;; amdgpu-corpus repo=ROCm/rocSOLVER kind=compiled arch=gfx906 opt=O3
	.amdgcn_target "amdgcn-amd-amdhsa--gfx906"
	.amdhsa_code_object_version 6
	.section	.text._ZN9rocsolver6v33100L18getri_kernel_smallILi1E19rocblas_complex_numIfEPS3_EEvT1_iilPiilS6_bb,"axG",@progbits,_ZN9rocsolver6v33100L18getri_kernel_smallILi1E19rocblas_complex_numIfEPS3_EEvT1_iilPiilS6_bb,comdat
	.globl	_ZN9rocsolver6v33100L18getri_kernel_smallILi1E19rocblas_complex_numIfEPS3_EEvT1_iilPiilS6_bb ; -- Begin function _ZN9rocsolver6v33100L18getri_kernel_smallILi1E19rocblas_complex_numIfEPS3_EEvT1_iilPiilS6_bb
	.p2align	8
	.type	_ZN9rocsolver6v33100L18getri_kernel_smallILi1E19rocblas_complex_numIfEPS3_EEvT1_iilPiilS6_bb,@function
_ZN9rocsolver6v33100L18getri_kernel_smallILi1E19rocblas_complex_numIfEPS3_EEvT1_iilPiilS6_bb: ; @_ZN9rocsolver6v33100L18getri_kernel_smallILi1E19rocblas_complex_numIfEPS3_EEvT1_iilPiilS6_bb
; %bb.0:
	v_cmp_eq_u32_e32 vcc, 0, v0
	s_and_saveexec_b64 s[0:1], vcc
	s_cbranch_execz .LBB0_13
; %bb.1:
	s_load_dword s0, s[4:5], 0x8
	s_load_dword s7, s[4:5], 0x38
	s_load_dwordx2 s[2:3], s[4:5], 0x0
	s_load_dwordx2 s[10:11], s[4:5], 0x10
	;; [unrolled: 1-line block ×3, first 2 shown]
	s_waitcnt lgkmcnt(0)
	s_ashr_i32 s1, s0, 31
	s_bitcmp1_b32 s7, 0
	s_cselect_b64 s[12:13], -1, 0
	s_ashr_i32 s7, s6, 31
	s_mul_hi_u32 s4, s10, s6
	s_mul_i32 s5, s10, s7
	s_add_i32 s4, s4, s5
	s_mul_i32 s5, s11, s6
	s_add_i32 s5, s4, s5
	s_mul_i32 s4, s10, s6
	s_lshl_b64 s[4:5], s[4:5], 3
	s_add_u32 s2, s2, s4
	s_addc_u32 s3, s3, s5
	s_lshl_b64 s[0:1], s[0:1], 3
	s_add_u32 s2, s2, s0
	s_addc_u32 s3, s3, s1
	s_load_dwordx2 s[4:5], s[2:3], 0x0
	s_and_b64 vcc, exec, s[12:13]
	s_cbranch_vccnz .LBB0_4
; %bb.2:
	s_lshl_b64 s[0:1], s[6:7], 2
	s_add_u32 s0, s8, s0
	s_addc_u32 s1, s9, s1
	s_load_dword s10, s[0:1], 0x0
	s_waitcnt lgkmcnt(0)
	s_cmp_eq_u32 s10, 0
	s_cselect_b64 s[10:11], -1, 0
	s_cbranch_execz .LBB0_5
; %bb.3:
	s_waitcnt lgkmcnt(0)
	v_mov_b32_e32 v1, s5
	v_mov_b32_e32 v0, s4
	s_and_b64 vcc, exec, s[10:11]
	s_cbranch_vccnz .LBB0_12
	s_branch .LBB0_13
.LBB0_4:
	s_mov_b64 s[10:11], 0
.LBB0_5:
	s_waitcnt lgkmcnt(0)
	v_cmp_eq_f32_e64 s[0:1], s4, 0
	v_cmp_eq_f32_e64 s[12:13], s5, 0
	s_and_b64 s[0:1], s[0:1], s[12:13]
	v_mov_b32_e32 v0, 0
	s_andn2_b64 vcc, exec, s[0:1]
	ds_write_b32 v0, v0
	s_waitcnt lgkmcnt(0)
	; wave barrier
	s_cbranch_vccnz .LBB0_10
; %bb.6:
	ds_read_b32 v1, v0
	s_waitcnt lgkmcnt(0)
	v_cmp_ne_u32_e32 vcc, 0, v1
	v_cmp_gt_i32_e64 s[0:1], 2, v1
	s_and_b64 s[0:1], vcc, s[0:1]
	s_and_b64 vcc, exec, s[0:1]
	s_cbranch_vccnz .LBB0_10
; %bb.7:
	s_mov_b64 s[12:13], 0
	v_mov_b32_e32 v2, 1
	v_mov_b32_e32 v3, 0
.LBB0_8:                                ; =>This Inner Loop Header: Depth=1
	ds_cmpst_rtn_b32 v1, v3, v1, v2
	s_waitcnt lgkmcnt(0)
	v_cmp_ne_u32_e32 vcc, 0, v1
	v_cmp_gt_i32_e64 s[0:1], 2, v1
	s_and_b64 s[0:1], vcc, s[0:1]
	s_and_b64 s[0:1], exec, s[0:1]
	s_or_b64 s[12:13], s[0:1], s[12:13]
	s_andn2_b64 exec, exec, s[12:13]
	s_cbranch_execnz .LBB0_8
; %bb.9:
	s_or_b64 exec, exec, s[12:13]
.LBB0_10:
	; wave barrier
	ds_read_b32 v1, v0
	s_lshl_b64 s[0:1], s[6:7], 2
	s_add_u32 s0, s8, s0
	s_addc_u32 s1, s9, s1
	s_waitcnt lgkmcnt(0)
	v_cmp_ne_u32_e32 vcc, 0, v1
	global_store_dword v0, v1, s[0:1]
	s_cbranch_vccz .LBB0_14
; %bb.11:
                                        ; implicit-def: $vgpr0
	s_and_b64 vcc, exec, s[10:11]
	s_cbranch_vccz .LBB0_13
.LBB0_12:
	v_mov_b32_e32 v2, 0
	global_store_dwordx2 v2, v[0:1], s[2:3]
.LBB0_13:
	s_endpgm
.LBB0_14:
	v_mov_b32_e32 v0, s5
	v_cmp_ngt_f32_e64 s[0:1], |s4|, |v0|
	s_and_b64 vcc, exec, s[0:1]
	s_cbranch_vccz .LBB0_16
; %bb.15:
	v_mov_b32_e32 v0, s4
	v_div_scale_f32 v1, s[0:1], s5, s5, v0
	v_mov_b32_e32 v2, s5
	v_div_scale_f32 v3, vcc, s4, v2, s4
	v_rcp_f32_e32 v4, v1
	v_fma_f32 v5, -v1, v4, 1.0
	v_fmac_f32_e32 v4, v5, v4
	v_mul_f32_e32 v5, v3, v4
	v_fma_f32 v6, -v1, v5, v3
	v_fmac_f32_e32 v5, v6, v4
	v_fma_f32 v1, -v1, v5, v3
	v_div_fmas_f32 v1, v1, v4, v5
	v_div_fixup_f32 v0, v1, s5, v0
	v_fma_f32 v1, s4, v0, v2
	v_div_scale_f32 v2, s[0:1], v1, v1, 1.0
	v_div_scale_f32 v3, vcc, 1.0, v1, 1.0
	v_rcp_f32_e32 v4, v2
	v_fma_f32 v5, -v2, v4, 1.0
	v_fmac_f32_e32 v4, v5, v4
	v_mul_f32_e32 v5, v3, v4
	v_fma_f32 v6, -v2, v5, v3
	v_fmac_f32_e32 v5, v6, v4
	v_fma_f32 v2, -v2, v5, v3
	v_div_fmas_f32 v2, v2, v4, v5
	v_div_fixup_f32 v1, v2, v1, 1.0
	v_mul_f32_e32 v0, v0, v1
	v_xor_b32_e32 v1, 0x80000000, v1
	s_cbranch_execz .LBB0_17
	s_branch .LBB0_18
.LBB0_16:
                                        ; implicit-def: $vgpr0
.LBB0_17:
	v_mov_b32_e32 v0, s5
	v_div_scale_f32 v1, s[0:1], s4, s4, v0
	v_mov_b32_e32 v2, s4
	v_div_scale_f32 v3, vcc, s5, v2, s5
	v_rcp_f32_e32 v4, v1
	v_fma_f32 v5, -v1, v4, 1.0
	v_fmac_f32_e32 v4, v5, v4
	v_mul_f32_e32 v5, v3, v4
	v_fma_f32 v6, -v1, v5, v3
	v_fmac_f32_e32 v5, v6, v4
	v_fma_f32 v1, -v1, v5, v3
	v_div_fmas_f32 v1, v1, v4, v5
	v_div_fixup_f32 v1, v1, s4, v0
	v_fma_f32 v0, s5, v1, v2
	v_div_scale_f32 v2, s[0:1], v0, v0, 1.0
	v_div_scale_f32 v3, vcc, 1.0, v0, 1.0
	v_rcp_f32_e32 v4, v2
	v_fma_f32 v5, -v2, v4, 1.0
	v_fmac_f32_e32 v4, v5, v4
	v_mul_f32_e32 v5, v3, v4
	v_fma_f32 v6, -v2, v5, v3
	v_fmac_f32_e32 v5, v6, v4
	v_fma_f32 v2, -v2, v5, v3
	v_div_fmas_f32 v2, v2, v4, v5
	v_div_fixup_f32 v0, v2, v0, 1.0
	v_mul_f32_e64 v1, v1, -v0
.LBB0_18:
	s_cbranch_execnz .LBB0_12
	s_branch .LBB0_13
	.section	.rodata,"a",@progbits
	.p2align	6, 0x0
	.amdhsa_kernel _ZN9rocsolver6v33100L18getri_kernel_smallILi1E19rocblas_complex_numIfEPS3_EEvT1_iilPiilS6_bb
		.amdhsa_group_segment_fixed_size 4
		.amdhsa_private_segment_fixed_size 0
		.amdhsa_kernarg_size 60
		.amdhsa_user_sgpr_count 6
		.amdhsa_user_sgpr_private_segment_buffer 1
		.amdhsa_user_sgpr_dispatch_ptr 0
		.amdhsa_user_sgpr_queue_ptr 0
		.amdhsa_user_sgpr_kernarg_segment_ptr 1
		.amdhsa_user_sgpr_dispatch_id 0
		.amdhsa_user_sgpr_flat_scratch_init 0
		.amdhsa_user_sgpr_private_segment_size 0
		.amdhsa_uses_dynamic_stack 0
		.amdhsa_system_sgpr_private_segment_wavefront_offset 0
		.amdhsa_system_sgpr_workgroup_id_x 1
		.amdhsa_system_sgpr_workgroup_id_y 0
		.amdhsa_system_sgpr_workgroup_id_z 0
		.amdhsa_system_sgpr_workgroup_info 0
		.amdhsa_system_vgpr_workitem_id 0
		.amdhsa_next_free_vgpr 7
		.amdhsa_next_free_sgpr 14
		.amdhsa_reserve_vcc 1
		.amdhsa_reserve_flat_scratch 0
		.amdhsa_float_round_mode_32 0
		.amdhsa_float_round_mode_16_64 0
		.amdhsa_float_denorm_mode_32 3
		.amdhsa_float_denorm_mode_16_64 3
		.amdhsa_dx10_clamp 1
		.amdhsa_ieee_mode 1
		.amdhsa_fp16_overflow 0
		.amdhsa_exception_fp_ieee_invalid_op 0
		.amdhsa_exception_fp_denorm_src 0
		.amdhsa_exception_fp_ieee_div_zero 0
		.amdhsa_exception_fp_ieee_overflow 0
		.amdhsa_exception_fp_ieee_underflow 0
		.amdhsa_exception_fp_ieee_inexact 0
		.amdhsa_exception_int_div_zero 0
	.end_amdhsa_kernel
	.section	.text._ZN9rocsolver6v33100L18getri_kernel_smallILi1E19rocblas_complex_numIfEPS3_EEvT1_iilPiilS6_bb,"axG",@progbits,_ZN9rocsolver6v33100L18getri_kernel_smallILi1E19rocblas_complex_numIfEPS3_EEvT1_iilPiilS6_bb,comdat
.Lfunc_end0:
	.size	_ZN9rocsolver6v33100L18getri_kernel_smallILi1E19rocblas_complex_numIfEPS3_EEvT1_iilPiilS6_bb, .Lfunc_end0-_ZN9rocsolver6v33100L18getri_kernel_smallILi1E19rocblas_complex_numIfEPS3_EEvT1_iilPiilS6_bb
                                        ; -- End function
	.set _ZN9rocsolver6v33100L18getri_kernel_smallILi1E19rocblas_complex_numIfEPS3_EEvT1_iilPiilS6_bb.num_vgpr, 7
	.set _ZN9rocsolver6v33100L18getri_kernel_smallILi1E19rocblas_complex_numIfEPS3_EEvT1_iilPiilS6_bb.num_agpr, 0
	.set _ZN9rocsolver6v33100L18getri_kernel_smallILi1E19rocblas_complex_numIfEPS3_EEvT1_iilPiilS6_bb.numbered_sgpr, 14
	.set _ZN9rocsolver6v33100L18getri_kernel_smallILi1E19rocblas_complex_numIfEPS3_EEvT1_iilPiilS6_bb.num_named_barrier, 0
	.set _ZN9rocsolver6v33100L18getri_kernel_smallILi1E19rocblas_complex_numIfEPS3_EEvT1_iilPiilS6_bb.private_seg_size, 0
	.set _ZN9rocsolver6v33100L18getri_kernel_smallILi1E19rocblas_complex_numIfEPS3_EEvT1_iilPiilS6_bb.uses_vcc, 1
	.set _ZN9rocsolver6v33100L18getri_kernel_smallILi1E19rocblas_complex_numIfEPS3_EEvT1_iilPiilS6_bb.uses_flat_scratch, 0
	.set _ZN9rocsolver6v33100L18getri_kernel_smallILi1E19rocblas_complex_numIfEPS3_EEvT1_iilPiilS6_bb.has_dyn_sized_stack, 0
	.set _ZN9rocsolver6v33100L18getri_kernel_smallILi1E19rocblas_complex_numIfEPS3_EEvT1_iilPiilS6_bb.has_recursion, 0
	.set _ZN9rocsolver6v33100L18getri_kernel_smallILi1E19rocblas_complex_numIfEPS3_EEvT1_iilPiilS6_bb.has_indirect_call, 0
	.section	.AMDGPU.csdata,"",@progbits
; Kernel info:
; codeLenInByte = 784
; TotalNumSgprs: 18
; NumVgprs: 7
; ScratchSize: 0
; MemoryBound: 0
; FloatMode: 240
; IeeeMode: 1
; LDSByteSize: 4 bytes/workgroup (compile time only)
; SGPRBlocks: 2
; VGPRBlocks: 1
; NumSGPRsForWavesPerEU: 18
; NumVGPRsForWavesPerEU: 7
; Occupancy: 10
; WaveLimiterHint : 0
; COMPUTE_PGM_RSRC2:SCRATCH_EN: 0
; COMPUTE_PGM_RSRC2:USER_SGPR: 6
; COMPUTE_PGM_RSRC2:TRAP_HANDLER: 0
; COMPUTE_PGM_RSRC2:TGID_X_EN: 1
; COMPUTE_PGM_RSRC2:TGID_Y_EN: 0
; COMPUTE_PGM_RSRC2:TGID_Z_EN: 0
; COMPUTE_PGM_RSRC2:TIDIG_COMP_CNT: 0
	.section	.text._ZN9rocsolver6v33100L18getri_kernel_smallILi2E19rocblas_complex_numIfEPS3_EEvT1_iilPiilS6_bb,"axG",@progbits,_ZN9rocsolver6v33100L18getri_kernel_smallILi2E19rocblas_complex_numIfEPS3_EEvT1_iilPiilS6_bb,comdat
	.globl	_ZN9rocsolver6v33100L18getri_kernel_smallILi2E19rocblas_complex_numIfEPS3_EEvT1_iilPiilS6_bb ; -- Begin function _ZN9rocsolver6v33100L18getri_kernel_smallILi2E19rocblas_complex_numIfEPS3_EEvT1_iilPiilS6_bb
	.p2align	8
	.type	_ZN9rocsolver6v33100L18getri_kernel_smallILi2E19rocblas_complex_numIfEPS3_EEvT1_iilPiilS6_bb,@function
_ZN9rocsolver6v33100L18getri_kernel_smallILi2E19rocblas_complex_numIfEPS3_EEvT1_iilPiilS6_bb: ; @_ZN9rocsolver6v33100L18getri_kernel_smallILi2E19rocblas_complex_numIfEPS3_EEvT1_iilPiilS6_bb
; %bb.0:
	s_add_u32 s0, s0, s7
	s_addc_u32 s1, s1, 0
	v_cmp_gt_u32_e32 vcc, 2, v0
	s_and_saveexec_b64 s[8:9], vcc
	s_cbranch_execz .LBB1_22
; %bb.1:
	s_load_dword s18, s[4:5], 0x38
	s_load_dwordx4 s[12:15], s[4:5], 0x10
	s_load_dwordx4 s[8:11], s[4:5], 0x28
	s_waitcnt lgkmcnt(0)
	s_bitcmp1_b32 s18, 8
	s_cselect_b64 s[16:17], -1, 0
	s_ashr_i32 s7, s6, 31
	s_bfe_u32 s18, s18, 0x10008
	s_cmp_eq_u32 s18, 0
                                        ; implicit-def: $sgpr18_sgpr19
	s_cbranch_scc1 .LBB1_3
; %bb.2:
	s_load_dword s18, s[4:5], 0x20
	s_mul_i32 s19, s8, s7
	s_mul_hi_u32 s20, s8, s6
	s_mul_i32 s9, s9, s6
	s_add_i32 s20, s20, s19
	s_add_i32 s9, s20, s9
	s_mul_i32 s8, s8, s6
	s_waitcnt lgkmcnt(0)
	s_ashr_i32 s19, s18, 31
	s_lshl_b64 s[8:9], s[8:9], 2
	s_add_u32 s14, s14, s8
	s_addc_u32 s15, s15, s9
	s_lshl_b64 s[8:9], s[18:19], 2
	s_add_u32 s18, s14, s8
	s_addc_u32 s19, s15, s9
.LBB1_3:
	s_load_dwordx4 s[20:23], s[4:5], 0x0
	s_load_dword s14, s[4:5], 0x38
	s_mul_i32 s8, s12, s7
	s_mul_hi_u32 s9, s12, s6
	s_add_i32 s8, s9, s8
	s_mul_i32 s9, s13, s6
	s_add_i32 s9, s8, s9
	s_mul_i32 s8, s12, s6
	s_waitcnt lgkmcnt(0)
	s_ashr_i32 s5, s22, 31
	s_lshl_b64 s[8:9], s[8:9], 3
	s_mov_b32 s4, s22
	s_add_u32 s8, s20, s8
	s_addc_u32 s9, s21, s9
	s_lshl_b64 s[4:5], s[4:5], 3
	s_add_u32 s4, s8, s4
	s_addc_u32 s5, s9, s5
	v_lshlrev_b32_e32 v7, 3, v0
	v_mov_b32_e32 v2, s5
	v_add_co_u32_e32 v1, vcc, s4, v7
	global_load_dwordx2 v[5:6], v7, s[4:5]
	s_ashr_i32 s5, s23, 31
	s_mov_b32 s4, s23
	v_addc_co_u32_e32 v2, vcc, 0, v2, vcc
	s_lshl_b64 s[4:5], s[4:5], 3
	v_mov_b32_e32 v4, s5
	v_add_co_u32_e32 v3, vcc, s4, v1
	v_addc_co_u32_e32 v4, vcc, v2, v4, vcc
	global_load_dwordx2 v[8:9], v[3:4], off
	s_bitcmp0_b32 s14, 0
	s_mov_b64 s[8:9], -1
	s_waitcnt vmcnt(1)
	buffer_store_dword v6, off, s[0:3], 0 offset:4
	buffer_store_dword v5, off, s[0:3], 0
	s_waitcnt vmcnt(2)
	buffer_store_dword v9, off, s[0:3], 0 offset:12
	buffer_store_dword v8, off, s[0:3], 0 offset:8
	s_cbranch_scc1 .LBB1_20
; %bb.4:
	v_cmp_eq_u32_e64 s[4:5], 0, v0
	s_and_saveexec_b64 s[8:9], s[4:5]
; %bb.5:
	v_mov_b32_e32 v5, 0
	ds_write_b32 v5, v5 offset:32
; %bb.6:
	s_or_b64 exec, exec, s[8:9]
	v_mov_b32_e32 v5, 0
	v_lshl_add_u32 v6, v0, 3, v5
	s_waitcnt lgkmcnt(0)
	; wave barrier
	buffer_load_dword v5, v6, s[0:3], 0 offen
	buffer_load_dword v8, v6, s[0:3], 0 offen offset:4
	s_waitcnt vmcnt(1)
	v_cmp_eq_f32_e32 vcc, 0, v5
	s_waitcnt vmcnt(0)
	v_cmp_eq_f32_e64 s[8:9], 0, v8
	s_and_b64 s[8:9], vcc, s[8:9]
	s_and_saveexec_b64 s[12:13], s[8:9]
	s_cbranch_execz .LBB1_10
; %bb.7:
	v_mov_b32_e32 v5, 0
	ds_read_b32 v9, v5 offset:32
	v_add_u32_e32 v8, 1, v0
	s_waitcnt lgkmcnt(0)
	v_readfirstlane_b32 s8, v9
	s_cmp_eq_u32 s8, 0
	s_cselect_b64 s[14:15], -1, 0
	v_cmp_gt_i32_e32 vcc, s8, v8
	s_or_b64 s[14:15], s[14:15], vcc
	s_and_b64 exec, exec, s[14:15]
	s_cbranch_execz .LBB1_10
; %bb.8:
	s_mov_b64 s[14:15], 0
	v_mov_b32_e32 v9, s8
.LBB1_9:                                ; =>This Inner Loop Header: Depth=1
	ds_cmpst_rtn_b32 v9, v5, v9, v8 offset:32
	s_waitcnt lgkmcnt(0)
	v_cmp_ne_u32_e32 vcc, 0, v9
	v_cmp_le_i32_e64 s[8:9], v9, v8
	s_and_b64 s[8:9], vcc, s[8:9]
	s_and_b64 s[8:9], exec, s[8:9]
	s_or_b64 s[14:15], s[8:9], s[14:15]
	s_andn2_b64 exec, exec, s[14:15]
	s_cbranch_execnz .LBB1_9
.LBB1_10:
	s_or_b64 exec, exec, s[12:13]
	v_mov_b32_e32 v8, 0
	; wave barrier
	ds_read_b32 v5, v8 offset:32
	s_and_saveexec_b64 s[8:9], s[4:5]
	s_cbranch_execz .LBB1_12
; %bb.11:
	s_lshl_b64 s[12:13], s[6:7], 2
	s_add_u32 s12, s10, s12
	s_addc_u32 s13, s11, s13
	s_waitcnt lgkmcnt(0)
	global_store_dword v8, v5, s[12:13]
.LBB1_12:
	s_or_b64 exec, exec, s[8:9]
	s_waitcnt lgkmcnt(0)
	v_cmp_ne_u32_e32 vcc, 0, v5
	s_mov_b64 s[8:9], 0
	s_cbranch_vccnz .LBB1_20
; %bb.13:
	buffer_load_dword v8, v6, s[0:3], 0 offen
	buffer_load_dword v9, v6, s[0:3], 0 offen offset:4
                                        ; implicit-def: $vgpr11
                                        ; implicit-def: $vgpr10
                                        ; implicit-def: $vgpr5
	s_waitcnt vmcnt(0)
	v_cmp_ngt_f32_e64 s[8:9], |v8|, |v9|
	s_and_saveexec_b64 s[12:13], s[8:9]
	s_xor_b64 s[8:9], exec, s[12:13]
	s_cbranch_execz .LBB1_15
; %bb.14:
	v_div_scale_f32 v5, s[12:13], v9, v9, v8
	v_div_scale_f32 v10, vcc, v8, v9, v8
	v_rcp_f32_e32 v11, v5
	v_fma_f32 v12, -v5, v11, 1.0
	v_fmac_f32_e32 v11, v12, v11
	v_mul_f32_e32 v12, v10, v11
	v_fma_f32 v13, -v5, v12, v10
	v_fmac_f32_e32 v12, v13, v11
	v_fma_f32 v5, -v5, v12, v10
	v_div_fmas_f32 v5, v5, v11, v12
	v_div_fixup_f32 v5, v5, v9, v8
	v_fmac_f32_e32 v9, v8, v5
	v_div_scale_f32 v8, s[12:13], v9, v9, 1.0
	v_div_scale_f32 v10, vcc, 1.0, v9, 1.0
	v_rcp_f32_e32 v11, v8
	v_fma_f32 v12, -v8, v11, 1.0
	v_fmac_f32_e32 v11, v12, v11
	v_mul_f32_e32 v12, v10, v11
	v_fma_f32 v13, -v8, v12, v10
	v_fmac_f32_e32 v12, v13, v11
	v_fma_f32 v8, -v8, v12, v10
	v_div_fmas_f32 v8, v8, v11, v12
	v_div_fixup_f32 v8, v8, v9, 1.0
	v_mul_f32_e32 v11, v5, v8
	v_xor_b32_e32 v10, 0x80000000, v8
	v_xor_b32_e32 v5, 0x80000000, v11
                                        ; implicit-def: $vgpr8
                                        ; implicit-def: $vgpr9
.LBB1_15:
	s_andn2_saveexec_b64 s[8:9], s[8:9]
	s_cbranch_execz .LBB1_17
; %bb.16:
	v_div_scale_f32 v5, s[12:13], v8, v8, v9
	v_div_scale_f32 v10, vcc, v9, v8, v9
	v_rcp_f32_e32 v11, v5
	v_fma_f32 v12, -v5, v11, 1.0
	v_fmac_f32_e32 v11, v12, v11
	v_mul_f32_e32 v12, v10, v11
	v_fma_f32 v13, -v5, v12, v10
	v_fmac_f32_e32 v12, v13, v11
	v_fma_f32 v5, -v5, v12, v10
	v_div_fmas_f32 v5, v5, v11, v12
	v_div_fixup_f32 v10, v5, v8, v9
	v_fmac_f32_e32 v8, v9, v10
	v_div_scale_f32 v5, s[12:13], v8, v8, 1.0
	v_div_scale_f32 v9, vcc, 1.0, v8, 1.0
	v_rcp_f32_e32 v11, v5
	v_fma_f32 v12, -v5, v11, 1.0
	v_fmac_f32_e32 v11, v12, v11
	v_mul_f32_e32 v12, v9, v11
	v_fma_f32 v13, -v5, v12, v9
	v_fmac_f32_e32 v12, v13, v11
	v_fma_f32 v5, -v5, v12, v9
	v_div_fmas_f32 v5, v5, v11, v12
	v_div_fixup_f32 v11, v5, v8, 1.0
	v_xor_b32_e32 v5, 0x80000000, v11
	v_mul_f32_e64 v10, v10, -v11
.LBB1_17:
	s_or_b64 exec, exec, s[8:9]
	buffer_store_dword v11, v6, s[0:3], 0 offen
	buffer_store_dword v10, v6, s[0:3], 0 offen offset:4
	buffer_load_dword v9, off, s[0:3], 0 offset:12
	buffer_load_dword v8, off, s[0:3], 0 offset:8
	v_xor_b32_e32 v6, 0x80000000, v10
	s_waitcnt vmcnt(0)
	ds_write2_b64 v7, v[5:6], v[8:9] offset1:2
	s_waitcnt lgkmcnt(0)
	; wave barrier
	s_and_saveexec_b64 s[8:9], s[4:5]
	s_cbranch_execz .LBB1_19
; %bb.18:
	buffer_load_dword v9, off, s[0:3], 0 offset:4
	buffer_load_dword v10, off, s[0:3], 0
	v_mov_b32_e32 v5, 0
	ds_read2_b64 v[5:8], v5 offset0:1 offset1:2
	s_waitcnt vmcnt(1) lgkmcnt(0)
	v_mul_f32_e32 v11, v8, v9
	v_mul_f32_e32 v9, v7, v9
	s_waitcnt vmcnt(0)
	v_fmac_f32_e32 v9, v8, v10
	v_fma_f32 v7, v7, v10, -v11
	v_add_f32_e32 v8, 0, v9
	v_add_f32_e32 v7, 0, v7
	v_mul_f32_e32 v9, v8, v6
	v_mul_f32_e32 v6, v7, v6
	v_fma_f32 v7, v7, v5, -v9
	v_fmac_f32_e32 v6, v8, v5
	buffer_store_dword v7, off, s[0:3], 0 offset:8
	buffer_store_dword v6, off, s[0:3], 0 offset:12
.LBB1_19:
	s_or_b64 exec, exec, s[8:9]
	s_mov_b64 s[8:9], -1
	; wave barrier
.LBB1_20:
	s_and_b64 vcc, exec, s[8:9]
	s_cbranch_vccz .LBB1_22
; %bb.21:
	s_lshl_b64 s[4:5], s[6:7], 2
	s_add_u32 s4, s10, s4
	s_addc_u32 s5, s11, s5
	v_mov_b32_e32 v5, 0
	global_load_dword v5, v5, s[4:5]
	s_waitcnt vmcnt(0)
	v_cmp_ne_u32_e32 vcc, 0, v5
	s_cbranch_vccz .LBB1_23
.LBB1_22:
	s_endpgm
.LBB1_23:
	v_cmp_eq_u32_e32 vcc, 1, v0
	s_and_saveexec_b64 s[4:5], vcc
	s_cbranch_execz .LBB1_25
; %bb.24:
	buffer_load_dword v5, off, s[0:3], 0
	buffer_load_dword v6, off, s[0:3], 0 offset:4
	v_mov_b32_e32 v0, 0
	buffer_store_dword v0, off, s[0:3], 0
	buffer_store_dword v0, off, s[0:3], 0 offset:4
	s_waitcnt vmcnt(2)
	ds_write_b64 v0, v[5:6] offset:24
.LBB1_25:
	s_or_b64 exec, exec, s[4:5]
	s_waitcnt lgkmcnt(0)
	; wave barrier
	buffer_load_dword v6, off, s[0:3], 0 offset:12
	buffer_load_dword v5, off, s[0:3], 0 offset:8
	buffer_load_dword v9, off, s[0:3], 0
	buffer_load_dword v10, off, s[0:3], 0 offset:4
	v_mov_b32_e32 v0, 0
	ds_read_b64 v[7:8], v0 offset:24
	s_and_b64 vcc, exec, s[16:17]
	s_waitcnt vmcnt(3) lgkmcnt(0)
	v_mul_f32_e32 v11, v8, v6
	v_mul_f32_e32 v12, v7, v6
	s_waitcnt vmcnt(2)
	v_fma_f32 v7, v7, v5, -v11
	v_fmac_f32_e32 v12, v8, v5
	v_add_f32_e32 v7, 0, v7
	v_add_f32_e32 v8, 0, v12
	s_waitcnt vmcnt(1)
	v_sub_f32_e32 v7, v9, v7
	s_waitcnt vmcnt(0)
	v_sub_f32_e32 v8, v10, v8
	buffer_store_dword v7, off, s[0:3], 0
	buffer_store_dword v8, off, s[0:3], 0 offset:4
	s_cbranch_vccz .LBB1_28
; %bb.26:
	global_load_dword v0, v0, s[18:19]
	s_waitcnt vmcnt(0)
	v_add_u32_e32 v0, -1, v0
	v_cmp_ne_u32_e32 vcc, 0, v0
	s_cbranch_vccz .LBB1_28
; %bb.27:
	v_lshlrev_b32_e32 v0, 3, v0
	buffer_load_dword v5, v0, s[0:3], 0 offen
	buffer_load_dword v6, v0, s[0:3], 0 offen offset:4
	buffer_load_dword v7, off, s[0:3], 0 offset:4
	buffer_load_dword v8, off, s[0:3], 0
	s_waitcnt vmcnt(3)
	buffer_store_dword v5, off, s[0:3], 0
	s_waitcnt vmcnt(3)
	buffer_store_dword v6, off, s[0:3], 0 offset:4
	s_waitcnt vmcnt(3)
	buffer_store_dword v7, v0, s[0:3], 0 offen offset:4
	s_waitcnt vmcnt(3)
	buffer_store_dword v8, v0, s[0:3], 0 offen
	buffer_load_dword v6, off, s[0:3], 0 offset:12
	buffer_load_dword v5, off, s[0:3], 0 offset:8
.LBB1_28:
	buffer_load_dword v7, off, s[0:3], 0
	s_nop 0
	buffer_load_dword v8, off, s[0:3], 0 offset:4
	s_waitcnt vmcnt(0)
	global_store_dwordx2 v[1:2], v[7:8], off
	global_store_dwordx2 v[3:4], v[5:6], off
	s_endpgm
	.section	.rodata,"a",@progbits
	.p2align	6, 0x0
	.amdhsa_kernel _ZN9rocsolver6v33100L18getri_kernel_smallILi2E19rocblas_complex_numIfEPS3_EEvT1_iilPiilS6_bb
		.amdhsa_group_segment_fixed_size 36
		.amdhsa_private_segment_fixed_size 32
		.amdhsa_kernarg_size 60
		.amdhsa_user_sgpr_count 6
		.amdhsa_user_sgpr_private_segment_buffer 1
		.amdhsa_user_sgpr_dispatch_ptr 0
		.amdhsa_user_sgpr_queue_ptr 0
		.amdhsa_user_sgpr_kernarg_segment_ptr 1
		.amdhsa_user_sgpr_dispatch_id 0
		.amdhsa_user_sgpr_flat_scratch_init 0
		.amdhsa_user_sgpr_private_segment_size 0
		.amdhsa_uses_dynamic_stack 0
		.amdhsa_system_sgpr_private_segment_wavefront_offset 1
		.amdhsa_system_sgpr_workgroup_id_x 1
		.amdhsa_system_sgpr_workgroup_id_y 0
		.amdhsa_system_sgpr_workgroup_id_z 0
		.amdhsa_system_sgpr_workgroup_info 0
		.amdhsa_system_vgpr_workitem_id 0
		.amdhsa_next_free_vgpr 14
		.amdhsa_next_free_sgpr 24
		.amdhsa_reserve_vcc 1
		.amdhsa_reserve_flat_scratch 0
		.amdhsa_float_round_mode_32 0
		.amdhsa_float_round_mode_16_64 0
		.amdhsa_float_denorm_mode_32 3
		.amdhsa_float_denorm_mode_16_64 3
		.amdhsa_dx10_clamp 1
		.amdhsa_ieee_mode 1
		.amdhsa_fp16_overflow 0
		.amdhsa_exception_fp_ieee_invalid_op 0
		.amdhsa_exception_fp_denorm_src 0
		.amdhsa_exception_fp_ieee_div_zero 0
		.amdhsa_exception_fp_ieee_overflow 0
		.amdhsa_exception_fp_ieee_underflow 0
		.amdhsa_exception_fp_ieee_inexact 0
		.amdhsa_exception_int_div_zero 0
	.end_amdhsa_kernel
	.section	.text._ZN9rocsolver6v33100L18getri_kernel_smallILi2E19rocblas_complex_numIfEPS3_EEvT1_iilPiilS6_bb,"axG",@progbits,_ZN9rocsolver6v33100L18getri_kernel_smallILi2E19rocblas_complex_numIfEPS3_EEvT1_iilPiilS6_bb,comdat
.Lfunc_end1:
	.size	_ZN9rocsolver6v33100L18getri_kernel_smallILi2E19rocblas_complex_numIfEPS3_EEvT1_iilPiilS6_bb, .Lfunc_end1-_ZN9rocsolver6v33100L18getri_kernel_smallILi2E19rocblas_complex_numIfEPS3_EEvT1_iilPiilS6_bb
                                        ; -- End function
	.set _ZN9rocsolver6v33100L18getri_kernel_smallILi2E19rocblas_complex_numIfEPS3_EEvT1_iilPiilS6_bb.num_vgpr, 14
	.set _ZN9rocsolver6v33100L18getri_kernel_smallILi2E19rocblas_complex_numIfEPS3_EEvT1_iilPiilS6_bb.num_agpr, 0
	.set _ZN9rocsolver6v33100L18getri_kernel_smallILi2E19rocblas_complex_numIfEPS3_EEvT1_iilPiilS6_bb.numbered_sgpr, 24
	.set _ZN9rocsolver6v33100L18getri_kernel_smallILi2E19rocblas_complex_numIfEPS3_EEvT1_iilPiilS6_bb.num_named_barrier, 0
	.set _ZN9rocsolver6v33100L18getri_kernel_smallILi2E19rocblas_complex_numIfEPS3_EEvT1_iilPiilS6_bb.private_seg_size, 32
	.set _ZN9rocsolver6v33100L18getri_kernel_smallILi2E19rocblas_complex_numIfEPS3_EEvT1_iilPiilS6_bb.uses_vcc, 1
	.set _ZN9rocsolver6v33100L18getri_kernel_smallILi2E19rocblas_complex_numIfEPS3_EEvT1_iilPiilS6_bb.uses_flat_scratch, 0
	.set _ZN9rocsolver6v33100L18getri_kernel_smallILi2E19rocblas_complex_numIfEPS3_EEvT1_iilPiilS6_bb.has_dyn_sized_stack, 0
	.set _ZN9rocsolver6v33100L18getri_kernel_smallILi2E19rocblas_complex_numIfEPS3_EEvT1_iilPiilS6_bb.has_recursion, 0
	.set _ZN9rocsolver6v33100L18getri_kernel_smallILi2E19rocblas_complex_numIfEPS3_EEvT1_iilPiilS6_bb.has_indirect_call, 0
	.section	.AMDGPU.csdata,"",@progbits
; Kernel info:
; codeLenInByte = 1544
; TotalNumSgprs: 28
; NumVgprs: 14
; ScratchSize: 32
; MemoryBound: 0
; FloatMode: 240
; IeeeMode: 1
; LDSByteSize: 36 bytes/workgroup (compile time only)
; SGPRBlocks: 3
; VGPRBlocks: 3
; NumSGPRsForWavesPerEU: 28
; NumVGPRsForWavesPerEU: 14
; Occupancy: 10
; WaveLimiterHint : 0
; COMPUTE_PGM_RSRC2:SCRATCH_EN: 1
; COMPUTE_PGM_RSRC2:USER_SGPR: 6
; COMPUTE_PGM_RSRC2:TRAP_HANDLER: 0
; COMPUTE_PGM_RSRC2:TGID_X_EN: 1
; COMPUTE_PGM_RSRC2:TGID_Y_EN: 0
; COMPUTE_PGM_RSRC2:TGID_Z_EN: 0
; COMPUTE_PGM_RSRC2:TIDIG_COMP_CNT: 0
	.section	.text._ZN9rocsolver6v33100L18getri_kernel_smallILi3E19rocblas_complex_numIfEPS3_EEvT1_iilPiilS6_bb,"axG",@progbits,_ZN9rocsolver6v33100L18getri_kernel_smallILi3E19rocblas_complex_numIfEPS3_EEvT1_iilPiilS6_bb,comdat
	.globl	_ZN9rocsolver6v33100L18getri_kernel_smallILi3E19rocblas_complex_numIfEPS3_EEvT1_iilPiilS6_bb ; -- Begin function _ZN9rocsolver6v33100L18getri_kernel_smallILi3E19rocblas_complex_numIfEPS3_EEvT1_iilPiilS6_bb
	.p2align	8
	.type	_ZN9rocsolver6v33100L18getri_kernel_smallILi3E19rocblas_complex_numIfEPS3_EEvT1_iilPiilS6_bb,@function
_ZN9rocsolver6v33100L18getri_kernel_smallILi3E19rocblas_complex_numIfEPS3_EEvT1_iilPiilS6_bb: ; @_ZN9rocsolver6v33100L18getri_kernel_smallILi3E19rocblas_complex_numIfEPS3_EEvT1_iilPiilS6_bb
; %bb.0:
	s_add_u32 s0, s0, s7
	s_addc_u32 s1, s1, 0
	v_cmp_gt_u32_e32 vcc, 3, v0
	s_and_saveexec_b64 s[8:9], vcc
	s_cbranch_execz .LBB2_26
; %bb.1:
	s_load_dword s16, s[4:5], 0x38
	s_load_dwordx4 s[12:15], s[4:5], 0x10
	s_load_dwordx4 s[8:11], s[4:5], 0x28
                                        ; implicit-def: $sgpr20_sgpr21
	s_waitcnt lgkmcnt(0)
	s_bitcmp1_b32 s16, 8
	s_cselect_b64 s[22:23], -1, 0
	s_ashr_i32 s7, s6, 31
	s_bfe_u32 s16, s16, 0x10008
	s_cmp_eq_u32 s16, 0
	s_cbranch_scc1 .LBB2_3
; %bb.2:
	s_load_dword s16, s[4:5], 0x20
	s_mul_i32 s17, s8, s7
	s_mul_hi_u32 s18, s8, s6
	s_mul_i32 s9, s9, s6
	s_add_i32 s18, s18, s17
	s_add_i32 s9, s18, s9
	s_mul_i32 s8, s8, s6
	s_waitcnt lgkmcnt(0)
	s_ashr_i32 s17, s16, 31
	s_lshl_b64 s[8:9], s[8:9], 2
	s_add_u32 s14, s14, s8
	s_addc_u32 s15, s15, s9
	s_lshl_b64 s[8:9], s[16:17], 2
	s_add_u32 s20, s14, s8
	s_addc_u32 s21, s15, s9
.LBB2_3:
	s_load_dwordx4 s[16:19], s[4:5], 0x0
	s_load_dword s14, s[4:5], 0x38
	s_mul_i32 s8, s12, s7
	s_mul_hi_u32 s9, s12, s6
	s_add_i32 s8, s9, s8
	s_mul_i32 s9, s13, s6
	s_add_i32 s9, s8, s9
	s_mul_i32 s8, s12, s6
	s_waitcnt lgkmcnt(0)
	s_ashr_i32 s5, s18, 31
	s_lshl_b64 s[8:9], s[8:9], 3
	s_mov_b32 s4, s18
	s_add_u32 s8, s16, s8
	s_addc_u32 s9, s17, s9
	s_lshl_b64 s[4:5], s[4:5], 3
	s_add_u32 s4, s8, s4
	s_addc_u32 s5, s9, s5
	v_lshlrev_b32_e32 v9, 3, v0
	v_mov_b32_e32 v2, s5
	v_add_co_u32_e32 v1, vcc, s4, v9
	s_ashr_i32 s9, s19, 31
	s_mov_b32 s8, s19
	v_addc_co_u32_e32 v2, vcc, 0, v2, vcc
	s_lshl_b64 s[8:9], s[8:9], 3
	v_add_co_u32_e32 v3, vcc, s8, v1
	s_add_i32 s8, s19, s19
	v_add_u32_e32 v5, s8, v0
	v_ashrrev_i32_e32 v6, 31, v5
	global_load_dwordx2 v[7:8], v9, s[4:5]
	v_mov_b32_e32 v4, s9
	v_lshlrev_b64 v[5:6], 3, v[5:6]
	v_addc_co_u32_e32 v4, vcc, v2, v4, vcc
	global_load_dwordx2 v[10:11], v[3:4], off
	v_mov_b32_e32 v12, s5
	v_add_co_u32_e32 v5, vcc, s4, v5
	v_addc_co_u32_e32 v6, vcc, v12, v6, vcc
	global_load_dwordx2 v[12:13], v[5:6], off
	s_bitcmp0_b32 s14, 0
	s_mov_b64 s[8:9], -1
	s_waitcnt vmcnt(2)
	buffer_store_dword v8, off, s[0:3], 0 offset:4
	buffer_store_dword v7, off, s[0:3], 0
	s_waitcnt vmcnt(3)
	buffer_store_dword v11, off, s[0:3], 0 offset:12
	buffer_store_dword v10, off, s[0:3], 0 offset:8
	s_waitcnt vmcnt(4)
	buffer_store_dword v13, off, s[0:3], 0 offset:20
	buffer_store_dword v12, off, s[0:3], 0 offset:16
	s_cbranch_scc1 .LBB2_24
; %bb.4:
	v_cmp_eq_u32_e64 s[4:5], 0, v0
	s_and_saveexec_b64 s[8:9], s[4:5]
; %bb.5:
	v_mov_b32_e32 v7, 0
	ds_write_b32 v7, v7 offset:24
; %bb.6:
	s_or_b64 exec, exec, s[8:9]
	v_mov_b32_e32 v7, 0
	v_lshl_add_u32 v10, v0, 3, v7
	s_waitcnt lgkmcnt(0)
	; wave barrier
	buffer_load_dword v7, v10, s[0:3], 0 offen
	buffer_load_dword v8, v10, s[0:3], 0 offen offset:4
	s_waitcnt vmcnt(1)
	v_cmp_eq_f32_e32 vcc, 0, v7
	s_waitcnt vmcnt(0)
	v_cmp_eq_f32_e64 s[8:9], 0, v8
	s_and_b64 s[8:9], vcc, s[8:9]
	s_and_saveexec_b64 s[12:13], s[8:9]
	s_cbranch_execz .LBB2_10
; %bb.7:
	v_mov_b32_e32 v7, 0
	ds_read_b32 v11, v7 offset:24
	v_add_u32_e32 v8, 1, v0
	s_waitcnt lgkmcnt(0)
	v_readfirstlane_b32 s8, v11
	s_cmp_eq_u32 s8, 0
	s_cselect_b64 s[14:15], -1, 0
	v_cmp_gt_i32_e32 vcc, s8, v8
	s_or_b64 s[14:15], s[14:15], vcc
	s_and_b64 exec, exec, s[14:15]
	s_cbranch_execz .LBB2_10
; %bb.8:
	s_mov_b64 s[14:15], 0
	v_mov_b32_e32 v11, s8
.LBB2_9:                                ; =>This Inner Loop Header: Depth=1
	ds_cmpst_rtn_b32 v11, v7, v11, v8 offset:24
	s_waitcnt lgkmcnt(0)
	v_cmp_ne_u32_e32 vcc, 0, v11
	v_cmp_le_i32_e64 s[8:9], v11, v8
	s_and_b64 s[8:9], vcc, s[8:9]
	s_and_b64 s[8:9], exec, s[8:9]
	s_or_b64 s[14:15], s[8:9], s[14:15]
	s_andn2_b64 exec, exec, s[14:15]
	s_cbranch_execnz .LBB2_9
.LBB2_10:
	s_or_b64 exec, exec, s[12:13]
	v_mov_b32_e32 v8, 0
	; wave barrier
	ds_read_b32 v7, v8 offset:24
	s_and_saveexec_b64 s[8:9], s[4:5]
	s_cbranch_execz .LBB2_12
; %bb.11:
	s_lshl_b64 s[12:13], s[6:7], 2
	s_add_u32 s12, s10, s12
	s_addc_u32 s13, s11, s13
	s_waitcnt lgkmcnt(0)
	global_store_dword v8, v7, s[12:13]
.LBB2_12:
	s_or_b64 exec, exec, s[8:9]
	s_waitcnt lgkmcnt(0)
	v_cmp_ne_u32_e32 vcc, 0, v7
	s_mov_b64 s[8:9], 0
	s_cbranch_vccnz .LBB2_24
; %bb.13:
	buffer_load_dword v8, v10, s[0:3], 0 offen
	buffer_load_dword v11, v10, s[0:3], 0 offen offset:4
                                        ; implicit-def: $vgpr13
                                        ; implicit-def: $vgpr12
                                        ; implicit-def: $vgpr7
	s_waitcnt vmcnt(0)
	v_cmp_ngt_f32_e64 s[8:9], |v8|, |v11|
	s_and_saveexec_b64 s[12:13], s[8:9]
	s_xor_b64 s[8:9], exec, s[12:13]
	s_cbranch_execz .LBB2_15
; %bb.14:
	v_div_scale_f32 v7, s[12:13], v11, v11, v8
	v_div_scale_f32 v12, vcc, v8, v11, v8
	v_rcp_f32_e32 v13, v7
	v_fma_f32 v14, -v7, v13, 1.0
	v_fmac_f32_e32 v13, v14, v13
	v_mul_f32_e32 v14, v12, v13
	v_fma_f32 v15, -v7, v14, v12
	v_fmac_f32_e32 v14, v15, v13
	v_fma_f32 v7, -v7, v14, v12
	v_div_fmas_f32 v7, v7, v13, v14
	v_div_fixup_f32 v7, v7, v11, v8
	v_fmac_f32_e32 v11, v8, v7
	v_div_scale_f32 v8, s[12:13], v11, v11, 1.0
	v_div_scale_f32 v12, vcc, 1.0, v11, 1.0
	v_rcp_f32_e32 v13, v8
	v_fma_f32 v14, -v8, v13, 1.0
	v_fmac_f32_e32 v13, v14, v13
	v_mul_f32_e32 v14, v12, v13
	v_fma_f32 v15, -v8, v14, v12
	v_fmac_f32_e32 v14, v15, v13
	v_fma_f32 v8, -v8, v14, v12
	v_div_fmas_f32 v8, v8, v13, v14
	v_div_fixup_f32 v8, v8, v11, 1.0
	v_mul_f32_e32 v13, v7, v8
	v_xor_b32_e32 v12, 0x80000000, v8
	v_xor_b32_e32 v7, 0x80000000, v13
                                        ; implicit-def: $vgpr8
                                        ; implicit-def: $vgpr11
.LBB2_15:
	s_andn2_saveexec_b64 s[8:9], s[8:9]
	s_cbranch_execz .LBB2_17
; %bb.16:
	v_div_scale_f32 v7, s[12:13], v8, v8, v11
	v_div_scale_f32 v12, vcc, v11, v8, v11
	v_rcp_f32_e32 v13, v7
	v_fma_f32 v14, -v7, v13, 1.0
	v_fmac_f32_e32 v13, v14, v13
	v_mul_f32_e32 v14, v12, v13
	v_fma_f32 v15, -v7, v14, v12
	v_fmac_f32_e32 v14, v15, v13
	v_fma_f32 v7, -v7, v14, v12
	v_div_fmas_f32 v7, v7, v13, v14
	v_div_fixup_f32 v12, v7, v8, v11
	v_fmac_f32_e32 v8, v11, v12
	v_div_scale_f32 v7, s[12:13], v8, v8, 1.0
	v_div_scale_f32 v11, vcc, 1.0, v8, 1.0
	v_rcp_f32_e32 v13, v7
	v_fma_f32 v14, -v7, v13, 1.0
	v_fmac_f32_e32 v13, v14, v13
	v_mul_f32_e32 v14, v11, v13
	v_fma_f32 v15, -v7, v14, v11
	v_fmac_f32_e32 v14, v15, v13
	v_fma_f32 v7, -v7, v14, v11
	v_div_fmas_f32 v7, v7, v13, v14
	v_div_fixup_f32 v13, v7, v8, 1.0
	v_xor_b32_e32 v7, 0x80000000, v13
	v_mul_f32_e64 v12, v12, -v13
.LBB2_17:
	s_or_b64 exec, exec, s[8:9]
	buffer_store_dword v13, v10, s[0:3], 0 offen
	buffer_store_dword v12, v10, s[0:3], 0 offen offset:4
	buffer_load_dword v14, off, s[0:3], 0 offset:12
	s_nop 0
	buffer_load_dword v13, off, s[0:3], 0 offset:8
	v_xor_b32_e32 v8, 0x80000000, v12
	v_add_u32_e32 v11, 32, v9
	s_waitcnt vmcnt(0)
	ds_write2_b64 v9, v[7:8], v[13:14] offset1:4
	s_waitcnt lgkmcnt(0)
	; wave barrier
	s_and_saveexec_b64 s[8:9], s[4:5]
	s_cbranch_execz .LBB2_19
; %bb.18:
	buffer_load_dword v9, v10, s[0:3], 0 offen offset:4
	buffer_load_dword v14, v10, s[0:3], 0 offen
	ds_read_b64 v[7:8], v11
	v_mov_b32_e32 v12, 0
	ds_read_b64 v[12:13], v12 offset:8
	s_waitcnt vmcnt(1) lgkmcnt(1)
	v_mul_f32_e32 v15, v8, v9
	v_mul_f32_e32 v9, v7, v9
	s_waitcnt vmcnt(0)
	v_fmac_f32_e32 v9, v8, v14
	v_fma_f32 v7, v7, v14, -v15
	v_add_f32_e32 v8, 0, v9
	v_add_f32_e32 v7, 0, v7
	s_waitcnt lgkmcnt(0)
	v_mul_f32_e32 v9, v8, v13
	v_mul_f32_e32 v13, v7, v13
	v_fma_f32 v7, v7, v12, -v9
	v_fmac_f32_e32 v13, v8, v12
	buffer_store_dword v7, off, s[0:3], 0 offset:8
	buffer_store_dword v13, off, s[0:3], 0 offset:12
.LBB2_19:
	s_or_b64 exec, exec, s[8:9]
	; wave barrier
	buffer_load_dword v7, off, s[0:3], 0 offset:16
	buffer_load_dword v8, off, s[0:3], 0 offset:20
	v_cmp_ne_u32_e32 vcc, 2, v0
	s_waitcnt vmcnt(0)
	ds_write_b64 v11, v[7:8]
	s_waitcnt lgkmcnt(0)
	; wave barrier
	s_and_saveexec_b64 s[8:9], vcc
	s_cbranch_execz .LBB2_23
; %bb.20:
	buffer_load_dword v9, v10, s[0:3], 0 offen offset:4
	buffer_load_dword v12, v10, s[0:3], 0 offen
	ds_read_b64 v[7:8], v11
	s_waitcnt vmcnt(1) lgkmcnt(0)
	v_mul_f32_e32 v10, v8, v9
	v_mul_f32_e32 v9, v7, v9
	s_waitcnt vmcnt(0)
	v_fma_f32 v7, v7, v12, -v10
	v_fmac_f32_e32 v9, v8, v12
	v_add_f32_e32 v8, 0, v7
	v_add_f32_e32 v7, 0, v9
	s_and_saveexec_b64 s[12:13], s[4:5]
	s_cbranch_execz .LBB2_22
; %bb.21:
	buffer_load_dword v11, off, s[0:3], 0 offset:12
	buffer_load_dword v12, off, s[0:3], 0 offset:8
	v_mov_b32_e32 v9, 0
	ds_read_b64 v[9:10], v9 offset:40
	s_waitcnt vmcnt(1) lgkmcnt(0)
	v_mul_f32_e32 v13, v9, v11
	v_mul_f32_e32 v11, v10, v11
	s_waitcnt vmcnt(0)
	v_fmac_f32_e32 v13, v10, v12
	v_fma_f32 v9, v9, v12, -v11
	v_add_f32_e32 v7, v7, v13
	v_add_f32_e32 v8, v8, v9
.LBB2_22:
	s_or_b64 exec, exec, s[12:13]
	v_mov_b32_e32 v9, 0
	ds_read_b64 v[9:10], v9 offset:16
	s_waitcnt lgkmcnt(0)
	v_mul_f32_e32 v11, v7, v10
	v_mul_f32_e32 v10, v8, v10
	v_fma_f32 v8, v8, v9, -v11
	v_fmac_f32_e32 v10, v7, v9
	buffer_store_dword v8, off, s[0:3], 0 offset:16
	buffer_store_dword v10, off, s[0:3], 0 offset:20
.LBB2_23:
	s_or_b64 exec, exec, s[8:9]
	s_mov_b64 s[8:9], -1
	; wave barrier
.LBB2_24:
	s_and_b64 vcc, exec, s[8:9]
	s_cbranch_vccz .LBB2_26
; %bb.25:
	s_lshl_b64 s[4:5], s[6:7], 2
	s_add_u32 s4, s10, s4
	s_addc_u32 s5, s11, s5
	v_mov_b32_e32 v7, 0
	global_load_dword v7, v7, s[4:5]
	s_waitcnt vmcnt(0)
	v_cmp_ne_u32_e32 vcc, 0, v7
	s_cbranch_vccz .LBB2_27
.LBB2_26:
	s_endpgm
.LBB2_27:
	v_lshl_add_u32 v7, v0, 3, 32
	v_cmp_eq_u32_e32 vcc, 2, v0
	s_and_saveexec_b64 s[4:5], vcc
	s_cbranch_execz .LBB2_29
; %bb.28:
	buffer_load_dword v8, off, s[0:3], 0 offset:8
	buffer_load_dword v9, off, s[0:3], 0 offset:12
	v_mov_b32_e32 v10, 0
	buffer_store_dword v10, off, s[0:3], 0 offset:8
	buffer_store_dword v10, off, s[0:3], 0 offset:12
	s_waitcnt vmcnt(2)
	ds_write_b64 v7, v[8:9]
.LBB2_29:
	s_or_b64 exec, exec, s[4:5]
	s_waitcnt lgkmcnt(0)
	; wave barrier
	buffer_load_dword v11, off, s[0:3], 0 offset:20
	buffer_load_dword v12, off, s[0:3], 0 offset:16
	;; [unrolled: 1-line block ×4, first 2 shown]
	v_mov_b32_e32 v8, 0
	ds_read_b64 v[9:10], v8 offset:48
	v_cmp_ne_u32_e32 vcc, 0, v0
	s_waitcnt vmcnt(3) lgkmcnt(0)
	v_mul_f32_e32 v15, v9, v11
	v_mul_f32_e32 v11, v10, v11
	s_waitcnt vmcnt(2)
	v_fma_f32 v9, v9, v12, -v11
	v_fmac_f32_e32 v15, v10, v12
	v_add_f32_e32 v9, 0, v9
	v_add_f32_e32 v10, 0, v15
	s_waitcnt vmcnt(1)
	v_sub_f32_e32 v9, v13, v9
	s_waitcnt vmcnt(0)
	v_sub_f32_e32 v10, v14, v10
	buffer_store_dword v9, off, s[0:3], 0 offset:8
	buffer_store_dword v10, off, s[0:3], 0 offset:12
	s_and_saveexec_b64 s[4:5], vcc
	s_cbranch_execz .LBB2_31
; %bb.30:
	buffer_load_dword v9, off, s[0:3], 0
	buffer_load_dword v10, off, s[0:3], 0 offset:4
	s_waitcnt vmcnt(0)
	ds_write_b64 v7, v[9:10]
	buffer_store_dword v8, off, s[0:3], 0
	buffer_store_dword v8, off, s[0:3], 0 offset:4
.LBB2_31:
	s_or_b64 exec, exec, s[4:5]
	s_waitcnt lgkmcnt(0)
	; wave barrier
	buffer_load_dword v0, off, s[0:3], 0 offset:12
	buffer_load_dword v12, off, s[0:3], 0 offset:20
	;; [unrolled: 1-line block ×4, first 2 shown]
	buffer_load_dword v14, off, s[0:3], 0
	buffer_load_dword v15, off, s[0:3], 0 offset:4
	ds_read2_b64 v[8:11], v8 offset0:5 offset1:6
	s_and_b64 vcc, exec, s[22:23]
	s_waitcnt vmcnt(5) lgkmcnt(0)
	v_mul_f32_e32 v18, v9, v0
	v_mul_f32_e32 v16, v8, v0
	s_waitcnt vmcnt(4)
	v_mul_f32_e32 v17, v10, v12
	v_mul_f32_e32 v12, v11, v12
	s_waitcnt vmcnt(3)
	v_fma_f32 v8, v8, v7, -v18
	v_fmac_f32_e32 v16, v9, v7
	s_waitcnt vmcnt(2)
	v_fma_f32 v9, v10, v13, -v12
	v_add_f32_e32 v8, 0, v8
	v_fmac_f32_e32 v17, v11, v13
	v_add_f32_e32 v10, 0, v16
	v_add_f32_e32 v8, v8, v9
	;; [unrolled: 1-line block ×3, first 2 shown]
	s_waitcnt vmcnt(1)
	v_sub_f32_e32 v8, v14, v8
	s_waitcnt vmcnt(0)
	v_sub_f32_e32 v9, v15, v10
	buffer_store_dword v8, off, s[0:3], 0
	buffer_store_dword v9, off, s[0:3], 0 offset:4
	s_cbranch_vccz .LBB2_36
; %bb.32:
	v_mov_b32_e32 v8, 0
	global_load_dword v9, v8, s[20:21] offset:4
	s_waitcnt vmcnt(0)
	v_add_u32_e32 v9, -1, v9
	v_cmp_ne_u32_e32 vcc, 1, v9
	s_cbranch_vccz .LBB2_34
; %bb.33:
	v_lshlrev_b32_e32 v9, 3, v9
	buffer_load_dword v10, v9, s[0:3], 0 offen
	buffer_load_dword v11, v9, s[0:3], 0 offen offset:4
	s_waitcnt vmcnt(1)
	buffer_store_dword v10, off, s[0:3], 0 offset:8
	s_waitcnt vmcnt(1)
	buffer_store_dword v11, off, s[0:3], 0 offset:12
	buffer_store_dword v7, v9, s[0:3], 0 offen
	buffer_store_dword v0, v9, s[0:3], 0 offen offset:4
.LBB2_34:
	global_load_dword v0, v8, s[20:21]
	s_waitcnt vmcnt(0)
	v_add_u32_e32 v0, -1, v0
	v_cmp_eq_u32_e32 vcc, 0, v0
	s_cbranch_vccnz .LBB2_36
; %bb.35:
	v_lshlrev_b32_e32 v0, 3, v0
	buffer_load_dword v7, v0, s[0:3], 0 offen
	buffer_load_dword v8, v0, s[0:3], 0 offen offset:4
	buffer_load_dword v9, off, s[0:3], 0 offset:4
	buffer_load_dword v10, off, s[0:3], 0
	s_waitcnt vmcnt(3)
	buffer_store_dword v7, off, s[0:3], 0
	s_waitcnt vmcnt(3)
	buffer_store_dword v8, off, s[0:3], 0 offset:4
	s_waitcnt vmcnt(3)
	buffer_store_dword v9, v0, s[0:3], 0 offen offset:4
	s_waitcnt vmcnt(3)
	buffer_store_dword v10, v0, s[0:3], 0 offen
.LBB2_36:
	buffer_load_dword v7, off, s[0:3], 0
	buffer_load_dword v8, off, s[0:3], 0 offset:4
	buffer_load_dword v9, off, s[0:3], 0 offset:8
	s_nop 0
	buffer_load_dword v10, off, s[0:3], 0 offset:12
	buffer_load_dword v11, off, s[0:3], 0 offset:16
	;; [unrolled: 1-line block ×3, first 2 shown]
	s_waitcnt vmcnt(4)
	global_store_dwordx2 v[1:2], v[7:8], off
	s_waitcnt vmcnt(3)
	global_store_dwordx2 v[3:4], v[9:10], off
	;; [unrolled: 2-line block ×3, first 2 shown]
	s_endpgm
	.section	.rodata,"a",@progbits
	.p2align	6, 0x0
	.amdhsa_kernel _ZN9rocsolver6v33100L18getri_kernel_smallILi3E19rocblas_complex_numIfEPS3_EEvT1_iilPiilS6_bb
		.amdhsa_group_segment_fixed_size 56
		.amdhsa_private_segment_fixed_size 32
		.amdhsa_kernarg_size 60
		.amdhsa_user_sgpr_count 6
		.amdhsa_user_sgpr_private_segment_buffer 1
		.amdhsa_user_sgpr_dispatch_ptr 0
		.amdhsa_user_sgpr_queue_ptr 0
		.amdhsa_user_sgpr_kernarg_segment_ptr 1
		.amdhsa_user_sgpr_dispatch_id 0
		.amdhsa_user_sgpr_flat_scratch_init 0
		.amdhsa_user_sgpr_private_segment_size 0
		.amdhsa_uses_dynamic_stack 0
		.amdhsa_system_sgpr_private_segment_wavefront_offset 1
		.amdhsa_system_sgpr_workgroup_id_x 1
		.amdhsa_system_sgpr_workgroup_id_y 0
		.amdhsa_system_sgpr_workgroup_id_z 0
		.amdhsa_system_sgpr_workgroup_info 0
		.amdhsa_system_vgpr_workitem_id 0
		.amdhsa_next_free_vgpr 19
		.amdhsa_next_free_sgpr 24
		.amdhsa_reserve_vcc 1
		.amdhsa_reserve_flat_scratch 0
		.amdhsa_float_round_mode_32 0
		.amdhsa_float_round_mode_16_64 0
		.amdhsa_float_denorm_mode_32 3
		.amdhsa_float_denorm_mode_16_64 3
		.amdhsa_dx10_clamp 1
		.amdhsa_ieee_mode 1
		.amdhsa_fp16_overflow 0
		.amdhsa_exception_fp_ieee_invalid_op 0
		.amdhsa_exception_fp_denorm_src 0
		.amdhsa_exception_fp_ieee_div_zero 0
		.amdhsa_exception_fp_ieee_overflow 0
		.amdhsa_exception_fp_ieee_underflow 0
		.amdhsa_exception_fp_ieee_inexact 0
		.amdhsa_exception_int_div_zero 0
	.end_amdhsa_kernel
	.section	.text._ZN9rocsolver6v33100L18getri_kernel_smallILi3E19rocblas_complex_numIfEPS3_EEvT1_iilPiilS6_bb,"axG",@progbits,_ZN9rocsolver6v33100L18getri_kernel_smallILi3E19rocblas_complex_numIfEPS3_EEvT1_iilPiilS6_bb,comdat
.Lfunc_end2:
	.size	_ZN9rocsolver6v33100L18getri_kernel_smallILi3E19rocblas_complex_numIfEPS3_EEvT1_iilPiilS6_bb, .Lfunc_end2-_ZN9rocsolver6v33100L18getri_kernel_smallILi3E19rocblas_complex_numIfEPS3_EEvT1_iilPiilS6_bb
                                        ; -- End function
	.set _ZN9rocsolver6v33100L18getri_kernel_smallILi3E19rocblas_complex_numIfEPS3_EEvT1_iilPiilS6_bb.num_vgpr, 19
	.set _ZN9rocsolver6v33100L18getri_kernel_smallILi3E19rocblas_complex_numIfEPS3_EEvT1_iilPiilS6_bb.num_agpr, 0
	.set _ZN9rocsolver6v33100L18getri_kernel_smallILi3E19rocblas_complex_numIfEPS3_EEvT1_iilPiilS6_bb.numbered_sgpr, 24
	.set _ZN9rocsolver6v33100L18getri_kernel_smallILi3E19rocblas_complex_numIfEPS3_EEvT1_iilPiilS6_bb.num_named_barrier, 0
	.set _ZN9rocsolver6v33100L18getri_kernel_smallILi3E19rocblas_complex_numIfEPS3_EEvT1_iilPiilS6_bb.private_seg_size, 32
	.set _ZN9rocsolver6v33100L18getri_kernel_smallILi3E19rocblas_complex_numIfEPS3_EEvT1_iilPiilS6_bb.uses_vcc, 1
	.set _ZN9rocsolver6v33100L18getri_kernel_smallILi3E19rocblas_complex_numIfEPS3_EEvT1_iilPiilS6_bb.uses_flat_scratch, 0
	.set _ZN9rocsolver6v33100L18getri_kernel_smallILi3E19rocblas_complex_numIfEPS3_EEvT1_iilPiilS6_bb.has_dyn_sized_stack, 0
	.set _ZN9rocsolver6v33100L18getri_kernel_smallILi3E19rocblas_complex_numIfEPS3_EEvT1_iilPiilS6_bb.has_recursion, 0
	.set _ZN9rocsolver6v33100L18getri_kernel_smallILi3E19rocblas_complex_numIfEPS3_EEvT1_iilPiilS6_bb.has_indirect_call, 0
	.section	.AMDGPU.csdata,"",@progbits
; Kernel info:
; codeLenInByte = 2212
; TotalNumSgprs: 28
; NumVgprs: 19
; ScratchSize: 32
; MemoryBound: 0
; FloatMode: 240
; IeeeMode: 1
; LDSByteSize: 56 bytes/workgroup (compile time only)
; SGPRBlocks: 3
; VGPRBlocks: 4
; NumSGPRsForWavesPerEU: 28
; NumVGPRsForWavesPerEU: 19
; Occupancy: 10
; WaveLimiterHint : 0
; COMPUTE_PGM_RSRC2:SCRATCH_EN: 1
; COMPUTE_PGM_RSRC2:USER_SGPR: 6
; COMPUTE_PGM_RSRC2:TRAP_HANDLER: 0
; COMPUTE_PGM_RSRC2:TGID_X_EN: 1
; COMPUTE_PGM_RSRC2:TGID_Y_EN: 0
; COMPUTE_PGM_RSRC2:TGID_Z_EN: 0
; COMPUTE_PGM_RSRC2:TIDIG_COMP_CNT: 0
	.section	.text._ZN9rocsolver6v33100L18getri_kernel_smallILi4E19rocblas_complex_numIfEPS3_EEvT1_iilPiilS6_bb,"axG",@progbits,_ZN9rocsolver6v33100L18getri_kernel_smallILi4E19rocblas_complex_numIfEPS3_EEvT1_iilPiilS6_bb,comdat
	.globl	_ZN9rocsolver6v33100L18getri_kernel_smallILi4E19rocblas_complex_numIfEPS3_EEvT1_iilPiilS6_bb ; -- Begin function _ZN9rocsolver6v33100L18getri_kernel_smallILi4E19rocblas_complex_numIfEPS3_EEvT1_iilPiilS6_bb
	.p2align	8
	.type	_ZN9rocsolver6v33100L18getri_kernel_smallILi4E19rocblas_complex_numIfEPS3_EEvT1_iilPiilS6_bb,@function
_ZN9rocsolver6v33100L18getri_kernel_smallILi4E19rocblas_complex_numIfEPS3_EEvT1_iilPiilS6_bb: ; @_ZN9rocsolver6v33100L18getri_kernel_smallILi4E19rocblas_complex_numIfEPS3_EEvT1_iilPiilS6_bb
; %bb.0:
	s_add_u32 s0, s0, s7
	s_addc_u32 s1, s1, 0
	v_cmp_gt_u32_e32 vcc, 4, v0
	s_and_saveexec_b64 s[8:9], vcc
	s_cbranch_execz .LBB3_30
; %bb.1:
	s_load_dword s12, s[4:5], 0x38
	s_load_dwordx4 s[16:19], s[4:5], 0x10
	s_load_dwordx4 s[8:11], s[4:5], 0x28
                                        ; implicit-def: $sgpr20_sgpr21
	s_waitcnt lgkmcnt(0)
	s_bitcmp1_b32 s12, 8
	s_cselect_b64 s[22:23], -1, 0
	s_ashr_i32 s7, s6, 31
	s_bfe_u32 s12, s12, 0x10008
	s_cmp_eq_u32 s12, 0
	s_cbranch_scc1 .LBB3_3
; %bb.2:
	s_load_dword s12, s[4:5], 0x20
	s_mul_i32 s13, s8, s7
	s_mul_hi_u32 s14, s8, s6
	s_mul_i32 s9, s9, s6
	s_add_i32 s14, s14, s13
	s_add_i32 s9, s14, s9
	s_mul_i32 s8, s8, s6
	s_waitcnt lgkmcnt(0)
	s_ashr_i32 s13, s12, 31
	s_lshl_b64 s[8:9], s[8:9], 2
	s_add_u32 s14, s18, s8
	s_addc_u32 s15, s19, s9
	s_lshl_b64 s[8:9], s[12:13], 2
	s_add_u32 s20, s14, s8
	s_addc_u32 s21, s15, s9
.LBB3_3:
	s_load_dwordx4 s[12:15], s[4:5], 0x0
	s_load_dword s18, s[4:5], 0x38
	s_mul_i32 s8, s16, s7
	s_mul_hi_u32 s9, s16, s6
	s_add_i32 s8, s9, s8
	s_mul_i32 s9, s17, s6
	s_add_i32 s9, s8, s9
	s_mul_i32 s8, s16, s6
	s_waitcnt lgkmcnt(0)
	s_ashr_i32 s5, s14, 31
	s_lshl_b64 s[8:9], s[8:9], 3
	s_mov_b32 s4, s14
	s_add_u32 s8, s12, s8
	s_addc_u32 s9, s13, s9
	s_lshl_b64 s[4:5], s[4:5], 3
	s_add_u32 s4, s8, s4
	s_addc_u32 s5, s9, s5
	v_lshlrev_b32_e32 v11, 3, v0
	v_mov_b32_e32 v2, s5
	v_add_co_u32_e32 v1, vcc, s4, v11
	s_ashr_i32 s9, s15, 31
	s_mov_b32 s8, s15
	v_addc_co_u32_e32 v2, vcc, 0, v2, vcc
	s_lshl_b64 s[8:9], s[8:9], 3
	v_add_co_u32_e32 v3, vcc, s8, v1
	s_add_i32 s8, s15, s15
	v_add_u32_e32 v7, s8, v0
	v_ashrrev_i32_e32 v8, 31, v7
	v_mov_b32_e32 v4, s9
	v_lshlrev_b64 v[5:6], 3, v[7:8]
	v_addc_co_u32_e32 v4, vcc, v2, v4, vcc
	v_mov_b32_e32 v8, s5
	v_add_co_u32_e32 v5, vcc, s4, v5
	global_load_dwordx2 v[9:10], v11, s[4:5]
	v_addc_co_u32_e32 v6, vcc, v8, v6, vcc
	global_load_dwordx2 v[12:13], v[3:4], off
	global_load_dwordx2 v[14:15], v[5:6], off
	v_add_u32_e32 v7, s15, v7
	v_ashrrev_i32_e32 v8, 31, v7
	v_lshlrev_b64 v[7:8], 3, v[7:8]
	v_mov_b32_e32 v16, s5
	v_add_co_u32_e32 v7, vcc, s4, v7
	v_addc_co_u32_e32 v8, vcc, v16, v8, vcc
	global_load_dwordx2 v[16:17], v[7:8], off
	s_bitcmp0_b32 s18, 0
	s_mov_b64 s[8:9], -1
	s_waitcnt vmcnt(3)
	buffer_store_dword v10, off, s[0:3], 0 offset:4
	buffer_store_dword v9, off, s[0:3], 0
	s_waitcnt vmcnt(4)
	buffer_store_dword v13, off, s[0:3], 0 offset:12
	buffer_store_dword v12, off, s[0:3], 0 offset:8
	s_waitcnt vmcnt(5)
	buffer_store_dword v15, off, s[0:3], 0 offset:20
	buffer_store_dword v14, off, s[0:3], 0 offset:16
	;; [unrolled: 3-line block ×3, first 2 shown]
	s_cbranch_scc1 .LBB3_28
; %bb.4:
	v_cmp_eq_u32_e64 s[4:5], 0, v0
	s_and_saveexec_b64 s[8:9], s[4:5]
; %bb.5:
	v_mov_b32_e32 v9, 0
	ds_write_b32 v9, v9 offset:64
; %bb.6:
	s_or_b64 exec, exec, s[8:9]
	v_mov_b32_e32 v9, 0
	v_lshl_add_u32 v12, v0, 3, v9
	s_waitcnt lgkmcnt(0)
	; wave barrier
	buffer_load_dword v9, v12, s[0:3], 0 offen
	buffer_load_dword v10, v12, s[0:3], 0 offen offset:4
	s_waitcnt vmcnt(1)
	v_cmp_eq_f32_e32 vcc, 0, v9
	s_waitcnt vmcnt(0)
	v_cmp_eq_f32_e64 s[8:9], 0, v10
	s_and_b64 s[8:9], vcc, s[8:9]
	s_and_saveexec_b64 s[12:13], s[8:9]
	s_cbranch_execz .LBB3_10
; %bb.7:
	v_mov_b32_e32 v9, 0
	ds_read_b32 v13, v9 offset:64
	v_add_u32_e32 v10, 1, v0
	s_waitcnt lgkmcnt(0)
	v_readfirstlane_b32 s8, v13
	s_cmp_eq_u32 s8, 0
	s_cselect_b64 s[14:15], -1, 0
	v_cmp_gt_i32_e32 vcc, s8, v10
	s_or_b64 s[14:15], s[14:15], vcc
	s_and_b64 exec, exec, s[14:15]
	s_cbranch_execz .LBB3_10
; %bb.8:
	s_mov_b64 s[14:15], 0
	v_mov_b32_e32 v13, s8
.LBB3_9:                                ; =>This Inner Loop Header: Depth=1
	ds_cmpst_rtn_b32 v13, v9, v13, v10 offset:64
	s_waitcnt lgkmcnt(0)
	v_cmp_ne_u32_e32 vcc, 0, v13
	v_cmp_le_i32_e64 s[8:9], v13, v10
	s_and_b64 s[8:9], vcc, s[8:9]
	s_and_b64 s[8:9], exec, s[8:9]
	s_or_b64 s[14:15], s[8:9], s[14:15]
	s_andn2_b64 exec, exec, s[14:15]
	s_cbranch_execnz .LBB3_9
.LBB3_10:
	s_or_b64 exec, exec, s[12:13]
	v_mov_b32_e32 v10, 0
	; wave barrier
	ds_read_b32 v9, v10 offset:64
	s_and_saveexec_b64 s[8:9], s[4:5]
	s_cbranch_execz .LBB3_12
; %bb.11:
	s_lshl_b64 s[12:13], s[6:7], 2
	s_add_u32 s12, s10, s12
	s_addc_u32 s13, s11, s13
	s_waitcnt lgkmcnt(0)
	global_store_dword v10, v9, s[12:13]
.LBB3_12:
	s_or_b64 exec, exec, s[8:9]
	s_waitcnt lgkmcnt(0)
	v_cmp_ne_u32_e32 vcc, 0, v9
	s_mov_b64 s[8:9], 0
	s_cbranch_vccnz .LBB3_28
; %bb.13:
	buffer_load_dword v10, v12, s[0:3], 0 offen
	buffer_load_dword v13, v12, s[0:3], 0 offen offset:4
                                        ; implicit-def: $vgpr15
                                        ; implicit-def: $vgpr14
                                        ; implicit-def: $vgpr9
	s_waitcnt vmcnt(0)
	v_cmp_ngt_f32_e64 s[8:9], |v10|, |v13|
	s_and_saveexec_b64 s[12:13], s[8:9]
	s_xor_b64 s[8:9], exec, s[12:13]
	s_cbranch_execz .LBB3_15
; %bb.14:
	v_div_scale_f32 v9, s[12:13], v13, v13, v10
	v_div_scale_f32 v14, vcc, v10, v13, v10
	v_rcp_f32_e32 v15, v9
	v_fma_f32 v16, -v9, v15, 1.0
	v_fmac_f32_e32 v15, v16, v15
	v_mul_f32_e32 v16, v14, v15
	v_fma_f32 v17, -v9, v16, v14
	v_fmac_f32_e32 v16, v17, v15
	v_fma_f32 v9, -v9, v16, v14
	v_div_fmas_f32 v9, v9, v15, v16
	v_div_fixup_f32 v9, v9, v13, v10
	v_fmac_f32_e32 v13, v10, v9
	v_div_scale_f32 v10, s[12:13], v13, v13, 1.0
	v_div_scale_f32 v14, vcc, 1.0, v13, 1.0
	v_rcp_f32_e32 v15, v10
	v_fma_f32 v16, -v10, v15, 1.0
	v_fmac_f32_e32 v15, v16, v15
	v_mul_f32_e32 v16, v14, v15
	v_fma_f32 v17, -v10, v16, v14
	v_fmac_f32_e32 v16, v17, v15
	v_fma_f32 v10, -v10, v16, v14
	v_div_fmas_f32 v10, v10, v15, v16
	v_div_fixup_f32 v10, v10, v13, 1.0
	v_mul_f32_e32 v15, v9, v10
	v_xor_b32_e32 v14, 0x80000000, v10
	v_xor_b32_e32 v9, 0x80000000, v15
                                        ; implicit-def: $vgpr10
                                        ; implicit-def: $vgpr13
.LBB3_15:
	s_andn2_saveexec_b64 s[8:9], s[8:9]
	s_cbranch_execz .LBB3_17
; %bb.16:
	v_div_scale_f32 v9, s[12:13], v10, v10, v13
	v_div_scale_f32 v14, vcc, v13, v10, v13
	v_rcp_f32_e32 v15, v9
	v_fma_f32 v16, -v9, v15, 1.0
	v_fmac_f32_e32 v15, v16, v15
	v_mul_f32_e32 v16, v14, v15
	v_fma_f32 v17, -v9, v16, v14
	v_fmac_f32_e32 v16, v17, v15
	v_fma_f32 v9, -v9, v16, v14
	v_div_fmas_f32 v9, v9, v15, v16
	v_div_fixup_f32 v14, v9, v10, v13
	v_fmac_f32_e32 v10, v13, v14
	v_div_scale_f32 v9, s[12:13], v10, v10, 1.0
	v_div_scale_f32 v13, vcc, 1.0, v10, 1.0
	v_rcp_f32_e32 v15, v9
	v_fma_f32 v16, -v9, v15, 1.0
	v_fmac_f32_e32 v15, v16, v15
	v_mul_f32_e32 v16, v13, v15
	v_fma_f32 v17, -v9, v16, v13
	v_fmac_f32_e32 v16, v17, v15
	v_fma_f32 v9, -v9, v16, v13
	v_div_fmas_f32 v9, v9, v15, v16
	v_div_fixup_f32 v15, v9, v10, 1.0
	v_xor_b32_e32 v9, 0x80000000, v15
	v_mul_f32_e64 v14, v14, -v15
.LBB3_17:
	s_or_b64 exec, exec, s[8:9]
	buffer_store_dword v15, v12, s[0:3], 0 offen
	buffer_store_dword v14, v12, s[0:3], 0 offen offset:4
	buffer_load_dword v16, off, s[0:3], 0 offset:12
	s_nop 0
	buffer_load_dword v15, off, s[0:3], 0 offset:8
	v_xor_b32_e32 v10, 0x80000000, v14
	v_add_u32_e32 v13, 32, v11
	s_waitcnt vmcnt(0)
	ds_write2_b64 v11, v[9:10], v[15:16] offset1:4
	s_waitcnt lgkmcnt(0)
	; wave barrier
	s_and_saveexec_b64 s[8:9], s[4:5]
	s_cbranch_execz .LBB3_19
; %bb.18:
	buffer_load_dword v16, v12, s[0:3], 0 offen offset:4
	buffer_load_dword v17, v12, s[0:3], 0 offen
	ds_read_b64 v[9:10], v13
	v_mov_b32_e32 v14, 0
	ds_read_b64 v[14:15], v14 offset:8
	s_waitcnt vmcnt(1) lgkmcnt(1)
	v_mul_f32_e32 v18, v10, v16
	v_mul_f32_e32 v16, v9, v16
	s_waitcnt vmcnt(0)
	v_fmac_f32_e32 v16, v10, v17
	v_fma_f32 v9, v9, v17, -v18
	v_add_f32_e32 v10, 0, v16
	v_add_f32_e32 v9, 0, v9
	s_waitcnt lgkmcnt(0)
	v_mul_f32_e32 v16, v10, v15
	v_mul_f32_e32 v15, v9, v15
	v_fma_f32 v9, v9, v14, -v16
	v_fmac_f32_e32 v15, v10, v14
	buffer_store_dword v9, off, s[0:3], 0 offset:8
	buffer_store_dword v15, off, s[0:3], 0 offset:12
.LBB3_19:
	s_or_b64 exec, exec, s[8:9]
	; wave barrier
	buffer_load_dword v9, off, s[0:3], 0 offset:16
	buffer_load_dword v10, off, s[0:3], 0 offset:20
	v_cmp_gt_u32_e32 vcc, 2, v0
	s_waitcnt vmcnt(0)
	ds_write_b64 v13, v[9:10]
	s_waitcnt lgkmcnt(0)
	; wave barrier
	s_and_saveexec_b64 s[8:9], vcc
	s_cbranch_execz .LBB3_23
; %bb.20:
	buffer_load_dword v14, v12, s[0:3], 0 offen offset:4
	buffer_load_dword v15, v12, s[0:3], 0 offen
	ds_read_b64 v[9:10], v13
	s_waitcnt vmcnt(1) lgkmcnt(0)
	v_mul_f32_e32 v12, v10, v14
	v_mul_f32_e32 v14, v9, v14
	s_waitcnt vmcnt(0)
	v_fma_f32 v9, v9, v15, -v12
	v_fmac_f32_e32 v14, v10, v15
	v_add_f32_e32 v10, 0, v9
	v_add_f32_e32 v9, 0, v14
	s_and_saveexec_b64 s[12:13], s[4:5]
	s_cbranch_execz .LBB3_22
; %bb.21:
	buffer_load_dword v12, off, s[0:3], 0 offset:12
	buffer_load_dword v16, off, s[0:3], 0 offset:8
	v_mov_b32_e32 v14, 0
	ds_read_b64 v[14:15], v14 offset:40
	s_waitcnt vmcnt(1) lgkmcnt(0)
	v_mul_f32_e32 v17, v14, v12
	v_mul_f32_e32 v12, v15, v12
	s_waitcnt vmcnt(0)
	v_fmac_f32_e32 v17, v15, v16
	v_fma_f32 v12, v14, v16, -v12
	v_add_f32_e32 v9, v9, v17
	v_add_f32_e32 v10, v10, v12
.LBB3_22:
	s_or_b64 exec, exec, s[12:13]
	v_mov_b32_e32 v12, 0
	ds_read_b64 v[14:15], v12 offset:16
	s_waitcnt lgkmcnt(0)
	v_mul_f32_e32 v12, v9, v15
	v_mul_f32_e32 v15, v10, v15
	v_fma_f32 v10, v10, v14, -v12
	v_fmac_f32_e32 v15, v9, v14
	buffer_store_dword v10, off, s[0:3], 0 offset:16
	buffer_store_dword v15, off, s[0:3], 0 offset:20
.LBB3_23:
	s_or_b64 exec, exec, s[8:9]
	; wave barrier
	buffer_load_dword v9, off, s[0:3], 0 offset:24
	buffer_load_dword v10, off, s[0:3], 0 offset:28
	v_cmp_ne_u32_e32 vcc, 3, v0
	s_waitcnt vmcnt(0)
	ds_write_b64 v13, v[9:10]
	s_waitcnt lgkmcnt(0)
	; wave barrier
	s_and_saveexec_b64 s[4:5], vcc
	s_cbranch_execz .LBB3_27
; %bb.24:
	v_add_u32_e32 v10, -1, v0
	v_mov_b32_e32 v9, 0
	s_mov_b64 s[8:9], 0
	v_mov_b32_e32 v12, 0
.LBB3_25:                               ; =>This Inner Loop Header: Depth=1
	buffer_load_dword v16, v11, s[0:3], 0 offen offset:4
	buffer_load_dword v17, v11, s[0:3], 0 offen
	ds_read_b64 v[14:15], v13
	v_add_u32_e32 v10, 1, v10
	v_cmp_lt_u32_e32 vcc, 1, v10
	v_add_u32_e32 v13, 8, v13
	v_add_u32_e32 v11, 8, v11
	s_or_b64 s[8:9], vcc, s[8:9]
	s_waitcnt vmcnt(1) lgkmcnt(0)
	v_mul_f32_e32 v18, v15, v16
	v_mul_f32_e32 v16, v14, v16
	s_waitcnt vmcnt(0)
	v_fma_f32 v14, v14, v17, -v18
	v_fmac_f32_e32 v16, v15, v17
	v_add_f32_e32 v12, v12, v14
	v_add_f32_e32 v9, v9, v16
	s_andn2_b64 exec, exec, s[8:9]
	s_cbranch_execnz .LBB3_25
; %bb.26:
	s_or_b64 exec, exec, s[8:9]
	v_mov_b32_e32 v10, 0
	ds_read_b64 v[10:11], v10 offset:24
	s_waitcnt lgkmcnt(0)
	v_mul_f32_e32 v13, v9, v11
	v_mul_f32_e32 v11, v12, v11
	v_fma_f32 v12, v12, v10, -v13
	v_fmac_f32_e32 v11, v9, v10
	buffer_store_dword v12, off, s[0:3], 0 offset:24
	buffer_store_dword v11, off, s[0:3], 0 offset:28
.LBB3_27:
	s_or_b64 exec, exec, s[4:5]
	s_mov_b64 s[8:9], -1
	; wave barrier
.LBB3_28:
	s_and_b64 vcc, exec, s[8:9]
	s_cbranch_vccz .LBB3_30
; %bb.29:
	s_lshl_b64 s[4:5], s[6:7], 2
	s_add_u32 s4, s10, s4
	s_addc_u32 s5, s11, s5
	v_mov_b32_e32 v9, 0
	global_load_dword v9, v9, s[4:5]
	s_waitcnt vmcnt(0)
	v_cmp_ne_u32_e32 vcc, 0, v9
	s_cbranch_vccz .LBB3_31
.LBB3_30:
	s_endpgm
.LBB3_31:
	v_lshl_add_u32 v9, v0, 3, 32
	v_cmp_eq_u32_e32 vcc, 3, v0
	s_and_saveexec_b64 s[4:5], vcc
	s_cbranch_execz .LBB3_33
; %bb.32:
	buffer_load_dword v10, off, s[0:3], 0 offset:16
	buffer_load_dword v11, off, s[0:3], 0 offset:20
	v_mov_b32_e32 v12, 0
	buffer_store_dword v12, off, s[0:3], 0 offset:16
	buffer_store_dword v12, off, s[0:3], 0 offset:20
	s_waitcnt vmcnt(2)
	ds_write_b64 v9, v[10:11]
.LBB3_33:
	s_or_b64 exec, exec, s[4:5]
	s_waitcnt lgkmcnt(0)
	; wave barrier
	buffer_load_dword v13, off, s[0:3], 0 offset:28
	buffer_load_dword v14, off, s[0:3], 0 offset:24
	;; [unrolled: 1-line block ×4, first 2 shown]
	v_mov_b32_e32 v10, 0
	ds_read_b64 v[11:12], v10 offset:56
	v_cmp_lt_u32_e32 vcc, 1, v0
	s_waitcnt vmcnt(3) lgkmcnt(0)
	v_mul_f32_e32 v17, v11, v13
	v_mul_f32_e32 v13, v12, v13
	s_waitcnt vmcnt(2)
	v_fma_f32 v11, v11, v14, -v13
	v_fmac_f32_e32 v17, v12, v14
	v_add_f32_e32 v11, 0, v11
	v_add_f32_e32 v12, 0, v17
	s_waitcnt vmcnt(1)
	v_sub_f32_e32 v11, v15, v11
	s_waitcnt vmcnt(0)
	v_sub_f32_e32 v12, v16, v12
	buffer_store_dword v11, off, s[0:3], 0 offset:16
	buffer_store_dword v12, off, s[0:3], 0 offset:20
	s_and_saveexec_b64 s[4:5], vcc
	s_cbranch_execz .LBB3_35
; %bb.34:
	buffer_load_dword v11, off, s[0:3], 0 offset:8
	buffer_load_dword v12, off, s[0:3], 0 offset:12
	s_waitcnt vmcnt(0)
	ds_write_b64 v9, v[11:12]
	buffer_store_dword v10, off, s[0:3], 0 offset:8
	buffer_store_dword v10, off, s[0:3], 0 offset:12
.LBB3_35:
	s_or_b64 exec, exec, s[4:5]
	s_waitcnt lgkmcnt(0)
	; wave barrier
	buffer_load_dword v14, off, s[0:3], 0 offset:20
	buffer_load_dword v15, off, s[0:3], 0 offset:28
	;; [unrolled: 1-line block ×6, first 2 shown]
	ds_read_b128 v[10:13], v10 offset:48
	v_cmp_ne_u32_e32 vcc, 0, v0
	s_waitcnt vmcnt(5) lgkmcnt(0)
	v_mul_f32_e32 v20, v10, v14
	v_mul_f32_e32 v14, v11, v14
	s_waitcnt vmcnt(4)
	v_mul_f32_e32 v21, v12, v15
	v_mul_f32_e32 v15, v13, v15
	s_waitcnt vmcnt(3)
	v_fma_f32 v10, v10, v16, -v14
	v_fmac_f32_e32 v20, v11, v16
	s_waitcnt vmcnt(2)
	v_fma_f32 v11, v12, v17, -v15
	v_add_f32_e32 v10, 0, v10
	v_fmac_f32_e32 v21, v13, v17
	v_add_f32_e32 v12, 0, v20
	v_add_f32_e32 v10, v10, v11
	;; [unrolled: 1-line block ×3, first 2 shown]
	s_waitcnt vmcnt(1)
	v_sub_f32_e32 v10, v18, v10
	s_waitcnt vmcnt(0)
	v_sub_f32_e32 v11, v19, v12
	buffer_store_dword v10, off, s[0:3], 0 offset:8
	buffer_store_dword v11, off, s[0:3], 0 offset:12
	s_and_saveexec_b64 s[4:5], vcc
	s_cbranch_execz .LBB3_37
; %bb.36:
	buffer_load_dword v10, off, s[0:3], 0
	buffer_load_dword v11, off, s[0:3], 0 offset:4
	v_mov_b32_e32 v0, 0
	buffer_store_dword v0, off, s[0:3], 0
	buffer_store_dword v0, off, s[0:3], 0 offset:4
	s_waitcnt vmcnt(2)
	ds_write_b64 v9, v[10:11]
.LBB3_37:
	s_or_b64 exec, exec, s[4:5]
	s_waitcnt lgkmcnt(0)
	; wave barrier
	buffer_load_dword v17, off, s[0:3], 0 offset:12
	buffer_load_dword v0, off, s[0:3], 0 offset:20
	;; [unrolled: 1-line block ×6, first 2 shown]
	buffer_load_dword v21, off, s[0:3], 0
	buffer_load_dword v22, off, s[0:3], 0 offset:4
	v_mov_b32_e32 v10, 0
	ds_read2_b64 v[11:14], v10 offset0:5 offset1:6
	ds_read_b64 v[15:16], v10 offset:56
	s_and_b64 vcc, exec, s[22:23]
	s_waitcnt vmcnt(7) lgkmcnt(1)
	v_mul_f32_e32 v23, v11, v17
	v_mul_f32_e32 v17, v12, v17
	s_waitcnt vmcnt(6)
	v_mul_f32_e32 v26, v14, v0
	s_waitcnt vmcnt(4)
	v_fma_f32 v11, v11, v19, -v17
	v_mul_f32_e32 v24, v13, v0
	s_waitcnt lgkmcnt(0)
	v_mul_f32_e32 v25, v15, v18
	v_mul_f32_e32 v18, v16, v18
	v_fmac_f32_e32 v23, v12, v19
	s_waitcnt vmcnt(3)
	v_fma_f32 v12, v13, v9, -v26
	v_add_f32_e32 v11, 0, v11
	v_fmac_f32_e32 v24, v14, v9
	s_waitcnt vmcnt(2)
	v_fma_f32 v13, v15, v20, -v18
	v_add_f32_e32 v14, 0, v23
	v_add_f32_e32 v11, v11, v12
	v_fmac_f32_e32 v25, v16, v20
	v_add_f32_e32 v14, v14, v24
	v_add_f32_e32 v11, v11, v13
	;; [unrolled: 1-line block ×3, first 2 shown]
	s_waitcnt vmcnt(1)
	v_sub_f32_e32 v11, v21, v11
	s_waitcnt vmcnt(0)
	v_sub_f32_e32 v12, v22, v12
	buffer_store_dword v11, off, s[0:3], 0
	buffer_store_dword v12, off, s[0:3], 0 offset:4
	s_cbranch_vccz .LBB3_44
; %bb.38:
	global_load_dword v10, v10, s[20:21] offset:8
	s_waitcnt vmcnt(0)
	v_add_u32_e32 v10, -1, v10
	v_cmp_ne_u32_e32 vcc, 2, v10
	s_cbranch_vccz .LBB3_40
; %bb.39:
	v_lshlrev_b32_e32 v10, 3, v10
	buffer_load_dword v11, v10, s[0:3], 0 offen offset:4
	buffer_load_dword v12, v10, s[0:3], 0 offen
	s_waitcnt vmcnt(1)
	buffer_store_dword v11, off, s[0:3], 0 offset:20
	s_waitcnt vmcnt(1)
	buffer_store_dword v12, off, s[0:3], 0 offset:16
	buffer_store_dword v0, v10, s[0:3], 0 offen offset:4
	buffer_store_dword v9, v10, s[0:3], 0 offen
.LBB3_40:
	v_mov_b32_e32 v0, 0
	global_load_dword v9, v0, s[20:21] offset:4
	s_waitcnt vmcnt(0)
	v_add_u32_e32 v9, -1, v9
	v_cmp_eq_u32_e32 vcc, 1, v9
	s_cbranch_vccnz .LBB3_42
; %bb.41:
	v_lshlrev_b32_e32 v9, 3, v9
	buffer_load_dword v10, v9, s[0:3], 0 offen
	buffer_load_dword v11, v9, s[0:3], 0 offen offset:4
	buffer_load_dword v12, off, s[0:3], 0 offset:8
	buffer_load_dword v13, off, s[0:3], 0 offset:12
	s_waitcnt vmcnt(3)
	buffer_store_dword v10, off, s[0:3], 0 offset:8
	s_waitcnt vmcnt(3)
	buffer_store_dword v11, off, s[0:3], 0 offset:12
	s_waitcnt vmcnt(3)
	buffer_store_dword v12, v9, s[0:3], 0 offen
	s_waitcnt vmcnt(3)
	buffer_store_dword v13, v9, s[0:3], 0 offen offset:4
.LBB3_42:
	global_load_dword v0, v0, s[20:21]
	s_waitcnt vmcnt(0)
	v_add_u32_e32 v0, -1, v0
	v_cmp_eq_u32_e32 vcc, 0, v0
	s_cbranch_vccnz .LBB3_44
; %bb.43:
	v_lshlrev_b32_e32 v0, 3, v0
	buffer_load_dword v9, v0, s[0:3], 0 offen
	buffer_load_dword v10, v0, s[0:3], 0 offen offset:4
	buffer_load_dword v11, off, s[0:3], 0 offset:4
	buffer_load_dword v12, off, s[0:3], 0
	s_waitcnt vmcnt(3)
	buffer_store_dword v9, off, s[0:3], 0
	s_waitcnt vmcnt(3)
	buffer_store_dword v10, off, s[0:3], 0 offset:4
	s_waitcnt vmcnt(3)
	buffer_store_dword v11, v0, s[0:3], 0 offen offset:4
	s_waitcnt vmcnt(3)
	buffer_store_dword v12, v0, s[0:3], 0 offen
.LBB3_44:
	buffer_load_dword v9, off, s[0:3], 0
	buffer_load_dword v10, off, s[0:3], 0 offset:4
	buffer_load_dword v11, off, s[0:3], 0 offset:8
	s_nop 0
	buffer_load_dword v12, off, s[0:3], 0 offset:12
	buffer_load_dword v13, off, s[0:3], 0 offset:16
	;; [unrolled: 1-line block ×5, first 2 shown]
	s_waitcnt vmcnt(6)
	global_store_dwordx2 v[1:2], v[9:10], off
	s_waitcnt vmcnt(5)
	global_store_dwordx2 v[3:4], v[11:12], off
	;; [unrolled: 2-line block ×4, first 2 shown]
	s_endpgm
	.section	.rodata,"a",@progbits
	.p2align	6, 0x0
	.amdhsa_kernel _ZN9rocsolver6v33100L18getri_kernel_smallILi4E19rocblas_complex_numIfEPS3_EEvT1_iilPiilS6_bb
		.amdhsa_group_segment_fixed_size 68
		.amdhsa_private_segment_fixed_size 48
		.amdhsa_kernarg_size 60
		.amdhsa_user_sgpr_count 6
		.amdhsa_user_sgpr_private_segment_buffer 1
		.amdhsa_user_sgpr_dispatch_ptr 0
		.amdhsa_user_sgpr_queue_ptr 0
		.amdhsa_user_sgpr_kernarg_segment_ptr 1
		.amdhsa_user_sgpr_dispatch_id 0
		.amdhsa_user_sgpr_flat_scratch_init 0
		.amdhsa_user_sgpr_private_segment_size 0
		.amdhsa_uses_dynamic_stack 0
		.amdhsa_system_sgpr_private_segment_wavefront_offset 1
		.amdhsa_system_sgpr_workgroup_id_x 1
		.amdhsa_system_sgpr_workgroup_id_y 0
		.amdhsa_system_sgpr_workgroup_id_z 0
		.amdhsa_system_sgpr_workgroup_info 0
		.amdhsa_system_vgpr_workitem_id 0
		.amdhsa_next_free_vgpr 27
		.amdhsa_next_free_sgpr 24
		.amdhsa_reserve_vcc 1
		.amdhsa_reserve_flat_scratch 0
		.amdhsa_float_round_mode_32 0
		.amdhsa_float_round_mode_16_64 0
		.amdhsa_float_denorm_mode_32 3
		.amdhsa_float_denorm_mode_16_64 3
		.amdhsa_dx10_clamp 1
		.amdhsa_ieee_mode 1
		.amdhsa_fp16_overflow 0
		.amdhsa_exception_fp_ieee_invalid_op 0
		.amdhsa_exception_fp_denorm_src 0
		.amdhsa_exception_fp_ieee_div_zero 0
		.amdhsa_exception_fp_ieee_overflow 0
		.amdhsa_exception_fp_ieee_underflow 0
		.amdhsa_exception_fp_ieee_inexact 0
		.amdhsa_exception_int_div_zero 0
	.end_amdhsa_kernel
	.section	.text._ZN9rocsolver6v33100L18getri_kernel_smallILi4E19rocblas_complex_numIfEPS3_EEvT1_iilPiilS6_bb,"axG",@progbits,_ZN9rocsolver6v33100L18getri_kernel_smallILi4E19rocblas_complex_numIfEPS3_EEvT1_iilPiilS6_bb,comdat
.Lfunc_end3:
	.size	_ZN9rocsolver6v33100L18getri_kernel_smallILi4E19rocblas_complex_numIfEPS3_EEvT1_iilPiilS6_bb, .Lfunc_end3-_ZN9rocsolver6v33100L18getri_kernel_smallILi4E19rocblas_complex_numIfEPS3_EEvT1_iilPiilS6_bb
                                        ; -- End function
	.set _ZN9rocsolver6v33100L18getri_kernel_smallILi4E19rocblas_complex_numIfEPS3_EEvT1_iilPiilS6_bb.num_vgpr, 27
	.set _ZN9rocsolver6v33100L18getri_kernel_smallILi4E19rocblas_complex_numIfEPS3_EEvT1_iilPiilS6_bb.num_agpr, 0
	.set _ZN9rocsolver6v33100L18getri_kernel_smallILi4E19rocblas_complex_numIfEPS3_EEvT1_iilPiilS6_bb.numbered_sgpr, 24
	.set _ZN9rocsolver6v33100L18getri_kernel_smallILi4E19rocblas_complex_numIfEPS3_EEvT1_iilPiilS6_bb.num_named_barrier, 0
	.set _ZN9rocsolver6v33100L18getri_kernel_smallILi4E19rocblas_complex_numIfEPS3_EEvT1_iilPiilS6_bb.private_seg_size, 48
	.set _ZN9rocsolver6v33100L18getri_kernel_smallILi4E19rocblas_complex_numIfEPS3_EEvT1_iilPiilS6_bb.uses_vcc, 1
	.set _ZN9rocsolver6v33100L18getri_kernel_smallILi4E19rocblas_complex_numIfEPS3_EEvT1_iilPiilS6_bb.uses_flat_scratch, 0
	.set _ZN9rocsolver6v33100L18getri_kernel_smallILi4E19rocblas_complex_numIfEPS3_EEvT1_iilPiilS6_bb.has_dyn_sized_stack, 0
	.set _ZN9rocsolver6v33100L18getri_kernel_smallILi4E19rocblas_complex_numIfEPS3_EEvT1_iilPiilS6_bb.has_recursion, 0
	.set _ZN9rocsolver6v33100L18getri_kernel_smallILi4E19rocblas_complex_numIfEPS3_EEvT1_iilPiilS6_bb.has_indirect_call, 0
	.section	.AMDGPU.csdata,"",@progbits
; Kernel info:
; codeLenInByte = 2904
; TotalNumSgprs: 28
; NumVgprs: 27
; ScratchSize: 48
; MemoryBound: 0
; FloatMode: 240
; IeeeMode: 1
; LDSByteSize: 68 bytes/workgroup (compile time only)
; SGPRBlocks: 3
; VGPRBlocks: 6
; NumSGPRsForWavesPerEU: 28
; NumVGPRsForWavesPerEU: 27
; Occupancy: 9
; WaveLimiterHint : 0
; COMPUTE_PGM_RSRC2:SCRATCH_EN: 1
; COMPUTE_PGM_RSRC2:USER_SGPR: 6
; COMPUTE_PGM_RSRC2:TRAP_HANDLER: 0
; COMPUTE_PGM_RSRC2:TGID_X_EN: 1
; COMPUTE_PGM_RSRC2:TGID_Y_EN: 0
; COMPUTE_PGM_RSRC2:TGID_Z_EN: 0
; COMPUTE_PGM_RSRC2:TIDIG_COMP_CNT: 0
	.section	.text._ZN9rocsolver6v33100L18getri_kernel_smallILi5E19rocblas_complex_numIfEPS3_EEvT1_iilPiilS6_bb,"axG",@progbits,_ZN9rocsolver6v33100L18getri_kernel_smallILi5E19rocblas_complex_numIfEPS3_EEvT1_iilPiilS6_bb,comdat
	.globl	_ZN9rocsolver6v33100L18getri_kernel_smallILi5E19rocblas_complex_numIfEPS3_EEvT1_iilPiilS6_bb ; -- Begin function _ZN9rocsolver6v33100L18getri_kernel_smallILi5E19rocblas_complex_numIfEPS3_EEvT1_iilPiilS6_bb
	.p2align	8
	.type	_ZN9rocsolver6v33100L18getri_kernel_smallILi5E19rocblas_complex_numIfEPS3_EEvT1_iilPiilS6_bb,@function
_ZN9rocsolver6v33100L18getri_kernel_smallILi5E19rocblas_complex_numIfEPS3_EEvT1_iilPiilS6_bb: ; @_ZN9rocsolver6v33100L18getri_kernel_smallILi5E19rocblas_complex_numIfEPS3_EEvT1_iilPiilS6_bb
; %bb.0:
	s_add_u32 s0, s0, s7
	s_addc_u32 s1, s1, 0
	v_cmp_gt_u32_e32 vcc, 5, v0
	s_and_saveexec_b64 s[8:9], vcc
	s_cbranch_execz .LBB4_34
; %bb.1:
	s_load_dword s12, s[4:5], 0x38
	s_load_dwordx4 s[16:19], s[4:5], 0x10
	s_load_dwordx4 s[8:11], s[4:5], 0x28
                                        ; implicit-def: $sgpr20_sgpr21
	s_waitcnt lgkmcnt(0)
	s_bitcmp1_b32 s12, 8
	s_cselect_b64 s[22:23], -1, 0
	s_ashr_i32 s7, s6, 31
	s_bfe_u32 s12, s12, 0x10008
	s_cmp_eq_u32 s12, 0
	s_cbranch_scc1 .LBB4_3
; %bb.2:
	s_load_dword s12, s[4:5], 0x20
	s_mul_i32 s13, s8, s7
	s_mul_hi_u32 s14, s8, s6
	s_mul_i32 s9, s9, s6
	s_add_i32 s14, s14, s13
	s_add_i32 s9, s14, s9
	s_mul_i32 s8, s8, s6
	s_waitcnt lgkmcnt(0)
	s_ashr_i32 s13, s12, 31
	s_lshl_b64 s[8:9], s[8:9], 2
	s_add_u32 s14, s18, s8
	s_addc_u32 s15, s19, s9
	s_lshl_b64 s[8:9], s[12:13], 2
	s_add_u32 s20, s14, s8
	s_addc_u32 s21, s15, s9
.LBB4_3:
	s_load_dwordx4 s[12:15], s[4:5], 0x0
	s_load_dword s18, s[4:5], 0x38
	s_mul_i32 s8, s16, s7
	s_mul_hi_u32 s9, s16, s6
	s_add_i32 s8, s9, s8
	s_mul_i32 s9, s17, s6
	s_add_i32 s9, s8, s9
	s_mul_i32 s8, s16, s6
	s_waitcnt lgkmcnt(0)
	s_ashr_i32 s5, s14, 31
	s_lshl_b64 s[8:9], s[8:9], 3
	s_mov_b32 s4, s14
	s_add_u32 s8, s12, s8
	s_addc_u32 s9, s13, s9
	s_lshl_b64 s[4:5], s[4:5], 3
	s_add_u32 s4, s8, s4
	s_addc_u32 s5, s9, s5
	v_lshlrev_b32_e32 v13, 3, v0
	s_add_i32 s12, s15, s15
	s_mov_b32 s8, s15
	s_ashr_i32 s9, s15, 31
	v_mov_b32_e32 v2, s5
	v_add_u32_e32 v5, s12, v0
	v_add_co_u32_e32 v1, vcc, s4, v13
	s_lshl_b64 s[8:9], s[8:9], 3
	v_addc_co_u32_e32 v2, vcc, 0, v2, vcc
	v_ashrrev_i32_e32 v6, 31, v5
	v_mov_b32_e32 v4, s9
	v_add_u32_e32 v7, s15, v5
	v_add_co_u32_e32 v3, vcc, s8, v1
	v_lshlrev_b64 v[5:6], 3, v[5:6]
	v_addc_co_u32_e32 v4, vcc, v2, v4, vcc
	v_ashrrev_i32_e32 v8, 31, v7
	v_mov_b32_e32 v10, s5
	v_add_u32_e32 v9, s15, v7
	v_add_co_u32_e32 v5, vcc, s4, v5
	v_lshlrev_b64 v[7:8], 3, v[7:8]
	v_addc_co_u32_e32 v6, vcc, v10, v6, vcc
	v_mov_b32_e32 v14, s5
	v_add_co_u32_e32 v7, vcc, s4, v7
	global_load_dwordx2 v[11:12], v13, s[4:5]
	v_addc_co_u32_e32 v8, vcc, v14, v8, vcc
	global_load_dwordx2 v[14:15], v[3:4], off
	global_load_dwordx2 v[16:17], v[5:6], off
	;; [unrolled: 1-line block ×3, first 2 shown]
	v_ashrrev_i32_e32 v10, 31, v9
	v_lshlrev_b64 v[9:10], 3, v[9:10]
	v_mov_b32_e32 v20, s5
	v_add_co_u32_e32 v9, vcc, s4, v9
	v_addc_co_u32_e32 v10, vcc, v20, v10, vcc
	global_load_dwordx2 v[20:21], v[9:10], off
	s_bitcmp0_b32 s18, 0
	s_mov_b64 s[8:9], -1
	s_waitcnt vmcnt(4)
	buffer_store_dword v12, off, s[0:3], 0 offset:4
	buffer_store_dword v11, off, s[0:3], 0
	s_waitcnt vmcnt(5)
	buffer_store_dword v15, off, s[0:3], 0 offset:12
	buffer_store_dword v14, off, s[0:3], 0 offset:8
	s_waitcnt vmcnt(6)
	buffer_store_dword v17, off, s[0:3], 0 offset:20
	buffer_store_dword v16, off, s[0:3], 0 offset:16
	s_waitcnt vmcnt(7)
	buffer_store_dword v19, off, s[0:3], 0 offset:28
	buffer_store_dword v18, off, s[0:3], 0 offset:24
	s_waitcnt vmcnt(8)
	buffer_store_dword v21, off, s[0:3], 0 offset:36
	buffer_store_dword v20, off, s[0:3], 0 offset:32
	s_cbranch_scc1 .LBB4_32
; %bb.4:
	v_cmp_eq_u32_e64 s[4:5], 0, v0
	s_and_saveexec_b64 s[8:9], s[4:5]
; %bb.5:
	v_mov_b32_e32 v11, 0
	ds_write_b32 v11, v11 offset:40
; %bb.6:
	s_or_b64 exec, exec, s[8:9]
	v_mov_b32_e32 v11, 0
	v_lshl_add_u32 v15, v0, 3, v11
	s_waitcnt lgkmcnt(0)
	; wave barrier
	buffer_load_dword v11, v15, s[0:3], 0 offen
	buffer_load_dword v12, v15, s[0:3], 0 offen offset:4
	s_waitcnt vmcnt(1)
	v_cmp_eq_f32_e32 vcc, 0, v11
	s_waitcnt vmcnt(0)
	v_cmp_eq_f32_e64 s[8:9], 0, v12
	s_and_b64 s[8:9], vcc, s[8:9]
	s_and_saveexec_b64 s[12:13], s[8:9]
	s_cbranch_execz .LBB4_10
; %bb.7:
	v_mov_b32_e32 v11, 0
	ds_read_b32 v14, v11 offset:40
	v_add_u32_e32 v12, 1, v0
	s_waitcnt lgkmcnt(0)
	v_readfirstlane_b32 s8, v14
	s_cmp_eq_u32 s8, 0
	s_cselect_b64 s[14:15], -1, 0
	v_cmp_gt_i32_e32 vcc, s8, v12
	s_or_b64 s[14:15], s[14:15], vcc
	s_and_b64 exec, exec, s[14:15]
	s_cbranch_execz .LBB4_10
; %bb.8:
	s_mov_b64 s[14:15], 0
	v_mov_b32_e32 v14, s8
.LBB4_9:                                ; =>This Inner Loop Header: Depth=1
	ds_cmpst_rtn_b32 v14, v11, v14, v12 offset:40
	s_waitcnt lgkmcnt(0)
	v_cmp_ne_u32_e32 vcc, 0, v14
	v_cmp_le_i32_e64 s[8:9], v14, v12
	s_and_b64 s[8:9], vcc, s[8:9]
	s_and_b64 s[8:9], exec, s[8:9]
	s_or_b64 s[14:15], s[8:9], s[14:15]
	s_andn2_b64 exec, exec, s[14:15]
	s_cbranch_execnz .LBB4_9
.LBB4_10:
	s_or_b64 exec, exec, s[12:13]
	v_mov_b32_e32 v12, 0
	; wave barrier
	ds_read_b32 v11, v12 offset:40
	s_and_saveexec_b64 s[8:9], s[4:5]
	s_cbranch_execz .LBB4_12
; %bb.11:
	s_lshl_b64 s[12:13], s[6:7], 2
	s_add_u32 s12, s10, s12
	s_addc_u32 s13, s11, s13
	s_waitcnt lgkmcnt(0)
	global_store_dword v12, v11, s[12:13]
.LBB4_12:
	s_or_b64 exec, exec, s[8:9]
	s_waitcnt lgkmcnt(0)
	v_cmp_ne_u32_e32 vcc, 0, v11
	s_mov_b64 s[8:9], 0
	s_cbranch_vccnz .LBB4_32
; %bb.13:
	buffer_load_dword v12, v15, s[0:3], 0 offen
	buffer_load_dword v14, v15, s[0:3], 0 offen offset:4
                                        ; implicit-def: $vgpr17
                                        ; implicit-def: $vgpr16
                                        ; implicit-def: $vgpr11
	s_waitcnt vmcnt(0)
	v_cmp_ngt_f32_e64 s[8:9], |v12|, |v14|
	s_and_saveexec_b64 s[12:13], s[8:9]
	s_xor_b64 s[8:9], exec, s[12:13]
	s_cbranch_execz .LBB4_15
; %bb.14:
	v_div_scale_f32 v11, s[12:13], v14, v14, v12
	v_div_scale_f32 v16, vcc, v12, v14, v12
	v_rcp_f32_e32 v17, v11
	v_fma_f32 v18, -v11, v17, 1.0
	v_fmac_f32_e32 v17, v18, v17
	v_mul_f32_e32 v18, v16, v17
	v_fma_f32 v19, -v11, v18, v16
	v_fmac_f32_e32 v18, v19, v17
	v_fma_f32 v11, -v11, v18, v16
	v_div_fmas_f32 v11, v11, v17, v18
	v_div_fixup_f32 v11, v11, v14, v12
	v_fmac_f32_e32 v14, v12, v11
	v_div_scale_f32 v12, s[12:13], v14, v14, 1.0
	v_div_scale_f32 v16, vcc, 1.0, v14, 1.0
	v_rcp_f32_e32 v17, v12
	v_fma_f32 v18, -v12, v17, 1.0
	v_fmac_f32_e32 v17, v18, v17
	v_mul_f32_e32 v18, v16, v17
	v_fma_f32 v19, -v12, v18, v16
	v_fmac_f32_e32 v18, v19, v17
	v_fma_f32 v12, -v12, v18, v16
	v_div_fmas_f32 v12, v12, v17, v18
	v_div_fixup_f32 v12, v12, v14, 1.0
	v_mul_f32_e32 v17, v11, v12
	v_xor_b32_e32 v16, 0x80000000, v12
	v_xor_b32_e32 v11, 0x80000000, v17
                                        ; implicit-def: $vgpr12
                                        ; implicit-def: $vgpr14
.LBB4_15:
	s_andn2_saveexec_b64 s[8:9], s[8:9]
	s_cbranch_execz .LBB4_17
; %bb.16:
	v_div_scale_f32 v11, s[12:13], v12, v12, v14
	v_div_scale_f32 v16, vcc, v14, v12, v14
	v_rcp_f32_e32 v17, v11
	v_fma_f32 v18, -v11, v17, 1.0
	v_fmac_f32_e32 v17, v18, v17
	v_mul_f32_e32 v18, v16, v17
	v_fma_f32 v19, -v11, v18, v16
	v_fmac_f32_e32 v18, v19, v17
	v_fma_f32 v11, -v11, v18, v16
	v_div_fmas_f32 v11, v11, v17, v18
	v_div_fixup_f32 v16, v11, v12, v14
	v_fmac_f32_e32 v12, v14, v16
	v_div_scale_f32 v11, s[12:13], v12, v12, 1.0
	v_div_scale_f32 v14, vcc, 1.0, v12, 1.0
	v_rcp_f32_e32 v17, v11
	v_fma_f32 v18, -v11, v17, 1.0
	v_fmac_f32_e32 v17, v18, v17
	v_mul_f32_e32 v18, v14, v17
	v_fma_f32 v19, -v11, v18, v14
	v_fmac_f32_e32 v18, v19, v17
	v_fma_f32 v11, -v11, v18, v14
	v_div_fmas_f32 v11, v11, v17, v18
	v_div_fixup_f32 v17, v11, v12, 1.0
	v_xor_b32_e32 v11, 0x80000000, v17
	v_mul_f32_e64 v16, v16, -v17
.LBB4_17:
	s_or_b64 exec, exec, s[8:9]
	buffer_store_dword v17, v15, s[0:3], 0 offen
	buffer_store_dword v16, v15, s[0:3], 0 offen offset:4
	buffer_load_dword v18, off, s[0:3], 0 offset:12
	s_nop 0
	buffer_load_dword v17, off, s[0:3], 0 offset:8
	v_xor_b32_e32 v12, 0x80000000, v16
	v_add_u32_e32 v14, 48, v13
	s_waitcnt vmcnt(0)
	ds_write2_b64 v13, v[11:12], v[17:18] offset1:6
	s_waitcnt lgkmcnt(0)
	; wave barrier
	s_and_saveexec_b64 s[8:9], s[4:5]
	s_cbranch_execz .LBB4_19
; %bb.18:
	buffer_load_dword v18, v15, s[0:3], 0 offen offset:4
	buffer_load_dword v19, v15, s[0:3], 0 offen
	ds_read_b64 v[11:12], v14
	v_mov_b32_e32 v16, 0
	ds_read_b64 v[16:17], v16 offset:8
	s_waitcnt vmcnt(1) lgkmcnt(1)
	v_mul_f32_e32 v20, v12, v18
	v_mul_f32_e32 v18, v11, v18
	s_waitcnt vmcnt(0)
	v_fmac_f32_e32 v18, v12, v19
	v_fma_f32 v11, v11, v19, -v20
	v_add_f32_e32 v12, 0, v18
	v_add_f32_e32 v11, 0, v11
	s_waitcnt lgkmcnt(0)
	v_mul_f32_e32 v18, v12, v17
	v_mul_f32_e32 v17, v11, v17
	v_fma_f32 v11, v11, v16, -v18
	v_fmac_f32_e32 v17, v12, v16
	buffer_store_dword v11, off, s[0:3], 0 offset:8
	buffer_store_dword v17, off, s[0:3], 0 offset:12
.LBB4_19:
	s_or_b64 exec, exec, s[8:9]
	; wave barrier
	buffer_load_dword v11, off, s[0:3], 0 offset:16
	buffer_load_dword v12, off, s[0:3], 0 offset:20
	v_cmp_gt_u32_e32 vcc, 2, v0
	s_waitcnt vmcnt(0)
	ds_write_b64 v14, v[11:12]
	s_waitcnt lgkmcnt(0)
	; wave barrier
	s_and_saveexec_b64 s[8:9], vcc
	s_cbranch_execz .LBB4_23
; %bb.20:
	buffer_load_dword v16, v15, s[0:3], 0 offen offset:4
	buffer_load_dword v17, v15, s[0:3], 0 offen
	ds_read_b64 v[11:12], v14
	s_waitcnt vmcnt(1) lgkmcnt(0)
	v_mul_f32_e32 v15, v12, v16
	v_mul_f32_e32 v16, v11, v16
	s_waitcnt vmcnt(0)
	v_fma_f32 v11, v11, v17, -v15
	v_fmac_f32_e32 v16, v12, v17
	v_add_f32_e32 v12, 0, v11
	v_add_f32_e32 v11, 0, v16
	s_and_saveexec_b64 s[12:13], s[4:5]
	s_cbranch_execz .LBB4_22
; %bb.21:
	buffer_load_dword v17, off, s[0:3], 0 offset:12
	buffer_load_dword v18, off, s[0:3], 0 offset:8
	v_mov_b32_e32 v15, 0
	ds_read_b64 v[15:16], v15 offset:56
	s_waitcnt vmcnt(1) lgkmcnt(0)
	v_mul_f32_e32 v19, v15, v17
	v_mul_f32_e32 v17, v16, v17
	s_waitcnt vmcnt(0)
	v_fmac_f32_e32 v19, v16, v18
	v_fma_f32 v15, v15, v18, -v17
	v_add_f32_e32 v11, v11, v19
	v_add_f32_e32 v12, v12, v15
.LBB4_22:
	s_or_b64 exec, exec, s[12:13]
	v_mov_b32_e32 v15, 0
	ds_read_b64 v[15:16], v15 offset:16
	s_waitcnt lgkmcnt(0)
	v_mul_f32_e32 v17, v11, v16
	v_mul_f32_e32 v16, v12, v16
	v_fma_f32 v12, v12, v15, -v17
	v_fmac_f32_e32 v16, v11, v15
	buffer_store_dword v12, off, s[0:3], 0 offset:16
	buffer_store_dword v16, off, s[0:3], 0 offset:20
.LBB4_23:
	s_or_b64 exec, exec, s[8:9]
	; wave barrier
	buffer_load_dword v11, off, s[0:3], 0 offset:24
	buffer_load_dword v12, off, s[0:3], 0 offset:28
	v_cmp_gt_u32_e32 vcc, 3, v0
	s_waitcnt vmcnt(0)
	ds_write_b64 v14, v[11:12]
	v_add_u32_e32 v11, -1, v0
	s_waitcnt lgkmcnt(0)
	; wave barrier
	s_and_saveexec_b64 s[4:5], vcc
	s_cbranch_execz .LBB4_27
; %bb.24:
	v_add_u32_e32 v15, -1, v0
	v_add_u32_e32 v16, 48, v13
	v_mov_b32_e32 v17, v13
	v_mov_b32_e32 v12, 0
	s_mov_b64 s[8:9], 0
	v_mov_b32_e32 v18, 0
.LBB4_25:                               ; =>This Inner Loop Header: Depth=1
	buffer_load_dword v21, v17, s[0:3], 0 offen offset:4
	buffer_load_dword v22, v17, s[0:3], 0 offen
	ds_read_b64 v[19:20], v16
	v_add_u32_e32 v15, 1, v15
	v_cmp_lt_u32_e32 vcc, 1, v15
	v_add_u32_e32 v16, 8, v16
	v_add_u32_e32 v17, 8, v17
	s_or_b64 s[8:9], vcc, s[8:9]
	s_waitcnt vmcnt(1) lgkmcnt(0)
	v_mul_f32_e32 v23, v20, v21
	v_mul_f32_e32 v21, v19, v21
	s_waitcnt vmcnt(0)
	v_fma_f32 v19, v19, v22, -v23
	v_fmac_f32_e32 v21, v20, v22
	v_add_f32_e32 v18, v18, v19
	v_add_f32_e32 v12, v12, v21
	s_andn2_b64 exec, exec, s[8:9]
	s_cbranch_execnz .LBB4_25
; %bb.26:
	s_or_b64 exec, exec, s[8:9]
	v_mov_b32_e32 v15, 0
	ds_read_b64 v[15:16], v15 offset:24
	s_waitcnt lgkmcnt(0)
	v_mul_f32_e32 v17, v12, v16
	v_mul_f32_e32 v16, v18, v16
	v_fma_f32 v17, v18, v15, -v17
	v_fmac_f32_e32 v16, v12, v15
	buffer_store_dword v17, off, s[0:3], 0 offset:24
	buffer_store_dword v16, off, s[0:3], 0 offset:28
.LBB4_27:
	s_or_b64 exec, exec, s[4:5]
	; wave barrier
	buffer_load_dword v15, off, s[0:3], 0 offset:32
	buffer_load_dword v16, off, s[0:3], 0 offset:36
	v_cmp_ne_u32_e32 vcc, 4, v0
	s_waitcnt vmcnt(0)
	ds_write_b64 v14, v[15:16]
	s_waitcnt lgkmcnt(0)
	; wave barrier
	s_and_saveexec_b64 s[4:5], vcc
	s_cbranch_execz .LBB4_31
; %bb.28:
	v_mov_b32_e32 v12, 0
	s_mov_b64 s[8:9], 0
	v_mov_b32_e32 v15, 0
.LBB4_29:                               ; =>This Inner Loop Header: Depth=1
	buffer_load_dword v18, v13, s[0:3], 0 offen offset:4
	buffer_load_dword v19, v13, s[0:3], 0 offen
	ds_read_b64 v[16:17], v14
	v_add_u32_e32 v11, 1, v11
	v_cmp_lt_u32_e32 vcc, 2, v11
	v_add_u32_e32 v14, 8, v14
	v_add_u32_e32 v13, 8, v13
	s_or_b64 s[8:9], vcc, s[8:9]
	s_waitcnt vmcnt(1) lgkmcnt(0)
	v_mul_f32_e32 v20, v17, v18
	v_mul_f32_e32 v18, v16, v18
	s_waitcnt vmcnt(0)
	v_fma_f32 v16, v16, v19, -v20
	v_fmac_f32_e32 v18, v17, v19
	v_add_f32_e32 v15, v15, v16
	v_add_f32_e32 v12, v12, v18
	s_andn2_b64 exec, exec, s[8:9]
	s_cbranch_execnz .LBB4_29
; %bb.30:
	s_or_b64 exec, exec, s[8:9]
	v_mov_b32_e32 v11, 0
	ds_read_b64 v[13:14], v11 offset:32
	s_waitcnt lgkmcnt(0)
	v_mul_f32_e32 v11, v12, v14
	v_mul_f32_e32 v14, v15, v14
	v_fma_f32 v11, v15, v13, -v11
	v_fmac_f32_e32 v14, v12, v13
	buffer_store_dword v11, off, s[0:3], 0 offset:32
	buffer_store_dword v14, off, s[0:3], 0 offset:36
.LBB4_31:
	s_or_b64 exec, exec, s[4:5]
	s_mov_b64 s[8:9], -1
	; wave barrier
.LBB4_32:
	s_and_b64 vcc, exec, s[8:9]
	s_cbranch_vccz .LBB4_34
; %bb.33:
	s_lshl_b64 s[4:5], s[6:7], 2
	s_add_u32 s4, s10, s4
	s_addc_u32 s5, s11, s5
	v_mov_b32_e32 v11, 0
	global_load_dword v11, v11, s[4:5]
	s_waitcnt vmcnt(0)
	v_cmp_ne_u32_e32 vcc, 0, v11
	s_cbranch_vccz .LBB4_35
.LBB4_34:
	s_endpgm
.LBB4_35:
	v_lshl_add_u32 v11, v0, 3, 48
	v_cmp_eq_u32_e32 vcc, 4, v0
	s_and_saveexec_b64 s[4:5], vcc
	s_cbranch_execz .LBB4_37
; %bb.36:
	buffer_load_dword v12, off, s[0:3], 0 offset:24
	buffer_load_dword v13, off, s[0:3], 0 offset:28
	v_mov_b32_e32 v14, 0
	buffer_store_dword v14, off, s[0:3], 0 offset:24
	buffer_store_dword v14, off, s[0:3], 0 offset:28
	s_waitcnt vmcnt(2)
	ds_write_b64 v11, v[12:13]
.LBB4_37:
	s_or_b64 exec, exec, s[4:5]
	s_waitcnt lgkmcnt(0)
	; wave barrier
	buffer_load_dword v15, off, s[0:3], 0 offset:36
	buffer_load_dword v16, off, s[0:3], 0 offset:32
	;; [unrolled: 1-line block ×4, first 2 shown]
	v_mov_b32_e32 v12, 0
	ds_read_b64 v[13:14], v12 offset:80
	v_cmp_lt_u32_e32 vcc, 2, v0
	s_waitcnt vmcnt(3) lgkmcnt(0)
	v_mul_f32_e32 v19, v13, v15
	v_mul_f32_e32 v15, v14, v15
	s_waitcnt vmcnt(2)
	v_fma_f32 v13, v13, v16, -v15
	v_fmac_f32_e32 v19, v14, v16
	v_add_f32_e32 v13, 0, v13
	v_add_f32_e32 v14, 0, v19
	s_waitcnt vmcnt(1)
	v_sub_f32_e32 v13, v17, v13
	s_waitcnt vmcnt(0)
	v_sub_f32_e32 v14, v18, v14
	buffer_store_dword v13, off, s[0:3], 0 offset:24
	buffer_store_dword v14, off, s[0:3], 0 offset:28
	s_and_saveexec_b64 s[4:5], vcc
	s_cbranch_execz .LBB4_39
; %bb.38:
	buffer_load_dword v13, off, s[0:3], 0 offset:16
	buffer_load_dword v14, off, s[0:3], 0 offset:20
	s_waitcnt vmcnt(0)
	ds_write_b64 v11, v[13:14]
	buffer_store_dword v12, off, s[0:3], 0 offset:16
	buffer_store_dword v12, off, s[0:3], 0 offset:20
.LBB4_39:
	s_or_b64 exec, exec, s[4:5]
	s_waitcnt lgkmcnt(0)
	; wave barrier
	buffer_load_dword v16, off, s[0:3], 0 offset:28
	buffer_load_dword v17, off, s[0:3], 0 offset:36
	;; [unrolled: 1-line block ×6, first 2 shown]
	ds_read2_b64 v[12:15], v12 offset0:9 offset1:10
	v_cmp_lt_u32_e32 vcc, 1, v0
	s_waitcnt vmcnt(5) lgkmcnt(0)
	v_mul_f32_e32 v22, v12, v16
	v_mul_f32_e32 v16, v13, v16
	s_waitcnt vmcnt(4)
	v_mul_f32_e32 v23, v14, v17
	v_mul_f32_e32 v17, v15, v17
	s_waitcnt vmcnt(3)
	v_fma_f32 v12, v12, v18, -v16
	v_fmac_f32_e32 v22, v13, v18
	s_waitcnt vmcnt(2)
	v_fma_f32 v13, v14, v19, -v17
	v_add_f32_e32 v12, 0, v12
	v_fmac_f32_e32 v23, v15, v19
	v_add_f32_e32 v14, 0, v22
	v_add_f32_e32 v12, v12, v13
	;; [unrolled: 1-line block ×3, first 2 shown]
	s_waitcnt vmcnt(1)
	v_sub_f32_e32 v12, v20, v12
	s_waitcnt vmcnt(0)
	v_sub_f32_e32 v13, v21, v14
	buffer_store_dword v12, off, s[0:3], 0 offset:16
	buffer_store_dword v13, off, s[0:3], 0 offset:20
	s_and_saveexec_b64 s[4:5], vcc
	s_cbranch_execz .LBB4_41
; %bb.40:
	buffer_load_dword v12, off, s[0:3], 0 offset:8
	buffer_load_dword v13, off, s[0:3], 0 offset:12
	v_mov_b32_e32 v14, 0
	buffer_store_dword v14, off, s[0:3], 0 offset:8
	buffer_store_dword v14, off, s[0:3], 0 offset:12
	s_waitcnt vmcnt(2)
	ds_write_b64 v11, v[12:13]
.LBB4_41:
	s_or_b64 exec, exec, s[4:5]
	s_waitcnt lgkmcnt(0)
	; wave barrier
	buffer_load_dword v19, off, s[0:3], 0 offset:20
	buffer_load_dword v20, off, s[0:3], 0 offset:28
	;; [unrolled: 1-line block ×8, first 2 shown]
	v_mov_b32_e32 v12, 0
	ds_read_b128 v[13:16], v12 offset:64
	ds_read_b64 v[17:18], v12 offset:80
	v_cmp_ne_u32_e32 vcc, 0, v0
	s_waitcnt vmcnt(7) lgkmcnt(1)
	v_mul_f32_e32 v27, v13, v19
	v_mul_f32_e32 v19, v14, v19
	s_waitcnt vmcnt(6)
	v_mul_f32_e32 v28, v15, v20
	v_mul_f32_e32 v20, v16, v20
	s_waitcnt vmcnt(5) lgkmcnt(0)
	v_mul_f32_e32 v29, v17, v21
	s_waitcnt vmcnt(2)
	v_fma_f32 v13, v13, v24, -v19
	v_mul_f32_e32 v21, v18, v21
	v_fmac_f32_e32 v27, v14, v24
	v_fma_f32 v14, v15, v23, -v20
	v_add_f32_e32 v13, 0, v13
	v_fmac_f32_e32 v28, v16, v23
	v_fma_f32 v15, v17, v22, -v21
	v_add_f32_e32 v16, 0, v27
	v_add_f32_e32 v13, v13, v14
	v_fmac_f32_e32 v29, v18, v22
	v_add_f32_e32 v16, v16, v28
	v_add_f32_e32 v13, v13, v15
	;; [unrolled: 1-line block ×3, first 2 shown]
	s_waitcnt vmcnt(1)
	v_sub_f32_e32 v13, v25, v13
	s_waitcnt vmcnt(0)
	v_sub_f32_e32 v14, v26, v14
	buffer_store_dword v13, off, s[0:3], 0 offset:8
	buffer_store_dword v14, off, s[0:3], 0 offset:12
	s_and_saveexec_b64 s[4:5], vcc
	s_cbranch_execz .LBB4_43
; %bb.42:
	buffer_load_dword v13, off, s[0:3], 0
	buffer_load_dword v14, off, s[0:3], 0 offset:4
	s_waitcnt vmcnt(0)
	ds_write_b64 v11, v[13:14]
	buffer_store_dword v12, off, s[0:3], 0
	buffer_store_dword v12, off, s[0:3], 0 offset:4
.LBB4_43:
	s_or_b64 exec, exec, s[4:5]
	s_waitcnt lgkmcnt(0)
	; wave barrier
	ds_read2_b64 v[13:16], v12 offset0:7 offset1:8
	buffer_load_dword v21, off, s[0:3], 0
	buffer_load_dword v22, off, s[0:3], 0 offset:4
	buffer_load_dword v23, off, s[0:3], 0 offset:8
	;; [unrolled: 1-line block ×9, first 2 shown]
	s_and_b64 vcc, exec, s[22:23]
	s_waitcnt vmcnt(6) lgkmcnt(0)
	v_mul_f32_e32 v17, v13, v24
	v_fmac_f32_e32 v17, v14, v23
	s_waitcnt vmcnt(4)
	v_mul_f32_e32 v18, v15, v26
	v_add_f32_e32 v17, 0, v17
	v_fmac_f32_e32 v18, v16, v25
	v_add_f32_e32 v29, v17, v18
	ds_read2_b64 v[17:20], v12 offset0:9 offset1:10
	v_mul_f32_e32 v14, v14, v24
	v_fma_f32 v13, v13, v23, -v14
	v_mul_f32_e32 v14, v16, v26
	v_add_f32_e32 v13, 0, v13
	v_fma_f32 v14, v15, v25, -v14
	v_add_f32_e32 v13, v13, v14
	s_waitcnt vmcnt(2) lgkmcnt(0)
	v_mul_f32_e32 v14, v18, v11
	v_mul_f32_e32 v12, v17, v11
	v_fma_f32 v14, v17, v0, -v14
	v_fmac_f32_e32 v12, v18, v0
	v_add_f32_e32 v13, v13, v14
	s_waitcnt vmcnt(0)
	v_mul_f32_e32 v14, v20, v28
	v_add_f32_e32 v12, v29, v12
	v_mul_f32_e32 v29, v19, v28
	v_fma_f32 v14, v19, v27, -v14
	v_fmac_f32_e32 v29, v20, v27
	v_add_f32_e32 v13, v13, v14
	v_add_f32_e32 v12, v12, v29
	v_sub_f32_e32 v13, v21, v13
	v_sub_f32_e32 v12, v22, v12
	buffer_store_dword v13, off, s[0:3], 0
	buffer_store_dword v12, off, s[0:3], 0 offset:4
	s_cbranch_vccz .LBB4_52
; %bb.44:
	v_mov_b32_e32 v12, 0
	global_load_dword v13, v12, s[20:21] offset:12
	s_waitcnt vmcnt(0)
	v_add_u32_e32 v13, -1, v13
	v_cmp_ne_u32_e32 vcc, 3, v13
	s_cbranch_vccz .LBB4_46
; %bb.45:
	v_lshlrev_b32_e32 v13, 3, v13
	buffer_load_dword v14, v13, s[0:3], 0 offen
	buffer_load_dword v15, v13, s[0:3], 0 offen offset:4
	s_waitcnt vmcnt(1)
	buffer_store_dword v14, off, s[0:3], 0 offset:24
	s_waitcnt vmcnt(1)
	buffer_store_dword v15, off, s[0:3], 0 offset:28
	buffer_store_dword v0, v13, s[0:3], 0 offen
	buffer_store_dword v11, v13, s[0:3], 0 offen offset:4
.LBB4_46:
	global_load_dword v0, v12, s[20:21] offset:8
	s_waitcnt vmcnt(0)
	v_add_u32_e32 v0, -1, v0
	v_cmp_eq_u32_e32 vcc, 2, v0
	s_cbranch_vccnz .LBB4_48
; %bb.47:
	v_lshlrev_b32_e32 v0, 3, v0
	buffer_load_dword v11, v0, s[0:3], 0 offen
	buffer_load_dword v12, v0, s[0:3], 0 offen offset:4
	buffer_load_dword v13, off, s[0:3], 0 offset:20
	buffer_load_dword v14, off, s[0:3], 0 offset:16
	s_waitcnt vmcnt(3)
	buffer_store_dword v11, off, s[0:3], 0 offset:16
	s_waitcnt vmcnt(3)
	buffer_store_dword v12, off, s[0:3], 0 offset:20
	s_waitcnt vmcnt(3)
	buffer_store_dword v13, v0, s[0:3], 0 offen offset:4
	s_waitcnt vmcnt(3)
	buffer_store_dword v14, v0, s[0:3], 0 offen
.LBB4_48:
	v_mov_b32_e32 v0, 0
	global_load_dword v11, v0, s[20:21] offset:4
	s_waitcnt vmcnt(0)
	v_add_u32_e32 v11, -1, v11
	v_cmp_eq_u32_e32 vcc, 1, v11
	s_cbranch_vccnz .LBB4_50
; %bb.49:
	v_lshlrev_b32_e32 v11, 3, v11
	buffer_load_dword v12, v11, s[0:3], 0 offen
	buffer_load_dword v13, v11, s[0:3], 0 offen offset:4
	buffer_load_dword v14, off, s[0:3], 0 offset:8
	buffer_load_dword v15, off, s[0:3], 0 offset:12
	s_waitcnt vmcnt(3)
	buffer_store_dword v12, off, s[0:3], 0 offset:8
	s_waitcnt vmcnt(3)
	buffer_store_dword v13, off, s[0:3], 0 offset:12
	s_waitcnt vmcnt(3)
	buffer_store_dword v14, v11, s[0:3], 0 offen
	s_waitcnt vmcnt(3)
	buffer_store_dword v15, v11, s[0:3], 0 offen offset:4
.LBB4_50:
	global_load_dword v0, v0, s[20:21]
	s_waitcnt vmcnt(0)
	v_add_u32_e32 v0, -1, v0
	v_cmp_eq_u32_e32 vcc, 0, v0
	s_cbranch_vccnz .LBB4_52
; %bb.51:
	v_lshlrev_b32_e32 v0, 3, v0
	buffer_load_dword v11, v0, s[0:3], 0 offen
	buffer_load_dword v12, v0, s[0:3], 0 offen offset:4
	buffer_load_dword v13, off, s[0:3], 0 offset:4
	buffer_load_dword v14, off, s[0:3], 0
	s_waitcnt vmcnt(3)
	buffer_store_dword v11, off, s[0:3], 0
	s_waitcnt vmcnt(3)
	buffer_store_dword v12, off, s[0:3], 0 offset:4
	s_waitcnt vmcnt(3)
	buffer_store_dword v13, v0, s[0:3], 0 offen offset:4
	s_waitcnt vmcnt(3)
	buffer_store_dword v14, v0, s[0:3], 0 offen
.LBB4_52:
	buffer_load_dword v11, off, s[0:3], 0
	buffer_load_dword v12, off, s[0:3], 0 offset:4
	buffer_load_dword v13, off, s[0:3], 0 offset:8
	s_nop 0
	buffer_load_dword v14, off, s[0:3], 0 offset:12
	buffer_load_dword v15, off, s[0:3], 0 offset:16
	;; [unrolled: 1-line block ×7, first 2 shown]
	s_waitcnt vmcnt(8)
	global_store_dwordx2 v[1:2], v[11:12], off
	s_waitcnt vmcnt(7)
	global_store_dwordx2 v[3:4], v[13:14], off
	;; [unrolled: 2-line block ×5, first 2 shown]
	s_endpgm
	.section	.rodata,"a",@progbits
	.p2align	6, 0x0
	.amdhsa_kernel _ZN9rocsolver6v33100L18getri_kernel_smallILi5E19rocblas_complex_numIfEPS3_EEvT1_iilPiilS6_bb
		.amdhsa_group_segment_fixed_size 88
		.amdhsa_private_segment_fixed_size 48
		.amdhsa_kernarg_size 60
		.amdhsa_user_sgpr_count 6
		.amdhsa_user_sgpr_private_segment_buffer 1
		.amdhsa_user_sgpr_dispatch_ptr 0
		.amdhsa_user_sgpr_queue_ptr 0
		.amdhsa_user_sgpr_kernarg_segment_ptr 1
		.amdhsa_user_sgpr_dispatch_id 0
		.amdhsa_user_sgpr_flat_scratch_init 0
		.amdhsa_user_sgpr_private_segment_size 0
		.amdhsa_uses_dynamic_stack 0
		.amdhsa_system_sgpr_private_segment_wavefront_offset 1
		.amdhsa_system_sgpr_workgroup_id_x 1
		.amdhsa_system_sgpr_workgroup_id_y 0
		.amdhsa_system_sgpr_workgroup_id_z 0
		.amdhsa_system_sgpr_workgroup_info 0
		.amdhsa_system_vgpr_workitem_id 0
		.amdhsa_next_free_vgpr 30
		.amdhsa_next_free_sgpr 24
		.amdhsa_reserve_vcc 1
		.amdhsa_reserve_flat_scratch 0
		.amdhsa_float_round_mode_32 0
		.amdhsa_float_round_mode_16_64 0
		.amdhsa_float_denorm_mode_32 3
		.amdhsa_float_denorm_mode_16_64 3
		.amdhsa_dx10_clamp 1
		.amdhsa_ieee_mode 1
		.amdhsa_fp16_overflow 0
		.amdhsa_exception_fp_ieee_invalid_op 0
		.amdhsa_exception_fp_denorm_src 0
		.amdhsa_exception_fp_ieee_div_zero 0
		.amdhsa_exception_fp_ieee_overflow 0
		.amdhsa_exception_fp_ieee_underflow 0
		.amdhsa_exception_fp_ieee_inexact 0
		.amdhsa_exception_int_div_zero 0
	.end_amdhsa_kernel
	.section	.text._ZN9rocsolver6v33100L18getri_kernel_smallILi5E19rocblas_complex_numIfEPS3_EEvT1_iilPiilS6_bb,"axG",@progbits,_ZN9rocsolver6v33100L18getri_kernel_smallILi5E19rocblas_complex_numIfEPS3_EEvT1_iilPiilS6_bb,comdat
.Lfunc_end4:
	.size	_ZN9rocsolver6v33100L18getri_kernel_smallILi5E19rocblas_complex_numIfEPS3_EEvT1_iilPiilS6_bb, .Lfunc_end4-_ZN9rocsolver6v33100L18getri_kernel_smallILi5E19rocblas_complex_numIfEPS3_EEvT1_iilPiilS6_bb
                                        ; -- End function
	.set _ZN9rocsolver6v33100L18getri_kernel_smallILi5E19rocblas_complex_numIfEPS3_EEvT1_iilPiilS6_bb.num_vgpr, 30
	.set _ZN9rocsolver6v33100L18getri_kernel_smallILi5E19rocblas_complex_numIfEPS3_EEvT1_iilPiilS6_bb.num_agpr, 0
	.set _ZN9rocsolver6v33100L18getri_kernel_smallILi5E19rocblas_complex_numIfEPS3_EEvT1_iilPiilS6_bb.numbered_sgpr, 24
	.set _ZN9rocsolver6v33100L18getri_kernel_smallILi5E19rocblas_complex_numIfEPS3_EEvT1_iilPiilS6_bb.num_named_barrier, 0
	.set _ZN9rocsolver6v33100L18getri_kernel_smallILi5E19rocblas_complex_numIfEPS3_EEvT1_iilPiilS6_bb.private_seg_size, 48
	.set _ZN9rocsolver6v33100L18getri_kernel_smallILi5E19rocblas_complex_numIfEPS3_EEvT1_iilPiilS6_bb.uses_vcc, 1
	.set _ZN9rocsolver6v33100L18getri_kernel_smallILi5E19rocblas_complex_numIfEPS3_EEvT1_iilPiilS6_bb.uses_flat_scratch, 0
	.set _ZN9rocsolver6v33100L18getri_kernel_smallILi5E19rocblas_complex_numIfEPS3_EEvT1_iilPiilS6_bb.has_dyn_sized_stack, 0
	.set _ZN9rocsolver6v33100L18getri_kernel_smallILi5E19rocblas_complex_numIfEPS3_EEvT1_iilPiilS6_bb.has_recursion, 0
	.set _ZN9rocsolver6v33100L18getri_kernel_smallILi5E19rocblas_complex_numIfEPS3_EEvT1_iilPiilS6_bb.has_indirect_call, 0
	.section	.AMDGPU.csdata,"",@progbits
; Kernel info:
; codeLenInByte = 3620
; TotalNumSgprs: 28
; NumVgprs: 30
; ScratchSize: 48
; MemoryBound: 0
; FloatMode: 240
; IeeeMode: 1
; LDSByteSize: 88 bytes/workgroup (compile time only)
; SGPRBlocks: 3
; VGPRBlocks: 7
; NumSGPRsForWavesPerEU: 28
; NumVGPRsForWavesPerEU: 30
; Occupancy: 8
; WaveLimiterHint : 0
; COMPUTE_PGM_RSRC2:SCRATCH_EN: 1
; COMPUTE_PGM_RSRC2:USER_SGPR: 6
; COMPUTE_PGM_RSRC2:TRAP_HANDLER: 0
; COMPUTE_PGM_RSRC2:TGID_X_EN: 1
; COMPUTE_PGM_RSRC2:TGID_Y_EN: 0
; COMPUTE_PGM_RSRC2:TGID_Z_EN: 0
; COMPUTE_PGM_RSRC2:TIDIG_COMP_CNT: 0
	.section	.text._ZN9rocsolver6v33100L18getri_kernel_smallILi6E19rocblas_complex_numIfEPS3_EEvT1_iilPiilS6_bb,"axG",@progbits,_ZN9rocsolver6v33100L18getri_kernel_smallILi6E19rocblas_complex_numIfEPS3_EEvT1_iilPiilS6_bb,comdat
	.globl	_ZN9rocsolver6v33100L18getri_kernel_smallILi6E19rocblas_complex_numIfEPS3_EEvT1_iilPiilS6_bb ; -- Begin function _ZN9rocsolver6v33100L18getri_kernel_smallILi6E19rocblas_complex_numIfEPS3_EEvT1_iilPiilS6_bb
	.p2align	8
	.type	_ZN9rocsolver6v33100L18getri_kernel_smallILi6E19rocblas_complex_numIfEPS3_EEvT1_iilPiilS6_bb,@function
_ZN9rocsolver6v33100L18getri_kernel_smallILi6E19rocblas_complex_numIfEPS3_EEvT1_iilPiilS6_bb: ; @_ZN9rocsolver6v33100L18getri_kernel_smallILi6E19rocblas_complex_numIfEPS3_EEvT1_iilPiilS6_bb
; %bb.0:
	s_add_u32 s0, s0, s7
	s_addc_u32 s1, s1, 0
	v_cmp_gt_u32_e32 vcc, 6, v0
	s_and_saveexec_b64 s[8:9], vcc
	s_cbranch_execz .LBB5_38
; %bb.1:
	s_load_dword s12, s[4:5], 0x38
	s_load_dwordx4 s[16:19], s[4:5], 0x10
	s_load_dwordx4 s[8:11], s[4:5], 0x28
                                        ; implicit-def: $sgpr20_sgpr21
	s_waitcnt lgkmcnt(0)
	s_bitcmp1_b32 s12, 8
	s_cselect_b64 s[22:23], -1, 0
	s_ashr_i32 s7, s6, 31
	s_bfe_u32 s12, s12, 0x10008
	s_cmp_eq_u32 s12, 0
	s_cbranch_scc1 .LBB5_3
; %bb.2:
	s_load_dword s12, s[4:5], 0x20
	s_mul_i32 s13, s8, s7
	s_mul_hi_u32 s14, s8, s6
	s_mul_i32 s9, s9, s6
	s_add_i32 s14, s14, s13
	s_add_i32 s9, s14, s9
	s_mul_i32 s8, s8, s6
	s_waitcnt lgkmcnt(0)
	s_ashr_i32 s13, s12, 31
	s_lshl_b64 s[8:9], s[8:9], 2
	s_add_u32 s14, s18, s8
	s_addc_u32 s15, s19, s9
	s_lshl_b64 s[8:9], s[12:13], 2
	s_add_u32 s20, s14, s8
	s_addc_u32 s21, s15, s9
.LBB5_3:
	s_load_dwordx4 s[12:15], s[4:5], 0x0
	s_load_dword s18, s[4:5], 0x38
	s_mul_i32 s8, s16, s7
	s_mul_hi_u32 s9, s16, s6
	s_add_i32 s8, s9, s8
	s_mul_i32 s9, s17, s6
	s_add_i32 s9, s8, s9
	s_mul_i32 s8, s16, s6
	s_waitcnt lgkmcnt(0)
	s_ashr_i32 s5, s14, 31
	s_lshl_b64 s[8:9], s[8:9], 3
	s_mov_b32 s4, s14
	s_add_u32 s8, s12, s8
	s_addc_u32 s9, s13, s9
	s_lshl_b64 s[4:5], s[4:5], 3
	s_add_u32 s4, s8, s4
	s_addc_u32 s5, s9, s5
	v_lshlrev_b32_e32 v15, 3, v0
	v_mov_b32_e32 v2, s5
	v_add_co_u32_e32 v1, vcc, s4, v15
	s_ashr_i32 s9, s15, 31
	s_mov_b32 s8, s15
	v_addc_co_u32_e32 v2, vcc, 0, v2, vcc
	s_lshl_b64 s[8:9], s[8:9], 3
	v_add_co_u32_e32 v3, vcc, s8, v1
	s_add_i32 s8, s15, s15
	v_add_u32_e32 v7, s8, v0
	v_ashrrev_i32_e32 v8, 31, v7
	v_mov_b32_e32 v4, s9
	v_lshlrev_b64 v[5:6], 3, v[7:8]
	v_addc_co_u32_e32 v4, vcc, v2, v4, vcc
	v_add_u32_e32 v9, s15, v7
	v_mov_b32_e32 v8, s5
	v_add_co_u32_e32 v5, vcc, s4, v5
	v_ashrrev_i32_e32 v10, 31, v9
	v_addc_co_u32_e32 v6, vcc, v8, v6, vcc
	v_lshlrev_b64 v[7:8], 3, v[9:10]
	v_add_u32_e32 v11, s15, v9
	v_mov_b32_e32 v10, s5
	v_add_co_u32_e32 v7, vcc, s4, v7
	v_ashrrev_i32_e32 v12, 31, v11
	v_addc_co_u32_e32 v8, vcc, v10, v8, vcc
	v_lshlrev_b64 v[9:10], 3, v[11:12]
	v_mov_b32_e32 v12, s5
	v_add_co_u32_e32 v9, vcc, s4, v9
	global_load_dwordx2 v[13:14], v15, s[4:5]
	v_addc_co_u32_e32 v10, vcc, v12, v10, vcc
	global_load_dwordx2 v[16:17], v[3:4], off
	global_load_dwordx2 v[18:19], v[5:6], off
	;; [unrolled: 1-line block ×4, first 2 shown]
	v_add_u32_e32 v11, s15, v11
	v_ashrrev_i32_e32 v12, 31, v11
	v_lshlrev_b64 v[11:12], 3, v[11:12]
	v_mov_b32_e32 v24, s5
	v_add_co_u32_e32 v11, vcc, s4, v11
	v_addc_co_u32_e32 v12, vcc, v24, v12, vcc
	global_load_dwordx2 v[24:25], v[11:12], off
	s_bitcmp0_b32 s18, 0
	s_mov_b64 s[8:9], -1
	s_waitcnt vmcnt(5)
	buffer_store_dword v14, off, s[0:3], 0 offset:4
	buffer_store_dword v13, off, s[0:3], 0
	s_waitcnt vmcnt(6)
	buffer_store_dword v17, off, s[0:3], 0 offset:12
	buffer_store_dword v16, off, s[0:3], 0 offset:8
	s_waitcnt vmcnt(7)
	buffer_store_dword v19, off, s[0:3], 0 offset:20
	buffer_store_dword v18, off, s[0:3], 0 offset:16
	;; [unrolled: 3-line block ×5, first 2 shown]
	s_cbranch_scc1 .LBB5_36
; %bb.4:
	v_cmp_eq_u32_e64 s[4:5], 0, v0
	s_and_saveexec_b64 s[8:9], s[4:5]
; %bb.5:
	v_mov_b32_e32 v13, 0
	ds_write_b32 v13, v13 offset:96
; %bb.6:
	s_or_b64 exec, exec, s[8:9]
	v_mov_b32_e32 v13, 0
	v_lshl_add_u32 v17, v0, 3, v13
	s_waitcnt lgkmcnt(0)
	; wave barrier
	buffer_load_dword v13, v17, s[0:3], 0 offen
	buffer_load_dword v14, v17, s[0:3], 0 offen offset:4
	s_waitcnt vmcnt(1)
	v_cmp_eq_f32_e32 vcc, 0, v13
	s_waitcnt vmcnt(0)
	v_cmp_eq_f32_e64 s[8:9], 0, v14
	s_and_b64 s[8:9], vcc, s[8:9]
	s_and_saveexec_b64 s[12:13], s[8:9]
	s_cbranch_execz .LBB5_10
; %bb.7:
	v_mov_b32_e32 v13, 0
	ds_read_b32 v16, v13 offset:96
	v_add_u32_e32 v14, 1, v0
	s_waitcnt lgkmcnt(0)
	v_readfirstlane_b32 s8, v16
	s_cmp_eq_u32 s8, 0
	s_cselect_b64 s[14:15], -1, 0
	v_cmp_gt_i32_e32 vcc, s8, v14
	s_or_b64 s[14:15], s[14:15], vcc
	s_and_b64 exec, exec, s[14:15]
	s_cbranch_execz .LBB5_10
; %bb.8:
	s_mov_b64 s[14:15], 0
	v_mov_b32_e32 v16, s8
.LBB5_9:                                ; =>This Inner Loop Header: Depth=1
	ds_cmpst_rtn_b32 v16, v13, v16, v14 offset:96
	s_waitcnt lgkmcnt(0)
	v_cmp_ne_u32_e32 vcc, 0, v16
	v_cmp_le_i32_e64 s[8:9], v16, v14
	s_and_b64 s[8:9], vcc, s[8:9]
	s_and_b64 s[8:9], exec, s[8:9]
	s_or_b64 s[14:15], s[8:9], s[14:15]
	s_andn2_b64 exec, exec, s[14:15]
	s_cbranch_execnz .LBB5_9
.LBB5_10:
	s_or_b64 exec, exec, s[12:13]
	v_mov_b32_e32 v14, 0
	; wave barrier
	ds_read_b32 v13, v14 offset:96
	s_and_saveexec_b64 s[8:9], s[4:5]
	s_cbranch_execz .LBB5_12
; %bb.11:
	s_lshl_b64 s[12:13], s[6:7], 2
	s_add_u32 s12, s10, s12
	s_addc_u32 s13, s11, s13
	s_waitcnt lgkmcnt(0)
	global_store_dword v14, v13, s[12:13]
.LBB5_12:
	s_or_b64 exec, exec, s[8:9]
	s_waitcnt lgkmcnt(0)
	v_cmp_ne_u32_e32 vcc, 0, v13
	s_mov_b64 s[8:9], 0
	s_cbranch_vccnz .LBB5_36
; %bb.13:
	buffer_load_dword v14, v17, s[0:3], 0 offen
	buffer_load_dword v16, v17, s[0:3], 0 offen offset:4
                                        ; implicit-def: $vgpr19
                                        ; implicit-def: $vgpr18
                                        ; implicit-def: $vgpr13
	s_waitcnt vmcnt(0)
	v_cmp_ngt_f32_e64 s[8:9], |v14|, |v16|
	s_and_saveexec_b64 s[12:13], s[8:9]
	s_xor_b64 s[8:9], exec, s[12:13]
	s_cbranch_execz .LBB5_15
; %bb.14:
	v_div_scale_f32 v13, s[12:13], v16, v16, v14
	v_div_scale_f32 v18, vcc, v14, v16, v14
	v_rcp_f32_e32 v19, v13
	v_fma_f32 v20, -v13, v19, 1.0
	v_fmac_f32_e32 v19, v20, v19
	v_mul_f32_e32 v20, v18, v19
	v_fma_f32 v21, -v13, v20, v18
	v_fmac_f32_e32 v20, v21, v19
	v_fma_f32 v13, -v13, v20, v18
	v_div_fmas_f32 v13, v13, v19, v20
	v_div_fixup_f32 v13, v13, v16, v14
	v_fmac_f32_e32 v16, v14, v13
	v_div_scale_f32 v14, s[12:13], v16, v16, 1.0
	v_div_scale_f32 v18, vcc, 1.0, v16, 1.0
	v_rcp_f32_e32 v19, v14
	v_fma_f32 v20, -v14, v19, 1.0
	v_fmac_f32_e32 v19, v20, v19
	v_mul_f32_e32 v20, v18, v19
	v_fma_f32 v21, -v14, v20, v18
	v_fmac_f32_e32 v20, v21, v19
	v_fma_f32 v14, -v14, v20, v18
	v_div_fmas_f32 v14, v14, v19, v20
	v_div_fixup_f32 v14, v14, v16, 1.0
	v_mul_f32_e32 v19, v13, v14
	v_xor_b32_e32 v18, 0x80000000, v14
	v_xor_b32_e32 v13, 0x80000000, v19
                                        ; implicit-def: $vgpr14
                                        ; implicit-def: $vgpr16
.LBB5_15:
	s_andn2_saveexec_b64 s[8:9], s[8:9]
	s_cbranch_execz .LBB5_17
; %bb.16:
	v_div_scale_f32 v13, s[12:13], v14, v14, v16
	v_div_scale_f32 v18, vcc, v16, v14, v16
	v_rcp_f32_e32 v19, v13
	v_fma_f32 v20, -v13, v19, 1.0
	v_fmac_f32_e32 v19, v20, v19
	v_mul_f32_e32 v20, v18, v19
	v_fma_f32 v21, -v13, v20, v18
	v_fmac_f32_e32 v20, v21, v19
	v_fma_f32 v13, -v13, v20, v18
	v_div_fmas_f32 v13, v13, v19, v20
	v_div_fixup_f32 v18, v13, v14, v16
	v_fmac_f32_e32 v14, v16, v18
	v_div_scale_f32 v13, s[12:13], v14, v14, 1.0
	v_div_scale_f32 v16, vcc, 1.0, v14, 1.0
	v_rcp_f32_e32 v19, v13
	v_fma_f32 v20, -v13, v19, 1.0
	v_fmac_f32_e32 v19, v20, v19
	v_mul_f32_e32 v20, v16, v19
	v_fma_f32 v21, -v13, v20, v16
	v_fmac_f32_e32 v20, v21, v19
	v_fma_f32 v13, -v13, v20, v16
	v_div_fmas_f32 v13, v13, v19, v20
	v_div_fixup_f32 v19, v13, v14, 1.0
	v_xor_b32_e32 v13, 0x80000000, v19
	v_mul_f32_e64 v18, v18, -v19
.LBB5_17:
	s_or_b64 exec, exec, s[8:9]
	buffer_store_dword v19, v17, s[0:3], 0 offen
	buffer_store_dword v18, v17, s[0:3], 0 offen offset:4
	buffer_load_dword v20, off, s[0:3], 0 offset:12
	s_nop 0
	buffer_load_dword v19, off, s[0:3], 0 offset:8
	v_xor_b32_e32 v14, 0x80000000, v18
	v_add_u32_e32 v16, 48, v15
	s_waitcnt vmcnt(0)
	ds_write2_b64 v15, v[13:14], v[19:20] offset1:6
	s_waitcnt lgkmcnt(0)
	; wave barrier
	s_and_saveexec_b64 s[8:9], s[4:5]
	s_cbranch_execz .LBB5_19
; %bb.18:
	buffer_load_dword v20, v17, s[0:3], 0 offen offset:4
	buffer_load_dword v21, v17, s[0:3], 0 offen
	ds_read_b64 v[13:14], v16
	v_mov_b32_e32 v18, 0
	ds_read_b64 v[18:19], v18 offset:8
	s_waitcnt vmcnt(1) lgkmcnt(1)
	v_mul_f32_e32 v22, v14, v20
	v_mul_f32_e32 v20, v13, v20
	s_waitcnt vmcnt(0)
	v_fmac_f32_e32 v20, v14, v21
	v_fma_f32 v13, v13, v21, -v22
	v_add_f32_e32 v14, 0, v20
	v_add_f32_e32 v13, 0, v13
	s_waitcnt lgkmcnt(0)
	v_mul_f32_e32 v20, v14, v19
	v_mul_f32_e32 v19, v13, v19
	v_fma_f32 v13, v13, v18, -v20
	v_fmac_f32_e32 v19, v14, v18
	buffer_store_dword v13, off, s[0:3], 0 offset:8
	buffer_store_dword v19, off, s[0:3], 0 offset:12
.LBB5_19:
	s_or_b64 exec, exec, s[8:9]
	; wave barrier
	buffer_load_dword v13, off, s[0:3], 0 offset:16
	buffer_load_dword v14, off, s[0:3], 0 offset:20
	v_cmp_gt_u32_e32 vcc, 2, v0
	s_waitcnt vmcnt(0)
	ds_write_b64 v16, v[13:14]
	s_waitcnt lgkmcnt(0)
	; wave barrier
	s_and_saveexec_b64 s[8:9], vcc
	s_cbranch_execz .LBB5_23
; %bb.20:
	buffer_load_dword v18, v17, s[0:3], 0 offen offset:4
	buffer_load_dword v19, v17, s[0:3], 0 offen
	ds_read_b64 v[13:14], v16
	s_waitcnt vmcnt(1) lgkmcnt(0)
	v_mul_f32_e32 v17, v14, v18
	v_mul_f32_e32 v18, v13, v18
	s_waitcnt vmcnt(0)
	v_fma_f32 v13, v13, v19, -v17
	v_fmac_f32_e32 v18, v14, v19
	v_add_f32_e32 v14, 0, v13
	v_add_f32_e32 v13, 0, v18
	s_and_saveexec_b64 s[12:13], s[4:5]
	s_cbranch_execz .LBB5_22
; %bb.21:
	buffer_load_dword v19, off, s[0:3], 0 offset:12
	buffer_load_dword v20, off, s[0:3], 0 offset:8
	v_mov_b32_e32 v17, 0
	ds_read_b64 v[17:18], v17 offset:56
	s_waitcnt vmcnt(1) lgkmcnt(0)
	v_mul_f32_e32 v21, v17, v19
	v_mul_f32_e32 v19, v18, v19
	s_waitcnt vmcnt(0)
	v_fmac_f32_e32 v21, v18, v20
	v_fma_f32 v17, v17, v20, -v19
	v_add_f32_e32 v13, v13, v21
	v_add_f32_e32 v14, v14, v17
.LBB5_22:
	s_or_b64 exec, exec, s[12:13]
	v_mov_b32_e32 v17, 0
	ds_read_b64 v[17:18], v17 offset:16
	s_waitcnt lgkmcnt(0)
	v_mul_f32_e32 v19, v13, v18
	v_mul_f32_e32 v18, v14, v18
	v_fma_f32 v14, v14, v17, -v19
	v_fmac_f32_e32 v18, v13, v17
	buffer_store_dword v14, off, s[0:3], 0 offset:16
	buffer_store_dword v18, off, s[0:3], 0 offset:20
.LBB5_23:
	s_or_b64 exec, exec, s[8:9]
	; wave barrier
	buffer_load_dword v13, off, s[0:3], 0 offset:24
	buffer_load_dword v14, off, s[0:3], 0 offset:28
	v_cmp_gt_u32_e32 vcc, 3, v0
	s_waitcnt vmcnt(0)
	ds_write_b64 v16, v[13:14]
	v_add_u32_e32 v13, -1, v0
	s_waitcnt lgkmcnt(0)
	; wave barrier
	s_and_saveexec_b64 s[4:5], vcc
	s_cbranch_execz .LBB5_27
; %bb.24:
	v_add_u32_e32 v17, -1, v0
	v_add_u32_e32 v18, 48, v15
	v_mov_b32_e32 v19, v15
	v_mov_b32_e32 v14, 0
	s_mov_b64 s[8:9], 0
	v_mov_b32_e32 v20, 0
.LBB5_25:                               ; =>This Inner Loop Header: Depth=1
	buffer_load_dword v23, v19, s[0:3], 0 offen offset:4
	buffer_load_dword v24, v19, s[0:3], 0 offen
	ds_read_b64 v[21:22], v18
	v_add_u32_e32 v17, 1, v17
	v_cmp_lt_u32_e32 vcc, 1, v17
	v_add_u32_e32 v18, 8, v18
	v_add_u32_e32 v19, 8, v19
	s_or_b64 s[8:9], vcc, s[8:9]
	s_waitcnt vmcnt(1) lgkmcnt(0)
	v_mul_f32_e32 v25, v22, v23
	v_mul_f32_e32 v23, v21, v23
	s_waitcnt vmcnt(0)
	v_fma_f32 v21, v21, v24, -v25
	v_fmac_f32_e32 v23, v22, v24
	v_add_f32_e32 v20, v20, v21
	v_add_f32_e32 v14, v14, v23
	s_andn2_b64 exec, exec, s[8:9]
	s_cbranch_execnz .LBB5_25
; %bb.26:
	s_or_b64 exec, exec, s[8:9]
	v_mov_b32_e32 v17, 0
	ds_read_b64 v[17:18], v17 offset:24
	s_waitcnt lgkmcnt(0)
	v_mul_f32_e32 v19, v14, v18
	v_mul_f32_e32 v18, v20, v18
	v_fma_f32 v19, v20, v17, -v19
	v_fmac_f32_e32 v18, v14, v17
	buffer_store_dword v19, off, s[0:3], 0 offset:24
	buffer_store_dword v18, off, s[0:3], 0 offset:28
.LBB5_27:
	s_or_b64 exec, exec, s[4:5]
	; wave barrier
	buffer_load_dword v17, off, s[0:3], 0 offset:32
	buffer_load_dword v18, off, s[0:3], 0 offset:36
	v_cmp_gt_u32_e32 vcc, 4, v0
	s_waitcnt vmcnt(0)
	ds_write_b64 v16, v[17:18]
	s_waitcnt lgkmcnt(0)
	; wave barrier
	s_and_saveexec_b64 s[4:5], vcc
	s_cbranch_execz .LBB5_31
; %bb.28:
	v_add_u32_e32 v17, -1, v0
	v_add_u32_e32 v18, 48, v15
	v_mov_b32_e32 v19, v15
	v_mov_b32_e32 v14, 0
	s_mov_b64 s[8:9], 0
	v_mov_b32_e32 v20, 0
.LBB5_29:                               ; =>This Inner Loop Header: Depth=1
	buffer_load_dword v23, v19, s[0:3], 0 offen offset:4
	buffer_load_dword v24, v19, s[0:3], 0 offen
	ds_read_b64 v[21:22], v18
	v_add_u32_e32 v17, 1, v17
	v_cmp_lt_u32_e32 vcc, 2, v17
	v_add_u32_e32 v18, 8, v18
	v_add_u32_e32 v19, 8, v19
	s_or_b64 s[8:9], vcc, s[8:9]
	s_waitcnt vmcnt(1) lgkmcnt(0)
	v_mul_f32_e32 v25, v22, v23
	v_mul_f32_e32 v23, v21, v23
	s_waitcnt vmcnt(0)
	v_fma_f32 v21, v21, v24, -v25
	v_fmac_f32_e32 v23, v22, v24
	v_add_f32_e32 v20, v20, v21
	v_add_f32_e32 v14, v14, v23
	s_andn2_b64 exec, exec, s[8:9]
	s_cbranch_execnz .LBB5_29
; %bb.30:
	s_or_b64 exec, exec, s[8:9]
	v_mov_b32_e32 v17, 0
	ds_read_b64 v[17:18], v17 offset:32
	s_waitcnt lgkmcnt(0)
	v_mul_f32_e32 v19, v14, v18
	v_mul_f32_e32 v18, v20, v18
	v_fma_f32 v19, v20, v17, -v19
	v_fmac_f32_e32 v18, v14, v17
	buffer_store_dword v19, off, s[0:3], 0 offset:32
	buffer_store_dword v18, off, s[0:3], 0 offset:36
.LBB5_31:
	s_or_b64 exec, exec, s[4:5]
	; wave barrier
	buffer_load_dword v17, off, s[0:3], 0 offset:40
	buffer_load_dword v18, off, s[0:3], 0 offset:44
	v_cmp_ne_u32_e32 vcc, 5, v0
	s_waitcnt vmcnt(0)
	ds_write_b64 v16, v[17:18]
	s_waitcnt lgkmcnt(0)
	; wave barrier
	s_and_saveexec_b64 s[4:5], vcc
	s_cbranch_execz .LBB5_35
; %bb.32:
	v_mov_b32_e32 v14, 0
	s_mov_b64 s[8:9], 0
	v_mov_b32_e32 v17, 0
.LBB5_33:                               ; =>This Inner Loop Header: Depth=1
	buffer_load_dword v20, v15, s[0:3], 0 offen offset:4
	buffer_load_dword v21, v15, s[0:3], 0 offen
	ds_read_b64 v[18:19], v16
	v_add_u32_e32 v13, 1, v13
	v_cmp_lt_u32_e32 vcc, 3, v13
	v_add_u32_e32 v16, 8, v16
	v_add_u32_e32 v15, 8, v15
	s_or_b64 s[8:9], vcc, s[8:9]
	s_waitcnt vmcnt(1) lgkmcnt(0)
	v_mul_f32_e32 v22, v19, v20
	v_mul_f32_e32 v20, v18, v20
	s_waitcnt vmcnt(0)
	v_fma_f32 v18, v18, v21, -v22
	v_fmac_f32_e32 v20, v19, v21
	v_add_f32_e32 v17, v17, v18
	v_add_f32_e32 v14, v14, v20
	s_andn2_b64 exec, exec, s[8:9]
	s_cbranch_execnz .LBB5_33
; %bb.34:
	s_or_b64 exec, exec, s[8:9]
	v_mov_b32_e32 v13, 0
	ds_read_b64 v[15:16], v13 offset:40
	s_waitcnt lgkmcnt(0)
	v_mul_f32_e32 v13, v14, v16
	v_mul_f32_e32 v16, v17, v16
	v_fma_f32 v13, v17, v15, -v13
	v_fmac_f32_e32 v16, v14, v15
	buffer_store_dword v13, off, s[0:3], 0 offset:40
	buffer_store_dword v16, off, s[0:3], 0 offset:44
.LBB5_35:
	s_or_b64 exec, exec, s[4:5]
	s_mov_b64 s[8:9], -1
	; wave barrier
.LBB5_36:
	s_and_b64 vcc, exec, s[8:9]
	s_cbranch_vccz .LBB5_38
; %bb.37:
	s_lshl_b64 s[4:5], s[6:7], 2
	s_add_u32 s4, s10, s4
	s_addc_u32 s5, s11, s5
	v_mov_b32_e32 v13, 0
	global_load_dword v13, v13, s[4:5]
	s_waitcnt vmcnt(0)
	v_cmp_ne_u32_e32 vcc, 0, v13
	s_cbranch_vccz .LBB5_39
.LBB5_38:
	s_endpgm
.LBB5_39:
	v_lshl_add_u32 v13, v0, 3, 48
	v_cmp_eq_u32_e32 vcc, 5, v0
	s_and_saveexec_b64 s[4:5], vcc
	s_cbranch_execz .LBB5_41
; %bb.40:
	buffer_load_dword v14, off, s[0:3], 0 offset:32
	buffer_load_dword v15, off, s[0:3], 0 offset:36
	v_mov_b32_e32 v16, 0
	buffer_store_dword v16, off, s[0:3], 0 offset:32
	buffer_store_dword v16, off, s[0:3], 0 offset:36
	s_waitcnt vmcnt(2)
	ds_write_b64 v13, v[14:15]
.LBB5_41:
	s_or_b64 exec, exec, s[4:5]
	s_waitcnt lgkmcnt(0)
	; wave barrier
	buffer_load_dword v17, off, s[0:3], 0 offset:44
	buffer_load_dword v18, off, s[0:3], 0 offset:40
	buffer_load_dword v19, off, s[0:3], 0 offset:32
	buffer_load_dword v20, off, s[0:3], 0 offset:36
	v_mov_b32_e32 v14, 0
	ds_read_b64 v[15:16], v14 offset:88
	v_cmp_lt_u32_e32 vcc, 3, v0
	s_waitcnt vmcnt(3) lgkmcnt(0)
	v_mul_f32_e32 v21, v15, v17
	v_mul_f32_e32 v17, v16, v17
	s_waitcnt vmcnt(2)
	v_fma_f32 v15, v15, v18, -v17
	v_fmac_f32_e32 v21, v16, v18
	v_add_f32_e32 v15, 0, v15
	v_add_f32_e32 v16, 0, v21
	s_waitcnt vmcnt(1)
	v_sub_f32_e32 v15, v19, v15
	s_waitcnt vmcnt(0)
	v_sub_f32_e32 v16, v20, v16
	buffer_store_dword v15, off, s[0:3], 0 offset:32
	buffer_store_dword v16, off, s[0:3], 0 offset:36
	s_and_saveexec_b64 s[4:5], vcc
	s_cbranch_execz .LBB5_43
; %bb.42:
	buffer_load_dword v15, off, s[0:3], 0 offset:24
	buffer_load_dword v16, off, s[0:3], 0 offset:28
	s_waitcnt vmcnt(0)
	ds_write_b64 v13, v[15:16]
	buffer_store_dword v14, off, s[0:3], 0 offset:24
	buffer_store_dword v14, off, s[0:3], 0 offset:28
.LBB5_43:
	s_or_b64 exec, exec, s[4:5]
	s_waitcnt lgkmcnt(0)
	; wave barrier
	buffer_load_dword v18, off, s[0:3], 0 offset:36
	buffer_load_dword v19, off, s[0:3], 0 offset:44
	;; [unrolled: 1-line block ×6, first 2 shown]
	ds_read_b128 v[14:17], v14 offset:80
	v_cmp_lt_u32_e32 vcc, 2, v0
	s_waitcnt vmcnt(5) lgkmcnt(0)
	v_mul_f32_e32 v24, v14, v18
	v_mul_f32_e32 v18, v15, v18
	s_waitcnt vmcnt(4)
	v_mul_f32_e32 v25, v16, v19
	v_mul_f32_e32 v19, v17, v19
	s_waitcnt vmcnt(3)
	v_fma_f32 v14, v14, v20, -v18
	v_fmac_f32_e32 v24, v15, v20
	s_waitcnt vmcnt(2)
	v_fma_f32 v15, v16, v21, -v19
	v_add_f32_e32 v14, 0, v14
	v_fmac_f32_e32 v25, v17, v21
	v_add_f32_e32 v16, 0, v24
	v_add_f32_e32 v14, v14, v15
	v_add_f32_e32 v16, v16, v25
	s_waitcnt vmcnt(1)
	v_sub_f32_e32 v14, v22, v14
	s_waitcnt vmcnt(0)
	v_sub_f32_e32 v15, v23, v16
	buffer_store_dword v14, off, s[0:3], 0 offset:24
	buffer_store_dword v15, off, s[0:3], 0 offset:28
	s_and_saveexec_b64 s[4:5], vcc
	s_cbranch_execz .LBB5_45
; %bb.44:
	buffer_load_dword v14, off, s[0:3], 0 offset:16
	buffer_load_dword v15, off, s[0:3], 0 offset:20
	v_mov_b32_e32 v16, 0
	buffer_store_dword v16, off, s[0:3], 0 offset:16
	buffer_store_dword v16, off, s[0:3], 0 offset:20
	s_waitcnt vmcnt(2)
	ds_write_b64 v13, v[14:15]
.LBB5_45:
	s_or_b64 exec, exec, s[4:5]
	v_mov_b32_e32 v14, 0
	s_waitcnt lgkmcnt(0)
	; wave barrier
	ds_read2_b64 v[15:18], v14 offset0:9 offset1:10
	buffer_load_dword v21, off, s[0:3], 0 offset:16
	buffer_load_dword v22, off, s[0:3], 0 offset:20
	;; [unrolled: 1-line block ×8, first 2 shown]
	v_cmp_lt_u32_e32 vcc, 1, v0
	s_waitcnt vmcnt(4) lgkmcnt(0)
	v_mul_f32_e32 v19, v15, v24
	v_fmac_f32_e32 v19, v16, v23
	s_waitcnt vmcnt(2)
	v_mul_f32_e32 v20, v17, v26
	v_add_f32_e32 v19, 0, v19
	v_fmac_f32_e32 v20, v18, v25
	v_add_f32_e32 v29, v19, v20
	ds_read_b64 v[19:20], v14 offset:88
	v_mul_f32_e32 v16, v16, v24
	v_fma_f32 v15, v15, v23, -v16
	v_mul_f32_e32 v16, v18, v26
	v_add_f32_e32 v15, 0, v15
	v_fma_f32 v16, v17, v25, -v16
	v_add_f32_e32 v15, v15, v16
	s_waitcnt vmcnt(0) lgkmcnt(0)
	v_mul_f32_e32 v16, v20, v28
	v_mul_f32_e32 v30, v19, v28
	v_fma_f32 v16, v19, v27, -v16
	v_fmac_f32_e32 v30, v20, v27
	v_add_f32_e32 v15, v15, v16
	v_add_f32_e32 v29, v29, v30
	v_sub_f32_e32 v15, v21, v15
	v_sub_f32_e32 v16, v22, v29
	buffer_store_dword v15, off, s[0:3], 0 offset:16
	buffer_store_dword v16, off, s[0:3], 0 offset:20
	s_and_saveexec_b64 s[4:5], vcc
	s_cbranch_execz .LBB5_47
; %bb.46:
	buffer_load_dword v15, off, s[0:3], 0 offset:8
	buffer_load_dword v16, off, s[0:3], 0 offset:12
	s_waitcnt vmcnt(0)
	ds_write_b64 v13, v[15:16]
	buffer_store_dword v14, off, s[0:3], 0 offset:8
	buffer_store_dword v14, off, s[0:3], 0 offset:12
.LBB5_47:
	s_or_b64 exec, exec, s[4:5]
	s_waitcnt lgkmcnt(0)
	; wave barrier
	ds_read_b128 v[15:18], v14 offset:64
	ds_read_b128 v[19:22], v14 offset:80
	buffer_load_dword v14, off, s[0:3], 0 offset:8
	buffer_load_dword v23, off, s[0:3], 0 offset:12
	;; [unrolled: 1-line block ×10, first 2 shown]
	v_cmp_ne_u32_e32 vcc, 0, v0
	s_waitcnt vmcnt(6) lgkmcnt(1)
	v_mul_f32_e32 v32, v15, v25
	v_fmac_f32_e32 v32, v16, v24
	v_mul_f32_e32 v16, v16, v25
	v_fma_f32 v15, v15, v24, -v16
	s_waitcnt vmcnt(4)
	v_mul_f32_e32 v16, v18, v27
	v_mul_f32_e32 v33, v17, v27
	v_add_f32_e32 v15, 0, v15
	v_fma_f32 v16, v17, v26, -v16
	v_add_f32_e32 v32, 0, v32
	v_fmac_f32_e32 v33, v18, v26
	v_add_f32_e32 v15, v15, v16
	s_waitcnt vmcnt(2) lgkmcnt(0)
	v_mul_f32_e32 v16, v20, v29
	v_add_f32_e32 v32, v32, v33
	v_mul_f32_e32 v33, v19, v29
	v_fma_f32 v16, v19, v28, -v16
	v_fmac_f32_e32 v33, v20, v28
	v_add_f32_e32 v15, v15, v16
	s_waitcnt vmcnt(0)
	v_mul_f32_e32 v16, v22, v31
	v_add_f32_e32 v32, v32, v33
	v_mul_f32_e32 v33, v21, v31
	v_fma_f32 v16, v21, v30, -v16
	v_fmac_f32_e32 v33, v22, v30
	v_add_f32_e32 v15, v15, v16
	v_add_f32_e32 v32, v32, v33
	v_sub_f32_e32 v14, v14, v15
	v_sub_f32_e32 v15, v23, v32
	buffer_store_dword v14, off, s[0:3], 0 offset:8
	buffer_store_dword v15, off, s[0:3], 0 offset:12
	s_and_saveexec_b64 s[4:5], vcc
	s_cbranch_execz .LBB5_49
; %bb.48:
	buffer_load_dword v14, off, s[0:3], 0
	buffer_load_dword v15, off, s[0:3], 0 offset:4
	v_mov_b32_e32 v0, 0
	buffer_store_dword v0, off, s[0:3], 0
	buffer_store_dword v0, off, s[0:3], 0 offset:4
	s_waitcnt vmcnt(2)
	ds_write_b64 v13, v[14:15]
.LBB5_49:
	s_or_b64 exec, exec, s[4:5]
	s_waitcnt lgkmcnt(0)
	; wave barrier
	buffer_load_dword v25, off, s[0:3], 0 offset:12
	buffer_load_dword v26, off, s[0:3], 0 offset:20
	;; [unrolled: 1-line block ×10, first 2 shown]
	buffer_load_dword v33, off, s[0:3], 0
	buffer_load_dword v34, off, s[0:3], 0 offset:4
	v_mov_b32_e32 v14, 0
	ds_read2_b64 v[15:18], v14 offset0:7 offset1:8
	ds_read2_b64 v[19:22], v14 offset0:9 offset1:10
	ds_read_b64 v[23:24], v14 offset:88
	s_and_b64 vcc, exec, s[22:23]
	s_waitcnt vmcnt(11) lgkmcnt(2)
	v_mul_f32_e32 v35, v15, v25
	v_mul_f32_e32 v25, v16, v25
	s_waitcnt vmcnt(10)
	v_mul_f32_e32 v36, v17, v26
	s_waitcnt vmcnt(9)
	v_fma_f32 v15, v15, v27, -v25
	v_mul_f32_e32 v25, v18, v26
	v_fmac_f32_e32 v35, v16, v27
	s_waitcnt vmcnt(7)
	v_fmac_f32_e32 v36, v18, v29
	v_fma_f32 v17, v17, v29, -v25
	s_waitcnt vmcnt(6) lgkmcnt(1)
	v_mul_f32_e32 v18, v21, v0
	v_mul_f32_e32 v26, v20, v28
	v_add_f32_e32 v15, 0, v15
	v_mul_f32_e32 v16, v19, v28
	v_mul_f32_e32 v27, v22, v0
	s_waitcnt vmcnt(3)
	v_fmac_f32_e32 v18, v22, v13
	v_fma_f32 v19, v19, v31, -v26
	v_add_f32_e32 v22, 0, v35
	v_add_f32_e32 v15, v15, v17
	s_waitcnt lgkmcnt(0)
	v_mul_f32_e32 v28, v24, v30
	v_fmac_f32_e32 v16, v20, v31
	v_fma_f32 v20, v21, v13, -v27
	v_add_f32_e32 v22, v22, v36
	v_add_f32_e32 v15, v15, v19
	v_mul_f32_e32 v25, v23, v30
	s_waitcnt vmcnt(2)
	v_fma_f32 v21, v23, v32, -v28
	v_add_f32_e32 v16, v22, v16
	v_add_f32_e32 v15, v15, v20
	v_fmac_f32_e32 v25, v24, v32
	v_add_f32_e32 v16, v16, v18
	v_add_f32_e32 v15, v15, v21
	;; [unrolled: 1-line block ×3, first 2 shown]
	s_waitcnt vmcnt(1)
	v_sub_f32_e32 v15, v33, v15
	s_waitcnt vmcnt(0)
	v_sub_f32_e32 v16, v34, v16
	buffer_store_dword v15, off, s[0:3], 0
	buffer_store_dword v16, off, s[0:3], 0 offset:4
	s_cbranch_vccz .LBB5_60
; %bb.50:
	global_load_dword v14, v14, s[20:21] offset:16
	s_waitcnt vmcnt(0)
	v_add_u32_e32 v14, -1, v14
	v_cmp_ne_u32_e32 vcc, 4, v14
	s_cbranch_vccz .LBB5_52
; %bb.51:
	v_lshlrev_b32_e32 v14, 3, v14
	buffer_load_dword v15, v14, s[0:3], 0 offen offset:4
	buffer_load_dword v16, v14, s[0:3], 0 offen
	s_waitcnt vmcnt(1)
	buffer_store_dword v15, off, s[0:3], 0 offset:36
	s_waitcnt vmcnt(1)
	buffer_store_dword v16, off, s[0:3], 0 offset:32
	buffer_store_dword v0, v14, s[0:3], 0 offen offset:4
	buffer_store_dword v13, v14, s[0:3], 0 offen
.LBB5_52:
	v_mov_b32_e32 v0, 0
	global_load_dword v13, v0, s[20:21] offset:12
	s_waitcnt vmcnt(0)
	v_add_u32_e32 v13, -1, v13
	v_cmp_eq_u32_e32 vcc, 3, v13
	s_cbranch_vccnz .LBB5_54
; %bb.53:
	v_lshlrev_b32_e32 v13, 3, v13
	buffer_load_dword v14, v13, s[0:3], 0 offen
	buffer_load_dword v15, v13, s[0:3], 0 offen offset:4
	buffer_load_dword v16, off, s[0:3], 0 offset:24
	buffer_load_dword v17, off, s[0:3], 0 offset:28
	s_waitcnt vmcnt(3)
	buffer_store_dword v14, off, s[0:3], 0 offset:24
	s_waitcnt vmcnt(3)
	buffer_store_dword v15, off, s[0:3], 0 offset:28
	s_waitcnt vmcnt(3)
	buffer_store_dword v16, v13, s[0:3], 0 offen
	s_waitcnt vmcnt(3)
	buffer_store_dword v17, v13, s[0:3], 0 offen offset:4
.LBB5_54:
	global_load_dword v0, v0, s[20:21] offset:8
	s_waitcnt vmcnt(0)
	v_add_u32_e32 v0, -1, v0
	v_cmp_eq_u32_e32 vcc, 2, v0
	s_cbranch_vccnz .LBB5_56
; %bb.55:
	v_lshlrev_b32_e32 v0, 3, v0
	buffer_load_dword v13, v0, s[0:3], 0 offen
	buffer_load_dword v14, v0, s[0:3], 0 offen offset:4
	buffer_load_dword v15, off, s[0:3], 0 offset:20
	buffer_load_dword v16, off, s[0:3], 0 offset:16
	s_waitcnt vmcnt(3)
	buffer_store_dword v13, off, s[0:3], 0 offset:16
	s_waitcnt vmcnt(3)
	buffer_store_dword v14, off, s[0:3], 0 offset:20
	s_waitcnt vmcnt(3)
	buffer_store_dword v15, v0, s[0:3], 0 offen offset:4
	s_waitcnt vmcnt(3)
	buffer_store_dword v16, v0, s[0:3], 0 offen
.LBB5_56:
	v_mov_b32_e32 v0, 0
	global_load_dword v13, v0, s[20:21] offset:4
	s_waitcnt vmcnt(0)
	v_add_u32_e32 v13, -1, v13
	v_cmp_eq_u32_e32 vcc, 1, v13
	s_cbranch_vccnz .LBB5_58
; %bb.57:
	v_lshlrev_b32_e32 v13, 3, v13
	buffer_load_dword v14, v13, s[0:3], 0 offen
	buffer_load_dword v15, v13, s[0:3], 0 offen offset:4
	buffer_load_dword v16, off, s[0:3], 0 offset:8
	buffer_load_dword v17, off, s[0:3], 0 offset:12
	s_waitcnt vmcnt(3)
	buffer_store_dword v14, off, s[0:3], 0 offset:8
	s_waitcnt vmcnt(3)
	buffer_store_dword v15, off, s[0:3], 0 offset:12
	s_waitcnt vmcnt(3)
	buffer_store_dword v16, v13, s[0:3], 0 offen
	s_waitcnt vmcnt(3)
	buffer_store_dword v17, v13, s[0:3], 0 offen offset:4
.LBB5_58:
	global_load_dword v0, v0, s[20:21]
	s_waitcnt vmcnt(0)
	v_add_u32_e32 v0, -1, v0
	v_cmp_eq_u32_e32 vcc, 0, v0
	s_cbranch_vccnz .LBB5_60
; %bb.59:
	v_lshlrev_b32_e32 v0, 3, v0
	buffer_load_dword v13, v0, s[0:3], 0 offen
	buffer_load_dword v14, v0, s[0:3], 0 offen offset:4
	buffer_load_dword v15, off, s[0:3], 0 offset:4
	buffer_load_dword v16, off, s[0:3], 0
	s_waitcnt vmcnt(3)
	buffer_store_dword v13, off, s[0:3], 0
	s_waitcnt vmcnt(3)
	buffer_store_dword v14, off, s[0:3], 0 offset:4
	s_waitcnt vmcnt(3)
	buffer_store_dword v15, v0, s[0:3], 0 offen offset:4
	s_waitcnt vmcnt(3)
	buffer_store_dword v16, v0, s[0:3], 0 offen
.LBB5_60:
	buffer_load_dword v13, off, s[0:3], 0
	buffer_load_dword v14, off, s[0:3], 0 offset:4
	buffer_load_dword v15, off, s[0:3], 0 offset:8
	s_nop 0
	buffer_load_dword v16, off, s[0:3], 0 offset:12
	buffer_load_dword v17, off, s[0:3], 0 offset:16
	;; [unrolled: 1-line block ×9, first 2 shown]
	s_waitcnt vmcnt(10)
	global_store_dwordx2 v[1:2], v[13:14], off
	s_waitcnt vmcnt(9)
	global_store_dwordx2 v[3:4], v[15:16], off
	s_waitcnt vmcnt(8)
	global_store_dwordx2 v[5:6], v[17:18], off
	s_waitcnt vmcnt(7)
	global_store_dwordx2 v[7:8], v[19:20], off
	s_waitcnt vmcnt(6)
	global_store_dwordx2 v[9:10], v[21:22], off
	s_waitcnt vmcnt(5)
	global_store_dwordx2 v[11:12], v[23:24], off
	s_endpgm
	.section	.rodata,"a",@progbits
	.p2align	6, 0x0
	.amdhsa_kernel _ZN9rocsolver6v33100L18getri_kernel_smallILi6E19rocblas_complex_numIfEPS3_EEvT1_iilPiilS6_bb
		.amdhsa_group_segment_fixed_size 100
		.amdhsa_private_segment_fixed_size 64
		.amdhsa_kernarg_size 60
		.amdhsa_user_sgpr_count 6
		.amdhsa_user_sgpr_private_segment_buffer 1
		.amdhsa_user_sgpr_dispatch_ptr 0
		.amdhsa_user_sgpr_queue_ptr 0
		.amdhsa_user_sgpr_kernarg_segment_ptr 1
		.amdhsa_user_sgpr_dispatch_id 0
		.amdhsa_user_sgpr_flat_scratch_init 0
		.amdhsa_user_sgpr_private_segment_size 0
		.amdhsa_uses_dynamic_stack 0
		.amdhsa_system_sgpr_private_segment_wavefront_offset 1
		.amdhsa_system_sgpr_workgroup_id_x 1
		.amdhsa_system_sgpr_workgroup_id_y 0
		.amdhsa_system_sgpr_workgroup_id_z 0
		.amdhsa_system_sgpr_workgroup_info 0
		.amdhsa_system_vgpr_workitem_id 0
		.amdhsa_next_free_vgpr 37
		.amdhsa_next_free_sgpr 24
		.amdhsa_reserve_vcc 1
		.amdhsa_reserve_flat_scratch 0
		.amdhsa_float_round_mode_32 0
		.amdhsa_float_round_mode_16_64 0
		.amdhsa_float_denorm_mode_32 3
		.amdhsa_float_denorm_mode_16_64 3
		.amdhsa_dx10_clamp 1
		.amdhsa_ieee_mode 1
		.amdhsa_fp16_overflow 0
		.amdhsa_exception_fp_ieee_invalid_op 0
		.amdhsa_exception_fp_denorm_src 0
		.amdhsa_exception_fp_ieee_div_zero 0
		.amdhsa_exception_fp_ieee_overflow 0
		.amdhsa_exception_fp_ieee_underflow 0
		.amdhsa_exception_fp_ieee_inexact 0
		.amdhsa_exception_int_div_zero 0
	.end_amdhsa_kernel
	.section	.text._ZN9rocsolver6v33100L18getri_kernel_smallILi6E19rocblas_complex_numIfEPS3_EEvT1_iilPiilS6_bb,"axG",@progbits,_ZN9rocsolver6v33100L18getri_kernel_smallILi6E19rocblas_complex_numIfEPS3_EEvT1_iilPiilS6_bb,comdat
.Lfunc_end5:
	.size	_ZN9rocsolver6v33100L18getri_kernel_smallILi6E19rocblas_complex_numIfEPS3_EEvT1_iilPiilS6_bb, .Lfunc_end5-_ZN9rocsolver6v33100L18getri_kernel_smallILi6E19rocblas_complex_numIfEPS3_EEvT1_iilPiilS6_bb
                                        ; -- End function
	.set _ZN9rocsolver6v33100L18getri_kernel_smallILi6E19rocblas_complex_numIfEPS3_EEvT1_iilPiilS6_bb.num_vgpr, 37
	.set _ZN9rocsolver6v33100L18getri_kernel_smallILi6E19rocblas_complex_numIfEPS3_EEvT1_iilPiilS6_bb.num_agpr, 0
	.set _ZN9rocsolver6v33100L18getri_kernel_smallILi6E19rocblas_complex_numIfEPS3_EEvT1_iilPiilS6_bb.numbered_sgpr, 24
	.set _ZN9rocsolver6v33100L18getri_kernel_smallILi6E19rocblas_complex_numIfEPS3_EEvT1_iilPiilS6_bb.num_named_barrier, 0
	.set _ZN9rocsolver6v33100L18getri_kernel_smallILi6E19rocblas_complex_numIfEPS3_EEvT1_iilPiilS6_bb.private_seg_size, 64
	.set _ZN9rocsolver6v33100L18getri_kernel_smallILi6E19rocblas_complex_numIfEPS3_EEvT1_iilPiilS6_bb.uses_vcc, 1
	.set _ZN9rocsolver6v33100L18getri_kernel_smallILi6E19rocblas_complex_numIfEPS3_EEvT1_iilPiilS6_bb.uses_flat_scratch, 0
	.set _ZN9rocsolver6v33100L18getri_kernel_smallILi6E19rocblas_complex_numIfEPS3_EEvT1_iilPiilS6_bb.has_dyn_sized_stack, 0
	.set _ZN9rocsolver6v33100L18getri_kernel_smallILi6E19rocblas_complex_numIfEPS3_EEvT1_iilPiilS6_bb.has_recursion, 0
	.set _ZN9rocsolver6v33100L18getri_kernel_smallILi6E19rocblas_complex_numIfEPS3_EEvT1_iilPiilS6_bb.has_indirect_call, 0
	.section	.AMDGPU.csdata,"",@progbits
; Kernel info:
; codeLenInByte = 4412
; TotalNumSgprs: 28
; NumVgprs: 37
; ScratchSize: 64
; MemoryBound: 0
; FloatMode: 240
; IeeeMode: 1
; LDSByteSize: 100 bytes/workgroup (compile time only)
; SGPRBlocks: 3
; VGPRBlocks: 9
; NumSGPRsForWavesPerEU: 28
; NumVGPRsForWavesPerEU: 37
; Occupancy: 6
; WaveLimiterHint : 0
; COMPUTE_PGM_RSRC2:SCRATCH_EN: 1
; COMPUTE_PGM_RSRC2:USER_SGPR: 6
; COMPUTE_PGM_RSRC2:TRAP_HANDLER: 0
; COMPUTE_PGM_RSRC2:TGID_X_EN: 1
; COMPUTE_PGM_RSRC2:TGID_Y_EN: 0
; COMPUTE_PGM_RSRC2:TGID_Z_EN: 0
; COMPUTE_PGM_RSRC2:TIDIG_COMP_CNT: 0
	.section	.text._ZN9rocsolver6v33100L18getri_kernel_smallILi7E19rocblas_complex_numIfEPS3_EEvT1_iilPiilS6_bb,"axG",@progbits,_ZN9rocsolver6v33100L18getri_kernel_smallILi7E19rocblas_complex_numIfEPS3_EEvT1_iilPiilS6_bb,comdat
	.globl	_ZN9rocsolver6v33100L18getri_kernel_smallILi7E19rocblas_complex_numIfEPS3_EEvT1_iilPiilS6_bb ; -- Begin function _ZN9rocsolver6v33100L18getri_kernel_smallILi7E19rocblas_complex_numIfEPS3_EEvT1_iilPiilS6_bb
	.p2align	8
	.type	_ZN9rocsolver6v33100L18getri_kernel_smallILi7E19rocblas_complex_numIfEPS3_EEvT1_iilPiilS6_bb,@function
_ZN9rocsolver6v33100L18getri_kernel_smallILi7E19rocblas_complex_numIfEPS3_EEvT1_iilPiilS6_bb: ; @_ZN9rocsolver6v33100L18getri_kernel_smallILi7E19rocblas_complex_numIfEPS3_EEvT1_iilPiilS6_bb
; %bb.0:
	s_add_u32 s0, s0, s7
	s_addc_u32 s1, s1, 0
	v_cmp_gt_u32_e32 vcc, 7, v0
	s_and_saveexec_b64 s[8:9], vcc
	s_cbranch_execz .LBB6_42
; %bb.1:
	s_load_dword s12, s[4:5], 0x38
	s_load_dwordx4 s[16:19], s[4:5], 0x10
	s_load_dwordx4 s[8:11], s[4:5], 0x28
                                        ; implicit-def: $sgpr20_sgpr21
	s_waitcnt lgkmcnt(0)
	s_bitcmp1_b32 s12, 8
	s_cselect_b64 s[22:23], -1, 0
	s_ashr_i32 s7, s6, 31
	s_bfe_u32 s12, s12, 0x10008
	s_cmp_eq_u32 s12, 0
	s_cbranch_scc1 .LBB6_3
; %bb.2:
	s_load_dword s12, s[4:5], 0x20
	s_mul_i32 s13, s8, s7
	s_mul_hi_u32 s14, s8, s6
	s_mul_i32 s9, s9, s6
	s_add_i32 s14, s14, s13
	s_add_i32 s9, s14, s9
	s_mul_i32 s8, s8, s6
	s_waitcnt lgkmcnt(0)
	s_ashr_i32 s13, s12, 31
	s_lshl_b64 s[8:9], s[8:9], 2
	s_add_u32 s14, s18, s8
	s_addc_u32 s15, s19, s9
	s_lshl_b64 s[8:9], s[12:13], 2
	s_add_u32 s20, s14, s8
	s_addc_u32 s21, s15, s9
.LBB6_3:
	s_load_dwordx4 s[12:15], s[4:5], 0x0
	s_load_dword s18, s[4:5], 0x38
	s_mul_i32 s8, s16, s7
	s_mul_hi_u32 s9, s16, s6
	s_add_i32 s8, s9, s8
	s_mul_i32 s9, s17, s6
	s_add_i32 s9, s8, s9
	s_mul_i32 s8, s16, s6
	s_waitcnt lgkmcnt(0)
	s_ashr_i32 s5, s14, 31
	s_lshl_b64 s[8:9], s[8:9], 3
	s_mov_b32 s4, s14
	s_add_u32 s8, s12, s8
	s_addc_u32 s9, s13, s9
	s_lshl_b64 s[4:5], s[4:5], 3
	s_add_u32 s4, s8, s4
	s_addc_u32 s5, s9, s5
	s_add_i32 s12, s15, s15
	v_add_u32_e32 v3, s12, v0
	v_lshlrev_b32_e32 v17, 3, v0
	v_ashrrev_i32_e32 v4, 31, v3
	v_mov_b32_e32 v2, s5
	v_add_co_u32_e32 v1, vcc, s4, v17
	v_add_u32_e32 v5, s15, v3
	v_lshlrev_b64 v[3:4], 3, v[3:4]
	v_addc_co_u32_e32 v2, vcc, 0, v2, vcc
	v_ashrrev_i32_e32 v6, 31, v5
	v_mov_b32_e32 v9, s5
	v_add_u32_e32 v7, s15, v5
	v_lshlrev_b64 v[5:6], 3, v[5:6]
	v_add_co_u32_e32 v3, vcc, s4, v3
	v_ashrrev_i32_e32 v8, 31, v7
	v_addc_co_u32_e32 v4, vcc, v9, v4, vcc
	v_mov_b32_e32 v10, s5
	v_add_u32_e32 v11, s15, v7
	v_lshlrev_b64 v[7:8], 3, v[7:8]
	v_add_co_u32_e32 v9, vcc, s4, v5
	v_addc_co_u32_e32 v10, vcc, v10, v6, vcc
	v_mov_b32_e32 v13, s5
	v_ashrrev_i32_e32 v12, 31, v11
	v_add_co_u32_e32 v5, vcc, s4, v7
	v_addc_co_u32_e32 v6, vcc, v13, v8, vcc
	v_lshlrev_b64 v[7:8], 3, v[11:12]
	s_mov_b32 s8, s15
	s_ashr_i32 s9, s15, 31
	v_mov_b32_e32 v14, s5
	v_add_co_u32_e32 v7, vcc, s4, v7
	s_lshl_b64 s[8:9], s[8:9], 3
	v_addc_co_u32_e32 v8, vcc, v14, v8, vcc
	v_mov_b32_e32 v12, s9
	v_add_u32_e32 v13, s15, v11
	v_add_co_u32_e32 v11, vcc, s8, v1
	v_addc_co_u32_e32 v12, vcc, v2, v12, vcc
	global_load_dwordx2 v[15:16], v17, s[4:5]
	global_load_dwordx2 v[18:19], v[11:12], off
	global_load_dwordx2 v[20:21], v[3:4], off
	;; [unrolled: 1-line block ×5, first 2 shown]
	v_ashrrev_i32_e32 v14, 31, v13
	v_lshlrev_b64 v[13:14], 3, v[13:14]
	v_mov_b32_e32 v28, s5
	v_add_co_u32_e32 v13, vcc, s4, v13
	v_addc_co_u32_e32 v14, vcc, v28, v14, vcc
	global_load_dwordx2 v[28:29], v[13:14], off
	s_bitcmp0_b32 s18, 0
	s_mov_b64 s[8:9], -1
	s_waitcnt vmcnt(6)
	buffer_store_dword v16, off, s[0:3], 0 offset:4
	buffer_store_dword v15, off, s[0:3], 0
	s_waitcnt vmcnt(7)
	buffer_store_dword v19, off, s[0:3], 0 offset:12
	buffer_store_dword v18, off, s[0:3], 0 offset:8
	s_waitcnt vmcnt(8)
	buffer_store_dword v21, off, s[0:3], 0 offset:20
	buffer_store_dword v20, off, s[0:3], 0 offset:16
	;; [unrolled: 3-line block ×6, first 2 shown]
	s_cbranch_scc1 .LBB6_40
; %bb.4:
	v_cmp_eq_u32_e64 s[4:5], 0, v0
	s_and_saveexec_b64 s[8:9], s[4:5]
; %bb.5:
	v_mov_b32_e32 v15, 0
	ds_write_b32 v15, v15 offset:56
; %bb.6:
	s_or_b64 exec, exec, s[8:9]
	v_mov_b32_e32 v15, 0
	v_lshl_add_u32 v19, v0, 3, v15
	s_waitcnt lgkmcnt(0)
	; wave barrier
	buffer_load_dword v15, v19, s[0:3], 0 offen
	buffer_load_dword v16, v19, s[0:3], 0 offen offset:4
	s_waitcnt vmcnt(1)
	v_cmp_eq_f32_e32 vcc, 0, v15
	s_waitcnt vmcnt(0)
	v_cmp_eq_f32_e64 s[8:9], 0, v16
	s_and_b64 s[8:9], vcc, s[8:9]
	s_and_saveexec_b64 s[12:13], s[8:9]
	s_cbranch_execz .LBB6_10
; %bb.7:
	v_mov_b32_e32 v15, 0
	ds_read_b32 v18, v15 offset:56
	v_add_u32_e32 v16, 1, v0
	s_waitcnt lgkmcnt(0)
	v_readfirstlane_b32 s8, v18
	s_cmp_eq_u32 s8, 0
	s_cselect_b64 s[14:15], -1, 0
	v_cmp_gt_i32_e32 vcc, s8, v16
	s_or_b64 s[14:15], s[14:15], vcc
	s_and_b64 exec, exec, s[14:15]
	s_cbranch_execz .LBB6_10
; %bb.8:
	s_mov_b64 s[14:15], 0
	v_mov_b32_e32 v18, s8
.LBB6_9:                                ; =>This Inner Loop Header: Depth=1
	ds_cmpst_rtn_b32 v18, v15, v18, v16 offset:56
	s_waitcnt lgkmcnt(0)
	v_cmp_ne_u32_e32 vcc, 0, v18
	v_cmp_le_i32_e64 s[8:9], v18, v16
	s_and_b64 s[8:9], vcc, s[8:9]
	s_and_b64 s[8:9], exec, s[8:9]
	s_or_b64 s[14:15], s[8:9], s[14:15]
	s_andn2_b64 exec, exec, s[14:15]
	s_cbranch_execnz .LBB6_9
.LBB6_10:
	s_or_b64 exec, exec, s[12:13]
	v_mov_b32_e32 v16, 0
	; wave barrier
	ds_read_b32 v15, v16 offset:56
	s_and_saveexec_b64 s[8:9], s[4:5]
	s_cbranch_execz .LBB6_12
; %bb.11:
	s_lshl_b64 s[12:13], s[6:7], 2
	s_add_u32 s12, s10, s12
	s_addc_u32 s13, s11, s13
	s_waitcnt lgkmcnt(0)
	global_store_dword v16, v15, s[12:13]
.LBB6_12:
	s_or_b64 exec, exec, s[8:9]
	s_waitcnt lgkmcnt(0)
	v_cmp_ne_u32_e32 vcc, 0, v15
	s_mov_b64 s[8:9], 0
	s_cbranch_vccnz .LBB6_40
; %bb.13:
	buffer_load_dword v16, v19, s[0:3], 0 offen
	buffer_load_dword v18, v19, s[0:3], 0 offen offset:4
                                        ; implicit-def: $vgpr21
                                        ; implicit-def: $vgpr20
                                        ; implicit-def: $vgpr15
	s_waitcnt vmcnt(0)
	v_cmp_ngt_f32_e64 s[8:9], |v16|, |v18|
	s_and_saveexec_b64 s[12:13], s[8:9]
	s_xor_b64 s[8:9], exec, s[12:13]
	s_cbranch_execz .LBB6_15
; %bb.14:
	v_div_scale_f32 v15, s[12:13], v18, v18, v16
	v_div_scale_f32 v20, vcc, v16, v18, v16
	v_rcp_f32_e32 v21, v15
	v_fma_f32 v22, -v15, v21, 1.0
	v_fmac_f32_e32 v21, v22, v21
	v_mul_f32_e32 v22, v20, v21
	v_fma_f32 v23, -v15, v22, v20
	v_fmac_f32_e32 v22, v23, v21
	v_fma_f32 v15, -v15, v22, v20
	v_div_fmas_f32 v15, v15, v21, v22
	v_div_fixup_f32 v15, v15, v18, v16
	v_fmac_f32_e32 v18, v16, v15
	v_div_scale_f32 v16, s[12:13], v18, v18, 1.0
	v_div_scale_f32 v20, vcc, 1.0, v18, 1.0
	v_rcp_f32_e32 v21, v16
	v_fma_f32 v22, -v16, v21, 1.0
	v_fmac_f32_e32 v21, v22, v21
	v_mul_f32_e32 v22, v20, v21
	v_fma_f32 v23, -v16, v22, v20
	v_fmac_f32_e32 v22, v23, v21
	v_fma_f32 v16, -v16, v22, v20
	v_div_fmas_f32 v16, v16, v21, v22
	v_div_fixup_f32 v16, v16, v18, 1.0
	v_mul_f32_e32 v21, v15, v16
	v_xor_b32_e32 v20, 0x80000000, v16
	v_xor_b32_e32 v15, 0x80000000, v21
                                        ; implicit-def: $vgpr16
                                        ; implicit-def: $vgpr18
.LBB6_15:
	s_andn2_saveexec_b64 s[8:9], s[8:9]
	s_cbranch_execz .LBB6_17
; %bb.16:
	v_div_scale_f32 v15, s[12:13], v16, v16, v18
	v_div_scale_f32 v20, vcc, v18, v16, v18
	v_rcp_f32_e32 v21, v15
	v_fma_f32 v22, -v15, v21, 1.0
	v_fmac_f32_e32 v21, v22, v21
	v_mul_f32_e32 v22, v20, v21
	v_fma_f32 v23, -v15, v22, v20
	v_fmac_f32_e32 v22, v23, v21
	v_fma_f32 v15, -v15, v22, v20
	v_div_fmas_f32 v15, v15, v21, v22
	v_div_fixup_f32 v20, v15, v16, v18
	v_fmac_f32_e32 v16, v18, v20
	v_div_scale_f32 v15, s[12:13], v16, v16, 1.0
	v_div_scale_f32 v18, vcc, 1.0, v16, 1.0
	v_rcp_f32_e32 v21, v15
	v_fma_f32 v22, -v15, v21, 1.0
	v_fmac_f32_e32 v21, v22, v21
	v_mul_f32_e32 v22, v18, v21
	v_fma_f32 v23, -v15, v22, v18
	v_fmac_f32_e32 v22, v23, v21
	v_fma_f32 v15, -v15, v22, v18
	v_div_fmas_f32 v15, v15, v21, v22
	v_div_fixup_f32 v21, v15, v16, 1.0
	v_xor_b32_e32 v15, 0x80000000, v21
	v_mul_f32_e64 v20, v20, -v21
.LBB6_17:
	s_or_b64 exec, exec, s[8:9]
	buffer_store_dword v21, v19, s[0:3], 0 offen
	buffer_store_dword v20, v19, s[0:3], 0 offen offset:4
	buffer_load_dword v22, off, s[0:3], 0 offset:12
	s_nop 0
	buffer_load_dword v21, off, s[0:3], 0 offset:8
	v_xor_b32_e32 v16, 0x80000000, v20
	v_add_u32_e32 v18, 64, v17
	s_waitcnt vmcnt(0)
	ds_write2_b64 v17, v[15:16], v[21:22] offset1:8
	s_waitcnt lgkmcnt(0)
	; wave barrier
	s_and_saveexec_b64 s[8:9], s[4:5]
	s_cbranch_execz .LBB6_19
; %bb.18:
	buffer_load_dword v20, v19, s[0:3], 0 offen
	buffer_load_dword v21, v19, s[0:3], 0 offen offset:4
	ds_read_b64 v[15:16], v18
	s_waitcnt vmcnt(0) lgkmcnt(0)
	v_mul_f32_e32 v22, v16, v21
	v_fma_f32 v22, v15, v20, -v22
	v_mul_f32_e32 v15, v15, v21
	v_fmac_f32_e32 v15, v16, v20
	v_add_f32_e32 v21, 0, v15
	v_mov_b32_e32 v15, 0
	ds_read_b64 v[15:16], v15 offset:8
	v_add_f32_e32 v20, 0, v22
	s_waitcnt lgkmcnt(0)
	v_mul_f32_e32 v22, v21, v16
	v_fma_f32 v22, v20, v15, -v22
	v_mul_f32_e32 v16, v20, v16
	v_fmac_f32_e32 v16, v21, v15
	buffer_store_dword v22, off, s[0:3], 0 offset:8
	buffer_store_dword v16, off, s[0:3], 0 offset:12
.LBB6_19:
	s_or_b64 exec, exec, s[8:9]
	; wave barrier
	buffer_load_dword v15, off, s[0:3], 0 offset:16
	buffer_load_dword v16, off, s[0:3], 0 offset:20
	v_cmp_gt_u32_e32 vcc, 2, v0
	s_waitcnt vmcnt(0)
	ds_write_b64 v18, v[15:16]
	s_waitcnt lgkmcnt(0)
	; wave barrier
	s_and_saveexec_b64 s[8:9], vcc
	s_cbranch_execz .LBB6_23
; %bb.20:
	buffer_load_dword v20, v19, s[0:3], 0 offen offset:4
	buffer_load_dword v21, v19, s[0:3], 0 offen
	ds_read_b64 v[15:16], v18
	s_waitcnt vmcnt(1) lgkmcnt(0)
	v_mul_f32_e32 v19, v16, v20
	v_mul_f32_e32 v20, v15, v20
	s_waitcnt vmcnt(0)
	v_fma_f32 v15, v15, v21, -v19
	v_fmac_f32_e32 v20, v16, v21
	v_add_f32_e32 v16, 0, v15
	v_add_f32_e32 v15, 0, v20
	s_and_saveexec_b64 s[12:13], s[4:5]
	s_cbranch_execz .LBB6_22
; %bb.21:
	v_mov_b32_e32 v19, 0
	ds_read_b64 v[19:20], v19 offset:72
	buffer_load_dword v21, off, s[0:3], 0 offset:8
	buffer_load_dword v22, off, s[0:3], 0 offset:12
	s_waitcnt vmcnt(0) lgkmcnt(0)
	v_mul_f32_e32 v23, v19, v22
	v_fmac_f32_e32 v23, v20, v21
	v_mul_f32_e32 v20, v20, v22
	v_fma_f32 v19, v19, v21, -v20
	v_add_f32_e32 v15, v15, v23
	v_add_f32_e32 v16, v16, v19
.LBB6_22:
	s_or_b64 exec, exec, s[12:13]
	v_mov_b32_e32 v19, 0
	ds_read_b64 v[19:20], v19 offset:16
	s_waitcnt lgkmcnt(0)
	v_mul_f32_e32 v21, v15, v20
	v_mul_f32_e32 v20, v16, v20
	v_fma_f32 v16, v16, v19, -v21
	v_fmac_f32_e32 v20, v15, v19
	buffer_store_dword v16, off, s[0:3], 0 offset:16
	buffer_store_dword v20, off, s[0:3], 0 offset:20
.LBB6_23:
	s_or_b64 exec, exec, s[8:9]
	; wave barrier
	buffer_load_dword v15, off, s[0:3], 0 offset:24
	buffer_load_dword v16, off, s[0:3], 0 offset:28
	v_cmp_gt_u32_e32 vcc, 3, v0
	s_waitcnt vmcnt(0)
	ds_write_b64 v18, v[15:16]
	v_add_u32_e32 v15, -1, v0
	s_waitcnt lgkmcnt(0)
	; wave barrier
	s_and_saveexec_b64 s[4:5], vcc
	s_cbranch_execz .LBB6_27
; %bb.24:
	v_add_u32_e32 v19, -1, v0
	v_add_u32_e32 v20, 64, v17
	v_mov_b32_e32 v21, v17
	v_mov_b32_e32 v16, 0
	s_mov_b64 s[8:9], 0
	v_mov_b32_e32 v22, 0
.LBB6_25:                               ; =>This Inner Loop Header: Depth=1
	buffer_load_dword v25, v21, s[0:3], 0 offen offset:4
	buffer_load_dword v26, v21, s[0:3], 0 offen
	ds_read_b64 v[23:24], v20
	v_add_u32_e32 v19, 1, v19
	v_cmp_lt_u32_e32 vcc, 1, v19
	v_add_u32_e32 v20, 8, v20
	v_add_u32_e32 v21, 8, v21
	s_or_b64 s[8:9], vcc, s[8:9]
	s_waitcnt vmcnt(1) lgkmcnt(0)
	v_mul_f32_e32 v27, v24, v25
	v_mul_f32_e32 v25, v23, v25
	s_waitcnt vmcnt(0)
	v_fma_f32 v23, v23, v26, -v27
	v_fmac_f32_e32 v25, v24, v26
	v_add_f32_e32 v22, v22, v23
	v_add_f32_e32 v16, v16, v25
	s_andn2_b64 exec, exec, s[8:9]
	s_cbranch_execnz .LBB6_25
; %bb.26:
	s_or_b64 exec, exec, s[8:9]
	v_mov_b32_e32 v19, 0
	ds_read_b64 v[19:20], v19 offset:24
	s_waitcnt lgkmcnt(0)
	v_mul_f32_e32 v21, v16, v20
	v_mul_f32_e32 v20, v22, v20
	v_fma_f32 v21, v22, v19, -v21
	v_fmac_f32_e32 v20, v16, v19
	buffer_store_dword v21, off, s[0:3], 0 offset:24
	buffer_store_dword v20, off, s[0:3], 0 offset:28
.LBB6_27:
	s_or_b64 exec, exec, s[4:5]
	; wave barrier
	buffer_load_dword v19, off, s[0:3], 0 offset:32
	buffer_load_dword v20, off, s[0:3], 0 offset:36
	v_cmp_gt_u32_e32 vcc, 4, v0
	s_waitcnt vmcnt(0)
	ds_write_b64 v18, v[19:20]
	s_waitcnt lgkmcnt(0)
	; wave barrier
	s_and_saveexec_b64 s[4:5], vcc
	s_cbranch_execz .LBB6_31
; %bb.28:
	v_add_u32_e32 v19, -1, v0
	v_add_u32_e32 v20, 64, v17
	v_mov_b32_e32 v21, v17
	v_mov_b32_e32 v16, 0
	s_mov_b64 s[8:9], 0
	v_mov_b32_e32 v22, 0
.LBB6_29:                               ; =>This Inner Loop Header: Depth=1
	buffer_load_dword v25, v21, s[0:3], 0 offen offset:4
	buffer_load_dword v26, v21, s[0:3], 0 offen
	ds_read_b64 v[23:24], v20
	v_add_u32_e32 v19, 1, v19
	v_cmp_lt_u32_e32 vcc, 2, v19
	v_add_u32_e32 v20, 8, v20
	v_add_u32_e32 v21, 8, v21
	s_or_b64 s[8:9], vcc, s[8:9]
	s_waitcnt vmcnt(1) lgkmcnt(0)
	v_mul_f32_e32 v27, v24, v25
	v_mul_f32_e32 v25, v23, v25
	s_waitcnt vmcnt(0)
	v_fma_f32 v23, v23, v26, -v27
	v_fmac_f32_e32 v25, v24, v26
	v_add_f32_e32 v22, v22, v23
	v_add_f32_e32 v16, v16, v25
	s_andn2_b64 exec, exec, s[8:9]
	s_cbranch_execnz .LBB6_29
; %bb.30:
	s_or_b64 exec, exec, s[8:9]
	v_mov_b32_e32 v19, 0
	ds_read_b64 v[19:20], v19 offset:32
	s_waitcnt lgkmcnt(0)
	v_mul_f32_e32 v21, v16, v20
	v_mul_f32_e32 v20, v22, v20
	v_fma_f32 v21, v22, v19, -v21
	v_fmac_f32_e32 v20, v16, v19
	buffer_store_dword v21, off, s[0:3], 0 offset:32
	buffer_store_dword v20, off, s[0:3], 0 offset:36
.LBB6_31:
	s_or_b64 exec, exec, s[4:5]
	; wave barrier
	buffer_load_dword v19, off, s[0:3], 0 offset:40
	buffer_load_dword v20, off, s[0:3], 0 offset:44
	v_cmp_gt_u32_e32 vcc, 5, v0
	s_waitcnt vmcnt(0)
	ds_write_b64 v18, v[19:20]
	s_waitcnt lgkmcnt(0)
	; wave barrier
	s_and_saveexec_b64 s[4:5], vcc
	s_cbranch_execz .LBB6_35
; %bb.32:
	v_add_u32_e32 v19, -1, v0
	v_add_u32_e32 v20, 64, v17
	v_mov_b32_e32 v21, v17
	v_mov_b32_e32 v16, 0
	s_mov_b64 s[8:9], 0
	v_mov_b32_e32 v22, 0
.LBB6_33:                               ; =>This Inner Loop Header: Depth=1
	buffer_load_dword v25, v21, s[0:3], 0 offen offset:4
	buffer_load_dword v26, v21, s[0:3], 0 offen
	ds_read_b64 v[23:24], v20
	v_add_u32_e32 v19, 1, v19
	v_cmp_lt_u32_e32 vcc, 3, v19
	v_add_u32_e32 v20, 8, v20
	v_add_u32_e32 v21, 8, v21
	s_or_b64 s[8:9], vcc, s[8:9]
	s_waitcnt vmcnt(1) lgkmcnt(0)
	v_mul_f32_e32 v27, v24, v25
	v_mul_f32_e32 v25, v23, v25
	s_waitcnt vmcnt(0)
	v_fma_f32 v23, v23, v26, -v27
	v_fmac_f32_e32 v25, v24, v26
	v_add_f32_e32 v22, v22, v23
	v_add_f32_e32 v16, v16, v25
	s_andn2_b64 exec, exec, s[8:9]
	s_cbranch_execnz .LBB6_33
; %bb.34:
	s_or_b64 exec, exec, s[8:9]
	v_mov_b32_e32 v19, 0
	ds_read_b64 v[19:20], v19 offset:40
	s_waitcnt lgkmcnt(0)
	v_mul_f32_e32 v21, v16, v20
	v_mul_f32_e32 v20, v22, v20
	v_fma_f32 v21, v22, v19, -v21
	v_fmac_f32_e32 v20, v16, v19
	buffer_store_dword v21, off, s[0:3], 0 offset:40
	buffer_store_dword v20, off, s[0:3], 0 offset:44
.LBB6_35:
	s_or_b64 exec, exec, s[4:5]
	; wave barrier
	buffer_load_dword v19, off, s[0:3], 0 offset:48
	buffer_load_dword v20, off, s[0:3], 0 offset:52
	v_cmp_ne_u32_e32 vcc, 6, v0
	s_waitcnt vmcnt(0)
	ds_write_b64 v18, v[19:20]
	s_waitcnt lgkmcnt(0)
	; wave barrier
	s_and_saveexec_b64 s[4:5], vcc
	s_cbranch_execz .LBB6_39
; %bb.36:
	v_mov_b32_e32 v16, 0
	s_mov_b64 s[8:9], 0
	v_mov_b32_e32 v19, 0
.LBB6_37:                               ; =>This Inner Loop Header: Depth=1
	buffer_load_dword v22, v17, s[0:3], 0 offen offset:4
	buffer_load_dword v23, v17, s[0:3], 0 offen
	ds_read_b64 v[20:21], v18
	v_add_u32_e32 v15, 1, v15
	v_cmp_lt_u32_e32 vcc, 4, v15
	v_add_u32_e32 v18, 8, v18
	v_add_u32_e32 v17, 8, v17
	s_or_b64 s[8:9], vcc, s[8:9]
	s_waitcnt vmcnt(1) lgkmcnt(0)
	v_mul_f32_e32 v24, v21, v22
	v_mul_f32_e32 v22, v20, v22
	s_waitcnt vmcnt(0)
	v_fma_f32 v20, v20, v23, -v24
	v_fmac_f32_e32 v22, v21, v23
	v_add_f32_e32 v19, v19, v20
	v_add_f32_e32 v16, v16, v22
	s_andn2_b64 exec, exec, s[8:9]
	s_cbranch_execnz .LBB6_37
; %bb.38:
	s_or_b64 exec, exec, s[8:9]
	v_mov_b32_e32 v15, 0
	ds_read_b64 v[17:18], v15 offset:48
	s_waitcnt lgkmcnt(0)
	v_mul_f32_e32 v15, v16, v18
	v_mul_f32_e32 v18, v19, v18
	v_fma_f32 v15, v19, v17, -v15
	v_fmac_f32_e32 v18, v16, v17
	buffer_store_dword v15, off, s[0:3], 0 offset:48
	buffer_store_dword v18, off, s[0:3], 0 offset:52
.LBB6_39:
	s_or_b64 exec, exec, s[4:5]
	s_mov_b64 s[8:9], -1
	; wave barrier
.LBB6_40:
	s_and_b64 vcc, exec, s[8:9]
	s_cbranch_vccz .LBB6_42
; %bb.41:
	s_lshl_b64 s[4:5], s[6:7], 2
	s_add_u32 s4, s10, s4
	s_addc_u32 s5, s11, s5
	v_mov_b32_e32 v15, 0
	global_load_dword v15, v15, s[4:5]
	s_waitcnt vmcnt(0)
	v_cmp_ne_u32_e32 vcc, 0, v15
	s_cbranch_vccz .LBB6_43
.LBB6_42:
	s_endpgm
.LBB6_43:
	v_lshl_add_u32 v15, v0, 3, 64
	v_cmp_eq_u32_e32 vcc, 6, v0
	s_and_saveexec_b64 s[4:5], vcc
	s_cbranch_execz .LBB6_45
; %bb.44:
	buffer_load_dword v16, off, s[0:3], 0 offset:40
	buffer_load_dword v17, off, s[0:3], 0 offset:44
	v_mov_b32_e32 v18, 0
	buffer_store_dword v18, off, s[0:3], 0 offset:40
	buffer_store_dword v18, off, s[0:3], 0 offset:44
	s_waitcnt vmcnt(2)
	ds_write_b64 v15, v[16:17]
.LBB6_45:
	s_or_b64 exec, exec, s[4:5]
	s_waitcnt lgkmcnt(0)
	; wave barrier
	buffer_load_dword v19, off, s[0:3], 0 offset:52
	buffer_load_dword v20, off, s[0:3], 0 offset:48
	buffer_load_dword v21, off, s[0:3], 0 offset:40
	buffer_load_dword v22, off, s[0:3], 0 offset:44
	v_mov_b32_e32 v16, 0
	ds_read_b64 v[17:18], v16 offset:112
	v_cmp_lt_u32_e32 vcc, 4, v0
	s_waitcnt vmcnt(3) lgkmcnt(0)
	v_mul_f32_e32 v23, v17, v19
	v_mul_f32_e32 v19, v18, v19
	s_waitcnt vmcnt(2)
	v_fma_f32 v17, v17, v20, -v19
	v_fmac_f32_e32 v23, v18, v20
	v_add_f32_e32 v17, 0, v17
	v_add_f32_e32 v18, 0, v23
	s_waitcnt vmcnt(1)
	v_sub_f32_e32 v17, v21, v17
	s_waitcnt vmcnt(0)
	v_sub_f32_e32 v18, v22, v18
	buffer_store_dword v17, off, s[0:3], 0 offset:40
	buffer_store_dword v18, off, s[0:3], 0 offset:44
	s_and_saveexec_b64 s[4:5], vcc
	s_cbranch_execz .LBB6_47
; %bb.46:
	buffer_load_dword v17, off, s[0:3], 0 offset:32
	buffer_load_dword v18, off, s[0:3], 0 offset:36
	s_waitcnt vmcnt(0)
	ds_write_b64 v15, v[17:18]
	buffer_store_dword v16, off, s[0:3], 0 offset:32
	buffer_store_dword v16, off, s[0:3], 0 offset:36
.LBB6_47:
	s_or_b64 exec, exec, s[4:5]
	s_waitcnt lgkmcnt(0)
	; wave barrier
	buffer_load_dword v20, off, s[0:3], 0 offset:44
	buffer_load_dword v21, off, s[0:3], 0 offset:52
	;; [unrolled: 1-line block ×6, first 2 shown]
	ds_read2_b64 v[16:19], v16 offset0:13 offset1:14
	v_cmp_lt_u32_e32 vcc, 3, v0
	s_waitcnt vmcnt(5) lgkmcnt(0)
	v_mul_f32_e32 v26, v16, v20
	v_mul_f32_e32 v20, v17, v20
	s_waitcnt vmcnt(4)
	v_mul_f32_e32 v27, v18, v21
	v_mul_f32_e32 v21, v19, v21
	s_waitcnt vmcnt(3)
	v_fma_f32 v16, v16, v22, -v20
	v_fmac_f32_e32 v26, v17, v22
	s_waitcnt vmcnt(2)
	v_fma_f32 v17, v18, v23, -v21
	v_add_f32_e32 v16, 0, v16
	v_fmac_f32_e32 v27, v19, v23
	v_add_f32_e32 v18, 0, v26
	v_add_f32_e32 v16, v16, v17
	;; [unrolled: 1-line block ×3, first 2 shown]
	s_waitcnt vmcnt(1)
	v_sub_f32_e32 v16, v24, v16
	s_waitcnt vmcnt(0)
	v_sub_f32_e32 v17, v25, v18
	buffer_store_dword v16, off, s[0:3], 0 offset:32
	buffer_store_dword v17, off, s[0:3], 0 offset:36
	s_and_saveexec_b64 s[4:5], vcc
	s_cbranch_execz .LBB6_49
; %bb.48:
	buffer_load_dword v16, off, s[0:3], 0 offset:24
	buffer_load_dword v17, off, s[0:3], 0 offset:28
	v_mov_b32_e32 v18, 0
	buffer_store_dword v18, off, s[0:3], 0 offset:24
	buffer_store_dword v18, off, s[0:3], 0 offset:28
	s_waitcnt vmcnt(2)
	ds_write_b64 v15, v[16:17]
.LBB6_49:
	s_or_b64 exec, exec, s[4:5]
	s_waitcnt lgkmcnt(0)
	; wave barrier
	buffer_load_dword v23, off, s[0:3], 0 offset:36
	buffer_load_dword v24, off, s[0:3], 0 offset:44
	;; [unrolled: 1-line block ×8, first 2 shown]
	v_mov_b32_e32 v16, 0
	ds_read_b128 v[17:20], v16 offset:96
	ds_read_b64 v[21:22], v16 offset:112
	v_cmp_lt_u32_e32 vcc, 2, v0
	s_waitcnt vmcnt(7) lgkmcnt(1)
	v_mul_f32_e32 v31, v17, v23
	v_mul_f32_e32 v23, v18, v23
	s_waitcnt vmcnt(6)
	v_mul_f32_e32 v32, v19, v24
	v_mul_f32_e32 v24, v20, v24
	s_waitcnt vmcnt(4)
	v_fma_f32 v17, v17, v26, -v23
	s_waitcnt lgkmcnt(0)
	v_mul_f32_e32 v33, v21, v25
	v_mul_f32_e32 v25, v22, v25
	v_fmac_f32_e32 v31, v18, v26
	s_waitcnt vmcnt(3)
	v_fma_f32 v18, v19, v27, -v24
	v_add_f32_e32 v17, 0, v17
	v_fmac_f32_e32 v32, v20, v27
	s_waitcnt vmcnt(2)
	v_fma_f32 v19, v21, v28, -v25
	v_add_f32_e32 v20, 0, v31
	v_add_f32_e32 v17, v17, v18
	v_fmac_f32_e32 v33, v22, v28
	v_add_f32_e32 v20, v20, v32
	v_add_f32_e32 v17, v17, v19
	;; [unrolled: 1-line block ×3, first 2 shown]
	s_waitcnt vmcnt(1)
	v_sub_f32_e32 v17, v29, v17
	s_waitcnt vmcnt(0)
	v_sub_f32_e32 v18, v30, v18
	buffer_store_dword v17, off, s[0:3], 0 offset:24
	buffer_store_dword v18, off, s[0:3], 0 offset:28
	s_and_saveexec_b64 s[4:5], vcc
	s_cbranch_execz .LBB6_51
; %bb.50:
	buffer_load_dword v17, off, s[0:3], 0 offset:16
	buffer_load_dword v18, off, s[0:3], 0 offset:20
	s_waitcnt vmcnt(0)
	ds_write_b64 v15, v[17:18]
	buffer_store_dword v16, off, s[0:3], 0 offset:16
	buffer_store_dword v16, off, s[0:3], 0 offset:20
.LBB6_51:
	s_or_b64 exec, exec, s[4:5]
	s_waitcnt lgkmcnt(0)
	; wave barrier
	buffer_load_dword v25, off, s[0:3], 0 offset:28
	buffer_load_dword v26, off, s[0:3], 0 offset:36
	;; [unrolled: 1-line block ×10, first 2 shown]
	ds_read2_b64 v[17:20], v16 offset0:11 offset1:12
	ds_read2_b64 v[21:24], v16 offset0:13 offset1:14
	v_cmp_lt_u32_e32 vcc, 1, v0
	s_waitcnt vmcnt(9) lgkmcnt(1)
	v_mul_f32_e32 v16, v17, v25
	v_mul_f32_e32 v25, v18, v25
	s_waitcnt vmcnt(8)
	v_mul_f32_e32 v35, v19, v26
	v_mul_f32_e32 v26, v20, v26
	s_waitcnt vmcnt(5)
	v_fma_f32 v17, v17, v29, -v25
	s_waitcnt lgkmcnt(0)
	v_mul_f32_e32 v36, v21, v27
	v_mul_f32_e32 v27, v22, v27
	v_fmac_f32_e32 v16, v18, v29
	s_waitcnt vmcnt(4)
	v_fma_f32 v18, v19, v30, -v26
	v_add_f32_e32 v17, 0, v17
	v_mul_f32_e32 v37, v23, v28
	v_mul_f32_e32 v28, v24, v28
	v_fmac_f32_e32 v35, v20, v30
	s_waitcnt vmcnt(3)
	v_fma_f32 v19, v21, v31, -v27
	v_add_f32_e32 v16, 0, v16
	v_add_f32_e32 v17, v17, v18
	v_fmac_f32_e32 v36, v22, v31
	s_waitcnt vmcnt(2)
	v_fma_f32 v20, v23, v32, -v28
	v_add_f32_e32 v16, v16, v35
	v_add_f32_e32 v17, v17, v19
	v_fmac_f32_e32 v37, v24, v32
	v_add_f32_e32 v16, v16, v36
	v_add_f32_e32 v17, v17, v20
	;; [unrolled: 1-line block ×3, first 2 shown]
	s_waitcnt vmcnt(1)
	v_sub_f32_e32 v17, v33, v17
	s_waitcnt vmcnt(0)
	v_sub_f32_e32 v16, v34, v16
	buffer_store_dword v17, off, s[0:3], 0 offset:16
	buffer_store_dword v16, off, s[0:3], 0 offset:20
	s_and_saveexec_b64 s[4:5], vcc
	s_cbranch_execz .LBB6_53
; %bb.52:
	buffer_load_dword v16, off, s[0:3], 0 offset:8
	buffer_load_dword v17, off, s[0:3], 0 offset:12
	v_mov_b32_e32 v18, 0
	buffer_store_dword v18, off, s[0:3], 0 offset:8
	buffer_store_dword v18, off, s[0:3], 0 offset:12
	s_waitcnt vmcnt(2)
	ds_write_b64 v15, v[16:17]
.LBB6_53:
	s_or_b64 exec, exec, s[4:5]
	s_waitcnt lgkmcnt(0)
	; wave barrier
	buffer_load_dword v27, off, s[0:3], 0 offset:20
	buffer_load_dword v28, off, s[0:3], 0 offset:28
	;; [unrolled: 1-line block ×12, first 2 shown]
	v_mov_b32_e32 v16, 0
	ds_read_b128 v[17:20], v16 offset:80
	ds_read_b128 v[21:24], v16 offset:96
	ds_read_b64 v[25:26], v16 offset:112
	v_cmp_ne_u32_e32 vcc, 0, v0
	s_waitcnt vmcnt(11) lgkmcnt(2)
	v_mul_f32_e32 v39, v17, v27
	v_mul_f32_e32 v27, v18, v27
	s_waitcnt vmcnt(10)
	v_mul_f32_e32 v40, v19, v28
	v_mul_f32_e32 v28, v20, v28
	s_waitcnt vmcnt(9) lgkmcnt(1)
	v_mul_f32_e32 v41, v21, v29
	s_waitcnt vmcnt(6)
	v_fma_f32 v17, v17, v32, -v27
	v_mul_f32_e32 v29, v22, v29
	v_fmac_f32_e32 v39, v18, v32
	s_waitcnt vmcnt(5)
	v_fma_f32 v18, v19, v33, -v28
	v_add_f32_e32 v17, 0, v17
	v_mul_f32_e32 v42, v23, v30
	v_mul_f32_e32 v30, v24, v30
	v_fmac_f32_e32 v40, v20, v33
	s_waitcnt vmcnt(4)
	v_fmac_f32_e32 v41, v22, v34
	v_fma_f32 v19, v21, v34, -v29
	v_add_f32_e32 v22, 0, v39
	v_add_f32_e32 v17, v17, v18
	s_waitcnt lgkmcnt(0)
	v_mul_f32_e32 v43, v25, v31
	v_mul_f32_e32 v31, v26, v31
	s_waitcnt vmcnt(3)
	v_fma_f32 v20, v23, v35, -v30
	v_add_f32_e32 v22, v22, v40
	v_add_f32_e32 v17, v17, v19
	v_fmac_f32_e32 v42, v24, v35
	s_waitcnt vmcnt(2)
	v_fma_f32 v21, v25, v36, -v31
	v_add_f32_e32 v18, v22, v41
	v_add_f32_e32 v17, v17, v20
	v_fmac_f32_e32 v43, v26, v36
	v_add_f32_e32 v18, v18, v42
	v_add_f32_e32 v17, v17, v21
	;; [unrolled: 1-line block ×3, first 2 shown]
	s_waitcnt vmcnt(1)
	v_sub_f32_e32 v17, v37, v17
	s_waitcnt vmcnt(0)
	v_sub_f32_e32 v18, v38, v18
	buffer_store_dword v17, off, s[0:3], 0 offset:8
	buffer_store_dword v18, off, s[0:3], 0 offset:12
	s_and_saveexec_b64 s[4:5], vcc
	s_cbranch_execz .LBB6_55
; %bb.54:
	buffer_load_dword v17, off, s[0:3], 0
	buffer_load_dword v18, off, s[0:3], 0 offset:4
	s_waitcnt vmcnt(0)
	ds_write_b64 v15, v[17:18]
	buffer_store_dword v16, off, s[0:3], 0
	buffer_store_dword v16, off, s[0:3], 0 offset:4
.LBB6_55:
	s_or_b64 exec, exec, s[4:5]
	s_waitcnt lgkmcnt(0)
	; wave barrier
	buffer_load_dword v29, off, s[0:3], 0 offset:12
	buffer_load_dword v30, off, s[0:3], 0 offset:20
	;; [unrolled: 1-line block ×12, first 2 shown]
	buffer_load_dword v39, off, s[0:3], 0
	buffer_load_dword v40, off, s[0:3], 0 offset:4
	ds_read2_b64 v[17:20], v16 offset0:9 offset1:10
	ds_read2_b64 v[21:24], v16 offset0:11 offset1:12
	;; [unrolled: 1-line block ×3, first 2 shown]
	s_and_b64 vcc, exec, s[22:23]
	s_waitcnt vmcnt(13) lgkmcnt(2)
	v_mul_f32_e32 v16, v17, v29
	v_mul_f32_e32 v29, v18, v29
	s_waitcnt vmcnt(12)
	v_mul_f32_e32 v41, v19, v30
	v_mul_f32_e32 v30, v20, v30
	s_waitcnt vmcnt(11) lgkmcnt(1)
	v_mul_f32_e32 v42, v21, v31
	v_mul_f32_e32 v31, v22, v31
	s_waitcnt vmcnt(7)
	v_fma_f32 v17, v17, v34, -v29
	v_fmac_f32_e32 v16, v18, v34
	s_waitcnt vmcnt(6)
	v_fma_f32 v18, v19, v35, -v30
	v_add_f32_e32 v17, 0, v17
	v_mul_f32_e32 v43, v23, v32
	v_mul_f32_e32 v32, v24, v32
	v_fmac_f32_e32 v41, v20, v35
	s_waitcnt vmcnt(5)
	v_fma_f32 v19, v21, v36, -v31
	v_add_f32_e32 v16, 0, v16
	v_add_f32_e32 v17, v17, v18
	s_waitcnt lgkmcnt(0)
	v_mul_f32_e32 v46, v26, v0
	v_fmac_f32_e32 v42, v22, v36
	s_waitcnt vmcnt(4)
	v_fma_f32 v20, v23, v37, -v32
	v_add_f32_e32 v16, v16, v41
	v_add_f32_e32 v17, v17, v19
	v_mul_f32_e32 v44, v25, v0
	v_mul_f32_e32 v45, v27, v33
	;; [unrolled: 1-line block ×3, first 2 shown]
	v_fmac_f32_e32 v43, v24, v37
	s_waitcnt vmcnt(3)
	v_fma_f32 v21, v25, v15, -v46
	v_add_f32_e32 v16, v16, v42
	v_add_f32_e32 v17, v17, v20
	v_fmac_f32_e32 v44, v26, v15
	s_waitcnt vmcnt(2)
	v_fma_f32 v22, v27, v38, -v33
	v_add_f32_e32 v16, v16, v43
	v_add_f32_e32 v17, v17, v21
	v_fmac_f32_e32 v45, v28, v38
	v_add_f32_e32 v16, v16, v44
	v_add_f32_e32 v17, v17, v22
	;; [unrolled: 1-line block ×3, first 2 shown]
	s_waitcnt vmcnt(1)
	v_sub_f32_e32 v17, v39, v17
	s_waitcnt vmcnt(0)
	v_sub_f32_e32 v16, v40, v16
	buffer_store_dword v17, off, s[0:3], 0
	buffer_store_dword v16, off, s[0:3], 0 offset:4
	s_cbranch_vccz .LBB6_68
; %bb.56:
	v_mov_b32_e32 v16, 0
	global_load_dword v17, v16, s[20:21] offset:20
	s_waitcnt vmcnt(0)
	v_add_u32_e32 v17, -1, v17
	v_cmp_ne_u32_e32 vcc, 5, v17
	s_cbranch_vccz .LBB6_58
; %bb.57:
	v_lshlrev_b32_e32 v17, 3, v17
	buffer_load_dword v18, v17, s[0:3], 0 offen
	buffer_load_dword v19, v17, s[0:3], 0 offen offset:4
	s_waitcnt vmcnt(1)
	buffer_store_dword v18, off, s[0:3], 0 offset:40
	s_waitcnt vmcnt(1)
	buffer_store_dword v19, off, s[0:3], 0 offset:44
	buffer_store_dword v15, v17, s[0:3], 0 offen
	buffer_store_dword v0, v17, s[0:3], 0 offen offset:4
.LBB6_58:
	global_load_dword v0, v16, s[20:21] offset:16
	s_waitcnt vmcnt(0)
	v_add_u32_e32 v0, -1, v0
	v_cmp_eq_u32_e32 vcc, 4, v0
	s_cbranch_vccnz .LBB6_60
; %bb.59:
	v_lshlrev_b32_e32 v0, 3, v0
	buffer_load_dword v15, v0, s[0:3], 0 offen
	buffer_load_dword v16, v0, s[0:3], 0 offen offset:4
	buffer_load_dword v17, off, s[0:3], 0 offset:36
	buffer_load_dword v18, off, s[0:3], 0 offset:32
	s_waitcnt vmcnt(3)
	buffer_store_dword v15, off, s[0:3], 0 offset:32
	s_waitcnt vmcnt(3)
	buffer_store_dword v16, off, s[0:3], 0 offset:36
	s_waitcnt vmcnt(3)
	buffer_store_dword v17, v0, s[0:3], 0 offen offset:4
	s_waitcnt vmcnt(3)
	buffer_store_dword v18, v0, s[0:3], 0 offen
.LBB6_60:
	v_mov_b32_e32 v0, 0
	global_load_dword v15, v0, s[20:21] offset:12
	s_waitcnt vmcnt(0)
	v_add_u32_e32 v15, -1, v15
	v_cmp_eq_u32_e32 vcc, 3, v15
	s_cbranch_vccnz .LBB6_62
; %bb.61:
	v_lshlrev_b32_e32 v15, 3, v15
	buffer_load_dword v16, v15, s[0:3], 0 offen
	buffer_load_dword v17, v15, s[0:3], 0 offen offset:4
	buffer_load_dword v18, off, s[0:3], 0 offset:24
	buffer_load_dword v19, off, s[0:3], 0 offset:28
	s_waitcnt vmcnt(3)
	buffer_store_dword v16, off, s[0:3], 0 offset:24
	s_waitcnt vmcnt(3)
	buffer_store_dword v17, off, s[0:3], 0 offset:28
	s_waitcnt vmcnt(3)
	buffer_store_dword v18, v15, s[0:3], 0 offen
	s_waitcnt vmcnt(3)
	buffer_store_dword v19, v15, s[0:3], 0 offen offset:4
.LBB6_62:
	global_load_dword v0, v0, s[20:21] offset:8
	s_waitcnt vmcnt(0)
	v_add_u32_e32 v0, -1, v0
	v_cmp_eq_u32_e32 vcc, 2, v0
	s_cbranch_vccnz .LBB6_64
; %bb.63:
	v_lshlrev_b32_e32 v0, 3, v0
	buffer_load_dword v15, v0, s[0:3], 0 offen
	buffer_load_dword v16, v0, s[0:3], 0 offen offset:4
	buffer_load_dword v17, off, s[0:3], 0 offset:20
	buffer_load_dword v18, off, s[0:3], 0 offset:16
	s_waitcnt vmcnt(3)
	buffer_store_dword v15, off, s[0:3], 0 offset:16
	s_waitcnt vmcnt(3)
	buffer_store_dword v16, off, s[0:3], 0 offset:20
	s_waitcnt vmcnt(3)
	buffer_store_dword v17, v0, s[0:3], 0 offen offset:4
	s_waitcnt vmcnt(3)
	buffer_store_dword v18, v0, s[0:3], 0 offen
.LBB6_64:
	v_mov_b32_e32 v0, 0
	global_load_dword v15, v0, s[20:21] offset:4
	s_waitcnt vmcnt(0)
	v_add_u32_e32 v15, -1, v15
	v_cmp_eq_u32_e32 vcc, 1, v15
	s_cbranch_vccnz .LBB6_66
; %bb.65:
	v_lshlrev_b32_e32 v15, 3, v15
	buffer_load_dword v16, v15, s[0:3], 0 offen
	buffer_load_dword v17, v15, s[0:3], 0 offen offset:4
	buffer_load_dword v18, off, s[0:3], 0 offset:8
	buffer_load_dword v19, off, s[0:3], 0 offset:12
	s_waitcnt vmcnt(3)
	buffer_store_dword v16, off, s[0:3], 0 offset:8
	s_waitcnt vmcnt(3)
	buffer_store_dword v17, off, s[0:3], 0 offset:12
	s_waitcnt vmcnt(3)
	buffer_store_dword v18, v15, s[0:3], 0 offen
	s_waitcnt vmcnt(3)
	buffer_store_dword v19, v15, s[0:3], 0 offen offset:4
.LBB6_66:
	global_load_dword v0, v0, s[20:21]
	s_waitcnt vmcnt(0)
	v_add_u32_e32 v0, -1, v0
	v_cmp_eq_u32_e32 vcc, 0, v0
	s_cbranch_vccnz .LBB6_68
; %bb.67:
	v_lshlrev_b32_e32 v0, 3, v0
	buffer_load_dword v15, v0, s[0:3], 0 offen
	buffer_load_dword v16, v0, s[0:3], 0 offen offset:4
	buffer_load_dword v17, off, s[0:3], 0 offset:4
	buffer_load_dword v18, off, s[0:3], 0
	s_waitcnt vmcnt(3)
	buffer_store_dword v15, off, s[0:3], 0
	s_waitcnt vmcnt(3)
	buffer_store_dword v16, off, s[0:3], 0 offset:4
	s_waitcnt vmcnt(3)
	buffer_store_dword v17, v0, s[0:3], 0 offen offset:4
	s_waitcnt vmcnt(3)
	buffer_store_dword v18, v0, s[0:3], 0 offen
.LBB6_68:
	buffer_load_dword v15, off, s[0:3], 0
	buffer_load_dword v16, off, s[0:3], 0 offset:4
	buffer_load_dword v17, off, s[0:3], 0 offset:8
	s_nop 0
	buffer_load_dword v18, off, s[0:3], 0 offset:12
	buffer_load_dword v19, off, s[0:3], 0 offset:16
	;; [unrolled: 1-line block ×11, first 2 shown]
	s_waitcnt vmcnt(12)
	global_store_dwordx2 v[1:2], v[15:16], off
	s_waitcnt vmcnt(11)
	global_store_dwordx2 v[11:12], v[17:18], off
	;; [unrolled: 2-line block ×7, first 2 shown]
	s_endpgm
	.section	.rodata,"a",@progbits
	.p2align	6, 0x0
	.amdhsa_kernel _ZN9rocsolver6v33100L18getri_kernel_smallILi7E19rocblas_complex_numIfEPS3_EEvT1_iilPiilS6_bb
		.amdhsa_group_segment_fixed_size 120
		.amdhsa_private_segment_fixed_size 64
		.amdhsa_kernarg_size 60
		.amdhsa_user_sgpr_count 6
		.amdhsa_user_sgpr_private_segment_buffer 1
		.amdhsa_user_sgpr_dispatch_ptr 0
		.amdhsa_user_sgpr_queue_ptr 0
		.amdhsa_user_sgpr_kernarg_segment_ptr 1
		.amdhsa_user_sgpr_dispatch_id 0
		.amdhsa_user_sgpr_flat_scratch_init 0
		.amdhsa_user_sgpr_private_segment_size 0
		.amdhsa_uses_dynamic_stack 0
		.amdhsa_system_sgpr_private_segment_wavefront_offset 1
		.amdhsa_system_sgpr_workgroup_id_x 1
		.amdhsa_system_sgpr_workgroup_id_y 0
		.amdhsa_system_sgpr_workgroup_id_z 0
		.amdhsa_system_sgpr_workgroup_info 0
		.amdhsa_system_vgpr_workitem_id 0
		.amdhsa_next_free_vgpr 47
		.amdhsa_next_free_sgpr 24
		.amdhsa_reserve_vcc 1
		.amdhsa_reserve_flat_scratch 0
		.amdhsa_float_round_mode_32 0
		.amdhsa_float_round_mode_16_64 0
		.amdhsa_float_denorm_mode_32 3
		.amdhsa_float_denorm_mode_16_64 3
		.amdhsa_dx10_clamp 1
		.amdhsa_ieee_mode 1
		.amdhsa_fp16_overflow 0
		.amdhsa_exception_fp_ieee_invalid_op 0
		.amdhsa_exception_fp_denorm_src 0
		.amdhsa_exception_fp_ieee_div_zero 0
		.amdhsa_exception_fp_ieee_overflow 0
		.amdhsa_exception_fp_ieee_underflow 0
		.amdhsa_exception_fp_ieee_inexact 0
		.amdhsa_exception_int_div_zero 0
	.end_amdhsa_kernel
	.section	.text._ZN9rocsolver6v33100L18getri_kernel_smallILi7E19rocblas_complex_numIfEPS3_EEvT1_iilPiilS6_bb,"axG",@progbits,_ZN9rocsolver6v33100L18getri_kernel_smallILi7E19rocblas_complex_numIfEPS3_EEvT1_iilPiilS6_bb,comdat
.Lfunc_end6:
	.size	_ZN9rocsolver6v33100L18getri_kernel_smallILi7E19rocblas_complex_numIfEPS3_EEvT1_iilPiilS6_bb, .Lfunc_end6-_ZN9rocsolver6v33100L18getri_kernel_smallILi7E19rocblas_complex_numIfEPS3_EEvT1_iilPiilS6_bb
                                        ; -- End function
	.set _ZN9rocsolver6v33100L18getri_kernel_smallILi7E19rocblas_complex_numIfEPS3_EEvT1_iilPiilS6_bb.num_vgpr, 47
	.set _ZN9rocsolver6v33100L18getri_kernel_smallILi7E19rocblas_complex_numIfEPS3_EEvT1_iilPiilS6_bb.num_agpr, 0
	.set _ZN9rocsolver6v33100L18getri_kernel_smallILi7E19rocblas_complex_numIfEPS3_EEvT1_iilPiilS6_bb.numbered_sgpr, 24
	.set _ZN9rocsolver6v33100L18getri_kernel_smallILi7E19rocblas_complex_numIfEPS3_EEvT1_iilPiilS6_bb.num_named_barrier, 0
	.set _ZN9rocsolver6v33100L18getri_kernel_smallILi7E19rocblas_complex_numIfEPS3_EEvT1_iilPiilS6_bb.private_seg_size, 64
	.set _ZN9rocsolver6v33100L18getri_kernel_smallILi7E19rocblas_complex_numIfEPS3_EEvT1_iilPiilS6_bb.uses_vcc, 1
	.set _ZN9rocsolver6v33100L18getri_kernel_smallILi7E19rocblas_complex_numIfEPS3_EEvT1_iilPiilS6_bb.uses_flat_scratch, 0
	.set _ZN9rocsolver6v33100L18getri_kernel_smallILi7E19rocblas_complex_numIfEPS3_EEvT1_iilPiilS6_bb.has_dyn_sized_stack, 0
	.set _ZN9rocsolver6v33100L18getri_kernel_smallILi7E19rocblas_complex_numIfEPS3_EEvT1_iilPiilS6_bb.has_recursion, 0
	.set _ZN9rocsolver6v33100L18getri_kernel_smallILi7E19rocblas_complex_numIfEPS3_EEvT1_iilPiilS6_bb.has_indirect_call, 0
	.section	.AMDGPU.csdata,"",@progbits
; Kernel info:
; codeLenInByte = 5300
; TotalNumSgprs: 28
; NumVgprs: 47
; ScratchSize: 64
; MemoryBound: 0
; FloatMode: 240
; IeeeMode: 1
; LDSByteSize: 120 bytes/workgroup (compile time only)
; SGPRBlocks: 3
; VGPRBlocks: 11
; NumSGPRsForWavesPerEU: 28
; NumVGPRsForWavesPerEU: 47
; Occupancy: 5
; WaveLimiterHint : 0
; COMPUTE_PGM_RSRC2:SCRATCH_EN: 1
; COMPUTE_PGM_RSRC2:USER_SGPR: 6
; COMPUTE_PGM_RSRC2:TRAP_HANDLER: 0
; COMPUTE_PGM_RSRC2:TGID_X_EN: 1
; COMPUTE_PGM_RSRC2:TGID_Y_EN: 0
; COMPUTE_PGM_RSRC2:TGID_Z_EN: 0
; COMPUTE_PGM_RSRC2:TIDIG_COMP_CNT: 0
	.section	.text._ZN9rocsolver6v33100L18getri_kernel_smallILi8E19rocblas_complex_numIfEPS3_EEvT1_iilPiilS6_bb,"axG",@progbits,_ZN9rocsolver6v33100L18getri_kernel_smallILi8E19rocblas_complex_numIfEPS3_EEvT1_iilPiilS6_bb,comdat
	.globl	_ZN9rocsolver6v33100L18getri_kernel_smallILi8E19rocblas_complex_numIfEPS3_EEvT1_iilPiilS6_bb ; -- Begin function _ZN9rocsolver6v33100L18getri_kernel_smallILi8E19rocblas_complex_numIfEPS3_EEvT1_iilPiilS6_bb
	.p2align	8
	.type	_ZN9rocsolver6v33100L18getri_kernel_smallILi8E19rocblas_complex_numIfEPS3_EEvT1_iilPiilS6_bb,@function
_ZN9rocsolver6v33100L18getri_kernel_smallILi8E19rocblas_complex_numIfEPS3_EEvT1_iilPiilS6_bb: ; @_ZN9rocsolver6v33100L18getri_kernel_smallILi8E19rocblas_complex_numIfEPS3_EEvT1_iilPiilS6_bb
; %bb.0:
	s_add_u32 s0, s0, s7
	s_addc_u32 s1, s1, 0
	v_cmp_gt_u32_e32 vcc, 8, v0
	s_and_saveexec_b64 s[8:9], vcc
	s_cbranch_execz .LBB7_46
; %bb.1:
	s_load_dword s12, s[4:5], 0x38
	s_load_dwordx4 s[16:19], s[4:5], 0x10
	s_load_dwordx4 s[8:11], s[4:5], 0x28
                                        ; implicit-def: $sgpr20_sgpr21
	s_waitcnt lgkmcnt(0)
	s_bitcmp1_b32 s12, 8
	s_cselect_b64 s[22:23], -1, 0
	s_ashr_i32 s7, s6, 31
	s_bfe_u32 s12, s12, 0x10008
	s_cmp_eq_u32 s12, 0
	s_cbranch_scc1 .LBB7_3
; %bb.2:
	s_load_dword s12, s[4:5], 0x20
	s_mul_i32 s13, s8, s7
	s_mul_hi_u32 s14, s8, s6
	s_mul_i32 s9, s9, s6
	s_add_i32 s14, s14, s13
	s_add_i32 s9, s14, s9
	s_mul_i32 s8, s8, s6
	s_waitcnt lgkmcnt(0)
	s_ashr_i32 s13, s12, 31
	s_lshl_b64 s[8:9], s[8:9], 2
	s_add_u32 s14, s18, s8
	s_addc_u32 s15, s19, s9
	s_lshl_b64 s[8:9], s[12:13], 2
	s_add_u32 s20, s14, s8
	s_addc_u32 s21, s15, s9
.LBB7_3:
	s_load_dwordx4 s[12:15], s[4:5], 0x0
	s_load_dword s8, s[4:5], 0x38
	s_mul_i32 s9, s16, s7
	s_mul_hi_u32 s18, s16, s6
	s_add_i32 s9, s18, s9
	s_waitcnt lgkmcnt(0)
	s_ashr_i32 s5, s14, 31
	s_mov_b32 s4, s14
	s_mul_i32 s14, s17, s6
	s_add_i32 s17, s9, s14
	s_mul_i32 s16, s16, s6
	s_lshl_b64 s[16:17], s[16:17], 3
	s_add_u32 s9, s12, s16
	s_addc_u32 s12, s13, s17
	s_lshl_b64 s[4:5], s[4:5], 3
	s_add_u32 s4, s9, s4
	s_addc_u32 s5, s12, s5
	v_lshlrev_b32_e32 v19, 3, v0
	s_add_i32 s9, s15, s15
	v_mov_b32_e32 v2, s5
	v_add_co_u32_e32 v1, vcc, s4, v19
	s_ashr_i32 s13, s15, 31
	s_mov_b32 s12, s15
	v_add_u32_e32 v7, s9, v0
	v_addc_co_u32_e32 v2, vcc, 0, v2, vcc
	s_lshl_b64 s[12:13], s[12:13], 3
	v_ashrrev_i32_e32 v8, 31, v7
	v_mov_b32_e32 v4, s13
	v_add_co_u32_e32 v3, vcc, s12, v1
	v_lshlrev_b64 v[5:6], 3, v[7:8]
	v_addc_co_u32_e32 v4, vcc, v2, v4, vcc
	v_add_u32_e32 v9, s15, v7
	v_mov_b32_e32 v8, s5
	v_add_co_u32_e32 v5, vcc, s4, v5
	v_ashrrev_i32_e32 v10, 31, v9
	v_addc_co_u32_e32 v6, vcc, v8, v6, vcc
	v_lshlrev_b64 v[7:8], 3, v[9:10]
	v_add_u32_e32 v11, s15, v9
	v_mov_b32_e32 v10, s5
	v_add_co_u32_e32 v7, vcc, s4, v7
	v_ashrrev_i32_e32 v12, 31, v11
	v_addc_co_u32_e32 v8, vcc, v10, v8, vcc
	v_lshlrev_b64 v[9:10], 3, v[11:12]
	;; [unrolled: 6-line block ×4, first 2 shown]
	v_mov_b32_e32 v16, s5
	v_add_co_u32_e32 v13, vcc, s4, v13
	global_load_dwordx2 v[17:18], v19, s[4:5]
	global_load_dwordx2 v[20:21], v[3:4], off
	global_load_dwordx2 v[22:23], v[5:6], off
	;; [unrolled: 1-line block ×4, first 2 shown]
	v_addc_co_u32_e32 v14, vcc, v16, v14, vcc
	global_load_dwordx2 v[28:29], v[11:12], off
	global_load_dwordx2 v[30:31], v[13:14], off
	v_add_u32_e32 v15, s15, v15
	v_ashrrev_i32_e32 v16, 31, v15
	v_lshlrev_b64 v[15:16], 3, v[15:16]
	v_mov_b32_e32 v32, s5
	v_add_co_u32_e32 v15, vcc, s4, v15
	v_addc_co_u32_e32 v16, vcc, v32, v16, vcc
	global_load_dwordx2 v[32:33], v[15:16], off
	s_bitcmp0_b32 s8, 0
	s_mov_b64 s[8:9], -1
	s_waitcnt vmcnt(7)
	buffer_store_dword v18, off, s[0:3], 0 offset:4
	buffer_store_dword v17, off, s[0:3], 0
	s_waitcnt vmcnt(8)
	buffer_store_dword v21, off, s[0:3], 0 offset:12
	buffer_store_dword v20, off, s[0:3], 0 offset:8
	s_waitcnt vmcnt(9)
	buffer_store_dword v23, off, s[0:3], 0 offset:20
	buffer_store_dword v22, off, s[0:3], 0 offset:16
	s_waitcnt vmcnt(10)
	buffer_store_dword v25, off, s[0:3], 0 offset:28
	buffer_store_dword v24, off, s[0:3], 0 offset:24
	s_waitcnt vmcnt(11)
	buffer_store_dword v27, off, s[0:3], 0 offset:36
	buffer_store_dword v26, off, s[0:3], 0 offset:32
	s_waitcnt vmcnt(12)
	buffer_store_dword v29, off, s[0:3], 0 offset:44
	buffer_store_dword v28, off, s[0:3], 0 offset:40
	s_waitcnt vmcnt(13)
	buffer_store_dword v31, off, s[0:3], 0 offset:52
	buffer_store_dword v30, off, s[0:3], 0 offset:48
	s_waitcnt vmcnt(14)
	buffer_store_dword v33, off, s[0:3], 0 offset:60
	buffer_store_dword v32, off, s[0:3], 0 offset:56
	s_cbranch_scc1 .LBB7_44
; %bb.4:
	v_cmp_eq_u32_e64 s[4:5], 0, v0
	s_and_saveexec_b64 s[8:9], s[4:5]
; %bb.5:
	v_mov_b32_e32 v17, 0
	ds_write_b32 v17, v17 offset:128
; %bb.6:
	s_or_b64 exec, exec, s[8:9]
	v_mov_b32_e32 v17, 0
	v_lshl_add_u32 v21, v0, 3, v17
	s_waitcnt lgkmcnt(0)
	; wave barrier
	buffer_load_dword v17, v21, s[0:3], 0 offen
	buffer_load_dword v18, v21, s[0:3], 0 offen offset:4
	s_waitcnt vmcnt(1)
	v_cmp_eq_f32_e32 vcc, 0, v17
	s_waitcnt vmcnt(0)
	v_cmp_eq_f32_e64 s[8:9], 0, v18
	s_and_b64 s[8:9], vcc, s[8:9]
	s_and_saveexec_b64 s[12:13], s[8:9]
	s_cbranch_execz .LBB7_10
; %bb.7:
	v_mov_b32_e32 v17, 0
	ds_read_b32 v20, v17 offset:128
	v_add_u32_e32 v18, 1, v0
	s_waitcnt lgkmcnt(0)
	v_readfirstlane_b32 s8, v20
	s_cmp_eq_u32 s8, 0
	s_cselect_b64 s[14:15], -1, 0
	v_cmp_gt_i32_e32 vcc, s8, v18
	s_or_b64 s[14:15], s[14:15], vcc
	s_and_b64 exec, exec, s[14:15]
	s_cbranch_execz .LBB7_10
; %bb.8:
	s_mov_b64 s[14:15], 0
	v_mov_b32_e32 v20, s8
.LBB7_9:                                ; =>This Inner Loop Header: Depth=1
	ds_cmpst_rtn_b32 v20, v17, v20, v18 offset:128
	s_waitcnt lgkmcnt(0)
	v_cmp_ne_u32_e32 vcc, 0, v20
	v_cmp_le_i32_e64 s[8:9], v20, v18
	s_and_b64 s[8:9], vcc, s[8:9]
	s_and_b64 s[8:9], exec, s[8:9]
	s_or_b64 s[14:15], s[8:9], s[14:15]
	s_andn2_b64 exec, exec, s[14:15]
	s_cbranch_execnz .LBB7_9
.LBB7_10:
	s_or_b64 exec, exec, s[12:13]
	v_mov_b32_e32 v18, 0
	; wave barrier
	ds_read_b32 v17, v18 offset:128
	s_and_saveexec_b64 s[8:9], s[4:5]
	s_cbranch_execz .LBB7_12
; %bb.11:
	s_lshl_b64 s[12:13], s[6:7], 2
	s_add_u32 s12, s10, s12
	s_addc_u32 s13, s11, s13
	s_waitcnt lgkmcnt(0)
	global_store_dword v18, v17, s[12:13]
.LBB7_12:
	s_or_b64 exec, exec, s[8:9]
	s_waitcnt lgkmcnt(0)
	v_cmp_ne_u32_e32 vcc, 0, v17
	s_mov_b64 s[8:9], 0
	s_cbranch_vccnz .LBB7_44
; %bb.13:
	buffer_load_dword v18, v21, s[0:3], 0 offen
	buffer_load_dword v20, v21, s[0:3], 0 offen offset:4
                                        ; implicit-def: $vgpr23
                                        ; implicit-def: $vgpr22
                                        ; implicit-def: $vgpr17
	s_waitcnt vmcnt(0)
	v_cmp_ngt_f32_e64 s[8:9], |v18|, |v20|
	s_and_saveexec_b64 s[12:13], s[8:9]
	s_xor_b64 s[8:9], exec, s[12:13]
	s_cbranch_execz .LBB7_15
; %bb.14:
	v_div_scale_f32 v17, s[12:13], v20, v20, v18
	v_div_scale_f32 v22, vcc, v18, v20, v18
	v_rcp_f32_e32 v23, v17
	v_fma_f32 v24, -v17, v23, 1.0
	v_fmac_f32_e32 v23, v24, v23
	v_mul_f32_e32 v24, v22, v23
	v_fma_f32 v25, -v17, v24, v22
	v_fmac_f32_e32 v24, v25, v23
	v_fma_f32 v17, -v17, v24, v22
	v_div_fmas_f32 v17, v17, v23, v24
	v_div_fixup_f32 v17, v17, v20, v18
	v_fmac_f32_e32 v20, v18, v17
	v_div_scale_f32 v18, s[12:13], v20, v20, 1.0
	v_div_scale_f32 v22, vcc, 1.0, v20, 1.0
	v_rcp_f32_e32 v23, v18
	v_fma_f32 v24, -v18, v23, 1.0
	v_fmac_f32_e32 v23, v24, v23
	v_mul_f32_e32 v24, v22, v23
	v_fma_f32 v25, -v18, v24, v22
	v_fmac_f32_e32 v24, v25, v23
	v_fma_f32 v18, -v18, v24, v22
	v_div_fmas_f32 v18, v18, v23, v24
	v_div_fixup_f32 v18, v18, v20, 1.0
	v_mul_f32_e32 v23, v17, v18
	v_xor_b32_e32 v22, 0x80000000, v18
	v_xor_b32_e32 v17, 0x80000000, v23
                                        ; implicit-def: $vgpr18
                                        ; implicit-def: $vgpr20
.LBB7_15:
	s_andn2_saveexec_b64 s[8:9], s[8:9]
	s_cbranch_execz .LBB7_17
; %bb.16:
	v_div_scale_f32 v17, s[12:13], v18, v18, v20
	v_div_scale_f32 v22, vcc, v20, v18, v20
	v_rcp_f32_e32 v23, v17
	v_fma_f32 v24, -v17, v23, 1.0
	v_fmac_f32_e32 v23, v24, v23
	v_mul_f32_e32 v24, v22, v23
	v_fma_f32 v25, -v17, v24, v22
	v_fmac_f32_e32 v24, v25, v23
	v_fma_f32 v17, -v17, v24, v22
	v_div_fmas_f32 v17, v17, v23, v24
	v_div_fixup_f32 v22, v17, v18, v20
	v_fmac_f32_e32 v18, v20, v22
	v_div_scale_f32 v17, s[12:13], v18, v18, 1.0
	v_div_scale_f32 v20, vcc, 1.0, v18, 1.0
	v_rcp_f32_e32 v23, v17
	v_fma_f32 v24, -v17, v23, 1.0
	v_fmac_f32_e32 v23, v24, v23
	v_mul_f32_e32 v24, v20, v23
	v_fma_f32 v25, -v17, v24, v20
	v_fmac_f32_e32 v24, v25, v23
	v_fma_f32 v17, -v17, v24, v20
	v_div_fmas_f32 v17, v17, v23, v24
	v_div_fixup_f32 v23, v17, v18, 1.0
	v_xor_b32_e32 v17, 0x80000000, v23
	v_mul_f32_e64 v22, v22, -v23
.LBB7_17:
	s_or_b64 exec, exec, s[8:9]
	buffer_store_dword v23, v21, s[0:3], 0 offen
	buffer_store_dword v22, v21, s[0:3], 0 offen offset:4
	buffer_load_dword v24, off, s[0:3], 0 offset:12
	s_nop 0
	buffer_load_dword v23, off, s[0:3], 0 offset:8
	v_xor_b32_e32 v18, 0x80000000, v22
	v_add_u32_e32 v20, 64, v19
	s_waitcnt vmcnt(0)
	ds_write2_b64 v19, v[17:18], v[23:24] offset1:8
	s_waitcnt lgkmcnt(0)
	; wave barrier
	s_and_saveexec_b64 s[8:9], s[4:5]
	s_cbranch_execz .LBB7_19
; %bb.18:
	buffer_load_dword v24, v21, s[0:3], 0 offen offset:4
	buffer_load_dword v25, v21, s[0:3], 0 offen
	ds_read_b64 v[17:18], v20
	v_mov_b32_e32 v22, 0
	ds_read_b64 v[22:23], v22 offset:8
	s_waitcnt vmcnt(1) lgkmcnt(1)
	v_mul_f32_e32 v26, v18, v24
	v_mul_f32_e32 v24, v17, v24
	s_waitcnt vmcnt(0)
	v_fmac_f32_e32 v24, v18, v25
	v_fma_f32 v17, v17, v25, -v26
	v_add_f32_e32 v18, 0, v24
	v_add_f32_e32 v17, 0, v17
	s_waitcnt lgkmcnt(0)
	v_mul_f32_e32 v24, v18, v23
	v_mul_f32_e32 v23, v17, v23
	v_fma_f32 v17, v17, v22, -v24
	v_fmac_f32_e32 v23, v18, v22
	buffer_store_dword v17, off, s[0:3], 0 offset:8
	buffer_store_dword v23, off, s[0:3], 0 offset:12
.LBB7_19:
	s_or_b64 exec, exec, s[8:9]
	; wave barrier
	buffer_load_dword v17, off, s[0:3], 0 offset:16
	buffer_load_dword v18, off, s[0:3], 0 offset:20
	v_cmp_gt_u32_e32 vcc, 2, v0
	s_waitcnt vmcnt(0)
	ds_write_b64 v20, v[17:18]
	s_waitcnt lgkmcnt(0)
	; wave barrier
	s_and_saveexec_b64 s[8:9], vcc
	s_cbranch_execz .LBB7_23
; %bb.20:
	buffer_load_dword v22, v21, s[0:3], 0 offen offset:4
	buffer_load_dword v23, v21, s[0:3], 0 offen
	ds_read_b64 v[17:18], v20
	s_waitcnt vmcnt(1) lgkmcnt(0)
	v_mul_f32_e32 v21, v18, v22
	v_mul_f32_e32 v22, v17, v22
	s_waitcnt vmcnt(0)
	v_fma_f32 v17, v17, v23, -v21
	v_fmac_f32_e32 v22, v18, v23
	v_add_f32_e32 v18, 0, v17
	v_add_f32_e32 v17, 0, v22
	s_and_saveexec_b64 s[12:13], s[4:5]
	s_cbranch_execz .LBB7_22
; %bb.21:
	buffer_load_dword v23, off, s[0:3], 0 offset:12
	buffer_load_dword v24, off, s[0:3], 0 offset:8
	v_mov_b32_e32 v21, 0
	ds_read_b64 v[21:22], v21 offset:72
	s_waitcnt vmcnt(1) lgkmcnt(0)
	v_mul_f32_e32 v25, v21, v23
	v_mul_f32_e32 v23, v22, v23
	s_waitcnt vmcnt(0)
	v_fmac_f32_e32 v25, v22, v24
	v_fma_f32 v21, v21, v24, -v23
	v_add_f32_e32 v17, v17, v25
	v_add_f32_e32 v18, v18, v21
.LBB7_22:
	s_or_b64 exec, exec, s[12:13]
	v_mov_b32_e32 v21, 0
	ds_read_b64 v[21:22], v21 offset:16
	s_waitcnt lgkmcnt(0)
	v_mul_f32_e32 v23, v17, v22
	v_mul_f32_e32 v22, v18, v22
	v_fma_f32 v18, v18, v21, -v23
	v_fmac_f32_e32 v22, v17, v21
	buffer_store_dword v18, off, s[0:3], 0 offset:16
	buffer_store_dword v22, off, s[0:3], 0 offset:20
.LBB7_23:
	s_or_b64 exec, exec, s[8:9]
	; wave barrier
	buffer_load_dword v17, off, s[0:3], 0 offset:24
	buffer_load_dword v18, off, s[0:3], 0 offset:28
	v_cmp_gt_u32_e32 vcc, 3, v0
	s_waitcnt vmcnt(0)
	ds_write_b64 v20, v[17:18]
	v_add_u32_e32 v17, -1, v0
	s_waitcnt lgkmcnt(0)
	; wave barrier
	s_and_saveexec_b64 s[4:5], vcc
	s_cbranch_execz .LBB7_27
; %bb.24:
	v_add_u32_e32 v21, -1, v0
	v_add_u32_e32 v22, 64, v19
	v_mov_b32_e32 v23, v19
	v_mov_b32_e32 v18, 0
	s_mov_b64 s[8:9], 0
	v_mov_b32_e32 v24, 0
.LBB7_25:                               ; =>This Inner Loop Header: Depth=1
	buffer_load_dword v27, v23, s[0:3], 0 offen offset:4
	buffer_load_dword v28, v23, s[0:3], 0 offen
	ds_read_b64 v[25:26], v22
	v_add_u32_e32 v21, 1, v21
	v_cmp_lt_u32_e32 vcc, 1, v21
	v_add_u32_e32 v22, 8, v22
	v_add_u32_e32 v23, 8, v23
	s_or_b64 s[8:9], vcc, s[8:9]
	s_waitcnt vmcnt(1) lgkmcnt(0)
	v_mul_f32_e32 v29, v26, v27
	v_mul_f32_e32 v27, v25, v27
	s_waitcnt vmcnt(0)
	v_fma_f32 v25, v25, v28, -v29
	v_fmac_f32_e32 v27, v26, v28
	v_add_f32_e32 v24, v24, v25
	v_add_f32_e32 v18, v18, v27
	s_andn2_b64 exec, exec, s[8:9]
	s_cbranch_execnz .LBB7_25
; %bb.26:
	s_or_b64 exec, exec, s[8:9]
	v_mov_b32_e32 v21, 0
	ds_read_b64 v[21:22], v21 offset:24
	s_waitcnt lgkmcnt(0)
	v_mul_f32_e32 v23, v18, v22
	v_mul_f32_e32 v22, v24, v22
	v_fma_f32 v23, v24, v21, -v23
	v_fmac_f32_e32 v22, v18, v21
	buffer_store_dword v23, off, s[0:3], 0 offset:24
	buffer_store_dword v22, off, s[0:3], 0 offset:28
.LBB7_27:
	s_or_b64 exec, exec, s[4:5]
	; wave barrier
	buffer_load_dword v21, off, s[0:3], 0 offset:32
	buffer_load_dword v22, off, s[0:3], 0 offset:36
	v_cmp_gt_u32_e32 vcc, 4, v0
	s_waitcnt vmcnt(0)
	ds_write_b64 v20, v[21:22]
	s_waitcnt lgkmcnt(0)
	; wave barrier
	s_and_saveexec_b64 s[4:5], vcc
	s_cbranch_execz .LBB7_31
; %bb.28:
	v_add_u32_e32 v21, -1, v0
	v_add_u32_e32 v22, 64, v19
	v_mov_b32_e32 v23, v19
	v_mov_b32_e32 v18, 0
	s_mov_b64 s[8:9], 0
	v_mov_b32_e32 v24, 0
.LBB7_29:                               ; =>This Inner Loop Header: Depth=1
	buffer_load_dword v27, v23, s[0:3], 0 offen offset:4
	buffer_load_dword v28, v23, s[0:3], 0 offen
	ds_read_b64 v[25:26], v22
	v_add_u32_e32 v21, 1, v21
	v_cmp_lt_u32_e32 vcc, 2, v21
	v_add_u32_e32 v22, 8, v22
	v_add_u32_e32 v23, 8, v23
	s_or_b64 s[8:9], vcc, s[8:9]
	s_waitcnt vmcnt(1) lgkmcnt(0)
	v_mul_f32_e32 v29, v26, v27
	v_mul_f32_e32 v27, v25, v27
	s_waitcnt vmcnt(0)
	v_fma_f32 v25, v25, v28, -v29
	v_fmac_f32_e32 v27, v26, v28
	v_add_f32_e32 v24, v24, v25
	v_add_f32_e32 v18, v18, v27
	s_andn2_b64 exec, exec, s[8:9]
	s_cbranch_execnz .LBB7_29
; %bb.30:
	s_or_b64 exec, exec, s[8:9]
	v_mov_b32_e32 v21, 0
	ds_read_b64 v[21:22], v21 offset:32
	s_waitcnt lgkmcnt(0)
	v_mul_f32_e32 v23, v18, v22
	v_mul_f32_e32 v22, v24, v22
	v_fma_f32 v23, v24, v21, -v23
	v_fmac_f32_e32 v22, v18, v21
	buffer_store_dword v23, off, s[0:3], 0 offset:32
	buffer_store_dword v22, off, s[0:3], 0 offset:36
.LBB7_31:
	s_or_b64 exec, exec, s[4:5]
	; wave barrier
	buffer_load_dword v21, off, s[0:3], 0 offset:40
	buffer_load_dword v22, off, s[0:3], 0 offset:44
	v_cmp_gt_u32_e32 vcc, 5, v0
	s_waitcnt vmcnt(0)
	ds_write_b64 v20, v[21:22]
	;; [unrolled: 49-line block ×3, first 2 shown]
	s_waitcnt lgkmcnt(0)
	; wave barrier
	s_and_saveexec_b64 s[4:5], vcc
	s_cbranch_execz .LBB7_39
; %bb.36:
	v_add_u32_e32 v21, -1, v0
	v_add_u32_e32 v22, 64, v19
	v_mov_b32_e32 v23, v19
	v_mov_b32_e32 v18, 0
	s_mov_b64 s[8:9], 0
	v_mov_b32_e32 v24, 0
.LBB7_37:                               ; =>This Inner Loop Header: Depth=1
	buffer_load_dword v27, v23, s[0:3], 0 offen offset:4
	buffer_load_dword v28, v23, s[0:3], 0 offen
	ds_read_b64 v[25:26], v22
	v_add_u32_e32 v21, 1, v21
	v_cmp_lt_u32_e32 vcc, 4, v21
	v_add_u32_e32 v22, 8, v22
	v_add_u32_e32 v23, 8, v23
	s_or_b64 s[8:9], vcc, s[8:9]
	s_waitcnt vmcnt(1) lgkmcnt(0)
	v_mul_f32_e32 v29, v26, v27
	v_mul_f32_e32 v27, v25, v27
	s_waitcnt vmcnt(0)
	v_fma_f32 v25, v25, v28, -v29
	v_fmac_f32_e32 v27, v26, v28
	v_add_f32_e32 v24, v24, v25
	v_add_f32_e32 v18, v18, v27
	s_andn2_b64 exec, exec, s[8:9]
	s_cbranch_execnz .LBB7_37
; %bb.38:
	s_or_b64 exec, exec, s[8:9]
	v_mov_b32_e32 v21, 0
	ds_read_b64 v[21:22], v21 offset:48
	s_waitcnt lgkmcnt(0)
	v_mul_f32_e32 v23, v18, v22
	v_mul_f32_e32 v22, v24, v22
	v_fma_f32 v23, v24, v21, -v23
	v_fmac_f32_e32 v22, v18, v21
	buffer_store_dword v23, off, s[0:3], 0 offset:48
	buffer_store_dword v22, off, s[0:3], 0 offset:52
.LBB7_39:
	s_or_b64 exec, exec, s[4:5]
	; wave barrier
	buffer_load_dword v21, off, s[0:3], 0 offset:56
	buffer_load_dword v22, off, s[0:3], 0 offset:60
	v_cmp_ne_u32_e32 vcc, 7, v0
	s_waitcnt vmcnt(0)
	ds_write_b64 v20, v[21:22]
	s_waitcnt lgkmcnt(0)
	; wave barrier
	s_and_saveexec_b64 s[4:5], vcc
	s_cbranch_execz .LBB7_43
; %bb.40:
	v_mov_b32_e32 v18, 0
	s_mov_b64 s[8:9], 0
	v_mov_b32_e32 v21, 0
.LBB7_41:                               ; =>This Inner Loop Header: Depth=1
	buffer_load_dword v24, v19, s[0:3], 0 offen offset:4
	buffer_load_dword v25, v19, s[0:3], 0 offen
	ds_read_b64 v[22:23], v20
	v_add_u32_e32 v17, 1, v17
	v_cmp_lt_u32_e32 vcc, 5, v17
	v_add_u32_e32 v20, 8, v20
	v_add_u32_e32 v19, 8, v19
	s_or_b64 s[8:9], vcc, s[8:9]
	s_waitcnt vmcnt(1) lgkmcnt(0)
	v_mul_f32_e32 v26, v23, v24
	v_mul_f32_e32 v24, v22, v24
	s_waitcnt vmcnt(0)
	v_fma_f32 v22, v22, v25, -v26
	v_fmac_f32_e32 v24, v23, v25
	v_add_f32_e32 v21, v21, v22
	v_add_f32_e32 v18, v18, v24
	s_andn2_b64 exec, exec, s[8:9]
	s_cbranch_execnz .LBB7_41
; %bb.42:
	s_or_b64 exec, exec, s[8:9]
	v_mov_b32_e32 v17, 0
	ds_read_b64 v[19:20], v17 offset:56
	s_waitcnt lgkmcnt(0)
	v_mul_f32_e32 v17, v18, v20
	v_mul_f32_e32 v20, v21, v20
	v_fma_f32 v17, v21, v19, -v17
	v_fmac_f32_e32 v20, v18, v19
	buffer_store_dword v17, off, s[0:3], 0 offset:56
	buffer_store_dword v20, off, s[0:3], 0 offset:60
.LBB7_43:
	s_or_b64 exec, exec, s[4:5]
	s_mov_b64 s[8:9], -1
	; wave barrier
.LBB7_44:
	s_and_b64 vcc, exec, s[8:9]
	s_cbranch_vccz .LBB7_46
; %bb.45:
	s_lshl_b64 s[4:5], s[6:7], 2
	s_add_u32 s4, s10, s4
	s_addc_u32 s5, s11, s5
	v_mov_b32_e32 v17, 0
	global_load_dword v17, v17, s[4:5]
	s_waitcnt vmcnt(0)
	v_cmp_ne_u32_e32 vcc, 0, v17
	s_cbranch_vccz .LBB7_47
.LBB7_46:
	s_endpgm
.LBB7_47:
	v_lshl_add_u32 v17, v0, 3, 64
	v_cmp_eq_u32_e32 vcc, 7, v0
	s_and_saveexec_b64 s[4:5], vcc
	s_cbranch_execz .LBB7_49
; %bb.48:
	buffer_load_dword v18, off, s[0:3], 0 offset:48
	buffer_load_dword v19, off, s[0:3], 0 offset:52
	v_mov_b32_e32 v20, 0
	buffer_store_dword v20, off, s[0:3], 0 offset:48
	buffer_store_dword v20, off, s[0:3], 0 offset:52
	s_waitcnt vmcnt(2)
	ds_write_b64 v17, v[18:19]
.LBB7_49:
	s_or_b64 exec, exec, s[4:5]
	s_waitcnt lgkmcnt(0)
	; wave barrier
	buffer_load_dword v21, off, s[0:3], 0 offset:60
	buffer_load_dword v22, off, s[0:3], 0 offset:56
	;; [unrolled: 1-line block ×4, first 2 shown]
	v_mov_b32_e32 v18, 0
	ds_read_b64 v[19:20], v18 offset:120
	v_cmp_lt_u32_e32 vcc, 5, v0
	s_waitcnt vmcnt(3) lgkmcnt(0)
	v_mul_f32_e32 v25, v19, v21
	v_mul_f32_e32 v21, v20, v21
	s_waitcnt vmcnt(2)
	v_fma_f32 v19, v19, v22, -v21
	v_fmac_f32_e32 v25, v20, v22
	v_add_f32_e32 v19, 0, v19
	v_add_f32_e32 v20, 0, v25
	s_waitcnt vmcnt(1)
	v_sub_f32_e32 v19, v23, v19
	s_waitcnt vmcnt(0)
	v_sub_f32_e32 v20, v24, v20
	buffer_store_dword v19, off, s[0:3], 0 offset:48
	buffer_store_dword v20, off, s[0:3], 0 offset:52
	s_and_saveexec_b64 s[4:5], vcc
	s_cbranch_execz .LBB7_51
; %bb.50:
	buffer_load_dword v19, off, s[0:3], 0 offset:40
	buffer_load_dword v20, off, s[0:3], 0 offset:44
	s_waitcnt vmcnt(0)
	ds_write_b64 v17, v[19:20]
	buffer_store_dword v18, off, s[0:3], 0 offset:40
	buffer_store_dword v18, off, s[0:3], 0 offset:44
.LBB7_51:
	s_or_b64 exec, exec, s[4:5]
	s_waitcnt lgkmcnt(0)
	; wave barrier
	buffer_load_dword v22, off, s[0:3], 0 offset:52
	buffer_load_dword v23, off, s[0:3], 0 offset:60
	;; [unrolled: 1-line block ×6, first 2 shown]
	ds_read_b128 v[18:21], v18 offset:112
	v_cmp_lt_u32_e32 vcc, 4, v0
	s_waitcnt vmcnt(5) lgkmcnt(0)
	v_mul_f32_e32 v28, v18, v22
	v_mul_f32_e32 v22, v19, v22
	s_waitcnt vmcnt(4)
	v_mul_f32_e32 v29, v20, v23
	v_mul_f32_e32 v23, v21, v23
	s_waitcnt vmcnt(3)
	v_fma_f32 v18, v18, v24, -v22
	v_fmac_f32_e32 v28, v19, v24
	s_waitcnt vmcnt(2)
	v_fma_f32 v19, v20, v25, -v23
	v_add_f32_e32 v18, 0, v18
	v_fmac_f32_e32 v29, v21, v25
	v_add_f32_e32 v20, 0, v28
	v_add_f32_e32 v18, v18, v19
	;; [unrolled: 1-line block ×3, first 2 shown]
	s_waitcnt vmcnt(1)
	v_sub_f32_e32 v18, v26, v18
	s_waitcnt vmcnt(0)
	v_sub_f32_e32 v19, v27, v20
	buffer_store_dword v18, off, s[0:3], 0 offset:40
	buffer_store_dword v19, off, s[0:3], 0 offset:44
	s_and_saveexec_b64 s[4:5], vcc
	s_cbranch_execz .LBB7_53
; %bb.52:
	buffer_load_dword v18, off, s[0:3], 0 offset:32
	buffer_load_dword v19, off, s[0:3], 0 offset:36
	v_mov_b32_e32 v20, 0
	buffer_store_dword v20, off, s[0:3], 0 offset:32
	buffer_store_dword v20, off, s[0:3], 0 offset:36
	s_waitcnt vmcnt(2)
	ds_write_b64 v17, v[18:19]
.LBB7_53:
	s_or_b64 exec, exec, s[4:5]
	v_mov_b32_e32 v18, 0
	s_waitcnt lgkmcnt(0)
	; wave barrier
	ds_read2_b64 v[19:22], v18 offset0:13 offset1:14
	buffer_load_dword v25, off, s[0:3], 0 offset:32
	buffer_load_dword v26, off, s[0:3], 0 offset:36
	buffer_load_dword v27, off, s[0:3], 0 offset:40
	buffer_load_dword v28, off, s[0:3], 0 offset:44
	buffer_load_dword v29, off, s[0:3], 0 offset:48
	buffer_load_dword v30, off, s[0:3], 0 offset:52
	buffer_load_dword v31, off, s[0:3], 0 offset:56
	buffer_load_dword v32, off, s[0:3], 0 offset:60
	v_cmp_lt_u32_e32 vcc, 3, v0
	s_waitcnt vmcnt(4) lgkmcnt(0)
	v_mul_f32_e32 v23, v19, v28
	v_fmac_f32_e32 v23, v20, v27
	s_waitcnt vmcnt(2)
	v_mul_f32_e32 v24, v21, v30
	v_add_f32_e32 v23, 0, v23
	v_fmac_f32_e32 v24, v22, v29
	v_add_f32_e32 v33, v23, v24
	ds_read_b64 v[23:24], v18 offset:120
	v_mul_f32_e32 v20, v20, v28
	v_fma_f32 v19, v19, v27, -v20
	v_mul_f32_e32 v20, v22, v30
	v_add_f32_e32 v19, 0, v19
	v_fma_f32 v20, v21, v29, -v20
	v_add_f32_e32 v19, v19, v20
	s_waitcnt vmcnt(0) lgkmcnt(0)
	v_mul_f32_e32 v20, v24, v32
	v_mul_f32_e32 v34, v23, v32
	v_fma_f32 v20, v23, v31, -v20
	v_fmac_f32_e32 v34, v24, v31
	v_add_f32_e32 v19, v19, v20
	v_add_f32_e32 v33, v33, v34
	v_sub_f32_e32 v19, v25, v19
	v_sub_f32_e32 v20, v26, v33
	buffer_store_dword v19, off, s[0:3], 0 offset:32
	buffer_store_dword v20, off, s[0:3], 0 offset:36
	s_and_saveexec_b64 s[4:5], vcc
	s_cbranch_execz .LBB7_55
; %bb.54:
	buffer_load_dword v19, off, s[0:3], 0 offset:24
	buffer_load_dword v20, off, s[0:3], 0 offset:28
	s_waitcnt vmcnt(0)
	ds_write_b64 v17, v[19:20]
	buffer_store_dword v18, off, s[0:3], 0 offset:24
	buffer_store_dword v18, off, s[0:3], 0 offset:28
.LBB7_55:
	s_or_b64 exec, exec, s[4:5]
	s_waitcnt lgkmcnt(0)
	; wave barrier
	ds_read_b128 v[19:22], v18 offset:96
	ds_read_b128 v[23:26], v18 offset:112
	buffer_load_dword v18, off, s[0:3], 0 offset:24
	buffer_load_dword v27, off, s[0:3], 0 offset:28
	;; [unrolled: 1-line block ×10, first 2 shown]
	v_cmp_lt_u32_e32 vcc, 2, v0
	s_waitcnt vmcnt(6) lgkmcnt(1)
	v_mul_f32_e32 v36, v19, v29
	v_fmac_f32_e32 v36, v20, v28
	v_mul_f32_e32 v20, v20, v29
	v_fma_f32 v19, v19, v28, -v20
	s_waitcnt vmcnt(4)
	v_mul_f32_e32 v20, v22, v31
	v_mul_f32_e32 v37, v21, v31
	v_add_f32_e32 v19, 0, v19
	v_fma_f32 v20, v21, v30, -v20
	v_add_f32_e32 v36, 0, v36
	v_fmac_f32_e32 v37, v22, v30
	v_add_f32_e32 v19, v19, v20
	s_waitcnt vmcnt(2) lgkmcnt(0)
	v_mul_f32_e32 v20, v24, v33
	v_add_f32_e32 v36, v36, v37
	v_mul_f32_e32 v37, v23, v33
	v_fma_f32 v20, v23, v32, -v20
	v_fmac_f32_e32 v37, v24, v32
	v_add_f32_e32 v19, v19, v20
	s_waitcnt vmcnt(0)
	v_mul_f32_e32 v20, v26, v35
	v_add_f32_e32 v36, v36, v37
	v_mul_f32_e32 v37, v25, v35
	v_fma_f32 v20, v25, v34, -v20
	v_fmac_f32_e32 v37, v26, v34
	v_add_f32_e32 v19, v19, v20
	v_add_f32_e32 v36, v36, v37
	v_sub_f32_e32 v18, v18, v19
	v_sub_f32_e32 v19, v27, v36
	buffer_store_dword v18, off, s[0:3], 0 offset:24
	buffer_store_dword v19, off, s[0:3], 0 offset:28
	s_and_saveexec_b64 s[4:5], vcc
	s_cbranch_execz .LBB7_57
; %bb.56:
	buffer_load_dword v18, off, s[0:3], 0 offset:16
	buffer_load_dword v19, off, s[0:3], 0 offset:20
	v_mov_b32_e32 v20, 0
	buffer_store_dword v20, off, s[0:3], 0 offset:16
	buffer_store_dword v20, off, s[0:3], 0 offset:20
	s_waitcnt vmcnt(2)
	ds_write_b64 v17, v[18:19]
.LBB7_57:
	s_or_b64 exec, exec, s[4:5]
	s_waitcnt lgkmcnt(0)
	; wave barrier
	buffer_load_dword v29, off, s[0:3], 0 offset:28
	buffer_load_dword v30, off, s[0:3], 0 offset:36
	;; [unrolled: 1-line block ×12, first 2 shown]
	v_mov_b32_e32 v18, 0
	ds_read2_b64 v[19:22], v18 offset0:11 offset1:12
	ds_read2_b64 v[23:26], v18 offset0:13 offset1:14
	ds_read_b64 v[27:28], v18 offset:120
	v_cmp_lt_u32_e32 vcc, 1, v0
	s_waitcnt vmcnt(11) lgkmcnt(2)
	v_mul_f32_e32 v41, v19, v29
	v_mul_f32_e32 v29, v20, v29
	s_waitcnt vmcnt(10)
	v_mul_f32_e32 v42, v21, v30
	v_mul_f32_e32 v30, v22, v30
	s_waitcnt vmcnt(9) lgkmcnt(1)
	v_mul_f32_e32 v43, v23, v31
	s_waitcnt vmcnt(6)
	v_fma_f32 v19, v19, v34, -v29
	v_mul_f32_e32 v31, v24, v31
	v_fmac_f32_e32 v41, v20, v34
	s_waitcnt vmcnt(5)
	v_fma_f32 v20, v21, v35, -v30
	v_add_f32_e32 v19, 0, v19
	v_mul_f32_e32 v44, v25, v32
	v_mul_f32_e32 v32, v26, v32
	v_fmac_f32_e32 v42, v22, v35
	s_waitcnt vmcnt(4)
	v_fmac_f32_e32 v43, v24, v36
	v_fma_f32 v21, v23, v36, -v31
	v_add_f32_e32 v24, 0, v41
	v_add_f32_e32 v19, v19, v20
	s_waitcnt lgkmcnt(0)
	v_mul_f32_e32 v45, v27, v33
	v_mul_f32_e32 v33, v28, v33
	s_waitcnt vmcnt(3)
	v_fma_f32 v22, v25, v37, -v32
	v_add_f32_e32 v24, v24, v42
	v_add_f32_e32 v19, v19, v21
	v_fmac_f32_e32 v44, v26, v37
	s_waitcnt vmcnt(2)
	v_fma_f32 v23, v27, v38, -v33
	v_add_f32_e32 v20, v24, v43
	v_add_f32_e32 v19, v19, v22
	v_fmac_f32_e32 v45, v28, v38
	v_add_f32_e32 v20, v20, v44
	v_add_f32_e32 v19, v19, v23
	;; [unrolled: 1-line block ×3, first 2 shown]
	s_waitcnt vmcnt(1)
	v_sub_f32_e32 v19, v39, v19
	s_waitcnt vmcnt(0)
	v_sub_f32_e32 v20, v40, v20
	buffer_store_dword v19, off, s[0:3], 0 offset:16
	buffer_store_dword v20, off, s[0:3], 0 offset:20
	s_and_saveexec_b64 s[4:5], vcc
	s_cbranch_execz .LBB7_59
; %bb.58:
	buffer_load_dword v19, off, s[0:3], 0 offset:8
	buffer_load_dword v20, off, s[0:3], 0 offset:12
	s_waitcnt vmcnt(0)
	ds_write_b64 v17, v[19:20]
	buffer_store_dword v18, off, s[0:3], 0 offset:8
	buffer_store_dword v18, off, s[0:3], 0 offset:12
.LBB7_59:
	s_or_b64 exec, exec, s[4:5]
	s_waitcnt lgkmcnt(0)
	; wave barrier
	ds_read_b128 v[19:22], v18 offset:80
	ds_read_b128 v[23:26], v18 offset:96
	;; [unrolled: 1-line block ×3, first 2 shown]
	buffer_load_dword v18, off, s[0:3], 0 offset:8
	buffer_load_dword v31, off, s[0:3], 0 offset:12
	;; [unrolled: 1-line block ×14, first 2 shown]
	v_cmp_ne_u32_e32 vcc, 0, v0
	s_waitcnt vmcnt(10) lgkmcnt(2)
	v_mul_f32_e32 v44, v19, v33
	v_fmac_f32_e32 v44, v20, v32
	v_mul_f32_e32 v20, v20, v33
	v_fma_f32 v19, v19, v32, -v20
	s_waitcnt vmcnt(8)
	v_mul_f32_e32 v20, v22, v35
	v_mul_f32_e32 v45, v21, v35
	v_add_f32_e32 v19, 0, v19
	v_fma_f32 v20, v21, v34, -v20
	v_add_f32_e32 v44, 0, v44
	v_fmac_f32_e32 v45, v22, v34
	v_add_f32_e32 v19, v19, v20
	s_waitcnt vmcnt(6) lgkmcnt(1)
	v_mul_f32_e32 v20, v24, v37
	v_add_f32_e32 v44, v44, v45
	v_mul_f32_e32 v45, v23, v37
	v_fma_f32 v20, v23, v36, -v20
	v_fmac_f32_e32 v45, v24, v36
	v_add_f32_e32 v19, v19, v20
	s_waitcnt vmcnt(4)
	v_mul_f32_e32 v20, v26, v39
	v_add_f32_e32 v44, v44, v45
	v_mul_f32_e32 v45, v25, v39
	v_fma_f32 v20, v25, v38, -v20
	v_fmac_f32_e32 v45, v26, v38
	v_add_f32_e32 v19, v19, v20
	s_waitcnt vmcnt(2) lgkmcnt(0)
	v_mul_f32_e32 v20, v28, v41
	v_add_f32_e32 v44, v44, v45
	v_mul_f32_e32 v45, v27, v41
	v_fma_f32 v20, v27, v40, -v20
	v_fmac_f32_e32 v45, v28, v40
	v_add_f32_e32 v19, v19, v20
	s_waitcnt vmcnt(0)
	v_mul_f32_e32 v20, v30, v43
	v_add_f32_e32 v44, v44, v45
	v_mul_f32_e32 v45, v29, v43
	v_fma_f32 v20, v29, v42, -v20
	v_fmac_f32_e32 v45, v30, v42
	v_add_f32_e32 v19, v19, v20
	v_add_f32_e32 v44, v44, v45
	v_sub_f32_e32 v18, v18, v19
	v_sub_f32_e32 v19, v31, v44
	buffer_store_dword v18, off, s[0:3], 0 offset:8
	buffer_store_dword v19, off, s[0:3], 0 offset:12
	s_and_saveexec_b64 s[4:5], vcc
	s_cbranch_execz .LBB7_61
; %bb.60:
	buffer_load_dword v18, off, s[0:3], 0
	buffer_load_dword v19, off, s[0:3], 0 offset:4
	v_mov_b32_e32 v0, 0
	buffer_store_dword v0, off, s[0:3], 0
	buffer_store_dword v0, off, s[0:3], 0 offset:4
	s_waitcnt vmcnt(2)
	ds_write_b64 v17, v[18:19]
.LBB7_61:
	s_or_b64 exec, exec, s[4:5]
	s_waitcnt lgkmcnt(0)
	; wave barrier
	buffer_load_dword v33, off, s[0:3], 0 offset:12
	buffer_load_dword v34, off, s[0:3], 0 offset:20
	buffer_load_dword v35, off, s[0:3], 0 offset:28
	buffer_load_dword v36, off, s[0:3], 0 offset:36
	buffer_load_dword v37, off, s[0:3], 0 offset:44
	buffer_load_dword v0, off, s[0:3], 0 offset:52
	buffer_load_dword v38, off, s[0:3], 0 offset:60
	buffer_load_dword v39, off, s[0:3], 0 offset:24
	buffer_load_dword v40, off, s[0:3], 0 offset:16
	buffer_load_dword v41, off, s[0:3], 0 offset:8
	buffer_load_dword v42, off, s[0:3], 0 offset:56
	buffer_load_dword v17, off, s[0:3], 0 offset:48
	buffer_load_dword v43, off, s[0:3], 0 offset:40
	buffer_load_dword v44, off, s[0:3], 0 offset:32
	buffer_load_dword v45, off, s[0:3], 0
	buffer_load_dword v46, off, s[0:3], 0 offset:4
	v_mov_b32_e32 v18, 0
	ds_read2_b64 v[19:22], v18 offset0:9 offset1:10
	ds_read2_b64 v[23:26], v18 offset0:11 offset1:12
	;; [unrolled: 1-line block ×3, first 2 shown]
	ds_read_b64 v[31:32], v18 offset:120
	s_and_b64 vcc, exec, s[22:23]
	s_waitcnt vmcnt(15) lgkmcnt(3)
	v_mul_f32_e32 v47, v19, v33
	v_mul_f32_e32 v33, v20, v33
	s_waitcnt vmcnt(14)
	v_mul_f32_e32 v48, v21, v34
	v_mul_f32_e32 v34, v22, v34
	s_waitcnt vmcnt(13) lgkmcnt(2)
	v_mul_f32_e32 v49, v23, v35
	s_waitcnt vmcnt(12)
	v_mul_f32_e32 v50, v25, v36
	v_mul_f32_e32 v35, v24, v35
	;; [unrolled: 1-line block ×3, first 2 shown]
	s_waitcnt vmcnt(7)
	v_fmac_f32_e32 v48, v22, v40
	s_waitcnt vmcnt(6)
	v_fma_f32 v19, v19, v41, -v33
	v_fmac_f32_e32 v47, v20, v41
	v_fma_f32 v20, v21, v40, -v34
	v_add_f32_e32 v19, 0, v19
	s_waitcnt vmcnt(2)
	v_fmac_f32_e32 v50, v26, v44
	v_fma_f32 v21, v23, v39, -v35
	v_add_f32_e32 v26, 0, v47
	v_add_f32_e32 v19, v19, v20
	s_waitcnt lgkmcnt(1)
	v_mul_f32_e32 v51, v27, v37
	v_mul_f32_e32 v37, v28, v37
	v_fmac_f32_e32 v49, v24, v39
	v_fma_f32 v22, v25, v44, -v36
	v_add_f32_e32 v26, v26, v48
	v_add_f32_e32 v19, v19, v21
	v_mul_f32_e32 v54, v30, v0
	v_fma_f32 v23, v27, v43, -v37
	v_add_f32_e32 v20, v26, v49
	v_add_f32_e32 v19, v19, v22
	v_mul_f32_e32 v52, v29, v0
	s_waitcnt lgkmcnt(0)
	v_mul_f32_e32 v53, v31, v38
	v_mul_f32_e32 v38, v32, v38
	v_fmac_f32_e32 v51, v28, v43
	v_fma_f32 v24, v29, v17, -v54
	v_add_f32_e32 v20, v20, v50
	v_add_f32_e32 v19, v19, v23
	v_fmac_f32_e32 v52, v30, v17
	v_fma_f32 v25, v31, v42, -v38
	v_add_f32_e32 v20, v20, v51
	v_add_f32_e32 v19, v19, v24
	v_fmac_f32_e32 v53, v32, v42
	v_add_f32_e32 v20, v20, v52
	v_add_f32_e32 v19, v19, v25
	;; [unrolled: 1-line block ×3, first 2 shown]
	s_waitcnt vmcnt(1)
	v_sub_f32_e32 v19, v45, v19
	s_waitcnt vmcnt(0)
	v_sub_f32_e32 v20, v46, v20
	buffer_store_dword v19, off, s[0:3], 0
	buffer_store_dword v20, off, s[0:3], 0 offset:4
	s_cbranch_vccz .LBB7_76
; %bb.62:
	global_load_dword v18, v18, s[20:21] offset:24
	s_waitcnt vmcnt(0)
	v_add_u32_e32 v18, -1, v18
	v_cmp_ne_u32_e32 vcc, 6, v18
	s_cbranch_vccz .LBB7_64
; %bb.63:
	v_lshlrev_b32_e32 v18, 3, v18
	buffer_load_dword v19, v18, s[0:3], 0 offen offset:4
	buffer_load_dword v20, v18, s[0:3], 0 offen
	s_waitcnt vmcnt(1)
	buffer_store_dword v19, off, s[0:3], 0 offset:52
	s_waitcnt vmcnt(1)
	buffer_store_dword v20, off, s[0:3], 0 offset:48
	buffer_store_dword v0, v18, s[0:3], 0 offen offset:4
	buffer_store_dword v17, v18, s[0:3], 0 offen
.LBB7_64:
	v_mov_b32_e32 v0, 0
	global_load_dword v17, v0, s[20:21] offset:20
	s_waitcnt vmcnt(0)
	v_add_u32_e32 v17, -1, v17
	v_cmp_eq_u32_e32 vcc, 5, v17
	s_cbranch_vccnz .LBB7_66
; %bb.65:
	v_lshlrev_b32_e32 v17, 3, v17
	buffer_load_dword v18, v17, s[0:3], 0 offen
	buffer_load_dword v19, v17, s[0:3], 0 offen offset:4
	buffer_load_dword v20, off, s[0:3], 0 offset:40
	buffer_load_dword v21, off, s[0:3], 0 offset:44
	s_waitcnt vmcnt(3)
	buffer_store_dword v18, off, s[0:3], 0 offset:40
	s_waitcnt vmcnt(3)
	buffer_store_dword v19, off, s[0:3], 0 offset:44
	s_waitcnt vmcnt(3)
	buffer_store_dword v20, v17, s[0:3], 0 offen
	s_waitcnt vmcnt(3)
	buffer_store_dword v21, v17, s[0:3], 0 offen offset:4
.LBB7_66:
	global_load_dword v0, v0, s[20:21] offset:16
	s_waitcnt vmcnt(0)
	v_add_u32_e32 v0, -1, v0
	v_cmp_eq_u32_e32 vcc, 4, v0
	s_cbranch_vccnz .LBB7_68
; %bb.67:
	v_lshlrev_b32_e32 v0, 3, v0
	buffer_load_dword v17, v0, s[0:3], 0 offen
	buffer_load_dword v18, v0, s[0:3], 0 offen offset:4
	buffer_load_dword v19, off, s[0:3], 0 offset:36
	buffer_load_dword v20, off, s[0:3], 0 offset:32
	s_waitcnt vmcnt(3)
	buffer_store_dword v17, off, s[0:3], 0 offset:32
	s_waitcnt vmcnt(3)
	buffer_store_dword v18, off, s[0:3], 0 offset:36
	s_waitcnt vmcnt(3)
	buffer_store_dword v19, v0, s[0:3], 0 offen offset:4
	s_waitcnt vmcnt(3)
	buffer_store_dword v20, v0, s[0:3], 0 offen
.LBB7_68:
	v_mov_b32_e32 v0, 0
	global_load_dword v17, v0, s[20:21] offset:12
	s_waitcnt vmcnt(0)
	v_add_u32_e32 v17, -1, v17
	v_cmp_eq_u32_e32 vcc, 3, v17
	s_cbranch_vccnz .LBB7_70
; %bb.69:
	v_lshlrev_b32_e32 v17, 3, v17
	buffer_load_dword v18, v17, s[0:3], 0 offen
	buffer_load_dword v19, v17, s[0:3], 0 offen offset:4
	buffer_load_dword v20, off, s[0:3], 0 offset:24
	buffer_load_dword v21, off, s[0:3], 0 offset:28
	s_waitcnt vmcnt(3)
	buffer_store_dword v18, off, s[0:3], 0 offset:24
	s_waitcnt vmcnt(3)
	buffer_store_dword v19, off, s[0:3], 0 offset:28
	s_waitcnt vmcnt(3)
	buffer_store_dword v20, v17, s[0:3], 0 offen
	s_waitcnt vmcnt(3)
	buffer_store_dword v21, v17, s[0:3], 0 offen offset:4
.LBB7_70:
	global_load_dword v0, v0, s[20:21] offset:8
	s_waitcnt vmcnt(0)
	v_add_u32_e32 v0, -1, v0
	v_cmp_eq_u32_e32 vcc, 2, v0
	s_cbranch_vccnz .LBB7_72
; %bb.71:
	v_lshlrev_b32_e32 v0, 3, v0
	buffer_load_dword v17, v0, s[0:3], 0 offen
	buffer_load_dword v18, v0, s[0:3], 0 offen offset:4
	buffer_load_dword v19, off, s[0:3], 0 offset:20
	buffer_load_dword v20, off, s[0:3], 0 offset:16
	s_waitcnt vmcnt(3)
	buffer_store_dword v17, off, s[0:3], 0 offset:16
	s_waitcnt vmcnt(3)
	buffer_store_dword v18, off, s[0:3], 0 offset:20
	s_waitcnt vmcnt(3)
	buffer_store_dword v19, v0, s[0:3], 0 offen offset:4
	s_waitcnt vmcnt(3)
	buffer_store_dword v20, v0, s[0:3], 0 offen
.LBB7_72:
	v_mov_b32_e32 v0, 0
	global_load_dword v17, v0, s[20:21] offset:4
	s_waitcnt vmcnt(0)
	v_add_u32_e32 v17, -1, v17
	v_cmp_eq_u32_e32 vcc, 1, v17
	s_cbranch_vccnz .LBB7_74
; %bb.73:
	v_lshlrev_b32_e32 v17, 3, v17
	buffer_load_dword v18, v17, s[0:3], 0 offen
	buffer_load_dword v19, v17, s[0:3], 0 offen offset:4
	buffer_load_dword v20, off, s[0:3], 0 offset:8
	buffer_load_dword v21, off, s[0:3], 0 offset:12
	s_waitcnt vmcnt(3)
	buffer_store_dword v18, off, s[0:3], 0 offset:8
	s_waitcnt vmcnt(3)
	buffer_store_dword v19, off, s[0:3], 0 offset:12
	s_waitcnt vmcnt(3)
	buffer_store_dword v20, v17, s[0:3], 0 offen
	s_waitcnt vmcnt(3)
	buffer_store_dword v21, v17, s[0:3], 0 offen offset:4
.LBB7_74:
	global_load_dword v0, v0, s[20:21]
	s_waitcnt vmcnt(0)
	v_add_u32_e32 v0, -1, v0
	v_cmp_eq_u32_e32 vcc, 0, v0
	s_cbranch_vccnz .LBB7_76
; %bb.75:
	v_lshlrev_b32_e32 v0, 3, v0
	buffer_load_dword v17, v0, s[0:3], 0 offen
	buffer_load_dword v18, v0, s[0:3], 0 offen offset:4
	buffer_load_dword v19, off, s[0:3], 0 offset:4
	buffer_load_dword v20, off, s[0:3], 0
	s_waitcnt vmcnt(3)
	buffer_store_dword v17, off, s[0:3], 0
	s_waitcnt vmcnt(3)
	buffer_store_dword v18, off, s[0:3], 0 offset:4
	s_waitcnt vmcnt(3)
	buffer_store_dword v19, v0, s[0:3], 0 offen offset:4
	s_waitcnt vmcnt(3)
	buffer_store_dword v20, v0, s[0:3], 0 offen
.LBB7_76:
	buffer_load_dword v17, off, s[0:3], 0
	buffer_load_dword v18, off, s[0:3], 0 offset:4
	buffer_load_dword v19, off, s[0:3], 0 offset:8
	s_nop 0
	buffer_load_dword v20, off, s[0:3], 0 offset:12
	buffer_load_dword v21, off, s[0:3], 0 offset:16
	;; [unrolled: 1-line block ×13, first 2 shown]
	s_waitcnt vmcnt(14)
	global_store_dwordx2 v[1:2], v[17:18], off
	s_waitcnt vmcnt(13)
	global_store_dwordx2 v[3:4], v[19:20], off
	;; [unrolled: 2-line block ×8, first 2 shown]
	s_endpgm
	.section	.rodata,"a",@progbits
	.p2align	6, 0x0
	.amdhsa_kernel _ZN9rocsolver6v33100L18getri_kernel_smallILi8E19rocblas_complex_numIfEPS3_EEvT1_iilPiilS6_bb
		.amdhsa_group_segment_fixed_size 132
		.amdhsa_private_segment_fixed_size 80
		.amdhsa_kernarg_size 60
		.amdhsa_user_sgpr_count 6
		.amdhsa_user_sgpr_private_segment_buffer 1
		.amdhsa_user_sgpr_dispatch_ptr 0
		.amdhsa_user_sgpr_queue_ptr 0
		.amdhsa_user_sgpr_kernarg_segment_ptr 1
		.amdhsa_user_sgpr_dispatch_id 0
		.amdhsa_user_sgpr_flat_scratch_init 0
		.amdhsa_user_sgpr_private_segment_size 0
		.amdhsa_uses_dynamic_stack 0
		.amdhsa_system_sgpr_private_segment_wavefront_offset 1
		.amdhsa_system_sgpr_workgroup_id_x 1
		.amdhsa_system_sgpr_workgroup_id_y 0
		.amdhsa_system_sgpr_workgroup_id_z 0
		.amdhsa_system_sgpr_workgroup_info 0
		.amdhsa_system_vgpr_workitem_id 0
		.amdhsa_next_free_vgpr 55
		.amdhsa_next_free_sgpr 24
		.amdhsa_reserve_vcc 1
		.amdhsa_reserve_flat_scratch 0
		.amdhsa_float_round_mode_32 0
		.amdhsa_float_round_mode_16_64 0
		.amdhsa_float_denorm_mode_32 3
		.amdhsa_float_denorm_mode_16_64 3
		.amdhsa_dx10_clamp 1
		.amdhsa_ieee_mode 1
		.amdhsa_fp16_overflow 0
		.amdhsa_exception_fp_ieee_invalid_op 0
		.amdhsa_exception_fp_denorm_src 0
		.amdhsa_exception_fp_ieee_div_zero 0
		.amdhsa_exception_fp_ieee_overflow 0
		.amdhsa_exception_fp_ieee_underflow 0
		.amdhsa_exception_fp_ieee_inexact 0
		.amdhsa_exception_int_div_zero 0
	.end_amdhsa_kernel
	.section	.text._ZN9rocsolver6v33100L18getri_kernel_smallILi8E19rocblas_complex_numIfEPS3_EEvT1_iilPiilS6_bb,"axG",@progbits,_ZN9rocsolver6v33100L18getri_kernel_smallILi8E19rocblas_complex_numIfEPS3_EEvT1_iilPiilS6_bb,comdat
.Lfunc_end7:
	.size	_ZN9rocsolver6v33100L18getri_kernel_smallILi8E19rocblas_complex_numIfEPS3_EEvT1_iilPiilS6_bb, .Lfunc_end7-_ZN9rocsolver6v33100L18getri_kernel_smallILi8E19rocblas_complex_numIfEPS3_EEvT1_iilPiilS6_bb
                                        ; -- End function
	.set _ZN9rocsolver6v33100L18getri_kernel_smallILi8E19rocblas_complex_numIfEPS3_EEvT1_iilPiilS6_bb.num_vgpr, 55
	.set _ZN9rocsolver6v33100L18getri_kernel_smallILi8E19rocblas_complex_numIfEPS3_EEvT1_iilPiilS6_bb.num_agpr, 0
	.set _ZN9rocsolver6v33100L18getri_kernel_smallILi8E19rocblas_complex_numIfEPS3_EEvT1_iilPiilS6_bb.numbered_sgpr, 24
	.set _ZN9rocsolver6v33100L18getri_kernel_smallILi8E19rocblas_complex_numIfEPS3_EEvT1_iilPiilS6_bb.num_named_barrier, 0
	.set _ZN9rocsolver6v33100L18getri_kernel_smallILi8E19rocblas_complex_numIfEPS3_EEvT1_iilPiilS6_bb.private_seg_size, 80
	.set _ZN9rocsolver6v33100L18getri_kernel_smallILi8E19rocblas_complex_numIfEPS3_EEvT1_iilPiilS6_bb.uses_vcc, 1
	.set _ZN9rocsolver6v33100L18getri_kernel_smallILi8E19rocblas_complex_numIfEPS3_EEvT1_iilPiilS6_bb.uses_flat_scratch, 0
	.set _ZN9rocsolver6v33100L18getri_kernel_smallILi8E19rocblas_complex_numIfEPS3_EEvT1_iilPiilS6_bb.has_dyn_sized_stack, 0
	.set _ZN9rocsolver6v33100L18getri_kernel_smallILi8E19rocblas_complex_numIfEPS3_EEvT1_iilPiilS6_bb.has_recursion, 0
	.set _ZN9rocsolver6v33100L18getri_kernel_smallILi8E19rocblas_complex_numIfEPS3_EEvT1_iilPiilS6_bb.has_indirect_call, 0
	.section	.AMDGPU.csdata,"",@progbits
; Kernel info:
; codeLenInByte = 6148
; TotalNumSgprs: 28
; NumVgprs: 55
; ScratchSize: 80
; MemoryBound: 0
; FloatMode: 240
; IeeeMode: 1
; LDSByteSize: 132 bytes/workgroup (compile time only)
; SGPRBlocks: 3
; VGPRBlocks: 13
; NumSGPRsForWavesPerEU: 28
; NumVGPRsForWavesPerEU: 55
; Occupancy: 4
; WaveLimiterHint : 0
; COMPUTE_PGM_RSRC2:SCRATCH_EN: 1
; COMPUTE_PGM_RSRC2:USER_SGPR: 6
; COMPUTE_PGM_RSRC2:TRAP_HANDLER: 0
; COMPUTE_PGM_RSRC2:TGID_X_EN: 1
; COMPUTE_PGM_RSRC2:TGID_Y_EN: 0
; COMPUTE_PGM_RSRC2:TGID_Z_EN: 0
; COMPUTE_PGM_RSRC2:TIDIG_COMP_CNT: 0
	.section	.text._ZN9rocsolver6v33100L18getri_kernel_smallILi9E19rocblas_complex_numIfEPS3_EEvT1_iilPiilS6_bb,"axG",@progbits,_ZN9rocsolver6v33100L18getri_kernel_smallILi9E19rocblas_complex_numIfEPS3_EEvT1_iilPiilS6_bb,comdat
	.globl	_ZN9rocsolver6v33100L18getri_kernel_smallILi9E19rocblas_complex_numIfEPS3_EEvT1_iilPiilS6_bb ; -- Begin function _ZN9rocsolver6v33100L18getri_kernel_smallILi9E19rocblas_complex_numIfEPS3_EEvT1_iilPiilS6_bb
	.p2align	8
	.type	_ZN9rocsolver6v33100L18getri_kernel_smallILi9E19rocblas_complex_numIfEPS3_EEvT1_iilPiilS6_bb,@function
_ZN9rocsolver6v33100L18getri_kernel_smallILi9E19rocblas_complex_numIfEPS3_EEvT1_iilPiilS6_bb: ; @_ZN9rocsolver6v33100L18getri_kernel_smallILi9E19rocblas_complex_numIfEPS3_EEvT1_iilPiilS6_bb
; %bb.0:
	s_add_u32 s0, s0, s7
	s_addc_u32 s1, s1, 0
	v_cmp_gt_u32_e32 vcc, 9, v0
	s_and_saveexec_b64 s[8:9], vcc
	s_cbranch_execz .LBB8_50
; %bb.1:
	s_load_dword s12, s[4:5], 0x38
	s_load_dwordx4 s[16:19], s[4:5], 0x10
	s_load_dwordx4 s[8:11], s[4:5], 0x28
                                        ; implicit-def: $sgpr20_sgpr21
	s_waitcnt lgkmcnt(0)
	s_bitcmp1_b32 s12, 8
	s_cselect_b64 s[22:23], -1, 0
	s_ashr_i32 s7, s6, 31
	s_bfe_u32 s12, s12, 0x10008
	s_cmp_eq_u32 s12, 0
	s_cbranch_scc1 .LBB8_3
; %bb.2:
	s_load_dword s12, s[4:5], 0x20
	s_mul_i32 s13, s8, s7
	s_mul_hi_u32 s14, s8, s6
	s_mul_i32 s9, s9, s6
	s_add_i32 s14, s14, s13
	s_add_i32 s9, s14, s9
	s_mul_i32 s8, s8, s6
	s_waitcnt lgkmcnt(0)
	s_ashr_i32 s13, s12, 31
	s_lshl_b64 s[8:9], s[8:9], 2
	s_add_u32 s14, s18, s8
	s_addc_u32 s15, s19, s9
	s_lshl_b64 s[8:9], s[12:13], 2
	s_add_u32 s20, s14, s8
	s_addc_u32 s21, s15, s9
.LBB8_3:
	s_load_dwordx4 s[12:15], s[4:5], 0x0
	s_load_dword s8, s[4:5], 0x38
	s_mul_i32 s9, s16, s7
	s_mul_hi_u32 s18, s16, s6
	s_add_i32 s9, s18, s9
	s_waitcnt lgkmcnt(0)
	s_ashr_i32 s5, s14, 31
	s_mov_b32 s4, s14
	s_mul_i32 s14, s17, s6
	s_add_i32 s17, s9, s14
	s_mul_i32 s16, s16, s6
	s_lshl_b64 s[16:17], s[16:17], 3
	s_add_u32 s9, s12, s16
	s_addc_u32 s12, s13, s17
	s_lshl_b64 s[4:5], s[4:5], 3
	s_add_u32 s4, s9, s4
	s_addc_u32 s5, s12, s5
	v_lshlrev_b32_e32 v21, 3, v0
	s_add_i32 s9, s15, s15
	v_mov_b32_e32 v2, s5
	v_add_co_u32_e32 v1, vcc, s4, v21
	s_ashr_i32 s13, s15, 31
	s_mov_b32 s12, s15
	v_add_u32_e32 v7, s9, v0
	v_addc_co_u32_e32 v2, vcc, 0, v2, vcc
	s_lshl_b64 s[12:13], s[12:13], 3
	v_ashrrev_i32_e32 v8, 31, v7
	v_mov_b32_e32 v4, s13
	v_add_co_u32_e32 v3, vcc, s12, v1
	v_lshlrev_b64 v[5:6], 3, v[7:8]
	v_addc_co_u32_e32 v4, vcc, v2, v4, vcc
	v_add_u32_e32 v9, s15, v7
	v_mov_b32_e32 v8, s5
	v_add_co_u32_e32 v5, vcc, s4, v5
	v_ashrrev_i32_e32 v10, 31, v9
	v_addc_co_u32_e32 v6, vcc, v8, v6, vcc
	v_lshlrev_b64 v[7:8], 3, v[9:10]
	v_add_u32_e32 v11, s15, v9
	v_mov_b32_e32 v10, s5
	v_add_co_u32_e32 v7, vcc, s4, v7
	v_ashrrev_i32_e32 v12, 31, v11
	v_addc_co_u32_e32 v8, vcc, v10, v8, vcc
	v_lshlrev_b64 v[9:10], 3, v[11:12]
	;; [unrolled: 6-line block ×5, first 2 shown]
	v_mov_b32_e32 v18, s5
	v_add_co_u32_e32 v15, vcc, s4, v15
	global_load_dwordx2 v[19:20], v21, s[4:5]
	global_load_dwordx2 v[22:23], v[3:4], off
	global_load_dwordx2 v[24:25], v[5:6], off
	;; [unrolled: 1-line block ×4, first 2 shown]
	v_addc_co_u32_e32 v16, vcc, v18, v16, vcc
	global_load_dwordx2 v[30:31], v[11:12], off
	global_load_dwordx2 v[32:33], v[13:14], off
	;; [unrolled: 1-line block ×3, first 2 shown]
	v_add_u32_e32 v17, s15, v17
	v_ashrrev_i32_e32 v18, 31, v17
	v_lshlrev_b64 v[17:18], 3, v[17:18]
	v_mov_b32_e32 v36, s5
	v_add_co_u32_e32 v17, vcc, s4, v17
	v_addc_co_u32_e32 v18, vcc, v36, v18, vcc
	global_load_dwordx2 v[36:37], v[17:18], off
	s_bitcmp0_b32 s8, 0
	s_mov_b64 s[8:9], -1
	s_waitcnt vmcnt(8)
	buffer_store_dword v20, off, s[0:3], 0 offset:4
	buffer_store_dword v19, off, s[0:3], 0
	s_waitcnt vmcnt(9)
	buffer_store_dword v23, off, s[0:3], 0 offset:12
	buffer_store_dword v22, off, s[0:3], 0 offset:8
	s_waitcnt vmcnt(10)
	buffer_store_dword v25, off, s[0:3], 0 offset:20
	buffer_store_dword v24, off, s[0:3], 0 offset:16
	;; [unrolled: 3-line block ×8, first 2 shown]
	s_cbranch_scc1 .LBB8_48
; %bb.4:
	v_cmp_eq_u32_e64 s[4:5], 0, v0
	s_and_saveexec_b64 s[8:9], s[4:5]
; %bb.5:
	v_mov_b32_e32 v19, 0
	ds_write_b32 v19, v19 offset:72
; %bb.6:
	s_or_b64 exec, exec, s[8:9]
	v_mov_b32_e32 v19, 0
	v_lshl_add_u32 v23, v0, 3, v19
	s_waitcnt lgkmcnt(0)
	; wave barrier
	buffer_load_dword v19, v23, s[0:3], 0 offen
	buffer_load_dword v20, v23, s[0:3], 0 offen offset:4
	s_waitcnt vmcnt(1)
	v_cmp_eq_f32_e32 vcc, 0, v19
	s_waitcnt vmcnt(0)
	v_cmp_eq_f32_e64 s[8:9], 0, v20
	s_and_b64 s[8:9], vcc, s[8:9]
	s_and_saveexec_b64 s[12:13], s[8:9]
	s_cbranch_execz .LBB8_10
; %bb.7:
	v_mov_b32_e32 v19, 0
	ds_read_b32 v22, v19 offset:72
	v_add_u32_e32 v20, 1, v0
	s_waitcnt lgkmcnt(0)
	v_readfirstlane_b32 s8, v22
	s_cmp_eq_u32 s8, 0
	s_cselect_b64 s[14:15], -1, 0
	v_cmp_gt_i32_e32 vcc, s8, v20
	s_or_b64 s[14:15], s[14:15], vcc
	s_and_b64 exec, exec, s[14:15]
	s_cbranch_execz .LBB8_10
; %bb.8:
	s_mov_b64 s[14:15], 0
	v_mov_b32_e32 v22, s8
.LBB8_9:                                ; =>This Inner Loop Header: Depth=1
	ds_cmpst_rtn_b32 v22, v19, v22, v20 offset:72
	s_waitcnt lgkmcnt(0)
	v_cmp_ne_u32_e32 vcc, 0, v22
	v_cmp_le_i32_e64 s[8:9], v22, v20
	s_and_b64 s[8:9], vcc, s[8:9]
	s_and_b64 s[8:9], exec, s[8:9]
	s_or_b64 s[14:15], s[8:9], s[14:15]
	s_andn2_b64 exec, exec, s[14:15]
	s_cbranch_execnz .LBB8_9
.LBB8_10:
	s_or_b64 exec, exec, s[12:13]
	v_mov_b32_e32 v20, 0
	; wave barrier
	ds_read_b32 v19, v20 offset:72
	s_and_saveexec_b64 s[8:9], s[4:5]
	s_cbranch_execz .LBB8_12
; %bb.11:
	s_lshl_b64 s[12:13], s[6:7], 2
	s_add_u32 s12, s10, s12
	s_addc_u32 s13, s11, s13
	s_waitcnt lgkmcnt(0)
	global_store_dword v20, v19, s[12:13]
.LBB8_12:
	s_or_b64 exec, exec, s[8:9]
	s_waitcnt lgkmcnt(0)
	v_cmp_ne_u32_e32 vcc, 0, v19
	s_mov_b64 s[8:9], 0
	s_cbranch_vccnz .LBB8_48
; %bb.13:
	buffer_load_dword v20, v23, s[0:3], 0 offen
	buffer_load_dword v22, v23, s[0:3], 0 offen offset:4
                                        ; implicit-def: $vgpr25
                                        ; implicit-def: $vgpr24
                                        ; implicit-def: $vgpr19
	s_waitcnt vmcnt(0)
	v_cmp_ngt_f32_e64 s[8:9], |v20|, |v22|
	s_and_saveexec_b64 s[12:13], s[8:9]
	s_xor_b64 s[8:9], exec, s[12:13]
	s_cbranch_execz .LBB8_15
; %bb.14:
	v_div_scale_f32 v19, s[12:13], v22, v22, v20
	v_div_scale_f32 v24, vcc, v20, v22, v20
	v_rcp_f32_e32 v25, v19
	v_fma_f32 v26, -v19, v25, 1.0
	v_fmac_f32_e32 v25, v26, v25
	v_mul_f32_e32 v26, v24, v25
	v_fma_f32 v27, -v19, v26, v24
	v_fmac_f32_e32 v26, v27, v25
	v_fma_f32 v19, -v19, v26, v24
	v_div_fmas_f32 v19, v19, v25, v26
	v_div_fixup_f32 v19, v19, v22, v20
	v_fmac_f32_e32 v22, v20, v19
	v_div_scale_f32 v20, s[12:13], v22, v22, 1.0
	v_div_scale_f32 v24, vcc, 1.0, v22, 1.0
	v_rcp_f32_e32 v25, v20
	v_fma_f32 v26, -v20, v25, 1.0
	v_fmac_f32_e32 v25, v26, v25
	v_mul_f32_e32 v26, v24, v25
	v_fma_f32 v27, -v20, v26, v24
	v_fmac_f32_e32 v26, v27, v25
	v_fma_f32 v20, -v20, v26, v24
	v_div_fmas_f32 v20, v20, v25, v26
	v_div_fixup_f32 v20, v20, v22, 1.0
	v_mul_f32_e32 v25, v19, v20
	v_xor_b32_e32 v24, 0x80000000, v20
	v_xor_b32_e32 v19, 0x80000000, v25
                                        ; implicit-def: $vgpr20
                                        ; implicit-def: $vgpr22
.LBB8_15:
	s_andn2_saveexec_b64 s[8:9], s[8:9]
	s_cbranch_execz .LBB8_17
; %bb.16:
	v_div_scale_f32 v19, s[12:13], v20, v20, v22
	v_div_scale_f32 v24, vcc, v22, v20, v22
	v_rcp_f32_e32 v25, v19
	v_fma_f32 v26, -v19, v25, 1.0
	v_fmac_f32_e32 v25, v26, v25
	v_mul_f32_e32 v26, v24, v25
	v_fma_f32 v27, -v19, v26, v24
	v_fmac_f32_e32 v26, v27, v25
	v_fma_f32 v19, -v19, v26, v24
	v_div_fmas_f32 v19, v19, v25, v26
	v_div_fixup_f32 v24, v19, v20, v22
	v_fmac_f32_e32 v20, v22, v24
	v_div_scale_f32 v19, s[12:13], v20, v20, 1.0
	v_div_scale_f32 v22, vcc, 1.0, v20, 1.0
	v_rcp_f32_e32 v25, v19
	v_fma_f32 v26, -v19, v25, 1.0
	v_fmac_f32_e32 v25, v26, v25
	v_mul_f32_e32 v26, v22, v25
	v_fma_f32 v27, -v19, v26, v22
	v_fmac_f32_e32 v26, v27, v25
	v_fma_f32 v19, -v19, v26, v22
	v_div_fmas_f32 v19, v19, v25, v26
	v_div_fixup_f32 v25, v19, v20, 1.0
	v_xor_b32_e32 v19, 0x80000000, v25
	v_mul_f32_e64 v24, v24, -v25
.LBB8_17:
	s_or_b64 exec, exec, s[8:9]
	buffer_store_dword v25, v23, s[0:3], 0 offen
	buffer_store_dword v24, v23, s[0:3], 0 offen offset:4
	buffer_load_dword v26, off, s[0:3], 0 offset:12
	s_nop 0
	buffer_load_dword v25, off, s[0:3], 0 offset:8
	v_xor_b32_e32 v20, 0x80000000, v24
	v_add_u32_e32 v22, 0x50, v21
	s_waitcnt vmcnt(0)
	ds_write2_b64 v21, v[19:20], v[25:26] offset1:10
	s_waitcnt lgkmcnt(0)
	; wave barrier
	s_and_saveexec_b64 s[8:9], s[4:5]
	s_cbranch_execz .LBB8_19
; %bb.18:
	buffer_load_dword v24, v23, s[0:3], 0 offen
	buffer_load_dword v25, v23, s[0:3], 0 offen offset:4
	ds_read_b64 v[19:20], v22
	s_waitcnt vmcnt(0) lgkmcnt(0)
	v_mul_f32_e32 v26, v20, v25
	v_fma_f32 v26, v19, v24, -v26
	v_mul_f32_e32 v19, v19, v25
	v_fmac_f32_e32 v19, v20, v24
	v_add_f32_e32 v25, 0, v19
	v_mov_b32_e32 v19, 0
	ds_read_b64 v[19:20], v19 offset:8
	v_add_f32_e32 v24, 0, v26
	s_waitcnt lgkmcnt(0)
	v_mul_f32_e32 v26, v25, v20
	v_fma_f32 v26, v24, v19, -v26
	v_mul_f32_e32 v20, v24, v20
	v_fmac_f32_e32 v20, v25, v19
	buffer_store_dword v26, off, s[0:3], 0 offset:8
	buffer_store_dword v20, off, s[0:3], 0 offset:12
.LBB8_19:
	s_or_b64 exec, exec, s[8:9]
	; wave barrier
	buffer_load_dword v19, off, s[0:3], 0 offset:16
	buffer_load_dword v20, off, s[0:3], 0 offset:20
	v_cmp_gt_u32_e32 vcc, 2, v0
	s_waitcnt vmcnt(0)
	ds_write_b64 v22, v[19:20]
	s_waitcnt lgkmcnt(0)
	; wave barrier
	s_and_saveexec_b64 s[8:9], vcc
	s_cbranch_execz .LBB8_23
; %bb.20:
	buffer_load_dword v24, v23, s[0:3], 0 offen offset:4
	buffer_load_dword v25, v23, s[0:3], 0 offen
	ds_read_b64 v[19:20], v22
	s_waitcnt vmcnt(1) lgkmcnt(0)
	v_mul_f32_e32 v23, v20, v24
	v_mul_f32_e32 v24, v19, v24
	s_waitcnt vmcnt(0)
	v_fma_f32 v19, v19, v25, -v23
	v_fmac_f32_e32 v24, v20, v25
	v_add_f32_e32 v20, 0, v19
	v_add_f32_e32 v19, 0, v24
	s_and_saveexec_b64 s[12:13], s[4:5]
	s_cbranch_execz .LBB8_22
; %bb.21:
	v_mov_b32_e32 v23, 0
	ds_read_b64 v[23:24], v23 offset:88
	buffer_load_dword v25, off, s[0:3], 0 offset:8
	buffer_load_dword v26, off, s[0:3], 0 offset:12
	s_waitcnt vmcnt(0) lgkmcnt(0)
	v_mul_f32_e32 v27, v23, v26
	v_fmac_f32_e32 v27, v24, v25
	v_mul_f32_e32 v24, v24, v26
	v_fma_f32 v23, v23, v25, -v24
	v_add_f32_e32 v19, v19, v27
	v_add_f32_e32 v20, v20, v23
.LBB8_22:
	s_or_b64 exec, exec, s[12:13]
	v_mov_b32_e32 v23, 0
	ds_read_b64 v[23:24], v23 offset:16
	s_waitcnt lgkmcnt(0)
	v_mul_f32_e32 v25, v19, v24
	v_mul_f32_e32 v24, v20, v24
	v_fma_f32 v20, v20, v23, -v25
	v_fmac_f32_e32 v24, v19, v23
	buffer_store_dword v20, off, s[0:3], 0 offset:16
	buffer_store_dword v24, off, s[0:3], 0 offset:20
.LBB8_23:
	s_or_b64 exec, exec, s[8:9]
	; wave barrier
	buffer_load_dword v19, off, s[0:3], 0 offset:24
	buffer_load_dword v20, off, s[0:3], 0 offset:28
	v_cmp_gt_u32_e32 vcc, 3, v0
	s_waitcnt vmcnt(0)
	ds_write_b64 v22, v[19:20]
	v_add_u32_e32 v19, -1, v0
	s_waitcnt lgkmcnt(0)
	; wave barrier
	s_and_saveexec_b64 s[4:5], vcc
	s_cbranch_execz .LBB8_27
; %bb.24:
	v_add_u32_e32 v23, -1, v0
	v_add_u32_e32 v24, 0x50, v21
	v_mov_b32_e32 v25, v21
	v_mov_b32_e32 v20, 0
	s_mov_b64 s[8:9], 0
	v_mov_b32_e32 v26, 0
.LBB8_25:                               ; =>This Inner Loop Header: Depth=1
	buffer_load_dword v29, v25, s[0:3], 0 offen offset:4
	buffer_load_dword v30, v25, s[0:3], 0 offen
	ds_read_b64 v[27:28], v24
	v_add_u32_e32 v23, 1, v23
	v_cmp_lt_u32_e32 vcc, 1, v23
	v_add_u32_e32 v24, 8, v24
	v_add_u32_e32 v25, 8, v25
	s_or_b64 s[8:9], vcc, s[8:9]
	s_waitcnt vmcnt(1) lgkmcnt(0)
	v_mul_f32_e32 v31, v28, v29
	v_mul_f32_e32 v29, v27, v29
	s_waitcnt vmcnt(0)
	v_fma_f32 v27, v27, v30, -v31
	v_fmac_f32_e32 v29, v28, v30
	v_add_f32_e32 v26, v26, v27
	v_add_f32_e32 v20, v20, v29
	s_andn2_b64 exec, exec, s[8:9]
	s_cbranch_execnz .LBB8_25
; %bb.26:
	s_or_b64 exec, exec, s[8:9]
	v_mov_b32_e32 v23, 0
	ds_read_b64 v[23:24], v23 offset:24
	s_waitcnt lgkmcnt(0)
	v_mul_f32_e32 v25, v20, v24
	v_mul_f32_e32 v24, v26, v24
	v_fma_f32 v25, v26, v23, -v25
	v_fmac_f32_e32 v24, v20, v23
	buffer_store_dword v25, off, s[0:3], 0 offset:24
	buffer_store_dword v24, off, s[0:3], 0 offset:28
.LBB8_27:
	s_or_b64 exec, exec, s[4:5]
	; wave barrier
	buffer_load_dword v23, off, s[0:3], 0 offset:32
	buffer_load_dword v24, off, s[0:3], 0 offset:36
	v_cmp_gt_u32_e32 vcc, 4, v0
	s_waitcnt vmcnt(0)
	ds_write_b64 v22, v[23:24]
	s_waitcnt lgkmcnt(0)
	; wave barrier
	s_and_saveexec_b64 s[4:5], vcc
	s_cbranch_execz .LBB8_31
; %bb.28:
	v_add_u32_e32 v23, -1, v0
	v_add_u32_e32 v24, 0x50, v21
	v_mov_b32_e32 v25, v21
	v_mov_b32_e32 v20, 0
	s_mov_b64 s[8:9], 0
	v_mov_b32_e32 v26, 0
.LBB8_29:                               ; =>This Inner Loop Header: Depth=1
	buffer_load_dword v29, v25, s[0:3], 0 offen offset:4
	buffer_load_dword v30, v25, s[0:3], 0 offen
	ds_read_b64 v[27:28], v24
	v_add_u32_e32 v23, 1, v23
	v_cmp_lt_u32_e32 vcc, 2, v23
	v_add_u32_e32 v24, 8, v24
	v_add_u32_e32 v25, 8, v25
	s_or_b64 s[8:9], vcc, s[8:9]
	s_waitcnt vmcnt(1) lgkmcnt(0)
	v_mul_f32_e32 v31, v28, v29
	v_mul_f32_e32 v29, v27, v29
	s_waitcnt vmcnt(0)
	v_fma_f32 v27, v27, v30, -v31
	v_fmac_f32_e32 v29, v28, v30
	v_add_f32_e32 v26, v26, v27
	v_add_f32_e32 v20, v20, v29
	s_andn2_b64 exec, exec, s[8:9]
	s_cbranch_execnz .LBB8_29
; %bb.30:
	s_or_b64 exec, exec, s[8:9]
	v_mov_b32_e32 v23, 0
	ds_read_b64 v[23:24], v23 offset:32
	s_waitcnt lgkmcnt(0)
	v_mul_f32_e32 v25, v20, v24
	v_mul_f32_e32 v24, v26, v24
	v_fma_f32 v25, v26, v23, -v25
	v_fmac_f32_e32 v24, v20, v23
	buffer_store_dword v25, off, s[0:3], 0 offset:32
	buffer_store_dword v24, off, s[0:3], 0 offset:36
.LBB8_31:
	s_or_b64 exec, exec, s[4:5]
	; wave barrier
	buffer_load_dword v23, off, s[0:3], 0 offset:40
	buffer_load_dword v24, off, s[0:3], 0 offset:44
	v_cmp_gt_u32_e32 vcc, 5, v0
	s_waitcnt vmcnt(0)
	ds_write_b64 v22, v[23:24]
	;; [unrolled: 49-line block ×4, first 2 shown]
	s_waitcnt lgkmcnt(0)
	; wave barrier
	s_and_saveexec_b64 s[4:5], vcc
	s_cbranch_execz .LBB8_43
; %bb.40:
	v_add_u32_e32 v23, -1, v0
	v_add_u32_e32 v24, 0x50, v21
	v_mov_b32_e32 v25, v21
	v_mov_b32_e32 v20, 0
	s_mov_b64 s[8:9], 0
	v_mov_b32_e32 v26, 0
.LBB8_41:                               ; =>This Inner Loop Header: Depth=1
	buffer_load_dword v29, v25, s[0:3], 0 offen offset:4
	buffer_load_dword v30, v25, s[0:3], 0 offen
	ds_read_b64 v[27:28], v24
	v_add_u32_e32 v23, 1, v23
	v_cmp_lt_u32_e32 vcc, 5, v23
	v_add_u32_e32 v24, 8, v24
	v_add_u32_e32 v25, 8, v25
	s_or_b64 s[8:9], vcc, s[8:9]
	s_waitcnt vmcnt(1) lgkmcnt(0)
	v_mul_f32_e32 v31, v28, v29
	v_mul_f32_e32 v29, v27, v29
	s_waitcnt vmcnt(0)
	v_fma_f32 v27, v27, v30, -v31
	v_fmac_f32_e32 v29, v28, v30
	v_add_f32_e32 v26, v26, v27
	v_add_f32_e32 v20, v20, v29
	s_andn2_b64 exec, exec, s[8:9]
	s_cbranch_execnz .LBB8_41
; %bb.42:
	s_or_b64 exec, exec, s[8:9]
	v_mov_b32_e32 v23, 0
	ds_read_b64 v[23:24], v23 offset:56
	s_waitcnt lgkmcnt(0)
	v_mul_f32_e32 v25, v20, v24
	v_mul_f32_e32 v24, v26, v24
	v_fma_f32 v25, v26, v23, -v25
	v_fmac_f32_e32 v24, v20, v23
	buffer_store_dword v25, off, s[0:3], 0 offset:56
	buffer_store_dword v24, off, s[0:3], 0 offset:60
.LBB8_43:
	s_or_b64 exec, exec, s[4:5]
	; wave barrier
	buffer_load_dword v23, off, s[0:3], 0 offset:64
	buffer_load_dword v24, off, s[0:3], 0 offset:68
	v_cmp_ne_u32_e32 vcc, 8, v0
	s_waitcnt vmcnt(0)
	ds_write_b64 v22, v[23:24]
	s_waitcnt lgkmcnt(0)
	; wave barrier
	s_and_saveexec_b64 s[4:5], vcc
	s_cbranch_execz .LBB8_47
; %bb.44:
	v_add_u32_e32 v22, 0x50, v21
	v_mov_b32_e32 v20, 0
	s_mov_b64 s[8:9], 0
	v_mov_b32_e32 v23, 0
.LBB8_45:                               ; =>This Inner Loop Header: Depth=1
	buffer_load_dword v26, v21, s[0:3], 0 offen offset:4
	buffer_load_dword v27, v21, s[0:3], 0 offen
	ds_read_b64 v[24:25], v22
	v_add_u32_e32 v19, 1, v19
	v_cmp_lt_u32_e32 vcc, 6, v19
	v_add_u32_e32 v22, 8, v22
	v_add_u32_e32 v21, 8, v21
	s_or_b64 s[8:9], vcc, s[8:9]
	s_waitcnt vmcnt(1) lgkmcnt(0)
	v_mul_f32_e32 v28, v25, v26
	v_mul_f32_e32 v26, v24, v26
	s_waitcnt vmcnt(0)
	v_fma_f32 v24, v24, v27, -v28
	v_fmac_f32_e32 v26, v25, v27
	v_add_f32_e32 v23, v23, v24
	v_add_f32_e32 v20, v20, v26
	s_andn2_b64 exec, exec, s[8:9]
	s_cbranch_execnz .LBB8_45
; %bb.46:
	s_or_b64 exec, exec, s[8:9]
	v_mov_b32_e32 v19, 0
	ds_read_b64 v[21:22], v19 offset:64
	s_waitcnt lgkmcnt(0)
	v_mul_f32_e32 v19, v20, v22
	v_mul_f32_e32 v22, v23, v22
	v_fma_f32 v19, v23, v21, -v19
	v_fmac_f32_e32 v22, v20, v21
	buffer_store_dword v19, off, s[0:3], 0 offset:64
	buffer_store_dword v22, off, s[0:3], 0 offset:68
.LBB8_47:
	s_or_b64 exec, exec, s[4:5]
	s_mov_b64 s[8:9], -1
	; wave barrier
.LBB8_48:
	s_and_b64 vcc, exec, s[8:9]
	s_cbranch_vccz .LBB8_50
; %bb.49:
	s_lshl_b64 s[4:5], s[6:7], 2
	s_add_u32 s4, s10, s4
	s_addc_u32 s5, s11, s5
	v_mov_b32_e32 v19, 0
	global_load_dword v19, v19, s[4:5]
	s_waitcnt vmcnt(0)
	v_cmp_ne_u32_e32 vcc, 0, v19
	s_cbranch_vccz .LBB8_51
.LBB8_50:
	s_endpgm
.LBB8_51:
	v_mov_b32_e32 v19, 0x50
	v_lshl_add_u32 v19, v0, 3, v19
	v_cmp_eq_u32_e32 vcc, 8, v0
	s_and_saveexec_b64 s[4:5], vcc
	s_cbranch_execz .LBB8_53
; %bb.52:
	buffer_load_dword v20, off, s[0:3], 0 offset:56
	buffer_load_dword v21, off, s[0:3], 0 offset:60
	v_mov_b32_e32 v22, 0
	buffer_store_dword v22, off, s[0:3], 0 offset:56
	buffer_store_dword v22, off, s[0:3], 0 offset:60
	s_waitcnt vmcnt(2)
	ds_write_b64 v19, v[20:21]
.LBB8_53:
	s_or_b64 exec, exec, s[4:5]
	s_waitcnt lgkmcnt(0)
	; wave barrier
	buffer_load_dword v23, off, s[0:3], 0 offset:68
	buffer_load_dword v24, off, s[0:3], 0 offset:64
	;; [unrolled: 1-line block ×4, first 2 shown]
	v_mov_b32_e32 v20, 0
	ds_read_b64 v[21:22], v20 offset:144
	v_cmp_lt_u32_e32 vcc, 6, v0
	s_waitcnt vmcnt(3) lgkmcnt(0)
	v_mul_f32_e32 v27, v21, v23
	v_mul_f32_e32 v23, v22, v23
	s_waitcnt vmcnt(2)
	v_fma_f32 v21, v21, v24, -v23
	v_fmac_f32_e32 v27, v22, v24
	v_add_f32_e32 v21, 0, v21
	v_add_f32_e32 v22, 0, v27
	s_waitcnt vmcnt(1)
	v_sub_f32_e32 v21, v25, v21
	s_waitcnt vmcnt(0)
	v_sub_f32_e32 v22, v26, v22
	buffer_store_dword v21, off, s[0:3], 0 offset:56
	buffer_store_dword v22, off, s[0:3], 0 offset:60
	s_and_saveexec_b64 s[4:5], vcc
	s_cbranch_execz .LBB8_55
; %bb.54:
	buffer_load_dword v21, off, s[0:3], 0 offset:48
	buffer_load_dword v22, off, s[0:3], 0 offset:52
	s_waitcnt vmcnt(0)
	ds_write_b64 v19, v[21:22]
	buffer_store_dword v20, off, s[0:3], 0 offset:48
	buffer_store_dword v20, off, s[0:3], 0 offset:52
.LBB8_55:
	s_or_b64 exec, exec, s[4:5]
	s_waitcnt lgkmcnt(0)
	; wave barrier
	buffer_load_dword v24, off, s[0:3], 0 offset:60
	buffer_load_dword v25, off, s[0:3], 0 offset:68
	;; [unrolled: 1-line block ×6, first 2 shown]
	ds_read2_b64 v[20:23], v20 offset0:17 offset1:18
	v_cmp_lt_u32_e32 vcc, 5, v0
	s_waitcnt vmcnt(5) lgkmcnt(0)
	v_mul_f32_e32 v30, v20, v24
	v_mul_f32_e32 v24, v21, v24
	s_waitcnt vmcnt(4)
	v_mul_f32_e32 v31, v22, v25
	v_mul_f32_e32 v25, v23, v25
	s_waitcnt vmcnt(3)
	v_fma_f32 v20, v20, v26, -v24
	v_fmac_f32_e32 v30, v21, v26
	s_waitcnt vmcnt(2)
	v_fma_f32 v21, v22, v27, -v25
	v_add_f32_e32 v20, 0, v20
	v_fmac_f32_e32 v31, v23, v27
	v_add_f32_e32 v22, 0, v30
	v_add_f32_e32 v20, v20, v21
	;; [unrolled: 1-line block ×3, first 2 shown]
	s_waitcnt vmcnt(1)
	v_sub_f32_e32 v20, v28, v20
	s_waitcnt vmcnt(0)
	v_sub_f32_e32 v21, v29, v22
	buffer_store_dword v20, off, s[0:3], 0 offset:48
	buffer_store_dword v21, off, s[0:3], 0 offset:52
	s_and_saveexec_b64 s[4:5], vcc
	s_cbranch_execz .LBB8_57
; %bb.56:
	buffer_load_dword v20, off, s[0:3], 0 offset:40
	buffer_load_dword v21, off, s[0:3], 0 offset:44
	v_mov_b32_e32 v22, 0
	buffer_store_dword v22, off, s[0:3], 0 offset:40
	buffer_store_dword v22, off, s[0:3], 0 offset:44
	s_waitcnt vmcnt(2)
	ds_write_b64 v19, v[20:21]
.LBB8_57:
	s_or_b64 exec, exec, s[4:5]
	s_waitcnt lgkmcnt(0)
	; wave barrier
	buffer_load_dword v27, off, s[0:3], 0 offset:52
	buffer_load_dword v28, off, s[0:3], 0 offset:60
	;; [unrolled: 1-line block ×8, first 2 shown]
	v_mov_b32_e32 v20, 0
	ds_read_b128 v[21:24], v20 offset:128
	ds_read_b64 v[25:26], v20 offset:144
	v_cmp_lt_u32_e32 vcc, 4, v0
	s_waitcnt vmcnt(7) lgkmcnt(1)
	v_mul_f32_e32 v35, v21, v27
	v_mul_f32_e32 v27, v22, v27
	s_waitcnt vmcnt(6)
	v_mul_f32_e32 v36, v23, v28
	v_mul_f32_e32 v28, v24, v28
	s_waitcnt vmcnt(4)
	v_fma_f32 v21, v21, v30, -v27
	s_waitcnt lgkmcnt(0)
	v_mul_f32_e32 v37, v25, v29
	v_mul_f32_e32 v29, v26, v29
	v_fmac_f32_e32 v35, v22, v30
	s_waitcnt vmcnt(3)
	v_fma_f32 v22, v23, v31, -v28
	v_add_f32_e32 v21, 0, v21
	v_fmac_f32_e32 v36, v24, v31
	s_waitcnt vmcnt(2)
	v_fma_f32 v23, v25, v32, -v29
	v_add_f32_e32 v24, 0, v35
	v_add_f32_e32 v21, v21, v22
	v_fmac_f32_e32 v37, v26, v32
	v_add_f32_e32 v24, v24, v36
	v_add_f32_e32 v21, v21, v23
	;; [unrolled: 1-line block ×3, first 2 shown]
	s_waitcnt vmcnt(1)
	v_sub_f32_e32 v21, v33, v21
	s_waitcnt vmcnt(0)
	v_sub_f32_e32 v22, v34, v22
	buffer_store_dword v21, off, s[0:3], 0 offset:40
	buffer_store_dword v22, off, s[0:3], 0 offset:44
	s_and_saveexec_b64 s[4:5], vcc
	s_cbranch_execz .LBB8_59
; %bb.58:
	buffer_load_dword v21, off, s[0:3], 0 offset:32
	buffer_load_dword v22, off, s[0:3], 0 offset:36
	s_waitcnt vmcnt(0)
	ds_write_b64 v19, v[21:22]
	buffer_store_dword v20, off, s[0:3], 0 offset:32
	buffer_store_dword v20, off, s[0:3], 0 offset:36
.LBB8_59:
	s_or_b64 exec, exec, s[4:5]
	s_waitcnt lgkmcnt(0)
	; wave barrier
	buffer_load_dword v29, off, s[0:3], 0 offset:44
	buffer_load_dword v30, off, s[0:3], 0 offset:52
	;; [unrolled: 1-line block ×10, first 2 shown]
	ds_read2_b64 v[21:24], v20 offset0:15 offset1:16
	ds_read2_b64 v[25:28], v20 offset0:17 offset1:18
	v_cmp_lt_u32_e32 vcc, 3, v0
	s_waitcnt vmcnt(9) lgkmcnt(1)
	v_mul_f32_e32 v20, v21, v29
	v_mul_f32_e32 v29, v22, v29
	s_waitcnt vmcnt(8)
	v_mul_f32_e32 v39, v23, v30
	v_mul_f32_e32 v30, v24, v30
	s_waitcnt vmcnt(5)
	v_fma_f32 v21, v21, v33, -v29
	s_waitcnt lgkmcnt(0)
	v_mul_f32_e32 v40, v25, v31
	v_mul_f32_e32 v31, v26, v31
	v_fmac_f32_e32 v20, v22, v33
	s_waitcnt vmcnt(4)
	v_fma_f32 v22, v23, v34, -v30
	v_add_f32_e32 v21, 0, v21
	v_mul_f32_e32 v41, v27, v32
	v_mul_f32_e32 v32, v28, v32
	v_fmac_f32_e32 v39, v24, v34
	s_waitcnt vmcnt(3)
	v_fma_f32 v23, v25, v35, -v31
	v_add_f32_e32 v20, 0, v20
	v_add_f32_e32 v21, v21, v22
	v_fmac_f32_e32 v40, v26, v35
	s_waitcnt vmcnt(2)
	v_fma_f32 v24, v27, v36, -v32
	v_add_f32_e32 v20, v20, v39
	v_add_f32_e32 v21, v21, v23
	v_fmac_f32_e32 v41, v28, v36
	v_add_f32_e32 v20, v20, v40
	v_add_f32_e32 v21, v21, v24
	;; [unrolled: 1-line block ×3, first 2 shown]
	s_waitcnt vmcnt(1)
	v_sub_f32_e32 v21, v37, v21
	s_waitcnt vmcnt(0)
	v_sub_f32_e32 v20, v38, v20
	buffer_store_dword v21, off, s[0:3], 0 offset:32
	buffer_store_dword v20, off, s[0:3], 0 offset:36
	s_and_saveexec_b64 s[4:5], vcc
	s_cbranch_execz .LBB8_61
; %bb.60:
	buffer_load_dword v20, off, s[0:3], 0 offset:24
	buffer_load_dword v21, off, s[0:3], 0 offset:28
	v_mov_b32_e32 v22, 0
	buffer_store_dword v22, off, s[0:3], 0 offset:24
	buffer_store_dword v22, off, s[0:3], 0 offset:28
	s_waitcnt vmcnt(2)
	ds_write_b64 v19, v[20:21]
.LBB8_61:
	s_or_b64 exec, exec, s[4:5]
	v_mov_b32_e32 v20, 0
	s_waitcnt lgkmcnt(0)
	; wave barrier
	ds_read_b128 v[21:24], v20 offset:112
	ds_read_b128 v[25:28], v20 offset:128
	ds_read_b64 v[29:30], v20 offset:144
	buffer_load_dword v31, off, s[0:3], 0 offset:24
	buffer_load_dword v32, off, s[0:3], 0 offset:28
	;; [unrolled: 1-line block ×12, first 2 shown]
	v_cmp_lt_u32_e32 vcc, 2, v0
	s_waitcnt vmcnt(8) lgkmcnt(2)
	v_mul_f32_e32 v43, v21, v34
	v_fmac_f32_e32 v43, v22, v33
	v_mul_f32_e32 v22, v22, v34
	v_fma_f32 v21, v21, v33, -v22
	s_waitcnt vmcnt(6)
	v_mul_f32_e32 v22, v24, v36
	v_mul_f32_e32 v44, v23, v36
	v_add_f32_e32 v21, 0, v21
	v_fma_f32 v22, v23, v35, -v22
	v_add_f32_e32 v43, 0, v43
	v_fmac_f32_e32 v44, v24, v35
	v_add_f32_e32 v21, v21, v22
	s_waitcnt vmcnt(4) lgkmcnt(1)
	v_mul_f32_e32 v22, v26, v38
	v_add_f32_e32 v43, v43, v44
	v_mul_f32_e32 v44, v25, v38
	v_fma_f32 v22, v25, v37, -v22
	v_fmac_f32_e32 v44, v26, v37
	v_add_f32_e32 v21, v21, v22
	s_waitcnt vmcnt(2)
	v_mul_f32_e32 v22, v28, v40
	v_add_f32_e32 v43, v43, v44
	v_mul_f32_e32 v44, v27, v40
	v_fma_f32 v22, v27, v39, -v22
	v_fmac_f32_e32 v44, v28, v39
	v_add_f32_e32 v21, v21, v22
	s_waitcnt vmcnt(0) lgkmcnt(0)
	v_mul_f32_e32 v22, v30, v42
	v_add_f32_e32 v43, v43, v44
	v_mul_f32_e32 v44, v29, v42
	v_fma_f32 v22, v29, v41, -v22
	v_fmac_f32_e32 v44, v30, v41
	v_add_f32_e32 v21, v21, v22
	v_add_f32_e32 v43, v43, v44
	v_sub_f32_e32 v21, v31, v21
	v_sub_f32_e32 v22, v32, v43
	buffer_store_dword v21, off, s[0:3], 0 offset:24
	buffer_store_dword v22, off, s[0:3], 0 offset:28
	s_and_saveexec_b64 s[4:5], vcc
	s_cbranch_execz .LBB8_63
; %bb.62:
	buffer_load_dword v21, off, s[0:3], 0 offset:16
	buffer_load_dword v22, off, s[0:3], 0 offset:20
	s_waitcnt vmcnt(0)
	ds_write_b64 v19, v[21:22]
	buffer_store_dword v20, off, s[0:3], 0 offset:16
	buffer_store_dword v20, off, s[0:3], 0 offset:20
.LBB8_63:
	s_or_b64 exec, exec, s[4:5]
	s_waitcnt lgkmcnt(0)
	; wave barrier
	buffer_load_dword v33, off, s[0:3], 0 offset:28
	buffer_load_dword v34, off, s[0:3], 0 offset:36
	;; [unrolled: 1-line block ×14, first 2 shown]
	ds_read2_b64 v[21:24], v20 offset0:13 offset1:14
	ds_read2_b64 v[25:28], v20 offset0:15 offset1:16
	;; [unrolled: 1-line block ×3, first 2 shown]
	v_cmp_lt_u32_e32 vcc, 1, v0
	s_waitcnt vmcnt(13) lgkmcnt(2)
	v_mul_f32_e32 v20, v21, v33
	v_mul_f32_e32 v33, v22, v33
	s_waitcnt vmcnt(12)
	v_mul_f32_e32 v47, v23, v34
	v_mul_f32_e32 v34, v24, v34
	s_waitcnt vmcnt(11) lgkmcnt(1)
	v_mul_f32_e32 v48, v25, v35
	v_mul_f32_e32 v35, v26, v35
	s_waitcnt vmcnt(7)
	v_fma_f32 v21, v21, v39, -v33
	v_fmac_f32_e32 v20, v22, v39
	s_waitcnt vmcnt(6)
	v_fma_f32 v22, v23, v40, -v34
	v_add_f32_e32 v21, 0, v21
	v_mul_f32_e32 v49, v27, v36
	v_mul_f32_e32 v36, v28, v36
	v_fmac_f32_e32 v47, v24, v40
	s_waitcnt vmcnt(5)
	v_fma_f32 v23, v25, v41, -v35
	v_add_f32_e32 v20, 0, v20
	v_add_f32_e32 v21, v21, v22
	s_waitcnt lgkmcnt(0)
	v_mul_f32_e32 v50, v29, v37
	v_mul_f32_e32 v37, v30, v37
	v_fmac_f32_e32 v48, v26, v41
	s_waitcnt vmcnt(4)
	v_fma_f32 v24, v27, v42, -v36
	v_add_f32_e32 v20, v20, v47
	v_add_f32_e32 v21, v21, v23
	v_mul_f32_e32 v51, v31, v38
	v_mul_f32_e32 v38, v32, v38
	v_fmac_f32_e32 v49, v28, v42
	s_waitcnt vmcnt(3)
	v_fma_f32 v25, v29, v43, -v37
	v_add_f32_e32 v20, v20, v48
	v_add_f32_e32 v21, v21, v24
	v_fmac_f32_e32 v50, v30, v43
	s_waitcnt vmcnt(2)
	v_fma_f32 v26, v31, v44, -v38
	v_add_f32_e32 v20, v20, v49
	v_add_f32_e32 v21, v21, v25
	v_fmac_f32_e32 v51, v32, v44
	v_add_f32_e32 v20, v20, v50
	v_add_f32_e32 v21, v21, v26
	;; [unrolled: 1-line block ×3, first 2 shown]
	s_waitcnt vmcnt(1)
	v_sub_f32_e32 v21, v45, v21
	s_waitcnt vmcnt(0)
	v_sub_f32_e32 v20, v46, v20
	buffer_store_dword v21, off, s[0:3], 0 offset:16
	buffer_store_dword v20, off, s[0:3], 0 offset:20
	s_and_saveexec_b64 s[4:5], vcc
	s_cbranch_execz .LBB8_65
; %bb.64:
	buffer_load_dword v20, off, s[0:3], 0 offset:8
	buffer_load_dword v21, off, s[0:3], 0 offset:12
	v_mov_b32_e32 v22, 0
	buffer_store_dword v22, off, s[0:3], 0 offset:8
	buffer_store_dword v22, off, s[0:3], 0 offset:12
	s_waitcnt vmcnt(2)
	ds_write_b64 v19, v[20:21]
.LBB8_65:
	s_or_b64 exec, exec, s[4:5]
	s_waitcnt lgkmcnt(0)
	; wave barrier
	buffer_load_dword v35, off, s[0:3], 0 offset:20
	buffer_load_dword v36, off, s[0:3], 0 offset:28
	;; [unrolled: 1-line block ×16, first 2 shown]
	v_mov_b32_e32 v20, 0
	ds_read_b128 v[21:24], v20 offset:96
	ds_read_b128 v[25:28], v20 offset:112
	;; [unrolled: 1-line block ×3, first 2 shown]
	ds_read_b64 v[33:34], v20 offset:144
	v_cmp_ne_u32_e32 vcc, 0, v0
	s_waitcnt vmcnt(15) lgkmcnt(3)
	v_mul_f32_e32 v51, v21, v35
	v_mul_f32_e32 v35, v22, v35
	s_waitcnt vmcnt(14)
	v_mul_f32_e32 v52, v23, v36
	v_mul_f32_e32 v36, v24, v36
	s_waitcnt vmcnt(13) lgkmcnt(2)
	v_mul_f32_e32 v53, v25, v37
	s_waitcnt vmcnt(12)
	v_mul_f32_e32 v54, v27, v38
	v_mul_f32_e32 v37, v26, v37
	s_waitcnt vmcnt(8)
	v_fma_f32 v21, v21, v42, -v35
	v_fmac_f32_e32 v51, v22, v42
	s_waitcnt vmcnt(7)
	v_fma_f32 v22, v23, v43, -v36
	v_add_f32_e32 v21, 0, v21
	v_mul_f32_e32 v38, v28, v38
	v_fmac_f32_e32 v52, v24, v43
	s_waitcnt vmcnt(5)
	v_fmac_f32_e32 v54, v28, v45
	v_fma_f32 v23, v25, v44, -v37
	v_add_f32_e32 v28, 0, v51
	v_add_f32_e32 v21, v21, v22
	s_waitcnt lgkmcnt(1)
	v_mul_f32_e32 v55, v29, v39
	v_mul_f32_e32 v39, v30, v39
	v_fmac_f32_e32 v53, v26, v44
	v_fma_f32 v24, v27, v45, -v38
	v_add_f32_e32 v28, v28, v52
	v_add_f32_e32 v21, v21, v23
	v_mul_f32_e32 v56, v31, v40
	v_mul_f32_e32 v40, v32, v40
	s_waitcnt vmcnt(4)
	v_fma_f32 v25, v29, v46, -v39
	v_add_f32_e32 v22, v28, v53
	v_add_f32_e32 v21, v21, v24
	s_waitcnt lgkmcnt(0)
	v_mul_f32_e32 v57, v33, v41
	v_mul_f32_e32 v41, v34, v41
	v_fmac_f32_e32 v55, v30, v46
	s_waitcnt vmcnt(3)
	v_fma_f32 v26, v31, v47, -v40
	v_add_f32_e32 v22, v22, v54
	v_add_f32_e32 v21, v21, v25
	v_fmac_f32_e32 v56, v32, v47
	s_waitcnt vmcnt(2)
	v_fma_f32 v27, v33, v48, -v41
	v_add_f32_e32 v22, v22, v55
	v_add_f32_e32 v21, v21, v26
	v_fmac_f32_e32 v57, v34, v48
	v_add_f32_e32 v22, v22, v56
	v_add_f32_e32 v21, v21, v27
	;; [unrolled: 1-line block ×3, first 2 shown]
	s_waitcnt vmcnt(1)
	v_sub_f32_e32 v21, v49, v21
	s_waitcnt vmcnt(0)
	v_sub_f32_e32 v22, v50, v22
	buffer_store_dword v21, off, s[0:3], 0 offset:8
	buffer_store_dword v22, off, s[0:3], 0 offset:12
	s_and_saveexec_b64 s[4:5], vcc
	s_cbranch_execz .LBB8_67
; %bb.66:
	buffer_load_dword v21, off, s[0:3], 0
	buffer_load_dword v22, off, s[0:3], 0 offset:4
	s_waitcnt vmcnt(0)
	ds_write_b64 v19, v[21:22]
	buffer_store_dword v20, off, s[0:3], 0
	buffer_store_dword v20, off, s[0:3], 0 offset:4
.LBB8_67:
	s_or_b64 exec, exec, s[4:5]
	s_waitcnt lgkmcnt(0)
	; wave barrier
	buffer_load_dword v37, off, s[0:3], 0 offset:12
	buffer_load_dword v38, off, s[0:3], 0 offset:20
	;; [unrolled: 1-line block ×16, first 2 shown]
	buffer_load_dword v51, off, s[0:3], 0
	buffer_load_dword v52, off, s[0:3], 0 offset:4
	ds_read2_b64 v[21:24], v20 offset0:11 offset1:12
	ds_read2_b64 v[25:28], v20 offset0:13 offset1:14
	;; [unrolled: 1-line block ×4, first 2 shown]
	s_and_b64 vcc, exec, s[22:23]
	s_waitcnt vmcnt(17) lgkmcnt(3)
	v_mul_f32_e32 v20, v21, v37
	v_mul_f32_e32 v37, v22, v37
	s_waitcnt vmcnt(16)
	v_mul_f32_e32 v53, v23, v38
	v_mul_f32_e32 v38, v24, v38
	s_waitcnt vmcnt(15) lgkmcnt(2)
	v_mul_f32_e32 v54, v25, v39
	v_mul_f32_e32 v39, v26, v39
	s_waitcnt vmcnt(14)
	v_mul_f32_e32 v55, v27, v40
	v_mul_f32_e32 v40, v28, v40
	s_waitcnt vmcnt(9)
	v_fma_f32 v21, v21, v44, -v37
	v_fmac_f32_e32 v20, v22, v44
	s_waitcnt vmcnt(8)
	v_fma_f32 v22, v23, v45, -v38
	v_add_f32_e32 v21, 0, v21
	v_fmac_f32_e32 v53, v24, v45
	s_waitcnt vmcnt(7)
	v_fma_f32 v23, v25, v46, -v39
	v_add_f32_e32 v20, 0, v20
	v_add_f32_e32 v21, v21, v22
	s_waitcnt lgkmcnt(1)
	v_mul_f32_e32 v56, v29, v41
	v_mul_f32_e32 v41, v30, v41
	v_fmac_f32_e32 v54, v26, v46
	s_waitcnt vmcnt(6)
	v_fma_f32 v24, v27, v47, -v40
	v_add_f32_e32 v20, v20, v53
	v_add_f32_e32 v21, v21, v23
	v_mul_f32_e32 v57, v31, v42
	v_mul_f32_e32 v42, v32, v42
	v_fmac_f32_e32 v55, v28, v47
	s_waitcnt vmcnt(5)
	v_fma_f32 v25, v29, v48, -v41
	v_add_f32_e32 v20, v20, v54
	v_add_f32_e32 v21, v21, v24
	s_waitcnt lgkmcnt(0)
	v_mul_f32_e32 v60, v34, v0
	v_fmac_f32_e32 v56, v30, v48
	s_waitcnt vmcnt(4)
	v_fma_f32 v26, v31, v49, -v42
	v_add_f32_e32 v20, v20, v55
	v_add_f32_e32 v21, v21, v25
	v_mul_f32_e32 v58, v33, v0
	v_mul_f32_e32 v59, v35, v43
	;; [unrolled: 1-line block ×3, first 2 shown]
	v_fmac_f32_e32 v57, v32, v49
	s_waitcnt vmcnt(3)
	v_fma_f32 v27, v33, v19, -v60
	v_add_f32_e32 v20, v20, v56
	v_add_f32_e32 v21, v21, v26
	v_fmac_f32_e32 v58, v34, v19
	s_waitcnt vmcnt(2)
	v_fma_f32 v28, v35, v50, -v43
	v_add_f32_e32 v20, v20, v57
	v_add_f32_e32 v21, v21, v27
	v_fmac_f32_e32 v59, v36, v50
	v_add_f32_e32 v20, v20, v58
	v_add_f32_e32 v21, v21, v28
	;; [unrolled: 1-line block ×3, first 2 shown]
	s_waitcnt vmcnt(1)
	v_sub_f32_e32 v21, v51, v21
	s_waitcnt vmcnt(0)
	v_sub_f32_e32 v20, v52, v20
	buffer_store_dword v21, off, s[0:3], 0
	buffer_store_dword v20, off, s[0:3], 0 offset:4
	s_cbranch_vccz .LBB8_84
; %bb.68:
	v_mov_b32_e32 v20, 0
	global_load_dword v21, v20, s[20:21] offset:28
	s_waitcnt vmcnt(0)
	v_add_u32_e32 v21, -1, v21
	v_cmp_ne_u32_e32 vcc, 7, v21
	s_cbranch_vccz .LBB8_70
; %bb.69:
	v_lshlrev_b32_e32 v21, 3, v21
	buffer_load_dword v22, v21, s[0:3], 0 offen
	buffer_load_dword v23, v21, s[0:3], 0 offen offset:4
	s_waitcnt vmcnt(1)
	buffer_store_dword v22, off, s[0:3], 0 offset:56
	s_waitcnt vmcnt(1)
	buffer_store_dword v23, off, s[0:3], 0 offset:60
	buffer_store_dword v19, v21, s[0:3], 0 offen
	buffer_store_dword v0, v21, s[0:3], 0 offen offset:4
.LBB8_70:
	global_load_dword v0, v20, s[20:21] offset:24
	s_waitcnt vmcnt(0)
	v_add_u32_e32 v0, -1, v0
	v_cmp_eq_u32_e32 vcc, 6, v0
	s_cbranch_vccnz .LBB8_72
; %bb.71:
	v_lshlrev_b32_e32 v0, 3, v0
	buffer_load_dword v19, v0, s[0:3], 0 offen
	buffer_load_dword v20, v0, s[0:3], 0 offen offset:4
	buffer_load_dword v21, off, s[0:3], 0 offset:52
	buffer_load_dword v22, off, s[0:3], 0 offset:48
	s_waitcnt vmcnt(3)
	buffer_store_dword v19, off, s[0:3], 0 offset:48
	s_waitcnt vmcnt(3)
	buffer_store_dword v20, off, s[0:3], 0 offset:52
	s_waitcnt vmcnt(3)
	buffer_store_dword v21, v0, s[0:3], 0 offen offset:4
	s_waitcnt vmcnt(3)
	buffer_store_dword v22, v0, s[0:3], 0 offen
.LBB8_72:
	v_mov_b32_e32 v0, 0
	global_load_dword v19, v0, s[20:21] offset:20
	s_waitcnt vmcnt(0)
	v_add_u32_e32 v19, -1, v19
	v_cmp_eq_u32_e32 vcc, 5, v19
	s_cbranch_vccnz .LBB8_74
; %bb.73:
	v_lshlrev_b32_e32 v19, 3, v19
	buffer_load_dword v20, v19, s[0:3], 0 offen
	buffer_load_dword v21, v19, s[0:3], 0 offen offset:4
	buffer_load_dword v22, off, s[0:3], 0 offset:40
	buffer_load_dword v23, off, s[0:3], 0 offset:44
	s_waitcnt vmcnt(3)
	buffer_store_dword v20, off, s[0:3], 0 offset:40
	s_waitcnt vmcnt(3)
	buffer_store_dword v21, off, s[0:3], 0 offset:44
	s_waitcnt vmcnt(3)
	buffer_store_dword v22, v19, s[0:3], 0 offen
	s_waitcnt vmcnt(3)
	buffer_store_dword v23, v19, s[0:3], 0 offen offset:4
.LBB8_74:
	global_load_dword v0, v0, s[20:21] offset:16
	s_waitcnt vmcnt(0)
	v_add_u32_e32 v0, -1, v0
	v_cmp_eq_u32_e32 vcc, 4, v0
	s_cbranch_vccnz .LBB8_76
; %bb.75:
	v_lshlrev_b32_e32 v0, 3, v0
	buffer_load_dword v19, v0, s[0:3], 0 offen
	buffer_load_dword v20, v0, s[0:3], 0 offen offset:4
	buffer_load_dword v21, off, s[0:3], 0 offset:36
	buffer_load_dword v22, off, s[0:3], 0 offset:32
	s_waitcnt vmcnt(3)
	buffer_store_dword v19, off, s[0:3], 0 offset:32
	s_waitcnt vmcnt(3)
	buffer_store_dword v20, off, s[0:3], 0 offset:36
	s_waitcnt vmcnt(3)
	buffer_store_dword v21, v0, s[0:3], 0 offen offset:4
	s_waitcnt vmcnt(3)
	buffer_store_dword v22, v0, s[0:3], 0 offen
.LBB8_76:
	v_mov_b32_e32 v0, 0
	global_load_dword v19, v0, s[20:21] offset:12
	s_waitcnt vmcnt(0)
	v_add_u32_e32 v19, -1, v19
	v_cmp_eq_u32_e32 vcc, 3, v19
	s_cbranch_vccnz .LBB8_78
; %bb.77:
	v_lshlrev_b32_e32 v19, 3, v19
	buffer_load_dword v20, v19, s[0:3], 0 offen
	buffer_load_dword v21, v19, s[0:3], 0 offen offset:4
	buffer_load_dword v22, off, s[0:3], 0 offset:24
	buffer_load_dword v23, off, s[0:3], 0 offset:28
	s_waitcnt vmcnt(3)
	buffer_store_dword v20, off, s[0:3], 0 offset:24
	s_waitcnt vmcnt(3)
	buffer_store_dword v21, off, s[0:3], 0 offset:28
	s_waitcnt vmcnt(3)
	buffer_store_dword v22, v19, s[0:3], 0 offen
	s_waitcnt vmcnt(3)
	buffer_store_dword v23, v19, s[0:3], 0 offen offset:4
.LBB8_78:
	;; [unrolled: 41-line block ×3, first 2 shown]
	global_load_dword v0, v0, s[20:21]
	s_waitcnt vmcnt(0)
	v_add_u32_e32 v0, -1, v0
	v_cmp_eq_u32_e32 vcc, 0, v0
	s_cbranch_vccnz .LBB8_84
; %bb.83:
	v_lshlrev_b32_e32 v0, 3, v0
	buffer_load_dword v19, v0, s[0:3], 0 offen
	buffer_load_dword v20, v0, s[0:3], 0 offen offset:4
	buffer_load_dword v21, off, s[0:3], 0 offset:4
	buffer_load_dword v22, off, s[0:3], 0
	s_waitcnt vmcnt(3)
	buffer_store_dword v19, off, s[0:3], 0
	s_waitcnt vmcnt(3)
	buffer_store_dword v20, off, s[0:3], 0 offset:4
	s_waitcnt vmcnt(3)
	buffer_store_dword v21, v0, s[0:3], 0 offen offset:4
	s_waitcnt vmcnt(3)
	buffer_store_dword v22, v0, s[0:3], 0 offen
.LBB8_84:
	buffer_load_dword v19, off, s[0:3], 0
	buffer_load_dword v20, off, s[0:3], 0 offset:4
	buffer_load_dword v21, off, s[0:3], 0 offset:8
	s_nop 0
	buffer_load_dword v22, off, s[0:3], 0 offset:12
	buffer_load_dword v23, off, s[0:3], 0 offset:16
	;; [unrolled: 1-line block ×15, first 2 shown]
	s_waitcnt vmcnt(16)
	global_store_dwordx2 v[1:2], v[19:20], off
	s_waitcnt vmcnt(15)
	global_store_dwordx2 v[3:4], v[21:22], off
	;; [unrolled: 2-line block ×9, first 2 shown]
	s_endpgm
	.section	.rodata,"a",@progbits
	.p2align	6, 0x0
	.amdhsa_kernel _ZN9rocsolver6v33100L18getri_kernel_smallILi9E19rocblas_complex_numIfEPS3_EEvT1_iilPiilS6_bb
		.amdhsa_group_segment_fixed_size 152
		.amdhsa_private_segment_fixed_size 80
		.amdhsa_kernarg_size 60
		.amdhsa_user_sgpr_count 6
		.amdhsa_user_sgpr_private_segment_buffer 1
		.amdhsa_user_sgpr_dispatch_ptr 0
		.amdhsa_user_sgpr_queue_ptr 0
		.amdhsa_user_sgpr_kernarg_segment_ptr 1
		.amdhsa_user_sgpr_dispatch_id 0
		.amdhsa_user_sgpr_flat_scratch_init 0
		.amdhsa_user_sgpr_private_segment_size 0
		.amdhsa_uses_dynamic_stack 0
		.amdhsa_system_sgpr_private_segment_wavefront_offset 1
		.amdhsa_system_sgpr_workgroup_id_x 1
		.amdhsa_system_sgpr_workgroup_id_y 0
		.amdhsa_system_sgpr_workgroup_id_z 0
		.amdhsa_system_sgpr_workgroup_info 0
		.amdhsa_system_vgpr_workitem_id 0
		.amdhsa_next_free_vgpr 61
		.amdhsa_next_free_sgpr 24
		.amdhsa_reserve_vcc 1
		.amdhsa_reserve_flat_scratch 0
		.amdhsa_float_round_mode_32 0
		.amdhsa_float_round_mode_16_64 0
		.amdhsa_float_denorm_mode_32 3
		.amdhsa_float_denorm_mode_16_64 3
		.amdhsa_dx10_clamp 1
		.amdhsa_ieee_mode 1
		.amdhsa_fp16_overflow 0
		.amdhsa_exception_fp_ieee_invalid_op 0
		.amdhsa_exception_fp_denorm_src 0
		.amdhsa_exception_fp_ieee_div_zero 0
		.amdhsa_exception_fp_ieee_overflow 0
		.amdhsa_exception_fp_ieee_underflow 0
		.amdhsa_exception_fp_ieee_inexact 0
		.amdhsa_exception_int_div_zero 0
	.end_amdhsa_kernel
	.section	.text._ZN9rocsolver6v33100L18getri_kernel_smallILi9E19rocblas_complex_numIfEPS3_EEvT1_iilPiilS6_bb,"axG",@progbits,_ZN9rocsolver6v33100L18getri_kernel_smallILi9E19rocblas_complex_numIfEPS3_EEvT1_iilPiilS6_bb,comdat
.Lfunc_end8:
	.size	_ZN9rocsolver6v33100L18getri_kernel_smallILi9E19rocblas_complex_numIfEPS3_EEvT1_iilPiilS6_bb, .Lfunc_end8-_ZN9rocsolver6v33100L18getri_kernel_smallILi9E19rocblas_complex_numIfEPS3_EEvT1_iilPiilS6_bb
                                        ; -- End function
	.set _ZN9rocsolver6v33100L18getri_kernel_smallILi9E19rocblas_complex_numIfEPS3_EEvT1_iilPiilS6_bb.num_vgpr, 61
	.set _ZN9rocsolver6v33100L18getri_kernel_smallILi9E19rocblas_complex_numIfEPS3_EEvT1_iilPiilS6_bb.num_agpr, 0
	.set _ZN9rocsolver6v33100L18getri_kernel_smallILi9E19rocblas_complex_numIfEPS3_EEvT1_iilPiilS6_bb.numbered_sgpr, 24
	.set _ZN9rocsolver6v33100L18getri_kernel_smallILi9E19rocblas_complex_numIfEPS3_EEvT1_iilPiilS6_bb.num_named_barrier, 0
	.set _ZN9rocsolver6v33100L18getri_kernel_smallILi9E19rocblas_complex_numIfEPS3_EEvT1_iilPiilS6_bb.private_seg_size, 80
	.set _ZN9rocsolver6v33100L18getri_kernel_smallILi9E19rocblas_complex_numIfEPS3_EEvT1_iilPiilS6_bb.uses_vcc, 1
	.set _ZN9rocsolver6v33100L18getri_kernel_smallILi9E19rocblas_complex_numIfEPS3_EEvT1_iilPiilS6_bb.uses_flat_scratch, 0
	.set _ZN9rocsolver6v33100L18getri_kernel_smallILi9E19rocblas_complex_numIfEPS3_EEvT1_iilPiilS6_bb.has_dyn_sized_stack, 0
	.set _ZN9rocsolver6v33100L18getri_kernel_smallILi9E19rocblas_complex_numIfEPS3_EEvT1_iilPiilS6_bb.has_recursion, 0
	.set _ZN9rocsolver6v33100L18getri_kernel_smallILi9E19rocblas_complex_numIfEPS3_EEvT1_iilPiilS6_bb.has_indirect_call, 0
	.section	.AMDGPU.csdata,"",@progbits
; Kernel info:
; codeLenInByte = 7196
; TotalNumSgprs: 28
; NumVgprs: 61
; ScratchSize: 80
; MemoryBound: 0
; FloatMode: 240
; IeeeMode: 1
; LDSByteSize: 152 bytes/workgroup (compile time only)
; SGPRBlocks: 3
; VGPRBlocks: 15
; NumSGPRsForWavesPerEU: 28
; NumVGPRsForWavesPerEU: 61
; Occupancy: 4
; WaveLimiterHint : 0
; COMPUTE_PGM_RSRC2:SCRATCH_EN: 1
; COMPUTE_PGM_RSRC2:USER_SGPR: 6
; COMPUTE_PGM_RSRC2:TRAP_HANDLER: 0
; COMPUTE_PGM_RSRC2:TGID_X_EN: 1
; COMPUTE_PGM_RSRC2:TGID_Y_EN: 0
; COMPUTE_PGM_RSRC2:TGID_Z_EN: 0
; COMPUTE_PGM_RSRC2:TIDIG_COMP_CNT: 0
	.section	.text._ZN9rocsolver6v33100L18getri_kernel_smallILi10E19rocblas_complex_numIfEPS3_EEvT1_iilPiilS6_bb,"axG",@progbits,_ZN9rocsolver6v33100L18getri_kernel_smallILi10E19rocblas_complex_numIfEPS3_EEvT1_iilPiilS6_bb,comdat
	.globl	_ZN9rocsolver6v33100L18getri_kernel_smallILi10E19rocblas_complex_numIfEPS3_EEvT1_iilPiilS6_bb ; -- Begin function _ZN9rocsolver6v33100L18getri_kernel_smallILi10E19rocblas_complex_numIfEPS3_EEvT1_iilPiilS6_bb
	.p2align	8
	.type	_ZN9rocsolver6v33100L18getri_kernel_smallILi10E19rocblas_complex_numIfEPS3_EEvT1_iilPiilS6_bb,@function
_ZN9rocsolver6v33100L18getri_kernel_smallILi10E19rocblas_complex_numIfEPS3_EEvT1_iilPiilS6_bb: ; @_ZN9rocsolver6v33100L18getri_kernel_smallILi10E19rocblas_complex_numIfEPS3_EEvT1_iilPiilS6_bb
; %bb.0:
	s_add_u32 s0, s0, s7
	s_addc_u32 s1, s1, 0
	v_cmp_gt_u32_e32 vcc, 10, v0
	s_and_saveexec_b64 s[8:9], vcc
	s_cbranch_execz .LBB9_54
; %bb.1:
	s_load_dword s12, s[4:5], 0x38
	s_load_dwordx4 s[16:19], s[4:5], 0x10
	s_load_dwordx4 s[8:11], s[4:5], 0x28
                                        ; implicit-def: $sgpr20_sgpr21
	s_waitcnt lgkmcnt(0)
	s_bitcmp1_b32 s12, 8
	s_cselect_b64 s[22:23], -1, 0
	s_ashr_i32 s7, s6, 31
	s_bfe_u32 s12, s12, 0x10008
	s_cmp_eq_u32 s12, 0
	s_cbranch_scc1 .LBB9_3
; %bb.2:
	s_load_dword s12, s[4:5], 0x20
	s_mul_i32 s13, s8, s7
	s_mul_hi_u32 s14, s8, s6
	s_mul_i32 s9, s9, s6
	s_add_i32 s14, s14, s13
	s_add_i32 s9, s14, s9
	s_mul_i32 s8, s8, s6
	s_waitcnt lgkmcnt(0)
	s_ashr_i32 s13, s12, 31
	s_lshl_b64 s[8:9], s[8:9], 2
	s_add_u32 s14, s18, s8
	s_addc_u32 s15, s19, s9
	s_lshl_b64 s[8:9], s[12:13], 2
	s_add_u32 s20, s14, s8
	s_addc_u32 s21, s15, s9
.LBB9_3:
	s_load_dwordx4 s[12:15], s[4:5], 0x0
	s_load_dword s8, s[4:5], 0x38
	s_mul_i32 s9, s16, s7
	s_mul_hi_u32 s18, s16, s6
	s_add_i32 s9, s18, s9
	s_waitcnt lgkmcnt(0)
	s_ashr_i32 s5, s14, 31
	s_mov_b32 s4, s14
	s_mul_i32 s14, s17, s6
	s_add_i32 s17, s9, s14
	s_mul_i32 s16, s16, s6
	s_lshl_b64 s[16:17], s[16:17], 3
	s_add_u32 s9, s12, s16
	s_addc_u32 s12, s13, s17
	s_lshl_b64 s[4:5], s[4:5], 3
	s_add_u32 s4, s9, s4
	s_addc_u32 s5, s12, s5
	s_add_i32 s9, s15, s15
	v_add_u32_e32 v3, s9, v0
	v_ashrrev_i32_e32 v4, 31, v3
	v_lshlrev_b64 v[1:2], 3, v[3:4]
	v_add_u32_e32 v5, s15, v3
	v_mov_b32_e32 v4, s5
	v_add_co_u32_e32 v1, vcc, s4, v1
	v_ashrrev_i32_e32 v6, 31, v5
	v_addc_co_u32_e32 v2, vcc, v4, v2, vcc
	v_lshlrev_b64 v[3:4], 3, v[5:6]
	v_add_u32_e32 v7, s15, v5
	v_mov_b32_e32 v6, s5
	v_add_co_u32_e32 v3, vcc, s4, v3
	v_ashrrev_i32_e32 v8, 31, v7
	v_addc_co_u32_e32 v4, vcc, v6, v4, vcc
	v_lshlrev_b64 v[5:6], 3, v[7:8]
	v_add_u32_e32 v9, s15, v7
	v_mov_b32_e32 v8, s5
	v_add_co_u32_e32 v5, vcc, s4, v5
	v_ashrrev_i32_e32 v10, 31, v9
	v_addc_co_u32_e32 v6, vcc, v8, v6, vcc
	v_lshlrev_b64 v[7:8], 3, v[9:10]
	v_add_u32_e32 v11, s15, v9
	v_mov_b32_e32 v10, s5
	v_add_co_u32_e32 v7, vcc, s4, v7
	v_ashrrev_i32_e32 v12, 31, v11
	v_addc_co_u32_e32 v8, vcc, v10, v8, vcc
	v_lshlrev_b64 v[9:10], 3, v[11:12]
	v_add_u32_e32 v13, s15, v11
	v_mov_b32_e32 v12, s5
	v_add_co_u32_e32 v9, vcc, s4, v9
	v_ashrrev_i32_e32 v14, 31, v13
	v_addc_co_u32_e32 v10, vcc, v12, v10, vcc
	v_lshlrev_b64 v[11:12], 3, v[13:14]
	v_add_u32_e32 v19, s15, v13
	v_mov_b32_e32 v14, s5
	v_add_co_u32_e32 v11, vcc, s4, v11
	v_ashrrev_i32_e32 v20, 31, v19
	v_addc_co_u32_e32 v12, vcc, v14, v12, vcc
	v_lshlrev_b64 v[13:14], 3, v[19:20]
	v_mov_b32_e32 v15, s5
	v_add_co_u32_e32 v13, vcc, s4, v13
	v_addc_co_u32_e32 v14, vcc, v15, v14, vcc
	v_lshlrev_b32_e32 v23, 3, v0
	v_mov_b32_e32 v16, s5
	v_add_co_u32_e32 v15, vcc, s4, v23
	s_ashr_i32 s13, s15, 31
	s_mov_b32 s12, s15
	v_addc_co_u32_e32 v16, vcc, 0, v16, vcc
	s_lshl_b64 s[12:13], s[12:13], 3
	v_mov_b32_e32 v18, s13
	v_add_co_u32_e32 v17, vcc, s12, v15
	v_addc_co_u32_e32 v18, vcc, v16, v18, vcc
	global_load_dwordx2 v[21:22], v23, s[4:5]
	global_load_dwordx2 v[26:27], v[1:2], off
	global_load_dwordx2 v[28:29], v[3:4], off
	;; [unrolled: 1-line block ×8, first 2 shown]
	v_add_u32_e32 v19, s15, v19
	v_ashrrev_i32_e32 v20, 31, v19
	v_lshlrev_b64 v[19:20], 3, v[19:20]
	v_mov_b32_e32 v40, s5
	v_add_co_u32_e32 v19, vcc, s4, v19
	v_addc_co_u32_e32 v20, vcc, v40, v20, vcc
	global_load_dwordx2 v[40:41], v[19:20], off
	s_bitcmp0_b32 s8, 0
	s_mov_b64 s[8:9], -1
	s_waitcnt vmcnt(9)
	buffer_store_dword v22, off, s[0:3], 0 offset:4
	buffer_store_dword v21, off, s[0:3], 0
	s_waitcnt vmcnt(7)
	buffer_store_dword v25, off, s[0:3], 0 offset:12
	buffer_store_dword v24, off, s[0:3], 0 offset:8
	;; [unrolled: 1-line block ×8, first 2 shown]
	s_waitcnt vmcnt(14)
	buffer_store_dword v33, off, s[0:3], 0 offset:44
	buffer_store_dword v32, off, s[0:3], 0 offset:40
	s_waitcnt vmcnt(15)
	buffer_store_dword v35, off, s[0:3], 0 offset:52
	buffer_store_dword v34, off, s[0:3], 0 offset:48
	;; [unrolled: 3-line block ×5, first 2 shown]
	s_cbranch_scc1 .LBB9_52
; %bb.4:
	v_cmp_eq_u32_e64 s[4:5], 0, v0
	s_and_saveexec_b64 s[8:9], s[4:5]
; %bb.5:
	v_mov_b32_e32 v21, 0
	ds_write_b32 v21, v21 offset:160
; %bb.6:
	s_or_b64 exec, exec, s[8:9]
	v_mov_b32_e32 v21, 0
	v_lshl_add_u32 v25, v0, 3, v21
	s_waitcnt lgkmcnt(0)
	; wave barrier
	buffer_load_dword v21, v25, s[0:3], 0 offen
	buffer_load_dword v22, v25, s[0:3], 0 offen offset:4
	s_waitcnt vmcnt(1)
	v_cmp_eq_f32_e32 vcc, 0, v21
	s_waitcnt vmcnt(0)
	v_cmp_eq_f32_e64 s[8:9], 0, v22
	s_and_b64 s[8:9], vcc, s[8:9]
	s_and_saveexec_b64 s[12:13], s[8:9]
	s_cbranch_execz .LBB9_10
; %bb.7:
	v_mov_b32_e32 v21, 0
	ds_read_b32 v24, v21 offset:160
	v_add_u32_e32 v22, 1, v0
	s_waitcnt lgkmcnt(0)
	v_readfirstlane_b32 s8, v24
	s_cmp_eq_u32 s8, 0
	s_cselect_b64 s[14:15], -1, 0
	v_cmp_gt_i32_e32 vcc, s8, v22
	s_or_b64 s[14:15], s[14:15], vcc
	s_and_b64 exec, exec, s[14:15]
	s_cbranch_execz .LBB9_10
; %bb.8:
	s_mov_b64 s[14:15], 0
	v_mov_b32_e32 v24, s8
.LBB9_9:                                ; =>This Inner Loop Header: Depth=1
	ds_cmpst_rtn_b32 v24, v21, v24, v22 offset:160
	s_waitcnt lgkmcnt(0)
	v_cmp_ne_u32_e32 vcc, 0, v24
	v_cmp_le_i32_e64 s[8:9], v24, v22
	s_and_b64 s[8:9], vcc, s[8:9]
	s_and_b64 s[8:9], exec, s[8:9]
	s_or_b64 s[14:15], s[8:9], s[14:15]
	s_andn2_b64 exec, exec, s[14:15]
	s_cbranch_execnz .LBB9_9
.LBB9_10:
	s_or_b64 exec, exec, s[12:13]
	v_mov_b32_e32 v22, 0
	; wave barrier
	ds_read_b32 v21, v22 offset:160
	s_and_saveexec_b64 s[8:9], s[4:5]
	s_cbranch_execz .LBB9_12
; %bb.11:
	s_lshl_b64 s[12:13], s[6:7], 2
	s_add_u32 s12, s10, s12
	s_addc_u32 s13, s11, s13
	s_waitcnt lgkmcnt(0)
	global_store_dword v22, v21, s[12:13]
.LBB9_12:
	s_or_b64 exec, exec, s[8:9]
	s_waitcnt lgkmcnt(0)
	v_cmp_ne_u32_e32 vcc, 0, v21
	s_mov_b64 s[8:9], 0
	s_cbranch_vccnz .LBB9_52
; %bb.13:
	buffer_load_dword v22, v25, s[0:3], 0 offen
	buffer_load_dword v24, v25, s[0:3], 0 offen offset:4
                                        ; implicit-def: $vgpr27
                                        ; implicit-def: $vgpr26
                                        ; implicit-def: $vgpr21
	s_waitcnt vmcnt(0)
	v_cmp_ngt_f32_e64 s[8:9], |v22|, |v24|
	s_and_saveexec_b64 s[12:13], s[8:9]
	s_xor_b64 s[8:9], exec, s[12:13]
	s_cbranch_execz .LBB9_15
; %bb.14:
	v_div_scale_f32 v21, s[12:13], v24, v24, v22
	v_div_scale_f32 v26, vcc, v22, v24, v22
	v_rcp_f32_e32 v27, v21
	v_fma_f32 v28, -v21, v27, 1.0
	v_fmac_f32_e32 v27, v28, v27
	v_mul_f32_e32 v28, v26, v27
	v_fma_f32 v29, -v21, v28, v26
	v_fmac_f32_e32 v28, v29, v27
	v_fma_f32 v21, -v21, v28, v26
	v_div_fmas_f32 v21, v21, v27, v28
	v_div_fixup_f32 v21, v21, v24, v22
	v_fmac_f32_e32 v24, v22, v21
	v_div_scale_f32 v22, s[12:13], v24, v24, 1.0
	v_div_scale_f32 v26, vcc, 1.0, v24, 1.0
	v_rcp_f32_e32 v27, v22
	v_fma_f32 v28, -v22, v27, 1.0
	v_fmac_f32_e32 v27, v28, v27
	v_mul_f32_e32 v28, v26, v27
	v_fma_f32 v29, -v22, v28, v26
	v_fmac_f32_e32 v28, v29, v27
	v_fma_f32 v22, -v22, v28, v26
	v_div_fmas_f32 v22, v22, v27, v28
	v_div_fixup_f32 v22, v22, v24, 1.0
	v_mul_f32_e32 v27, v21, v22
	v_xor_b32_e32 v26, 0x80000000, v22
	v_xor_b32_e32 v21, 0x80000000, v27
                                        ; implicit-def: $vgpr22
                                        ; implicit-def: $vgpr24
.LBB9_15:
	s_andn2_saveexec_b64 s[8:9], s[8:9]
	s_cbranch_execz .LBB9_17
; %bb.16:
	v_div_scale_f32 v21, s[12:13], v22, v22, v24
	v_div_scale_f32 v26, vcc, v24, v22, v24
	v_rcp_f32_e32 v27, v21
	v_fma_f32 v28, -v21, v27, 1.0
	v_fmac_f32_e32 v27, v28, v27
	v_mul_f32_e32 v28, v26, v27
	v_fma_f32 v29, -v21, v28, v26
	v_fmac_f32_e32 v28, v29, v27
	v_fma_f32 v21, -v21, v28, v26
	v_div_fmas_f32 v21, v21, v27, v28
	v_div_fixup_f32 v26, v21, v22, v24
	v_fmac_f32_e32 v22, v24, v26
	v_div_scale_f32 v21, s[12:13], v22, v22, 1.0
	v_div_scale_f32 v24, vcc, 1.0, v22, 1.0
	v_rcp_f32_e32 v27, v21
	v_fma_f32 v28, -v21, v27, 1.0
	v_fmac_f32_e32 v27, v28, v27
	v_mul_f32_e32 v28, v24, v27
	v_fma_f32 v29, -v21, v28, v24
	v_fmac_f32_e32 v28, v29, v27
	v_fma_f32 v21, -v21, v28, v24
	v_div_fmas_f32 v21, v21, v27, v28
	v_div_fixup_f32 v27, v21, v22, 1.0
	v_xor_b32_e32 v21, 0x80000000, v27
	v_mul_f32_e64 v26, v26, -v27
.LBB9_17:
	s_or_b64 exec, exec, s[8:9]
	buffer_store_dword v27, v25, s[0:3], 0 offen
	buffer_store_dword v26, v25, s[0:3], 0 offen offset:4
	buffer_load_dword v28, off, s[0:3], 0 offset:12
	s_nop 0
	buffer_load_dword v27, off, s[0:3], 0 offset:8
	v_xor_b32_e32 v22, 0x80000000, v26
	v_add_u32_e32 v24, 0x50, v23
	s_waitcnt vmcnt(0)
	ds_write2_b64 v23, v[21:22], v[27:28] offset1:10
	s_waitcnt lgkmcnt(0)
	; wave barrier
	s_and_saveexec_b64 s[8:9], s[4:5]
	s_cbranch_execz .LBB9_19
; %bb.18:
	buffer_load_dword v28, v25, s[0:3], 0 offen offset:4
	buffer_load_dword v29, v25, s[0:3], 0 offen
	ds_read_b64 v[21:22], v24
	v_mov_b32_e32 v26, 0
	ds_read_b64 v[26:27], v26 offset:8
	s_waitcnt vmcnt(1) lgkmcnt(1)
	v_mul_f32_e32 v30, v22, v28
	v_mul_f32_e32 v28, v21, v28
	s_waitcnt vmcnt(0)
	v_fmac_f32_e32 v28, v22, v29
	v_fma_f32 v21, v21, v29, -v30
	v_add_f32_e32 v22, 0, v28
	v_add_f32_e32 v21, 0, v21
	s_waitcnt lgkmcnt(0)
	v_mul_f32_e32 v28, v22, v27
	v_mul_f32_e32 v27, v21, v27
	v_fma_f32 v21, v21, v26, -v28
	v_fmac_f32_e32 v27, v22, v26
	buffer_store_dword v21, off, s[0:3], 0 offset:8
	buffer_store_dword v27, off, s[0:3], 0 offset:12
.LBB9_19:
	s_or_b64 exec, exec, s[8:9]
	; wave barrier
	buffer_load_dword v21, off, s[0:3], 0 offset:16
	buffer_load_dword v22, off, s[0:3], 0 offset:20
	v_cmp_gt_u32_e32 vcc, 2, v0
	s_waitcnt vmcnt(0)
	ds_write_b64 v24, v[21:22]
	s_waitcnt lgkmcnt(0)
	; wave barrier
	s_and_saveexec_b64 s[8:9], vcc
	s_cbranch_execz .LBB9_23
; %bb.20:
	buffer_load_dword v26, v25, s[0:3], 0 offen offset:4
	buffer_load_dword v27, v25, s[0:3], 0 offen
	ds_read_b64 v[21:22], v24
	s_waitcnt vmcnt(1) lgkmcnt(0)
	v_mul_f32_e32 v25, v22, v26
	v_mul_f32_e32 v26, v21, v26
	s_waitcnt vmcnt(0)
	v_fma_f32 v21, v21, v27, -v25
	v_fmac_f32_e32 v26, v22, v27
	v_add_f32_e32 v22, 0, v21
	v_add_f32_e32 v21, 0, v26
	s_and_saveexec_b64 s[12:13], s[4:5]
	s_cbranch_execz .LBB9_22
; %bb.21:
	buffer_load_dword v27, off, s[0:3], 0 offset:12
	buffer_load_dword v28, off, s[0:3], 0 offset:8
	v_mov_b32_e32 v25, 0
	ds_read_b64 v[25:26], v25 offset:88
	s_waitcnt vmcnt(1) lgkmcnt(0)
	v_mul_f32_e32 v29, v25, v27
	v_mul_f32_e32 v27, v26, v27
	s_waitcnt vmcnt(0)
	v_fmac_f32_e32 v29, v26, v28
	v_fma_f32 v25, v25, v28, -v27
	v_add_f32_e32 v21, v21, v29
	v_add_f32_e32 v22, v22, v25
.LBB9_22:
	s_or_b64 exec, exec, s[12:13]
	v_mov_b32_e32 v25, 0
	ds_read_b64 v[25:26], v25 offset:16
	s_waitcnt lgkmcnt(0)
	v_mul_f32_e32 v27, v21, v26
	v_mul_f32_e32 v26, v22, v26
	v_fma_f32 v22, v22, v25, -v27
	v_fmac_f32_e32 v26, v21, v25
	buffer_store_dword v22, off, s[0:3], 0 offset:16
	buffer_store_dword v26, off, s[0:3], 0 offset:20
.LBB9_23:
	s_or_b64 exec, exec, s[8:9]
	; wave barrier
	buffer_load_dword v21, off, s[0:3], 0 offset:24
	buffer_load_dword v22, off, s[0:3], 0 offset:28
	v_cmp_gt_u32_e32 vcc, 3, v0
	s_waitcnt vmcnt(0)
	ds_write_b64 v24, v[21:22]
	v_add_u32_e32 v21, -1, v0
	s_waitcnt lgkmcnt(0)
	; wave barrier
	s_and_saveexec_b64 s[4:5], vcc
	s_cbranch_execz .LBB9_27
; %bb.24:
	v_add_u32_e32 v25, -1, v0
	v_add_u32_e32 v26, 0x50, v23
	v_mov_b32_e32 v27, v23
	v_mov_b32_e32 v22, 0
	s_mov_b64 s[8:9], 0
	v_mov_b32_e32 v28, 0
.LBB9_25:                               ; =>This Inner Loop Header: Depth=1
	buffer_load_dword v31, v27, s[0:3], 0 offen offset:4
	buffer_load_dword v32, v27, s[0:3], 0 offen
	ds_read_b64 v[29:30], v26
	v_add_u32_e32 v25, 1, v25
	v_cmp_lt_u32_e32 vcc, 1, v25
	v_add_u32_e32 v26, 8, v26
	v_add_u32_e32 v27, 8, v27
	s_or_b64 s[8:9], vcc, s[8:9]
	s_waitcnt vmcnt(1) lgkmcnt(0)
	v_mul_f32_e32 v33, v30, v31
	v_mul_f32_e32 v31, v29, v31
	s_waitcnt vmcnt(0)
	v_fma_f32 v29, v29, v32, -v33
	v_fmac_f32_e32 v31, v30, v32
	v_add_f32_e32 v28, v28, v29
	v_add_f32_e32 v22, v22, v31
	s_andn2_b64 exec, exec, s[8:9]
	s_cbranch_execnz .LBB9_25
; %bb.26:
	s_or_b64 exec, exec, s[8:9]
	v_mov_b32_e32 v25, 0
	ds_read_b64 v[25:26], v25 offset:24
	s_waitcnt lgkmcnt(0)
	v_mul_f32_e32 v27, v22, v26
	v_mul_f32_e32 v26, v28, v26
	v_fma_f32 v27, v28, v25, -v27
	v_fmac_f32_e32 v26, v22, v25
	buffer_store_dword v27, off, s[0:3], 0 offset:24
	buffer_store_dword v26, off, s[0:3], 0 offset:28
.LBB9_27:
	s_or_b64 exec, exec, s[4:5]
	; wave barrier
	buffer_load_dword v25, off, s[0:3], 0 offset:32
	buffer_load_dword v26, off, s[0:3], 0 offset:36
	v_cmp_gt_u32_e32 vcc, 4, v0
	s_waitcnt vmcnt(0)
	ds_write_b64 v24, v[25:26]
	s_waitcnt lgkmcnt(0)
	; wave barrier
	s_and_saveexec_b64 s[4:5], vcc
	s_cbranch_execz .LBB9_31
; %bb.28:
	v_add_u32_e32 v25, -1, v0
	v_add_u32_e32 v26, 0x50, v23
	v_mov_b32_e32 v27, v23
	v_mov_b32_e32 v22, 0
	s_mov_b64 s[8:9], 0
	v_mov_b32_e32 v28, 0
.LBB9_29:                               ; =>This Inner Loop Header: Depth=1
	buffer_load_dword v31, v27, s[0:3], 0 offen offset:4
	buffer_load_dword v32, v27, s[0:3], 0 offen
	ds_read_b64 v[29:30], v26
	v_add_u32_e32 v25, 1, v25
	v_cmp_lt_u32_e32 vcc, 2, v25
	v_add_u32_e32 v26, 8, v26
	v_add_u32_e32 v27, 8, v27
	s_or_b64 s[8:9], vcc, s[8:9]
	s_waitcnt vmcnt(1) lgkmcnt(0)
	v_mul_f32_e32 v33, v30, v31
	v_mul_f32_e32 v31, v29, v31
	s_waitcnt vmcnt(0)
	v_fma_f32 v29, v29, v32, -v33
	v_fmac_f32_e32 v31, v30, v32
	v_add_f32_e32 v28, v28, v29
	v_add_f32_e32 v22, v22, v31
	s_andn2_b64 exec, exec, s[8:9]
	s_cbranch_execnz .LBB9_29
; %bb.30:
	s_or_b64 exec, exec, s[8:9]
	v_mov_b32_e32 v25, 0
	ds_read_b64 v[25:26], v25 offset:32
	s_waitcnt lgkmcnt(0)
	v_mul_f32_e32 v27, v22, v26
	v_mul_f32_e32 v26, v28, v26
	v_fma_f32 v27, v28, v25, -v27
	v_fmac_f32_e32 v26, v22, v25
	buffer_store_dword v27, off, s[0:3], 0 offset:32
	buffer_store_dword v26, off, s[0:3], 0 offset:36
.LBB9_31:
	s_or_b64 exec, exec, s[4:5]
	; wave barrier
	buffer_load_dword v25, off, s[0:3], 0 offset:40
	buffer_load_dword v26, off, s[0:3], 0 offset:44
	v_cmp_gt_u32_e32 vcc, 5, v0
	s_waitcnt vmcnt(0)
	ds_write_b64 v24, v[25:26]
	;; [unrolled: 49-line block ×5, first 2 shown]
	s_waitcnt lgkmcnt(0)
	; wave barrier
	s_and_saveexec_b64 s[4:5], vcc
	s_cbranch_execz .LBB9_47
; %bb.44:
	v_add_u32_e32 v25, -1, v0
	v_add_u32_e32 v26, 0x50, v23
	v_mov_b32_e32 v27, v23
	v_mov_b32_e32 v22, 0
	s_mov_b64 s[8:9], 0
	v_mov_b32_e32 v28, 0
.LBB9_45:                               ; =>This Inner Loop Header: Depth=1
	buffer_load_dword v31, v27, s[0:3], 0 offen offset:4
	buffer_load_dword v32, v27, s[0:3], 0 offen
	ds_read_b64 v[29:30], v26
	v_add_u32_e32 v25, 1, v25
	v_cmp_lt_u32_e32 vcc, 6, v25
	v_add_u32_e32 v26, 8, v26
	v_add_u32_e32 v27, 8, v27
	s_or_b64 s[8:9], vcc, s[8:9]
	s_waitcnt vmcnt(1) lgkmcnt(0)
	v_mul_f32_e32 v33, v30, v31
	v_mul_f32_e32 v31, v29, v31
	s_waitcnt vmcnt(0)
	v_fma_f32 v29, v29, v32, -v33
	v_fmac_f32_e32 v31, v30, v32
	v_add_f32_e32 v28, v28, v29
	v_add_f32_e32 v22, v22, v31
	s_andn2_b64 exec, exec, s[8:9]
	s_cbranch_execnz .LBB9_45
; %bb.46:
	s_or_b64 exec, exec, s[8:9]
	v_mov_b32_e32 v25, 0
	ds_read_b64 v[25:26], v25 offset:64
	s_waitcnt lgkmcnt(0)
	v_mul_f32_e32 v27, v22, v26
	v_mul_f32_e32 v26, v28, v26
	v_fma_f32 v27, v28, v25, -v27
	v_fmac_f32_e32 v26, v22, v25
	buffer_store_dword v27, off, s[0:3], 0 offset:64
	buffer_store_dword v26, off, s[0:3], 0 offset:68
.LBB9_47:
	s_or_b64 exec, exec, s[4:5]
	; wave barrier
	buffer_load_dword v25, off, s[0:3], 0 offset:72
	buffer_load_dword v26, off, s[0:3], 0 offset:76
	v_cmp_ne_u32_e32 vcc, 9, v0
	s_waitcnt vmcnt(0)
	ds_write_b64 v24, v[25:26]
	s_waitcnt lgkmcnt(0)
	; wave barrier
	s_and_saveexec_b64 s[4:5], vcc
	s_cbranch_execz .LBB9_51
; %bb.48:
	v_add_u32_e32 v24, 0x50, v23
	v_mov_b32_e32 v22, 0
	s_mov_b64 s[8:9], 0
	v_mov_b32_e32 v25, 0
.LBB9_49:                               ; =>This Inner Loop Header: Depth=1
	buffer_load_dword v28, v23, s[0:3], 0 offen offset:4
	buffer_load_dword v29, v23, s[0:3], 0 offen
	ds_read_b64 v[26:27], v24
	v_add_u32_e32 v21, 1, v21
	v_cmp_lt_u32_e32 vcc, 7, v21
	v_add_u32_e32 v24, 8, v24
	v_add_u32_e32 v23, 8, v23
	s_or_b64 s[8:9], vcc, s[8:9]
	s_waitcnt vmcnt(1) lgkmcnt(0)
	v_mul_f32_e32 v30, v27, v28
	v_mul_f32_e32 v28, v26, v28
	s_waitcnt vmcnt(0)
	v_fma_f32 v26, v26, v29, -v30
	v_fmac_f32_e32 v28, v27, v29
	v_add_f32_e32 v25, v25, v26
	v_add_f32_e32 v22, v22, v28
	s_andn2_b64 exec, exec, s[8:9]
	s_cbranch_execnz .LBB9_49
; %bb.50:
	s_or_b64 exec, exec, s[8:9]
	v_mov_b32_e32 v21, 0
	ds_read_b64 v[23:24], v21 offset:72
	s_waitcnt lgkmcnt(0)
	v_mul_f32_e32 v21, v22, v24
	v_mul_f32_e32 v24, v25, v24
	v_fma_f32 v21, v25, v23, -v21
	v_fmac_f32_e32 v24, v22, v23
	buffer_store_dword v21, off, s[0:3], 0 offset:72
	buffer_store_dword v24, off, s[0:3], 0 offset:76
.LBB9_51:
	s_or_b64 exec, exec, s[4:5]
	s_mov_b64 s[8:9], -1
	; wave barrier
.LBB9_52:
	s_and_b64 vcc, exec, s[8:9]
	s_cbranch_vccz .LBB9_54
; %bb.53:
	s_lshl_b64 s[4:5], s[6:7], 2
	s_add_u32 s4, s10, s4
	s_addc_u32 s5, s11, s5
	v_mov_b32_e32 v21, 0
	global_load_dword v21, v21, s[4:5]
	s_waitcnt vmcnt(0)
	v_cmp_ne_u32_e32 vcc, 0, v21
	s_cbranch_vccz .LBB9_55
.LBB9_54:
	s_endpgm
.LBB9_55:
	v_mov_b32_e32 v21, 0x50
	v_lshl_add_u32 v21, v0, 3, v21
	v_cmp_eq_u32_e32 vcc, 9, v0
	s_and_saveexec_b64 s[4:5], vcc
	s_cbranch_execz .LBB9_57
; %bb.56:
	buffer_load_dword v22, off, s[0:3], 0 offset:64
	buffer_load_dword v23, off, s[0:3], 0 offset:68
	v_mov_b32_e32 v24, 0
	buffer_store_dword v24, off, s[0:3], 0 offset:64
	buffer_store_dword v24, off, s[0:3], 0 offset:68
	s_waitcnt vmcnt(2)
	ds_write_b64 v21, v[22:23]
.LBB9_57:
	s_or_b64 exec, exec, s[4:5]
	s_waitcnt lgkmcnt(0)
	; wave barrier
	buffer_load_dword v25, off, s[0:3], 0 offset:76
	buffer_load_dword v26, off, s[0:3], 0 offset:72
	;; [unrolled: 1-line block ×4, first 2 shown]
	v_mov_b32_e32 v22, 0
	ds_read_b64 v[23:24], v22 offset:152
	v_cmp_lt_u32_e32 vcc, 7, v0
	s_waitcnt vmcnt(3) lgkmcnt(0)
	v_mul_f32_e32 v29, v23, v25
	v_mul_f32_e32 v25, v24, v25
	s_waitcnt vmcnt(2)
	v_fma_f32 v23, v23, v26, -v25
	v_fmac_f32_e32 v29, v24, v26
	v_add_f32_e32 v23, 0, v23
	v_add_f32_e32 v24, 0, v29
	s_waitcnt vmcnt(1)
	v_sub_f32_e32 v23, v27, v23
	s_waitcnt vmcnt(0)
	v_sub_f32_e32 v24, v28, v24
	buffer_store_dword v23, off, s[0:3], 0 offset:64
	buffer_store_dword v24, off, s[0:3], 0 offset:68
	s_and_saveexec_b64 s[4:5], vcc
	s_cbranch_execz .LBB9_59
; %bb.58:
	buffer_load_dword v23, off, s[0:3], 0 offset:56
	buffer_load_dword v24, off, s[0:3], 0 offset:60
	s_waitcnt vmcnt(0)
	ds_write_b64 v21, v[23:24]
	buffer_store_dword v22, off, s[0:3], 0 offset:56
	buffer_store_dword v22, off, s[0:3], 0 offset:60
.LBB9_59:
	s_or_b64 exec, exec, s[4:5]
	s_waitcnt lgkmcnt(0)
	; wave barrier
	buffer_load_dword v26, off, s[0:3], 0 offset:68
	buffer_load_dword v27, off, s[0:3], 0 offset:76
	;; [unrolled: 1-line block ×6, first 2 shown]
	ds_read_b128 v[22:25], v22 offset:144
	v_cmp_lt_u32_e32 vcc, 6, v0
	s_waitcnt vmcnt(5) lgkmcnt(0)
	v_mul_f32_e32 v32, v22, v26
	v_mul_f32_e32 v26, v23, v26
	s_waitcnt vmcnt(4)
	v_mul_f32_e32 v33, v24, v27
	v_mul_f32_e32 v27, v25, v27
	s_waitcnt vmcnt(3)
	v_fma_f32 v22, v22, v28, -v26
	v_fmac_f32_e32 v32, v23, v28
	s_waitcnt vmcnt(2)
	v_fma_f32 v23, v24, v29, -v27
	v_add_f32_e32 v22, 0, v22
	v_fmac_f32_e32 v33, v25, v29
	v_add_f32_e32 v24, 0, v32
	v_add_f32_e32 v22, v22, v23
	;; [unrolled: 1-line block ×3, first 2 shown]
	s_waitcnt vmcnt(1)
	v_sub_f32_e32 v22, v30, v22
	s_waitcnt vmcnt(0)
	v_sub_f32_e32 v23, v31, v24
	buffer_store_dword v22, off, s[0:3], 0 offset:56
	buffer_store_dword v23, off, s[0:3], 0 offset:60
	s_and_saveexec_b64 s[4:5], vcc
	s_cbranch_execz .LBB9_61
; %bb.60:
	buffer_load_dword v22, off, s[0:3], 0 offset:48
	buffer_load_dword v23, off, s[0:3], 0 offset:52
	v_mov_b32_e32 v24, 0
	buffer_store_dword v24, off, s[0:3], 0 offset:48
	buffer_store_dword v24, off, s[0:3], 0 offset:52
	s_waitcnt vmcnt(2)
	ds_write_b64 v21, v[22:23]
.LBB9_61:
	s_or_b64 exec, exec, s[4:5]
	s_waitcnt lgkmcnt(0)
	; wave barrier
	buffer_load_dword v29, off, s[0:3], 0 offset:60
	buffer_load_dword v30, off, s[0:3], 0 offset:68
	;; [unrolled: 1-line block ×8, first 2 shown]
	v_mov_b32_e32 v22, 0
	ds_read2_b64 v[23:26], v22 offset0:17 offset1:18
	ds_read_b64 v[27:28], v22 offset:152
	v_cmp_lt_u32_e32 vcc, 5, v0
	s_waitcnt vmcnt(7) lgkmcnt(1)
	v_mul_f32_e32 v37, v23, v29
	v_mul_f32_e32 v29, v24, v29
	s_waitcnt vmcnt(6)
	v_mul_f32_e32 v38, v25, v30
	v_mul_f32_e32 v30, v26, v30
	s_waitcnt vmcnt(4)
	v_fma_f32 v23, v23, v32, -v29
	s_waitcnt lgkmcnt(0)
	v_mul_f32_e32 v39, v27, v31
	v_mul_f32_e32 v31, v28, v31
	v_fmac_f32_e32 v37, v24, v32
	s_waitcnt vmcnt(3)
	v_fma_f32 v24, v25, v33, -v30
	v_add_f32_e32 v23, 0, v23
	v_fmac_f32_e32 v38, v26, v33
	s_waitcnt vmcnt(2)
	v_fma_f32 v25, v27, v34, -v31
	v_add_f32_e32 v26, 0, v37
	v_add_f32_e32 v23, v23, v24
	v_fmac_f32_e32 v39, v28, v34
	v_add_f32_e32 v26, v26, v38
	v_add_f32_e32 v23, v23, v25
	;; [unrolled: 1-line block ×3, first 2 shown]
	s_waitcnt vmcnt(1)
	v_sub_f32_e32 v23, v35, v23
	s_waitcnt vmcnt(0)
	v_sub_f32_e32 v24, v36, v24
	buffer_store_dword v23, off, s[0:3], 0 offset:48
	buffer_store_dword v24, off, s[0:3], 0 offset:52
	s_and_saveexec_b64 s[4:5], vcc
	s_cbranch_execz .LBB9_63
; %bb.62:
	buffer_load_dword v23, off, s[0:3], 0 offset:40
	buffer_load_dword v24, off, s[0:3], 0 offset:44
	s_waitcnt vmcnt(0)
	ds_write_b64 v21, v[23:24]
	buffer_store_dword v22, off, s[0:3], 0 offset:40
	buffer_store_dword v22, off, s[0:3], 0 offset:44
.LBB9_63:
	s_or_b64 exec, exec, s[4:5]
	s_waitcnt lgkmcnt(0)
	; wave barrier
	buffer_load_dword v31, off, s[0:3], 0 offset:52
	buffer_load_dword v32, off, s[0:3], 0 offset:60
	buffer_load_dword v33, off, s[0:3], 0 offset:68
	buffer_load_dword v34, off, s[0:3], 0 offset:76
	buffer_load_dword v35, off, s[0:3], 0 offset:48
	buffer_load_dword v36, off, s[0:3], 0 offset:56
	buffer_load_dword v37, off, s[0:3], 0 offset:64
	buffer_load_dword v38, off, s[0:3], 0 offset:72
	buffer_load_dword v39, off, s[0:3], 0 offset:40
	buffer_load_dword v40, off, s[0:3], 0 offset:44
	ds_read_b128 v[23:26], v22 offset:128
	ds_read_b128 v[27:30], v22 offset:144
	v_cmp_lt_u32_e32 vcc, 4, v0
	s_waitcnt vmcnt(9) lgkmcnt(1)
	v_mul_f32_e32 v22, v23, v31
	v_mul_f32_e32 v31, v24, v31
	s_waitcnt vmcnt(8)
	v_mul_f32_e32 v41, v25, v32
	v_mul_f32_e32 v32, v26, v32
	s_waitcnt vmcnt(5)
	v_fma_f32 v23, v23, v35, -v31
	s_waitcnt lgkmcnt(0)
	v_mul_f32_e32 v42, v27, v33
	v_mul_f32_e32 v33, v28, v33
	v_fmac_f32_e32 v22, v24, v35
	s_waitcnt vmcnt(4)
	v_fma_f32 v24, v25, v36, -v32
	v_add_f32_e32 v23, 0, v23
	v_mul_f32_e32 v43, v29, v34
	v_mul_f32_e32 v34, v30, v34
	v_fmac_f32_e32 v41, v26, v36
	s_waitcnt vmcnt(3)
	v_fma_f32 v25, v27, v37, -v33
	v_add_f32_e32 v22, 0, v22
	v_add_f32_e32 v23, v23, v24
	v_fmac_f32_e32 v42, v28, v37
	s_waitcnt vmcnt(2)
	v_fma_f32 v26, v29, v38, -v34
	v_add_f32_e32 v22, v22, v41
	v_add_f32_e32 v23, v23, v25
	v_fmac_f32_e32 v43, v30, v38
	v_add_f32_e32 v22, v22, v42
	v_add_f32_e32 v23, v23, v26
	;; [unrolled: 1-line block ×3, first 2 shown]
	s_waitcnt vmcnt(1)
	v_sub_f32_e32 v23, v39, v23
	s_waitcnt vmcnt(0)
	v_sub_f32_e32 v22, v40, v22
	buffer_store_dword v23, off, s[0:3], 0 offset:40
	buffer_store_dword v22, off, s[0:3], 0 offset:44
	s_and_saveexec_b64 s[4:5], vcc
	s_cbranch_execz .LBB9_65
; %bb.64:
	buffer_load_dword v22, off, s[0:3], 0 offset:32
	buffer_load_dword v23, off, s[0:3], 0 offset:36
	v_mov_b32_e32 v24, 0
	buffer_store_dword v24, off, s[0:3], 0 offset:32
	buffer_store_dword v24, off, s[0:3], 0 offset:36
	s_waitcnt vmcnt(2)
	ds_write_b64 v21, v[22:23]
.LBB9_65:
	s_or_b64 exec, exec, s[4:5]
	s_waitcnt lgkmcnt(0)
	; wave barrier
	buffer_load_dword v33, off, s[0:3], 0 offset:44
	buffer_load_dword v34, off, s[0:3], 0 offset:52
	;; [unrolled: 1-line block ×12, first 2 shown]
	v_mov_b32_e32 v22, 0
	ds_read2_b64 v[23:26], v22 offset0:15 offset1:16
	ds_read2_b64 v[27:30], v22 offset0:17 offset1:18
	ds_read_b64 v[31:32], v22 offset:152
	v_cmp_lt_u32_e32 vcc, 3, v0
	s_waitcnt vmcnt(11) lgkmcnt(2)
	v_mul_f32_e32 v45, v23, v33
	v_mul_f32_e32 v33, v24, v33
	s_waitcnt vmcnt(10)
	v_mul_f32_e32 v46, v25, v34
	v_mul_f32_e32 v34, v26, v34
	s_waitcnt vmcnt(9) lgkmcnt(1)
	v_mul_f32_e32 v47, v27, v35
	s_waitcnt vmcnt(6)
	v_fma_f32 v23, v23, v38, -v33
	v_mul_f32_e32 v35, v28, v35
	v_fmac_f32_e32 v45, v24, v38
	s_waitcnt vmcnt(5)
	v_fma_f32 v24, v25, v39, -v34
	v_add_f32_e32 v23, 0, v23
	v_mul_f32_e32 v48, v29, v36
	v_mul_f32_e32 v36, v30, v36
	v_fmac_f32_e32 v46, v26, v39
	s_waitcnt vmcnt(4)
	v_fmac_f32_e32 v47, v28, v40
	v_fma_f32 v25, v27, v40, -v35
	v_add_f32_e32 v28, 0, v45
	v_add_f32_e32 v23, v23, v24
	s_waitcnt lgkmcnt(0)
	v_mul_f32_e32 v49, v31, v37
	v_mul_f32_e32 v37, v32, v37
	s_waitcnt vmcnt(3)
	v_fma_f32 v26, v29, v41, -v36
	v_add_f32_e32 v28, v28, v46
	v_add_f32_e32 v23, v23, v25
	v_fmac_f32_e32 v48, v30, v41
	s_waitcnt vmcnt(2)
	v_fma_f32 v27, v31, v42, -v37
	v_add_f32_e32 v24, v28, v47
	v_add_f32_e32 v23, v23, v26
	v_fmac_f32_e32 v49, v32, v42
	v_add_f32_e32 v24, v24, v48
	v_add_f32_e32 v23, v23, v27
	;; [unrolled: 1-line block ×3, first 2 shown]
	s_waitcnt vmcnt(1)
	v_sub_f32_e32 v23, v43, v23
	s_waitcnt vmcnt(0)
	v_sub_f32_e32 v24, v44, v24
	buffer_store_dword v23, off, s[0:3], 0 offset:32
	buffer_store_dword v24, off, s[0:3], 0 offset:36
	s_and_saveexec_b64 s[4:5], vcc
	s_cbranch_execz .LBB9_67
; %bb.66:
	buffer_load_dword v23, off, s[0:3], 0 offset:24
	buffer_load_dword v24, off, s[0:3], 0 offset:28
	s_waitcnt vmcnt(0)
	ds_write_b64 v21, v[23:24]
	buffer_store_dword v22, off, s[0:3], 0 offset:24
	buffer_store_dword v22, off, s[0:3], 0 offset:28
.LBB9_67:
	s_or_b64 exec, exec, s[4:5]
	s_waitcnt lgkmcnt(0)
	; wave barrier
	buffer_load_dword v35, off, s[0:3], 0 offset:36
	buffer_load_dword v36, off, s[0:3], 0 offset:44
	;; [unrolled: 1-line block ×14, first 2 shown]
	ds_read_b128 v[23:26], v22 offset:112
	ds_read_b128 v[27:30], v22 offset:128
	;; [unrolled: 1-line block ×3, first 2 shown]
	v_cmp_lt_u32_e32 vcc, 2, v0
	s_waitcnt vmcnt(13) lgkmcnt(2)
	v_mul_f32_e32 v22, v23, v35
	v_mul_f32_e32 v35, v24, v35
	s_waitcnt vmcnt(12)
	v_mul_f32_e32 v49, v25, v36
	v_mul_f32_e32 v36, v26, v36
	s_waitcnt vmcnt(11) lgkmcnt(1)
	v_mul_f32_e32 v50, v27, v37
	v_mul_f32_e32 v37, v28, v37
	s_waitcnt vmcnt(7)
	v_fma_f32 v23, v23, v41, -v35
	v_fmac_f32_e32 v22, v24, v41
	s_waitcnt vmcnt(6)
	v_fma_f32 v24, v25, v42, -v36
	v_add_f32_e32 v23, 0, v23
	v_mul_f32_e32 v51, v29, v38
	v_mul_f32_e32 v38, v30, v38
	v_fmac_f32_e32 v49, v26, v42
	s_waitcnt vmcnt(5)
	v_fma_f32 v25, v27, v43, -v37
	v_add_f32_e32 v22, 0, v22
	v_add_f32_e32 v23, v23, v24
	s_waitcnt lgkmcnt(0)
	v_mul_f32_e32 v52, v31, v39
	v_mul_f32_e32 v39, v32, v39
	v_fmac_f32_e32 v50, v28, v43
	s_waitcnt vmcnt(4)
	v_fma_f32 v26, v29, v44, -v38
	v_add_f32_e32 v22, v22, v49
	v_add_f32_e32 v23, v23, v25
	v_mul_f32_e32 v53, v33, v40
	v_mul_f32_e32 v40, v34, v40
	v_fmac_f32_e32 v51, v30, v44
	s_waitcnt vmcnt(3)
	v_fma_f32 v27, v31, v45, -v39
	v_add_f32_e32 v22, v22, v50
	v_add_f32_e32 v23, v23, v26
	v_fmac_f32_e32 v52, v32, v45
	s_waitcnt vmcnt(2)
	v_fma_f32 v28, v33, v46, -v40
	v_add_f32_e32 v22, v22, v51
	v_add_f32_e32 v23, v23, v27
	v_fmac_f32_e32 v53, v34, v46
	v_add_f32_e32 v22, v22, v52
	v_add_f32_e32 v23, v23, v28
	;; [unrolled: 1-line block ×3, first 2 shown]
	s_waitcnt vmcnt(1)
	v_sub_f32_e32 v23, v47, v23
	s_waitcnt vmcnt(0)
	v_sub_f32_e32 v22, v48, v22
	buffer_store_dword v23, off, s[0:3], 0 offset:24
	buffer_store_dword v22, off, s[0:3], 0 offset:28
	s_and_saveexec_b64 s[4:5], vcc
	s_cbranch_execz .LBB9_69
; %bb.68:
	buffer_load_dword v22, off, s[0:3], 0 offset:16
	buffer_load_dword v23, off, s[0:3], 0 offset:20
	v_mov_b32_e32 v24, 0
	buffer_store_dword v24, off, s[0:3], 0 offset:16
	buffer_store_dword v24, off, s[0:3], 0 offset:20
	s_waitcnt vmcnt(2)
	ds_write_b64 v21, v[22:23]
.LBB9_69:
	s_or_b64 exec, exec, s[4:5]
	s_waitcnt lgkmcnt(0)
	; wave barrier
	buffer_load_dword v37, off, s[0:3], 0 offset:28
	buffer_load_dword v38, off, s[0:3], 0 offset:36
	;; [unrolled: 1-line block ×16, first 2 shown]
	v_mov_b32_e32 v22, 0
	ds_read2_b64 v[23:26], v22 offset0:13 offset1:14
	ds_read2_b64 v[27:30], v22 offset0:15 offset1:16
	;; [unrolled: 1-line block ×3, first 2 shown]
	ds_read_b64 v[35:36], v22 offset:152
	v_cmp_lt_u32_e32 vcc, 1, v0
	s_waitcnt vmcnt(15) lgkmcnt(3)
	v_mul_f32_e32 v53, v23, v37
	v_mul_f32_e32 v37, v24, v37
	s_waitcnt vmcnt(14)
	v_mul_f32_e32 v54, v25, v38
	v_mul_f32_e32 v38, v26, v38
	s_waitcnt vmcnt(13) lgkmcnt(2)
	v_mul_f32_e32 v55, v27, v39
	s_waitcnt vmcnt(12)
	v_mul_f32_e32 v56, v29, v40
	v_mul_f32_e32 v39, v28, v39
	s_waitcnt vmcnt(8)
	v_fma_f32 v23, v23, v44, -v37
	v_fmac_f32_e32 v53, v24, v44
	s_waitcnt vmcnt(7)
	v_fma_f32 v24, v25, v45, -v38
	v_add_f32_e32 v23, 0, v23
	v_mul_f32_e32 v40, v30, v40
	v_fmac_f32_e32 v54, v26, v45
	s_waitcnt vmcnt(5)
	v_fmac_f32_e32 v56, v30, v47
	v_fma_f32 v25, v27, v46, -v39
	v_add_f32_e32 v30, 0, v53
	v_add_f32_e32 v23, v23, v24
	s_waitcnt lgkmcnt(1)
	v_mul_f32_e32 v57, v31, v41
	v_mul_f32_e32 v41, v32, v41
	v_fmac_f32_e32 v55, v28, v46
	v_fma_f32 v26, v29, v47, -v40
	v_add_f32_e32 v30, v30, v54
	v_add_f32_e32 v23, v23, v25
	v_mul_f32_e32 v58, v33, v42
	v_mul_f32_e32 v42, v34, v42
	s_waitcnt vmcnt(4)
	v_fma_f32 v27, v31, v48, -v41
	v_add_f32_e32 v24, v30, v55
	v_add_f32_e32 v23, v23, v26
	s_waitcnt lgkmcnt(0)
	v_mul_f32_e32 v59, v35, v43
	v_mul_f32_e32 v43, v36, v43
	v_fmac_f32_e32 v57, v32, v48
	s_waitcnt vmcnt(3)
	v_fma_f32 v28, v33, v49, -v42
	v_add_f32_e32 v24, v24, v56
	v_add_f32_e32 v23, v23, v27
	v_fmac_f32_e32 v58, v34, v49
	s_waitcnt vmcnt(2)
	v_fma_f32 v29, v35, v50, -v43
	v_add_f32_e32 v24, v24, v57
	v_add_f32_e32 v23, v23, v28
	v_fmac_f32_e32 v59, v36, v50
	v_add_f32_e32 v24, v24, v58
	v_add_f32_e32 v23, v23, v29
	;; [unrolled: 1-line block ×3, first 2 shown]
	s_waitcnt vmcnt(1)
	v_sub_f32_e32 v23, v51, v23
	s_waitcnt vmcnt(0)
	v_sub_f32_e32 v24, v52, v24
	buffer_store_dword v23, off, s[0:3], 0 offset:16
	buffer_store_dword v24, off, s[0:3], 0 offset:20
	s_and_saveexec_b64 s[4:5], vcc
	s_cbranch_execz .LBB9_71
; %bb.70:
	buffer_load_dword v23, off, s[0:3], 0 offset:8
	buffer_load_dword v24, off, s[0:3], 0 offset:12
	s_waitcnt vmcnt(0)
	ds_write_b64 v21, v[23:24]
	buffer_store_dword v22, off, s[0:3], 0 offset:8
	buffer_store_dword v22, off, s[0:3], 0 offset:12
.LBB9_71:
	s_or_b64 exec, exec, s[4:5]
	s_waitcnt lgkmcnt(0)
	; wave barrier
	ds_read_b128 v[23:26], v22 offset:96
	ds_read_b128 v[27:30], v22 offset:112
	;; [unrolled: 1-line block ×4, first 2 shown]
	buffer_load_dword v22, off, s[0:3], 0 offset:8
	buffer_load_dword v39, off, s[0:3], 0 offset:12
	;; [unrolled: 1-line block ×16, first 2 shown]
	v_cmp_ne_u32_e32 vcc, 0, v0
	s_waitcnt vmcnt(12) lgkmcnt(3)
	v_mul_f32_e32 v54, v23, v41
	v_fmac_f32_e32 v54, v24, v40
	s_waitcnt vmcnt(10)
	v_mul_f32_e32 v55, v25, v43
	v_add_f32_e32 v54, 0, v54
	v_fmac_f32_e32 v55, v26, v42
	v_add_f32_e32 v54, v54, v55
	s_waitcnt vmcnt(8) lgkmcnt(2)
	v_mul_f32_e32 v55, v27, v45
	v_fmac_f32_e32 v55, v28, v44
	v_add_f32_e32 v54, v54, v55
	s_waitcnt vmcnt(6)
	v_mul_f32_e32 v55, v29, v47
	v_fmac_f32_e32 v55, v30, v46
	v_add_f32_e32 v54, v54, v55
	s_waitcnt vmcnt(4) lgkmcnt(1)
	v_mul_f32_e32 v55, v31, v49
	v_fmac_f32_e32 v55, v32, v48
	v_add_f32_e32 v54, v54, v55
	s_waitcnt vmcnt(2)
	v_mul_f32_e32 v55, v33, v51
	v_fmac_f32_e32 v55, v34, v50
	v_add_f32_e32 v54, v54, v55
	s_waitcnt vmcnt(0) lgkmcnt(0)
	v_mul_f32_e32 v55, v35, v53
	v_fmac_f32_e32 v55, v36, v52
	v_add_f32_e32 v54, v54, v55
	buffer_load_dword v55, off, s[0:3], 0 offset:72
	buffer_load_dword v56, off, s[0:3], 0 offset:76
	v_mul_f32_e32 v24, v24, v41
	v_fma_f32 v23, v23, v40, -v24
	v_mul_f32_e32 v24, v26, v43
	v_add_f32_e32 v23, 0, v23
	v_fma_f32 v24, v25, v42, -v24
	v_add_f32_e32 v23, v23, v24
	v_mul_f32_e32 v24, v28, v45
	v_fma_f32 v24, v27, v44, -v24
	v_add_f32_e32 v23, v23, v24
	v_mul_f32_e32 v24, v30, v47
	;; [unrolled: 3-line block ×5, first 2 shown]
	v_fma_f32 v24, v35, v52, -v24
	v_add_f32_e32 v23, v23, v24
	s_waitcnt vmcnt(0)
	v_mul_f32_e32 v24, v38, v56
	v_mul_f32_e32 v57, v37, v56
	v_fma_f32 v24, v37, v55, -v24
	v_fmac_f32_e32 v57, v38, v55
	v_add_f32_e32 v23, v23, v24
	v_add_f32_e32 v54, v54, v57
	v_sub_f32_e32 v22, v22, v23
	v_sub_f32_e32 v23, v39, v54
	buffer_store_dword v22, off, s[0:3], 0 offset:8
	buffer_store_dword v23, off, s[0:3], 0 offset:12
	s_and_saveexec_b64 s[4:5], vcc
	s_cbranch_execz .LBB9_73
; %bb.72:
	buffer_load_dword v22, off, s[0:3], 0
	buffer_load_dword v23, off, s[0:3], 0 offset:4
	v_mov_b32_e32 v0, 0
	buffer_store_dword v0, off, s[0:3], 0
	buffer_store_dword v0, off, s[0:3], 0 offset:4
	s_waitcnt vmcnt(2)
	ds_write_b64 v21, v[22:23]
.LBB9_73:
	s_or_b64 exec, exec, s[4:5]
	v_mov_b32_e32 v0, 0
	s_waitcnt lgkmcnt(0)
	; wave barrier
	ds_read2_b64 v[23:26], v0 offset0:11 offset1:12
	buffer_load_dword v41, off, s[0:3], 0
	buffer_load_dword v42, off, s[0:3], 0 offset:4
	buffer_load_dword v43, off, s[0:3], 0 offset:8
	;; [unrolled: 1-line block ×15, first 2 shown]
	ds_read2_b64 v[27:30], v0 offset0:13 offset1:14
	ds_read2_b64 v[31:34], v0 offset0:15 offset1:16
	;; [unrolled: 1-line block ×3, first 2 shown]
	s_and_b64 vcc, exec, s[22:23]
	s_waitcnt vmcnt(12) lgkmcnt(3)
	v_mul_f32_e32 v21, v23, v44
	v_fmac_f32_e32 v21, v24, v43
	s_waitcnt vmcnt(10)
	v_mul_f32_e32 v22, v25, v46
	v_add_f32_e32 v21, 0, v21
	v_fmac_f32_e32 v22, v26, v45
	v_add_f32_e32 v21, v21, v22
	s_waitcnt vmcnt(8) lgkmcnt(2)
	v_mul_f32_e32 v22, v27, v48
	v_fmac_f32_e32 v22, v28, v47
	v_add_f32_e32 v21, v21, v22
	s_waitcnt vmcnt(6)
	v_mul_f32_e32 v22, v29, v50
	v_fmac_f32_e32 v22, v30, v49
	v_add_f32_e32 v21, v21, v22
	s_waitcnt vmcnt(4) lgkmcnt(1)
	v_mul_f32_e32 v22, v31, v52
	v_fmac_f32_e32 v22, v32, v51
	v_add_f32_e32 v21, v21, v22
	s_waitcnt vmcnt(2)
	v_mul_f32_e32 v22, v33, v54
	v_fmac_f32_e32 v22, v34, v53
	v_add_f32_e32 v21, v21, v22
	s_waitcnt vmcnt(0) lgkmcnt(0)
	v_mul_f32_e32 v22, v35, v56
	v_fmac_f32_e32 v22, v36, v55
	v_add_f32_e32 v39, v21, v22
	buffer_load_dword v21, off, s[0:3], 0 offset:68
	buffer_load_dword v22, off, s[0:3], 0 offset:64
	v_mul_f32_e32 v24, v24, v44
	v_fma_f32 v23, v23, v43, -v24
	v_mul_f32_e32 v24, v26, v46
	v_add_f32_e32 v23, 0, v23
	v_fma_f32 v24, v25, v45, -v24
	v_add_f32_e32 v23, v23, v24
	v_mul_f32_e32 v24, v28, v48
	v_fma_f32 v24, v27, v47, -v24
	v_add_f32_e32 v23, v23, v24
	v_mul_f32_e32 v24, v30, v50
	v_fma_f32 v24, v29, v49, -v24
	v_add_f32_e32 v23, v23, v24
	v_mul_f32_e32 v24, v32, v52
	v_fma_f32 v24, v31, v51, -v24
	v_add_f32_e32 v23, v23, v24
	v_mul_f32_e32 v24, v34, v54
	v_fma_f32 v24, v33, v53, -v24
	v_add_f32_e32 v23, v23, v24
	v_mul_f32_e32 v24, v36, v56
	v_fma_f32 v24, v35, v55, -v24
	v_add_f32_e32 v23, v23, v24
	s_waitcnt vmcnt(1)
	v_mul_f32_e32 v40, v37, v21
	s_waitcnt vmcnt(0)
	v_fmac_f32_e32 v40, v38, v22
	v_add_f32_e32 v57, v39, v40
	ds_read_b64 v[39:40], v0 offset:152
	buffer_load_dword v58, off, s[0:3], 0 offset:72
	buffer_load_dword v59, off, s[0:3], 0 offset:76
	v_mul_f32_e32 v24, v38, v21
	v_fma_f32 v24, v37, v22, -v24
	v_add_f32_e32 v23, v23, v24
	s_waitcnt vmcnt(0) lgkmcnt(0)
	v_mul_f32_e32 v24, v40, v59
	v_mul_f32_e32 v60, v39, v59
	v_fma_f32 v24, v39, v58, -v24
	v_fmac_f32_e32 v60, v40, v58
	v_add_f32_e32 v23, v23, v24
	v_add_f32_e32 v57, v57, v60
	v_sub_f32_e32 v23, v41, v23
	v_sub_f32_e32 v24, v42, v57
	buffer_store_dword v23, off, s[0:3], 0
	buffer_store_dword v24, off, s[0:3], 0 offset:4
	s_cbranch_vccz .LBB9_92
; %bb.74:
	global_load_dword v0, v0, s[20:21] offset:32
	s_waitcnt vmcnt(0)
	v_add_u32_e32 v0, -1, v0
	v_cmp_ne_u32_e32 vcc, 8, v0
	s_cbranch_vccz .LBB9_76
; %bb.75:
	v_lshlrev_b32_e32 v0, 3, v0
	buffer_load_dword v23, v0, s[0:3], 0 offen offset:4
	buffer_load_dword v24, v0, s[0:3], 0 offen
	s_waitcnt vmcnt(1)
	buffer_store_dword v23, off, s[0:3], 0 offset:68
	s_waitcnt vmcnt(1)
	buffer_store_dword v24, off, s[0:3], 0 offset:64
	buffer_store_dword v21, v0, s[0:3], 0 offen offset:4
	buffer_store_dword v22, v0, s[0:3], 0 offen
.LBB9_76:
	v_mov_b32_e32 v0, 0
	global_load_dword v21, v0, s[20:21] offset:28
	s_waitcnt vmcnt(0)
	v_add_u32_e32 v21, -1, v21
	v_cmp_eq_u32_e32 vcc, 7, v21
	s_cbranch_vccnz .LBB9_78
; %bb.77:
	v_lshlrev_b32_e32 v21, 3, v21
	buffer_load_dword v22, v21, s[0:3], 0 offen
	buffer_load_dword v23, v21, s[0:3], 0 offen offset:4
	buffer_load_dword v24, off, s[0:3], 0 offset:56
	buffer_load_dword v25, off, s[0:3], 0 offset:60
	s_waitcnt vmcnt(3)
	buffer_store_dword v22, off, s[0:3], 0 offset:56
	s_waitcnt vmcnt(3)
	buffer_store_dword v23, off, s[0:3], 0 offset:60
	s_waitcnt vmcnt(3)
	buffer_store_dword v24, v21, s[0:3], 0 offen
	s_waitcnt vmcnt(3)
	buffer_store_dword v25, v21, s[0:3], 0 offen offset:4
.LBB9_78:
	global_load_dword v0, v0, s[20:21] offset:24
	s_waitcnt vmcnt(0)
	v_add_u32_e32 v0, -1, v0
	v_cmp_eq_u32_e32 vcc, 6, v0
	s_cbranch_vccnz .LBB9_80
; %bb.79:
	v_lshlrev_b32_e32 v0, 3, v0
	buffer_load_dword v21, v0, s[0:3], 0 offen
	buffer_load_dword v22, v0, s[0:3], 0 offen offset:4
	buffer_load_dword v23, off, s[0:3], 0 offset:52
	buffer_load_dword v24, off, s[0:3], 0 offset:48
	s_waitcnt vmcnt(3)
	buffer_store_dword v21, off, s[0:3], 0 offset:48
	s_waitcnt vmcnt(3)
	buffer_store_dword v22, off, s[0:3], 0 offset:52
	s_waitcnt vmcnt(3)
	buffer_store_dword v23, v0, s[0:3], 0 offen offset:4
	s_waitcnt vmcnt(3)
	buffer_store_dword v24, v0, s[0:3], 0 offen
.LBB9_80:
	v_mov_b32_e32 v0, 0
	global_load_dword v21, v0, s[20:21] offset:20
	s_waitcnt vmcnt(0)
	v_add_u32_e32 v21, -1, v21
	v_cmp_eq_u32_e32 vcc, 5, v21
	s_cbranch_vccnz .LBB9_82
; %bb.81:
	v_lshlrev_b32_e32 v21, 3, v21
	buffer_load_dword v22, v21, s[0:3], 0 offen
	buffer_load_dword v23, v21, s[0:3], 0 offen offset:4
	buffer_load_dword v24, off, s[0:3], 0 offset:40
	buffer_load_dword v25, off, s[0:3], 0 offset:44
	s_waitcnt vmcnt(3)
	buffer_store_dword v22, off, s[0:3], 0 offset:40
	s_waitcnt vmcnt(3)
	buffer_store_dword v23, off, s[0:3], 0 offset:44
	s_waitcnt vmcnt(3)
	buffer_store_dword v24, v21, s[0:3], 0 offen
	s_waitcnt vmcnt(3)
	buffer_store_dword v25, v21, s[0:3], 0 offen offset:4
.LBB9_82:
	global_load_dword v0, v0, s[20:21] offset:16
	s_waitcnt vmcnt(0)
	v_add_u32_e32 v0, -1, v0
	v_cmp_eq_u32_e32 vcc, 4, v0
	s_cbranch_vccnz .LBB9_84
; %bb.83:
	v_lshlrev_b32_e32 v0, 3, v0
	buffer_load_dword v21, v0, s[0:3], 0 offen
	buffer_load_dword v22, v0, s[0:3], 0 offen offset:4
	buffer_load_dword v23, off, s[0:3], 0 offset:36
	buffer_load_dword v24, off, s[0:3], 0 offset:32
	s_waitcnt vmcnt(3)
	buffer_store_dword v21, off, s[0:3], 0 offset:32
	s_waitcnt vmcnt(3)
	buffer_store_dword v22, off, s[0:3], 0 offset:36
	s_waitcnt vmcnt(3)
	buffer_store_dword v23, v0, s[0:3], 0 offen offset:4
	s_waitcnt vmcnt(3)
	buffer_store_dword v24, v0, s[0:3], 0 offen
.LBB9_84:
	;; [unrolled: 41-line block ×3, first 2 shown]
	v_mov_b32_e32 v0, 0
	global_load_dword v21, v0, s[20:21] offset:4
	s_waitcnt vmcnt(0)
	v_add_u32_e32 v21, -1, v21
	v_cmp_eq_u32_e32 vcc, 1, v21
	s_cbranch_vccnz .LBB9_90
; %bb.89:
	v_lshlrev_b32_e32 v21, 3, v21
	buffer_load_dword v22, v21, s[0:3], 0 offen
	buffer_load_dword v23, v21, s[0:3], 0 offen offset:4
	buffer_load_dword v24, off, s[0:3], 0 offset:8
	buffer_load_dword v25, off, s[0:3], 0 offset:12
	s_waitcnt vmcnt(3)
	buffer_store_dword v22, off, s[0:3], 0 offset:8
	s_waitcnt vmcnt(3)
	buffer_store_dword v23, off, s[0:3], 0 offset:12
	s_waitcnt vmcnt(3)
	buffer_store_dword v24, v21, s[0:3], 0 offen
	s_waitcnt vmcnt(3)
	buffer_store_dword v25, v21, s[0:3], 0 offen offset:4
.LBB9_90:
	global_load_dword v0, v0, s[20:21]
	s_waitcnt vmcnt(0)
	v_add_u32_e32 v0, -1, v0
	v_cmp_eq_u32_e32 vcc, 0, v0
	s_cbranch_vccnz .LBB9_92
; %bb.91:
	v_lshlrev_b32_e32 v0, 3, v0
	buffer_load_dword v21, v0, s[0:3], 0 offen
	buffer_load_dword v22, v0, s[0:3], 0 offen offset:4
	buffer_load_dword v23, off, s[0:3], 0 offset:4
	buffer_load_dword v24, off, s[0:3], 0
	s_waitcnt vmcnt(3)
	buffer_store_dword v21, off, s[0:3], 0
	s_waitcnt vmcnt(3)
	buffer_store_dword v22, off, s[0:3], 0 offset:4
	s_waitcnt vmcnt(3)
	buffer_store_dword v23, v0, s[0:3], 0 offen offset:4
	s_waitcnt vmcnt(3)
	buffer_store_dword v24, v0, s[0:3], 0 offen
.LBB9_92:
	buffer_load_dword v21, off, s[0:3], 0
	buffer_load_dword v22, off, s[0:3], 0 offset:4
	buffer_load_dword v23, off, s[0:3], 0 offset:8
	s_nop 0
	buffer_load_dword v24, off, s[0:3], 0 offset:12
	buffer_load_dword v25, off, s[0:3], 0 offset:16
	;; [unrolled: 1-line block ×17, first 2 shown]
	s_waitcnt vmcnt(18)
	global_store_dwordx2 v[15:16], v[21:22], off
	s_waitcnt vmcnt(17)
	global_store_dwordx2 v[17:18], v[23:24], off
	;; [unrolled: 2-line block ×9, first 2 shown]
	global_store_dwordx2 v[19:20], v[39:40], off
	s_endpgm
	.section	.rodata,"a",@progbits
	.p2align	6, 0x0
	.amdhsa_kernel _ZN9rocsolver6v33100L18getri_kernel_smallILi10E19rocblas_complex_numIfEPS3_EEvT1_iilPiilS6_bb
		.amdhsa_group_segment_fixed_size 164
		.amdhsa_private_segment_fixed_size 96
		.amdhsa_kernarg_size 60
		.amdhsa_user_sgpr_count 6
		.amdhsa_user_sgpr_private_segment_buffer 1
		.amdhsa_user_sgpr_dispatch_ptr 0
		.amdhsa_user_sgpr_queue_ptr 0
		.amdhsa_user_sgpr_kernarg_segment_ptr 1
		.amdhsa_user_sgpr_dispatch_id 0
		.amdhsa_user_sgpr_flat_scratch_init 0
		.amdhsa_user_sgpr_private_segment_size 0
		.amdhsa_uses_dynamic_stack 0
		.amdhsa_system_sgpr_private_segment_wavefront_offset 1
		.amdhsa_system_sgpr_workgroup_id_x 1
		.amdhsa_system_sgpr_workgroup_id_y 0
		.amdhsa_system_sgpr_workgroup_id_z 0
		.amdhsa_system_sgpr_workgroup_info 0
		.amdhsa_system_vgpr_workitem_id 0
		.amdhsa_next_free_vgpr 61
		.amdhsa_next_free_sgpr 24
		.amdhsa_reserve_vcc 1
		.amdhsa_reserve_flat_scratch 0
		.amdhsa_float_round_mode_32 0
		.amdhsa_float_round_mode_16_64 0
		.amdhsa_float_denorm_mode_32 3
		.amdhsa_float_denorm_mode_16_64 3
		.amdhsa_dx10_clamp 1
		.amdhsa_ieee_mode 1
		.amdhsa_fp16_overflow 0
		.amdhsa_exception_fp_ieee_invalid_op 0
		.amdhsa_exception_fp_denorm_src 0
		.amdhsa_exception_fp_ieee_div_zero 0
		.amdhsa_exception_fp_ieee_overflow 0
		.amdhsa_exception_fp_ieee_underflow 0
		.amdhsa_exception_fp_ieee_inexact 0
		.amdhsa_exception_int_div_zero 0
	.end_amdhsa_kernel
	.section	.text._ZN9rocsolver6v33100L18getri_kernel_smallILi10E19rocblas_complex_numIfEPS3_EEvT1_iilPiilS6_bb,"axG",@progbits,_ZN9rocsolver6v33100L18getri_kernel_smallILi10E19rocblas_complex_numIfEPS3_EEvT1_iilPiilS6_bb,comdat
.Lfunc_end9:
	.size	_ZN9rocsolver6v33100L18getri_kernel_smallILi10E19rocblas_complex_numIfEPS3_EEvT1_iilPiilS6_bb, .Lfunc_end9-_ZN9rocsolver6v33100L18getri_kernel_smallILi10E19rocblas_complex_numIfEPS3_EEvT1_iilPiilS6_bb
                                        ; -- End function
	.set _ZN9rocsolver6v33100L18getri_kernel_smallILi10E19rocblas_complex_numIfEPS3_EEvT1_iilPiilS6_bb.num_vgpr, 61
	.set _ZN9rocsolver6v33100L18getri_kernel_smallILi10E19rocblas_complex_numIfEPS3_EEvT1_iilPiilS6_bb.num_agpr, 0
	.set _ZN9rocsolver6v33100L18getri_kernel_smallILi10E19rocblas_complex_numIfEPS3_EEvT1_iilPiilS6_bb.numbered_sgpr, 24
	.set _ZN9rocsolver6v33100L18getri_kernel_smallILi10E19rocblas_complex_numIfEPS3_EEvT1_iilPiilS6_bb.num_named_barrier, 0
	.set _ZN9rocsolver6v33100L18getri_kernel_smallILi10E19rocblas_complex_numIfEPS3_EEvT1_iilPiilS6_bb.private_seg_size, 96
	.set _ZN9rocsolver6v33100L18getri_kernel_smallILi10E19rocblas_complex_numIfEPS3_EEvT1_iilPiilS6_bb.uses_vcc, 1
	.set _ZN9rocsolver6v33100L18getri_kernel_smallILi10E19rocblas_complex_numIfEPS3_EEvT1_iilPiilS6_bb.uses_flat_scratch, 0
	.set _ZN9rocsolver6v33100L18getri_kernel_smallILi10E19rocblas_complex_numIfEPS3_EEvT1_iilPiilS6_bb.has_dyn_sized_stack, 0
	.set _ZN9rocsolver6v33100L18getri_kernel_smallILi10E19rocblas_complex_numIfEPS3_EEvT1_iilPiilS6_bb.has_recursion, 0
	.set _ZN9rocsolver6v33100L18getri_kernel_smallILi10E19rocblas_complex_numIfEPS3_EEvT1_iilPiilS6_bb.has_indirect_call, 0
	.section	.AMDGPU.csdata,"",@progbits
; Kernel info:
; codeLenInByte = 8180
; TotalNumSgprs: 28
; NumVgprs: 61
; ScratchSize: 96
; MemoryBound: 0
; FloatMode: 240
; IeeeMode: 1
; LDSByteSize: 164 bytes/workgroup (compile time only)
; SGPRBlocks: 3
; VGPRBlocks: 15
; NumSGPRsForWavesPerEU: 28
; NumVGPRsForWavesPerEU: 61
; Occupancy: 4
; WaveLimiterHint : 1
; COMPUTE_PGM_RSRC2:SCRATCH_EN: 1
; COMPUTE_PGM_RSRC2:USER_SGPR: 6
; COMPUTE_PGM_RSRC2:TRAP_HANDLER: 0
; COMPUTE_PGM_RSRC2:TGID_X_EN: 1
; COMPUTE_PGM_RSRC2:TGID_Y_EN: 0
; COMPUTE_PGM_RSRC2:TGID_Z_EN: 0
; COMPUTE_PGM_RSRC2:TIDIG_COMP_CNT: 0
	.section	.text._ZN9rocsolver6v33100L18getri_kernel_smallILi11E19rocblas_complex_numIfEPS3_EEvT1_iilPiilS6_bb,"axG",@progbits,_ZN9rocsolver6v33100L18getri_kernel_smallILi11E19rocblas_complex_numIfEPS3_EEvT1_iilPiilS6_bb,comdat
	.globl	_ZN9rocsolver6v33100L18getri_kernel_smallILi11E19rocblas_complex_numIfEPS3_EEvT1_iilPiilS6_bb ; -- Begin function _ZN9rocsolver6v33100L18getri_kernel_smallILi11E19rocblas_complex_numIfEPS3_EEvT1_iilPiilS6_bb
	.p2align	8
	.type	_ZN9rocsolver6v33100L18getri_kernel_smallILi11E19rocblas_complex_numIfEPS3_EEvT1_iilPiilS6_bb,@function
_ZN9rocsolver6v33100L18getri_kernel_smallILi11E19rocblas_complex_numIfEPS3_EEvT1_iilPiilS6_bb: ; @_ZN9rocsolver6v33100L18getri_kernel_smallILi11E19rocblas_complex_numIfEPS3_EEvT1_iilPiilS6_bb
; %bb.0:
	s_add_u32 s0, s0, s7
	s_addc_u32 s1, s1, 0
	v_cmp_gt_u32_e32 vcc, 11, v0
	s_and_saveexec_b64 s[8:9], vcc
	s_cbranch_execz .LBB10_58
; %bb.1:
	s_load_dword s12, s[4:5], 0x38
	s_load_dwordx4 s[16:19], s[4:5], 0x10
	s_load_dwordx4 s[8:11], s[4:5], 0x28
                                        ; implicit-def: $sgpr20_sgpr21
	s_waitcnt lgkmcnt(0)
	s_bitcmp1_b32 s12, 8
	s_cselect_b64 s[22:23], -1, 0
	s_ashr_i32 s7, s6, 31
	s_bfe_u32 s12, s12, 0x10008
	s_cmp_eq_u32 s12, 0
	s_cbranch_scc1 .LBB10_3
; %bb.2:
	s_load_dword s12, s[4:5], 0x20
	s_mul_i32 s13, s8, s7
	s_mul_hi_u32 s14, s8, s6
	s_mul_i32 s9, s9, s6
	s_add_i32 s14, s14, s13
	s_add_i32 s9, s14, s9
	s_mul_i32 s8, s8, s6
	s_waitcnt lgkmcnt(0)
	s_ashr_i32 s13, s12, 31
	s_lshl_b64 s[8:9], s[8:9], 2
	s_add_u32 s14, s18, s8
	s_addc_u32 s15, s19, s9
	s_lshl_b64 s[8:9], s[12:13], 2
	s_add_u32 s20, s14, s8
	s_addc_u32 s21, s15, s9
.LBB10_3:
	s_load_dwordx4 s[12:15], s[4:5], 0x0
	s_load_dword s8, s[4:5], 0x38
	s_mul_i32 s9, s16, s7
	s_mul_hi_u32 s18, s16, s6
	s_add_i32 s9, s18, s9
	s_waitcnt lgkmcnt(0)
	s_ashr_i32 s5, s14, 31
	s_mov_b32 s4, s14
	s_mul_i32 s14, s17, s6
	s_add_i32 s17, s9, s14
	s_mul_i32 s16, s16, s6
	s_lshl_b64 s[16:17], s[16:17], 3
	s_add_u32 s9, s12, s16
	s_addc_u32 s12, s13, s17
	s_lshl_b64 s[4:5], s[4:5], 3
	s_add_u32 s4, s9, s4
	s_addc_u32 s5, s12, s5
	s_add_i32 s9, s15, s15
	v_add_u32_e32 v3, s9, v0
	v_ashrrev_i32_e32 v4, 31, v3
	v_lshlrev_b64 v[1:2], 3, v[3:4]
	v_add_u32_e32 v5, s15, v3
	v_mov_b32_e32 v4, s5
	v_add_co_u32_e32 v1, vcc, s4, v1
	v_ashrrev_i32_e32 v6, 31, v5
	v_addc_co_u32_e32 v2, vcc, v4, v2, vcc
	v_lshlrev_b64 v[3:4], 3, v[5:6]
	v_add_u32_e32 v7, s15, v5
	v_mov_b32_e32 v6, s5
	v_add_co_u32_e32 v3, vcc, s4, v3
	v_ashrrev_i32_e32 v8, 31, v7
	v_addc_co_u32_e32 v4, vcc, v6, v4, vcc
	;; [unrolled: 6-line block ×6, first 2 shown]
	v_lshlrev_b64 v[13:14], 3, v[15:16]
	v_mov_b32_e32 v16, s5
	v_add_co_u32_e32 v13, vcc, s4, v13
	v_addc_co_u32_e32 v14, vcc, v16, v14, vcc
	v_lshlrev_b32_e32 v25, 3, v0
	v_add_u32_e32 v21, s15, v15
	v_add_co_u32_e32 v15, vcc, s4, v25
	s_ashr_i32 s13, s15, 31
	s_mov_b32 s12, s15
	v_ashrrev_i32_e32 v22, 31, v21
	v_addc_co_u32_e32 v16, vcc, 0, v16, vcc
	s_lshl_b64 s[12:13], s[12:13], 3
	v_lshlrev_b64 v[17:18], 3, v[21:22]
	v_mov_b32_e32 v20, s13
	v_add_co_u32_e32 v19, vcc, s12, v15
	v_addc_co_u32_e32 v20, vcc, v16, v20, vcc
	v_mov_b32_e32 v22, s5
	v_add_co_u32_e32 v17, vcc, s4, v17
	global_load_dwordx2 v[23:24], v25, s[4:5]
	global_load_dwordx2 v[28:29], v[1:2], off
	global_load_dwordx2 v[30:31], v[3:4], off
	;; [unrolled: 1-line block ×5, first 2 shown]
	v_addc_co_u32_e32 v18, vcc, v22, v18, vcc
	global_load_dwordx2 v[36:37], v[9:10], off
	global_load_dwordx2 v[38:39], v[11:12], off
	;; [unrolled: 1-line block ×4, first 2 shown]
	v_add_u32_e32 v21, s15, v21
	v_ashrrev_i32_e32 v22, 31, v21
	v_lshlrev_b64 v[21:22], 3, v[21:22]
	v_mov_b32_e32 v44, s5
	v_add_co_u32_e32 v21, vcc, s4, v21
	v_addc_co_u32_e32 v22, vcc, v44, v22, vcc
	global_load_dwordx2 v[44:45], v[21:22], off
	s_bitcmp0_b32 s8, 0
	s_mov_b64 s[8:9], -1
	s_waitcnt vmcnt(10)
	buffer_store_dword v24, off, s[0:3], 0 offset:4
	buffer_store_dword v23, off, s[0:3], 0
	s_waitcnt vmcnt(8)
	buffer_store_dword v27, off, s[0:3], 0 offset:12
	buffer_store_dword v26, off, s[0:3], 0 offset:8
	;; [unrolled: 1-line block ×8, first 2 shown]
	s_waitcnt vmcnt(15)
	buffer_store_dword v35, off, s[0:3], 0 offset:44
	buffer_store_dword v34, off, s[0:3], 0 offset:40
	s_waitcnt vmcnt(16)
	buffer_store_dword v37, off, s[0:3], 0 offset:52
	buffer_store_dword v36, off, s[0:3], 0 offset:48
	;; [unrolled: 3-line block ×6, first 2 shown]
	s_cbranch_scc1 .LBB10_56
; %bb.4:
	v_cmp_eq_u32_e64 s[4:5], 0, v0
	s_and_saveexec_b64 s[8:9], s[4:5]
; %bb.5:
	v_mov_b32_e32 v23, 0
	ds_write_b32 v23, v23 offset:88
; %bb.6:
	s_or_b64 exec, exec, s[8:9]
	v_mov_b32_e32 v23, 0
	v_lshl_add_u32 v27, v0, 3, v23
	s_waitcnt lgkmcnt(0)
	; wave barrier
	buffer_load_dword v23, v27, s[0:3], 0 offen
	buffer_load_dword v24, v27, s[0:3], 0 offen offset:4
	s_waitcnt vmcnt(1)
	v_cmp_eq_f32_e32 vcc, 0, v23
	s_waitcnt vmcnt(0)
	v_cmp_eq_f32_e64 s[8:9], 0, v24
	s_and_b64 s[8:9], vcc, s[8:9]
	s_and_saveexec_b64 s[12:13], s[8:9]
	s_cbranch_execz .LBB10_10
; %bb.7:
	v_mov_b32_e32 v23, 0
	ds_read_b32 v26, v23 offset:88
	v_add_u32_e32 v24, 1, v0
	s_waitcnt lgkmcnt(0)
	v_readfirstlane_b32 s8, v26
	s_cmp_eq_u32 s8, 0
	s_cselect_b64 s[14:15], -1, 0
	v_cmp_gt_i32_e32 vcc, s8, v24
	s_or_b64 s[14:15], s[14:15], vcc
	s_and_b64 exec, exec, s[14:15]
	s_cbranch_execz .LBB10_10
; %bb.8:
	s_mov_b64 s[14:15], 0
	v_mov_b32_e32 v26, s8
.LBB10_9:                               ; =>This Inner Loop Header: Depth=1
	ds_cmpst_rtn_b32 v26, v23, v26, v24 offset:88
	s_waitcnt lgkmcnt(0)
	v_cmp_ne_u32_e32 vcc, 0, v26
	v_cmp_le_i32_e64 s[8:9], v26, v24
	s_and_b64 s[8:9], vcc, s[8:9]
	s_and_b64 s[8:9], exec, s[8:9]
	s_or_b64 s[14:15], s[8:9], s[14:15]
	s_andn2_b64 exec, exec, s[14:15]
	s_cbranch_execnz .LBB10_9
.LBB10_10:
	s_or_b64 exec, exec, s[12:13]
	v_mov_b32_e32 v24, 0
	; wave barrier
	ds_read_b32 v23, v24 offset:88
	s_and_saveexec_b64 s[8:9], s[4:5]
	s_cbranch_execz .LBB10_12
; %bb.11:
	s_lshl_b64 s[12:13], s[6:7], 2
	s_add_u32 s12, s10, s12
	s_addc_u32 s13, s11, s13
	s_waitcnt lgkmcnt(0)
	global_store_dword v24, v23, s[12:13]
.LBB10_12:
	s_or_b64 exec, exec, s[8:9]
	s_waitcnt lgkmcnt(0)
	v_cmp_ne_u32_e32 vcc, 0, v23
	s_mov_b64 s[8:9], 0
	s_cbranch_vccnz .LBB10_56
; %bb.13:
	buffer_load_dword v24, v27, s[0:3], 0 offen
	buffer_load_dword v26, v27, s[0:3], 0 offen offset:4
                                        ; implicit-def: $vgpr29
                                        ; implicit-def: $vgpr28
                                        ; implicit-def: $vgpr23
	s_waitcnt vmcnt(0)
	v_cmp_ngt_f32_e64 s[8:9], |v24|, |v26|
	s_and_saveexec_b64 s[12:13], s[8:9]
	s_xor_b64 s[8:9], exec, s[12:13]
	s_cbranch_execz .LBB10_15
; %bb.14:
	v_div_scale_f32 v23, s[12:13], v26, v26, v24
	v_div_scale_f32 v28, vcc, v24, v26, v24
	v_rcp_f32_e32 v29, v23
	v_fma_f32 v30, -v23, v29, 1.0
	v_fmac_f32_e32 v29, v30, v29
	v_mul_f32_e32 v30, v28, v29
	v_fma_f32 v31, -v23, v30, v28
	v_fmac_f32_e32 v30, v31, v29
	v_fma_f32 v23, -v23, v30, v28
	v_div_fmas_f32 v23, v23, v29, v30
	v_div_fixup_f32 v23, v23, v26, v24
	v_fmac_f32_e32 v26, v24, v23
	v_div_scale_f32 v24, s[12:13], v26, v26, 1.0
	v_div_scale_f32 v28, vcc, 1.0, v26, 1.0
	v_rcp_f32_e32 v29, v24
	v_fma_f32 v30, -v24, v29, 1.0
	v_fmac_f32_e32 v29, v30, v29
	v_mul_f32_e32 v30, v28, v29
	v_fma_f32 v31, -v24, v30, v28
	v_fmac_f32_e32 v30, v31, v29
	v_fma_f32 v24, -v24, v30, v28
	v_div_fmas_f32 v24, v24, v29, v30
	v_div_fixup_f32 v24, v24, v26, 1.0
	v_mul_f32_e32 v29, v23, v24
	v_xor_b32_e32 v28, 0x80000000, v24
	v_xor_b32_e32 v23, 0x80000000, v29
                                        ; implicit-def: $vgpr24
                                        ; implicit-def: $vgpr26
.LBB10_15:
	s_andn2_saveexec_b64 s[8:9], s[8:9]
	s_cbranch_execz .LBB10_17
; %bb.16:
	v_div_scale_f32 v23, s[12:13], v24, v24, v26
	v_div_scale_f32 v28, vcc, v26, v24, v26
	v_rcp_f32_e32 v29, v23
	v_fma_f32 v30, -v23, v29, 1.0
	v_fmac_f32_e32 v29, v30, v29
	v_mul_f32_e32 v30, v28, v29
	v_fma_f32 v31, -v23, v30, v28
	v_fmac_f32_e32 v30, v31, v29
	v_fma_f32 v23, -v23, v30, v28
	v_div_fmas_f32 v23, v23, v29, v30
	v_div_fixup_f32 v28, v23, v24, v26
	v_fmac_f32_e32 v24, v26, v28
	v_div_scale_f32 v23, s[12:13], v24, v24, 1.0
	v_div_scale_f32 v26, vcc, 1.0, v24, 1.0
	v_rcp_f32_e32 v29, v23
	v_fma_f32 v30, -v23, v29, 1.0
	v_fmac_f32_e32 v29, v30, v29
	v_mul_f32_e32 v30, v26, v29
	v_fma_f32 v31, -v23, v30, v26
	v_fmac_f32_e32 v30, v31, v29
	v_fma_f32 v23, -v23, v30, v26
	v_div_fmas_f32 v23, v23, v29, v30
	v_div_fixup_f32 v29, v23, v24, 1.0
	v_xor_b32_e32 v23, 0x80000000, v29
	v_mul_f32_e64 v28, v28, -v29
.LBB10_17:
	s_or_b64 exec, exec, s[8:9]
	buffer_store_dword v29, v27, s[0:3], 0 offen
	buffer_store_dword v28, v27, s[0:3], 0 offen offset:4
	buffer_load_dword v30, off, s[0:3], 0 offset:12
	s_nop 0
	buffer_load_dword v29, off, s[0:3], 0 offset:8
	v_xor_b32_e32 v24, 0x80000000, v28
	v_add_u32_e32 v26, 0x60, v25
	s_waitcnt vmcnt(0)
	ds_write2_b64 v25, v[23:24], v[29:30] offset1:12
	s_waitcnt lgkmcnt(0)
	; wave barrier
	s_and_saveexec_b64 s[8:9], s[4:5]
	s_cbranch_execz .LBB10_19
; %bb.18:
	buffer_load_dword v30, v27, s[0:3], 0 offen offset:4
	buffer_load_dword v31, v27, s[0:3], 0 offen
	ds_read_b64 v[23:24], v26
	v_mov_b32_e32 v28, 0
	ds_read_b64 v[28:29], v28 offset:8
	s_waitcnt vmcnt(1) lgkmcnt(1)
	v_mul_f32_e32 v32, v24, v30
	v_mul_f32_e32 v30, v23, v30
	s_waitcnt vmcnt(0)
	v_fmac_f32_e32 v30, v24, v31
	v_fma_f32 v23, v23, v31, -v32
	v_add_f32_e32 v24, 0, v30
	v_add_f32_e32 v23, 0, v23
	s_waitcnt lgkmcnt(0)
	v_mul_f32_e32 v30, v24, v29
	v_mul_f32_e32 v29, v23, v29
	v_fma_f32 v23, v23, v28, -v30
	v_fmac_f32_e32 v29, v24, v28
	buffer_store_dword v23, off, s[0:3], 0 offset:8
	buffer_store_dword v29, off, s[0:3], 0 offset:12
.LBB10_19:
	s_or_b64 exec, exec, s[8:9]
	; wave barrier
	buffer_load_dword v23, off, s[0:3], 0 offset:16
	buffer_load_dword v24, off, s[0:3], 0 offset:20
	v_cmp_gt_u32_e32 vcc, 2, v0
	s_waitcnt vmcnt(0)
	ds_write_b64 v26, v[23:24]
	s_waitcnt lgkmcnt(0)
	; wave barrier
	s_and_saveexec_b64 s[8:9], vcc
	s_cbranch_execz .LBB10_23
; %bb.20:
	buffer_load_dword v28, v27, s[0:3], 0 offen offset:4
	buffer_load_dword v29, v27, s[0:3], 0 offen
	ds_read_b64 v[23:24], v26
	s_waitcnt vmcnt(1) lgkmcnt(0)
	v_mul_f32_e32 v27, v24, v28
	v_mul_f32_e32 v28, v23, v28
	s_waitcnt vmcnt(0)
	v_fma_f32 v23, v23, v29, -v27
	v_fmac_f32_e32 v28, v24, v29
	v_add_f32_e32 v24, 0, v23
	v_add_f32_e32 v23, 0, v28
	s_and_saveexec_b64 s[12:13], s[4:5]
	s_cbranch_execz .LBB10_22
; %bb.21:
	buffer_load_dword v29, off, s[0:3], 0 offset:12
	buffer_load_dword v30, off, s[0:3], 0 offset:8
	v_mov_b32_e32 v27, 0
	ds_read_b64 v[27:28], v27 offset:104
	s_waitcnt vmcnt(1) lgkmcnt(0)
	v_mul_f32_e32 v31, v27, v29
	v_mul_f32_e32 v29, v28, v29
	s_waitcnt vmcnt(0)
	v_fmac_f32_e32 v31, v28, v30
	v_fma_f32 v27, v27, v30, -v29
	v_add_f32_e32 v23, v23, v31
	v_add_f32_e32 v24, v24, v27
.LBB10_22:
	s_or_b64 exec, exec, s[12:13]
	v_mov_b32_e32 v27, 0
	ds_read_b64 v[27:28], v27 offset:16
	s_waitcnt lgkmcnt(0)
	v_mul_f32_e32 v29, v23, v28
	v_mul_f32_e32 v28, v24, v28
	v_fma_f32 v24, v24, v27, -v29
	v_fmac_f32_e32 v28, v23, v27
	buffer_store_dword v24, off, s[0:3], 0 offset:16
	buffer_store_dword v28, off, s[0:3], 0 offset:20
.LBB10_23:
	s_or_b64 exec, exec, s[8:9]
	; wave barrier
	buffer_load_dword v23, off, s[0:3], 0 offset:24
	buffer_load_dword v24, off, s[0:3], 0 offset:28
	v_cmp_gt_u32_e32 vcc, 3, v0
	s_waitcnt vmcnt(0)
	ds_write_b64 v26, v[23:24]
	v_add_u32_e32 v23, -1, v0
	s_waitcnt lgkmcnt(0)
	; wave barrier
	s_and_saveexec_b64 s[4:5], vcc
	s_cbranch_execz .LBB10_27
; %bb.24:
	v_add_u32_e32 v27, -1, v0
	v_add_u32_e32 v28, 0x60, v25
	v_mov_b32_e32 v29, v25
	v_mov_b32_e32 v24, 0
	s_mov_b64 s[8:9], 0
	v_mov_b32_e32 v30, 0
.LBB10_25:                              ; =>This Inner Loop Header: Depth=1
	buffer_load_dword v33, v29, s[0:3], 0 offen offset:4
	buffer_load_dword v34, v29, s[0:3], 0 offen
	ds_read_b64 v[31:32], v28
	v_add_u32_e32 v27, 1, v27
	v_cmp_lt_u32_e32 vcc, 1, v27
	v_add_u32_e32 v28, 8, v28
	v_add_u32_e32 v29, 8, v29
	s_or_b64 s[8:9], vcc, s[8:9]
	s_waitcnt vmcnt(1) lgkmcnt(0)
	v_mul_f32_e32 v35, v32, v33
	v_mul_f32_e32 v33, v31, v33
	s_waitcnt vmcnt(0)
	v_fma_f32 v31, v31, v34, -v35
	v_fmac_f32_e32 v33, v32, v34
	v_add_f32_e32 v30, v30, v31
	v_add_f32_e32 v24, v24, v33
	s_andn2_b64 exec, exec, s[8:9]
	s_cbranch_execnz .LBB10_25
; %bb.26:
	s_or_b64 exec, exec, s[8:9]
	v_mov_b32_e32 v27, 0
	ds_read_b64 v[27:28], v27 offset:24
	s_waitcnt lgkmcnt(0)
	v_mul_f32_e32 v29, v24, v28
	v_mul_f32_e32 v28, v30, v28
	v_fma_f32 v29, v30, v27, -v29
	v_fmac_f32_e32 v28, v24, v27
	buffer_store_dword v29, off, s[0:3], 0 offset:24
	buffer_store_dword v28, off, s[0:3], 0 offset:28
.LBB10_27:
	s_or_b64 exec, exec, s[4:5]
	; wave barrier
	buffer_load_dword v27, off, s[0:3], 0 offset:32
	buffer_load_dword v28, off, s[0:3], 0 offset:36
	v_cmp_gt_u32_e32 vcc, 4, v0
	s_waitcnt vmcnt(0)
	ds_write_b64 v26, v[27:28]
	s_waitcnt lgkmcnt(0)
	; wave barrier
	s_and_saveexec_b64 s[4:5], vcc
	s_cbranch_execz .LBB10_31
; %bb.28:
	v_add_u32_e32 v27, -1, v0
	v_add_u32_e32 v28, 0x60, v25
	v_mov_b32_e32 v29, v25
	v_mov_b32_e32 v24, 0
	s_mov_b64 s[8:9], 0
	v_mov_b32_e32 v30, 0
.LBB10_29:                              ; =>This Inner Loop Header: Depth=1
	buffer_load_dword v33, v29, s[0:3], 0 offen offset:4
	buffer_load_dword v34, v29, s[0:3], 0 offen
	ds_read_b64 v[31:32], v28
	v_add_u32_e32 v27, 1, v27
	v_cmp_lt_u32_e32 vcc, 2, v27
	v_add_u32_e32 v28, 8, v28
	v_add_u32_e32 v29, 8, v29
	s_or_b64 s[8:9], vcc, s[8:9]
	s_waitcnt vmcnt(1) lgkmcnt(0)
	v_mul_f32_e32 v35, v32, v33
	v_mul_f32_e32 v33, v31, v33
	s_waitcnt vmcnt(0)
	v_fma_f32 v31, v31, v34, -v35
	v_fmac_f32_e32 v33, v32, v34
	v_add_f32_e32 v30, v30, v31
	v_add_f32_e32 v24, v24, v33
	s_andn2_b64 exec, exec, s[8:9]
	s_cbranch_execnz .LBB10_29
; %bb.30:
	s_or_b64 exec, exec, s[8:9]
	v_mov_b32_e32 v27, 0
	ds_read_b64 v[27:28], v27 offset:32
	s_waitcnt lgkmcnt(0)
	v_mul_f32_e32 v29, v24, v28
	v_mul_f32_e32 v28, v30, v28
	v_fma_f32 v29, v30, v27, -v29
	v_fmac_f32_e32 v28, v24, v27
	buffer_store_dword v29, off, s[0:3], 0 offset:32
	buffer_store_dword v28, off, s[0:3], 0 offset:36
.LBB10_31:
	s_or_b64 exec, exec, s[4:5]
	; wave barrier
	buffer_load_dword v27, off, s[0:3], 0 offset:40
	buffer_load_dword v28, off, s[0:3], 0 offset:44
	v_cmp_gt_u32_e32 vcc, 5, v0
	s_waitcnt vmcnt(0)
	ds_write_b64 v26, v[27:28]
	;; [unrolled: 49-line block ×6, first 2 shown]
	s_waitcnt lgkmcnt(0)
	; wave barrier
	s_and_saveexec_b64 s[4:5], vcc
	s_cbranch_execz .LBB10_51
; %bb.48:
	v_add_u32_e32 v27, -1, v0
	v_add_u32_e32 v28, 0x60, v25
	v_mov_b32_e32 v29, v25
	v_mov_b32_e32 v24, 0
	s_mov_b64 s[8:9], 0
	v_mov_b32_e32 v30, 0
.LBB10_49:                              ; =>This Inner Loop Header: Depth=1
	buffer_load_dword v33, v29, s[0:3], 0 offen offset:4
	buffer_load_dword v34, v29, s[0:3], 0 offen
	ds_read_b64 v[31:32], v28
	v_add_u32_e32 v27, 1, v27
	v_cmp_lt_u32_e32 vcc, 7, v27
	v_add_u32_e32 v28, 8, v28
	v_add_u32_e32 v29, 8, v29
	s_or_b64 s[8:9], vcc, s[8:9]
	s_waitcnt vmcnt(1) lgkmcnt(0)
	v_mul_f32_e32 v35, v32, v33
	v_mul_f32_e32 v33, v31, v33
	s_waitcnt vmcnt(0)
	v_fma_f32 v31, v31, v34, -v35
	v_fmac_f32_e32 v33, v32, v34
	v_add_f32_e32 v30, v30, v31
	v_add_f32_e32 v24, v24, v33
	s_andn2_b64 exec, exec, s[8:9]
	s_cbranch_execnz .LBB10_49
; %bb.50:
	s_or_b64 exec, exec, s[8:9]
	v_mov_b32_e32 v27, 0
	ds_read_b64 v[27:28], v27 offset:72
	s_waitcnt lgkmcnt(0)
	v_mul_f32_e32 v29, v24, v28
	v_mul_f32_e32 v28, v30, v28
	v_fma_f32 v29, v30, v27, -v29
	v_fmac_f32_e32 v28, v24, v27
	buffer_store_dword v29, off, s[0:3], 0 offset:72
	buffer_store_dword v28, off, s[0:3], 0 offset:76
.LBB10_51:
	s_or_b64 exec, exec, s[4:5]
	; wave barrier
	buffer_load_dword v27, off, s[0:3], 0 offset:80
	buffer_load_dword v28, off, s[0:3], 0 offset:84
	v_cmp_ne_u32_e32 vcc, 10, v0
	s_waitcnt vmcnt(0)
	ds_write_b64 v26, v[27:28]
	s_waitcnt lgkmcnt(0)
	; wave barrier
	s_and_saveexec_b64 s[4:5], vcc
	s_cbranch_execz .LBB10_55
; %bb.52:
	v_add_u32_e32 v26, 0x60, v25
	v_mov_b32_e32 v24, 0
	s_mov_b64 s[8:9], 0
	v_mov_b32_e32 v27, 0
.LBB10_53:                              ; =>This Inner Loop Header: Depth=1
	buffer_load_dword v30, v25, s[0:3], 0 offen offset:4
	buffer_load_dword v31, v25, s[0:3], 0 offen
	ds_read_b64 v[28:29], v26
	v_add_u32_e32 v23, 1, v23
	v_cmp_lt_u32_e32 vcc, 8, v23
	v_add_u32_e32 v26, 8, v26
	v_add_u32_e32 v25, 8, v25
	s_or_b64 s[8:9], vcc, s[8:9]
	s_waitcnt vmcnt(1) lgkmcnt(0)
	v_mul_f32_e32 v32, v29, v30
	v_mul_f32_e32 v30, v28, v30
	s_waitcnt vmcnt(0)
	v_fma_f32 v28, v28, v31, -v32
	v_fmac_f32_e32 v30, v29, v31
	v_add_f32_e32 v27, v27, v28
	v_add_f32_e32 v24, v24, v30
	s_andn2_b64 exec, exec, s[8:9]
	s_cbranch_execnz .LBB10_53
; %bb.54:
	s_or_b64 exec, exec, s[8:9]
	v_mov_b32_e32 v23, 0
	ds_read_b64 v[25:26], v23 offset:80
	s_waitcnt lgkmcnt(0)
	v_mul_f32_e32 v23, v24, v26
	v_mul_f32_e32 v26, v27, v26
	v_fma_f32 v23, v27, v25, -v23
	v_fmac_f32_e32 v26, v24, v25
	buffer_store_dword v23, off, s[0:3], 0 offset:80
	buffer_store_dword v26, off, s[0:3], 0 offset:84
.LBB10_55:
	s_or_b64 exec, exec, s[4:5]
	s_mov_b64 s[8:9], -1
	; wave barrier
.LBB10_56:
	s_and_b64 vcc, exec, s[8:9]
	s_cbranch_vccz .LBB10_58
; %bb.57:
	s_lshl_b64 s[4:5], s[6:7], 2
	s_add_u32 s4, s10, s4
	s_addc_u32 s5, s11, s5
	v_mov_b32_e32 v23, 0
	global_load_dword v23, v23, s[4:5]
	s_waitcnt vmcnt(0)
	v_cmp_ne_u32_e32 vcc, 0, v23
	s_cbranch_vccz .LBB10_59
.LBB10_58:
	s_endpgm
.LBB10_59:
	v_mov_b32_e32 v23, 0x60
	v_lshl_add_u32 v23, v0, 3, v23
	v_cmp_eq_u32_e32 vcc, 10, v0
	s_and_saveexec_b64 s[4:5], vcc
	s_cbranch_execz .LBB10_61
; %bb.60:
	buffer_load_dword v24, off, s[0:3], 0 offset:72
	buffer_load_dword v25, off, s[0:3], 0 offset:76
	v_mov_b32_e32 v26, 0
	buffer_store_dword v26, off, s[0:3], 0 offset:72
	buffer_store_dword v26, off, s[0:3], 0 offset:76
	s_waitcnt vmcnt(2)
	ds_write_b64 v23, v[24:25]
.LBB10_61:
	s_or_b64 exec, exec, s[4:5]
	s_waitcnt lgkmcnt(0)
	; wave barrier
	buffer_load_dword v27, off, s[0:3], 0 offset:84
	buffer_load_dword v28, off, s[0:3], 0 offset:80
	buffer_load_dword v29, off, s[0:3], 0 offset:72
	buffer_load_dword v30, off, s[0:3], 0 offset:76
	v_mov_b32_e32 v24, 0
	ds_read_b64 v[25:26], v24 offset:176
	v_cmp_lt_u32_e32 vcc, 8, v0
	s_waitcnt vmcnt(3) lgkmcnt(0)
	v_mul_f32_e32 v31, v25, v27
	v_mul_f32_e32 v27, v26, v27
	s_waitcnt vmcnt(2)
	v_fma_f32 v25, v25, v28, -v27
	v_fmac_f32_e32 v31, v26, v28
	v_add_f32_e32 v25, 0, v25
	v_add_f32_e32 v26, 0, v31
	s_waitcnt vmcnt(1)
	v_sub_f32_e32 v25, v29, v25
	s_waitcnt vmcnt(0)
	v_sub_f32_e32 v26, v30, v26
	buffer_store_dword v25, off, s[0:3], 0 offset:72
	buffer_store_dword v26, off, s[0:3], 0 offset:76
	s_and_saveexec_b64 s[4:5], vcc
	s_cbranch_execz .LBB10_63
; %bb.62:
	buffer_load_dword v25, off, s[0:3], 0 offset:64
	buffer_load_dword v26, off, s[0:3], 0 offset:68
	s_waitcnt vmcnt(0)
	ds_write_b64 v23, v[25:26]
	buffer_store_dword v24, off, s[0:3], 0 offset:64
	buffer_store_dword v24, off, s[0:3], 0 offset:68
.LBB10_63:
	s_or_b64 exec, exec, s[4:5]
	s_waitcnt lgkmcnt(0)
	; wave barrier
	buffer_load_dword v28, off, s[0:3], 0 offset:76
	buffer_load_dword v29, off, s[0:3], 0 offset:84
	;; [unrolled: 1-line block ×6, first 2 shown]
	ds_read2_b64 v[24:27], v24 offset0:21 offset1:22
	v_cmp_lt_u32_e32 vcc, 7, v0
	s_waitcnt vmcnt(5) lgkmcnt(0)
	v_mul_f32_e32 v34, v24, v28
	v_mul_f32_e32 v28, v25, v28
	s_waitcnt vmcnt(4)
	v_mul_f32_e32 v35, v26, v29
	v_mul_f32_e32 v29, v27, v29
	s_waitcnt vmcnt(3)
	v_fma_f32 v24, v24, v30, -v28
	v_fmac_f32_e32 v34, v25, v30
	s_waitcnt vmcnt(2)
	v_fma_f32 v25, v26, v31, -v29
	v_add_f32_e32 v24, 0, v24
	v_fmac_f32_e32 v35, v27, v31
	v_add_f32_e32 v26, 0, v34
	v_add_f32_e32 v24, v24, v25
	v_add_f32_e32 v26, v26, v35
	s_waitcnt vmcnt(1)
	v_sub_f32_e32 v24, v32, v24
	s_waitcnt vmcnt(0)
	v_sub_f32_e32 v25, v33, v26
	buffer_store_dword v24, off, s[0:3], 0 offset:64
	buffer_store_dword v25, off, s[0:3], 0 offset:68
	s_and_saveexec_b64 s[4:5], vcc
	s_cbranch_execz .LBB10_65
; %bb.64:
	buffer_load_dword v24, off, s[0:3], 0 offset:56
	buffer_load_dword v25, off, s[0:3], 0 offset:60
	v_mov_b32_e32 v26, 0
	buffer_store_dword v26, off, s[0:3], 0 offset:56
	buffer_store_dword v26, off, s[0:3], 0 offset:60
	s_waitcnt vmcnt(2)
	ds_write_b64 v23, v[24:25]
.LBB10_65:
	s_or_b64 exec, exec, s[4:5]
	s_waitcnt lgkmcnt(0)
	; wave barrier
	buffer_load_dword v31, off, s[0:3], 0 offset:68
	buffer_load_dword v32, off, s[0:3], 0 offset:76
	;; [unrolled: 1-line block ×8, first 2 shown]
	v_mov_b32_e32 v24, 0
	ds_read_b128 v[25:28], v24 offset:160
	ds_read_b64 v[29:30], v24 offset:176
	v_cmp_lt_u32_e32 vcc, 6, v0
	s_waitcnt vmcnt(7) lgkmcnt(1)
	v_mul_f32_e32 v39, v25, v31
	v_mul_f32_e32 v31, v26, v31
	s_waitcnt vmcnt(6)
	v_mul_f32_e32 v40, v27, v32
	v_mul_f32_e32 v32, v28, v32
	s_waitcnt vmcnt(4)
	v_fma_f32 v25, v25, v34, -v31
	s_waitcnt lgkmcnt(0)
	v_mul_f32_e32 v41, v29, v33
	v_mul_f32_e32 v33, v30, v33
	v_fmac_f32_e32 v39, v26, v34
	s_waitcnt vmcnt(3)
	v_fma_f32 v26, v27, v35, -v32
	v_add_f32_e32 v25, 0, v25
	v_fmac_f32_e32 v40, v28, v35
	s_waitcnt vmcnt(2)
	v_fma_f32 v27, v29, v36, -v33
	v_add_f32_e32 v28, 0, v39
	v_add_f32_e32 v25, v25, v26
	v_fmac_f32_e32 v41, v30, v36
	v_add_f32_e32 v28, v28, v40
	v_add_f32_e32 v25, v25, v27
	;; [unrolled: 1-line block ×3, first 2 shown]
	s_waitcnt vmcnt(1)
	v_sub_f32_e32 v25, v37, v25
	s_waitcnt vmcnt(0)
	v_sub_f32_e32 v26, v38, v26
	buffer_store_dword v25, off, s[0:3], 0 offset:56
	buffer_store_dword v26, off, s[0:3], 0 offset:60
	s_and_saveexec_b64 s[4:5], vcc
	s_cbranch_execz .LBB10_67
; %bb.66:
	buffer_load_dword v25, off, s[0:3], 0 offset:48
	buffer_load_dword v26, off, s[0:3], 0 offset:52
	s_waitcnt vmcnt(0)
	ds_write_b64 v23, v[25:26]
	buffer_store_dword v24, off, s[0:3], 0 offset:48
	buffer_store_dword v24, off, s[0:3], 0 offset:52
.LBB10_67:
	s_or_b64 exec, exec, s[4:5]
	s_waitcnt lgkmcnt(0)
	; wave barrier
	buffer_load_dword v33, off, s[0:3], 0 offset:60
	buffer_load_dword v34, off, s[0:3], 0 offset:68
	;; [unrolled: 1-line block ×10, first 2 shown]
	ds_read2_b64 v[25:28], v24 offset0:19 offset1:20
	ds_read2_b64 v[29:32], v24 offset0:21 offset1:22
	v_cmp_lt_u32_e32 vcc, 5, v0
	s_waitcnt vmcnt(9) lgkmcnt(1)
	v_mul_f32_e32 v24, v25, v33
	v_mul_f32_e32 v33, v26, v33
	s_waitcnt vmcnt(8)
	v_mul_f32_e32 v43, v27, v34
	v_mul_f32_e32 v34, v28, v34
	s_waitcnt vmcnt(5)
	v_fma_f32 v25, v25, v37, -v33
	s_waitcnt lgkmcnt(0)
	v_mul_f32_e32 v44, v29, v35
	v_mul_f32_e32 v35, v30, v35
	v_fmac_f32_e32 v24, v26, v37
	s_waitcnt vmcnt(4)
	v_fma_f32 v26, v27, v38, -v34
	v_add_f32_e32 v25, 0, v25
	v_mul_f32_e32 v45, v31, v36
	v_mul_f32_e32 v36, v32, v36
	v_fmac_f32_e32 v43, v28, v38
	s_waitcnt vmcnt(3)
	v_fma_f32 v27, v29, v39, -v35
	v_add_f32_e32 v24, 0, v24
	v_add_f32_e32 v25, v25, v26
	v_fmac_f32_e32 v44, v30, v39
	s_waitcnt vmcnt(2)
	v_fma_f32 v28, v31, v40, -v36
	v_add_f32_e32 v24, v24, v43
	v_add_f32_e32 v25, v25, v27
	v_fmac_f32_e32 v45, v32, v40
	v_add_f32_e32 v24, v24, v44
	v_add_f32_e32 v25, v25, v28
	;; [unrolled: 1-line block ×3, first 2 shown]
	s_waitcnt vmcnt(1)
	v_sub_f32_e32 v25, v41, v25
	s_waitcnt vmcnt(0)
	v_sub_f32_e32 v24, v42, v24
	buffer_store_dword v25, off, s[0:3], 0 offset:48
	buffer_store_dword v24, off, s[0:3], 0 offset:52
	s_and_saveexec_b64 s[4:5], vcc
	s_cbranch_execz .LBB10_69
; %bb.68:
	buffer_load_dword v24, off, s[0:3], 0 offset:40
	buffer_load_dword v25, off, s[0:3], 0 offset:44
	v_mov_b32_e32 v26, 0
	buffer_store_dword v26, off, s[0:3], 0 offset:40
	buffer_store_dword v26, off, s[0:3], 0 offset:44
	s_waitcnt vmcnt(2)
	ds_write_b64 v23, v[24:25]
.LBB10_69:
	s_or_b64 exec, exec, s[4:5]
	s_waitcnt lgkmcnt(0)
	; wave barrier
	buffer_load_dword v35, off, s[0:3], 0 offset:52
	buffer_load_dword v36, off, s[0:3], 0 offset:60
	;; [unrolled: 1-line block ×12, first 2 shown]
	v_mov_b32_e32 v24, 0
	ds_read_b128 v[25:28], v24 offset:144
	ds_read_b128 v[29:32], v24 offset:160
	ds_read_b64 v[33:34], v24 offset:176
	v_cmp_lt_u32_e32 vcc, 4, v0
	s_waitcnt vmcnt(11) lgkmcnt(2)
	v_mul_f32_e32 v47, v25, v35
	v_mul_f32_e32 v35, v26, v35
	s_waitcnt vmcnt(10)
	v_mul_f32_e32 v48, v27, v36
	v_mul_f32_e32 v36, v28, v36
	s_waitcnt vmcnt(9) lgkmcnt(1)
	v_mul_f32_e32 v49, v29, v37
	s_waitcnt vmcnt(6)
	v_fma_f32 v25, v25, v40, -v35
	v_mul_f32_e32 v37, v30, v37
	v_fmac_f32_e32 v47, v26, v40
	s_waitcnt vmcnt(5)
	v_fma_f32 v26, v27, v41, -v36
	v_add_f32_e32 v25, 0, v25
	v_mul_f32_e32 v50, v31, v38
	v_mul_f32_e32 v38, v32, v38
	v_fmac_f32_e32 v48, v28, v41
	s_waitcnt vmcnt(4)
	v_fmac_f32_e32 v49, v30, v42
	v_fma_f32 v27, v29, v42, -v37
	v_add_f32_e32 v30, 0, v47
	v_add_f32_e32 v25, v25, v26
	s_waitcnt lgkmcnt(0)
	v_mul_f32_e32 v51, v33, v39
	v_mul_f32_e32 v39, v34, v39
	s_waitcnt vmcnt(3)
	v_fma_f32 v28, v31, v43, -v38
	v_add_f32_e32 v30, v30, v48
	v_add_f32_e32 v25, v25, v27
	v_fmac_f32_e32 v50, v32, v43
	s_waitcnt vmcnt(2)
	v_fma_f32 v29, v33, v44, -v39
	v_add_f32_e32 v26, v30, v49
	v_add_f32_e32 v25, v25, v28
	v_fmac_f32_e32 v51, v34, v44
	v_add_f32_e32 v26, v26, v50
	v_add_f32_e32 v25, v25, v29
	;; [unrolled: 1-line block ×3, first 2 shown]
	s_waitcnt vmcnt(1)
	v_sub_f32_e32 v25, v45, v25
	s_waitcnt vmcnt(0)
	v_sub_f32_e32 v26, v46, v26
	buffer_store_dword v25, off, s[0:3], 0 offset:40
	buffer_store_dword v26, off, s[0:3], 0 offset:44
	s_and_saveexec_b64 s[4:5], vcc
	s_cbranch_execz .LBB10_71
; %bb.70:
	buffer_load_dword v25, off, s[0:3], 0 offset:32
	buffer_load_dword v26, off, s[0:3], 0 offset:36
	s_waitcnt vmcnt(0)
	ds_write_b64 v23, v[25:26]
	buffer_store_dword v24, off, s[0:3], 0 offset:32
	buffer_store_dword v24, off, s[0:3], 0 offset:36
.LBB10_71:
	s_or_b64 exec, exec, s[4:5]
	s_waitcnt lgkmcnt(0)
	; wave barrier
	buffer_load_dword v37, off, s[0:3], 0 offset:44
	buffer_load_dword v38, off, s[0:3], 0 offset:52
	;; [unrolled: 1-line block ×14, first 2 shown]
	ds_read2_b64 v[25:28], v24 offset0:17 offset1:18
	ds_read2_b64 v[29:32], v24 offset0:19 offset1:20
	;; [unrolled: 1-line block ×3, first 2 shown]
	v_cmp_lt_u32_e32 vcc, 3, v0
	s_waitcnt vmcnt(13) lgkmcnt(2)
	v_mul_f32_e32 v24, v25, v37
	v_mul_f32_e32 v37, v26, v37
	s_waitcnt vmcnt(12)
	v_mul_f32_e32 v51, v27, v38
	v_mul_f32_e32 v38, v28, v38
	s_waitcnt vmcnt(11) lgkmcnt(1)
	v_mul_f32_e32 v52, v29, v39
	v_mul_f32_e32 v39, v30, v39
	s_waitcnt vmcnt(7)
	v_fma_f32 v25, v25, v43, -v37
	v_fmac_f32_e32 v24, v26, v43
	s_waitcnt vmcnt(6)
	v_fma_f32 v26, v27, v44, -v38
	v_add_f32_e32 v25, 0, v25
	v_mul_f32_e32 v53, v31, v40
	v_mul_f32_e32 v40, v32, v40
	v_fmac_f32_e32 v51, v28, v44
	s_waitcnt vmcnt(5)
	v_fma_f32 v27, v29, v45, -v39
	v_add_f32_e32 v24, 0, v24
	v_add_f32_e32 v25, v25, v26
	s_waitcnt lgkmcnt(0)
	v_mul_f32_e32 v54, v33, v41
	v_mul_f32_e32 v41, v34, v41
	v_fmac_f32_e32 v52, v30, v45
	s_waitcnt vmcnt(4)
	v_fma_f32 v28, v31, v46, -v40
	v_add_f32_e32 v24, v24, v51
	v_add_f32_e32 v25, v25, v27
	v_mul_f32_e32 v55, v35, v42
	v_mul_f32_e32 v42, v36, v42
	v_fmac_f32_e32 v53, v32, v46
	s_waitcnt vmcnt(3)
	v_fma_f32 v29, v33, v47, -v41
	v_add_f32_e32 v24, v24, v52
	v_add_f32_e32 v25, v25, v28
	v_fmac_f32_e32 v54, v34, v47
	s_waitcnt vmcnt(2)
	v_fma_f32 v30, v35, v48, -v42
	v_add_f32_e32 v24, v24, v53
	v_add_f32_e32 v25, v25, v29
	v_fmac_f32_e32 v55, v36, v48
	v_add_f32_e32 v24, v24, v54
	v_add_f32_e32 v25, v25, v30
	v_add_f32_e32 v24, v24, v55
	s_waitcnt vmcnt(1)
	v_sub_f32_e32 v25, v49, v25
	s_waitcnt vmcnt(0)
	v_sub_f32_e32 v24, v50, v24
	buffer_store_dword v25, off, s[0:3], 0 offset:32
	buffer_store_dword v24, off, s[0:3], 0 offset:36
	s_and_saveexec_b64 s[4:5], vcc
	s_cbranch_execz .LBB10_73
; %bb.72:
	buffer_load_dword v24, off, s[0:3], 0 offset:24
	buffer_load_dword v25, off, s[0:3], 0 offset:28
	v_mov_b32_e32 v26, 0
	buffer_store_dword v26, off, s[0:3], 0 offset:24
	buffer_store_dword v26, off, s[0:3], 0 offset:28
	s_waitcnt vmcnt(2)
	ds_write_b64 v23, v[24:25]
.LBB10_73:
	s_or_b64 exec, exec, s[4:5]
	s_waitcnt lgkmcnt(0)
	; wave barrier
	buffer_load_dword v39, off, s[0:3], 0 offset:36
	buffer_load_dword v40, off, s[0:3], 0 offset:44
	;; [unrolled: 1-line block ×16, first 2 shown]
	v_mov_b32_e32 v24, 0
	ds_read_b128 v[25:28], v24 offset:128
	ds_read_b128 v[29:32], v24 offset:144
	;; [unrolled: 1-line block ×3, first 2 shown]
	ds_read_b64 v[37:38], v24 offset:176
	v_cmp_lt_u32_e32 vcc, 2, v0
	s_waitcnt vmcnt(15) lgkmcnt(3)
	v_mul_f32_e32 v55, v25, v39
	v_mul_f32_e32 v39, v26, v39
	s_waitcnt vmcnt(14)
	v_mul_f32_e32 v56, v27, v40
	v_mul_f32_e32 v40, v28, v40
	s_waitcnt vmcnt(13) lgkmcnt(2)
	v_mul_f32_e32 v57, v29, v41
	s_waitcnt vmcnt(12)
	v_mul_f32_e32 v58, v31, v42
	v_mul_f32_e32 v41, v30, v41
	s_waitcnt vmcnt(8)
	v_fma_f32 v25, v25, v46, -v39
	v_fmac_f32_e32 v55, v26, v46
	s_waitcnt vmcnt(7)
	v_fma_f32 v26, v27, v47, -v40
	v_add_f32_e32 v25, 0, v25
	v_mul_f32_e32 v42, v32, v42
	v_fmac_f32_e32 v56, v28, v47
	s_waitcnt vmcnt(5)
	v_fmac_f32_e32 v58, v32, v49
	v_fma_f32 v27, v29, v48, -v41
	v_add_f32_e32 v32, 0, v55
	v_add_f32_e32 v25, v25, v26
	s_waitcnt lgkmcnt(1)
	v_mul_f32_e32 v59, v33, v43
	v_mul_f32_e32 v43, v34, v43
	v_fmac_f32_e32 v57, v30, v48
	v_fma_f32 v28, v31, v49, -v42
	v_add_f32_e32 v32, v32, v56
	v_add_f32_e32 v25, v25, v27
	v_mul_f32_e32 v60, v35, v44
	v_mul_f32_e32 v44, v36, v44
	s_waitcnt vmcnt(4)
	v_fma_f32 v29, v33, v50, -v43
	v_add_f32_e32 v26, v32, v57
	v_add_f32_e32 v25, v25, v28
	s_waitcnt lgkmcnt(0)
	v_mul_f32_e32 v61, v37, v45
	v_mul_f32_e32 v45, v38, v45
	v_fmac_f32_e32 v59, v34, v50
	s_waitcnt vmcnt(3)
	v_fma_f32 v30, v35, v51, -v44
	v_add_f32_e32 v26, v26, v58
	v_add_f32_e32 v25, v25, v29
	v_fmac_f32_e32 v60, v36, v51
	s_waitcnt vmcnt(2)
	v_fma_f32 v31, v37, v52, -v45
	v_add_f32_e32 v26, v26, v59
	v_add_f32_e32 v25, v25, v30
	v_fmac_f32_e32 v61, v38, v52
	v_add_f32_e32 v26, v26, v60
	v_add_f32_e32 v25, v25, v31
	;; [unrolled: 1-line block ×3, first 2 shown]
	s_waitcnt vmcnt(1)
	v_sub_f32_e32 v25, v53, v25
	s_waitcnt vmcnt(0)
	v_sub_f32_e32 v26, v54, v26
	buffer_store_dword v25, off, s[0:3], 0 offset:24
	buffer_store_dword v26, off, s[0:3], 0 offset:28
	s_and_saveexec_b64 s[4:5], vcc
	s_cbranch_execz .LBB10_75
; %bb.74:
	buffer_load_dword v25, off, s[0:3], 0 offset:16
	buffer_load_dword v26, off, s[0:3], 0 offset:20
	s_waitcnt vmcnt(0)
	ds_write_b64 v23, v[25:26]
	buffer_store_dword v24, off, s[0:3], 0 offset:16
	buffer_store_dword v24, off, s[0:3], 0 offset:20
.LBB10_75:
	s_or_b64 exec, exec, s[4:5]
	s_waitcnt lgkmcnt(0)
	; wave barrier
	ds_read2_b64 v[25:28], v24 offset0:15 offset1:16
	buffer_load_dword v41, off, s[0:3], 0 offset:16
	buffer_load_dword v42, off, s[0:3], 0 offset:20
	;; [unrolled: 1-line block ×16, first 2 shown]
	v_cmp_lt_u32_e32 vcc, 1, v0
	s_waitcnt vmcnt(12) lgkmcnt(0)
	v_mul_f32_e32 v29, v25, v44
	v_fmac_f32_e32 v29, v26, v43
	s_waitcnt vmcnt(10)
	v_mul_f32_e32 v30, v27, v46
	v_add_f32_e32 v29, 0, v29
	v_fmac_f32_e32 v30, v28, v45
	v_add_f32_e32 v33, v29, v30
	ds_read2_b64 v[29:32], v24 offset0:17 offset1:18
	v_mul_f32_e32 v26, v26, v44
	v_fma_f32 v25, v25, v43, -v26
	v_mul_f32_e32 v26, v28, v46
	v_add_f32_e32 v25, 0, v25
	s_waitcnt vmcnt(8) lgkmcnt(0)
	v_mul_f32_e32 v34, v29, v48
	v_fmac_f32_e32 v34, v30, v47
	v_add_f32_e32 v33, v33, v34
	s_waitcnt vmcnt(6)
	v_mul_f32_e32 v34, v31, v50
	v_fmac_f32_e32 v34, v32, v49
	v_add_f32_e32 v37, v33, v34
	ds_read2_b64 v[33:36], v24 offset0:19 offset1:20
	v_fma_f32 v26, v27, v45, -v26
	v_add_f32_e32 v25, v25, v26
	v_mul_f32_e32 v26, v30, v48
	v_fma_f32 v26, v29, v47, -v26
	s_waitcnt vmcnt(4) lgkmcnt(0)
	v_mul_f32_e32 v38, v33, v52
	v_fmac_f32_e32 v38, v34, v51
	v_add_f32_e32 v37, v37, v38
	s_waitcnt vmcnt(2)
	v_mul_f32_e32 v38, v35, v54
	v_fmac_f32_e32 v38, v36, v53
	v_add_f32_e32 v57, v37, v38
	ds_read2_b64 v[37:40], v24 offset0:21 offset1:22
	v_add_f32_e32 v25, v25, v26
	v_mul_f32_e32 v26, v32, v50
	v_fma_f32 v26, v31, v49, -v26
	v_add_f32_e32 v25, v25, v26
	s_waitcnt vmcnt(0) lgkmcnt(0)
	v_mul_f32_e32 v24, v37, v56
	v_fmac_f32_e32 v24, v38, v55
	v_add_f32_e32 v24, v57, v24
	buffer_load_dword v57, off, s[0:3], 0 offset:80
	buffer_load_dword v58, off, s[0:3], 0 offset:84
	v_mul_f32_e32 v26, v34, v52
	v_fma_f32 v26, v33, v51, -v26
	v_add_f32_e32 v25, v25, v26
	v_mul_f32_e32 v26, v36, v54
	v_fma_f32 v26, v35, v53, -v26
	v_add_f32_e32 v25, v25, v26
	v_mul_f32_e32 v26, v38, v56
	v_fma_f32 v26, v37, v55, -v26
	v_add_f32_e32 v25, v25, v26
	s_waitcnt vmcnt(0)
	v_mul_f32_e32 v26, v40, v58
	v_mul_f32_e32 v59, v39, v58
	v_fma_f32 v26, v39, v57, -v26
	v_fmac_f32_e32 v59, v40, v57
	v_add_f32_e32 v25, v25, v26
	v_add_f32_e32 v24, v24, v59
	v_sub_f32_e32 v25, v41, v25
	v_sub_f32_e32 v24, v42, v24
	buffer_store_dword v25, off, s[0:3], 0 offset:16
	buffer_store_dword v24, off, s[0:3], 0 offset:20
	s_and_saveexec_b64 s[4:5], vcc
	s_cbranch_execz .LBB10_77
; %bb.76:
	buffer_load_dword v24, off, s[0:3], 0 offset:8
	buffer_load_dword v25, off, s[0:3], 0 offset:12
	v_mov_b32_e32 v26, 0
	buffer_store_dword v26, off, s[0:3], 0 offset:8
	buffer_store_dword v26, off, s[0:3], 0 offset:12
	s_waitcnt vmcnt(2)
	ds_write_b64 v23, v[24:25]
.LBB10_77:
	s_or_b64 exec, exec, s[4:5]
	s_waitcnt lgkmcnt(0)
	; wave barrier
	buffer_load_dword v43, off, s[0:3], 0 offset:20
	buffer_load_dword v44, off, s[0:3], 0 offset:28
	;; [unrolled: 1-line block ×20, first 2 shown]
	v_mov_b32_e32 v24, 0
	ds_read_b128 v[25:28], v24 offset:112
	ds_read_b128 v[29:32], v24 offset:128
	;; [unrolled: 1-line block ×4, first 2 shown]
	ds_read_b64 v[41:42], v24 offset:176
	v_cmp_ne_u32_e32 vcc, 0, v0
	s_waitcnt vmcnt(19) lgkmcnt(4)
	v_mul_f32_e32 v63, v25, v43
	v_mul_f32_e32 v43, v26, v43
	s_waitcnt vmcnt(18)
	v_mul_f32_e32 v64, v27, v44
	v_mul_f32_e32 v44, v28, v44
	s_waitcnt vmcnt(17) lgkmcnt(3)
	v_mul_f32_e32 v65, v29, v45
	s_waitcnt vmcnt(15) lgkmcnt(2)
	v_mul_f32_e32 v67, v33, v47
	v_mul_f32_e32 v45, v30, v45
	;; [unrolled: 1-line block ×4, first 2 shown]
	s_waitcnt vmcnt(10)
	v_fma_f32 v25, v25, v52, -v43
	v_fmac_f32_e32 v63, v26, v52
	s_waitcnt vmcnt(9)
	v_fma_f32 v26, v27, v53, -v44
	v_add_f32_e32 v25, 0, v25
	v_mul_f32_e32 v47, v34, v47
	v_fmac_f32_e32 v64, v28, v53
	s_waitcnt vmcnt(6)
	v_fmac_f32_e32 v67, v34, v56
	v_fma_f32 v27, v29, v54, -v45
	v_add_f32_e32 v34, 0, v63
	v_add_f32_e32 v25, v25, v26
	v_fmac_f32_e32 v65, v30, v54
	v_fma_f32 v28, v31, v55, -v46
	v_add_f32_e32 v34, v34, v64
	v_add_f32_e32 v25, v25, v27
	v_mul_f32_e32 v68, v35, v48
	v_mul_f32_e32 v48, v36, v48
	v_fmac_f32_e32 v66, v32, v55
	v_fma_f32 v29, v33, v56, -v47
	v_add_f32_e32 v26, v34, v65
	v_add_f32_e32 v25, v25, v28
	s_waitcnt lgkmcnt(1)
	v_mul_f32_e32 v69, v37, v49
	v_mul_f32_e32 v49, v38, v49
	s_waitcnt vmcnt(5)
	v_fma_f32 v30, v35, v57, -v48
	v_add_f32_e32 v26, v26, v66
	v_add_f32_e32 v25, v25, v29
	v_mul_f32_e32 v70, v39, v50
	v_mul_f32_e32 v50, v40, v50
	v_fmac_f32_e32 v68, v36, v57
	s_waitcnt vmcnt(4)
	v_fma_f32 v31, v37, v58, -v49
	v_add_f32_e32 v26, v26, v67
	v_add_f32_e32 v25, v25, v30
	s_waitcnt lgkmcnt(0)
	v_mul_f32_e32 v71, v41, v51
	v_mul_f32_e32 v51, v42, v51
	v_fmac_f32_e32 v69, v38, v58
	s_waitcnt vmcnt(3)
	v_fma_f32 v32, v39, v59, -v50
	v_add_f32_e32 v26, v26, v68
	v_add_f32_e32 v25, v25, v31
	v_fmac_f32_e32 v70, v40, v59
	s_waitcnt vmcnt(2)
	v_fma_f32 v33, v41, v60, -v51
	v_add_f32_e32 v26, v26, v69
	v_add_f32_e32 v25, v25, v32
	v_fmac_f32_e32 v71, v42, v60
	v_add_f32_e32 v26, v26, v70
	v_add_f32_e32 v25, v25, v33
	;; [unrolled: 1-line block ×3, first 2 shown]
	s_waitcnt vmcnt(1)
	v_sub_f32_e32 v25, v61, v25
	s_waitcnt vmcnt(0)
	v_sub_f32_e32 v26, v62, v26
	buffer_store_dword v25, off, s[0:3], 0 offset:8
	buffer_store_dword v26, off, s[0:3], 0 offset:12
	s_and_saveexec_b64 s[4:5], vcc
	s_cbranch_execz .LBB10_79
; %bb.78:
	buffer_load_dword v25, off, s[0:3], 0
	buffer_load_dword v26, off, s[0:3], 0 offset:4
	s_waitcnt vmcnt(0)
	ds_write_b64 v23, v[25:26]
	buffer_store_dword v24, off, s[0:3], 0
	buffer_store_dword v24, off, s[0:3], 0 offset:4
.LBB10_79:
	s_or_b64 exec, exec, s[4:5]
	s_waitcnt lgkmcnt(0)
	; wave barrier
	buffer_load_dword v45, off, s[0:3], 0 offset:12
	buffer_load_dword v46, off, s[0:3], 0 offset:20
	;; [unrolled: 1-line block ×20, first 2 shown]
	buffer_load_dword v63, off, s[0:3], 0
	buffer_load_dword v64, off, s[0:3], 0 offset:4
	ds_read2_b64 v[25:28], v24 offset0:13 offset1:14
	ds_read2_b64 v[29:32], v24 offset0:15 offset1:16
	;; [unrolled: 1-line block ×5, first 2 shown]
	s_and_b64 vcc, exec, s[22:23]
	s_waitcnt vmcnt(21) lgkmcnt(4)
	v_mul_f32_e32 v24, v25, v45
	v_mul_f32_e32 v45, v26, v45
	s_waitcnt vmcnt(20)
	v_mul_f32_e32 v65, v27, v46
	v_mul_f32_e32 v46, v28, v46
	s_waitcnt vmcnt(19) lgkmcnt(3)
	v_mul_f32_e32 v66, v29, v47
	v_mul_f32_e32 v47, v30, v47
	s_waitcnt vmcnt(18)
	v_mul_f32_e32 v67, v31, v48
	v_mul_f32_e32 v48, v32, v48
	s_waitcnt vmcnt(17) lgkmcnt(2)
	v_mul_f32_e32 v68, v33, v49
	v_mul_f32_e32 v49, v34, v49
	s_waitcnt vmcnt(11)
	v_fma_f32 v25, v25, v54, -v45
	v_fmac_f32_e32 v24, v26, v54
	s_waitcnt vmcnt(10)
	v_fma_f32 v26, v27, v55, -v46
	v_add_f32_e32 v25, 0, v25
	v_fmac_f32_e32 v65, v28, v55
	s_waitcnt vmcnt(9)
	v_fma_f32 v27, v29, v56, -v47
	v_add_f32_e32 v24, 0, v24
	v_add_f32_e32 v25, v25, v26
	v_fmac_f32_e32 v66, v30, v56
	s_waitcnt vmcnt(8)
	v_fma_f32 v28, v31, v57, -v48
	v_add_f32_e32 v24, v24, v65
	v_add_f32_e32 v25, v25, v27
	v_mul_f32_e32 v69, v35, v50
	v_mul_f32_e32 v50, v36, v50
	v_fmac_f32_e32 v67, v32, v57
	s_waitcnt vmcnt(7)
	v_fma_f32 v29, v33, v58, -v49
	v_add_f32_e32 v24, v24, v66
	v_add_f32_e32 v25, v25, v28
	s_waitcnt lgkmcnt(1)
	v_mul_f32_e32 v70, v37, v51
	v_mul_f32_e32 v51, v38, v51
	v_fmac_f32_e32 v68, v34, v58
	s_waitcnt vmcnt(6)
	v_fma_f32 v30, v35, v59, -v50
	v_add_f32_e32 v24, v24, v67
	v_add_f32_e32 v25, v25, v29
	v_mul_f32_e32 v71, v39, v52
	v_mul_f32_e32 v52, v40, v52
	v_fmac_f32_e32 v69, v36, v59
	s_waitcnt vmcnt(5)
	v_fma_f32 v31, v37, v60, -v51
	v_add_f32_e32 v24, v24, v68
	v_add_f32_e32 v25, v25, v30
	s_waitcnt lgkmcnt(0)
	v_mul_f32_e32 v74, v42, v0
	v_fmac_f32_e32 v70, v38, v60
	s_waitcnt vmcnt(4)
	v_fma_f32 v32, v39, v61, -v52
	v_add_f32_e32 v24, v24, v69
	v_add_f32_e32 v25, v25, v31
	v_mul_f32_e32 v72, v41, v0
	v_mul_f32_e32 v73, v43, v53
	;; [unrolled: 1-line block ×3, first 2 shown]
	v_fmac_f32_e32 v71, v40, v61
	s_waitcnt vmcnt(2)
	v_fma_f32 v33, v41, v23, -v74
	v_add_f32_e32 v24, v24, v70
	v_add_f32_e32 v25, v25, v32
	v_fmac_f32_e32 v72, v42, v23
	v_fma_f32 v34, v43, v62, -v53
	v_add_f32_e32 v24, v24, v71
	v_add_f32_e32 v25, v25, v33
	v_fmac_f32_e32 v73, v44, v62
	v_add_f32_e32 v24, v24, v72
	v_add_f32_e32 v25, v25, v34
	;; [unrolled: 1-line block ×3, first 2 shown]
	s_waitcnt vmcnt(1)
	v_sub_f32_e32 v25, v63, v25
	s_waitcnt vmcnt(0)
	v_sub_f32_e32 v24, v64, v24
	buffer_store_dword v25, off, s[0:3], 0
	buffer_store_dword v24, off, s[0:3], 0 offset:4
	s_cbranch_vccz .LBB10_100
; %bb.80:
	v_mov_b32_e32 v24, 0
	global_load_dword v25, v24, s[20:21] offset:36
	s_waitcnt vmcnt(0)
	v_add_u32_e32 v25, -1, v25
	v_cmp_ne_u32_e32 vcc, 9, v25
	s_cbranch_vccz .LBB10_82
; %bb.81:
	v_lshlrev_b32_e32 v25, 3, v25
	buffer_load_dword v26, v25, s[0:3], 0 offen
	buffer_load_dword v27, v25, s[0:3], 0 offen offset:4
	s_waitcnt vmcnt(1)
	buffer_store_dword v26, off, s[0:3], 0 offset:72
	s_waitcnt vmcnt(1)
	buffer_store_dword v27, off, s[0:3], 0 offset:76
	buffer_store_dword v23, v25, s[0:3], 0 offen
	buffer_store_dword v0, v25, s[0:3], 0 offen offset:4
.LBB10_82:
	global_load_dword v0, v24, s[20:21] offset:32
	s_waitcnt vmcnt(0)
	v_add_u32_e32 v0, -1, v0
	v_cmp_eq_u32_e32 vcc, 8, v0
	s_cbranch_vccnz .LBB10_84
; %bb.83:
	v_lshlrev_b32_e32 v0, 3, v0
	buffer_load_dword v23, v0, s[0:3], 0 offen
	buffer_load_dword v24, v0, s[0:3], 0 offen offset:4
	buffer_load_dword v25, off, s[0:3], 0 offset:68
	buffer_load_dword v26, off, s[0:3], 0 offset:64
	s_waitcnt vmcnt(3)
	buffer_store_dword v23, off, s[0:3], 0 offset:64
	s_waitcnt vmcnt(3)
	buffer_store_dword v24, off, s[0:3], 0 offset:68
	s_waitcnt vmcnt(3)
	buffer_store_dword v25, v0, s[0:3], 0 offen offset:4
	s_waitcnt vmcnt(3)
	buffer_store_dword v26, v0, s[0:3], 0 offen
.LBB10_84:
	v_mov_b32_e32 v0, 0
	global_load_dword v23, v0, s[20:21] offset:28
	s_waitcnt vmcnt(0)
	v_add_u32_e32 v23, -1, v23
	v_cmp_eq_u32_e32 vcc, 7, v23
	s_cbranch_vccnz .LBB10_86
; %bb.85:
	v_lshlrev_b32_e32 v23, 3, v23
	buffer_load_dword v24, v23, s[0:3], 0 offen
	buffer_load_dword v25, v23, s[0:3], 0 offen offset:4
	buffer_load_dword v26, off, s[0:3], 0 offset:56
	buffer_load_dword v27, off, s[0:3], 0 offset:60
	s_waitcnt vmcnt(3)
	buffer_store_dword v24, off, s[0:3], 0 offset:56
	s_waitcnt vmcnt(3)
	buffer_store_dword v25, off, s[0:3], 0 offset:60
	s_waitcnt vmcnt(3)
	buffer_store_dword v26, v23, s[0:3], 0 offen
	s_waitcnt vmcnt(3)
	buffer_store_dword v27, v23, s[0:3], 0 offen offset:4
.LBB10_86:
	global_load_dword v0, v0, s[20:21] offset:24
	s_waitcnt vmcnt(0)
	v_add_u32_e32 v0, -1, v0
	v_cmp_eq_u32_e32 vcc, 6, v0
	s_cbranch_vccnz .LBB10_88
; %bb.87:
	v_lshlrev_b32_e32 v0, 3, v0
	buffer_load_dword v23, v0, s[0:3], 0 offen
	buffer_load_dword v24, v0, s[0:3], 0 offen offset:4
	buffer_load_dword v25, off, s[0:3], 0 offset:52
	buffer_load_dword v26, off, s[0:3], 0 offset:48
	s_waitcnt vmcnt(3)
	buffer_store_dword v23, off, s[0:3], 0 offset:48
	s_waitcnt vmcnt(3)
	buffer_store_dword v24, off, s[0:3], 0 offset:52
	s_waitcnt vmcnt(3)
	buffer_store_dword v25, v0, s[0:3], 0 offen offset:4
	s_waitcnt vmcnt(3)
	buffer_store_dword v26, v0, s[0:3], 0 offen
.LBB10_88:
	v_mov_b32_e32 v0, 0
	global_load_dword v23, v0, s[20:21] offset:20
	s_waitcnt vmcnt(0)
	v_add_u32_e32 v23, -1, v23
	v_cmp_eq_u32_e32 vcc, 5, v23
	s_cbranch_vccnz .LBB10_90
; %bb.89:
	v_lshlrev_b32_e32 v23, 3, v23
	buffer_load_dword v24, v23, s[0:3], 0 offen
	buffer_load_dword v25, v23, s[0:3], 0 offen offset:4
	buffer_load_dword v26, off, s[0:3], 0 offset:40
	buffer_load_dword v27, off, s[0:3], 0 offset:44
	s_waitcnt vmcnt(3)
	buffer_store_dword v24, off, s[0:3], 0 offset:40
	s_waitcnt vmcnt(3)
	buffer_store_dword v25, off, s[0:3], 0 offset:44
	s_waitcnt vmcnt(3)
	buffer_store_dword v26, v23, s[0:3], 0 offen
	s_waitcnt vmcnt(3)
	buffer_store_dword v27, v23, s[0:3], 0 offen offset:4
.LBB10_90:
	;; [unrolled: 41-line block ×4, first 2 shown]
	global_load_dword v0, v0, s[20:21]
	s_waitcnt vmcnt(0)
	v_add_u32_e32 v0, -1, v0
	v_cmp_eq_u32_e32 vcc, 0, v0
	s_cbranch_vccnz .LBB10_100
; %bb.99:
	v_lshlrev_b32_e32 v0, 3, v0
	buffer_load_dword v23, v0, s[0:3], 0 offen
	buffer_load_dword v24, v0, s[0:3], 0 offen offset:4
	buffer_load_dword v25, off, s[0:3], 0 offset:4
	buffer_load_dword v26, off, s[0:3], 0
	s_waitcnt vmcnt(3)
	buffer_store_dword v23, off, s[0:3], 0
	s_waitcnt vmcnt(3)
	buffer_store_dword v24, off, s[0:3], 0 offset:4
	s_waitcnt vmcnt(3)
	buffer_store_dword v25, v0, s[0:3], 0 offen offset:4
	s_waitcnt vmcnt(3)
	buffer_store_dword v26, v0, s[0:3], 0 offen
.LBB10_100:
	buffer_load_dword v23, off, s[0:3], 0
	buffer_load_dword v24, off, s[0:3], 0 offset:4
	buffer_load_dword v25, off, s[0:3], 0 offset:8
	s_nop 0
	buffer_load_dword v26, off, s[0:3], 0 offset:12
	buffer_load_dword v27, off, s[0:3], 0 offset:16
	buffer_load_dword v28, off, s[0:3], 0 offset:20
	buffer_load_dword v29, off, s[0:3], 0 offset:24
	buffer_load_dword v30, off, s[0:3], 0 offset:28
	buffer_load_dword v31, off, s[0:3], 0 offset:32
	buffer_load_dword v32, off, s[0:3], 0 offset:36
	buffer_load_dword v33, off, s[0:3], 0 offset:40
	buffer_load_dword v34, off, s[0:3], 0 offset:44
	buffer_load_dword v35, off, s[0:3], 0 offset:48
	buffer_load_dword v36, off, s[0:3], 0 offset:52
	buffer_load_dword v37, off, s[0:3], 0 offset:56
	buffer_load_dword v38, off, s[0:3], 0 offset:60
	buffer_load_dword v40, off, s[0:3], 0 offset:68
	buffer_load_dword v41, off, s[0:3], 0 offset:72
	buffer_load_dword v42, off, s[0:3], 0 offset:76
	buffer_load_dword v43, off, s[0:3], 0 offset:80
	buffer_load_dword v44, off, s[0:3], 0 offset:84
	buffer_load_dword v39, off, s[0:3], 0 offset:64
	s_waitcnt vmcnt(20)
	global_store_dwordx2 v[15:16], v[23:24], off
	s_waitcnt vmcnt(19)
	global_store_dwordx2 v[19:20], v[25:26], off
	;; [unrolled: 2-line block ×9, first 2 shown]
	global_store_dwordx2 v[17:18], v[41:42], off
	global_store_dwordx2 v[21:22], v[43:44], off
	s_endpgm
	.section	.rodata,"a",@progbits
	.p2align	6, 0x0
	.amdhsa_kernel _ZN9rocsolver6v33100L18getri_kernel_smallILi11E19rocblas_complex_numIfEPS3_EEvT1_iilPiilS6_bb
		.amdhsa_group_segment_fixed_size 184
		.amdhsa_private_segment_fixed_size 96
		.amdhsa_kernarg_size 60
		.amdhsa_user_sgpr_count 6
		.amdhsa_user_sgpr_private_segment_buffer 1
		.amdhsa_user_sgpr_dispatch_ptr 0
		.amdhsa_user_sgpr_queue_ptr 0
		.amdhsa_user_sgpr_kernarg_segment_ptr 1
		.amdhsa_user_sgpr_dispatch_id 0
		.amdhsa_user_sgpr_flat_scratch_init 0
		.amdhsa_user_sgpr_private_segment_size 0
		.amdhsa_uses_dynamic_stack 0
		.amdhsa_system_sgpr_private_segment_wavefront_offset 1
		.amdhsa_system_sgpr_workgroup_id_x 1
		.amdhsa_system_sgpr_workgroup_id_y 0
		.amdhsa_system_sgpr_workgroup_id_z 0
		.amdhsa_system_sgpr_workgroup_info 0
		.amdhsa_system_vgpr_workitem_id 0
		.amdhsa_next_free_vgpr 75
		.amdhsa_next_free_sgpr 24
		.amdhsa_reserve_vcc 1
		.amdhsa_reserve_flat_scratch 0
		.amdhsa_float_round_mode_32 0
		.amdhsa_float_round_mode_16_64 0
		.amdhsa_float_denorm_mode_32 3
		.amdhsa_float_denorm_mode_16_64 3
		.amdhsa_dx10_clamp 1
		.amdhsa_ieee_mode 1
		.amdhsa_fp16_overflow 0
		.amdhsa_exception_fp_ieee_invalid_op 0
		.amdhsa_exception_fp_denorm_src 0
		.amdhsa_exception_fp_ieee_div_zero 0
		.amdhsa_exception_fp_ieee_overflow 0
		.amdhsa_exception_fp_ieee_underflow 0
		.amdhsa_exception_fp_ieee_inexact 0
		.amdhsa_exception_int_div_zero 0
	.end_amdhsa_kernel
	.section	.text._ZN9rocsolver6v33100L18getri_kernel_smallILi11E19rocblas_complex_numIfEPS3_EEvT1_iilPiilS6_bb,"axG",@progbits,_ZN9rocsolver6v33100L18getri_kernel_smallILi11E19rocblas_complex_numIfEPS3_EEvT1_iilPiilS6_bb,comdat
.Lfunc_end10:
	.size	_ZN9rocsolver6v33100L18getri_kernel_smallILi11E19rocblas_complex_numIfEPS3_EEvT1_iilPiilS6_bb, .Lfunc_end10-_ZN9rocsolver6v33100L18getri_kernel_smallILi11E19rocblas_complex_numIfEPS3_EEvT1_iilPiilS6_bb
                                        ; -- End function
	.set _ZN9rocsolver6v33100L18getri_kernel_smallILi11E19rocblas_complex_numIfEPS3_EEvT1_iilPiilS6_bb.num_vgpr, 75
	.set _ZN9rocsolver6v33100L18getri_kernel_smallILi11E19rocblas_complex_numIfEPS3_EEvT1_iilPiilS6_bb.num_agpr, 0
	.set _ZN9rocsolver6v33100L18getri_kernel_smallILi11E19rocblas_complex_numIfEPS3_EEvT1_iilPiilS6_bb.numbered_sgpr, 24
	.set _ZN9rocsolver6v33100L18getri_kernel_smallILi11E19rocblas_complex_numIfEPS3_EEvT1_iilPiilS6_bb.num_named_barrier, 0
	.set _ZN9rocsolver6v33100L18getri_kernel_smallILi11E19rocblas_complex_numIfEPS3_EEvT1_iilPiilS6_bb.private_seg_size, 96
	.set _ZN9rocsolver6v33100L18getri_kernel_smallILi11E19rocblas_complex_numIfEPS3_EEvT1_iilPiilS6_bb.uses_vcc, 1
	.set _ZN9rocsolver6v33100L18getri_kernel_smallILi11E19rocblas_complex_numIfEPS3_EEvT1_iilPiilS6_bb.uses_flat_scratch, 0
	.set _ZN9rocsolver6v33100L18getri_kernel_smallILi11E19rocblas_complex_numIfEPS3_EEvT1_iilPiilS6_bb.has_dyn_sized_stack, 0
	.set _ZN9rocsolver6v33100L18getri_kernel_smallILi11E19rocblas_complex_numIfEPS3_EEvT1_iilPiilS6_bb.has_recursion, 0
	.set _ZN9rocsolver6v33100L18getri_kernel_smallILi11E19rocblas_complex_numIfEPS3_EEvT1_iilPiilS6_bb.has_indirect_call, 0
	.section	.AMDGPU.csdata,"",@progbits
; Kernel info:
; codeLenInByte = 9264
; TotalNumSgprs: 28
; NumVgprs: 75
; ScratchSize: 96
; MemoryBound: 0
; FloatMode: 240
; IeeeMode: 1
; LDSByteSize: 184 bytes/workgroup (compile time only)
; SGPRBlocks: 3
; VGPRBlocks: 18
; NumSGPRsForWavesPerEU: 28
; NumVGPRsForWavesPerEU: 75
; Occupancy: 3
; WaveLimiterHint : 1
; COMPUTE_PGM_RSRC2:SCRATCH_EN: 1
; COMPUTE_PGM_RSRC2:USER_SGPR: 6
; COMPUTE_PGM_RSRC2:TRAP_HANDLER: 0
; COMPUTE_PGM_RSRC2:TGID_X_EN: 1
; COMPUTE_PGM_RSRC2:TGID_Y_EN: 0
; COMPUTE_PGM_RSRC2:TGID_Z_EN: 0
; COMPUTE_PGM_RSRC2:TIDIG_COMP_CNT: 0
	.section	.text._ZN9rocsolver6v33100L18getri_kernel_smallILi12E19rocblas_complex_numIfEPS3_EEvT1_iilPiilS6_bb,"axG",@progbits,_ZN9rocsolver6v33100L18getri_kernel_smallILi12E19rocblas_complex_numIfEPS3_EEvT1_iilPiilS6_bb,comdat
	.globl	_ZN9rocsolver6v33100L18getri_kernel_smallILi12E19rocblas_complex_numIfEPS3_EEvT1_iilPiilS6_bb ; -- Begin function _ZN9rocsolver6v33100L18getri_kernel_smallILi12E19rocblas_complex_numIfEPS3_EEvT1_iilPiilS6_bb
	.p2align	8
	.type	_ZN9rocsolver6v33100L18getri_kernel_smallILi12E19rocblas_complex_numIfEPS3_EEvT1_iilPiilS6_bb,@function
_ZN9rocsolver6v33100L18getri_kernel_smallILi12E19rocblas_complex_numIfEPS3_EEvT1_iilPiilS6_bb: ; @_ZN9rocsolver6v33100L18getri_kernel_smallILi12E19rocblas_complex_numIfEPS3_EEvT1_iilPiilS6_bb
; %bb.0:
	s_add_u32 s0, s0, s7
	s_addc_u32 s1, s1, 0
	v_cmp_gt_u32_e32 vcc, 12, v0
	s_and_saveexec_b64 s[8:9], vcc
	s_cbranch_execz .LBB11_62
; %bb.1:
	s_load_dword s12, s[4:5], 0x38
	s_load_dwordx4 s[16:19], s[4:5], 0x10
	s_load_dwordx4 s[8:11], s[4:5], 0x28
                                        ; implicit-def: $sgpr20_sgpr21
	s_waitcnt lgkmcnt(0)
	s_bitcmp1_b32 s12, 8
	s_cselect_b64 s[22:23], -1, 0
	s_ashr_i32 s7, s6, 31
	s_bfe_u32 s12, s12, 0x10008
	s_cmp_eq_u32 s12, 0
	s_cbranch_scc1 .LBB11_3
; %bb.2:
	s_load_dword s12, s[4:5], 0x20
	s_mul_i32 s13, s8, s7
	s_mul_hi_u32 s14, s8, s6
	s_mul_i32 s9, s9, s6
	s_add_i32 s14, s14, s13
	s_add_i32 s9, s14, s9
	s_mul_i32 s8, s8, s6
	s_waitcnt lgkmcnt(0)
	s_ashr_i32 s13, s12, 31
	s_lshl_b64 s[8:9], s[8:9], 2
	s_add_u32 s14, s18, s8
	s_addc_u32 s15, s19, s9
	s_lshl_b64 s[8:9], s[12:13], 2
	s_add_u32 s20, s14, s8
	s_addc_u32 s21, s15, s9
.LBB11_3:
	s_load_dwordx4 s[12:15], s[4:5], 0x0
	s_load_dword s8, s[4:5], 0x38
	s_mul_i32 s9, s16, s7
	s_mul_hi_u32 s18, s16, s6
	s_add_i32 s9, s18, s9
	s_waitcnt lgkmcnt(0)
	s_ashr_i32 s5, s14, 31
	s_mov_b32 s4, s14
	s_mul_i32 s14, s17, s6
	s_add_i32 s17, s9, s14
	s_mul_i32 s16, s16, s6
	s_lshl_b64 s[16:17], s[16:17], 3
	s_add_u32 s9, s12, s16
	s_addc_u32 s12, s13, s17
	s_lshl_b64 s[4:5], s[4:5], 3
	s_add_u32 s4, s9, s4
	s_addc_u32 s5, s12, s5
	s_add_i32 s9, s15, s15
	v_add_u32_e32 v3, s9, v0
	v_ashrrev_i32_e32 v4, 31, v3
	v_lshlrev_b64 v[1:2], 3, v[3:4]
	v_add_u32_e32 v5, s15, v3
	v_mov_b32_e32 v4, s5
	v_add_co_u32_e32 v1, vcc, s4, v1
	v_ashrrev_i32_e32 v6, 31, v5
	v_addc_co_u32_e32 v2, vcc, v4, v2, vcc
	v_lshlrev_b64 v[3:4], 3, v[5:6]
	v_add_u32_e32 v7, s15, v5
	v_mov_b32_e32 v6, s5
	v_add_co_u32_e32 v3, vcc, s4, v3
	v_ashrrev_i32_e32 v8, 31, v7
	v_addc_co_u32_e32 v4, vcc, v6, v4, vcc
	;; [unrolled: 6-line block ×7, first 2 shown]
	v_lshlrev_b64 v[15:16], 3, v[17:18]
	v_mov_b32_e32 v18, s5
	v_add_co_u32_e32 v15, vcc, s4, v15
	v_addc_co_u32_e32 v16, vcc, v18, v16, vcc
	v_lshlrev_b32_e32 v27, 3, v0
	v_add_u32_e32 v23, s15, v17
	v_add_co_u32_e32 v17, vcc, s4, v27
	s_ashr_i32 s13, s15, 31
	s_mov_b32 s12, s15
	v_ashrrev_i32_e32 v24, 31, v23
	v_addc_co_u32_e32 v18, vcc, 0, v18, vcc
	s_lshl_b64 s[12:13], s[12:13], 3
	v_lshlrev_b64 v[19:20], 3, v[23:24]
	v_mov_b32_e32 v22, s13
	v_add_co_u32_e32 v21, vcc, s12, v17
	v_addc_co_u32_e32 v22, vcc, v18, v22, vcc
	v_mov_b32_e32 v32, s5
	v_add_co_u32_e32 v19, vcc, s4, v19
	global_load_dwordx2 v[25:26], v27, s[4:5]
	global_load_dwordx2 v[28:29], v[21:22], off
	global_load_dwordx2 v[30:31], v[1:2], off
	v_addc_co_u32_e32 v20, vcc, v32, v20, vcc
	global_load_dwordx2 v[32:33], v[3:4], off
	global_load_dwordx2 v[34:35], v[5:6], off
	;; [unrolled: 1-line block ×8, first 2 shown]
	v_add_u32_e32 v23, s15, v23
	v_ashrrev_i32_e32 v24, 31, v23
	v_lshlrev_b64 v[23:24], 3, v[23:24]
	v_mov_b32_e32 v48, s5
	v_add_co_u32_e32 v23, vcc, s4, v23
	v_addc_co_u32_e32 v24, vcc, v48, v24, vcc
	global_load_dwordx2 v[48:49], v[23:24], off
	s_bitcmp0_b32 s8, 0
	s_mov_b64 s[8:9], -1
	s_waitcnt vmcnt(11)
	buffer_store_dword v26, off, s[0:3], 0 offset:4
	buffer_store_dword v25, off, s[0:3], 0
	s_waitcnt vmcnt(12)
	buffer_store_dword v29, off, s[0:3], 0 offset:12
	buffer_store_dword v28, off, s[0:3], 0 offset:8
	s_waitcnt vmcnt(13)
	buffer_store_dword v31, off, s[0:3], 0 offset:20
	buffer_store_dword v30, off, s[0:3], 0 offset:16
	;; [unrolled: 3-line block ×11, first 2 shown]
	s_cbranch_scc1 .LBB11_60
; %bb.4:
	v_cmp_eq_u32_e64 s[4:5], 0, v0
	s_and_saveexec_b64 s[8:9], s[4:5]
; %bb.5:
	v_mov_b32_e32 v25, 0
	ds_write_b32 v25, v25 offset:192
; %bb.6:
	s_or_b64 exec, exec, s[8:9]
	v_mov_b32_e32 v25, 0
	v_lshl_add_u32 v29, v0, 3, v25
	s_waitcnt lgkmcnt(0)
	; wave barrier
	buffer_load_dword v25, v29, s[0:3], 0 offen
	buffer_load_dword v26, v29, s[0:3], 0 offen offset:4
	s_waitcnt vmcnt(1)
	v_cmp_eq_f32_e32 vcc, 0, v25
	s_waitcnt vmcnt(0)
	v_cmp_eq_f32_e64 s[8:9], 0, v26
	s_and_b64 s[8:9], vcc, s[8:9]
	s_and_saveexec_b64 s[12:13], s[8:9]
	s_cbranch_execz .LBB11_10
; %bb.7:
	v_mov_b32_e32 v25, 0
	ds_read_b32 v28, v25 offset:192
	v_add_u32_e32 v26, 1, v0
	s_waitcnt lgkmcnt(0)
	v_readfirstlane_b32 s8, v28
	s_cmp_eq_u32 s8, 0
	s_cselect_b64 s[14:15], -1, 0
	v_cmp_gt_i32_e32 vcc, s8, v26
	s_or_b64 s[14:15], s[14:15], vcc
	s_and_b64 exec, exec, s[14:15]
	s_cbranch_execz .LBB11_10
; %bb.8:
	s_mov_b64 s[14:15], 0
	v_mov_b32_e32 v28, s8
.LBB11_9:                               ; =>This Inner Loop Header: Depth=1
	ds_cmpst_rtn_b32 v28, v25, v28, v26 offset:192
	s_waitcnt lgkmcnt(0)
	v_cmp_ne_u32_e32 vcc, 0, v28
	v_cmp_le_i32_e64 s[8:9], v28, v26
	s_and_b64 s[8:9], vcc, s[8:9]
	s_and_b64 s[8:9], exec, s[8:9]
	s_or_b64 s[14:15], s[8:9], s[14:15]
	s_andn2_b64 exec, exec, s[14:15]
	s_cbranch_execnz .LBB11_9
.LBB11_10:
	s_or_b64 exec, exec, s[12:13]
	v_mov_b32_e32 v26, 0
	; wave barrier
	ds_read_b32 v25, v26 offset:192
	s_and_saveexec_b64 s[8:9], s[4:5]
	s_cbranch_execz .LBB11_12
; %bb.11:
	s_lshl_b64 s[12:13], s[6:7], 2
	s_add_u32 s12, s10, s12
	s_addc_u32 s13, s11, s13
	s_waitcnt lgkmcnt(0)
	global_store_dword v26, v25, s[12:13]
.LBB11_12:
	s_or_b64 exec, exec, s[8:9]
	s_waitcnt lgkmcnt(0)
	v_cmp_ne_u32_e32 vcc, 0, v25
	s_mov_b64 s[8:9], 0
	s_cbranch_vccnz .LBB11_60
; %bb.13:
	buffer_load_dword v26, v29, s[0:3], 0 offen
	buffer_load_dword v28, v29, s[0:3], 0 offen offset:4
                                        ; implicit-def: $vgpr31
                                        ; implicit-def: $vgpr30
                                        ; implicit-def: $vgpr25
	s_waitcnt vmcnt(0)
	v_cmp_ngt_f32_e64 s[8:9], |v26|, |v28|
	s_and_saveexec_b64 s[12:13], s[8:9]
	s_xor_b64 s[8:9], exec, s[12:13]
	s_cbranch_execz .LBB11_15
; %bb.14:
	v_div_scale_f32 v25, s[12:13], v28, v28, v26
	v_div_scale_f32 v30, vcc, v26, v28, v26
	v_rcp_f32_e32 v31, v25
	v_fma_f32 v32, -v25, v31, 1.0
	v_fmac_f32_e32 v31, v32, v31
	v_mul_f32_e32 v32, v30, v31
	v_fma_f32 v33, -v25, v32, v30
	v_fmac_f32_e32 v32, v33, v31
	v_fma_f32 v25, -v25, v32, v30
	v_div_fmas_f32 v25, v25, v31, v32
	v_div_fixup_f32 v25, v25, v28, v26
	v_fmac_f32_e32 v28, v26, v25
	v_div_scale_f32 v26, s[12:13], v28, v28, 1.0
	v_div_scale_f32 v30, vcc, 1.0, v28, 1.0
	v_rcp_f32_e32 v31, v26
	v_fma_f32 v32, -v26, v31, 1.0
	v_fmac_f32_e32 v31, v32, v31
	v_mul_f32_e32 v32, v30, v31
	v_fma_f32 v33, -v26, v32, v30
	v_fmac_f32_e32 v32, v33, v31
	v_fma_f32 v26, -v26, v32, v30
	v_div_fmas_f32 v26, v26, v31, v32
	v_div_fixup_f32 v26, v26, v28, 1.0
	v_mul_f32_e32 v31, v25, v26
	v_xor_b32_e32 v30, 0x80000000, v26
	v_xor_b32_e32 v25, 0x80000000, v31
                                        ; implicit-def: $vgpr26
                                        ; implicit-def: $vgpr28
.LBB11_15:
	s_andn2_saveexec_b64 s[8:9], s[8:9]
	s_cbranch_execz .LBB11_17
; %bb.16:
	v_div_scale_f32 v25, s[12:13], v26, v26, v28
	v_div_scale_f32 v30, vcc, v28, v26, v28
	v_rcp_f32_e32 v31, v25
	v_fma_f32 v32, -v25, v31, 1.0
	v_fmac_f32_e32 v31, v32, v31
	v_mul_f32_e32 v32, v30, v31
	v_fma_f32 v33, -v25, v32, v30
	v_fmac_f32_e32 v32, v33, v31
	v_fma_f32 v25, -v25, v32, v30
	v_div_fmas_f32 v25, v25, v31, v32
	v_div_fixup_f32 v30, v25, v26, v28
	v_fmac_f32_e32 v26, v28, v30
	v_div_scale_f32 v25, s[12:13], v26, v26, 1.0
	v_div_scale_f32 v28, vcc, 1.0, v26, 1.0
	v_rcp_f32_e32 v31, v25
	v_fma_f32 v32, -v25, v31, 1.0
	v_fmac_f32_e32 v31, v32, v31
	v_mul_f32_e32 v32, v28, v31
	v_fma_f32 v33, -v25, v32, v28
	v_fmac_f32_e32 v32, v33, v31
	v_fma_f32 v25, -v25, v32, v28
	v_div_fmas_f32 v25, v25, v31, v32
	v_div_fixup_f32 v31, v25, v26, 1.0
	v_xor_b32_e32 v25, 0x80000000, v31
	v_mul_f32_e64 v30, v30, -v31
.LBB11_17:
	s_or_b64 exec, exec, s[8:9]
	buffer_store_dword v31, v29, s[0:3], 0 offen
	buffer_store_dword v30, v29, s[0:3], 0 offen offset:4
	buffer_load_dword v32, off, s[0:3], 0 offset:12
	s_nop 0
	buffer_load_dword v31, off, s[0:3], 0 offset:8
	v_xor_b32_e32 v26, 0x80000000, v30
	v_add_u32_e32 v28, 0x60, v27
	s_waitcnt vmcnt(0)
	ds_write2_b64 v27, v[25:26], v[31:32] offset1:12
	s_waitcnt lgkmcnt(0)
	; wave barrier
	s_and_saveexec_b64 s[8:9], s[4:5]
	s_cbranch_execz .LBB11_19
; %bb.18:
	buffer_load_dword v32, v29, s[0:3], 0 offen offset:4
	buffer_load_dword v33, v29, s[0:3], 0 offen
	ds_read_b64 v[25:26], v28
	v_mov_b32_e32 v30, 0
	ds_read_b64 v[30:31], v30 offset:8
	s_waitcnt vmcnt(1) lgkmcnt(1)
	v_mul_f32_e32 v34, v26, v32
	v_mul_f32_e32 v32, v25, v32
	s_waitcnt vmcnt(0)
	v_fmac_f32_e32 v32, v26, v33
	v_fma_f32 v25, v25, v33, -v34
	v_add_f32_e32 v26, 0, v32
	v_add_f32_e32 v25, 0, v25
	s_waitcnt lgkmcnt(0)
	v_mul_f32_e32 v32, v26, v31
	v_mul_f32_e32 v31, v25, v31
	v_fma_f32 v25, v25, v30, -v32
	v_fmac_f32_e32 v31, v26, v30
	buffer_store_dword v25, off, s[0:3], 0 offset:8
	buffer_store_dword v31, off, s[0:3], 0 offset:12
.LBB11_19:
	s_or_b64 exec, exec, s[8:9]
	; wave barrier
	buffer_load_dword v25, off, s[0:3], 0 offset:16
	buffer_load_dword v26, off, s[0:3], 0 offset:20
	v_cmp_gt_u32_e32 vcc, 2, v0
	s_waitcnt vmcnt(0)
	ds_write_b64 v28, v[25:26]
	s_waitcnt lgkmcnt(0)
	; wave barrier
	s_and_saveexec_b64 s[8:9], vcc
	s_cbranch_execz .LBB11_23
; %bb.20:
	buffer_load_dword v30, v29, s[0:3], 0 offen offset:4
	buffer_load_dword v31, v29, s[0:3], 0 offen
	ds_read_b64 v[25:26], v28
	s_waitcnt vmcnt(1) lgkmcnt(0)
	v_mul_f32_e32 v29, v26, v30
	v_mul_f32_e32 v30, v25, v30
	s_waitcnt vmcnt(0)
	v_fma_f32 v25, v25, v31, -v29
	v_fmac_f32_e32 v30, v26, v31
	v_add_f32_e32 v26, 0, v25
	v_add_f32_e32 v25, 0, v30
	s_and_saveexec_b64 s[12:13], s[4:5]
	s_cbranch_execz .LBB11_22
; %bb.21:
	buffer_load_dword v31, off, s[0:3], 0 offset:12
	buffer_load_dword v32, off, s[0:3], 0 offset:8
	v_mov_b32_e32 v29, 0
	ds_read_b64 v[29:30], v29 offset:104
	s_waitcnt vmcnt(1) lgkmcnt(0)
	v_mul_f32_e32 v33, v29, v31
	v_mul_f32_e32 v31, v30, v31
	s_waitcnt vmcnt(0)
	v_fmac_f32_e32 v33, v30, v32
	v_fma_f32 v29, v29, v32, -v31
	v_add_f32_e32 v25, v25, v33
	v_add_f32_e32 v26, v26, v29
.LBB11_22:
	s_or_b64 exec, exec, s[12:13]
	v_mov_b32_e32 v29, 0
	ds_read_b64 v[29:30], v29 offset:16
	s_waitcnt lgkmcnt(0)
	v_mul_f32_e32 v31, v25, v30
	v_mul_f32_e32 v30, v26, v30
	v_fma_f32 v26, v26, v29, -v31
	v_fmac_f32_e32 v30, v25, v29
	buffer_store_dword v26, off, s[0:3], 0 offset:16
	buffer_store_dword v30, off, s[0:3], 0 offset:20
.LBB11_23:
	s_or_b64 exec, exec, s[8:9]
	; wave barrier
	buffer_load_dword v25, off, s[0:3], 0 offset:24
	buffer_load_dword v26, off, s[0:3], 0 offset:28
	v_cmp_gt_u32_e32 vcc, 3, v0
	s_waitcnt vmcnt(0)
	ds_write_b64 v28, v[25:26]
	v_add_u32_e32 v25, -1, v0
	s_waitcnt lgkmcnt(0)
	; wave barrier
	s_and_saveexec_b64 s[4:5], vcc
	s_cbranch_execz .LBB11_27
; %bb.24:
	v_add_u32_e32 v29, -1, v0
	v_add_u32_e32 v30, 0x60, v27
	v_mov_b32_e32 v31, v27
	v_mov_b32_e32 v26, 0
	s_mov_b64 s[8:9], 0
	v_mov_b32_e32 v32, 0
.LBB11_25:                              ; =>This Inner Loop Header: Depth=1
	buffer_load_dword v35, v31, s[0:3], 0 offen offset:4
	buffer_load_dword v36, v31, s[0:3], 0 offen
	ds_read_b64 v[33:34], v30
	v_add_u32_e32 v29, 1, v29
	v_cmp_lt_u32_e32 vcc, 1, v29
	v_add_u32_e32 v30, 8, v30
	v_add_u32_e32 v31, 8, v31
	s_or_b64 s[8:9], vcc, s[8:9]
	s_waitcnt vmcnt(1) lgkmcnt(0)
	v_mul_f32_e32 v37, v34, v35
	v_mul_f32_e32 v35, v33, v35
	s_waitcnt vmcnt(0)
	v_fma_f32 v33, v33, v36, -v37
	v_fmac_f32_e32 v35, v34, v36
	v_add_f32_e32 v32, v32, v33
	v_add_f32_e32 v26, v26, v35
	s_andn2_b64 exec, exec, s[8:9]
	s_cbranch_execnz .LBB11_25
; %bb.26:
	s_or_b64 exec, exec, s[8:9]
	v_mov_b32_e32 v29, 0
	ds_read_b64 v[29:30], v29 offset:24
	s_waitcnt lgkmcnt(0)
	v_mul_f32_e32 v31, v26, v30
	v_mul_f32_e32 v30, v32, v30
	v_fma_f32 v31, v32, v29, -v31
	v_fmac_f32_e32 v30, v26, v29
	buffer_store_dword v31, off, s[0:3], 0 offset:24
	buffer_store_dword v30, off, s[0:3], 0 offset:28
.LBB11_27:
	s_or_b64 exec, exec, s[4:5]
	; wave barrier
	buffer_load_dword v29, off, s[0:3], 0 offset:32
	buffer_load_dword v30, off, s[0:3], 0 offset:36
	v_cmp_gt_u32_e32 vcc, 4, v0
	s_waitcnt vmcnt(0)
	ds_write_b64 v28, v[29:30]
	s_waitcnt lgkmcnt(0)
	; wave barrier
	s_and_saveexec_b64 s[4:5], vcc
	s_cbranch_execz .LBB11_31
; %bb.28:
	v_add_u32_e32 v29, -1, v0
	v_add_u32_e32 v30, 0x60, v27
	v_mov_b32_e32 v31, v27
	v_mov_b32_e32 v26, 0
	s_mov_b64 s[8:9], 0
	v_mov_b32_e32 v32, 0
.LBB11_29:                              ; =>This Inner Loop Header: Depth=1
	buffer_load_dword v35, v31, s[0:3], 0 offen offset:4
	buffer_load_dword v36, v31, s[0:3], 0 offen
	ds_read_b64 v[33:34], v30
	v_add_u32_e32 v29, 1, v29
	v_cmp_lt_u32_e32 vcc, 2, v29
	v_add_u32_e32 v30, 8, v30
	v_add_u32_e32 v31, 8, v31
	s_or_b64 s[8:9], vcc, s[8:9]
	s_waitcnt vmcnt(1) lgkmcnt(0)
	v_mul_f32_e32 v37, v34, v35
	v_mul_f32_e32 v35, v33, v35
	s_waitcnt vmcnt(0)
	v_fma_f32 v33, v33, v36, -v37
	v_fmac_f32_e32 v35, v34, v36
	v_add_f32_e32 v32, v32, v33
	v_add_f32_e32 v26, v26, v35
	s_andn2_b64 exec, exec, s[8:9]
	s_cbranch_execnz .LBB11_29
; %bb.30:
	s_or_b64 exec, exec, s[8:9]
	v_mov_b32_e32 v29, 0
	ds_read_b64 v[29:30], v29 offset:32
	s_waitcnt lgkmcnt(0)
	v_mul_f32_e32 v31, v26, v30
	v_mul_f32_e32 v30, v32, v30
	v_fma_f32 v31, v32, v29, -v31
	v_fmac_f32_e32 v30, v26, v29
	buffer_store_dword v31, off, s[0:3], 0 offset:32
	buffer_store_dword v30, off, s[0:3], 0 offset:36
.LBB11_31:
	s_or_b64 exec, exec, s[4:5]
	; wave barrier
	buffer_load_dword v29, off, s[0:3], 0 offset:40
	buffer_load_dword v30, off, s[0:3], 0 offset:44
	v_cmp_gt_u32_e32 vcc, 5, v0
	s_waitcnt vmcnt(0)
	ds_write_b64 v28, v[29:30]
	s_waitcnt lgkmcnt(0)
	; wave barrier
	s_and_saveexec_b64 s[4:5], vcc
	s_cbranch_execz .LBB11_35
; %bb.32:
	v_add_u32_e32 v29, -1, v0
	v_add_u32_e32 v30, 0x60, v27
	v_mov_b32_e32 v31, v27
	v_mov_b32_e32 v26, 0
	s_mov_b64 s[8:9], 0
	v_mov_b32_e32 v32, 0
.LBB11_33:                              ; =>This Inner Loop Header: Depth=1
	buffer_load_dword v35, v31, s[0:3], 0 offen offset:4
	buffer_load_dword v36, v31, s[0:3], 0 offen
	ds_read_b64 v[33:34], v30
	v_add_u32_e32 v29, 1, v29
	v_cmp_lt_u32_e32 vcc, 3, v29
	v_add_u32_e32 v30, 8, v30
	v_add_u32_e32 v31, 8, v31
	s_or_b64 s[8:9], vcc, s[8:9]
	s_waitcnt vmcnt(1) lgkmcnt(0)
	v_mul_f32_e32 v37, v34, v35
	v_mul_f32_e32 v35, v33, v35
	s_waitcnt vmcnt(0)
	v_fma_f32 v33, v33, v36, -v37
	v_fmac_f32_e32 v35, v34, v36
	v_add_f32_e32 v32, v32, v33
	v_add_f32_e32 v26, v26, v35
	s_andn2_b64 exec, exec, s[8:9]
	s_cbranch_execnz .LBB11_33
; %bb.34:
	s_or_b64 exec, exec, s[8:9]
	v_mov_b32_e32 v29, 0
	ds_read_b64 v[29:30], v29 offset:40
	s_waitcnt lgkmcnt(0)
	v_mul_f32_e32 v31, v26, v30
	v_mul_f32_e32 v30, v32, v30
	v_fma_f32 v31, v32, v29, -v31
	v_fmac_f32_e32 v30, v26, v29
	buffer_store_dword v31, off, s[0:3], 0 offset:40
	buffer_store_dword v30, off, s[0:3], 0 offset:44
.LBB11_35:
	s_or_b64 exec, exec, s[4:5]
	; wave barrier
	buffer_load_dword v29, off, s[0:3], 0 offset:48
	buffer_load_dword v30, off, s[0:3], 0 offset:52
	v_cmp_gt_u32_e32 vcc, 6, v0
	s_waitcnt vmcnt(0)
	ds_write_b64 v28, v[29:30]
	s_waitcnt lgkmcnt(0)
	; wave barrier
	s_and_saveexec_b64 s[4:5], vcc
	s_cbranch_execz .LBB11_39
; %bb.36:
	v_add_u32_e32 v29, -1, v0
	v_add_u32_e32 v30, 0x60, v27
	v_mov_b32_e32 v31, v27
	v_mov_b32_e32 v26, 0
	s_mov_b64 s[8:9], 0
	v_mov_b32_e32 v32, 0
.LBB11_37:                              ; =>This Inner Loop Header: Depth=1
	buffer_load_dword v35, v31, s[0:3], 0 offen offset:4
	buffer_load_dword v36, v31, s[0:3], 0 offen
	ds_read_b64 v[33:34], v30
	v_add_u32_e32 v29, 1, v29
	v_cmp_lt_u32_e32 vcc, 4, v29
	v_add_u32_e32 v30, 8, v30
	v_add_u32_e32 v31, 8, v31
	s_or_b64 s[8:9], vcc, s[8:9]
	s_waitcnt vmcnt(1) lgkmcnt(0)
	v_mul_f32_e32 v37, v34, v35
	v_mul_f32_e32 v35, v33, v35
	s_waitcnt vmcnt(0)
	v_fma_f32 v33, v33, v36, -v37
	v_fmac_f32_e32 v35, v34, v36
	v_add_f32_e32 v32, v32, v33
	v_add_f32_e32 v26, v26, v35
	s_andn2_b64 exec, exec, s[8:9]
	s_cbranch_execnz .LBB11_37
; %bb.38:
	s_or_b64 exec, exec, s[8:9]
	v_mov_b32_e32 v29, 0
	ds_read_b64 v[29:30], v29 offset:48
	s_waitcnt lgkmcnt(0)
	v_mul_f32_e32 v31, v26, v30
	v_mul_f32_e32 v30, v32, v30
	v_fma_f32 v31, v32, v29, -v31
	v_fmac_f32_e32 v30, v26, v29
	buffer_store_dword v31, off, s[0:3], 0 offset:48
	buffer_store_dword v30, off, s[0:3], 0 offset:52
.LBB11_39:
	s_or_b64 exec, exec, s[4:5]
	; wave barrier
	buffer_load_dword v29, off, s[0:3], 0 offset:56
	buffer_load_dword v30, off, s[0:3], 0 offset:60
	v_cmp_gt_u32_e32 vcc, 7, v0
	s_waitcnt vmcnt(0)
	ds_write_b64 v28, v[29:30]
	s_waitcnt lgkmcnt(0)
	; wave barrier
	s_and_saveexec_b64 s[4:5], vcc
	s_cbranch_execz .LBB11_43
; %bb.40:
	v_add_u32_e32 v29, -1, v0
	v_add_u32_e32 v30, 0x60, v27
	v_mov_b32_e32 v31, v27
	v_mov_b32_e32 v26, 0
	s_mov_b64 s[8:9], 0
	v_mov_b32_e32 v32, 0
.LBB11_41:                              ; =>This Inner Loop Header: Depth=1
	buffer_load_dword v35, v31, s[0:3], 0 offen offset:4
	buffer_load_dword v36, v31, s[0:3], 0 offen
	ds_read_b64 v[33:34], v30
	v_add_u32_e32 v29, 1, v29
	v_cmp_lt_u32_e32 vcc, 5, v29
	v_add_u32_e32 v30, 8, v30
	v_add_u32_e32 v31, 8, v31
	s_or_b64 s[8:9], vcc, s[8:9]
	s_waitcnt vmcnt(1) lgkmcnt(0)
	v_mul_f32_e32 v37, v34, v35
	v_mul_f32_e32 v35, v33, v35
	s_waitcnt vmcnt(0)
	v_fma_f32 v33, v33, v36, -v37
	v_fmac_f32_e32 v35, v34, v36
	v_add_f32_e32 v32, v32, v33
	v_add_f32_e32 v26, v26, v35
	s_andn2_b64 exec, exec, s[8:9]
	s_cbranch_execnz .LBB11_41
; %bb.42:
	s_or_b64 exec, exec, s[8:9]
	v_mov_b32_e32 v29, 0
	ds_read_b64 v[29:30], v29 offset:56
	s_waitcnt lgkmcnt(0)
	v_mul_f32_e32 v31, v26, v30
	v_mul_f32_e32 v30, v32, v30
	v_fma_f32 v31, v32, v29, -v31
	v_fmac_f32_e32 v30, v26, v29
	buffer_store_dword v31, off, s[0:3], 0 offset:56
	buffer_store_dword v30, off, s[0:3], 0 offset:60
.LBB11_43:
	s_or_b64 exec, exec, s[4:5]
	; wave barrier
	buffer_load_dword v29, off, s[0:3], 0 offset:64
	buffer_load_dword v30, off, s[0:3], 0 offset:68
	v_cmp_gt_u32_e32 vcc, 8, v0
	s_waitcnt vmcnt(0)
	ds_write_b64 v28, v[29:30]
	s_waitcnt lgkmcnt(0)
	; wave barrier
	s_and_saveexec_b64 s[4:5], vcc
	s_cbranch_execz .LBB11_47
; %bb.44:
	v_add_u32_e32 v29, -1, v0
	v_add_u32_e32 v30, 0x60, v27
	v_mov_b32_e32 v31, v27
	v_mov_b32_e32 v26, 0
	s_mov_b64 s[8:9], 0
	v_mov_b32_e32 v32, 0
.LBB11_45:                              ; =>This Inner Loop Header: Depth=1
	buffer_load_dword v35, v31, s[0:3], 0 offen offset:4
	buffer_load_dword v36, v31, s[0:3], 0 offen
	ds_read_b64 v[33:34], v30
	v_add_u32_e32 v29, 1, v29
	v_cmp_lt_u32_e32 vcc, 6, v29
	v_add_u32_e32 v30, 8, v30
	v_add_u32_e32 v31, 8, v31
	s_or_b64 s[8:9], vcc, s[8:9]
	s_waitcnt vmcnt(1) lgkmcnt(0)
	v_mul_f32_e32 v37, v34, v35
	v_mul_f32_e32 v35, v33, v35
	s_waitcnt vmcnt(0)
	v_fma_f32 v33, v33, v36, -v37
	v_fmac_f32_e32 v35, v34, v36
	v_add_f32_e32 v32, v32, v33
	v_add_f32_e32 v26, v26, v35
	s_andn2_b64 exec, exec, s[8:9]
	s_cbranch_execnz .LBB11_45
; %bb.46:
	s_or_b64 exec, exec, s[8:9]
	v_mov_b32_e32 v29, 0
	ds_read_b64 v[29:30], v29 offset:64
	s_waitcnt lgkmcnt(0)
	v_mul_f32_e32 v31, v26, v30
	v_mul_f32_e32 v30, v32, v30
	v_fma_f32 v31, v32, v29, -v31
	v_fmac_f32_e32 v30, v26, v29
	buffer_store_dword v31, off, s[0:3], 0 offset:64
	buffer_store_dword v30, off, s[0:3], 0 offset:68
.LBB11_47:
	s_or_b64 exec, exec, s[4:5]
	; wave barrier
	buffer_load_dword v29, off, s[0:3], 0 offset:72
	buffer_load_dword v30, off, s[0:3], 0 offset:76
	v_cmp_gt_u32_e32 vcc, 9, v0
	s_waitcnt vmcnt(0)
	ds_write_b64 v28, v[29:30]
	s_waitcnt lgkmcnt(0)
	; wave barrier
	s_and_saveexec_b64 s[4:5], vcc
	s_cbranch_execz .LBB11_51
; %bb.48:
	v_add_u32_e32 v29, -1, v0
	v_add_u32_e32 v30, 0x60, v27
	v_mov_b32_e32 v31, v27
	v_mov_b32_e32 v26, 0
	s_mov_b64 s[8:9], 0
	v_mov_b32_e32 v32, 0
.LBB11_49:                              ; =>This Inner Loop Header: Depth=1
	buffer_load_dword v35, v31, s[0:3], 0 offen offset:4
	buffer_load_dword v36, v31, s[0:3], 0 offen
	ds_read_b64 v[33:34], v30
	v_add_u32_e32 v29, 1, v29
	v_cmp_lt_u32_e32 vcc, 7, v29
	v_add_u32_e32 v30, 8, v30
	v_add_u32_e32 v31, 8, v31
	s_or_b64 s[8:9], vcc, s[8:9]
	s_waitcnt vmcnt(1) lgkmcnt(0)
	v_mul_f32_e32 v37, v34, v35
	v_mul_f32_e32 v35, v33, v35
	s_waitcnt vmcnt(0)
	v_fma_f32 v33, v33, v36, -v37
	v_fmac_f32_e32 v35, v34, v36
	v_add_f32_e32 v32, v32, v33
	v_add_f32_e32 v26, v26, v35
	s_andn2_b64 exec, exec, s[8:9]
	s_cbranch_execnz .LBB11_49
; %bb.50:
	s_or_b64 exec, exec, s[8:9]
	v_mov_b32_e32 v29, 0
	ds_read_b64 v[29:30], v29 offset:72
	s_waitcnt lgkmcnt(0)
	v_mul_f32_e32 v31, v26, v30
	v_mul_f32_e32 v30, v32, v30
	v_fma_f32 v31, v32, v29, -v31
	v_fmac_f32_e32 v30, v26, v29
	buffer_store_dword v31, off, s[0:3], 0 offset:72
	buffer_store_dword v30, off, s[0:3], 0 offset:76
.LBB11_51:
	s_or_b64 exec, exec, s[4:5]
	; wave barrier
	buffer_load_dword v29, off, s[0:3], 0 offset:80
	buffer_load_dword v30, off, s[0:3], 0 offset:84
	v_cmp_gt_u32_e32 vcc, 10, v0
	s_waitcnt vmcnt(0)
	ds_write_b64 v28, v[29:30]
	s_waitcnt lgkmcnt(0)
	; wave barrier
	s_and_saveexec_b64 s[4:5], vcc
	s_cbranch_execz .LBB11_55
; %bb.52:
	v_add_u32_e32 v29, -1, v0
	v_add_u32_e32 v30, 0x60, v27
	v_mov_b32_e32 v31, v27
	v_mov_b32_e32 v26, 0
	s_mov_b64 s[8:9], 0
	v_mov_b32_e32 v32, 0
.LBB11_53:                              ; =>This Inner Loop Header: Depth=1
	buffer_load_dword v35, v31, s[0:3], 0 offen offset:4
	buffer_load_dword v36, v31, s[0:3], 0 offen
	ds_read_b64 v[33:34], v30
	v_add_u32_e32 v29, 1, v29
	v_cmp_lt_u32_e32 vcc, 8, v29
	v_add_u32_e32 v30, 8, v30
	v_add_u32_e32 v31, 8, v31
	s_or_b64 s[8:9], vcc, s[8:9]
	s_waitcnt vmcnt(1) lgkmcnt(0)
	v_mul_f32_e32 v37, v34, v35
	v_mul_f32_e32 v35, v33, v35
	s_waitcnt vmcnt(0)
	v_fma_f32 v33, v33, v36, -v37
	v_fmac_f32_e32 v35, v34, v36
	v_add_f32_e32 v32, v32, v33
	v_add_f32_e32 v26, v26, v35
	s_andn2_b64 exec, exec, s[8:9]
	s_cbranch_execnz .LBB11_53
; %bb.54:
	s_or_b64 exec, exec, s[8:9]
	v_mov_b32_e32 v29, 0
	ds_read_b64 v[29:30], v29 offset:80
	s_waitcnt lgkmcnt(0)
	v_mul_f32_e32 v31, v26, v30
	v_mul_f32_e32 v30, v32, v30
	v_fma_f32 v31, v32, v29, -v31
	v_fmac_f32_e32 v30, v26, v29
	buffer_store_dword v31, off, s[0:3], 0 offset:80
	buffer_store_dword v30, off, s[0:3], 0 offset:84
.LBB11_55:
	s_or_b64 exec, exec, s[4:5]
	; wave barrier
	buffer_load_dword v29, off, s[0:3], 0 offset:88
	buffer_load_dword v30, off, s[0:3], 0 offset:92
	v_cmp_ne_u32_e32 vcc, 11, v0
	s_waitcnt vmcnt(0)
	ds_write_b64 v28, v[29:30]
	s_waitcnt lgkmcnt(0)
	; wave barrier
	s_and_saveexec_b64 s[4:5], vcc
	s_cbranch_execz .LBB11_59
; %bb.56:
	v_add_u32_e32 v28, 0x60, v27
	v_mov_b32_e32 v26, 0
	s_mov_b64 s[8:9], 0
	v_mov_b32_e32 v29, 0
.LBB11_57:                              ; =>This Inner Loop Header: Depth=1
	buffer_load_dword v32, v27, s[0:3], 0 offen offset:4
	buffer_load_dword v33, v27, s[0:3], 0 offen
	ds_read_b64 v[30:31], v28
	v_add_u32_e32 v25, 1, v25
	v_cmp_lt_u32_e32 vcc, 9, v25
	v_add_u32_e32 v28, 8, v28
	v_add_u32_e32 v27, 8, v27
	s_or_b64 s[8:9], vcc, s[8:9]
	s_waitcnt vmcnt(1) lgkmcnt(0)
	v_mul_f32_e32 v34, v31, v32
	v_mul_f32_e32 v32, v30, v32
	s_waitcnt vmcnt(0)
	v_fma_f32 v30, v30, v33, -v34
	v_fmac_f32_e32 v32, v31, v33
	v_add_f32_e32 v29, v29, v30
	v_add_f32_e32 v26, v26, v32
	s_andn2_b64 exec, exec, s[8:9]
	s_cbranch_execnz .LBB11_57
; %bb.58:
	s_or_b64 exec, exec, s[8:9]
	v_mov_b32_e32 v25, 0
	ds_read_b64 v[27:28], v25 offset:88
	s_waitcnt lgkmcnt(0)
	v_mul_f32_e32 v25, v26, v28
	v_mul_f32_e32 v28, v29, v28
	v_fma_f32 v25, v29, v27, -v25
	v_fmac_f32_e32 v28, v26, v27
	buffer_store_dword v25, off, s[0:3], 0 offset:88
	buffer_store_dword v28, off, s[0:3], 0 offset:92
.LBB11_59:
	s_or_b64 exec, exec, s[4:5]
	s_mov_b64 s[8:9], -1
	; wave barrier
.LBB11_60:
	s_and_b64 vcc, exec, s[8:9]
	s_cbranch_vccz .LBB11_62
; %bb.61:
	s_lshl_b64 s[4:5], s[6:7], 2
	s_add_u32 s4, s10, s4
	s_addc_u32 s5, s11, s5
	v_mov_b32_e32 v25, 0
	global_load_dword v25, v25, s[4:5]
	s_waitcnt vmcnt(0)
	v_cmp_ne_u32_e32 vcc, 0, v25
	s_cbranch_vccz .LBB11_63
.LBB11_62:
	s_endpgm
.LBB11_63:
	v_mov_b32_e32 v25, 0x60
	v_lshl_add_u32 v25, v0, 3, v25
	v_cmp_eq_u32_e32 vcc, 11, v0
	s_and_saveexec_b64 s[4:5], vcc
	s_cbranch_execz .LBB11_65
; %bb.64:
	buffer_load_dword v26, off, s[0:3], 0 offset:80
	buffer_load_dword v27, off, s[0:3], 0 offset:84
	v_mov_b32_e32 v28, 0
	buffer_store_dword v28, off, s[0:3], 0 offset:80
	buffer_store_dword v28, off, s[0:3], 0 offset:84
	s_waitcnt vmcnt(2)
	ds_write_b64 v25, v[26:27]
.LBB11_65:
	s_or_b64 exec, exec, s[4:5]
	s_waitcnt lgkmcnt(0)
	; wave barrier
	buffer_load_dword v29, off, s[0:3], 0 offset:92
	buffer_load_dword v30, off, s[0:3], 0 offset:88
	;; [unrolled: 1-line block ×4, first 2 shown]
	v_mov_b32_e32 v26, 0
	ds_read_b64 v[27:28], v26 offset:184
	v_cmp_lt_u32_e32 vcc, 9, v0
	s_waitcnt vmcnt(3) lgkmcnt(0)
	v_mul_f32_e32 v33, v27, v29
	v_mul_f32_e32 v29, v28, v29
	s_waitcnt vmcnt(2)
	v_fma_f32 v27, v27, v30, -v29
	v_fmac_f32_e32 v33, v28, v30
	v_add_f32_e32 v27, 0, v27
	v_add_f32_e32 v28, 0, v33
	s_waitcnt vmcnt(1)
	v_sub_f32_e32 v27, v31, v27
	s_waitcnt vmcnt(0)
	v_sub_f32_e32 v28, v32, v28
	buffer_store_dword v27, off, s[0:3], 0 offset:80
	buffer_store_dword v28, off, s[0:3], 0 offset:84
	s_and_saveexec_b64 s[4:5], vcc
	s_cbranch_execz .LBB11_67
; %bb.66:
	buffer_load_dword v27, off, s[0:3], 0 offset:72
	buffer_load_dword v28, off, s[0:3], 0 offset:76
	s_waitcnt vmcnt(0)
	ds_write_b64 v25, v[27:28]
	buffer_store_dword v26, off, s[0:3], 0 offset:72
	buffer_store_dword v26, off, s[0:3], 0 offset:76
.LBB11_67:
	s_or_b64 exec, exec, s[4:5]
	s_waitcnt lgkmcnt(0)
	; wave barrier
	buffer_load_dword v30, off, s[0:3], 0 offset:84
	buffer_load_dword v31, off, s[0:3], 0 offset:92
	buffer_load_dword v32, off, s[0:3], 0 offset:80
	buffer_load_dword v33, off, s[0:3], 0 offset:88
	buffer_load_dword v34, off, s[0:3], 0 offset:72
	buffer_load_dword v35, off, s[0:3], 0 offset:76
	ds_read_b128 v[26:29], v26 offset:176
	v_cmp_lt_u32_e32 vcc, 8, v0
	s_waitcnt vmcnt(5) lgkmcnt(0)
	v_mul_f32_e32 v36, v26, v30
	v_mul_f32_e32 v30, v27, v30
	s_waitcnt vmcnt(4)
	v_mul_f32_e32 v37, v28, v31
	v_mul_f32_e32 v31, v29, v31
	s_waitcnt vmcnt(3)
	v_fma_f32 v26, v26, v32, -v30
	v_fmac_f32_e32 v36, v27, v32
	s_waitcnt vmcnt(2)
	v_fma_f32 v27, v28, v33, -v31
	v_add_f32_e32 v26, 0, v26
	v_fmac_f32_e32 v37, v29, v33
	v_add_f32_e32 v28, 0, v36
	v_add_f32_e32 v26, v26, v27
	;; [unrolled: 1-line block ×3, first 2 shown]
	s_waitcnt vmcnt(1)
	v_sub_f32_e32 v26, v34, v26
	s_waitcnt vmcnt(0)
	v_sub_f32_e32 v27, v35, v28
	buffer_store_dword v26, off, s[0:3], 0 offset:72
	buffer_store_dword v27, off, s[0:3], 0 offset:76
	s_and_saveexec_b64 s[4:5], vcc
	s_cbranch_execz .LBB11_69
; %bb.68:
	buffer_load_dword v26, off, s[0:3], 0 offset:64
	buffer_load_dword v27, off, s[0:3], 0 offset:68
	v_mov_b32_e32 v28, 0
	buffer_store_dword v28, off, s[0:3], 0 offset:64
	buffer_store_dword v28, off, s[0:3], 0 offset:68
	s_waitcnt vmcnt(2)
	ds_write_b64 v25, v[26:27]
.LBB11_69:
	s_or_b64 exec, exec, s[4:5]
	s_waitcnt lgkmcnt(0)
	; wave barrier
	buffer_load_dword v33, off, s[0:3], 0 offset:76
	buffer_load_dword v34, off, s[0:3], 0 offset:84
	;; [unrolled: 1-line block ×8, first 2 shown]
	v_mov_b32_e32 v26, 0
	ds_read2_b64 v[27:30], v26 offset0:21 offset1:22
	ds_read_b64 v[31:32], v26 offset:184
	v_cmp_lt_u32_e32 vcc, 7, v0
	s_waitcnt vmcnt(7) lgkmcnt(1)
	v_mul_f32_e32 v41, v27, v33
	v_mul_f32_e32 v33, v28, v33
	s_waitcnt vmcnt(6)
	v_mul_f32_e32 v42, v29, v34
	v_mul_f32_e32 v34, v30, v34
	s_waitcnt vmcnt(4)
	v_fma_f32 v27, v27, v36, -v33
	s_waitcnt lgkmcnt(0)
	v_mul_f32_e32 v43, v31, v35
	v_mul_f32_e32 v35, v32, v35
	v_fmac_f32_e32 v41, v28, v36
	s_waitcnt vmcnt(3)
	v_fma_f32 v28, v29, v37, -v34
	v_add_f32_e32 v27, 0, v27
	v_fmac_f32_e32 v42, v30, v37
	s_waitcnt vmcnt(2)
	v_fma_f32 v29, v31, v38, -v35
	v_add_f32_e32 v30, 0, v41
	v_add_f32_e32 v27, v27, v28
	v_fmac_f32_e32 v43, v32, v38
	v_add_f32_e32 v30, v30, v42
	v_add_f32_e32 v27, v27, v29
	;; [unrolled: 1-line block ×3, first 2 shown]
	s_waitcnt vmcnt(1)
	v_sub_f32_e32 v27, v39, v27
	s_waitcnt vmcnt(0)
	v_sub_f32_e32 v28, v40, v28
	buffer_store_dword v27, off, s[0:3], 0 offset:64
	buffer_store_dword v28, off, s[0:3], 0 offset:68
	s_and_saveexec_b64 s[4:5], vcc
	s_cbranch_execz .LBB11_71
; %bb.70:
	buffer_load_dword v27, off, s[0:3], 0 offset:56
	buffer_load_dword v28, off, s[0:3], 0 offset:60
	s_waitcnt vmcnt(0)
	ds_write_b64 v25, v[27:28]
	buffer_store_dword v26, off, s[0:3], 0 offset:56
	buffer_store_dword v26, off, s[0:3], 0 offset:60
.LBB11_71:
	s_or_b64 exec, exec, s[4:5]
	s_waitcnt lgkmcnt(0)
	; wave barrier
	buffer_load_dword v35, off, s[0:3], 0 offset:68
	buffer_load_dword v36, off, s[0:3], 0 offset:76
	;; [unrolled: 1-line block ×10, first 2 shown]
	ds_read_b128 v[27:30], v26 offset:160
	ds_read_b128 v[31:34], v26 offset:176
	v_cmp_lt_u32_e32 vcc, 6, v0
	s_waitcnt vmcnt(9) lgkmcnt(1)
	v_mul_f32_e32 v26, v27, v35
	v_mul_f32_e32 v35, v28, v35
	s_waitcnt vmcnt(8)
	v_mul_f32_e32 v45, v29, v36
	v_mul_f32_e32 v36, v30, v36
	s_waitcnt vmcnt(5)
	v_fma_f32 v27, v27, v39, -v35
	s_waitcnt lgkmcnt(0)
	v_mul_f32_e32 v46, v31, v37
	v_mul_f32_e32 v37, v32, v37
	v_fmac_f32_e32 v26, v28, v39
	s_waitcnt vmcnt(4)
	v_fma_f32 v28, v29, v40, -v36
	v_add_f32_e32 v27, 0, v27
	v_mul_f32_e32 v47, v33, v38
	v_mul_f32_e32 v38, v34, v38
	v_fmac_f32_e32 v45, v30, v40
	s_waitcnt vmcnt(3)
	v_fma_f32 v29, v31, v41, -v37
	v_add_f32_e32 v26, 0, v26
	v_add_f32_e32 v27, v27, v28
	v_fmac_f32_e32 v46, v32, v41
	s_waitcnt vmcnt(2)
	v_fma_f32 v30, v33, v42, -v38
	v_add_f32_e32 v26, v26, v45
	v_add_f32_e32 v27, v27, v29
	v_fmac_f32_e32 v47, v34, v42
	v_add_f32_e32 v26, v26, v46
	v_add_f32_e32 v27, v27, v30
	;; [unrolled: 1-line block ×3, first 2 shown]
	s_waitcnt vmcnt(1)
	v_sub_f32_e32 v27, v43, v27
	s_waitcnt vmcnt(0)
	v_sub_f32_e32 v26, v44, v26
	buffer_store_dword v27, off, s[0:3], 0 offset:56
	buffer_store_dword v26, off, s[0:3], 0 offset:60
	s_and_saveexec_b64 s[4:5], vcc
	s_cbranch_execz .LBB11_73
; %bb.72:
	buffer_load_dword v26, off, s[0:3], 0 offset:48
	buffer_load_dword v27, off, s[0:3], 0 offset:52
	v_mov_b32_e32 v28, 0
	buffer_store_dword v28, off, s[0:3], 0 offset:48
	buffer_store_dword v28, off, s[0:3], 0 offset:52
	s_waitcnt vmcnt(2)
	ds_write_b64 v25, v[26:27]
.LBB11_73:
	s_or_b64 exec, exec, s[4:5]
	s_waitcnt lgkmcnt(0)
	; wave barrier
	buffer_load_dword v37, off, s[0:3], 0 offset:60
	buffer_load_dword v38, off, s[0:3], 0 offset:68
	;; [unrolled: 1-line block ×12, first 2 shown]
	v_mov_b32_e32 v26, 0
	ds_read2_b64 v[27:30], v26 offset0:19 offset1:20
	ds_read2_b64 v[31:34], v26 offset0:21 offset1:22
	ds_read_b64 v[35:36], v26 offset:184
	v_cmp_lt_u32_e32 vcc, 5, v0
	s_waitcnt vmcnt(11) lgkmcnt(2)
	v_mul_f32_e32 v49, v27, v37
	v_mul_f32_e32 v37, v28, v37
	s_waitcnt vmcnt(10)
	v_mul_f32_e32 v50, v29, v38
	v_mul_f32_e32 v38, v30, v38
	s_waitcnt vmcnt(9) lgkmcnt(1)
	v_mul_f32_e32 v51, v31, v39
	s_waitcnt vmcnt(6)
	v_fma_f32 v27, v27, v42, -v37
	v_mul_f32_e32 v39, v32, v39
	v_fmac_f32_e32 v49, v28, v42
	s_waitcnt vmcnt(5)
	v_fma_f32 v28, v29, v43, -v38
	v_add_f32_e32 v27, 0, v27
	v_mul_f32_e32 v52, v33, v40
	v_mul_f32_e32 v40, v34, v40
	v_fmac_f32_e32 v50, v30, v43
	s_waitcnt vmcnt(4)
	v_fmac_f32_e32 v51, v32, v44
	v_fma_f32 v29, v31, v44, -v39
	v_add_f32_e32 v32, 0, v49
	v_add_f32_e32 v27, v27, v28
	s_waitcnt lgkmcnt(0)
	v_mul_f32_e32 v53, v35, v41
	v_mul_f32_e32 v41, v36, v41
	s_waitcnt vmcnt(3)
	v_fma_f32 v30, v33, v45, -v40
	v_add_f32_e32 v32, v32, v50
	v_add_f32_e32 v27, v27, v29
	v_fmac_f32_e32 v52, v34, v45
	s_waitcnt vmcnt(2)
	v_fma_f32 v31, v35, v46, -v41
	v_add_f32_e32 v28, v32, v51
	v_add_f32_e32 v27, v27, v30
	v_fmac_f32_e32 v53, v36, v46
	v_add_f32_e32 v28, v28, v52
	v_add_f32_e32 v27, v27, v31
	;; [unrolled: 1-line block ×3, first 2 shown]
	s_waitcnt vmcnt(1)
	v_sub_f32_e32 v27, v47, v27
	s_waitcnt vmcnt(0)
	v_sub_f32_e32 v28, v48, v28
	buffer_store_dword v27, off, s[0:3], 0 offset:48
	buffer_store_dword v28, off, s[0:3], 0 offset:52
	s_and_saveexec_b64 s[4:5], vcc
	s_cbranch_execz .LBB11_75
; %bb.74:
	buffer_load_dword v27, off, s[0:3], 0 offset:40
	buffer_load_dword v28, off, s[0:3], 0 offset:44
	s_waitcnt vmcnt(0)
	ds_write_b64 v25, v[27:28]
	buffer_store_dword v26, off, s[0:3], 0 offset:40
	buffer_store_dword v26, off, s[0:3], 0 offset:44
.LBB11_75:
	s_or_b64 exec, exec, s[4:5]
	s_waitcnt lgkmcnt(0)
	; wave barrier
	buffer_load_dword v39, off, s[0:3], 0 offset:52
	buffer_load_dword v40, off, s[0:3], 0 offset:60
	;; [unrolled: 1-line block ×14, first 2 shown]
	ds_read_b128 v[27:30], v26 offset:144
	ds_read_b128 v[31:34], v26 offset:160
	;; [unrolled: 1-line block ×3, first 2 shown]
	v_cmp_lt_u32_e32 vcc, 4, v0
	s_waitcnt vmcnt(13) lgkmcnt(2)
	v_mul_f32_e32 v26, v27, v39
	v_mul_f32_e32 v39, v28, v39
	s_waitcnt vmcnt(12)
	v_mul_f32_e32 v53, v29, v40
	v_mul_f32_e32 v40, v30, v40
	s_waitcnt vmcnt(11) lgkmcnt(1)
	v_mul_f32_e32 v54, v31, v41
	v_mul_f32_e32 v41, v32, v41
	s_waitcnt vmcnt(7)
	v_fma_f32 v27, v27, v45, -v39
	v_fmac_f32_e32 v26, v28, v45
	s_waitcnt vmcnt(6)
	v_fma_f32 v28, v29, v46, -v40
	v_add_f32_e32 v27, 0, v27
	v_mul_f32_e32 v55, v33, v42
	v_mul_f32_e32 v42, v34, v42
	v_fmac_f32_e32 v53, v30, v46
	s_waitcnt vmcnt(5)
	v_fma_f32 v29, v31, v47, -v41
	v_add_f32_e32 v26, 0, v26
	v_add_f32_e32 v27, v27, v28
	s_waitcnt lgkmcnt(0)
	v_mul_f32_e32 v56, v35, v43
	v_mul_f32_e32 v43, v36, v43
	v_fmac_f32_e32 v54, v32, v47
	s_waitcnt vmcnt(4)
	v_fma_f32 v30, v33, v48, -v42
	v_add_f32_e32 v26, v26, v53
	v_add_f32_e32 v27, v27, v29
	v_mul_f32_e32 v57, v37, v44
	v_mul_f32_e32 v44, v38, v44
	v_fmac_f32_e32 v55, v34, v48
	s_waitcnt vmcnt(3)
	v_fma_f32 v31, v35, v49, -v43
	v_add_f32_e32 v26, v26, v54
	v_add_f32_e32 v27, v27, v30
	v_fmac_f32_e32 v56, v36, v49
	s_waitcnt vmcnt(2)
	v_fma_f32 v32, v37, v50, -v44
	v_add_f32_e32 v26, v26, v55
	v_add_f32_e32 v27, v27, v31
	v_fmac_f32_e32 v57, v38, v50
	v_add_f32_e32 v26, v26, v56
	v_add_f32_e32 v27, v27, v32
	;; [unrolled: 1-line block ×3, first 2 shown]
	s_waitcnt vmcnt(1)
	v_sub_f32_e32 v27, v51, v27
	s_waitcnt vmcnt(0)
	v_sub_f32_e32 v26, v52, v26
	buffer_store_dword v27, off, s[0:3], 0 offset:40
	buffer_store_dword v26, off, s[0:3], 0 offset:44
	s_and_saveexec_b64 s[4:5], vcc
	s_cbranch_execz .LBB11_77
; %bb.76:
	buffer_load_dword v26, off, s[0:3], 0 offset:32
	buffer_load_dword v27, off, s[0:3], 0 offset:36
	v_mov_b32_e32 v28, 0
	buffer_store_dword v28, off, s[0:3], 0 offset:32
	buffer_store_dword v28, off, s[0:3], 0 offset:36
	s_waitcnt vmcnt(2)
	ds_write_b64 v25, v[26:27]
.LBB11_77:
	s_or_b64 exec, exec, s[4:5]
	v_mov_b32_e32 v26, 0
	s_waitcnt lgkmcnt(0)
	; wave barrier
	ds_read2_b64 v[27:30], v26 offset0:17 offset1:18
	buffer_load_dword v41, off, s[0:3], 0 offset:32
	buffer_load_dword v42, off, s[0:3], 0 offset:36
	;; [unrolled: 1-line block ×16, first 2 shown]
	v_cmp_lt_u32_e32 vcc, 3, v0
	s_waitcnt vmcnt(12) lgkmcnt(0)
	v_mul_f32_e32 v31, v27, v44
	v_fmac_f32_e32 v31, v28, v43
	s_waitcnt vmcnt(10)
	v_mul_f32_e32 v32, v29, v46
	v_add_f32_e32 v31, 0, v31
	v_fmac_f32_e32 v32, v30, v45
	v_add_f32_e32 v35, v31, v32
	ds_read2_b64 v[31:34], v26 offset0:19 offset1:20
	v_mul_f32_e32 v28, v28, v44
	v_fma_f32 v27, v27, v43, -v28
	v_mul_f32_e32 v28, v30, v46
	v_add_f32_e32 v27, 0, v27
	s_waitcnt vmcnt(8) lgkmcnt(0)
	v_mul_f32_e32 v36, v31, v48
	v_fmac_f32_e32 v36, v32, v47
	v_add_f32_e32 v35, v35, v36
	s_waitcnt vmcnt(6)
	v_mul_f32_e32 v36, v33, v50
	v_fmac_f32_e32 v36, v34, v49
	v_add_f32_e32 v39, v35, v36
	ds_read2_b64 v[35:38], v26 offset0:21 offset1:22
	v_fma_f32 v28, v29, v45, -v28
	v_add_f32_e32 v27, v27, v28
	v_mul_f32_e32 v28, v32, v48
	v_fma_f32 v28, v31, v47, -v28
	s_waitcnt vmcnt(4) lgkmcnt(0)
	v_mul_f32_e32 v40, v35, v52
	v_fmac_f32_e32 v40, v36, v51
	v_add_f32_e32 v39, v39, v40
	s_waitcnt vmcnt(2)
	v_mul_f32_e32 v40, v37, v54
	v_fmac_f32_e32 v40, v38, v53
	v_add_f32_e32 v27, v27, v28
	v_mul_f32_e32 v28, v34, v50
	v_add_f32_e32 v57, v39, v40
	ds_read_b64 v[39:40], v26 offset:184
	v_fma_f32 v28, v33, v49, -v28
	v_add_f32_e32 v27, v27, v28
	v_mul_f32_e32 v28, v36, v52
	v_fma_f32 v28, v35, v51, -v28
	v_add_f32_e32 v27, v27, v28
	v_mul_f32_e32 v28, v38, v54
	v_fma_f32 v28, v37, v53, -v28
	v_add_f32_e32 v27, v27, v28
	s_waitcnt vmcnt(0) lgkmcnt(0)
	v_mul_f32_e32 v28, v40, v56
	v_mul_f32_e32 v58, v39, v56
	v_fma_f32 v28, v39, v55, -v28
	v_fmac_f32_e32 v58, v40, v55
	v_add_f32_e32 v27, v27, v28
	v_add_f32_e32 v57, v57, v58
	v_sub_f32_e32 v27, v41, v27
	v_sub_f32_e32 v28, v42, v57
	buffer_store_dword v27, off, s[0:3], 0 offset:32
	buffer_store_dword v28, off, s[0:3], 0 offset:36
	s_and_saveexec_b64 s[4:5], vcc
	s_cbranch_execz .LBB11_79
; %bb.78:
	buffer_load_dword v27, off, s[0:3], 0 offset:24
	buffer_load_dword v28, off, s[0:3], 0 offset:28
	s_waitcnt vmcnt(0)
	ds_write_b64 v25, v[27:28]
	buffer_store_dword v26, off, s[0:3], 0 offset:24
	buffer_store_dword v26, off, s[0:3], 0 offset:28
.LBB11_79:
	s_or_b64 exec, exec, s[4:5]
	s_waitcnt lgkmcnt(0)
	; wave barrier
	ds_read_b128 v[27:30], v26 offset:128
	ds_read_b128 v[31:34], v26 offset:144
	;; [unrolled: 1-line block ×4, first 2 shown]
	buffer_load_dword v26, off, s[0:3], 0 offset:24
	buffer_load_dword v43, off, s[0:3], 0 offset:28
	;; [unrolled: 1-line block ×16, first 2 shown]
	v_cmp_lt_u32_e32 vcc, 2, v0
	s_waitcnt vmcnt(12) lgkmcnt(3)
	v_mul_f32_e32 v58, v27, v45
	v_fmac_f32_e32 v58, v28, v44
	s_waitcnt vmcnt(10)
	v_mul_f32_e32 v59, v29, v47
	v_add_f32_e32 v58, 0, v58
	v_fmac_f32_e32 v59, v30, v46
	v_add_f32_e32 v58, v58, v59
	s_waitcnt vmcnt(8) lgkmcnt(2)
	v_mul_f32_e32 v59, v31, v49
	v_fmac_f32_e32 v59, v32, v48
	v_add_f32_e32 v58, v58, v59
	s_waitcnt vmcnt(6)
	v_mul_f32_e32 v59, v33, v51
	v_fmac_f32_e32 v59, v34, v50
	v_add_f32_e32 v58, v58, v59
	s_waitcnt vmcnt(4) lgkmcnt(1)
	v_mul_f32_e32 v59, v35, v53
	v_fmac_f32_e32 v59, v36, v52
	v_add_f32_e32 v58, v58, v59
	s_waitcnt vmcnt(2)
	v_mul_f32_e32 v59, v37, v55
	v_fmac_f32_e32 v59, v38, v54
	v_add_f32_e32 v58, v58, v59
	s_waitcnt vmcnt(0) lgkmcnt(0)
	v_mul_f32_e32 v59, v39, v57
	v_fmac_f32_e32 v59, v40, v56
	v_add_f32_e32 v58, v58, v59
	buffer_load_dword v59, off, s[0:3], 0 offset:88
	buffer_load_dword v60, off, s[0:3], 0 offset:92
	v_mul_f32_e32 v28, v28, v45
	v_fma_f32 v27, v27, v44, -v28
	v_mul_f32_e32 v28, v30, v47
	v_add_f32_e32 v27, 0, v27
	v_fma_f32 v28, v29, v46, -v28
	v_add_f32_e32 v27, v27, v28
	v_mul_f32_e32 v28, v32, v49
	v_fma_f32 v28, v31, v48, -v28
	v_add_f32_e32 v27, v27, v28
	v_mul_f32_e32 v28, v34, v51
	;; [unrolled: 3-line block ×5, first 2 shown]
	v_fma_f32 v28, v39, v56, -v28
	v_add_f32_e32 v27, v27, v28
	s_waitcnt vmcnt(0)
	v_mul_f32_e32 v28, v42, v60
	v_mul_f32_e32 v61, v41, v60
	v_fma_f32 v28, v41, v59, -v28
	v_fmac_f32_e32 v61, v42, v59
	v_add_f32_e32 v27, v27, v28
	v_add_f32_e32 v58, v58, v61
	v_sub_f32_e32 v26, v26, v27
	v_sub_f32_e32 v27, v43, v58
	buffer_store_dword v26, off, s[0:3], 0 offset:24
	buffer_store_dword v27, off, s[0:3], 0 offset:28
	s_and_saveexec_b64 s[4:5], vcc
	s_cbranch_execz .LBB11_81
; %bb.80:
	buffer_load_dword v26, off, s[0:3], 0 offset:16
	buffer_load_dword v27, off, s[0:3], 0 offset:20
	v_mov_b32_e32 v28, 0
	buffer_store_dword v28, off, s[0:3], 0 offset:16
	buffer_store_dword v28, off, s[0:3], 0 offset:20
	s_waitcnt vmcnt(2)
	ds_write_b64 v25, v[26:27]
.LBB11_81:
	s_or_b64 exec, exec, s[4:5]
	s_waitcnt lgkmcnt(0)
	; wave barrier
	buffer_load_dword v45, off, s[0:3], 0 offset:28
	buffer_load_dword v46, off, s[0:3], 0 offset:36
	;; [unrolled: 1-line block ×20, first 2 shown]
	v_mov_b32_e32 v26, 0
	ds_read2_b64 v[27:30], v26 offset0:15 offset1:16
	ds_read2_b64 v[31:34], v26 offset0:17 offset1:18
	;; [unrolled: 1-line block ×4, first 2 shown]
	ds_read_b64 v[43:44], v26 offset:184
	v_cmp_lt_u32_e32 vcc, 1, v0
	s_waitcnt vmcnt(19) lgkmcnt(4)
	v_mul_f32_e32 v65, v27, v45
	v_mul_f32_e32 v45, v28, v45
	s_waitcnt vmcnt(18)
	v_mul_f32_e32 v66, v29, v46
	v_mul_f32_e32 v46, v30, v46
	s_waitcnt vmcnt(17) lgkmcnt(3)
	v_mul_f32_e32 v67, v31, v47
	s_waitcnt vmcnt(15) lgkmcnt(2)
	v_mul_f32_e32 v69, v35, v49
	v_mul_f32_e32 v47, v32, v47
	;; [unrolled: 1-line block ×4, first 2 shown]
	s_waitcnt vmcnt(10)
	v_fma_f32 v27, v27, v54, -v45
	v_fmac_f32_e32 v65, v28, v54
	s_waitcnt vmcnt(9)
	v_fma_f32 v28, v29, v55, -v46
	v_add_f32_e32 v27, 0, v27
	v_mul_f32_e32 v49, v36, v49
	v_fmac_f32_e32 v66, v30, v55
	s_waitcnt vmcnt(6)
	v_fmac_f32_e32 v69, v36, v58
	v_fma_f32 v29, v31, v56, -v47
	v_add_f32_e32 v36, 0, v65
	v_add_f32_e32 v27, v27, v28
	v_fmac_f32_e32 v67, v32, v56
	v_fma_f32 v30, v33, v57, -v48
	v_add_f32_e32 v36, v36, v66
	v_add_f32_e32 v27, v27, v29
	v_mul_f32_e32 v70, v37, v50
	v_mul_f32_e32 v50, v38, v50
	v_fmac_f32_e32 v68, v34, v57
	v_fma_f32 v31, v35, v58, -v49
	v_add_f32_e32 v28, v36, v67
	v_add_f32_e32 v27, v27, v30
	s_waitcnt lgkmcnt(1)
	v_mul_f32_e32 v71, v39, v51
	v_mul_f32_e32 v51, v40, v51
	s_waitcnt vmcnt(5)
	v_fma_f32 v32, v37, v59, -v50
	v_add_f32_e32 v28, v28, v68
	v_add_f32_e32 v27, v27, v31
	v_mul_f32_e32 v72, v41, v52
	v_mul_f32_e32 v52, v42, v52
	v_fmac_f32_e32 v70, v38, v59
	s_waitcnt vmcnt(4)
	v_fma_f32 v33, v39, v60, -v51
	v_add_f32_e32 v28, v28, v69
	v_add_f32_e32 v27, v27, v32
	s_waitcnt lgkmcnt(0)
	v_mul_f32_e32 v73, v43, v53
	v_mul_f32_e32 v53, v44, v53
	v_fmac_f32_e32 v71, v40, v60
	s_waitcnt vmcnt(3)
	v_fma_f32 v34, v41, v61, -v52
	v_add_f32_e32 v28, v28, v70
	v_add_f32_e32 v27, v27, v33
	v_fmac_f32_e32 v72, v42, v61
	s_waitcnt vmcnt(2)
	v_fma_f32 v35, v43, v62, -v53
	v_add_f32_e32 v28, v28, v71
	v_add_f32_e32 v27, v27, v34
	v_fmac_f32_e32 v73, v44, v62
	v_add_f32_e32 v28, v28, v72
	v_add_f32_e32 v27, v27, v35
	;; [unrolled: 1-line block ×3, first 2 shown]
	s_waitcnt vmcnt(1)
	v_sub_f32_e32 v27, v63, v27
	s_waitcnt vmcnt(0)
	v_sub_f32_e32 v28, v64, v28
	buffer_store_dword v27, off, s[0:3], 0 offset:16
	buffer_store_dword v28, off, s[0:3], 0 offset:20
	s_and_saveexec_b64 s[4:5], vcc
	s_cbranch_execz .LBB11_83
; %bb.82:
	buffer_load_dword v27, off, s[0:3], 0 offset:8
	buffer_load_dword v28, off, s[0:3], 0 offset:12
	s_waitcnt vmcnt(0)
	ds_write_b64 v25, v[27:28]
	buffer_store_dword v26, off, s[0:3], 0 offset:8
	buffer_store_dword v26, off, s[0:3], 0 offset:12
.LBB11_83:
	s_or_b64 exec, exec, s[4:5]
	s_waitcnt lgkmcnt(0)
	; wave barrier
	buffer_load_dword v47, off, s[0:3], 0 offset:20
	buffer_load_dword v48, off, s[0:3], 0 offset:28
	;; [unrolled: 1-line block ×22, first 2 shown]
	ds_read_b128 v[27:30], v26 offset:112
	ds_read_b128 v[31:34], v26 offset:128
	;; [unrolled: 1-line block ×5, first 2 shown]
	v_cmp_ne_u32_e32 vcc, 0, v0
	s_waitcnt vmcnt(21) lgkmcnt(4)
	v_mul_f32_e32 v26, v27, v47
	v_mul_f32_e32 v47, v28, v47
	s_waitcnt vmcnt(20)
	v_mul_f32_e32 v69, v29, v48
	v_mul_f32_e32 v48, v30, v48
	s_waitcnt vmcnt(19) lgkmcnt(3)
	v_mul_f32_e32 v70, v31, v49
	v_mul_f32_e32 v49, v32, v49
	s_waitcnt vmcnt(18)
	v_mul_f32_e32 v71, v33, v50
	v_mul_f32_e32 v50, v34, v50
	s_waitcnt vmcnt(17) lgkmcnt(2)
	v_mul_f32_e32 v72, v35, v51
	v_mul_f32_e32 v51, v36, v51
	s_waitcnt vmcnt(11)
	v_fma_f32 v27, v27, v57, -v47
	v_fmac_f32_e32 v26, v28, v57
	s_waitcnt vmcnt(10)
	v_fma_f32 v28, v29, v58, -v48
	v_add_f32_e32 v27, 0, v27
	v_fmac_f32_e32 v69, v30, v58
	s_waitcnt vmcnt(9)
	v_fma_f32 v29, v31, v59, -v49
	v_add_f32_e32 v26, 0, v26
	v_add_f32_e32 v27, v27, v28
	v_fmac_f32_e32 v70, v32, v59
	s_waitcnt vmcnt(8)
	v_fma_f32 v30, v33, v60, -v50
	v_add_f32_e32 v26, v26, v69
	v_add_f32_e32 v27, v27, v29
	v_mul_f32_e32 v73, v37, v52
	v_mul_f32_e32 v52, v38, v52
	v_fmac_f32_e32 v71, v34, v60
	s_waitcnt vmcnt(7)
	v_fma_f32 v31, v35, v61, -v51
	v_add_f32_e32 v26, v26, v70
	v_add_f32_e32 v27, v27, v30
	s_waitcnt lgkmcnt(1)
	v_mul_f32_e32 v74, v39, v53
	v_mul_f32_e32 v53, v40, v53
	v_fmac_f32_e32 v72, v36, v61
	s_waitcnt vmcnt(6)
	v_fma_f32 v32, v37, v62, -v52
	v_add_f32_e32 v26, v26, v71
	v_add_f32_e32 v27, v27, v31
	v_mul_f32_e32 v75, v41, v54
	v_mul_f32_e32 v54, v42, v54
	v_fmac_f32_e32 v73, v38, v62
	s_waitcnt vmcnt(5)
	v_fma_f32 v33, v39, v63, -v53
	v_add_f32_e32 v26, v26, v72
	v_add_f32_e32 v27, v27, v32
	s_waitcnt lgkmcnt(0)
	v_mul_f32_e32 v76, v43, v55
	v_mul_f32_e32 v55, v44, v55
	v_fmac_f32_e32 v74, v40, v63
	s_waitcnt vmcnt(4)
	v_fma_f32 v34, v41, v64, -v54
	v_add_f32_e32 v26, v26, v73
	v_add_f32_e32 v27, v27, v33
	v_mul_f32_e32 v77, v45, v56
	v_mul_f32_e32 v56, v46, v56
	v_fmac_f32_e32 v75, v42, v64
	s_waitcnt vmcnt(3)
	v_fma_f32 v35, v43, v65, -v55
	v_add_f32_e32 v26, v26, v74
	v_add_f32_e32 v27, v27, v34
	v_fmac_f32_e32 v76, v44, v65
	s_waitcnt vmcnt(2)
	v_fma_f32 v36, v45, v66, -v56
	v_add_f32_e32 v26, v26, v75
	v_add_f32_e32 v27, v27, v35
	v_fmac_f32_e32 v77, v46, v66
	v_add_f32_e32 v26, v26, v76
	v_add_f32_e32 v27, v27, v36
	;; [unrolled: 1-line block ×3, first 2 shown]
	s_waitcnt vmcnt(1)
	v_sub_f32_e32 v27, v67, v27
	s_waitcnt vmcnt(0)
	v_sub_f32_e32 v26, v68, v26
	buffer_store_dword v27, off, s[0:3], 0 offset:8
	buffer_store_dword v26, off, s[0:3], 0 offset:12
	s_and_saveexec_b64 s[4:5], vcc
	s_cbranch_execz .LBB11_85
; %bb.84:
	buffer_load_dword v26, off, s[0:3], 0
	buffer_load_dword v27, off, s[0:3], 0 offset:4
	v_mov_b32_e32 v0, 0
	buffer_store_dword v0, off, s[0:3], 0
	buffer_store_dword v0, off, s[0:3], 0 offset:4
	s_waitcnt vmcnt(2)
	ds_write_b64 v25, v[26:27]
.LBB11_85:
	s_or_b64 exec, exec, s[4:5]
	s_waitcnt lgkmcnt(0)
	; wave barrier
	buffer_load_dword v49, off, s[0:3], 0 offset:12
	buffer_load_dword v50, off, s[0:3], 0 offset:20
	;; [unrolled: 1-line block ×22, first 2 shown]
	buffer_load_dword v69, off, s[0:3], 0
	buffer_load_dword v70, off, s[0:3], 0 offset:4
	v_mov_b32_e32 v26, 0
	ds_read2_b64 v[27:30], v26 offset0:13 offset1:14
	ds_read2_b64 v[31:34], v26 offset0:15 offset1:16
	;; [unrolled: 1-line block ×5, first 2 shown]
	ds_read_b64 v[47:48], v26 offset:184
	s_and_b64 vcc, exec, s[22:23]
	s_waitcnt vmcnt(23) lgkmcnt(5)
	v_mul_f32_e32 v71, v27, v49
	v_mul_f32_e32 v49, v28, v49
	s_waitcnt vmcnt(22)
	v_mul_f32_e32 v72, v29, v50
	v_mul_f32_e32 v50, v30, v50
	s_waitcnt vmcnt(21) lgkmcnt(4)
	v_mul_f32_e32 v73, v31, v51
	v_mul_f32_e32 v51, v32, v51
	s_waitcnt vmcnt(20)
	v_mul_f32_e32 v74, v33, v52
	s_waitcnt vmcnt(19) lgkmcnt(3)
	v_mul_f32_e32 v75, v35, v53
	v_mul_f32_e32 v52, v34, v52
	;; [unrolled: 1-line block ×3, first 2 shown]
	s_waitcnt vmcnt(18)
	v_mul_f32_e32 v76, v37, v54
	s_waitcnt vmcnt(12)
	v_fma_f32 v27, v27, v59, -v49
	v_fmac_f32_e32 v71, v28, v59
	s_waitcnt vmcnt(11)
	v_fma_f32 v28, v29, v60, -v50
	v_add_f32_e32 v27, 0, v27
	s_waitcnt vmcnt(10)
	v_fma_f32 v29, v31, v61, -v51
	v_add_f32_e32 v27, v27, v28
	v_fmac_f32_e32 v72, v30, v60
	s_waitcnt vmcnt(8)
	v_fmac_f32_e32 v75, v36, v63
	v_fma_f32 v30, v33, v62, -v52
	v_add_f32_e32 v36, 0, v71
	v_add_f32_e32 v27, v27, v29
	v_mul_f32_e32 v54, v38, v54
	v_fmac_f32_e32 v73, v32, v61
	v_fma_f32 v31, v35, v63, -v53
	v_add_f32_e32 v36, v36, v72
	v_add_f32_e32 v27, v27, v30
	s_waitcnt lgkmcnt(2)
	v_mul_f32_e32 v77, v39, v55
	v_mul_f32_e32 v55, v40, v55
	v_fmac_f32_e32 v74, v34, v62
	s_waitcnt vmcnt(7)
	v_fma_f32 v32, v37, v64, -v54
	v_add_f32_e32 v28, v36, v73
	v_add_f32_e32 v27, v27, v31
	v_mul_f32_e32 v78, v41, v56
	v_mul_f32_e32 v56, v42, v56
	s_waitcnt vmcnt(6)
	v_fma_f32 v33, v39, v65, -v55
	v_add_f32_e32 v28, v28, v74
	v_add_f32_e32 v27, v27, v32
	s_waitcnt lgkmcnt(1)
	v_mul_f32_e32 v79, v43, v57
	v_mul_f32_e32 v57, v44, v57
	v_fmac_f32_e32 v76, v38, v64
	s_waitcnt vmcnt(5)
	v_fma_f32 v34, v41, v66, -v56
	v_add_f32_e32 v28, v28, v75
	v_add_f32_e32 v27, v27, v33
	v_fmac_f32_e32 v77, v40, v65
	s_waitcnt vmcnt(4)
	v_fma_f32 v35, v43, v67, -v57
	v_add_f32_e32 v28, v28, v76
	v_add_f32_e32 v27, v27, v34
	v_mul_f32_e32 v29, v46, v0
	v_fmac_f32_e32 v78, v42, v66
	v_add_f32_e32 v28, v28, v77
	v_add_f32_e32 v27, v27, v35
	s_waitcnt vmcnt(2)
	v_fma_f32 v29, v45, v25, -v29
	v_mul_f32_e32 v80, v45, v0
	v_fmac_f32_e32 v79, v44, v67
	v_add_f32_e32 v28, v28, v78
	v_add_f32_e32 v27, v27, v29
	s_waitcnt lgkmcnt(0)
	v_mul_f32_e32 v29, v48, v58
	v_mul_f32_e32 v81, v47, v58
	v_fmac_f32_e32 v80, v46, v25
	v_add_f32_e32 v28, v28, v79
	v_fma_f32 v29, v47, v68, -v29
	v_fmac_f32_e32 v81, v48, v68
	v_add_f32_e32 v28, v28, v80
	v_add_f32_e32 v27, v27, v29
	;; [unrolled: 1-line block ×3, first 2 shown]
	s_waitcnt vmcnt(1)
	v_sub_f32_e32 v27, v69, v27
	s_waitcnt vmcnt(0)
	v_sub_f32_e32 v28, v70, v28
	buffer_store_dword v27, off, s[0:3], 0
	buffer_store_dword v28, off, s[0:3], 0 offset:4
	s_cbranch_vccz .LBB11_108
; %bb.86:
	global_load_dword v26, v26, s[20:21] offset:40
	s_waitcnt vmcnt(0)
	v_add_u32_e32 v26, -1, v26
	v_cmp_ne_u32_e32 vcc, 10, v26
	s_cbranch_vccz .LBB11_88
; %bb.87:
	v_lshlrev_b32_e32 v26, 3, v26
	buffer_load_dword v27, v26, s[0:3], 0 offen offset:4
	buffer_load_dword v28, v26, s[0:3], 0 offen
	s_waitcnt vmcnt(1)
	buffer_store_dword v27, off, s[0:3], 0 offset:84
	s_waitcnt vmcnt(1)
	buffer_store_dword v28, off, s[0:3], 0 offset:80
	buffer_store_dword v0, v26, s[0:3], 0 offen offset:4
	buffer_store_dword v25, v26, s[0:3], 0 offen
.LBB11_88:
	v_mov_b32_e32 v0, 0
	global_load_dword v25, v0, s[20:21] offset:36
	s_waitcnt vmcnt(0)
	v_add_u32_e32 v25, -1, v25
	v_cmp_eq_u32_e32 vcc, 9, v25
	s_cbranch_vccnz .LBB11_90
; %bb.89:
	v_lshlrev_b32_e32 v25, 3, v25
	buffer_load_dword v26, v25, s[0:3], 0 offen
	buffer_load_dword v27, v25, s[0:3], 0 offen offset:4
	buffer_load_dword v28, off, s[0:3], 0 offset:72
	buffer_load_dword v29, off, s[0:3], 0 offset:76
	s_waitcnt vmcnt(3)
	buffer_store_dword v26, off, s[0:3], 0 offset:72
	s_waitcnt vmcnt(3)
	buffer_store_dword v27, off, s[0:3], 0 offset:76
	s_waitcnt vmcnt(3)
	buffer_store_dword v28, v25, s[0:3], 0 offen
	s_waitcnt vmcnt(3)
	buffer_store_dword v29, v25, s[0:3], 0 offen offset:4
.LBB11_90:
	global_load_dword v0, v0, s[20:21] offset:32
	s_waitcnt vmcnt(0)
	v_add_u32_e32 v0, -1, v0
	v_cmp_eq_u32_e32 vcc, 8, v0
	s_cbranch_vccnz .LBB11_92
; %bb.91:
	v_lshlrev_b32_e32 v0, 3, v0
	buffer_load_dword v25, v0, s[0:3], 0 offen
	buffer_load_dword v26, v0, s[0:3], 0 offen offset:4
	buffer_load_dword v27, off, s[0:3], 0 offset:68
	buffer_load_dword v28, off, s[0:3], 0 offset:64
	s_waitcnt vmcnt(3)
	buffer_store_dword v25, off, s[0:3], 0 offset:64
	s_waitcnt vmcnt(3)
	buffer_store_dword v26, off, s[0:3], 0 offset:68
	s_waitcnt vmcnt(3)
	buffer_store_dword v27, v0, s[0:3], 0 offen offset:4
	s_waitcnt vmcnt(3)
	buffer_store_dword v28, v0, s[0:3], 0 offen
.LBB11_92:
	v_mov_b32_e32 v0, 0
	global_load_dword v25, v0, s[20:21] offset:28
	s_waitcnt vmcnt(0)
	v_add_u32_e32 v25, -1, v25
	v_cmp_eq_u32_e32 vcc, 7, v25
	s_cbranch_vccnz .LBB11_94
; %bb.93:
	v_lshlrev_b32_e32 v25, 3, v25
	buffer_load_dword v26, v25, s[0:3], 0 offen
	buffer_load_dword v27, v25, s[0:3], 0 offen offset:4
	buffer_load_dword v28, off, s[0:3], 0 offset:56
	buffer_load_dword v29, off, s[0:3], 0 offset:60
	s_waitcnt vmcnt(3)
	buffer_store_dword v26, off, s[0:3], 0 offset:56
	s_waitcnt vmcnt(3)
	buffer_store_dword v27, off, s[0:3], 0 offset:60
	s_waitcnt vmcnt(3)
	buffer_store_dword v28, v25, s[0:3], 0 offen
	s_waitcnt vmcnt(3)
	buffer_store_dword v29, v25, s[0:3], 0 offen offset:4
.LBB11_94:
	global_load_dword v0, v0, s[20:21] offset:24
	s_waitcnt vmcnt(0)
	v_add_u32_e32 v0, -1, v0
	v_cmp_eq_u32_e32 vcc, 6, v0
	s_cbranch_vccnz .LBB11_96
; %bb.95:
	v_lshlrev_b32_e32 v0, 3, v0
	buffer_load_dword v25, v0, s[0:3], 0 offen
	buffer_load_dword v26, v0, s[0:3], 0 offen offset:4
	buffer_load_dword v27, off, s[0:3], 0 offset:52
	buffer_load_dword v28, off, s[0:3], 0 offset:48
	s_waitcnt vmcnt(3)
	buffer_store_dword v25, off, s[0:3], 0 offset:48
	s_waitcnt vmcnt(3)
	buffer_store_dword v26, off, s[0:3], 0 offset:52
	s_waitcnt vmcnt(3)
	buffer_store_dword v27, v0, s[0:3], 0 offen offset:4
	s_waitcnt vmcnt(3)
	buffer_store_dword v28, v0, s[0:3], 0 offen
.LBB11_96:
	;; [unrolled: 41-line block ×4, first 2 shown]
	v_mov_b32_e32 v0, 0
	global_load_dword v25, v0, s[20:21] offset:4
	s_waitcnt vmcnt(0)
	v_add_u32_e32 v25, -1, v25
	v_cmp_eq_u32_e32 vcc, 1, v25
	s_cbranch_vccnz .LBB11_106
; %bb.105:
	v_lshlrev_b32_e32 v25, 3, v25
	buffer_load_dword v26, v25, s[0:3], 0 offen
	buffer_load_dword v27, v25, s[0:3], 0 offen offset:4
	buffer_load_dword v28, off, s[0:3], 0 offset:8
	buffer_load_dword v29, off, s[0:3], 0 offset:12
	s_waitcnt vmcnt(3)
	buffer_store_dword v26, off, s[0:3], 0 offset:8
	s_waitcnt vmcnt(3)
	buffer_store_dword v27, off, s[0:3], 0 offset:12
	s_waitcnt vmcnt(3)
	buffer_store_dword v28, v25, s[0:3], 0 offen
	s_waitcnt vmcnt(3)
	buffer_store_dword v29, v25, s[0:3], 0 offen offset:4
.LBB11_106:
	global_load_dword v0, v0, s[20:21]
	s_waitcnt vmcnt(0)
	v_add_u32_e32 v0, -1, v0
	v_cmp_eq_u32_e32 vcc, 0, v0
	s_cbranch_vccnz .LBB11_108
; %bb.107:
	v_lshlrev_b32_e32 v0, 3, v0
	buffer_load_dword v25, v0, s[0:3], 0 offen
	buffer_load_dword v26, v0, s[0:3], 0 offen offset:4
	buffer_load_dword v27, off, s[0:3], 0 offset:4
	buffer_load_dword v28, off, s[0:3], 0
	s_waitcnt vmcnt(3)
	buffer_store_dword v25, off, s[0:3], 0
	s_waitcnt vmcnt(3)
	buffer_store_dword v26, off, s[0:3], 0 offset:4
	s_waitcnt vmcnt(3)
	buffer_store_dword v27, v0, s[0:3], 0 offen offset:4
	s_waitcnt vmcnt(3)
	buffer_store_dword v28, v0, s[0:3], 0 offen
.LBB11_108:
	buffer_load_dword v25, off, s[0:3], 0
	buffer_load_dword v26, off, s[0:3], 0 offset:4
	buffer_load_dword v27, off, s[0:3], 0 offset:8
	s_nop 0
	buffer_load_dword v28, off, s[0:3], 0 offset:12
	buffer_load_dword v29, off, s[0:3], 0 offset:16
	;; [unrolled: 1-line block ×21, first 2 shown]
	s_waitcnt vmcnt(22)
	global_store_dwordx2 v[17:18], v[25:26], off
	s_waitcnt vmcnt(21)
	global_store_dwordx2 v[21:22], v[27:28], off
	;; [unrolled: 2-line block ×9, first 2 shown]
	global_store_dwordx2 v[15:16], v[43:44], off
	global_store_dwordx2 v[19:20], v[45:46], off
	;; [unrolled: 1-line block ×3, first 2 shown]
	s_endpgm
	.section	.rodata,"a",@progbits
	.p2align	6, 0x0
	.amdhsa_kernel _ZN9rocsolver6v33100L18getri_kernel_smallILi12E19rocblas_complex_numIfEPS3_EEvT1_iilPiilS6_bb
		.amdhsa_group_segment_fixed_size 196
		.amdhsa_private_segment_fixed_size 112
		.amdhsa_kernarg_size 60
		.amdhsa_user_sgpr_count 6
		.amdhsa_user_sgpr_private_segment_buffer 1
		.amdhsa_user_sgpr_dispatch_ptr 0
		.amdhsa_user_sgpr_queue_ptr 0
		.amdhsa_user_sgpr_kernarg_segment_ptr 1
		.amdhsa_user_sgpr_dispatch_id 0
		.amdhsa_user_sgpr_flat_scratch_init 0
		.amdhsa_user_sgpr_private_segment_size 0
		.amdhsa_uses_dynamic_stack 0
		.amdhsa_system_sgpr_private_segment_wavefront_offset 1
		.amdhsa_system_sgpr_workgroup_id_x 1
		.amdhsa_system_sgpr_workgroup_id_y 0
		.amdhsa_system_sgpr_workgroup_id_z 0
		.amdhsa_system_sgpr_workgroup_info 0
		.amdhsa_system_vgpr_workitem_id 0
		.amdhsa_next_free_vgpr 82
		.amdhsa_next_free_sgpr 24
		.amdhsa_reserve_vcc 1
		.amdhsa_reserve_flat_scratch 0
		.amdhsa_float_round_mode_32 0
		.amdhsa_float_round_mode_16_64 0
		.amdhsa_float_denorm_mode_32 3
		.amdhsa_float_denorm_mode_16_64 3
		.amdhsa_dx10_clamp 1
		.amdhsa_ieee_mode 1
		.amdhsa_fp16_overflow 0
		.amdhsa_exception_fp_ieee_invalid_op 0
		.amdhsa_exception_fp_denorm_src 0
		.amdhsa_exception_fp_ieee_div_zero 0
		.amdhsa_exception_fp_ieee_overflow 0
		.amdhsa_exception_fp_ieee_underflow 0
		.amdhsa_exception_fp_ieee_inexact 0
		.amdhsa_exception_int_div_zero 0
	.end_amdhsa_kernel
	.section	.text._ZN9rocsolver6v33100L18getri_kernel_smallILi12E19rocblas_complex_numIfEPS3_EEvT1_iilPiilS6_bb,"axG",@progbits,_ZN9rocsolver6v33100L18getri_kernel_smallILi12E19rocblas_complex_numIfEPS3_EEvT1_iilPiilS6_bb,comdat
.Lfunc_end11:
	.size	_ZN9rocsolver6v33100L18getri_kernel_smallILi12E19rocblas_complex_numIfEPS3_EEvT1_iilPiilS6_bb, .Lfunc_end11-_ZN9rocsolver6v33100L18getri_kernel_smallILi12E19rocblas_complex_numIfEPS3_EEvT1_iilPiilS6_bb
                                        ; -- End function
	.set _ZN9rocsolver6v33100L18getri_kernel_smallILi12E19rocblas_complex_numIfEPS3_EEvT1_iilPiilS6_bb.num_vgpr, 82
	.set _ZN9rocsolver6v33100L18getri_kernel_smallILi12E19rocblas_complex_numIfEPS3_EEvT1_iilPiilS6_bb.num_agpr, 0
	.set _ZN9rocsolver6v33100L18getri_kernel_smallILi12E19rocblas_complex_numIfEPS3_EEvT1_iilPiilS6_bb.numbered_sgpr, 24
	.set _ZN9rocsolver6v33100L18getri_kernel_smallILi12E19rocblas_complex_numIfEPS3_EEvT1_iilPiilS6_bb.num_named_barrier, 0
	.set _ZN9rocsolver6v33100L18getri_kernel_smallILi12E19rocblas_complex_numIfEPS3_EEvT1_iilPiilS6_bb.private_seg_size, 112
	.set _ZN9rocsolver6v33100L18getri_kernel_smallILi12E19rocblas_complex_numIfEPS3_EEvT1_iilPiilS6_bb.uses_vcc, 1
	.set _ZN9rocsolver6v33100L18getri_kernel_smallILi12E19rocblas_complex_numIfEPS3_EEvT1_iilPiilS6_bb.uses_flat_scratch, 0
	.set _ZN9rocsolver6v33100L18getri_kernel_smallILi12E19rocblas_complex_numIfEPS3_EEvT1_iilPiilS6_bb.has_dyn_sized_stack, 0
	.set _ZN9rocsolver6v33100L18getri_kernel_smallILi12E19rocblas_complex_numIfEPS3_EEvT1_iilPiilS6_bb.has_recursion, 0
	.set _ZN9rocsolver6v33100L18getri_kernel_smallILi12E19rocblas_complex_numIfEPS3_EEvT1_iilPiilS6_bb.has_indirect_call, 0
	.section	.AMDGPU.csdata,"",@progbits
; Kernel info:
; codeLenInByte = 10384
; TotalNumSgprs: 28
; NumVgprs: 82
; ScratchSize: 112
; MemoryBound: 0
; FloatMode: 240
; IeeeMode: 1
; LDSByteSize: 196 bytes/workgroup (compile time only)
; SGPRBlocks: 3
; VGPRBlocks: 20
; NumSGPRsForWavesPerEU: 28
; NumVGPRsForWavesPerEU: 82
; Occupancy: 3
; WaveLimiterHint : 1
; COMPUTE_PGM_RSRC2:SCRATCH_EN: 1
; COMPUTE_PGM_RSRC2:USER_SGPR: 6
; COMPUTE_PGM_RSRC2:TRAP_HANDLER: 0
; COMPUTE_PGM_RSRC2:TGID_X_EN: 1
; COMPUTE_PGM_RSRC2:TGID_Y_EN: 0
; COMPUTE_PGM_RSRC2:TGID_Z_EN: 0
; COMPUTE_PGM_RSRC2:TIDIG_COMP_CNT: 0
	.section	.text._ZN9rocsolver6v33100L18getri_kernel_smallILi13E19rocblas_complex_numIfEPS3_EEvT1_iilPiilS6_bb,"axG",@progbits,_ZN9rocsolver6v33100L18getri_kernel_smallILi13E19rocblas_complex_numIfEPS3_EEvT1_iilPiilS6_bb,comdat
	.globl	_ZN9rocsolver6v33100L18getri_kernel_smallILi13E19rocblas_complex_numIfEPS3_EEvT1_iilPiilS6_bb ; -- Begin function _ZN9rocsolver6v33100L18getri_kernel_smallILi13E19rocblas_complex_numIfEPS3_EEvT1_iilPiilS6_bb
	.p2align	8
	.type	_ZN9rocsolver6v33100L18getri_kernel_smallILi13E19rocblas_complex_numIfEPS3_EEvT1_iilPiilS6_bb,@function
_ZN9rocsolver6v33100L18getri_kernel_smallILi13E19rocblas_complex_numIfEPS3_EEvT1_iilPiilS6_bb: ; @_ZN9rocsolver6v33100L18getri_kernel_smallILi13E19rocblas_complex_numIfEPS3_EEvT1_iilPiilS6_bb
; %bb.0:
	s_add_u32 s0, s0, s7
	s_addc_u32 s1, s1, 0
	v_cmp_gt_u32_e32 vcc, 13, v0
	s_and_saveexec_b64 s[8:9], vcc
	s_cbranch_execz .LBB12_66
; %bb.1:
	s_load_dword s12, s[4:5], 0x38
	s_load_dwordx4 s[16:19], s[4:5], 0x10
	s_load_dwordx4 s[8:11], s[4:5], 0x28
                                        ; implicit-def: $sgpr20_sgpr21
	s_waitcnt lgkmcnt(0)
	s_bitcmp1_b32 s12, 8
	s_cselect_b64 s[22:23], -1, 0
	s_ashr_i32 s7, s6, 31
	s_bfe_u32 s12, s12, 0x10008
	s_cmp_eq_u32 s12, 0
	s_cbranch_scc1 .LBB12_3
; %bb.2:
	s_load_dword s12, s[4:5], 0x20
	s_mul_i32 s13, s8, s7
	s_mul_hi_u32 s14, s8, s6
	s_mul_i32 s9, s9, s6
	s_add_i32 s14, s14, s13
	s_add_i32 s9, s14, s9
	s_mul_i32 s8, s8, s6
	s_waitcnt lgkmcnt(0)
	s_ashr_i32 s13, s12, 31
	s_lshl_b64 s[8:9], s[8:9], 2
	s_add_u32 s14, s18, s8
	s_addc_u32 s15, s19, s9
	s_lshl_b64 s[8:9], s[12:13], 2
	s_add_u32 s20, s14, s8
	s_addc_u32 s21, s15, s9
.LBB12_3:
	s_load_dwordx4 s[12:15], s[4:5], 0x0
	s_load_dword s8, s[4:5], 0x38
	s_mul_i32 s9, s16, s7
	s_mul_hi_u32 s18, s16, s6
	s_add_i32 s9, s18, s9
	s_waitcnt lgkmcnt(0)
	s_ashr_i32 s5, s14, 31
	s_mov_b32 s4, s14
	s_mul_i32 s14, s17, s6
	s_add_i32 s17, s9, s14
	s_mul_i32 s16, s16, s6
	s_lshl_b64 s[16:17], s[16:17], 3
	s_add_u32 s9, s12, s16
	s_addc_u32 s12, s13, s17
	s_lshl_b64 s[4:5], s[4:5], 3
	s_add_u32 s4, s9, s4
	s_addc_u32 s5, s12, s5
	s_add_i32 s9, s15, s15
	v_add_u32_e32 v3, s9, v0
	v_ashrrev_i32_e32 v4, 31, v3
	v_lshlrev_b64 v[1:2], 3, v[3:4]
	v_add_u32_e32 v5, s15, v3
	v_mov_b32_e32 v4, s5
	v_add_co_u32_e32 v1, vcc, s4, v1
	v_ashrrev_i32_e32 v6, 31, v5
	v_addc_co_u32_e32 v2, vcc, v4, v2, vcc
	v_lshlrev_b64 v[3:4], 3, v[5:6]
	v_add_u32_e32 v7, s15, v5
	v_mov_b32_e32 v6, s5
	v_add_co_u32_e32 v3, vcc, s4, v3
	v_ashrrev_i32_e32 v8, 31, v7
	v_addc_co_u32_e32 v4, vcc, v6, v4, vcc
	;; [unrolled: 6-line block ×8, first 2 shown]
	v_lshlrev_b64 v[17:18], 3, v[19:20]
	v_mov_b32_e32 v21, s5
	v_add_co_u32_e32 v17, vcc, s4, v17
	v_addc_co_u32_e32 v18, vcc, v21, v18, vcc
	v_lshlrev_b32_e32 v29, 3, v0
	v_add_u32_e32 v25, s15, v19
	v_mov_b32_e32 v20, s5
	v_add_co_u32_e32 v19, vcc, s4, v29
	s_ashr_i32 s13, s15, 31
	s_mov_b32 s12, s15
	v_ashrrev_i32_e32 v26, 31, v25
	v_addc_co_u32_e32 v20, vcc, 0, v20, vcc
	s_lshl_b64 s[12:13], s[12:13], 3
	v_lshlrev_b64 v[21:22], 3, v[25:26]
	v_mov_b32_e32 v24, s13
	v_add_co_u32_e32 v23, vcc, s12, v19
	v_addc_co_u32_e32 v24, vcc, v20, v24, vcc
	v_mov_b32_e32 v36, s5
	v_add_co_u32_e32 v21, vcc, s4, v21
	global_load_dwordx2 v[27:28], v29, s[4:5]
	global_load_dwordx2 v[30:31], v[23:24], off
	global_load_dwordx2 v[32:33], v[1:2], off
	;; [unrolled: 1-line block ×3, first 2 shown]
	v_addc_co_u32_e32 v22, vcc, v36, v22, vcc
	global_load_dwordx2 v[36:37], v[5:6], off
	global_load_dwordx2 v[38:39], v[7:8], off
	global_load_dwordx2 v[40:41], v[9:10], off
	global_load_dwordx2 v[42:43], v[11:12], off
	global_load_dwordx2 v[44:45], v[13:14], off
	global_load_dwordx2 v[46:47], v[15:16], off
	global_load_dwordx2 v[48:49], v[17:18], off
	global_load_dwordx2 v[50:51], v[21:22], off
	v_add_u32_e32 v25, s15, v25
	v_ashrrev_i32_e32 v26, 31, v25
	v_lshlrev_b64 v[25:26], 3, v[25:26]
	v_mov_b32_e32 v52, s5
	v_add_co_u32_e32 v25, vcc, s4, v25
	v_addc_co_u32_e32 v26, vcc, v52, v26, vcc
	global_load_dwordx2 v[52:53], v[25:26], off
	s_bitcmp0_b32 s8, 0
	s_mov_b64 s[8:9], -1
	s_waitcnt vmcnt(12)
	buffer_store_dword v28, off, s[0:3], 0 offset:4
	buffer_store_dword v27, off, s[0:3], 0
	s_waitcnt vmcnt(13)
	buffer_store_dword v31, off, s[0:3], 0 offset:12
	buffer_store_dword v30, off, s[0:3], 0 offset:8
	s_waitcnt vmcnt(14)
	buffer_store_dword v33, off, s[0:3], 0 offset:20
	buffer_store_dword v32, off, s[0:3], 0 offset:16
	;; [unrolled: 3-line block ×12, first 2 shown]
	s_cbranch_scc1 .LBB12_64
; %bb.4:
	v_cmp_eq_u32_e64 s[4:5], 0, v0
	s_and_saveexec_b64 s[8:9], s[4:5]
; %bb.5:
	v_mov_b32_e32 v27, 0
	ds_write_b32 v27, v27 offset:104
; %bb.6:
	s_or_b64 exec, exec, s[8:9]
	v_mov_b32_e32 v27, 0
	v_lshl_add_u32 v31, v0, 3, v27
	s_waitcnt lgkmcnt(0)
	; wave barrier
	buffer_load_dword v27, v31, s[0:3], 0 offen
	buffer_load_dword v28, v31, s[0:3], 0 offen offset:4
	s_waitcnt vmcnt(1)
	v_cmp_eq_f32_e32 vcc, 0, v27
	s_waitcnt vmcnt(0)
	v_cmp_eq_f32_e64 s[8:9], 0, v28
	s_and_b64 s[8:9], vcc, s[8:9]
	s_and_saveexec_b64 s[12:13], s[8:9]
	s_cbranch_execz .LBB12_10
; %bb.7:
	v_mov_b32_e32 v27, 0
	ds_read_b32 v30, v27 offset:104
	v_add_u32_e32 v28, 1, v0
	s_waitcnt lgkmcnt(0)
	v_readfirstlane_b32 s8, v30
	s_cmp_eq_u32 s8, 0
	s_cselect_b64 s[14:15], -1, 0
	v_cmp_gt_i32_e32 vcc, s8, v28
	s_or_b64 s[14:15], s[14:15], vcc
	s_and_b64 exec, exec, s[14:15]
	s_cbranch_execz .LBB12_10
; %bb.8:
	s_mov_b64 s[14:15], 0
	v_mov_b32_e32 v30, s8
.LBB12_9:                               ; =>This Inner Loop Header: Depth=1
	ds_cmpst_rtn_b32 v30, v27, v30, v28 offset:104
	s_waitcnt lgkmcnt(0)
	v_cmp_ne_u32_e32 vcc, 0, v30
	v_cmp_le_i32_e64 s[8:9], v30, v28
	s_and_b64 s[8:9], vcc, s[8:9]
	s_and_b64 s[8:9], exec, s[8:9]
	s_or_b64 s[14:15], s[8:9], s[14:15]
	s_andn2_b64 exec, exec, s[14:15]
	s_cbranch_execnz .LBB12_9
.LBB12_10:
	s_or_b64 exec, exec, s[12:13]
	v_mov_b32_e32 v28, 0
	; wave barrier
	ds_read_b32 v27, v28 offset:104
	s_and_saveexec_b64 s[8:9], s[4:5]
	s_cbranch_execz .LBB12_12
; %bb.11:
	s_lshl_b64 s[12:13], s[6:7], 2
	s_add_u32 s12, s10, s12
	s_addc_u32 s13, s11, s13
	s_waitcnt lgkmcnt(0)
	global_store_dword v28, v27, s[12:13]
.LBB12_12:
	s_or_b64 exec, exec, s[8:9]
	s_waitcnt lgkmcnt(0)
	v_cmp_ne_u32_e32 vcc, 0, v27
	s_mov_b64 s[8:9], 0
	s_cbranch_vccnz .LBB12_64
; %bb.13:
	buffer_load_dword v28, v31, s[0:3], 0 offen
	buffer_load_dword v30, v31, s[0:3], 0 offen offset:4
                                        ; implicit-def: $vgpr33
                                        ; implicit-def: $vgpr32
                                        ; implicit-def: $vgpr27
	s_waitcnt vmcnt(0)
	v_cmp_ngt_f32_e64 s[8:9], |v28|, |v30|
	s_and_saveexec_b64 s[12:13], s[8:9]
	s_xor_b64 s[8:9], exec, s[12:13]
	s_cbranch_execz .LBB12_15
; %bb.14:
	v_div_scale_f32 v27, s[12:13], v30, v30, v28
	v_div_scale_f32 v32, vcc, v28, v30, v28
	v_rcp_f32_e32 v33, v27
	v_fma_f32 v34, -v27, v33, 1.0
	v_fmac_f32_e32 v33, v34, v33
	v_mul_f32_e32 v34, v32, v33
	v_fma_f32 v35, -v27, v34, v32
	v_fmac_f32_e32 v34, v35, v33
	v_fma_f32 v27, -v27, v34, v32
	v_div_fmas_f32 v27, v27, v33, v34
	v_div_fixup_f32 v27, v27, v30, v28
	v_fmac_f32_e32 v30, v28, v27
	v_div_scale_f32 v28, s[12:13], v30, v30, 1.0
	v_div_scale_f32 v32, vcc, 1.0, v30, 1.0
	v_rcp_f32_e32 v33, v28
	v_fma_f32 v34, -v28, v33, 1.0
	v_fmac_f32_e32 v33, v34, v33
	v_mul_f32_e32 v34, v32, v33
	v_fma_f32 v35, -v28, v34, v32
	v_fmac_f32_e32 v34, v35, v33
	v_fma_f32 v28, -v28, v34, v32
	v_div_fmas_f32 v28, v28, v33, v34
	v_div_fixup_f32 v28, v28, v30, 1.0
	v_mul_f32_e32 v33, v27, v28
	v_xor_b32_e32 v32, 0x80000000, v28
	v_xor_b32_e32 v27, 0x80000000, v33
                                        ; implicit-def: $vgpr28
                                        ; implicit-def: $vgpr30
.LBB12_15:
	s_andn2_saveexec_b64 s[8:9], s[8:9]
	s_cbranch_execz .LBB12_17
; %bb.16:
	v_div_scale_f32 v27, s[12:13], v28, v28, v30
	v_div_scale_f32 v32, vcc, v30, v28, v30
	v_rcp_f32_e32 v33, v27
	v_fma_f32 v34, -v27, v33, 1.0
	v_fmac_f32_e32 v33, v34, v33
	v_mul_f32_e32 v34, v32, v33
	v_fma_f32 v35, -v27, v34, v32
	v_fmac_f32_e32 v34, v35, v33
	v_fma_f32 v27, -v27, v34, v32
	v_div_fmas_f32 v27, v27, v33, v34
	v_div_fixup_f32 v32, v27, v28, v30
	v_fmac_f32_e32 v28, v30, v32
	v_div_scale_f32 v27, s[12:13], v28, v28, 1.0
	v_div_scale_f32 v30, vcc, 1.0, v28, 1.0
	v_rcp_f32_e32 v33, v27
	v_fma_f32 v34, -v27, v33, 1.0
	v_fmac_f32_e32 v33, v34, v33
	v_mul_f32_e32 v34, v30, v33
	v_fma_f32 v35, -v27, v34, v30
	v_fmac_f32_e32 v34, v35, v33
	v_fma_f32 v27, -v27, v34, v30
	v_div_fmas_f32 v27, v27, v33, v34
	v_div_fixup_f32 v33, v27, v28, 1.0
	v_xor_b32_e32 v27, 0x80000000, v33
	v_mul_f32_e64 v32, v32, -v33
.LBB12_17:
	s_or_b64 exec, exec, s[8:9]
	buffer_store_dword v33, v31, s[0:3], 0 offen
	buffer_store_dword v32, v31, s[0:3], 0 offen offset:4
	buffer_load_dword v34, off, s[0:3], 0 offset:12
	s_nop 0
	buffer_load_dword v33, off, s[0:3], 0 offset:8
	v_xor_b32_e32 v28, 0x80000000, v32
	v_add_u32_e32 v30, 0x70, v29
	s_waitcnt vmcnt(0)
	ds_write2_b64 v29, v[27:28], v[33:34] offset1:14
	s_waitcnt lgkmcnt(0)
	; wave barrier
	s_and_saveexec_b64 s[8:9], s[4:5]
	s_cbranch_execz .LBB12_19
; %bb.18:
	buffer_load_dword v34, v31, s[0:3], 0 offen offset:4
	buffer_load_dword v35, v31, s[0:3], 0 offen
	ds_read_b64 v[27:28], v30
	v_mov_b32_e32 v32, 0
	ds_read_b64 v[32:33], v32 offset:8
	s_waitcnt vmcnt(1) lgkmcnt(1)
	v_mul_f32_e32 v36, v28, v34
	v_mul_f32_e32 v34, v27, v34
	s_waitcnt vmcnt(0)
	v_fmac_f32_e32 v34, v28, v35
	v_fma_f32 v27, v27, v35, -v36
	v_add_f32_e32 v28, 0, v34
	v_add_f32_e32 v27, 0, v27
	s_waitcnt lgkmcnt(0)
	v_mul_f32_e32 v34, v28, v33
	v_mul_f32_e32 v33, v27, v33
	v_fma_f32 v27, v27, v32, -v34
	v_fmac_f32_e32 v33, v28, v32
	buffer_store_dword v27, off, s[0:3], 0 offset:8
	buffer_store_dword v33, off, s[0:3], 0 offset:12
.LBB12_19:
	s_or_b64 exec, exec, s[8:9]
	; wave barrier
	buffer_load_dword v27, off, s[0:3], 0 offset:16
	buffer_load_dword v28, off, s[0:3], 0 offset:20
	v_cmp_gt_u32_e32 vcc, 2, v0
	s_waitcnt vmcnt(0)
	ds_write_b64 v30, v[27:28]
	s_waitcnt lgkmcnt(0)
	; wave barrier
	s_and_saveexec_b64 s[8:9], vcc
	s_cbranch_execz .LBB12_23
; %bb.20:
	buffer_load_dword v32, v31, s[0:3], 0 offen offset:4
	buffer_load_dword v33, v31, s[0:3], 0 offen
	ds_read_b64 v[27:28], v30
	s_waitcnt vmcnt(1) lgkmcnt(0)
	v_mul_f32_e32 v31, v28, v32
	v_mul_f32_e32 v32, v27, v32
	s_waitcnt vmcnt(0)
	v_fma_f32 v27, v27, v33, -v31
	v_fmac_f32_e32 v32, v28, v33
	v_add_f32_e32 v28, 0, v27
	v_add_f32_e32 v27, 0, v32
	s_and_saveexec_b64 s[12:13], s[4:5]
	s_cbranch_execz .LBB12_22
; %bb.21:
	buffer_load_dword v33, off, s[0:3], 0 offset:12
	buffer_load_dword v34, off, s[0:3], 0 offset:8
	v_mov_b32_e32 v31, 0
	ds_read_b64 v[31:32], v31 offset:120
	s_waitcnt vmcnt(1) lgkmcnt(0)
	v_mul_f32_e32 v35, v31, v33
	v_mul_f32_e32 v33, v32, v33
	s_waitcnt vmcnt(0)
	v_fmac_f32_e32 v35, v32, v34
	v_fma_f32 v31, v31, v34, -v33
	v_add_f32_e32 v27, v27, v35
	v_add_f32_e32 v28, v28, v31
.LBB12_22:
	s_or_b64 exec, exec, s[12:13]
	v_mov_b32_e32 v31, 0
	ds_read_b64 v[31:32], v31 offset:16
	s_waitcnt lgkmcnt(0)
	v_mul_f32_e32 v33, v27, v32
	v_mul_f32_e32 v32, v28, v32
	v_fma_f32 v28, v28, v31, -v33
	v_fmac_f32_e32 v32, v27, v31
	buffer_store_dword v28, off, s[0:3], 0 offset:16
	buffer_store_dword v32, off, s[0:3], 0 offset:20
.LBB12_23:
	s_or_b64 exec, exec, s[8:9]
	; wave barrier
	buffer_load_dword v27, off, s[0:3], 0 offset:24
	buffer_load_dword v28, off, s[0:3], 0 offset:28
	v_cmp_gt_u32_e32 vcc, 3, v0
	s_waitcnt vmcnt(0)
	ds_write_b64 v30, v[27:28]
	v_add_u32_e32 v27, -1, v0
	s_waitcnt lgkmcnt(0)
	; wave barrier
	s_and_saveexec_b64 s[4:5], vcc
	s_cbranch_execz .LBB12_27
; %bb.24:
	v_add_u32_e32 v31, -1, v0
	v_add_u32_e32 v32, 0x70, v29
	v_mov_b32_e32 v33, v29
	v_mov_b32_e32 v28, 0
	s_mov_b64 s[8:9], 0
	v_mov_b32_e32 v34, 0
.LBB12_25:                              ; =>This Inner Loop Header: Depth=1
	buffer_load_dword v37, v33, s[0:3], 0 offen offset:4
	buffer_load_dword v38, v33, s[0:3], 0 offen
	ds_read_b64 v[35:36], v32
	v_add_u32_e32 v31, 1, v31
	v_cmp_lt_u32_e32 vcc, 1, v31
	v_add_u32_e32 v32, 8, v32
	v_add_u32_e32 v33, 8, v33
	s_or_b64 s[8:9], vcc, s[8:9]
	s_waitcnt vmcnt(1) lgkmcnt(0)
	v_mul_f32_e32 v39, v36, v37
	v_mul_f32_e32 v37, v35, v37
	s_waitcnt vmcnt(0)
	v_fma_f32 v35, v35, v38, -v39
	v_fmac_f32_e32 v37, v36, v38
	v_add_f32_e32 v34, v34, v35
	v_add_f32_e32 v28, v28, v37
	s_andn2_b64 exec, exec, s[8:9]
	s_cbranch_execnz .LBB12_25
; %bb.26:
	s_or_b64 exec, exec, s[8:9]
	v_mov_b32_e32 v31, 0
	ds_read_b64 v[31:32], v31 offset:24
	s_waitcnt lgkmcnt(0)
	v_mul_f32_e32 v33, v28, v32
	v_mul_f32_e32 v32, v34, v32
	v_fma_f32 v33, v34, v31, -v33
	v_fmac_f32_e32 v32, v28, v31
	buffer_store_dword v33, off, s[0:3], 0 offset:24
	buffer_store_dword v32, off, s[0:3], 0 offset:28
.LBB12_27:
	s_or_b64 exec, exec, s[4:5]
	; wave barrier
	buffer_load_dword v31, off, s[0:3], 0 offset:32
	buffer_load_dword v32, off, s[0:3], 0 offset:36
	v_cmp_gt_u32_e32 vcc, 4, v0
	s_waitcnt vmcnt(0)
	ds_write_b64 v30, v[31:32]
	s_waitcnt lgkmcnt(0)
	; wave barrier
	s_and_saveexec_b64 s[4:5], vcc
	s_cbranch_execz .LBB12_31
; %bb.28:
	v_add_u32_e32 v31, -1, v0
	v_add_u32_e32 v32, 0x70, v29
	v_mov_b32_e32 v33, v29
	v_mov_b32_e32 v28, 0
	s_mov_b64 s[8:9], 0
	v_mov_b32_e32 v34, 0
.LBB12_29:                              ; =>This Inner Loop Header: Depth=1
	buffer_load_dword v37, v33, s[0:3], 0 offen offset:4
	buffer_load_dword v38, v33, s[0:3], 0 offen
	ds_read_b64 v[35:36], v32
	v_add_u32_e32 v31, 1, v31
	v_cmp_lt_u32_e32 vcc, 2, v31
	v_add_u32_e32 v32, 8, v32
	v_add_u32_e32 v33, 8, v33
	s_or_b64 s[8:9], vcc, s[8:9]
	s_waitcnt vmcnt(1) lgkmcnt(0)
	v_mul_f32_e32 v39, v36, v37
	v_mul_f32_e32 v37, v35, v37
	s_waitcnt vmcnt(0)
	v_fma_f32 v35, v35, v38, -v39
	v_fmac_f32_e32 v37, v36, v38
	v_add_f32_e32 v34, v34, v35
	v_add_f32_e32 v28, v28, v37
	s_andn2_b64 exec, exec, s[8:9]
	s_cbranch_execnz .LBB12_29
; %bb.30:
	s_or_b64 exec, exec, s[8:9]
	v_mov_b32_e32 v31, 0
	ds_read_b64 v[31:32], v31 offset:32
	s_waitcnt lgkmcnt(0)
	v_mul_f32_e32 v33, v28, v32
	v_mul_f32_e32 v32, v34, v32
	v_fma_f32 v33, v34, v31, -v33
	v_fmac_f32_e32 v32, v28, v31
	buffer_store_dword v33, off, s[0:3], 0 offset:32
	buffer_store_dword v32, off, s[0:3], 0 offset:36
.LBB12_31:
	s_or_b64 exec, exec, s[4:5]
	; wave barrier
	buffer_load_dword v31, off, s[0:3], 0 offset:40
	buffer_load_dword v32, off, s[0:3], 0 offset:44
	v_cmp_gt_u32_e32 vcc, 5, v0
	s_waitcnt vmcnt(0)
	ds_write_b64 v30, v[31:32]
	;; [unrolled: 49-line block ×8, first 2 shown]
	s_waitcnt lgkmcnt(0)
	; wave barrier
	s_and_saveexec_b64 s[4:5], vcc
	s_cbranch_execz .LBB12_59
; %bb.56:
	v_add_u32_e32 v31, -1, v0
	v_add_u32_e32 v32, 0x70, v29
	v_mov_b32_e32 v33, v29
	v_mov_b32_e32 v28, 0
	s_mov_b64 s[8:9], 0
	v_mov_b32_e32 v34, 0
.LBB12_57:                              ; =>This Inner Loop Header: Depth=1
	buffer_load_dword v37, v33, s[0:3], 0 offen offset:4
	buffer_load_dword v38, v33, s[0:3], 0 offen
	ds_read_b64 v[35:36], v32
	v_add_u32_e32 v31, 1, v31
	v_cmp_lt_u32_e32 vcc, 9, v31
	v_add_u32_e32 v32, 8, v32
	v_add_u32_e32 v33, 8, v33
	s_or_b64 s[8:9], vcc, s[8:9]
	s_waitcnt vmcnt(1) lgkmcnt(0)
	v_mul_f32_e32 v39, v36, v37
	v_mul_f32_e32 v37, v35, v37
	s_waitcnt vmcnt(0)
	v_fma_f32 v35, v35, v38, -v39
	v_fmac_f32_e32 v37, v36, v38
	v_add_f32_e32 v34, v34, v35
	v_add_f32_e32 v28, v28, v37
	s_andn2_b64 exec, exec, s[8:9]
	s_cbranch_execnz .LBB12_57
; %bb.58:
	s_or_b64 exec, exec, s[8:9]
	v_mov_b32_e32 v31, 0
	ds_read_b64 v[31:32], v31 offset:88
	s_waitcnt lgkmcnt(0)
	v_mul_f32_e32 v33, v28, v32
	v_mul_f32_e32 v32, v34, v32
	v_fma_f32 v33, v34, v31, -v33
	v_fmac_f32_e32 v32, v28, v31
	buffer_store_dword v33, off, s[0:3], 0 offset:88
	buffer_store_dword v32, off, s[0:3], 0 offset:92
.LBB12_59:
	s_or_b64 exec, exec, s[4:5]
	; wave barrier
	buffer_load_dword v31, off, s[0:3], 0 offset:96
	buffer_load_dword v32, off, s[0:3], 0 offset:100
	v_cmp_ne_u32_e32 vcc, 12, v0
	s_waitcnt vmcnt(0)
	ds_write_b64 v30, v[31:32]
	s_waitcnt lgkmcnt(0)
	; wave barrier
	s_and_saveexec_b64 s[4:5], vcc
	s_cbranch_execz .LBB12_63
; %bb.60:
	v_add_u32_e32 v30, 0x70, v29
	v_mov_b32_e32 v28, 0
	s_mov_b64 s[8:9], 0
	v_mov_b32_e32 v31, 0
.LBB12_61:                              ; =>This Inner Loop Header: Depth=1
	buffer_load_dword v34, v29, s[0:3], 0 offen offset:4
	buffer_load_dword v35, v29, s[0:3], 0 offen
	ds_read_b64 v[32:33], v30
	v_add_u32_e32 v27, 1, v27
	v_cmp_lt_u32_e32 vcc, 10, v27
	v_add_u32_e32 v30, 8, v30
	v_add_u32_e32 v29, 8, v29
	s_or_b64 s[8:9], vcc, s[8:9]
	s_waitcnt vmcnt(1) lgkmcnt(0)
	v_mul_f32_e32 v36, v33, v34
	v_mul_f32_e32 v34, v32, v34
	s_waitcnt vmcnt(0)
	v_fma_f32 v32, v32, v35, -v36
	v_fmac_f32_e32 v34, v33, v35
	v_add_f32_e32 v31, v31, v32
	v_add_f32_e32 v28, v28, v34
	s_andn2_b64 exec, exec, s[8:9]
	s_cbranch_execnz .LBB12_61
; %bb.62:
	s_or_b64 exec, exec, s[8:9]
	v_mov_b32_e32 v27, 0
	ds_read_b64 v[29:30], v27 offset:96
	s_waitcnt lgkmcnt(0)
	v_mul_f32_e32 v27, v28, v30
	v_mul_f32_e32 v30, v31, v30
	v_fma_f32 v27, v31, v29, -v27
	v_fmac_f32_e32 v30, v28, v29
	buffer_store_dword v27, off, s[0:3], 0 offset:96
	buffer_store_dword v30, off, s[0:3], 0 offset:100
.LBB12_63:
	s_or_b64 exec, exec, s[4:5]
	s_mov_b64 s[8:9], -1
	; wave barrier
.LBB12_64:
	s_and_b64 vcc, exec, s[8:9]
	s_cbranch_vccz .LBB12_66
; %bb.65:
	s_lshl_b64 s[4:5], s[6:7], 2
	s_add_u32 s4, s10, s4
	s_addc_u32 s5, s11, s5
	v_mov_b32_e32 v27, 0
	global_load_dword v27, v27, s[4:5]
	s_waitcnt vmcnt(0)
	v_cmp_ne_u32_e32 vcc, 0, v27
	s_cbranch_vccz .LBB12_67
.LBB12_66:
	s_endpgm
.LBB12_67:
	v_mov_b32_e32 v27, 0x70
	v_lshl_add_u32 v27, v0, 3, v27
	v_cmp_eq_u32_e32 vcc, 12, v0
	s_and_saveexec_b64 s[4:5], vcc
	s_cbranch_execz .LBB12_69
; %bb.68:
	buffer_load_dword v28, off, s[0:3], 0 offset:88
	buffer_load_dword v29, off, s[0:3], 0 offset:92
	v_mov_b32_e32 v30, 0
	buffer_store_dword v30, off, s[0:3], 0 offset:88
	buffer_store_dword v30, off, s[0:3], 0 offset:92
	s_waitcnt vmcnt(2)
	ds_write_b64 v27, v[28:29]
.LBB12_69:
	s_or_b64 exec, exec, s[4:5]
	s_waitcnt lgkmcnt(0)
	; wave barrier
	buffer_load_dword v31, off, s[0:3], 0 offset:100
	buffer_load_dword v32, off, s[0:3], 0 offset:96
	;; [unrolled: 1-line block ×4, first 2 shown]
	v_mov_b32_e32 v28, 0
	ds_read_b64 v[29:30], v28 offset:208
	v_cmp_lt_u32_e32 vcc, 10, v0
	s_waitcnt vmcnt(3) lgkmcnt(0)
	v_mul_f32_e32 v35, v29, v31
	v_mul_f32_e32 v31, v30, v31
	s_waitcnt vmcnt(2)
	v_fma_f32 v29, v29, v32, -v31
	v_fmac_f32_e32 v35, v30, v32
	v_add_f32_e32 v29, 0, v29
	v_add_f32_e32 v30, 0, v35
	s_waitcnt vmcnt(1)
	v_sub_f32_e32 v29, v33, v29
	s_waitcnt vmcnt(0)
	v_sub_f32_e32 v30, v34, v30
	buffer_store_dword v29, off, s[0:3], 0 offset:88
	buffer_store_dword v30, off, s[0:3], 0 offset:92
	s_and_saveexec_b64 s[4:5], vcc
	s_cbranch_execz .LBB12_71
; %bb.70:
	buffer_load_dword v29, off, s[0:3], 0 offset:80
	buffer_load_dword v30, off, s[0:3], 0 offset:84
	s_waitcnt vmcnt(0)
	ds_write_b64 v27, v[29:30]
	buffer_store_dword v28, off, s[0:3], 0 offset:80
	buffer_store_dword v28, off, s[0:3], 0 offset:84
.LBB12_71:
	s_or_b64 exec, exec, s[4:5]
	s_waitcnt lgkmcnt(0)
	; wave barrier
	buffer_load_dword v32, off, s[0:3], 0 offset:92
	buffer_load_dword v33, off, s[0:3], 0 offset:100
	;; [unrolled: 1-line block ×6, first 2 shown]
	ds_read2_b64 v[28:31], v28 offset0:25 offset1:26
	v_cmp_lt_u32_e32 vcc, 9, v0
	s_waitcnt vmcnt(5) lgkmcnt(0)
	v_mul_f32_e32 v38, v28, v32
	v_mul_f32_e32 v32, v29, v32
	s_waitcnt vmcnt(4)
	v_mul_f32_e32 v39, v30, v33
	v_mul_f32_e32 v33, v31, v33
	s_waitcnt vmcnt(3)
	v_fma_f32 v28, v28, v34, -v32
	v_fmac_f32_e32 v38, v29, v34
	s_waitcnt vmcnt(2)
	v_fma_f32 v29, v30, v35, -v33
	v_add_f32_e32 v28, 0, v28
	v_fmac_f32_e32 v39, v31, v35
	v_add_f32_e32 v30, 0, v38
	v_add_f32_e32 v28, v28, v29
	;; [unrolled: 1-line block ×3, first 2 shown]
	s_waitcnt vmcnt(1)
	v_sub_f32_e32 v28, v36, v28
	s_waitcnt vmcnt(0)
	v_sub_f32_e32 v29, v37, v30
	buffer_store_dword v28, off, s[0:3], 0 offset:80
	buffer_store_dword v29, off, s[0:3], 0 offset:84
	s_and_saveexec_b64 s[4:5], vcc
	s_cbranch_execz .LBB12_73
; %bb.72:
	buffer_load_dword v28, off, s[0:3], 0 offset:72
	buffer_load_dword v29, off, s[0:3], 0 offset:76
	v_mov_b32_e32 v30, 0
	buffer_store_dword v30, off, s[0:3], 0 offset:72
	buffer_store_dword v30, off, s[0:3], 0 offset:76
	s_waitcnt vmcnt(2)
	ds_write_b64 v27, v[28:29]
.LBB12_73:
	s_or_b64 exec, exec, s[4:5]
	s_waitcnt lgkmcnt(0)
	; wave barrier
	buffer_load_dword v35, off, s[0:3], 0 offset:84
	buffer_load_dword v36, off, s[0:3], 0 offset:92
	;; [unrolled: 1-line block ×8, first 2 shown]
	v_mov_b32_e32 v28, 0
	ds_read_b128 v[29:32], v28 offset:192
	ds_read_b64 v[33:34], v28 offset:208
	v_cmp_lt_u32_e32 vcc, 8, v0
	s_waitcnt vmcnt(7) lgkmcnt(1)
	v_mul_f32_e32 v43, v29, v35
	v_mul_f32_e32 v35, v30, v35
	s_waitcnt vmcnt(6)
	v_mul_f32_e32 v44, v31, v36
	v_mul_f32_e32 v36, v32, v36
	s_waitcnt vmcnt(4)
	v_fma_f32 v29, v29, v38, -v35
	s_waitcnt lgkmcnt(0)
	v_mul_f32_e32 v45, v33, v37
	v_mul_f32_e32 v37, v34, v37
	v_fmac_f32_e32 v43, v30, v38
	s_waitcnt vmcnt(3)
	v_fma_f32 v30, v31, v39, -v36
	v_add_f32_e32 v29, 0, v29
	v_fmac_f32_e32 v44, v32, v39
	s_waitcnt vmcnt(2)
	v_fma_f32 v31, v33, v40, -v37
	v_add_f32_e32 v32, 0, v43
	v_add_f32_e32 v29, v29, v30
	v_fmac_f32_e32 v45, v34, v40
	v_add_f32_e32 v32, v32, v44
	v_add_f32_e32 v29, v29, v31
	;; [unrolled: 1-line block ×3, first 2 shown]
	s_waitcnt vmcnt(1)
	v_sub_f32_e32 v29, v41, v29
	s_waitcnt vmcnt(0)
	v_sub_f32_e32 v30, v42, v30
	buffer_store_dword v29, off, s[0:3], 0 offset:72
	buffer_store_dword v30, off, s[0:3], 0 offset:76
	s_and_saveexec_b64 s[4:5], vcc
	s_cbranch_execz .LBB12_75
; %bb.74:
	buffer_load_dword v29, off, s[0:3], 0 offset:64
	buffer_load_dword v30, off, s[0:3], 0 offset:68
	s_waitcnt vmcnt(0)
	ds_write_b64 v27, v[29:30]
	buffer_store_dword v28, off, s[0:3], 0 offset:64
	buffer_store_dword v28, off, s[0:3], 0 offset:68
.LBB12_75:
	s_or_b64 exec, exec, s[4:5]
	s_waitcnt lgkmcnt(0)
	; wave barrier
	buffer_load_dword v37, off, s[0:3], 0 offset:76
	buffer_load_dword v38, off, s[0:3], 0 offset:84
	;; [unrolled: 1-line block ×10, first 2 shown]
	ds_read2_b64 v[29:32], v28 offset0:23 offset1:24
	ds_read2_b64 v[33:36], v28 offset0:25 offset1:26
	v_cmp_lt_u32_e32 vcc, 7, v0
	s_waitcnt vmcnt(9) lgkmcnt(1)
	v_mul_f32_e32 v28, v29, v37
	v_mul_f32_e32 v37, v30, v37
	s_waitcnt vmcnt(8)
	v_mul_f32_e32 v47, v31, v38
	v_mul_f32_e32 v38, v32, v38
	s_waitcnt vmcnt(5)
	v_fma_f32 v29, v29, v41, -v37
	s_waitcnt lgkmcnt(0)
	v_mul_f32_e32 v48, v33, v39
	v_mul_f32_e32 v39, v34, v39
	v_fmac_f32_e32 v28, v30, v41
	s_waitcnt vmcnt(4)
	v_fma_f32 v30, v31, v42, -v38
	v_add_f32_e32 v29, 0, v29
	v_mul_f32_e32 v49, v35, v40
	v_mul_f32_e32 v40, v36, v40
	v_fmac_f32_e32 v47, v32, v42
	s_waitcnt vmcnt(3)
	v_fma_f32 v31, v33, v43, -v39
	v_add_f32_e32 v28, 0, v28
	v_add_f32_e32 v29, v29, v30
	v_fmac_f32_e32 v48, v34, v43
	s_waitcnt vmcnt(2)
	v_fma_f32 v32, v35, v44, -v40
	v_add_f32_e32 v28, v28, v47
	v_add_f32_e32 v29, v29, v31
	v_fmac_f32_e32 v49, v36, v44
	v_add_f32_e32 v28, v28, v48
	v_add_f32_e32 v29, v29, v32
	;; [unrolled: 1-line block ×3, first 2 shown]
	s_waitcnt vmcnt(1)
	v_sub_f32_e32 v29, v45, v29
	s_waitcnt vmcnt(0)
	v_sub_f32_e32 v28, v46, v28
	buffer_store_dword v29, off, s[0:3], 0 offset:64
	buffer_store_dword v28, off, s[0:3], 0 offset:68
	s_and_saveexec_b64 s[4:5], vcc
	s_cbranch_execz .LBB12_77
; %bb.76:
	buffer_load_dword v28, off, s[0:3], 0 offset:56
	buffer_load_dword v29, off, s[0:3], 0 offset:60
	v_mov_b32_e32 v30, 0
	buffer_store_dword v30, off, s[0:3], 0 offset:56
	buffer_store_dword v30, off, s[0:3], 0 offset:60
	s_waitcnt vmcnt(2)
	ds_write_b64 v27, v[28:29]
.LBB12_77:
	s_or_b64 exec, exec, s[4:5]
	s_waitcnt lgkmcnt(0)
	; wave barrier
	buffer_load_dword v39, off, s[0:3], 0 offset:68
	buffer_load_dword v40, off, s[0:3], 0 offset:76
	;; [unrolled: 1-line block ×12, first 2 shown]
	v_mov_b32_e32 v28, 0
	ds_read_b128 v[29:32], v28 offset:176
	ds_read_b128 v[33:36], v28 offset:192
	ds_read_b64 v[37:38], v28 offset:208
	v_cmp_lt_u32_e32 vcc, 6, v0
	s_waitcnt vmcnt(11) lgkmcnt(2)
	v_mul_f32_e32 v51, v29, v39
	v_mul_f32_e32 v39, v30, v39
	s_waitcnt vmcnt(10)
	v_mul_f32_e32 v52, v31, v40
	v_mul_f32_e32 v40, v32, v40
	s_waitcnt vmcnt(9) lgkmcnt(1)
	v_mul_f32_e32 v53, v33, v41
	s_waitcnt vmcnt(6)
	v_fma_f32 v29, v29, v44, -v39
	v_mul_f32_e32 v41, v34, v41
	v_fmac_f32_e32 v51, v30, v44
	s_waitcnt vmcnt(5)
	v_fma_f32 v30, v31, v45, -v40
	v_add_f32_e32 v29, 0, v29
	v_mul_f32_e32 v54, v35, v42
	v_mul_f32_e32 v42, v36, v42
	v_fmac_f32_e32 v52, v32, v45
	s_waitcnt vmcnt(4)
	v_fmac_f32_e32 v53, v34, v46
	v_fma_f32 v31, v33, v46, -v41
	v_add_f32_e32 v34, 0, v51
	v_add_f32_e32 v29, v29, v30
	s_waitcnt lgkmcnt(0)
	v_mul_f32_e32 v55, v37, v43
	v_mul_f32_e32 v43, v38, v43
	s_waitcnt vmcnt(3)
	v_fma_f32 v32, v35, v47, -v42
	v_add_f32_e32 v34, v34, v52
	v_add_f32_e32 v29, v29, v31
	v_fmac_f32_e32 v54, v36, v47
	s_waitcnt vmcnt(2)
	v_fma_f32 v33, v37, v48, -v43
	v_add_f32_e32 v30, v34, v53
	v_add_f32_e32 v29, v29, v32
	v_fmac_f32_e32 v55, v38, v48
	v_add_f32_e32 v30, v30, v54
	v_add_f32_e32 v29, v29, v33
	;; [unrolled: 1-line block ×3, first 2 shown]
	s_waitcnt vmcnt(1)
	v_sub_f32_e32 v29, v49, v29
	s_waitcnt vmcnt(0)
	v_sub_f32_e32 v30, v50, v30
	buffer_store_dword v29, off, s[0:3], 0 offset:56
	buffer_store_dword v30, off, s[0:3], 0 offset:60
	s_and_saveexec_b64 s[4:5], vcc
	s_cbranch_execz .LBB12_79
; %bb.78:
	buffer_load_dword v29, off, s[0:3], 0 offset:48
	buffer_load_dword v30, off, s[0:3], 0 offset:52
	s_waitcnt vmcnt(0)
	ds_write_b64 v27, v[29:30]
	buffer_store_dword v28, off, s[0:3], 0 offset:48
	buffer_store_dword v28, off, s[0:3], 0 offset:52
.LBB12_79:
	s_or_b64 exec, exec, s[4:5]
	s_waitcnt lgkmcnt(0)
	; wave barrier
	buffer_load_dword v41, off, s[0:3], 0 offset:60
	buffer_load_dword v42, off, s[0:3], 0 offset:68
	;; [unrolled: 1-line block ×14, first 2 shown]
	ds_read2_b64 v[29:32], v28 offset0:21 offset1:22
	ds_read2_b64 v[33:36], v28 offset0:23 offset1:24
	;; [unrolled: 1-line block ×3, first 2 shown]
	v_cmp_lt_u32_e32 vcc, 5, v0
	s_waitcnt vmcnt(13) lgkmcnt(2)
	v_mul_f32_e32 v28, v29, v41
	v_mul_f32_e32 v41, v30, v41
	s_waitcnt vmcnt(12)
	v_mul_f32_e32 v55, v31, v42
	v_mul_f32_e32 v42, v32, v42
	s_waitcnt vmcnt(11) lgkmcnt(1)
	v_mul_f32_e32 v56, v33, v43
	v_mul_f32_e32 v43, v34, v43
	s_waitcnt vmcnt(7)
	v_fma_f32 v29, v29, v47, -v41
	v_fmac_f32_e32 v28, v30, v47
	s_waitcnt vmcnt(6)
	v_fma_f32 v30, v31, v48, -v42
	v_add_f32_e32 v29, 0, v29
	v_mul_f32_e32 v57, v35, v44
	v_mul_f32_e32 v44, v36, v44
	v_fmac_f32_e32 v55, v32, v48
	s_waitcnt vmcnt(5)
	v_fma_f32 v31, v33, v49, -v43
	v_add_f32_e32 v28, 0, v28
	v_add_f32_e32 v29, v29, v30
	s_waitcnt lgkmcnt(0)
	v_mul_f32_e32 v58, v37, v45
	v_mul_f32_e32 v45, v38, v45
	v_fmac_f32_e32 v56, v34, v49
	s_waitcnt vmcnt(4)
	v_fma_f32 v32, v35, v50, -v44
	v_add_f32_e32 v28, v28, v55
	v_add_f32_e32 v29, v29, v31
	v_mul_f32_e32 v59, v39, v46
	v_mul_f32_e32 v46, v40, v46
	v_fmac_f32_e32 v57, v36, v50
	s_waitcnt vmcnt(3)
	v_fma_f32 v33, v37, v51, -v45
	v_add_f32_e32 v28, v28, v56
	v_add_f32_e32 v29, v29, v32
	v_fmac_f32_e32 v58, v38, v51
	s_waitcnt vmcnt(2)
	v_fma_f32 v34, v39, v52, -v46
	v_add_f32_e32 v28, v28, v57
	v_add_f32_e32 v29, v29, v33
	v_fmac_f32_e32 v59, v40, v52
	v_add_f32_e32 v28, v28, v58
	v_add_f32_e32 v29, v29, v34
	;; [unrolled: 1-line block ×3, first 2 shown]
	s_waitcnt vmcnt(1)
	v_sub_f32_e32 v29, v53, v29
	s_waitcnt vmcnt(0)
	v_sub_f32_e32 v28, v54, v28
	buffer_store_dword v29, off, s[0:3], 0 offset:48
	buffer_store_dword v28, off, s[0:3], 0 offset:52
	s_and_saveexec_b64 s[4:5], vcc
	s_cbranch_execz .LBB12_81
; %bb.80:
	buffer_load_dword v28, off, s[0:3], 0 offset:40
	buffer_load_dword v29, off, s[0:3], 0 offset:44
	v_mov_b32_e32 v30, 0
	buffer_store_dword v30, off, s[0:3], 0 offset:40
	buffer_store_dword v30, off, s[0:3], 0 offset:44
	s_waitcnt vmcnt(2)
	ds_write_b64 v27, v[28:29]
.LBB12_81:
	s_or_b64 exec, exec, s[4:5]
	v_mov_b32_e32 v28, 0
	s_waitcnt lgkmcnt(0)
	; wave barrier
	ds_read_b128 v[29:32], v28 offset:160
	ds_read_b128 v[33:36], v28 offset:176
	;; [unrolled: 1-line block ×3, first 2 shown]
	ds_read_b64 v[41:42], v28 offset:208
	buffer_load_dword v43, off, s[0:3], 0 offset:40
	buffer_load_dword v44, off, s[0:3], 0 offset:44
	buffer_load_dword v45, off, s[0:3], 0 offset:48
	buffer_load_dword v46, off, s[0:3], 0 offset:52
	buffer_load_dword v47, off, s[0:3], 0 offset:56
	buffer_load_dword v48, off, s[0:3], 0 offset:60
	buffer_load_dword v49, off, s[0:3], 0 offset:64
	buffer_load_dword v50, off, s[0:3], 0 offset:68
	buffer_load_dword v51, off, s[0:3], 0 offset:72
	buffer_load_dword v52, off, s[0:3], 0 offset:76
	buffer_load_dword v53, off, s[0:3], 0 offset:80
	buffer_load_dword v54, off, s[0:3], 0 offset:84
	buffer_load_dword v55, off, s[0:3], 0 offset:88
	buffer_load_dword v56, off, s[0:3], 0 offset:92
	buffer_load_dword v57, off, s[0:3], 0 offset:96
	buffer_load_dword v58, off, s[0:3], 0 offset:100
	v_cmp_lt_u32_e32 vcc, 4, v0
	s_waitcnt vmcnt(12) lgkmcnt(3)
	v_mul_f32_e32 v59, v29, v46
	v_fmac_f32_e32 v59, v30, v45
	v_mul_f32_e32 v30, v30, v46
	v_fma_f32 v29, v29, v45, -v30
	s_waitcnt vmcnt(10)
	v_mul_f32_e32 v30, v32, v48
	v_mul_f32_e32 v60, v31, v48
	v_add_f32_e32 v29, 0, v29
	v_fma_f32 v30, v31, v47, -v30
	v_add_f32_e32 v59, 0, v59
	v_fmac_f32_e32 v60, v32, v47
	v_add_f32_e32 v29, v29, v30
	s_waitcnt vmcnt(8) lgkmcnt(2)
	v_mul_f32_e32 v30, v34, v50
	v_add_f32_e32 v59, v59, v60
	v_mul_f32_e32 v60, v33, v50
	v_fma_f32 v30, v33, v49, -v30
	v_fmac_f32_e32 v60, v34, v49
	v_add_f32_e32 v29, v29, v30
	s_waitcnt vmcnt(6)
	v_mul_f32_e32 v30, v36, v52
	v_add_f32_e32 v59, v59, v60
	v_mul_f32_e32 v60, v35, v52
	v_fma_f32 v30, v35, v51, -v30
	v_fmac_f32_e32 v60, v36, v51
	v_add_f32_e32 v29, v29, v30
	s_waitcnt vmcnt(4) lgkmcnt(1)
	v_mul_f32_e32 v30, v38, v54
	v_add_f32_e32 v59, v59, v60
	v_mul_f32_e32 v60, v37, v54
	v_fma_f32 v30, v37, v53, -v30
	v_fmac_f32_e32 v60, v38, v53
	v_add_f32_e32 v29, v29, v30
	s_waitcnt vmcnt(2)
	v_mul_f32_e32 v30, v40, v56
	v_add_f32_e32 v59, v59, v60
	v_mul_f32_e32 v60, v39, v56
	v_fma_f32 v30, v39, v55, -v30
	v_fmac_f32_e32 v60, v40, v55
	v_add_f32_e32 v29, v29, v30
	s_waitcnt vmcnt(0) lgkmcnt(0)
	v_mul_f32_e32 v30, v42, v58
	v_add_f32_e32 v59, v59, v60
	v_mul_f32_e32 v60, v41, v58
	v_fma_f32 v30, v41, v57, -v30
	v_fmac_f32_e32 v60, v42, v57
	v_add_f32_e32 v29, v29, v30
	v_add_f32_e32 v59, v59, v60
	v_sub_f32_e32 v29, v43, v29
	v_sub_f32_e32 v30, v44, v59
	buffer_store_dword v29, off, s[0:3], 0 offset:40
	buffer_store_dword v30, off, s[0:3], 0 offset:44
	s_and_saveexec_b64 s[4:5], vcc
	s_cbranch_execz .LBB12_83
; %bb.82:
	buffer_load_dword v29, off, s[0:3], 0 offset:32
	buffer_load_dword v30, off, s[0:3], 0 offset:36
	s_waitcnt vmcnt(0)
	ds_write_b64 v27, v[29:30]
	buffer_store_dword v28, off, s[0:3], 0 offset:32
	buffer_store_dword v28, off, s[0:3], 0 offset:36
.LBB12_83:
	s_or_b64 exec, exec, s[4:5]
	s_waitcnt lgkmcnt(0)
	; wave barrier
	buffer_load_dword v45, off, s[0:3], 0 offset:44
	buffer_load_dword v46, off, s[0:3], 0 offset:52
	;; [unrolled: 1-line block ×18, first 2 shown]
	ds_read2_b64 v[29:32], v28 offset0:19 offset1:20
	ds_read2_b64 v[33:36], v28 offset0:21 offset1:22
	;; [unrolled: 1-line block ×4, first 2 shown]
	v_cmp_lt_u32_e32 vcc, 3, v0
	s_waitcnt vmcnt(17) lgkmcnt(3)
	v_mul_f32_e32 v28, v29, v45
	v_mul_f32_e32 v45, v30, v45
	s_waitcnt vmcnt(16)
	v_mul_f32_e32 v63, v31, v46
	v_mul_f32_e32 v46, v32, v46
	s_waitcnt vmcnt(15) lgkmcnt(2)
	v_mul_f32_e32 v64, v33, v47
	v_mul_f32_e32 v47, v34, v47
	s_waitcnt vmcnt(14)
	v_mul_f32_e32 v65, v35, v48
	v_mul_f32_e32 v48, v36, v48
	s_waitcnt vmcnt(9)
	v_fma_f32 v29, v29, v53, -v45
	v_fmac_f32_e32 v28, v30, v53
	s_waitcnt vmcnt(8)
	v_fma_f32 v30, v31, v54, -v46
	v_add_f32_e32 v29, 0, v29
	v_fmac_f32_e32 v63, v32, v54
	s_waitcnt vmcnt(7)
	v_fma_f32 v31, v33, v55, -v47
	v_add_f32_e32 v28, 0, v28
	v_add_f32_e32 v29, v29, v30
	s_waitcnt lgkmcnt(1)
	v_mul_f32_e32 v66, v37, v49
	v_mul_f32_e32 v49, v38, v49
	v_fmac_f32_e32 v64, v34, v55
	s_waitcnt vmcnt(6)
	v_fma_f32 v32, v35, v56, -v48
	v_add_f32_e32 v28, v28, v63
	v_add_f32_e32 v29, v29, v31
	v_mul_f32_e32 v67, v39, v50
	v_mul_f32_e32 v50, v40, v50
	v_fmac_f32_e32 v65, v36, v56
	s_waitcnt vmcnt(5)
	v_fma_f32 v33, v37, v57, -v49
	v_add_f32_e32 v28, v28, v64
	v_add_f32_e32 v29, v29, v32
	s_waitcnt lgkmcnt(0)
	v_mul_f32_e32 v68, v41, v51
	v_mul_f32_e32 v51, v42, v51
	v_fmac_f32_e32 v66, v38, v57
	s_waitcnt vmcnt(4)
	v_fma_f32 v34, v39, v58, -v50
	v_add_f32_e32 v28, v28, v65
	v_add_f32_e32 v29, v29, v33
	v_mul_f32_e32 v69, v43, v52
	v_mul_f32_e32 v52, v44, v52
	v_fmac_f32_e32 v67, v40, v58
	s_waitcnt vmcnt(3)
	v_fma_f32 v35, v41, v59, -v51
	v_add_f32_e32 v28, v28, v66
	v_add_f32_e32 v29, v29, v34
	v_fmac_f32_e32 v68, v42, v59
	s_waitcnt vmcnt(2)
	v_fma_f32 v36, v43, v60, -v52
	v_add_f32_e32 v28, v28, v67
	v_add_f32_e32 v29, v29, v35
	v_fmac_f32_e32 v69, v44, v60
	v_add_f32_e32 v28, v28, v68
	v_add_f32_e32 v29, v29, v36
	;; [unrolled: 1-line block ×3, first 2 shown]
	s_waitcnt vmcnt(1)
	v_sub_f32_e32 v29, v61, v29
	s_waitcnt vmcnt(0)
	v_sub_f32_e32 v28, v62, v28
	buffer_store_dword v29, off, s[0:3], 0 offset:32
	buffer_store_dword v28, off, s[0:3], 0 offset:36
	s_and_saveexec_b64 s[4:5], vcc
	s_cbranch_execz .LBB12_85
; %bb.84:
	buffer_load_dword v28, off, s[0:3], 0 offset:24
	buffer_load_dword v29, off, s[0:3], 0 offset:28
	v_mov_b32_e32 v30, 0
	buffer_store_dword v30, off, s[0:3], 0 offset:24
	buffer_store_dword v30, off, s[0:3], 0 offset:28
	s_waitcnt vmcnt(2)
	ds_write_b64 v27, v[28:29]
.LBB12_85:
	s_or_b64 exec, exec, s[4:5]
	s_waitcnt lgkmcnt(0)
	; wave barrier
	buffer_load_dword v47, off, s[0:3], 0 offset:36
	buffer_load_dword v48, off, s[0:3], 0 offset:44
	;; [unrolled: 1-line block ×20, first 2 shown]
	v_mov_b32_e32 v28, 0
	ds_read_b128 v[29:32], v28 offset:144
	ds_read_b128 v[33:36], v28 offset:160
	;; [unrolled: 1-line block ×4, first 2 shown]
	ds_read_b64 v[45:46], v28 offset:208
	v_cmp_lt_u32_e32 vcc, 2, v0
	s_waitcnt vmcnt(19) lgkmcnt(4)
	v_mul_f32_e32 v67, v29, v47
	v_mul_f32_e32 v47, v30, v47
	s_waitcnt vmcnt(18)
	v_mul_f32_e32 v68, v31, v48
	v_mul_f32_e32 v48, v32, v48
	s_waitcnt vmcnt(17) lgkmcnt(3)
	v_mul_f32_e32 v69, v33, v49
	s_waitcnt vmcnt(15) lgkmcnt(2)
	v_mul_f32_e32 v71, v37, v51
	v_mul_f32_e32 v49, v34, v49
	;; [unrolled: 1-line block ×4, first 2 shown]
	s_waitcnt vmcnt(10)
	v_fma_f32 v29, v29, v56, -v47
	v_fmac_f32_e32 v67, v30, v56
	s_waitcnt vmcnt(9)
	v_fma_f32 v30, v31, v57, -v48
	v_add_f32_e32 v29, 0, v29
	v_mul_f32_e32 v51, v38, v51
	v_fmac_f32_e32 v68, v32, v57
	s_waitcnt vmcnt(6)
	v_fmac_f32_e32 v71, v38, v60
	v_fma_f32 v31, v33, v58, -v49
	v_add_f32_e32 v38, 0, v67
	v_add_f32_e32 v29, v29, v30
	v_fmac_f32_e32 v69, v34, v58
	v_fma_f32 v32, v35, v59, -v50
	v_add_f32_e32 v38, v38, v68
	v_add_f32_e32 v29, v29, v31
	v_mul_f32_e32 v72, v39, v52
	v_mul_f32_e32 v52, v40, v52
	v_fmac_f32_e32 v70, v36, v59
	v_fma_f32 v33, v37, v60, -v51
	v_add_f32_e32 v30, v38, v69
	v_add_f32_e32 v29, v29, v32
	s_waitcnt lgkmcnt(1)
	v_mul_f32_e32 v73, v41, v53
	v_mul_f32_e32 v53, v42, v53
	s_waitcnt vmcnt(5)
	v_fma_f32 v34, v39, v61, -v52
	v_add_f32_e32 v30, v30, v70
	v_add_f32_e32 v29, v29, v33
	v_mul_f32_e32 v74, v43, v54
	v_mul_f32_e32 v54, v44, v54
	v_fmac_f32_e32 v72, v40, v61
	s_waitcnt vmcnt(4)
	v_fma_f32 v35, v41, v62, -v53
	v_add_f32_e32 v30, v30, v71
	v_add_f32_e32 v29, v29, v34
	s_waitcnt lgkmcnt(0)
	v_mul_f32_e32 v75, v45, v55
	v_mul_f32_e32 v55, v46, v55
	v_fmac_f32_e32 v73, v42, v62
	s_waitcnt vmcnt(3)
	v_fma_f32 v36, v43, v63, -v54
	v_add_f32_e32 v30, v30, v72
	v_add_f32_e32 v29, v29, v35
	v_fmac_f32_e32 v74, v44, v63
	s_waitcnt vmcnt(2)
	v_fma_f32 v37, v45, v64, -v55
	v_add_f32_e32 v30, v30, v73
	v_add_f32_e32 v29, v29, v36
	v_fmac_f32_e32 v75, v46, v64
	v_add_f32_e32 v30, v30, v74
	v_add_f32_e32 v29, v29, v37
	;; [unrolled: 1-line block ×3, first 2 shown]
	s_waitcnt vmcnt(1)
	v_sub_f32_e32 v29, v65, v29
	s_waitcnt vmcnt(0)
	v_sub_f32_e32 v30, v66, v30
	buffer_store_dword v29, off, s[0:3], 0 offset:24
	buffer_store_dword v30, off, s[0:3], 0 offset:28
	s_and_saveexec_b64 s[4:5], vcc
	s_cbranch_execz .LBB12_87
; %bb.86:
	buffer_load_dword v29, off, s[0:3], 0 offset:16
	buffer_load_dword v30, off, s[0:3], 0 offset:20
	s_waitcnt vmcnt(0)
	ds_write_b64 v27, v[29:30]
	buffer_store_dword v28, off, s[0:3], 0 offset:16
	buffer_store_dword v28, off, s[0:3], 0 offset:20
.LBB12_87:
	s_or_b64 exec, exec, s[4:5]
	s_waitcnt lgkmcnt(0)
	; wave barrier
	buffer_load_dword v49, off, s[0:3], 0 offset:28
	buffer_load_dword v50, off, s[0:3], 0 offset:36
	;; [unrolled: 1-line block ×22, first 2 shown]
	ds_read2_b64 v[29:32], v28 offset0:17 offset1:18
	ds_read2_b64 v[33:36], v28 offset0:19 offset1:20
	;; [unrolled: 1-line block ×5, first 2 shown]
	v_cmp_lt_u32_e32 vcc, 1, v0
	s_waitcnt vmcnt(21) lgkmcnt(4)
	v_mul_f32_e32 v28, v29, v49
	v_mul_f32_e32 v49, v30, v49
	s_waitcnt vmcnt(20)
	v_mul_f32_e32 v71, v31, v50
	v_mul_f32_e32 v50, v32, v50
	s_waitcnt vmcnt(19) lgkmcnt(3)
	v_mul_f32_e32 v72, v33, v51
	v_mul_f32_e32 v51, v34, v51
	s_waitcnt vmcnt(18)
	v_mul_f32_e32 v73, v35, v52
	v_mul_f32_e32 v52, v36, v52
	s_waitcnt vmcnt(17) lgkmcnt(2)
	v_mul_f32_e32 v74, v37, v53
	v_mul_f32_e32 v53, v38, v53
	s_waitcnt vmcnt(11)
	v_fma_f32 v29, v29, v59, -v49
	v_fmac_f32_e32 v28, v30, v59
	s_waitcnt vmcnt(10)
	v_fma_f32 v30, v31, v60, -v50
	v_add_f32_e32 v29, 0, v29
	v_fmac_f32_e32 v71, v32, v60
	s_waitcnt vmcnt(9)
	v_fma_f32 v31, v33, v61, -v51
	v_add_f32_e32 v28, 0, v28
	v_add_f32_e32 v29, v29, v30
	v_fmac_f32_e32 v72, v34, v61
	s_waitcnt vmcnt(8)
	v_fma_f32 v32, v35, v62, -v52
	v_add_f32_e32 v28, v28, v71
	v_add_f32_e32 v29, v29, v31
	v_mul_f32_e32 v75, v39, v54
	v_mul_f32_e32 v54, v40, v54
	v_fmac_f32_e32 v73, v36, v62
	s_waitcnt vmcnt(7)
	v_fma_f32 v33, v37, v63, -v53
	v_add_f32_e32 v28, v28, v72
	v_add_f32_e32 v29, v29, v32
	s_waitcnt lgkmcnt(1)
	v_mul_f32_e32 v76, v41, v55
	v_mul_f32_e32 v55, v42, v55
	v_fmac_f32_e32 v74, v38, v63
	s_waitcnt vmcnt(6)
	v_fma_f32 v34, v39, v64, -v54
	v_add_f32_e32 v28, v28, v73
	v_add_f32_e32 v29, v29, v33
	v_mul_f32_e32 v77, v43, v56
	v_mul_f32_e32 v56, v44, v56
	v_fmac_f32_e32 v75, v40, v64
	s_waitcnt vmcnt(5)
	v_fma_f32 v35, v41, v65, -v55
	v_add_f32_e32 v28, v28, v74
	v_add_f32_e32 v29, v29, v34
	s_waitcnt lgkmcnt(0)
	v_mul_f32_e32 v78, v45, v57
	v_mul_f32_e32 v57, v46, v57
	v_fmac_f32_e32 v76, v42, v65
	s_waitcnt vmcnt(4)
	v_fma_f32 v36, v43, v66, -v56
	v_add_f32_e32 v28, v28, v75
	v_add_f32_e32 v29, v29, v35
	v_mul_f32_e32 v79, v47, v58
	v_mul_f32_e32 v58, v48, v58
	v_fmac_f32_e32 v77, v44, v66
	s_waitcnt vmcnt(3)
	v_fma_f32 v37, v45, v67, -v57
	v_add_f32_e32 v28, v28, v76
	v_add_f32_e32 v29, v29, v36
	v_fmac_f32_e32 v78, v46, v67
	s_waitcnt vmcnt(2)
	v_fma_f32 v38, v47, v68, -v58
	v_add_f32_e32 v28, v28, v77
	v_add_f32_e32 v29, v29, v37
	v_fmac_f32_e32 v79, v48, v68
	v_add_f32_e32 v28, v28, v78
	v_add_f32_e32 v29, v29, v38
	;; [unrolled: 1-line block ×3, first 2 shown]
	s_waitcnt vmcnt(1)
	v_sub_f32_e32 v29, v69, v29
	s_waitcnt vmcnt(0)
	v_sub_f32_e32 v28, v70, v28
	buffer_store_dword v29, off, s[0:3], 0 offset:16
	buffer_store_dword v28, off, s[0:3], 0 offset:20
	s_and_saveexec_b64 s[4:5], vcc
	s_cbranch_execz .LBB12_89
; %bb.88:
	buffer_load_dword v28, off, s[0:3], 0 offset:8
	buffer_load_dword v29, off, s[0:3], 0 offset:12
	v_mov_b32_e32 v30, 0
	buffer_store_dword v30, off, s[0:3], 0 offset:8
	buffer_store_dword v30, off, s[0:3], 0 offset:12
	s_waitcnt vmcnt(2)
	ds_write_b64 v27, v[28:29]
.LBB12_89:
	s_or_b64 exec, exec, s[4:5]
	v_mov_b32_e32 v28, 0
	s_waitcnt lgkmcnt(0)
	; wave barrier
	ds_read_b128 v[29:32], v28 offset:128
	ds_read_b128 v[33:36], v28 offset:144
	;; [unrolled: 1-line block ×4, first 2 shown]
	buffer_load_dword v51, off, s[0:3], 0 offset:8
	buffer_load_dword v52, off, s[0:3], 0 offset:12
	buffer_load_dword v53, off, s[0:3], 0 offset:16
	buffer_load_dword v54, off, s[0:3], 0 offset:20
	buffer_load_dword v55, off, s[0:3], 0 offset:24
	buffer_load_dword v56, off, s[0:3], 0 offset:28
	buffer_load_dword v57, off, s[0:3], 0 offset:32
	buffer_load_dword v58, off, s[0:3], 0 offset:36
	buffer_load_dword v59, off, s[0:3], 0 offset:40
	buffer_load_dword v60, off, s[0:3], 0 offset:44
	buffer_load_dword v61, off, s[0:3], 0 offset:48
	buffer_load_dword v62, off, s[0:3], 0 offset:52
	buffer_load_dword v63, off, s[0:3], 0 offset:56
	buffer_load_dword v64, off, s[0:3], 0 offset:60
	buffer_load_dword v65, off, s[0:3], 0 offset:64
	buffer_load_dword v66, off, s[0:3], 0 offset:68
	buffer_load_dword v67, off, s[0:3], 0 offset:72
	buffer_load_dword v68, off, s[0:3], 0 offset:76
	v_cmp_ne_u32_e32 vcc, 0, v0
	s_waitcnt vmcnt(14) lgkmcnt(3)
	v_mul_f32_e32 v45, v29, v54
	v_fmac_f32_e32 v45, v30, v53
	s_waitcnt vmcnt(12)
	v_mul_f32_e32 v46, v31, v56
	v_add_f32_e32 v45, 0, v45
	v_fmac_f32_e32 v46, v32, v55
	v_add_f32_e32 v45, v45, v46
	s_waitcnt vmcnt(10) lgkmcnt(2)
	v_mul_f32_e32 v46, v33, v58
	v_fmac_f32_e32 v46, v34, v57
	v_add_f32_e32 v45, v45, v46
	s_waitcnt vmcnt(8)
	v_mul_f32_e32 v46, v35, v60
	v_fmac_f32_e32 v46, v36, v59
	v_add_f32_e32 v45, v45, v46
	s_waitcnt vmcnt(6) lgkmcnt(1)
	v_mul_f32_e32 v46, v37, v62
	v_fmac_f32_e32 v46, v38, v61
	v_add_f32_e32 v45, v45, v46
	s_waitcnt vmcnt(4)
	v_mul_f32_e32 v46, v39, v64
	;; [unrolled: 8-line block ×3, first 2 shown]
	v_fmac_f32_e32 v46, v44, v67
	v_add_f32_e32 v49, v45, v46
	ds_read_b128 v[45:48], v28 offset:192
	buffer_load_dword v69, off, s[0:3], 0 offset:80
	buffer_load_dword v70, off, s[0:3], 0 offset:84
	;; [unrolled: 1-line block ×4, first 2 shown]
	v_mul_f32_e32 v30, v30, v54
	v_fma_f32 v29, v29, v53, -v30
	v_mul_f32_e32 v30, v32, v56
	v_add_f32_e32 v29, 0, v29
	v_fma_f32 v30, v31, v55, -v30
	v_add_f32_e32 v29, v29, v30
	v_mul_f32_e32 v30, v34, v58
	v_fma_f32 v30, v33, v57, -v30
	v_add_f32_e32 v29, v29, v30
	v_mul_f32_e32 v30, v36, v60
	;; [unrolled: 3-line block ×6, first 2 shown]
	v_fma_f32 v30, v43, v67, -v30
	v_add_f32_e32 v29, v29, v30
	s_waitcnt vmcnt(2) lgkmcnt(0)
	v_mul_f32_e32 v50, v45, v70
	v_fmac_f32_e32 v50, v46, v69
	v_add_f32_e32 v49, v49, v50
	s_waitcnt vmcnt(0)
	v_mul_f32_e32 v50, v47, v72
	v_fmac_f32_e32 v50, v48, v71
	v_add_f32_e32 v73, v49, v50
	ds_read_b64 v[49:50], v28 offset:208
	buffer_load_dword v74, off, s[0:3], 0 offset:96
	buffer_load_dword v75, off, s[0:3], 0 offset:100
	v_mul_f32_e32 v30, v46, v70
	v_fma_f32 v30, v45, v69, -v30
	v_add_f32_e32 v29, v29, v30
	v_mul_f32_e32 v30, v48, v72
	v_fma_f32 v30, v47, v71, -v30
	v_add_f32_e32 v29, v29, v30
	s_waitcnt vmcnt(0) lgkmcnt(0)
	v_mul_f32_e32 v30, v50, v75
	v_mul_f32_e32 v76, v49, v75
	v_fma_f32 v30, v49, v74, -v30
	v_fmac_f32_e32 v76, v50, v74
	v_add_f32_e32 v29, v29, v30
	v_add_f32_e32 v73, v73, v76
	v_sub_f32_e32 v29, v51, v29
	v_sub_f32_e32 v30, v52, v73
	buffer_store_dword v29, off, s[0:3], 0 offset:8
	buffer_store_dword v30, off, s[0:3], 0 offset:12
	s_and_saveexec_b64 s[4:5], vcc
	s_cbranch_execz .LBB12_91
; %bb.90:
	buffer_load_dword v29, off, s[0:3], 0
	buffer_load_dword v30, off, s[0:3], 0 offset:4
	s_waitcnt vmcnt(0)
	ds_write_b64 v27, v[29:30]
	buffer_store_dword v28, off, s[0:3], 0
	buffer_store_dword v28, off, s[0:3], 0 offset:4
.LBB12_91:
	s_or_b64 exec, exec, s[4:5]
	s_waitcnt lgkmcnt(0)
	; wave barrier
	ds_read2_b64 v[29:32], v28 offset0:15 offset1:16
	buffer_load_dword v53, off, s[0:3], 0
	buffer_load_dword v54, off, s[0:3], 0 offset:4
	buffer_load_dword v55, off, s[0:3], 0 offset:8
	;; [unrolled: 1-line block ×15, first 2 shown]
	ds_read2_b64 v[33:36], v28 offset0:17 offset1:18
	ds_read2_b64 v[37:40], v28 offset0:19 offset1:20
	;; [unrolled: 1-line block ×3, first 2 shown]
	buffer_load_dword v69, off, s[0:3], 0 offset:64
	buffer_load_dword v70, off, s[0:3], 0 offset:68
	ds_read2_b64 v[45:48], v28 offset0:23 offset1:24
	buffer_load_dword v71, off, s[0:3], 0 offset:72
	buffer_load_dword v72, off, s[0:3], 0 offset:76
	;; [unrolled: 1-line block ×4, first 2 shown]
	ds_read2_b64 v[49:52], v28 offset0:25 offset1:26
	s_and_b64 vcc, exec, s[22:23]
	s_waitcnt vmcnt(18) lgkmcnt(5)
	v_mul_f32_e32 v0, v29, v56
	v_fmac_f32_e32 v0, v30, v55
	s_waitcnt vmcnt(16)
	v_mul_f32_e32 v27, v31, v58
	v_add_f32_e32 v0, 0, v0
	v_fmac_f32_e32 v27, v32, v57
	v_add_f32_e32 v0, v0, v27
	s_waitcnt vmcnt(14) lgkmcnt(4)
	v_mul_f32_e32 v27, v33, v60
	v_fmac_f32_e32 v27, v34, v59
	v_add_f32_e32 v0, v0, v27
	s_waitcnt vmcnt(12)
	v_mul_f32_e32 v27, v35, v62
	v_fmac_f32_e32 v27, v36, v61
	v_add_f32_e32 v0, v0, v27
	s_waitcnt vmcnt(10) lgkmcnt(3)
	v_mul_f32_e32 v27, v37, v64
	v_fmac_f32_e32 v27, v38, v63
	v_add_f32_e32 v0, v0, v27
	s_waitcnt vmcnt(8)
	v_mul_f32_e32 v27, v39, v66
	;; [unrolled: 8-line block ×4, first 2 shown]
	v_fmac_f32_e32 v27, v48, v73
	v_add_f32_e32 v75, v0, v27
	buffer_load_dword v0, off, s[0:3], 0 offset:92
	buffer_load_dword v27, off, s[0:3], 0 offset:88
	v_mul_f32_e32 v30, v30, v56
	v_fma_f32 v29, v29, v55, -v30
	v_mul_f32_e32 v30, v32, v58
	v_add_f32_e32 v29, 0, v29
	v_fma_f32 v30, v31, v57, -v30
	v_add_f32_e32 v29, v29, v30
	v_mul_f32_e32 v30, v34, v60
	v_fma_f32 v30, v33, v59, -v30
	v_add_f32_e32 v29, v29, v30
	v_mul_f32_e32 v30, v36, v62
	v_fma_f32 v30, v35, v61, -v30
	v_add_f32_e32 v29, v29, v30
	v_mul_f32_e32 v30, v38, v64
	v_fma_f32 v30, v37, v63, -v30
	v_add_f32_e32 v29, v29, v30
	v_mul_f32_e32 v30, v40, v66
	v_fma_f32 v30, v39, v65, -v30
	v_add_f32_e32 v29, v29, v30
	v_mul_f32_e32 v30, v42, v68
	v_fma_f32 v30, v41, v67, -v30
	v_add_f32_e32 v29, v29, v30
	v_mul_f32_e32 v30, v44, v70
	v_fma_f32 v30, v43, v69, -v30
	v_add_f32_e32 v29, v29, v30
	v_mul_f32_e32 v30, v46, v72
	v_fma_f32 v30, v45, v71, -v30
	v_add_f32_e32 v29, v29, v30
	v_mul_f32_e32 v30, v48, v74
	v_fma_f32 v30, v47, v73, -v30
	v_add_f32_e32 v29, v29, v30
	s_waitcnt vmcnt(1) lgkmcnt(0)
	v_mul_f32_e32 v28, v49, v0
	s_waitcnt vmcnt(0)
	v_fmac_f32_e32 v28, v50, v27
	v_add_f32_e32 v28, v75, v28
	buffer_load_dword v75, off, s[0:3], 0 offset:96
	buffer_load_dword v76, off, s[0:3], 0 offset:100
	v_mul_f32_e32 v30, v50, v0
	v_fma_f32 v30, v49, v27, -v30
	v_add_f32_e32 v29, v29, v30
	s_waitcnt vmcnt(0)
	v_mul_f32_e32 v30, v52, v76
	v_mul_f32_e32 v77, v51, v76
	v_fma_f32 v30, v51, v75, -v30
	v_fmac_f32_e32 v77, v52, v75
	v_add_f32_e32 v29, v29, v30
	v_add_f32_e32 v28, v28, v77
	v_sub_f32_e32 v29, v53, v29
	v_sub_f32_e32 v28, v54, v28
	buffer_store_dword v29, off, s[0:3], 0
	buffer_store_dword v28, off, s[0:3], 0 offset:4
	s_cbranch_vccz .LBB12_116
; %bb.92:
	v_mov_b32_e32 v28, 0
	global_load_dword v29, v28, s[20:21] offset:44
	s_waitcnt vmcnt(0)
	v_add_u32_e32 v29, -1, v29
	v_cmp_ne_u32_e32 vcc, 11, v29
	s_cbranch_vccz .LBB12_94
; %bb.93:
	v_lshlrev_b32_e32 v29, 3, v29
	buffer_load_dword v30, v29, s[0:3], 0 offen
	buffer_load_dword v31, v29, s[0:3], 0 offen offset:4
	s_waitcnt vmcnt(1)
	buffer_store_dword v30, off, s[0:3], 0 offset:88
	s_waitcnt vmcnt(1)
	buffer_store_dword v31, off, s[0:3], 0 offset:92
	buffer_store_dword v27, v29, s[0:3], 0 offen
	buffer_store_dword v0, v29, s[0:3], 0 offen offset:4
.LBB12_94:
	global_load_dword v0, v28, s[20:21] offset:40
	s_waitcnt vmcnt(0)
	v_add_u32_e32 v0, -1, v0
	v_cmp_eq_u32_e32 vcc, 10, v0
	s_cbranch_vccnz .LBB12_96
; %bb.95:
	v_lshlrev_b32_e32 v0, 3, v0
	buffer_load_dword v27, v0, s[0:3], 0 offen
	buffer_load_dword v28, v0, s[0:3], 0 offen offset:4
	buffer_load_dword v29, off, s[0:3], 0 offset:84
	buffer_load_dword v30, off, s[0:3], 0 offset:80
	s_waitcnt vmcnt(3)
	buffer_store_dword v27, off, s[0:3], 0 offset:80
	s_waitcnt vmcnt(3)
	buffer_store_dword v28, off, s[0:3], 0 offset:84
	s_waitcnt vmcnt(3)
	buffer_store_dword v29, v0, s[0:3], 0 offen offset:4
	s_waitcnt vmcnt(3)
	buffer_store_dword v30, v0, s[0:3], 0 offen
.LBB12_96:
	v_mov_b32_e32 v0, 0
	global_load_dword v27, v0, s[20:21] offset:36
	s_waitcnt vmcnt(0)
	v_add_u32_e32 v27, -1, v27
	v_cmp_eq_u32_e32 vcc, 9, v27
	s_cbranch_vccnz .LBB12_98
; %bb.97:
	v_lshlrev_b32_e32 v27, 3, v27
	buffer_load_dword v28, v27, s[0:3], 0 offen
	buffer_load_dword v29, v27, s[0:3], 0 offen offset:4
	buffer_load_dword v30, off, s[0:3], 0 offset:72
	buffer_load_dword v31, off, s[0:3], 0 offset:76
	s_waitcnt vmcnt(3)
	buffer_store_dword v28, off, s[0:3], 0 offset:72
	s_waitcnt vmcnt(3)
	buffer_store_dword v29, off, s[0:3], 0 offset:76
	s_waitcnt vmcnt(3)
	buffer_store_dword v30, v27, s[0:3], 0 offen
	s_waitcnt vmcnt(3)
	buffer_store_dword v31, v27, s[0:3], 0 offen offset:4
.LBB12_98:
	global_load_dword v0, v0, s[20:21] offset:32
	s_waitcnt vmcnt(0)
	v_add_u32_e32 v0, -1, v0
	v_cmp_eq_u32_e32 vcc, 8, v0
	s_cbranch_vccnz .LBB12_100
; %bb.99:
	v_lshlrev_b32_e32 v0, 3, v0
	buffer_load_dword v27, v0, s[0:3], 0 offen
	buffer_load_dword v28, v0, s[0:3], 0 offen offset:4
	buffer_load_dword v29, off, s[0:3], 0 offset:68
	buffer_load_dword v30, off, s[0:3], 0 offset:64
	s_waitcnt vmcnt(3)
	buffer_store_dword v27, off, s[0:3], 0 offset:64
	s_waitcnt vmcnt(3)
	buffer_store_dword v28, off, s[0:3], 0 offset:68
	s_waitcnt vmcnt(3)
	buffer_store_dword v29, v0, s[0:3], 0 offen offset:4
	s_waitcnt vmcnt(3)
	buffer_store_dword v30, v0, s[0:3], 0 offen
.LBB12_100:
	v_mov_b32_e32 v0, 0
	global_load_dword v27, v0, s[20:21] offset:28
	s_waitcnt vmcnt(0)
	v_add_u32_e32 v27, -1, v27
	v_cmp_eq_u32_e32 vcc, 7, v27
	s_cbranch_vccnz .LBB12_102
; %bb.101:
	v_lshlrev_b32_e32 v27, 3, v27
	buffer_load_dword v28, v27, s[0:3], 0 offen
	buffer_load_dword v29, v27, s[0:3], 0 offen offset:4
	buffer_load_dword v30, off, s[0:3], 0 offset:56
	buffer_load_dword v31, off, s[0:3], 0 offset:60
	s_waitcnt vmcnt(3)
	buffer_store_dword v28, off, s[0:3], 0 offset:56
	s_waitcnt vmcnt(3)
	buffer_store_dword v29, off, s[0:3], 0 offset:60
	s_waitcnt vmcnt(3)
	buffer_store_dword v30, v27, s[0:3], 0 offen
	s_waitcnt vmcnt(3)
	buffer_store_dword v31, v27, s[0:3], 0 offen offset:4
.LBB12_102:
	global_load_dword v0, v0, s[20:21] offset:24
	s_waitcnt vmcnt(0)
	v_add_u32_e32 v0, -1, v0
	v_cmp_eq_u32_e32 vcc, 6, v0
	s_cbranch_vccnz .LBB12_104
; %bb.103:
	v_lshlrev_b32_e32 v0, 3, v0
	buffer_load_dword v27, v0, s[0:3], 0 offen
	buffer_load_dword v28, v0, s[0:3], 0 offen offset:4
	buffer_load_dword v29, off, s[0:3], 0 offset:52
	buffer_load_dword v30, off, s[0:3], 0 offset:48
	s_waitcnt vmcnt(3)
	buffer_store_dword v27, off, s[0:3], 0 offset:48
	s_waitcnt vmcnt(3)
	buffer_store_dword v28, off, s[0:3], 0 offset:52
	s_waitcnt vmcnt(3)
	buffer_store_dword v29, v0, s[0:3], 0 offen offset:4
	s_waitcnt vmcnt(3)
	buffer_store_dword v30, v0, s[0:3], 0 offen
.LBB12_104:
	v_mov_b32_e32 v0, 0
	global_load_dword v27, v0, s[20:21] offset:20
	s_waitcnt vmcnt(0)
	v_add_u32_e32 v27, -1, v27
	v_cmp_eq_u32_e32 vcc, 5, v27
	s_cbranch_vccnz .LBB12_106
; %bb.105:
	v_lshlrev_b32_e32 v27, 3, v27
	buffer_load_dword v28, v27, s[0:3], 0 offen
	buffer_load_dword v29, v27, s[0:3], 0 offen offset:4
	buffer_load_dword v30, off, s[0:3], 0 offset:40
	buffer_load_dword v31, off, s[0:3], 0 offset:44
	s_waitcnt vmcnt(3)
	buffer_store_dword v28, off, s[0:3], 0 offset:40
	s_waitcnt vmcnt(3)
	buffer_store_dword v29, off, s[0:3], 0 offset:44
	s_waitcnt vmcnt(3)
	buffer_store_dword v30, v27, s[0:3], 0 offen
	s_waitcnt vmcnt(3)
	buffer_store_dword v31, v27, s[0:3], 0 offen offset:4
.LBB12_106:
	global_load_dword v0, v0, s[20:21] offset:16
	s_waitcnt vmcnt(0)
	v_add_u32_e32 v0, -1, v0
	v_cmp_eq_u32_e32 vcc, 4, v0
	s_cbranch_vccnz .LBB12_108
; %bb.107:
	v_lshlrev_b32_e32 v0, 3, v0
	buffer_load_dword v27, v0, s[0:3], 0 offen
	buffer_load_dword v28, v0, s[0:3], 0 offen offset:4
	buffer_load_dword v29, off, s[0:3], 0 offset:36
	buffer_load_dword v30, off, s[0:3], 0 offset:32
	s_waitcnt vmcnt(3)
	buffer_store_dword v27, off, s[0:3], 0 offset:32
	s_waitcnt vmcnt(3)
	buffer_store_dword v28, off, s[0:3], 0 offset:36
	s_waitcnt vmcnt(3)
	buffer_store_dword v29, v0, s[0:3], 0 offen offset:4
	s_waitcnt vmcnt(3)
	buffer_store_dword v30, v0, s[0:3], 0 offen
.LBB12_108:
	v_mov_b32_e32 v0, 0
	global_load_dword v27, v0, s[20:21] offset:12
	s_waitcnt vmcnt(0)
	v_add_u32_e32 v27, -1, v27
	v_cmp_eq_u32_e32 vcc, 3, v27
	s_cbranch_vccnz .LBB12_110
; %bb.109:
	v_lshlrev_b32_e32 v27, 3, v27
	buffer_load_dword v28, v27, s[0:3], 0 offen
	buffer_load_dword v29, v27, s[0:3], 0 offen offset:4
	buffer_load_dword v30, off, s[0:3], 0 offset:24
	buffer_load_dword v31, off, s[0:3], 0 offset:28
	s_waitcnt vmcnt(3)
	buffer_store_dword v28, off, s[0:3], 0 offset:24
	s_waitcnt vmcnt(3)
	buffer_store_dword v29, off, s[0:3], 0 offset:28
	s_waitcnt vmcnt(3)
	buffer_store_dword v30, v27, s[0:3], 0 offen
	s_waitcnt vmcnt(3)
	buffer_store_dword v31, v27, s[0:3], 0 offen offset:4
.LBB12_110:
	global_load_dword v0, v0, s[20:21] offset:8
	s_waitcnt vmcnt(0)
	v_add_u32_e32 v0, -1, v0
	v_cmp_eq_u32_e32 vcc, 2, v0
	s_cbranch_vccnz .LBB12_112
; %bb.111:
	v_lshlrev_b32_e32 v0, 3, v0
	buffer_load_dword v27, v0, s[0:3], 0 offen
	buffer_load_dword v28, v0, s[0:3], 0 offen offset:4
	buffer_load_dword v29, off, s[0:3], 0 offset:20
	buffer_load_dword v30, off, s[0:3], 0 offset:16
	s_waitcnt vmcnt(3)
	buffer_store_dword v27, off, s[0:3], 0 offset:16
	s_waitcnt vmcnt(3)
	buffer_store_dword v28, off, s[0:3], 0 offset:20
	s_waitcnt vmcnt(3)
	buffer_store_dword v29, v0, s[0:3], 0 offen offset:4
	s_waitcnt vmcnt(3)
	buffer_store_dword v30, v0, s[0:3], 0 offen
.LBB12_112:
	v_mov_b32_e32 v0, 0
	global_load_dword v27, v0, s[20:21] offset:4
	s_waitcnt vmcnt(0)
	v_add_u32_e32 v27, -1, v27
	v_cmp_eq_u32_e32 vcc, 1, v27
	s_cbranch_vccnz .LBB12_114
; %bb.113:
	v_lshlrev_b32_e32 v27, 3, v27
	buffer_load_dword v28, v27, s[0:3], 0 offen
	buffer_load_dword v29, v27, s[0:3], 0 offen offset:4
	buffer_load_dword v30, off, s[0:3], 0 offset:8
	buffer_load_dword v31, off, s[0:3], 0 offset:12
	s_waitcnt vmcnt(3)
	buffer_store_dword v28, off, s[0:3], 0 offset:8
	s_waitcnt vmcnt(3)
	buffer_store_dword v29, off, s[0:3], 0 offset:12
	s_waitcnt vmcnt(3)
	buffer_store_dword v30, v27, s[0:3], 0 offen
	s_waitcnt vmcnt(3)
	buffer_store_dword v31, v27, s[0:3], 0 offen offset:4
.LBB12_114:
	global_load_dword v0, v0, s[20:21]
	s_waitcnt vmcnt(0)
	v_add_u32_e32 v0, -1, v0
	v_cmp_eq_u32_e32 vcc, 0, v0
	s_cbranch_vccnz .LBB12_116
; %bb.115:
	v_lshlrev_b32_e32 v0, 3, v0
	buffer_load_dword v27, v0, s[0:3], 0 offen
	buffer_load_dword v28, v0, s[0:3], 0 offen offset:4
	buffer_load_dword v29, off, s[0:3], 0 offset:4
	buffer_load_dword v30, off, s[0:3], 0
	s_waitcnt vmcnt(3)
	buffer_store_dword v27, off, s[0:3], 0
	s_waitcnt vmcnt(3)
	buffer_store_dword v28, off, s[0:3], 0 offset:4
	s_waitcnt vmcnt(3)
	buffer_store_dword v29, v0, s[0:3], 0 offen offset:4
	s_waitcnt vmcnt(3)
	buffer_store_dword v30, v0, s[0:3], 0 offen
.LBB12_116:
	buffer_load_dword v27, off, s[0:3], 0
	buffer_load_dword v28, off, s[0:3], 0 offset:4
	buffer_load_dword v29, off, s[0:3], 0 offset:8
	s_nop 0
	buffer_load_dword v30, off, s[0:3], 0 offset:12
	buffer_load_dword v31, off, s[0:3], 0 offset:16
	;; [unrolled: 1-line block ×23, first 2 shown]
	s_waitcnt vmcnt(24)
	global_store_dwordx2 v[19:20], v[27:28], off
	s_waitcnt vmcnt(23)
	global_store_dwordx2 v[23:24], v[29:30], off
	;; [unrolled: 2-line block ×9, first 2 shown]
	global_store_dwordx2 v[15:16], v[45:46], off
	global_store_dwordx2 v[17:18], v[47:48], off
	;; [unrolled: 1-line block ×3, first 2 shown]
	s_waitcnt vmcnt(12)
	global_store_dwordx2 v[25:26], v[51:52], off
	s_endpgm
	.section	.rodata,"a",@progbits
	.p2align	6, 0x0
	.amdhsa_kernel _ZN9rocsolver6v33100L18getri_kernel_smallILi13E19rocblas_complex_numIfEPS3_EEvT1_iilPiilS6_bb
		.amdhsa_group_segment_fixed_size 216
		.amdhsa_private_segment_fixed_size 112
		.amdhsa_kernarg_size 60
		.amdhsa_user_sgpr_count 6
		.amdhsa_user_sgpr_private_segment_buffer 1
		.amdhsa_user_sgpr_dispatch_ptr 0
		.amdhsa_user_sgpr_queue_ptr 0
		.amdhsa_user_sgpr_kernarg_segment_ptr 1
		.amdhsa_user_sgpr_dispatch_id 0
		.amdhsa_user_sgpr_flat_scratch_init 0
		.amdhsa_user_sgpr_private_segment_size 0
		.amdhsa_uses_dynamic_stack 0
		.amdhsa_system_sgpr_private_segment_wavefront_offset 1
		.amdhsa_system_sgpr_workgroup_id_x 1
		.amdhsa_system_sgpr_workgroup_id_y 0
		.amdhsa_system_sgpr_workgroup_id_z 0
		.amdhsa_system_sgpr_workgroup_info 0
		.amdhsa_system_vgpr_workitem_id 0
		.amdhsa_next_free_vgpr 80
		.amdhsa_next_free_sgpr 24
		.amdhsa_reserve_vcc 1
		.amdhsa_reserve_flat_scratch 0
		.amdhsa_float_round_mode_32 0
		.amdhsa_float_round_mode_16_64 0
		.amdhsa_float_denorm_mode_32 3
		.amdhsa_float_denorm_mode_16_64 3
		.amdhsa_dx10_clamp 1
		.amdhsa_ieee_mode 1
		.amdhsa_fp16_overflow 0
		.amdhsa_exception_fp_ieee_invalid_op 0
		.amdhsa_exception_fp_denorm_src 0
		.amdhsa_exception_fp_ieee_div_zero 0
		.amdhsa_exception_fp_ieee_overflow 0
		.amdhsa_exception_fp_ieee_underflow 0
		.amdhsa_exception_fp_ieee_inexact 0
		.amdhsa_exception_int_div_zero 0
	.end_amdhsa_kernel
	.section	.text._ZN9rocsolver6v33100L18getri_kernel_smallILi13E19rocblas_complex_numIfEPS3_EEvT1_iilPiilS6_bb,"axG",@progbits,_ZN9rocsolver6v33100L18getri_kernel_smallILi13E19rocblas_complex_numIfEPS3_EEvT1_iilPiilS6_bb,comdat
.Lfunc_end12:
	.size	_ZN9rocsolver6v33100L18getri_kernel_smallILi13E19rocblas_complex_numIfEPS3_EEvT1_iilPiilS6_bb, .Lfunc_end12-_ZN9rocsolver6v33100L18getri_kernel_smallILi13E19rocblas_complex_numIfEPS3_EEvT1_iilPiilS6_bb
                                        ; -- End function
	.set _ZN9rocsolver6v33100L18getri_kernel_smallILi13E19rocblas_complex_numIfEPS3_EEvT1_iilPiilS6_bb.num_vgpr, 80
	.set _ZN9rocsolver6v33100L18getri_kernel_smallILi13E19rocblas_complex_numIfEPS3_EEvT1_iilPiilS6_bb.num_agpr, 0
	.set _ZN9rocsolver6v33100L18getri_kernel_smallILi13E19rocblas_complex_numIfEPS3_EEvT1_iilPiilS6_bb.numbered_sgpr, 24
	.set _ZN9rocsolver6v33100L18getri_kernel_smallILi13E19rocblas_complex_numIfEPS3_EEvT1_iilPiilS6_bb.num_named_barrier, 0
	.set _ZN9rocsolver6v33100L18getri_kernel_smallILi13E19rocblas_complex_numIfEPS3_EEvT1_iilPiilS6_bb.private_seg_size, 112
	.set _ZN9rocsolver6v33100L18getri_kernel_smallILi13E19rocblas_complex_numIfEPS3_EEvT1_iilPiilS6_bb.uses_vcc, 1
	.set _ZN9rocsolver6v33100L18getri_kernel_smallILi13E19rocblas_complex_numIfEPS3_EEvT1_iilPiilS6_bb.uses_flat_scratch, 0
	.set _ZN9rocsolver6v33100L18getri_kernel_smallILi13E19rocblas_complex_numIfEPS3_EEvT1_iilPiilS6_bb.has_dyn_sized_stack, 0
	.set _ZN9rocsolver6v33100L18getri_kernel_smallILi13E19rocblas_complex_numIfEPS3_EEvT1_iilPiilS6_bb.has_recursion, 0
	.set _ZN9rocsolver6v33100L18getri_kernel_smallILi13E19rocblas_complex_numIfEPS3_EEvT1_iilPiilS6_bb.has_indirect_call, 0
	.section	.AMDGPU.csdata,"",@progbits
; Kernel info:
; codeLenInByte = 11532
; TotalNumSgprs: 28
; NumVgprs: 80
; ScratchSize: 112
; MemoryBound: 0
; FloatMode: 240
; IeeeMode: 1
; LDSByteSize: 216 bytes/workgroup (compile time only)
; SGPRBlocks: 3
; VGPRBlocks: 19
; NumSGPRsForWavesPerEU: 28
; NumVGPRsForWavesPerEU: 80
; Occupancy: 3
; WaveLimiterHint : 1
; COMPUTE_PGM_RSRC2:SCRATCH_EN: 1
; COMPUTE_PGM_RSRC2:USER_SGPR: 6
; COMPUTE_PGM_RSRC2:TRAP_HANDLER: 0
; COMPUTE_PGM_RSRC2:TGID_X_EN: 1
; COMPUTE_PGM_RSRC2:TGID_Y_EN: 0
; COMPUTE_PGM_RSRC2:TGID_Z_EN: 0
; COMPUTE_PGM_RSRC2:TIDIG_COMP_CNT: 0
	.section	.text._ZN9rocsolver6v33100L18getri_kernel_smallILi14E19rocblas_complex_numIfEPS3_EEvT1_iilPiilS6_bb,"axG",@progbits,_ZN9rocsolver6v33100L18getri_kernel_smallILi14E19rocblas_complex_numIfEPS3_EEvT1_iilPiilS6_bb,comdat
	.globl	_ZN9rocsolver6v33100L18getri_kernel_smallILi14E19rocblas_complex_numIfEPS3_EEvT1_iilPiilS6_bb ; -- Begin function _ZN9rocsolver6v33100L18getri_kernel_smallILi14E19rocblas_complex_numIfEPS3_EEvT1_iilPiilS6_bb
	.p2align	8
	.type	_ZN9rocsolver6v33100L18getri_kernel_smallILi14E19rocblas_complex_numIfEPS3_EEvT1_iilPiilS6_bb,@function
_ZN9rocsolver6v33100L18getri_kernel_smallILi14E19rocblas_complex_numIfEPS3_EEvT1_iilPiilS6_bb: ; @_ZN9rocsolver6v33100L18getri_kernel_smallILi14E19rocblas_complex_numIfEPS3_EEvT1_iilPiilS6_bb
; %bb.0:
	s_add_u32 s0, s0, s7
	s_addc_u32 s1, s1, 0
	v_cmp_gt_u32_e32 vcc, 14, v0
	s_and_saveexec_b64 s[8:9], vcc
	s_cbranch_execz .LBB13_70
; %bb.1:
	s_load_dword s12, s[4:5], 0x38
	s_load_dwordx4 s[16:19], s[4:5], 0x10
	s_load_dwordx4 s[8:11], s[4:5], 0x28
                                        ; implicit-def: $sgpr20_sgpr21
	s_waitcnt lgkmcnt(0)
	s_bitcmp1_b32 s12, 8
	s_cselect_b64 s[22:23], -1, 0
	s_ashr_i32 s7, s6, 31
	s_bfe_u32 s12, s12, 0x10008
	s_cmp_eq_u32 s12, 0
	s_cbranch_scc1 .LBB13_3
; %bb.2:
	s_load_dword s12, s[4:5], 0x20
	s_mul_i32 s13, s8, s7
	s_mul_hi_u32 s14, s8, s6
	s_mul_i32 s9, s9, s6
	s_add_i32 s14, s14, s13
	s_add_i32 s9, s14, s9
	s_mul_i32 s8, s8, s6
	s_waitcnt lgkmcnt(0)
	s_ashr_i32 s13, s12, 31
	s_lshl_b64 s[8:9], s[8:9], 2
	s_add_u32 s14, s18, s8
	s_addc_u32 s15, s19, s9
	s_lshl_b64 s[8:9], s[12:13], 2
	s_add_u32 s20, s14, s8
	s_addc_u32 s21, s15, s9
.LBB13_3:
	s_load_dwordx4 s[12:15], s[4:5], 0x0
	s_load_dword s8, s[4:5], 0x38
	s_mul_i32 s9, s16, s7
	s_mul_hi_u32 s18, s16, s6
	s_add_i32 s9, s18, s9
	s_waitcnt lgkmcnt(0)
	s_ashr_i32 s5, s14, 31
	s_mov_b32 s4, s14
	s_mul_i32 s14, s17, s6
	s_add_i32 s17, s9, s14
	s_mul_i32 s16, s16, s6
	s_lshl_b64 s[16:17], s[16:17], 3
	s_add_u32 s9, s12, s16
	s_addc_u32 s12, s13, s17
	s_lshl_b64 s[4:5], s[4:5], 3
	s_add_u32 s4, s9, s4
	s_addc_u32 s5, s12, s5
	s_add_i32 s9, s15, s15
	v_add_u32_e32 v3, s9, v0
	v_ashrrev_i32_e32 v4, 31, v3
	v_lshlrev_b64 v[1:2], 3, v[3:4]
	v_add_u32_e32 v5, s15, v3
	v_mov_b32_e32 v4, s5
	v_add_co_u32_e32 v1, vcc, s4, v1
	v_ashrrev_i32_e32 v6, 31, v5
	v_addc_co_u32_e32 v2, vcc, v4, v2, vcc
	v_lshlrev_b64 v[3:4], 3, v[5:6]
	v_add_u32_e32 v7, s15, v5
	v_mov_b32_e32 v6, s5
	v_add_co_u32_e32 v3, vcc, s4, v3
	v_ashrrev_i32_e32 v8, 31, v7
	v_addc_co_u32_e32 v4, vcc, v6, v4, vcc
	;; [unrolled: 6-line block ×8, first 2 shown]
	v_lshlrev_b64 v[17:18], 3, v[19:20]
	v_mov_b32_e32 v21, s5
	v_add_co_u32_e32 v17, vcc, s4, v17
	v_addc_co_u32_e32 v18, vcc, v21, v18, vcc
	v_add_u32_e32 v21, s15, v19
	v_ashrrev_i32_e32 v22, 31, v21
	v_lshlrev_b64 v[19:20], 3, v[21:22]
	v_mov_b32_e32 v23, s5
	v_add_co_u32_e32 v19, vcc, s4, v19
	v_addc_co_u32_e32 v20, vcc, v23, v20, vcc
	v_lshlrev_b32_e32 v31, 3, v0
	v_add_u32_e32 v27, s15, v21
	v_mov_b32_e32 v22, s5
	v_add_co_u32_e32 v21, vcc, s4, v31
	s_ashr_i32 s13, s15, 31
	s_mov_b32 s12, s15
	v_ashrrev_i32_e32 v28, 31, v27
	v_addc_co_u32_e32 v22, vcc, 0, v22, vcc
	s_lshl_b64 s[12:13], s[12:13], 3
	v_lshlrev_b64 v[23:24], 3, v[27:28]
	v_mov_b32_e32 v26, s13
	v_add_co_u32_e32 v25, vcc, s12, v21
	v_addc_co_u32_e32 v26, vcc, v22, v26, vcc
	v_mov_b32_e32 v40, s5
	v_add_co_u32_e32 v23, vcc, s4, v23
	global_load_dwordx2 v[29:30], v31, s[4:5]
	global_load_dwordx2 v[32:33], v[25:26], off
	global_load_dwordx2 v[34:35], v[1:2], off
	global_load_dwordx2 v[36:37], v[3:4], off
	global_load_dwordx2 v[38:39], v[5:6], off
	v_addc_co_u32_e32 v24, vcc, v40, v24, vcc
	global_load_dwordx2 v[40:41], v[7:8], off
	global_load_dwordx2 v[42:43], v[9:10], off
	;; [unrolled: 1-line block ×8, first 2 shown]
	v_add_u32_e32 v27, s15, v27
	v_ashrrev_i32_e32 v28, 31, v27
	v_lshlrev_b64 v[27:28], 3, v[27:28]
	v_mov_b32_e32 v56, s5
	v_add_co_u32_e32 v27, vcc, s4, v27
	v_addc_co_u32_e32 v28, vcc, v56, v28, vcc
	global_load_dwordx2 v[56:57], v[27:28], off
	s_bitcmp0_b32 s8, 0
	s_mov_b64 s[8:9], -1
	s_waitcnt vmcnt(13)
	buffer_store_dword v30, off, s[0:3], 0 offset:4
	buffer_store_dword v29, off, s[0:3], 0
	s_waitcnt vmcnt(14)
	buffer_store_dword v33, off, s[0:3], 0 offset:12
	buffer_store_dword v32, off, s[0:3], 0 offset:8
	s_waitcnt vmcnt(15)
	buffer_store_dword v35, off, s[0:3], 0 offset:20
	buffer_store_dword v34, off, s[0:3], 0 offset:16
	;; [unrolled: 3-line block ×13, first 2 shown]
	s_cbranch_scc1 .LBB13_68
; %bb.4:
	v_cmp_eq_u32_e64 s[4:5], 0, v0
	s_and_saveexec_b64 s[8:9], s[4:5]
; %bb.5:
	v_mov_b32_e32 v29, 0
	ds_write_b32 v29, v29 offset:224
; %bb.6:
	s_or_b64 exec, exec, s[8:9]
	v_mov_b32_e32 v29, 0
	v_lshl_add_u32 v33, v0, 3, v29
	s_waitcnt lgkmcnt(0)
	; wave barrier
	buffer_load_dword v29, v33, s[0:3], 0 offen
	buffer_load_dword v30, v33, s[0:3], 0 offen offset:4
	s_waitcnt vmcnt(1)
	v_cmp_eq_f32_e32 vcc, 0, v29
	s_waitcnt vmcnt(0)
	v_cmp_eq_f32_e64 s[8:9], 0, v30
	s_and_b64 s[8:9], vcc, s[8:9]
	s_and_saveexec_b64 s[12:13], s[8:9]
	s_cbranch_execz .LBB13_10
; %bb.7:
	v_mov_b32_e32 v29, 0
	ds_read_b32 v32, v29 offset:224
	v_add_u32_e32 v30, 1, v0
	s_waitcnt lgkmcnt(0)
	v_readfirstlane_b32 s8, v32
	s_cmp_eq_u32 s8, 0
	s_cselect_b64 s[14:15], -1, 0
	v_cmp_gt_i32_e32 vcc, s8, v30
	s_or_b64 s[14:15], s[14:15], vcc
	s_and_b64 exec, exec, s[14:15]
	s_cbranch_execz .LBB13_10
; %bb.8:
	s_mov_b64 s[14:15], 0
	v_mov_b32_e32 v32, s8
.LBB13_9:                               ; =>This Inner Loop Header: Depth=1
	ds_cmpst_rtn_b32 v32, v29, v32, v30 offset:224
	s_waitcnt lgkmcnt(0)
	v_cmp_ne_u32_e32 vcc, 0, v32
	v_cmp_le_i32_e64 s[8:9], v32, v30
	s_and_b64 s[8:9], vcc, s[8:9]
	s_and_b64 s[8:9], exec, s[8:9]
	s_or_b64 s[14:15], s[8:9], s[14:15]
	s_andn2_b64 exec, exec, s[14:15]
	s_cbranch_execnz .LBB13_9
.LBB13_10:
	s_or_b64 exec, exec, s[12:13]
	v_mov_b32_e32 v30, 0
	; wave barrier
	ds_read_b32 v29, v30 offset:224
	s_and_saveexec_b64 s[8:9], s[4:5]
	s_cbranch_execz .LBB13_12
; %bb.11:
	s_lshl_b64 s[12:13], s[6:7], 2
	s_add_u32 s12, s10, s12
	s_addc_u32 s13, s11, s13
	s_waitcnt lgkmcnt(0)
	global_store_dword v30, v29, s[12:13]
.LBB13_12:
	s_or_b64 exec, exec, s[8:9]
	s_waitcnt lgkmcnt(0)
	v_cmp_ne_u32_e32 vcc, 0, v29
	s_mov_b64 s[8:9], 0
	s_cbranch_vccnz .LBB13_68
; %bb.13:
	buffer_load_dword v30, v33, s[0:3], 0 offen
	buffer_load_dword v32, v33, s[0:3], 0 offen offset:4
                                        ; implicit-def: $vgpr35
                                        ; implicit-def: $vgpr34
                                        ; implicit-def: $vgpr29
	s_waitcnt vmcnt(0)
	v_cmp_ngt_f32_e64 s[8:9], |v30|, |v32|
	s_and_saveexec_b64 s[12:13], s[8:9]
	s_xor_b64 s[8:9], exec, s[12:13]
	s_cbranch_execz .LBB13_15
; %bb.14:
	v_div_scale_f32 v29, s[12:13], v32, v32, v30
	v_div_scale_f32 v34, vcc, v30, v32, v30
	v_rcp_f32_e32 v35, v29
	v_fma_f32 v36, -v29, v35, 1.0
	v_fmac_f32_e32 v35, v36, v35
	v_mul_f32_e32 v36, v34, v35
	v_fma_f32 v37, -v29, v36, v34
	v_fmac_f32_e32 v36, v37, v35
	v_fma_f32 v29, -v29, v36, v34
	v_div_fmas_f32 v29, v29, v35, v36
	v_div_fixup_f32 v29, v29, v32, v30
	v_fmac_f32_e32 v32, v30, v29
	v_div_scale_f32 v30, s[12:13], v32, v32, 1.0
	v_div_scale_f32 v34, vcc, 1.0, v32, 1.0
	v_rcp_f32_e32 v35, v30
	v_fma_f32 v36, -v30, v35, 1.0
	v_fmac_f32_e32 v35, v36, v35
	v_mul_f32_e32 v36, v34, v35
	v_fma_f32 v37, -v30, v36, v34
	v_fmac_f32_e32 v36, v37, v35
	v_fma_f32 v30, -v30, v36, v34
	v_div_fmas_f32 v30, v30, v35, v36
	v_div_fixup_f32 v30, v30, v32, 1.0
	v_mul_f32_e32 v35, v29, v30
	v_xor_b32_e32 v34, 0x80000000, v30
	v_xor_b32_e32 v29, 0x80000000, v35
                                        ; implicit-def: $vgpr30
                                        ; implicit-def: $vgpr32
.LBB13_15:
	s_andn2_saveexec_b64 s[8:9], s[8:9]
	s_cbranch_execz .LBB13_17
; %bb.16:
	v_div_scale_f32 v29, s[12:13], v30, v30, v32
	v_div_scale_f32 v34, vcc, v32, v30, v32
	v_rcp_f32_e32 v35, v29
	v_fma_f32 v36, -v29, v35, 1.0
	v_fmac_f32_e32 v35, v36, v35
	v_mul_f32_e32 v36, v34, v35
	v_fma_f32 v37, -v29, v36, v34
	v_fmac_f32_e32 v36, v37, v35
	v_fma_f32 v29, -v29, v36, v34
	v_div_fmas_f32 v29, v29, v35, v36
	v_div_fixup_f32 v34, v29, v30, v32
	v_fmac_f32_e32 v30, v32, v34
	v_div_scale_f32 v29, s[12:13], v30, v30, 1.0
	v_div_scale_f32 v32, vcc, 1.0, v30, 1.0
	v_rcp_f32_e32 v35, v29
	v_fma_f32 v36, -v29, v35, 1.0
	v_fmac_f32_e32 v35, v36, v35
	v_mul_f32_e32 v36, v32, v35
	v_fma_f32 v37, -v29, v36, v32
	v_fmac_f32_e32 v36, v37, v35
	v_fma_f32 v29, -v29, v36, v32
	v_div_fmas_f32 v29, v29, v35, v36
	v_div_fixup_f32 v35, v29, v30, 1.0
	v_xor_b32_e32 v29, 0x80000000, v35
	v_mul_f32_e64 v34, v34, -v35
.LBB13_17:
	s_or_b64 exec, exec, s[8:9]
	buffer_store_dword v35, v33, s[0:3], 0 offen
	buffer_store_dword v34, v33, s[0:3], 0 offen offset:4
	buffer_load_dword v36, off, s[0:3], 0 offset:12
	s_nop 0
	buffer_load_dword v35, off, s[0:3], 0 offset:8
	v_xor_b32_e32 v30, 0x80000000, v34
	v_add_u32_e32 v32, 0x70, v31
	s_waitcnt vmcnt(0)
	ds_write2_b64 v31, v[29:30], v[35:36] offset1:14
	s_waitcnt lgkmcnt(0)
	; wave barrier
	s_and_saveexec_b64 s[8:9], s[4:5]
	s_cbranch_execz .LBB13_19
; %bb.18:
	buffer_load_dword v36, v33, s[0:3], 0 offen offset:4
	buffer_load_dword v37, v33, s[0:3], 0 offen
	ds_read_b64 v[29:30], v32
	v_mov_b32_e32 v34, 0
	ds_read_b64 v[34:35], v34 offset:8
	s_waitcnt vmcnt(1) lgkmcnt(1)
	v_mul_f32_e32 v38, v30, v36
	v_mul_f32_e32 v36, v29, v36
	s_waitcnt vmcnt(0)
	v_fmac_f32_e32 v36, v30, v37
	v_fma_f32 v29, v29, v37, -v38
	v_add_f32_e32 v30, 0, v36
	v_add_f32_e32 v29, 0, v29
	s_waitcnt lgkmcnt(0)
	v_mul_f32_e32 v36, v30, v35
	v_mul_f32_e32 v35, v29, v35
	v_fma_f32 v29, v29, v34, -v36
	v_fmac_f32_e32 v35, v30, v34
	buffer_store_dword v29, off, s[0:3], 0 offset:8
	buffer_store_dword v35, off, s[0:3], 0 offset:12
.LBB13_19:
	s_or_b64 exec, exec, s[8:9]
	; wave barrier
	buffer_load_dword v29, off, s[0:3], 0 offset:16
	buffer_load_dword v30, off, s[0:3], 0 offset:20
	v_cmp_gt_u32_e32 vcc, 2, v0
	s_waitcnt vmcnt(0)
	ds_write_b64 v32, v[29:30]
	s_waitcnt lgkmcnt(0)
	; wave barrier
	s_and_saveexec_b64 s[8:9], vcc
	s_cbranch_execz .LBB13_23
; %bb.20:
	buffer_load_dword v34, v33, s[0:3], 0 offen offset:4
	buffer_load_dword v35, v33, s[0:3], 0 offen
	ds_read_b64 v[29:30], v32
	s_waitcnt vmcnt(1) lgkmcnt(0)
	v_mul_f32_e32 v33, v30, v34
	v_mul_f32_e32 v34, v29, v34
	s_waitcnt vmcnt(0)
	v_fma_f32 v29, v29, v35, -v33
	v_fmac_f32_e32 v34, v30, v35
	v_add_f32_e32 v30, 0, v29
	v_add_f32_e32 v29, 0, v34
	s_and_saveexec_b64 s[12:13], s[4:5]
	s_cbranch_execz .LBB13_22
; %bb.21:
	buffer_load_dword v35, off, s[0:3], 0 offset:12
	buffer_load_dword v36, off, s[0:3], 0 offset:8
	v_mov_b32_e32 v33, 0
	ds_read_b64 v[33:34], v33 offset:120
	s_waitcnt vmcnt(1) lgkmcnt(0)
	v_mul_f32_e32 v37, v33, v35
	v_mul_f32_e32 v35, v34, v35
	s_waitcnt vmcnt(0)
	v_fmac_f32_e32 v37, v34, v36
	v_fma_f32 v33, v33, v36, -v35
	v_add_f32_e32 v29, v29, v37
	v_add_f32_e32 v30, v30, v33
.LBB13_22:
	s_or_b64 exec, exec, s[12:13]
	v_mov_b32_e32 v33, 0
	ds_read_b64 v[33:34], v33 offset:16
	s_waitcnt lgkmcnt(0)
	v_mul_f32_e32 v35, v29, v34
	v_mul_f32_e32 v34, v30, v34
	v_fma_f32 v30, v30, v33, -v35
	v_fmac_f32_e32 v34, v29, v33
	buffer_store_dword v30, off, s[0:3], 0 offset:16
	buffer_store_dword v34, off, s[0:3], 0 offset:20
.LBB13_23:
	s_or_b64 exec, exec, s[8:9]
	; wave barrier
	buffer_load_dword v29, off, s[0:3], 0 offset:24
	buffer_load_dword v30, off, s[0:3], 0 offset:28
	v_cmp_gt_u32_e32 vcc, 3, v0
	s_waitcnt vmcnt(0)
	ds_write_b64 v32, v[29:30]
	v_add_u32_e32 v29, -1, v0
	s_waitcnt lgkmcnt(0)
	; wave barrier
	s_and_saveexec_b64 s[4:5], vcc
	s_cbranch_execz .LBB13_27
; %bb.24:
	v_add_u32_e32 v33, -1, v0
	v_add_u32_e32 v34, 0x70, v31
	v_mov_b32_e32 v35, v31
	v_mov_b32_e32 v30, 0
	s_mov_b64 s[8:9], 0
	v_mov_b32_e32 v36, 0
.LBB13_25:                              ; =>This Inner Loop Header: Depth=1
	buffer_load_dword v39, v35, s[0:3], 0 offen offset:4
	buffer_load_dword v40, v35, s[0:3], 0 offen
	ds_read_b64 v[37:38], v34
	v_add_u32_e32 v33, 1, v33
	v_cmp_lt_u32_e32 vcc, 1, v33
	v_add_u32_e32 v34, 8, v34
	v_add_u32_e32 v35, 8, v35
	s_or_b64 s[8:9], vcc, s[8:9]
	s_waitcnt vmcnt(1) lgkmcnt(0)
	v_mul_f32_e32 v41, v38, v39
	v_mul_f32_e32 v39, v37, v39
	s_waitcnt vmcnt(0)
	v_fma_f32 v37, v37, v40, -v41
	v_fmac_f32_e32 v39, v38, v40
	v_add_f32_e32 v36, v36, v37
	v_add_f32_e32 v30, v30, v39
	s_andn2_b64 exec, exec, s[8:9]
	s_cbranch_execnz .LBB13_25
; %bb.26:
	s_or_b64 exec, exec, s[8:9]
	v_mov_b32_e32 v33, 0
	ds_read_b64 v[33:34], v33 offset:24
	s_waitcnt lgkmcnt(0)
	v_mul_f32_e32 v35, v30, v34
	v_mul_f32_e32 v34, v36, v34
	v_fma_f32 v35, v36, v33, -v35
	v_fmac_f32_e32 v34, v30, v33
	buffer_store_dword v35, off, s[0:3], 0 offset:24
	buffer_store_dword v34, off, s[0:3], 0 offset:28
.LBB13_27:
	s_or_b64 exec, exec, s[4:5]
	; wave barrier
	buffer_load_dword v33, off, s[0:3], 0 offset:32
	buffer_load_dword v34, off, s[0:3], 0 offset:36
	v_cmp_gt_u32_e32 vcc, 4, v0
	s_waitcnt vmcnt(0)
	ds_write_b64 v32, v[33:34]
	s_waitcnt lgkmcnt(0)
	; wave barrier
	s_and_saveexec_b64 s[4:5], vcc
	s_cbranch_execz .LBB13_31
; %bb.28:
	v_add_u32_e32 v33, -1, v0
	v_add_u32_e32 v34, 0x70, v31
	v_mov_b32_e32 v35, v31
	v_mov_b32_e32 v30, 0
	s_mov_b64 s[8:9], 0
	v_mov_b32_e32 v36, 0
.LBB13_29:                              ; =>This Inner Loop Header: Depth=1
	buffer_load_dword v39, v35, s[0:3], 0 offen offset:4
	buffer_load_dword v40, v35, s[0:3], 0 offen
	ds_read_b64 v[37:38], v34
	v_add_u32_e32 v33, 1, v33
	v_cmp_lt_u32_e32 vcc, 2, v33
	v_add_u32_e32 v34, 8, v34
	v_add_u32_e32 v35, 8, v35
	s_or_b64 s[8:9], vcc, s[8:9]
	s_waitcnt vmcnt(1) lgkmcnt(0)
	v_mul_f32_e32 v41, v38, v39
	v_mul_f32_e32 v39, v37, v39
	s_waitcnt vmcnt(0)
	v_fma_f32 v37, v37, v40, -v41
	v_fmac_f32_e32 v39, v38, v40
	v_add_f32_e32 v36, v36, v37
	v_add_f32_e32 v30, v30, v39
	s_andn2_b64 exec, exec, s[8:9]
	s_cbranch_execnz .LBB13_29
; %bb.30:
	s_or_b64 exec, exec, s[8:9]
	v_mov_b32_e32 v33, 0
	ds_read_b64 v[33:34], v33 offset:32
	s_waitcnt lgkmcnt(0)
	v_mul_f32_e32 v35, v30, v34
	v_mul_f32_e32 v34, v36, v34
	v_fma_f32 v35, v36, v33, -v35
	v_fmac_f32_e32 v34, v30, v33
	buffer_store_dword v35, off, s[0:3], 0 offset:32
	buffer_store_dword v34, off, s[0:3], 0 offset:36
.LBB13_31:
	s_or_b64 exec, exec, s[4:5]
	; wave barrier
	buffer_load_dword v33, off, s[0:3], 0 offset:40
	buffer_load_dword v34, off, s[0:3], 0 offset:44
	v_cmp_gt_u32_e32 vcc, 5, v0
	s_waitcnt vmcnt(0)
	ds_write_b64 v32, v[33:34]
	;; [unrolled: 49-line block ×9, first 2 shown]
	s_waitcnt lgkmcnt(0)
	; wave barrier
	s_and_saveexec_b64 s[4:5], vcc
	s_cbranch_execz .LBB13_63
; %bb.60:
	v_add_u32_e32 v33, -1, v0
	v_add_u32_e32 v34, 0x70, v31
	v_mov_b32_e32 v35, v31
	v_mov_b32_e32 v30, 0
	s_mov_b64 s[8:9], 0
	v_mov_b32_e32 v36, 0
.LBB13_61:                              ; =>This Inner Loop Header: Depth=1
	buffer_load_dword v39, v35, s[0:3], 0 offen offset:4
	buffer_load_dword v40, v35, s[0:3], 0 offen
	ds_read_b64 v[37:38], v34
	v_add_u32_e32 v33, 1, v33
	v_cmp_lt_u32_e32 vcc, 10, v33
	v_add_u32_e32 v34, 8, v34
	v_add_u32_e32 v35, 8, v35
	s_or_b64 s[8:9], vcc, s[8:9]
	s_waitcnt vmcnt(1) lgkmcnt(0)
	v_mul_f32_e32 v41, v38, v39
	v_mul_f32_e32 v39, v37, v39
	s_waitcnt vmcnt(0)
	v_fma_f32 v37, v37, v40, -v41
	v_fmac_f32_e32 v39, v38, v40
	v_add_f32_e32 v36, v36, v37
	v_add_f32_e32 v30, v30, v39
	s_andn2_b64 exec, exec, s[8:9]
	s_cbranch_execnz .LBB13_61
; %bb.62:
	s_or_b64 exec, exec, s[8:9]
	v_mov_b32_e32 v33, 0
	ds_read_b64 v[33:34], v33 offset:96
	s_waitcnt lgkmcnt(0)
	v_mul_f32_e32 v35, v30, v34
	v_mul_f32_e32 v34, v36, v34
	v_fma_f32 v35, v36, v33, -v35
	v_fmac_f32_e32 v34, v30, v33
	buffer_store_dword v35, off, s[0:3], 0 offset:96
	buffer_store_dword v34, off, s[0:3], 0 offset:100
.LBB13_63:
	s_or_b64 exec, exec, s[4:5]
	; wave barrier
	buffer_load_dword v33, off, s[0:3], 0 offset:104
	buffer_load_dword v34, off, s[0:3], 0 offset:108
	v_cmp_ne_u32_e32 vcc, 13, v0
	s_waitcnt vmcnt(0)
	ds_write_b64 v32, v[33:34]
	s_waitcnt lgkmcnt(0)
	; wave barrier
	s_and_saveexec_b64 s[4:5], vcc
	s_cbranch_execz .LBB13_67
; %bb.64:
	v_add_u32_e32 v32, 0x70, v31
	v_mov_b32_e32 v30, 0
	s_mov_b64 s[8:9], 0
	v_mov_b32_e32 v33, 0
.LBB13_65:                              ; =>This Inner Loop Header: Depth=1
	buffer_load_dword v36, v31, s[0:3], 0 offen offset:4
	buffer_load_dword v37, v31, s[0:3], 0 offen
	ds_read_b64 v[34:35], v32
	v_add_u32_e32 v29, 1, v29
	v_cmp_lt_u32_e32 vcc, 11, v29
	v_add_u32_e32 v32, 8, v32
	v_add_u32_e32 v31, 8, v31
	s_or_b64 s[8:9], vcc, s[8:9]
	s_waitcnt vmcnt(1) lgkmcnt(0)
	v_mul_f32_e32 v38, v35, v36
	v_mul_f32_e32 v36, v34, v36
	s_waitcnt vmcnt(0)
	v_fma_f32 v34, v34, v37, -v38
	v_fmac_f32_e32 v36, v35, v37
	v_add_f32_e32 v33, v33, v34
	v_add_f32_e32 v30, v30, v36
	s_andn2_b64 exec, exec, s[8:9]
	s_cbranch_execnz .LBB13_65
; %bb.66:
	s_or_b64 exec, exec, s[8:9]
	v_mov_b32_e32 v29, 0
	ds_read_b64 v[31:32], v29 offset:104
	s_waitcnt lgkmcnt(0)
	v_mul_f32_e32 v29, v30, v32
	v_mul_f32_e32 v32, v33, v32
	v_fma_f32 v29, v33, v31, -v29
	v_fmac_f32_e32 v32, v30, v31
	buffer_store_dword v29, off, s[0:3], 0 offset:104
	buffer_store_dword v32, off, s[0:3], 0 offset:108
.LBB13_67:
	s_or_b64 exec, exec, s[4:5]
	s_mov_b64 s[8:9], -1
	; wave barrier
.LBB13_68:
	s_and_b64 vcc, exec, s[8:9]
	s_cbranch_vccz .LBB13_70
; %bb.69:
	s_lshl_b64 s[4:5], s[6:7], 2
	s_add_u32 s4, s10, s4
	s_addc_u32 s5, s11, s5
	v_mov_b32_e32 v29, 0
	global_load_dword v29, v29, s[4:5]
	s_waitcnt vmcnt(0)
	v_cmp_ne_u32_e32 vcc, 0, v29
	s_cbranch_vccz .LBB13_71
.LBB13_70:
	s_endpgm
.LBB13_71:
	v_mov_b32_e32 v29, 0x70
	v_lshl_add_u32 v29, v0, 3, v29
	v_cmp_eq_u32_e32 vcc, 13, v0
	s_and_saveexec_b64 s[4:5], vcc
	s_cbranch_execz .LBB13_73
; %bb.72:
	buffer_load_dword v30, off, s[0:3], 0 offset:96
	buffer_load_dword v31, off, s[0:3], 0 offset:100
	v_mov_b32_e32 v32, 0
	buffer_store_dword v32, off, s[0:3], 0 offset:96
	buffer_store_dword v32, off, s[0:3], 0 offset:100
	s_waitcnt vmcnt(2)
	ds_write_b64 v29, v[30:31]
.LBB13_73:
	s_or_b64 exec, exec, s[4:5]
	s_waitcnt lgkmcnt(0)
	; wave barrier
	buffer_load_dword v33, off, s[0:3], 0 offset:108
	buffer_load_dword v34, off, s[0:3], 0 offset:104
	;; [unrolled: 1-line block ×4, first 2 shown]
	v_mov_b32_e32 v30, 0
	ds_read_b64 v[31:32], v30 offset:216
	v_cmp_lt_u32_e32 vcc, 11, v0
	s_waitcnt vmcnt(3) lgkmcnt(0)
	v_mul_f32_e32 v37, v31, v33
	v_mul_f32_e32 v33, v32, v33
	s_waitcnt vmcnt(2)
	v_fma_f32 v31, v31, v34, -v33
	v_fmac_f32_e32 v37, v32, v34
	v_add_f32_e32 v31, 0, v31
	v_add_f32_e32 v32, 0, v37
	s_waitcnt vmcnt(1)
	v_sub_f32_e32 v31, v35, v31
	s_waitcnt vmcnt(0)
	v_sub_f32_e32 v32, v36, v32
	buffer_store_dword v31, off, s[0:3], 0 offset:96
	buffer_store_dword v32, off, s[0:3], 0 offset:100
	s_and_saveexec_b64 s[4:5], vcc
	s_cbranch_execz .LBB13_75
; %bb.74:
	buffer_load_dword v31, off, s[0:3], 0 offset:88
	buffer_load_dword v32, off, s[0:3], 0 offset:92
	s_waitcnt vmcnt(0)
	ds_write_b64 v29, v[31:32]
	buffer_store_dword v30, off, s[0:3], 0 offset:88
	buffer_store_dword v30, off, s[0:3], 0 offset:92
.LBB13_75:
	s_or_b64 exec, exec, s[4:5]
	s_waitcnt lgkmcnt(0)
	; wave barrier
	buffer_load_dword v34, off, s[0:3], 0 offset:100
	buffer_load_dword v35, off, s[0:3], 0 offset:108
	;; [unrolled: 1-line block ×6, first 2 shown]
	ds_read_b128 v[30:33], v30 offset:208
	v_cmp_lt_u32_e32 vcc, 10, v0
	s_waitcnt vmcnt(5) lgkmcnt(0)
	v_mul_f32_e32 v40, v30, v34
	v_mul_f32_e32 v34, v31, v34
	s_waitcnt vmcnt(4)
	v_mul_f32_e32 v41, v32, v35
	v_mul_f32_e32 v35, v33, v35
	s_waitcnt vmcnt(3)
	v_fma_f32 v30, v30, v36, -v34
	v_fmac_f32_e32 v40, v31, v36
	s_waitcnt vmcnt(2)
	v_fma_f32 v31, v32, v37, -v35
	v_add_f32_e32 v30, 0, v30
	v_fmac_f32_e32 v41, v33, v37
	v_add_f32_e32 v32, 0, v40
	v_add_f32_e32 v30, v30, v31
	;; [unrolled: 1-line block ×3, first 2 shown]
	s_waitcnt vmcnt(1)
	v_sub_f32_e32 v30, v38, v30
	s_waitcnt vmcnt(0)
	v_sub_f32_e32 v31, v39, v32
	buffer_store_dword v30, off, s[0:3], 0 offset:88
	buffer_store_dword v31, off, s[0:3], 0 offset:92
	s_and_saveexec_b64 s[4:5], vcc
	s_cbranch_execz .LBB13_77
; %bb.76:
	buffer_load_dword v30, off, s[0:3], 0 offset:80
	buffer_load_dword v31, off, s[0:3], 0 offset:84
	v_mov_b32_e32 v32, 0
	buffer_store_dword v32, off, s[0:3], 0 offset:80
	buffer_store_dword v32, off, s[0:3], 0 offset:84
	s_waitcnt vmcnt(2)
	ds_write_b64 v29, v[30:31]
.LBB13_77:
	s_or_b64 exec, exec, s[4:5]
	s_waitcnt lgkmcnt(0)
	; wave barrier
	buffer_load_dword v37, off, s[0:3], 0 offset:92
	buffer_load_dword v38, off, s[0:3], 0 offset:100
	;; [unrolled: 1-line block ×8, first 2 shown]
	v_mov_b32_e32 v30, 0
	ds_read2_b64 v[31:34], v30 offset0:25 offset1:26
	ds_read_b64 v[35:36], v30 offset:216
	v_cmp_lt_u32_e32 vcc, 9, v0
	s_waitcnt vmcnt(7) lgkmcnt(1)
	v_mul_f32_e32 v45, v31, v37
	v_mul_f32_e32 v37, v32, v37
	s_waitcnt vmcnt(6)
	v_mul_f32_e32 v46, v33, v38
	v_mul_f32_e32 v38, v34, v38
	s_waitcnt vmcnt(4)
	v_fma_f32 v31, v31, v40, -v37
	s_waitcnt lgkmcnt(0)
	v_mul_f32_e32 v47, v35, v39
	v_mul_f32_e32 v39, v36, v39
	v_fmac_f32_e32 v45, v32, v40
	s_waitcnt vmcnt(3)
	v_fma_f32 v32, v33, v41, -v38
	v_add_f32_e32 v31, 0, v31
	v_fmac_f32_e32 v46, v34, v41
	s_waitcnt vmcnt(2)
	v_fma_f32 v33, v35, v42, -v39
	v_add_f32_e32 v34, 0, v45
	v_add_f32_e32 v31, v31, v32
	v_fmac_f32_e32 v47, v36, v42
	v_add_f32_e32 v34, v34, v46
	v_add_f32_e32 v31, v31, v33
	v_add_f32_e32 v32, v34, v47
	s_waitcnt vmcnt(1)
	v_sub_f32_e32 v31, v43, v31
	s_waitcnt vmcnt(0)
	v_sub_f32_e32 v32, v44, v32
	buffer_store_dword v31, off, s[0:3], 0 offset:80
	buffer_store_dword v32, off, s[0:3], 0 offset:84
	s_and_saveexec_b64 s[4:5], vcc
	s_cbranch_execz .LBB13_79
; %bb.78:
	buffer_load_dword v31, off, s[0:3], 0 offset:72
	buffer_load_dword v32, off, s[0:3], 0 offset:76
	s_waitcnt vmcnt(0)
	ds_write_b64 v29, v[31:32]
	buffer_store_dword v30, off, s[0:3], 0 offset:72
	buffer_store_dword v30, off, s[0:3], 0 offset:76
.LBB13_79:
	s_or_b64 exec, exec, s[4:5]
	s_waitcnt lgkmcnt(0)
	; wave barrier
	buffer_load_dword v39, off, s[0:3], 0 offset:84
	buffer_load_dword v40, off, s[0:3], 0 offset:92
	;; [unrolled: 1-line block ×10, first 2 shown]
	ds_read_b128 v[31:34], v30 offset:192
	ds_read_b128 v[35:38], v30 offset:208
	v_cmp_lt_u32_e32 vcc, 8, v0
	s_waitcnt vmcnt(9) lgkmcnt(1)
	v_mul_f32_e32 v30, v31, v39
	v_mul_f32_e32 v39, v32, v39
	s_waitcnt vmcnt(8)
	v_mul_f32_e32 v49, v33, v40
	v_mul_f32_e32 v40, v34, v40
	s_waitcnt vmcnt(5)
	v_fma_f32 v31, v31, v43, -v39
	s_waitcnt lgkmcnt(0)
	v_mul_f32_e32 v50, v35, v41
	v_mul_f32_e32 v41, v36, v41
	v_fmac_f32_e32 v30, v32, v43
	s_waitcnt vmcnt(4)
	v_fma_f32 v32, v33, v44, -v40
	v_add_f32_e32 v31, 0, v31
	v_mul_f32_e32 v51, v37, v42
	v_mul_f32_e32 v42, v38, v42
	v_fmac_f32_e32 v49, v34, v44
	s_waitcnt vmcnt(3)
	v_fma_f32 v33, v35, v45, -v41
	v_add_f32_e32 v30, 0, v30
	v_add_f32_e32 v31, v31, v32
	v_fmac_f32_e32 v50, v36, v45
	s_waitcnt vmcnt(2)
	v_fma_f32 v34, v37, v46, -v42
	v_add_f32_e32 v30, v30, v49
	v_add_f32_e32 v31, v31, v33
	v_fmac_f32_e32 v51, v38, v46
	v_add_f32_e32 v30, v30, v50
	v_add_f32_e32 v31, v31, v34
	;; [unrolled: 1-line block ×3, first 2 shown]
	s_waitcnt vmcnt(1)
	v_sub_f32_e32 v31, v47, v31
	s_waitcnt vmcnt(0)
	v_sub_f32_e32 v30, v48, v30
	buffer_store_dword v31, off, s[0:3], 0 offset:72
	buffer_store_dword v30, off, s[0:3], 0 offset:76
	s_and_saveexec_b64 s[4:5], vcc
	s_cbranch_execz .LBB13_81
; %bb.80:
	buffer_load_dword v30, off, s[0:3], 0 offset:64
	buffer_load_dword v31, off, s[0:3], 0 offset:68
	v_mov_b32_e32 v32, 0
	buffer_store_dword v32, off, s[0:3], 0 offset:64
	buffer_store_dword v32, off, s[0:3], 0 offset:68
	s_waitcnt vmcnt(2)
	ds_write_b64 v29, v[30:31]
.LBB13_81:
	s_or_b64 exec, exec, s[4:5]
	s_waitcnt lgkmcnt(0)
	; wave barrier
	buffer_load_dword v41, off, s[0:3], 0 offset:76
	buffer_load_dword v42, off, s[0:3], 0 offset:84
	buffer_load_dword v43, off, s[0:3], 0 offset:92
	buffer_load_dword v44, off, s[0:3], 0 offset:100
	buffer_load_dword v45, off, s[0:3], 0 offset:108
	buffer_load_dword v46, off, s[0:3], 0 offset:72
	buffer_load_dword v47, off, s[0:3], 0 offset:80
	buffer_load_dword v48, off, s[0:3], 0 offset:88
	buffer_load_dword v49, off, s[0:3], 0 offset:96
	buffer_load_dword v50, off, s[0:3], 0 offset:104
	buffer_load_dword v51, off, s[0:3], 0 offset:64
	buffer_load_dword v52, off, s[0:3], 0 offset:68
	v_mov_b32_e32 v30, 0
	ds_read2_b64 v[31:34], v30 offset0:23 offset1:24
	ds_read2_b64 v[35:38], v30 offset0:25 offset1:26
	ds_read_b64 v[39:40], v30 offset:216
	v_cmp_lt_u32_e32 vcc, 7, v0
	s_waitcnt vmcnt(11) lgkmcnt(2)
	v_mul_f32_e32 v53, v31, v41
	v_mul_f32_e32 v41, v32, v41
	s_waitcnt vmcnt(10)
	v_mul_f32_e32 v54, v33, v42
	v_mul_f32_e32 v42, v34, v42
	s_waitcnt vmcnt(9) lgkmcnt(1)
	v_mul_f32_e32 v55, v35, v43
	s_waitcnt vmcnt(6)
	v_fma_f32 v31, v31, v46, -v41
	v_mul_f32_e32 v43, v36, v43
	v_fmac_f32_e32 v53, v32, v46
	s_waitcnt vmcnt(5)
	v_fma_f32 v32, v33, v47, -v42
	v_add_f32_e32 v31, 0, v31
	v_mul_f32_e32 v56, v37, v44
	v_mul_f32_e32 v44, v38, v44
	v_fmac_f32_e32 v54, v34, v47
	s_waitcnt vmcnt(4)
	v_fmac_f32_e32 v55, v36, v48
	v_fma_f32 v33, v35, v48, -v43
	v_add_f32_e32 v36, 0, v53
	v_add_f32_e32 v31, v31, v32
	s_waitcnt lgkmcnt(0)
	v_mul_f32_e32 v57, v39, v45
	v_mul_f32_e32 v45, v40, v45
	s_waitcnt vmcnt(3)
	v_fma_f32 v34, v37, v49, -v44
	v_add_f32_e32 v36, v36, v54
	v_add_f32_e32 v31, v31, v33
	v_fmac_f32_e32 v56, v38, v49
	s_waitcnt vmcnt(2)
	v_fma_f32 v35, v39, v50, -v45
	v_add_f32_e32 v32, v36, v55
	v_add_f32_e32 v31, v31, v34
	v_fmac_f32_e32 v57, v40, v50
	v_add_f32_e32 v32, v32, v56
	v_add_f32_e32 v31, v31, v35
	;; [unrolled: 1-line block ×3, first 2 shown]
	s_waitcnt vmcnt(1)
	v_sub_f32_e32 v31, v51, v31
	s_waitcnt vmcnt(0)
	v_sub_f32_e32 v32, v52, v32
	buffer_store_dword v31, off, s[0:3], 0 offset:64
	buffer_store_dword v32, off, s[0:3], 0 offset:68
	s_and_saveexec_b64 s[4:5], vcc
	s_cbranch_execz .LBB13_83
; %bb.82:
	buffer_load_dword v31, off, s[0:3], 0 offset:56
	buffer_load_dword v32, off, s[0:3], 0 offset:60
	s_waitcnt vmcnt(0)
	ds_write_b64 v29, v[31:32]
	buffer_store_dword v30, off, s[0:3], 0 offset:56
	buffer_store_dword v30, off, s[0:3], 0 offset:60
.LBB13_83:
	s_or_b64 exec, exec, s[4:5]
	s_waitcnt lgkmcnt(0)
	; wave barrier
	buffer_load_dword v43, off, s[0:3], 0 offset:68
	buffer_load_dword v44, off, s[0:3], 0 offset:76
	;; [unrolled: 1-line block ×14, first 2 shown]
	ds_read_b128 v[31:34], v30 offset:176
	ds_read_b128 v[35:38], v30 offset:192
	;; [unrolled: 1-line block ×3, first 2 shown]
	v_cmp_lt_u32_e32 vcc, 6, v0
	s_waitcnt vmcnt(13) lgkmcnt(2)
	v_mul_f32_e32 v30, v31, v43
	v_mul_f32_e32 v43, v32, v43
	s_waitcnt vmcnt(12)
	v_mul_f32_e32 v57, v33, v44
	v_mul_f32_e32 v44, v34, v44
	s_waitcnt vmcnt(11) lgkmcnt(1)
	v_mul_f32_e32 v58, v35, v45
	v_mul_f32_e32 v45, v36, v45
	s_waitcnt vmcnt(7)
	v_fma_f32 v31, v31, v49, -v43
	v_fmac_f32_e32 v30, v32, v49
	s_waitcnt vmcnt(6)
	v_fma_f32 v32, v33, v50, -v44
	v_add_f32_e32 v31, 0, v31
	v_mul_f32_e32 v59, v37, v46
	v_mul_f32_e32 v46, v38, v46
	v_fmac_f32_e32 v57, v34, v50
	s_waitcnt vmcnt(5)
	v_fma_f32 v33, v35, v51, -v45
	v_add_f32_e32 v30, 0, v30
	v_add_f32_e32 v31, v31, v32
	s_waitcnt lgkmcnt(0)
	v_mul_f32_e32 v60, v39, v47
	v_mul_f32_e32 v47, v40, v47
	v_fmac_f32_e32 v58, v36, v51
	s_waitcnt vmcnt(4)
	v_fma_f32 v34, v37, v52, -v46
	v_add_f32_e32 v30, v30, v57
	v_add_f32_e32 v31, v31, v33
	v_mul_f32_e32 v61, v41, v48
	v_mul_f32_e32 v48, v42, v48
	v_fmac_f32_e32 v59, v38, v52
	s_waitcnt vmcnt(3)
	v_fma_f32 v35, v39, v53, -v47
	v_add_f32_e32 v30, v30, v58
	v_add_f32_e32 v31, v31, v34
	v_fmac_f32_e32 v60, v40, v53
	s_waitcnt vmcnt(2)
	v_fma_f32 v36, v41, v54, -v48
	v_add_f32_e32 v30, v30, v59
	v_add_f32_e32 v31, v31, v35
	v_fmac_f32_e32 v61, v42, v54
	v_add_f32_e32 v30, v30, v60
	v_add_f32_e32 v31, v31, v36
	;; [unrolled: 1-line block ×3, first 2 shown]
	s_waitcnt vmcnt(1)
	v_sub_f32_e32 v31, v55, v31
	s_waitcnt vmcnt(0)
	v_sub_f32_e32 v30, v56, v30
	buffer_store_dword v31, off, s[0:3], 0 offset:56
	buffer_store_dword v30, off, s[0:3], 0 offset:60
	s_and_saveexec_b64 s[4:5], vcc
	s_cbranch_execz .LBB13_85
; %bb.84:
	buffer_load_dword v30, off, s[0:3], 0 offset:48
	buffer_load_dword v31, off, s[0:3], 0 offset:52
	v_mov_b32_e32 v32, 0
	buffer_store_dword v32, off, s[0:3], 0 offset:48
	buffer_store_dword v32, off, s[0:3], 0 offset:52
	s_waitcnt vmcnt(2)
	ds_write_b64 v29, v[30:31]
.LBB13_85:
	s_or_b64 exec, exec, s[4:5]
	v_mov_b32_e32 v30, 0
	s_waitcnt lgkmcnt(0)
	; wave barrier
	ds_read2_b64 v[31:34], v30 offset0:21 offset1:22
	buffer_load_dword v45, off, s[0:3], 0 offset:48
	buffer_load_dword v46, off, s[0:3], 0 offset:52
	;; [unrolled: 1-line block ×16, first 2 shown]
	v_cmp_lt_u32_e32 vcc, 5, v0
	s_waitcnt vmcnt(12) lgkmcnt(0)
	v_mul_f32_e32 v35, v31, v48
	v_fmac_f32_e32 v35, v32, v47
	s_waitcnt vmcnt(10)
	v_mul_f32_e32 v36, v33, v50
	v_add_f32_e32 v35, 0, v35
	v_fmac_f32_e32 v36, v34, v49
	v_add_f32_e32 v39, v35, v36
	ds_read2_b64 v[35:38], v30 offset0:23 offset1:24
	v_mul_f32_e32 v32, v32, v48
	v_fma_f32 v31, v31, v47, -v32
	v_mul_f32_e32 v32, v34, v50
	v_add_f32_e32 v31, 0, v31
	s_waitcnt vmcnt(8) lgkmcnt(0)
	v_mul_f32_e32 v40, v35, v52
	v_fmac_f32_e32 v40, v36, v51
	v_add_f32_e32 v39, v39, v40
	s_waitcnt vmcnt(6)
	v_mul_f32_e32 v40, v37, v54
	v_fmac_f32_e32 v40, v38, v53
	v_add_f32_e32 v43, v39, v40
	ds_read2_b64 v[39:42], v30 offset0:25 offset1:26
	v_fma_f32 v32, v33, v49, -v32
	v_add_f32_e32 v31, v31, v32
	v_mul_f32_e32 v32, v36, v52
	v_fma_f32 v32, v35, v51, -v32
	s_waitcnt vmcnt(4) lgkmcnt(0)
	v_mul_f32_e32 v44, v39, v56
	v_fmac_f32_e32 v44, v40, v55
	v_add_f32_e32 v43, v43, v44
	s_waitcnt vmcnt(2)
	v_mul_f32_e32 v44, v41, v58
	v_fmac_f32_e32 v44, v42, v57
	v_add_f32_e32 v31, v31, v32
	v_mul_f32_e32 v32, v38, v54
	v_add_f32_e32 v61, v43, v44
	ds_read_b64 v[43:44], v30 offset:216
	v_fma_f32 v32, v37, v53, -v32
	v_add_f32_e32 v31, v31, v32
	v_mul_f32_e32 v32, v40, v56
	v_fma_f32 v32, v39, v55, -v32
	v_add_f32_e32 v31, v31, v32
	v_mul_f32_e32 v32, v42, v58
	v_fma_f32 v32, v41, v57, -v32
	v_add_f32_e32 v31, v31, v32
	s_waitcnt vmcnt(0) lgkmcnt(0)
	v_mul_f32_e32 v32, v44, v60
	v_mul_f32_e32 v62, v43, v60
	v_fma_f32 v32, v43, v59, -v32
	v_fmac_f32_e32 v62, v44, v59
	v_add_f32_e32 v31, v31, v32
	v_add_f32_e32 v61, v61, v62
	v_sub_f32_e32 v31, v45, v31
	v_sub_f32_e32 v32, v46, v61
	buffer_store_dword v31, off, s[0:3], 0 offset:48
	buffer_store_dword v32, off, s[0:3], 0 offset:52
	s_and_saveexec_b64 s[4:5], vcc
	s_cbranch_execz .LBB13_87
; %bb.86:
	buffer_load_dword v31, off, s[0:3], 0 offset:40
	buffer_load_dword v32, off, s[0:3], 0 offset:44
	s_waitcnt vmcnt(0)
	ds_write_b64 v29, v[31:32]
	buffer_store_dword v30, off, s[0:3], 0 offset:40
	buffer_store_dword v30, off, s[0:3], 0 offset:44
.LBB13_87:
	s_or_b64 exec, exec, s[4:5]
	s_waitcnt lgkmcnt(0)
	; wave barrier
	buffer_load_dword v47, off, s[0:3], 0 offset:52
	buffer_load_dword v48, off, s[0:3], 0 offset:60
	;; [unrolled: 1-line block ×18, first 2 shown]
	ds_read_b128 v[31:34], v30 offset:160
	ds_read_b128 v[35:38], v30 offset:176
	;; [unrolled: 1-line block ×4, first 2 shown]
	v_cmp_lt_u32_e32 vcc, 4, v0
	s_waitcnt vmcnt(17) lgkmcnt(3)
	v_mul_f32_e32 v30, v31, v47
	v_mul_f32_e32 v47, v32, v47
	s_waitcnt vmcnt(16)
	v_mul_f32_e32 v65, v33, v48
	v_mul_f32_e32 v48, v34, v48
	s_waitcnt vmcnt(15) lgkmcnt(2)
	v_mul_f32_e32 v66, v35, v49
	v_mul_f32_e32 v49, v36, v49
	s_waitcnt vmcnt(14)
	v_mul_f32_e32 v67, v37, v50
	v_mul_f32_e32 v50, v38, v50
	s_waitcnt vmcnt(9)
	v_fma_f32 v31, v31, v55, -v47
	v_fmac_f32_e32 v30, v32, v55
	s_waitcnt vmcnt(8)
	v_fma_f32 v32, v33, v56, -v48
	v_add_f32_e32 v31, 0, v31
	v_fmac_f32_e32 v65, v34, v56
	s_waitcnt vmcnt(7)
	v_fma_f32 v33, v35, v57, -v49
	v_add_f32_e32 v30, 0, v30
	v_add_f32_e32 v31, v31, v32
	s_waitcnt lgkmcnt(1)
	v_mul_f32_e32 v68, v39, v51
	v_mul_f32_e32 v51, v40, v51
	v_fmac_f32_e32 v66, v36, v57
	s_waitcnt vmcnt(6)
	v_fma_f32 v34, v37, v58, -v50
	v_add_f32_e32 v30, v30, v65
	v_add_f32_e32 v31, v31, v33
	v_mul_f32_e32 v69, v41, v52
	v_mul_f32_e32 v52, v42, v52
	v_fmac_f32_e32 v67, v38, v58
	s_waitcnt vmcnt(5)
	v_fma_f32 v35, v39, v59, -v51
	v_add_f32_e32 v30, v30, v66
	v_add_f32_e32 v31, v31, v34
	s_waitcnt lgkmcnt(0)
	v_mul_f32_e32 v70, v43, v53
	v_mul_f32_e32 v53, v44, v53
	v_fmac_f32_e32 v68, v40, v59
	s_waitcnt vmcnt(4)
	v_fma_f32 v36, v41, v60, -v52
	v_add_f32_e32 v30, v30, v67
	v_add_f32_e32 v31, v31, v35
	v_mul_f32_e32 v71, v45, v54
	v_mul_f32_e32 v54, v46, v54
	v_fmac_f32_e32 v69, v42, v60
	s_waitcnt vmcnt(3)
	v_fma_f32 v37, v43, v61, -v53
	v_add_f32_e32 v30, v30, v68
	v_add_f32_e32 v31, v31, v36
	v_fmac_f32_e32 v70, v44, v61
	s_waitcnt vmcnt(2)
	v_fma_f32 v38, v45, v62, -v54
	v_add_f32_e32 v30, v30, v69
	v_add_f32_e32 v31, v31, v37
	v_fmac_f32_e32 v71, v46, v62
	v_add_f32_e32 v30, v30, v70
	v_add_f32_e32 v31, v31, v38
	;; [unrolled: 1-line block ×3, first 2 shown]
	s_waitcnt vmcnt(1)
	v_sub_f32_e32 v31, v63, v31
	s_waitcnt vmcnt(0)
	v_sub_f32_e32 v30, v64, v30
	buffer_store_dword v31, off, s[0:3], 0 offset:40
	buffer_store_dword v30, off, s[0:3], 0 offset:44
	s_and_saveexec_b64 s[4:5], vcc
	s_cbranch_execz .LBB13_89
; %bb.88:
	buffer_load_dword v30, off, s[0:3], 0 offset:32
	buffer_load_dword v31, off, s[0:3], 0 offset:36
	v_mov_b32_e32 v32, 0
	buffer_store_dword v32, off, s[0:3], 0 offset:32
	buffer_store_dword v32, off, s[0:3], 0 offset:36
	s_waitcnt vmcnt(2)
	ds_write_b64 v29, v[30:31]
.LBB13_89:
	s_or_b64 exec, exec, s[4:5]
	s_waitcnt lgkmcnt(0)
	; wave barrier
	buffer_load_dword v49, off, s[0:3], 0 offset:44
	buffer_load_dword v50, off, s[0:3], 0 offset:52
	;; [unrolled: 1-line block ×20, first 2 shown]
	v_mov_b32_e32 v30, 0
	ds_read2_b64 v[31:34], v30 offset0:19 offset1:20
	ds_read2_b64 v[35:38], v30 offset0:21 offset1:22
	;; [unrolled: 1-line block ×4, first 2 shown]
	ds_read_b64 v[47:48], v30 offset:216
	v_cmp_lt_u32_e32 vcc, 3, v0
	s_waitcnt vmcnt(19) lgkmcnt(4)
	v_mul_f32_e32 v69, v31, v49
	v_mul_f32_e32 v49, v32, v49
	s_waitcnt vmcnt(18)
	v_mul_f32_e32 v70, v33, v50
	v_mul_f32_e32 v50, v34, v50
	s_waitcnt vmcnt(17) lgkmcnt(3)
	v_mul_f32_e32 v71, v35, v51
	s_waitcnt vmcnt(15) lgkmcnt(2)
	v_mul_f32_e32 v73, v39, v53
	v_mul_f32_e32 v51, v36, v51
	;; [unrolled: 1-line block ×4, first 2 shown]
	s_waitcnt vmcnt(10)
	v_fma_f32 v31, v31, v58, -v49
	v_fmac_f32_e32 v69, v32, v58
	s_waitcnt vmcnt(9)
	v_fma_f32 v32, v33, v59, -v50
	v_add_f32_e32 v31, 0, v31
	v_mul_f32_e32 v53, v40, v53
	v_fmac_f32_e32 v70, v34, v59
	s_waitcnt vmcnt(6)
	v_fmac_f32_e32 v73, v40, v62
	v_fma_f32 v33, v35, v60, -v51
	v_add_f32_e32 v40, 0, v69
	v_add_f32_e32 v31, v31, v32
	v_fmac_f32_e32 v71, v36, v60
	v_fma_f32 v34, v37, v61, -v52
	v_add_f32_e32 v40, v40, v70
	v_add_f32_e32 v31, v31, v33
	v_mul_f32_e32 v74, v41, v54
	v_mul_f32_e32 v54, v42, v54
	v_fmac_f32_e32 v72, v38, v61
	v_fma_f32 v35, v39, v62, -v53
	v_add_f32_e32 v32, v40, v71
	v_add_f32_e32 v31, v31, v34
	s_waitcnt lgkmcnt(1)
	v_mul_f32_e32 v75, v43, v55
	v_mul_f32_e32 v55, v44, v55
	s_waitcnt vmcnt(5)
	v_fma_f32 v36, v41, v63, -v54
	v_add_f32_e32 v32, v32, v72
	v_add_f32_e32 v31, v31, v35
	v_mul_f32_e32 v76, v45, v56
	v_mul_f32_e32 v56, v46, v56
	v_fmac_f32_e32 v74, v42, v63
	s_waitcnt vmcnt(4)
	v_fma_f32 v37, v43, v64, -v55
	v_add_f32_e32 v32, v32, v73
	v_add_f32_e32 v31, v31, v36
	s_waitcnt lgkmcnt(0)
	v_mul_f32_e32 v77, v47, v57
	v_mul_f32_e32 v57, v48, v57
	v_fmac_f32_e32 v75, v44, v64
	s_waitcnt vmcnt(3)
	v_fma_f32 v38, v45, v65, -v56
	v_add_f32_e32 v32, v32, v74
	v_add_f32_e32 v31, v31, v37
	v_fmac_f32_e32 v76, v46, v65
	s_waitcnt vmcnt(2)
	v_fma_f32 v39, v47, v66, -v57
	v_add_f32_e32 v32, v32, v75
	v_add_f32_e32 v31, v31, v38
	v_fmac_f32_e32 v77, v48, v66
	v_add_f32_e32 v32, v32, v76
	v_add_f32_e32 v31, v31, v39
	;; [unrolled: 1-line block ×3, first 2 shown]
	s_waitcnt vmcnt(1)
	v_sub_f32_e32 v31, v67, v31
	s_waitcnt vmcnt(0)
	v_sub_f32_e32 v32, v68, v32
	buffer_store_dword v31, off, s[0:3], 0 offset:32
	buffer_store_dword v32, off, s[0:3], 0 offset:36
	s_and_saveexec_b64 s[4:5], vcc
	s_cbranch_execz .LBB13_91
; %bb.90:
	buffer_load_dword v31, off, s[0:3], 0 offset:24
	buffer_load_dword v32, off, s[0:3], 0 offset:28
	s_waitcnt vmcnt(0)
	ds_write_b64 v29, v[31:32]
	buffer_store_dword v30, off, s[0:3], 0 offset:24
	buffer_store_dword v30, off, s[0:3], 0 offset:28
.LBB13_91:
	s_or_b64 exec, exec, s[4:5]
	s_waitcnt lgkmcnt(0)
	; wave barrier
	buffer_load_dword v51, off, s[0:3], 0 offset:36
	buffer_load_dword v52, off, s[0:3], 0 offset:44
	;; [unrolled: 1-line block ×22, first 2 shown]
	ds_read_b128 v[31:34], v30 offset:144
	ds_read_b128 v[35:38], v30 offset:160
	;; [unrolled: 1-line block ×5, first 2 shown]
	v_cmp_lt_u32_e32 vcc, 2, v0
	s_waitcnt vmcnt(21) lgkmcnt(4)
	v_mul_f32_e32 v30, v31, v51
	v_mul_f32_e32 v51, v32, v51
	s_waitcnt vmcnt(20)
	v_mul_f32_e32 v73, v33, v52
	v_mul_f32_e32 v52, v34, v52
	s_waitcnt vmcnt(19) lgkmcnt(3)
	v_mul_f32_e32 v74, v35, v53
	v_mul_f32_e32 v53, v36, v53
	s_waitcnt vmcnt(18)
	v_mul_f32_e32 v75, v37, v54
	v_mul_f32_e32 v54, v38, v54
	s_waitcnt vmcnt(17) lgkmcnt(2)
	v_mul_f32_e32 v76, v39, v55
	v_mul_f32_e32 v55, v40, v55
	s_waitcnt vmcnt(11)
	v_fma_f32 v31, v31, v61, -v51
	v_fmac_f32_e32 v30, v32, v61
	s_waitcnt vmcnt(10)
	v_fma_f32 v32, v33, v62, -v52
	v_add_f32_e32 v31, 0, v31
	v_fmac_f32_e32 v73, v34, v62
	s_waitcnt vmcnt(9)
	v_fma_f32 v33, v35, v63, -v53
	v_add_f32_e32 v30, 0, v30
	v_add_f32_e32 v31, v31, v32
	v_fmac_f32_e32 v74, v36, v63
	s_waitcnt vmcnt(8)
	v_fma_f32 v34, v37, v64, -v54
	v_add_f32_e32 v30, v30, v73
	v_add_f32_e32 v31, v31, v33
	v_mul_f32_e32 v77, v41, v56
	v_mul_f32_e32 v56, v42, v56
	v_fmac_f32_e32 v75, v38, v64
	s_waitcnt vmcnt(7)
	v_fma_f32 v35, v39, v65, -v55
	v_add_f32_e32 v30, v30, v74
	v_add_f32_e32 v31, v31, v34
	s_waitcnt lgkmcnt(1)
	v_mul_f32_e32 v78, v43, v57
	v_mul_f32_e32 v57, v44, v57
	v_fmac_f32_e32 v76, v40, v65
	s_waitcnt vmcnt(6)
	v_fma_f32 v36, v41, v66, -v56
	v_add_f32_e32 v30, v30, v75
	v_add_f32_e32 v31, v31, v35
	v_mul_f32_e32 v79, v45, v58
	v_mul_f32_e32 v58, v46, v58
	v_fmac_f32_e32 v77, v42, v66
	s_waitcnt vmcnt(5)
	v_fma_f32 v37, v43, v67, -v57
	v_add_f32_e32 v30, v30, v76
	v_add_f32_e32 v31, v31, v36
	s_waitcnt lgkmcnt(0)
	v_mul_f32_e32 v80, v47, v59
	v_mul_f32_e32 v59, v48, v59
	v_fmac_f32_e32 v78, v44, v67
	s_waitcnt vmcnt(4)
	v_fma_f32 v38, v45, v68, -v58
	v_add_f32_e32 v30, v30, v77
	v_add_f32_e32 v31, v31, v37
	v_mul_f32_e32 v81, v49, v60
	v_mul_f32_e32 v60, v50, v60
	v_fmac_f32_e32 v79, v46, v68
	s_waitcnt vmcnt(3)
	v_fma_f32 v39, v47, v69, -v59
	v_add_f32_e32 v30, v30, v78
	v_add_f32_e32 v31, v31, v38
	v_fmac_f32_e32 v80, v48, v69
	s_waitcnt vmcnt(2)
	v_fma_f32 v40, v49, v70, -v60
	v_add_f32_e32 v30, v30, v79
	v_add_f32_e32 v31, v31, v39
	v_fmac_f32_e32 v81, v50, v70
	v_add_f32_e32 v30, v30, v80
	v_add_f32_e32 v31, v31, v40
	;; [unrolled: 1-line block ×3, first 2 shown]
	s_waitcnt vmcnt(1)
	v_sub_f32_e32 v31, v71, v31
	s_waitcnt vmcnt(0)
	v_sub_f32_e32 v30, v72, v30
	buffer_store_dword v31, off, s[0:3], 0 offset:24
	buffer_store_dword v30, off, s[0:3], 0 offset:28
	s_and_saveexec_b64 s[4:5], vcc
	s_cbranch_execz .LBB13_93
; %bb.92:
	buffer_load_dword v30, off, s[0:3], 0 offset:16
	buffer_load_dword v31, off, s[0:3], 0 offset:20
	v_mov_b32_e32 v32, 0
	buffer_store_dword v32, off, s[0:3], 0 offset:16
	buffer_store_dword v32, off, s[0:3], 0 offset:20
	s_waitcnt vmcnt(2)
	ds_write_b64 v29, v[30:31]
.LBB13_93:
	s_or_b64 exec, exec, s[4:5]
	v_mov_b32_e32 v30, 0
	s_waitcnt lgkmcnt(0)
	; wave barrier
	ds_read2_b64 v[31:34], v30 offset0:17 offset1:18
	buffer_load_dword v53, off, s[0:3], 0 offset:16
	buffer_load_dword v54, off, s[0:3], 0 offset:20
	;; [unrolled: 1-line block ×16, first 2 shown]
	v_cmp_lt_u32_e32 vcc, 1, v0
	s_waitcnt vmcnt(12) lgkmcnt(0)
	v_mul_f32_e32 v35, v31, v56
	v_fmac_f32_e32 v35, v32, v55
	s_waitcnt vmcnt(10)
	v_mul_f32_e32 v36, v33, v58
	v_add_f32_e32 v35, 0, v35
	v_fmac_f32_e32 v36, v34, v57
	v_add_f32_e32 v39, v35, v36
	ds_read2_b64 v[35:38], v30 offset0:19 offset1:20
	v_mul_f32_e32 v32, v32, v56
	v_fma_f32 v31, v31, v55, -v32
	v_mul_f32_e32 v32, v34, v58
	v_add_f32_e32 v31, 0, v31
	s_waitcnt vmcnt(8) lgkmcnt(0)
	v_mul_f32_e32 v40, v35, v60
	v_fmac_f32_e32 v40, v36, v59
	v_add_f32_e32 v39, v39, v40
	s_waitcnt vmcnt(6)
	v_mul_f32_e32 v40, v37, v62
	v_fmac_f32_e32 v40, v38, v61
	v_add_f32_e32 v43, v39, v40
	ds_read2_b64 v[39:42], v30 offset0:21 offset1:22
	v_fma_f32 v32, v33, v57, -v32
	v_add_f32_e32 v31, v31, v32
	v_mul_f32_e32 v32, v36, v60
	v_fma_f32 v32, v35, v59, -v32
	s_waitcnt vmcnt(4) lgkmcnt(0)
	v_mul_f32_e32 v44, v39, v64
	v_fmac_f32_e32 v44, v40, v63
	v_add_f32_e32 v43, v43, v44
	s_waitcnt vmcnt(2)
	v_mul_f32_e32 v44, v41, v66
	v_fmac_f32_e32 v44, v42, v65
	v_add_f32_e32 v47, v43, v44
	ds_read2_b64 v[43:46], v30 offset0:23 offset1:24
	buffer_load_dword v69, off, s[0:3], 0 offset:80
	buffer_load_dword v70, off, s[0:3], 0 offset:84
	v_add_f32_e32 v31, v31, v32
	v_mul_f32_e32 v32, v38, v62
	v_fma_f32 v32, v37, v61, -v32
	s_waitcnt vmcnt(2) lgkmcnt(0)
	v_mul_f32_e32 v48, v43, v68
	v_fmac_f32_e32 v48, v44, v67
	v_add_f32_e32 v47, v47, v48
	v_add_f32_e32 v31, v31, v32
	v_mul_f32_e32 v32, v40, v64
	v_fma_f32 v32, v39, v63, -v32
	v_add_f32_e32 v31, v31, v32
	v_mul_f32_e32 v32, v42, v66
	v_fma_f32 v32, v41, v65, -v32
	;; [unrolled: 3-line block ×3, first 2 shown]
	v_add_f32_e32 v31, v31, v32
	s_waitcnt vmcnt(0)
	v_mul_f32_e32 v48, v45, v70
	v_fmac_f32_e32 v48, v46, v69
	v_add_f32_e32 v51, v47, v48
	ds_read2_b64 v[47:50], v30 offset0:25 offset1:26
	buffer_load_dword v71, off, s[0:3], 0 offset:88
	buffer_load_dword v72, off, s[0:3], 0 offset:92
	buffer_load_dword v73, off, s[0:3], 0 offset:96
	buffer_load_dword v74, off, s[0:3], 0 offset:100
	v_mul_f32_e32 v32, v46, v70
	v_fma_f32 v32, v45, v69, -v32
	v_add_f32_e32 v31, v31, v32
	s_waitcnt vmcnt(2) lgkmcnt(0)
	v_mul_f32_e32 v52, v47, v72
	v_fmac_f32_e32 v52, v48, v71
	v_add_f32_e32 v51, v51, v52
	s_waitcnt vmcnt(0)
	v_mul_f32_e32 v52, v49, v74
	v_fmac_f32_e32 v52, v50, v73
	v_add_f32_e32 v75, v51, v52
	ds_read_b64 v[51:52], v30 offset:216
	buffer_load_dword v76, off, s[0:3], 0 offset:104
	buffer_load_dword v77, off, s[0:3], 0 offset:108
	v_mul_f32_e32 v32, v48, v72
	v_fma_f32 v32, v47, v71, -v32
	v_add_f32_e32 v31, v31, v32
	v_mul_f32_e32 v32, v50, v74
	v_fma_f32 v32, v49, v73, -v32
	v_add_f32_e32 v31, v31, v32
	s_waitcnt vmcnt(0) lgkmcnt(0)
	v_mul_f32_e32 v32, v52, v77
	v_mul_f32_e32 v78, v51, v77
	v_fma_f32 v32, v51, v76, -v32
	v_fmac_f32_e32 v78, v52, v76
	v_add_f32_e32 v31, v31, v32
	v_add_f32_e32 v75, v75, v78
	v_sub_f32_e32 v31, v53, v31
	v_sub_f32_e32 v32, v54, v75
	buffer_store_dword v31, off, s[0:3], 0 offset:16
	buffer_store_dword v32, off, s[0:3], 0 offset:20
	s_and_saveexec_b64 s[4:5], vcc
	s_cbranch_execz .LBB13_95
; %bb.94:
	buffer_load_dword v31, off, s[0:3], 0 offset:8
	buffer_load_dword v32, off, s[0:3], 0 offset:12
	s_waitcnt vmcnt(0)
	ds_write_b64 v29, v[31:32]
	buffer_store_dword v30, off, s[0:3], 0 offset:8
	buffer_store_dword v30, off, s[0:3], 0 offset:12
.LBB13_95:
	s_or_b64 exec, exec, s[4:5]
	s_waitcnt lgkmcnt(0)
	; wave barrier
	ds_read_b128 v[31:34], v30 offset:128
	ds_read_b128 v[35:38], v30 offset:144
	;; [unrolled: 1-line block ×4, first 2 shown]
	buffer_load_dword v55, off, s[0:3], 0 offset:8
	buffer_load_dword v56, off, s[0:3], 0 offset:12
	;; [unrolled: 1-line block ×18, first 2 shown]
	v_cmp_ne_u32_e32 vcc, 0, v0
	s_waitcnt vmcnt(14) lgkmcnt(3)
	v_mul_f32_e32 v47, v31, v58
	v_fmac_f32_e32 v47, v32, v57
	s_waitcnt vmcnt(12)
	v_mul_f32_e32 v48, v33, v60
	v_add_f32_e32 v47, 0, v47
	v_fmac_f32_e32 v48, v34, v59
	v_add_f32_e32 v47, v47, v48
	s_waitcnt vmcnt(10) lgkmcnt(2)
	v_mul_f32_e32 v48, v35, v62
	v_fmac_f32_e32 v48, v36, v61
	v_add_f32_e32 v47, v47, v48
	s_waitcnt vmcnt(8)
	v_mul_f32_e32 v48, v37, v64
	v_fmac_f32_e32 v48, v38, v63
	v_add_f32_e32 v47, v47, v48
	s_waitcnt vmcnt(6) lgkmcnt(1)
	v_mul_f32_e32 v48, v39, v66
	v_fmac_f32_e32 v48, v40, v65
	v_add_f32_e32 v47, v47, v48
	s_waitcnt vmcnt(4)
	v_mul_f32_e32 v48, v41, v68
	;; [unrolled: 8-line block ×3, first 2 shown]
	v_fmac_f32_e32 v48, v46, v71
	v_add_f32_e32 v51, v47, v48
	ds_read_b128 v[47:50], v30 offset:192
	buffer_load_dword v73, off, s[0:3], 0 offset:80
	buffer_load_dword v74, off, s[0:3], 0 offset:84
	buffer_load_dword v75, off, s[0:3], 0 offset:88
	buffer_load_dword v76, off, s[0:3], 0 offset:92
	v_mul_f32_e32 v32, v32, v58
	v_fma_f32 v31, v31, v57, -v32
	v_mul_f32_e32 v32, v34, v60
	v_add_f32_e32 v31, 0, v31
	v_fma_f32 v32, v33, v59, -v32
	v_add_f32_e32 v31, v31, v32
	v_mul_f32_e32 v32, v36, v62
	v_fma_f32 v32, v35, v61, -v32
	v_add_f32_e32 v31, v31, v32
	v_mul_f32_e32 v32, v38, v64
	;; [unrolled: 3-line block ×6, first 2 shown]
	v_fma_f32 v32, v45, v71, -v32
	v_add_f32_e32 v31, v31, v32
	s_waitcnt vmcnt(2) lgkmcnt(0)
	v_mul_f32_e32 v52, v47, v74
	v_fmac_f32_e32 v52, v48, v73
	v_add_f32_e32 v51, v51, v52
	s_waitcnt vmcnt(0)
	v_mul_f32_e32 v52, v49, v76
	v_fmac_f32_e32 v52, v50, v75
	v_add_f32_e32 v77, v51, v52
	ds_read_b128 v[51:54], v30 offset:208
	buffer_load_dword v30, off, s[0:3], 0 offset:96
	buffer_load_dword v78, off, s[0:3], 0 offset:100
	v_mul_f32_e32 v32, v48, v74
	v_fma_f32 v32, v47, v73, -v32
	v_add_f32_e32 v31, v31, v32
	v_mul_f32_e32 v32, v50, v76
	v_fma_f32 v32, v49, v75, -v32
	v_add_f32_e32 v31, v31, v32
	s_waitcnt vmcnt(0) lgkmcnt(0)
	v_mul_f32_e32 v79, v51, v78
	v_fmac_f32_e32 v79, v52, v30
	v_add_f32_e32 v77, v77, v79
	buffer_load_dword v79, off, s[0:3], 0 offset:104
	buffer_load_dword v80, off, s[0:3], 0 offset:108
	v_mul_f32_e32 v32, v52, v78
	v_fma_f32 v30, v51, v30, -v32
	v_add_f32_e32 v30, v31, v30
	s_waitcnt vmcnt(0)
	v_mul_f32_e32 v31, v54, v80
	v_mul_f32_e32 v81, v53, v80
	v_fma_f32 v31, v53, v79, -v31
	v_fmac_f32_e32 v81, v54, v79
	v_add_f32_e32 v30, v30, v31
	v_add_f32_e32 v77, v77, v81
	v_sub_f32_e32 v30, v55, v30
	v_sub_f32_e32 v31, v56, v77
	buffer_store_dword v30, off, s[0:3], 0 offset:8
	buffer_store_dword v31, off, s[0:3], 0 offset:12
	s_and_saveexec_b64 s[4:5], vcc
	s_cbranch_execz .LBB13_97
; %bb.96:
	buffer_load_dword v30, off, s[0:3], 0
	buffer_load_dword v31, off, s[0:3], 0 offset:4
	v_mov_b32_e32 v0, 0
	buffer_store_dword v0, off, s[0:3], 0
	buffer_store_dword v0, off, s[0:3], 0 offset:4
	s_waitcnt vmcnt(2)
	ds_write_b64 v29, v[30:31]
.LBB13_97:
	s_or_b64 exec, exec, s[4:5]
	s_waitcnt lgkmcnt(0)
	; wave barrier
	buffer_load_dword v57, off, s[0:3], 0 offset:12
	buffer_load_dword v58, off, s[0:3], 0 offset:20
	;; [unrolled: 1-line block ×26, first 2 shown]
	buffer_load_dword v81, off, s[0:3], 0
	buffer_load_dword v82, off, s[0:3], 0 offset:4
	v_mov_b32_e32 v30, 0
	ds_read2_b64 v[31:34], v30 offset0:15 offset1:16
	ds_read2_b64 v[35:38], v30 offset0:17 offset1:18
	;; [unrolled: 1-line block ×6, first 2 shown]
	ds_read_b64 v[55:56], v30 offset:216
	s_and_b64 vcc, exec, s[22:23]
	s_waitcnt vmcnt(27) lgkmcnt(6)
	v_mul_f32_e32 v83, v31, v57
	v_mul_f32_e32 v57, v32, v57
	s_waitcnt vmcnt(26)
	v_mul_f32_e32 v84, v33, v58
	v_mul_f32_e32 v58, v34, v58
	s_waitcnt vmcnt(25) lgkmcnt(5)
	v_mul_f32_e32 v85, v35, v59
	v_mul_f32_e32 v59, v36, v59
	s_waitcnt vmcnt(24)
	v_mul_f32_e32 v86, v37, v60
	v_mul_f32_e32 v60, v38, v60
	;; [unrolled: 6-line block ×3, first 2 shown]
	s_waitcnt vmcnt(21) lgkmcnt(3)
	v_mul_f32_e32 v89, v43, v63
	s_waitcnt vmcnt(14)
	v_fma_f32 v31, v31, v69, -v57
	v_fmac_f32_e32 v83, v32, v69
	s_waitcnt vmcnt(13)
	v_fma_f32 v32, v33, v70, -v58
	v_add_f32_e32 v31, 0, v31
	s_waitcnt vmcnt(12)
	v_fma_f32 v33, v35, v71, -v59
	v_add_f32_e32 v31, v31, v32
	v_fmac_f32_e32 v84, v34, v70
	s_waitcnt vmcnt(11)
	v_fma_f32 v34, v37, v72, -v60
	v_add_f32_e32 v31, v31, v33
	s_waitcnt vmcnt(10)
	v_fma_f32 v35, v39, v73, -v61
	v_add_f32_e32 v31, v31, v34
	v_fmac_f32_e32 v85, v36, v71
	s_waitcnt vmcnt(9)
	v_fma_f32 v36, v41, v74, -v62
	v_add_f32_e32 v31, v31, v35
	v_mul_f32_e32 v33, v44, v63
	v_add_f32_e32 v31, v31, v36
	s_waitcnt vmcnt(8)
	v_fma_f32 v33, v43, v75, -v33
	v_add_f32_e32 v31, v31, v33
	v_mul_f32_e32 v33, v46, v64
	v_add_f32_e32 v37, 0, v83
	s_waitcnt vmcnt(7)
	v_fma_f32 v33, v45, v76, -v33
	v_add_f32_e32 v37, v37, v84
	v_add_f32_e32 v31, v31, v33
	s_waitcnt lgkmcnt(2)
	v_mul_f32_e32 v33, v48, v65
	v_fmac_f32_e32 v86, v38, v72
	v_add_f32_e32 v32, v37, v85
	s_waitcnt vmcnt(6)
	v_fma_f32 v33, v47, v77, -v33
	v_fmac_f32_e32 v87, v40, v73
	v_add_f32_e32 v32, v32, v86
	v_add_f32_e32 v31, v31, v33
	v_mul_f32_e32 v33, v50, v66
	v_fmac_f32_e32 v88, v42, v74
	v_add_f32_e32 v32, v32, v87
	s_waitcnt vmcnt(5)
	v_fma_f32 v33, v49, v78, -v33
	v_mul_f32_e32 v90, v45, v64
	v_fmac_f32_e32 v89, v44, v75
	v_add_f32_e32 v32, v32, v88
	v_add_f32_e32 v31, v31, v33
	s_waitcnt lgkmcnt(1)
	v_mul_f32_e32 v33, v52, v67
	v_mul_f32_e32 v91, v47, v65
	v_fmac_f32_e32 v90, v46, v76
	v_add_f32_e32 v32, v32, v89
	s_waitcnt vmcnt(4)
	v_fma_f32 v33, v51, v79, -v33
	v_mul_f32_e32 v92, v49, v66
	v_fmac_f32_e32 v91, v48, v77
	v_add_f32_e32 v32, v32, v90
	v_add_f32_e32 v31, v31, v33
	v_mul_f32_e32 v33, v54, v0
	v_mul_f32_e32 v93, v51, v67
	v_fmac_f32_e32 v92, v50, v78
	v_add_f32_e32 v32, v32, v91
	s_waitcnt vmcnt(3)
	v_fma_f32 v33, v53, v29, -v33
	v_mul_f32_e32 v94, v53, v0
	v_fmac_f32_e32 v93, v52, v79
	v_add_f32_e32 v32, v32, v92
	v_add_f32_e32 v31, v31, v33
	s_waitcnt lgkmcnt(0)
	v_mul_f32_e32 v33, v56, v68
	v_mul_f32_e32 v95, v55, v68
	v_fmac_f32_e32 v94, v54, v29
	v_add_f32_e32 v32, v32, v93
	s_waitcnt vmcnt(2)
	v_fma_f32 v33, v55, v80, -v33
	v_fmac_f32_e32 v95, v56, v80
	v_add_f32_e32 v32, v32, v94
	v_add_f32_e32 v31, v31, v33
	;; [unrolled: 1-line block ×3, first 2 shown]
	s_waitcnt vmcnt(1)
	v_sub_f32_e32 v31, v81, v31
	s_waitcnt vmcnt(0)
	v_sub_f32_e32 v32, v82, v32
	buffer_store_dword v31, off, s[0:3], 0
	buffer_store_dword v32, off, s[0:3], 0 offset:4
	s_cbranch_vccz .LBB13_124
; %bb.98:
	global_load_dword v30, v30, s[20:21] offset:48
	s_waitcnt vmcnt(0)
	v_add_u32_e32 v30, -1, v30
	v_cmp_ne_u32_e32 vcc, 12, v30
	s_cbranch_vccz .LBB13_100
; %bb.99:
	v_lshlrev_b32_e32 v30, 3, v30
	buffer_load_dword v31, v30, s[0:3], 0 offen offset:4
	buffer_load_dword v32, v30, s[0:3], 0 offen
	s_waitcnt vmcnt(1)
	buffer_store_dword v31, off, s[0:3], 0 offset:100
	s_waitcnt vmcnt(1)
	buffer_store_dword v32, off, s[0:3], 0 offset:96
	buffer_store_dword v0, v30, s[0:3], 0 offen offset:4
	buffer_store_dword v29, v30, s[0:3], 0 offen
.LBB13_100:
	v_mov_b32_e32 v0, 0
	global_load_dword v29, v0, s[20:21] offset:44
	s_waitcnt vmcnt(0)
	v_add_u32_e32 v29, -1, v29
	v_cmp_eq_u32_e32 vcc, 11, v29
	s_cbranch_vccnz .LBB13_102
; %bb.101:
	v_lshlrev_b32_e32 v29, 3, v29
	buffer_load_dword v30, v29, s[0:3], 0 offen
	buffer_load_dword v31, v29, s[0:3], 0 offen offset:4
	buffer_load_dword v32, off, s[0:3], 0 offset:88
	buffer_load_dword v33, off, s[0:3], 0 offset:92
	s_waitcnt vmcnt(3)
	buffer_store_dword v30, off, s[0:3], 0 offset:88
	s_waitcnt vmcnt(3)
	buffer_store_dword v31, off, s[0:3], 0 offset:92
	s_waitcnt vmcnt(3)
	buffer_store_dword v32, v29, s[0:3], 0 offen
	s_waitcnt vmcnt(3)
	buffer_store_dword v33, v29, s[0:3], 0 offen offset:4
.LBB13_102:
	global_load_dword v0, v0, s[20:21] offset:40
	s_waitcnt vmcnt(0)
	v_add_u32_e32 v0, -1, v0
	v_cmp_eq_u32_e32 vcc, 10, v0
	s_cbranch_vccnz .LBB13_104
; %bb.103:
	v_lshlrev_b32_e32 v0, 3, v0
	buffer_load_dword v29, v0, s[0:3], 0 offen
	buffer_load_dword v30, v0, s[0:3], 0 offen offset:4
	buffer_load_dword v31, off, s[0:3], 0 offset:84
	buffer_load_dword v32, off, s[0:3], 0 offset:80
	s_waitcnt vmcnt(3)
	buffer_store_dword v29, off, s[0:3], 0 offset:80
	s_waitcnt vmcnt(3)
	buffer_store_dword v30, off, s[0:3], 0 offset:84
	s_waitcnt vmcnt(3)
	buffer_store_dword v31, v0, s[0:3], 0 offen offset:4
	s_waitcnt vmcnt(3)
	buffer_store_dword v32, v0, s[0:3], 0 offen
.LBB13_104:
	v_mov_b32_e32 v0, 0
	global_load_dword v29, v0, s[20:21] offset:36
	s_waitcnt vmcnt(0)
	v_add_u32_e32 v29, -1, v29
	v_cmp_eq_u32_e32 vcc, 9, v29
	s_cbranch_vccnz .LBB13_106
; %bb.105:
	v_lshlrev_b32_e32 v29, 3, v29
	buffer_load_dword v30, v29, s[0:3], 0 offen
	buffer_load_dword v31, v29, s[0:3], 0 offen offset:4
	buffer_load_dword v32, off, s[0:3], 0 offset:72
	buffer_load_dword v33, off, s[0:3], 0 offset:76
	s_waitcnt vmcnt(3)
	buffer_store_dword v30, off, s[0:3], 0 offset:72
	s_waitcnt vmcnt(3)
	buffer_store_dword v31, off, s[0:3], 0 offset:76
	s_waitcnt vmcnt(3)
	buffer_store_dword v32, v29, s[0:3], 0 offen
	s_waitcnt vmcnt(3)
	buffer_store_dword v33, v29, s[0:3], 0 offen offset:4
.LBB13_106:
	global_load_dword v0, v0, s[20:21] offset:32
	s_waitcnt vmcnt(0)
	v_add_u32_e32 v0, -1, v0
	v_cmp_eq_u32_e32 vcc, 8, v0
	s_cbranch_vccnz .LBB13_108
; %bb.107:
	v_lshlrev_b32_e32 v0, 3, v0
	buffer_load_dword v29, v0, s[0:3], 0 offen
	buffer_load_dword v30, v0, s[0:3], 0 offen offset:4
	buffer_load_dword v31, off, s[0:3], 0 offset:68
	buffer_load_dword v32, off, s[0:3], 0 offset:64
	s_waitcnt vmcnt(3)
	buffer_store_dword v29, off, s[0:3], 0 offset:64
	s_waitcnt vmcnt(3)
	buffer_store_dword v30, off, s[0:3], 0 offset:68
	s_waitcnt vmcnt(3)
	buffer_store_dword v31, v0, s[0:3], 0 offen offset:4
	s_waitcnt vmcnt(3)
	buffer_store_dword v32, v0, s[0:3], 0 offen
.LBB13_108:
	;; [unrolled: 41-line block ×5, first 2 shown]
	v_mov_b32_e32 v0, 0
	global_load_dword v29, v0, s[20:21] offset:4
	s_waitcnt vmcnt(0)
	v_add_u32_e32 v29, -1, v29
	v_cmp_eq_u32_e32 vcc, 1, v29
	s_cbranch_vccnz .LBB13_122
; %bb.121:
	v_lshlrev_b32_e32 v29, 3, v29
	buffer_load_dword v30, v29, s[0:3], 0 offen
	buffer_load_dword v31, v29, s[0:3], 0 offen offset:4
	buffer_load_dword v32, off, s[0:3], 0 offset:8
	buffer_load_dword v33, off, s[0:3], 0 offset:12
	s_waitcnt vmcnt(3)
	buffer_store_dword v30, off, s[0:3], 0 offset:8
	s_waitcnt vmcnt(3)
	buffer_store_dword v31, off, s[0:3], 0 offset:12
	s_waitcnt vmcnt(3)
	buffer_store_dword v32, v29, s[0:3], 0 offen
	s_waitcnt vmcnt(3)
	buffer_store_dword v33, v29, s[0:3], 0 offen offset:4
.LBB13_122:
	global_load_dword v0, v0, s[20:21]
	s_waitcnt vmcnt(0)
	v_add_u32_e32 v0, -1, v0
	v_cmp_eq_u32_e32 vcc, 0, v0
	s_cbranch_vccnz .LBB13_124
; %bb.123:
	v_lshlrev_b32_e32 v0, 3, v0
	buffer_load_dword v29, v0, s[0:3], 0 offen
	buffer_load_dword v30, v0, s[0:3], 0 offen offset:4
	buffer_load_dword v31, off, s[0:3], 0 offset:4
	buffer_load_dword v32, off, s[0:3], 0
	s_waitcnt vmcnt(3)
	buffer_store_dword v29, off, s[0:3], 0
	s_waitcnt vmcnt(3)
	buffer_store_dword v30, off, s[0:3], 0 offset:4
	s_waitcnt vmcnt(3)
	buffer_store_dword v31, v0, s[0:3], 0 offen offset:4
	s_waitcnt vmcnt(3)
	buffer_store_dword v32, v0, s[0:3], 0 offen
.LBB13_124:
	buffer_load_dword v29, off, s[0:3], 0
	buffer_load_dword v30, off, s[0:3], 0 offset:4
	buffer_load_dword v31, off, s[0:3], 0 offset:8
	s_nop 0
	buffer_load_dword v32, off, s[0:3], 0 offset:12
	buffer_load_dword v33, off, s[0:3], 0 offset:16
	;; [unrolled: 1-line block ×25, first 2 shown]
	s_waitcnt vmcnt(26)
	global_store_dwordx2 v[21:22], v[29:30], off
	s_waitcnt vmcnt(25)
	global_store_dwordx2 v[25:26], v[31:32], off
	;; [unrolled: 2-line block ×9, first 2 shown]
	global_store_dwordx2 v[15:16], v[47:48], off
	global_store_dwordx2 v[17:18], v[49:50], off
	;; [unrolled: 1-line block ×3, first 2 shown]
	s_waitcnt vmcnt(14)
	global_store_dwordx2 v[23:24], v[53:54], off
	s_waitcnt vmcnt(13)
	global_store_dwordx2 v[27:28], v[55:56], off
	s_endpgm
	.section	.rodata,"a",@progbits
	.p2align	6, 0x0
	.amdhsa_kernel _ZN9rocsolver6v33100L18getri_kernel_smallILi14E19rocblas_complex_numIfEPS3_EEvT1_iilPiilS6_bb
		.amdhsa_group_segment_fixed_size 228
		.amdhsa_private_segment_fixed_size 128
		.amdhsa_kernarg_size 60
		.amdhsa_user_sgpr_count 6
		.amdhsa_user_sgpr_private_segment_buffer 1
		.amdhsa_user_sgpr_dispatch_ptr 0
		.amdhsa_user_sgpr_queue_ptr 0
		.amdhsa_user_sgpr_kernarg_segment_ptr 1
		.amdhsa_user_sgpr_dispatch_id 0
		.amdhsa_user_sgpr_flat_scratch_init 0
		.amdhsa_user_sgpr_private_segment_size 0
		.amdhsa_uses_dynamic_stack 0
		.amdhsa_system_sgpr_private_segment_wavefront_offset 1
		.amdhsa_system_sgpr_workgroup_id_x 1
		.amdhsa_system_sgpr_workgroup_id_y 0
		.amdhsa_system_sgpr_workgroup_id_z 0
		.amdhsa_system_sgpr_workgroup_info 0
		.amdhsa_system_vgpr_workitem_id 0
		.amdhsa_next_free_vgpr 96
		.amdhsa_next_free_sgpr 24
		.amdhsa_reserve_vcc 1
		.amdhsa_reserve_flat_scratch 0
		.amdhsa_float_round_mode_32 0
		.amdhsa_float_round_mode_16_64 0
		.amdhsa_float_denorm_mode_32 3
		.amdhsa_float_denorm_mode_16_64 3
		.amdhsa_dx10_clamp 1
		.amdhsa_ieee_mode 1
		.amdhsa_fp16_overflow 0
		.amdhsa_exception_fp_ieee_invalid_op 0
		.amdhsa_exception_fp_denorm_src 0
		.amdhsa_exception_fp_ieee_div_zero 0
		.amdhsa_exception_fp_ieee_overflow 0
		.amdhsa_exception_fp_ieee_underflow 0
		.amdhsa_exception_fp_ieee_inexact 0
		.amdhsa_exception_int_div_zero 0
	.end_amdhsa_kernel
	.section	.text._ZN9rocsolver6v33100L18getri_kernel_smallILi14E19rocblas_complex_numIfEPS3_EEvT1_iilPiilS6_bb,"axG",@progbits,_ZN9rocsolver6v33100L18getri_kernel_smallILi14E19rocblas_complex_numIfEPS3_EEvT1_iilPiilS6_bb,comdat
.Lfunc_end13:
	.size	_ZN9rocsolver6v33100L18getri_kernel_smallILi14E19rocblas_complex_numIfEPS3_EEvT1_iilPiilS6_bb, .Lfunc_end13-_ZN9rocsolver6v33100L18getri_kernel_smallILi14E19rocblas_complex_numIfEPS3_EEvT1_iilPiilS6_bb
                                        ; -- End function
	.set _ZN9rocsolver6v33100L18getri_kernel_smallILi14E19rocblas_complex_numIfEPS3_EEvT1_iilPiilS6_bb.num_vgpr, 96
	.set _ZN9rocsolver6v33100L18getri_kernel_smallILi14E19rocblas_complex_numIfEPS3_EEvT1_iilPiilS6_bb.num_agpr, 0
	.set _ZN9rocsolver6v33100L18getri_kernel_smallILi14E19rocblas_complex_numIfEPS3_EEvT1_iilPiilS6_bb.numbered_sgpr, 24
	.set _ZN9rocsolver6v33100L18getri_kernel_smallILi14E19rocblas_complex_numIfEPS3_EEvT1_iilPiilS6_bb.num_named_barrier, 0
	.set _ZN9rocsolver6v33100L18getri_kernel_smallILi14E19rocblas_complex_numIfEPS3_EEvT1_iilPiilS6_bb.private_seg_size, 128
	.set _ZN9rocsolver6v33100L18getri_kernel_smallILi14E19rocblas_complex_numIfEPS3_EEvT1_iilPiilS6_bb.uses_vcc, 1
	.set _ZN9rocsolver6v33100L18getri_kernel_smallILi14E19rocblas_complex_numIfEPS3_EEvT1_iilPiilS6_bb.uses_flat_scratch, 0
	.set _ZN9rocsolver6v33100L18getri_kernel_smallILi14E19rocblas_complex_numIfEPS3_EEvT1_iilPiilS6_bb.has_dyn_sized_stack, 0
	.set _ZN9rocsolver6v33100L18getri_kernel_smallILi14E19rocblas_complex_numIfEPS3_EEvT1_iilPiilS6_bb.has_recursion, 0
	.set _ZN9rocsolver6v33100L18getri_kernel_smallILi14E19rocblas_complex_numIfEPS3_EEvT1_iilPiilS6_bb.has_indirect_call, 0
	.section	.AMDGPU.csdata,"",@progbits
; Kernel info:
; codeLenInByte = 12780
; TotalNumSgprs: 28
; NumVgprs: 96
; ScratchSize: 128
; MemoryBound: 0
; FloatMode: 240
; IeeeMode: 1
; LDSByteSize: 228 bytes/workgroup (compile time only)
; SGPRBlocks: 3
; VGPRBlocks: 23
; NumSGPRsForWavesPerEU: 28
; NumVGPRsForWavesPerEU: 96
; Occupancy: 2
; WaveLimiterHint : 1
; COMPUTE_PGM_RSRC2:SCRATCH_EN: 1
; COMPUTE_PGM_RSRC2:USER_SGPR: 6
; COMPUTE_PGM_RSRC2:TRAP_HANDLER: 0
; COMPUTE_PGM_RSRC2:TGID_X_EN: 1
; COMPUTE_PGM_RSRC2:TGID_Y_EN: 0
; COMPUTE_PGM_RSRC2:TGID_Z_EN: 0
; COMPUTE_PGM_RSRC2:TIDIG_COMP_CNT: 0
	.section	.text._ZN9rocsolver6v33100L18getri_kernel_smallILi15E19rocblas_complex_numIfEPS3_EEvT1_iilPiilS6_bb,"axG",@progbits,_ZN9rocsolver6v33100L18getri_kernel_smallILi15E19rocblas_complex_numIfEPS3_EEvT1_iilPiilS6_bb,comdat
	.globl	_ZN9rocsolver6v33100L18getri_kernel_smallILi15E19rocblas_complex_numIfEPS3_EEvT1_iilPiilS6_bb ; -- Begin function _ZN9rocsolver6v33100L18getri_kernel_smallILi15E19rocblas_complex_numIfEPS3_EEvT1_iilPiilS6_bb
	.p2align	8
	.type	_ZN9rocsolver6v33100L18getri_kernel_smallILi15E19rocblas_complex_numIfEPS3_EEvT1_iilPiilS6_bb,@function
_ZN9rocsolver6v33100L18getri_kernel_smallILi15E19rocblas_complex_numIfEPS3_EEvT1_iilPiilS6_bb: ; @_ZN9rocsolver6v33100L18getri_kernel_smallILi15E19rocblas_complex_numIfEPS3_EEvT1_iilPiilS6_bb
; %bb.0:
	s_add_u32 s0, s0, s7
	s_addc_u32 s1, s1, 0
	v_cmp_gt_u32_e32 vcc, 15, v0
	s_and_saveexec_b64 s[8:9], vcc
	s_cbranch_execz .LBB14_74
; %bb.1:
	s_load_dword s12, s[4:5], 0x38
	s_load_dwordx4 s[16:19], s[4:5], 0x10
	s_load_dwordx4 s[8:11], s[4:5], 0x28
                                        ; implicit-def: $sgpr20_sgpr21
	s_waitcnt lgkmcnt(0)
	s_bitcmp1_b32 s12, 8
	s_cselect_b64 s[22:23], -1, 0
	s_ashr_i32 s7, s6, 31
	s_bfe_u32 s12, s12, 0x10008
	s_cmp_eq_u32 s12, 0
	s_cbranch_scc1 .LBB14_3
; %bb.2:
	s_load_dword s12, s[4:5], 0x20
	s_mul_i32 s13, s8, s7
	s_mul_hi_u32 s14, s8, s6
	s_mul_i32 s9, s9, s6
	s_add_i32 s14, s14, s13
	s_add_i32 s9, s14, s9
	s_mul_i32 s8, s8, s6
	s_waitcnt lgkmcnt(0)
	s_ashr_i32 s13, s12, 31
	s_lshl_b64 s[8:9], s[8:9], 2
	s_add_u32 s14, s18, s8
	s_addc_u32 s15, s19, s9
	s_lshl_b64 s[8:9], s[12:13], 2
	s_add_u32 s20, s14, s8
	s_addc_u32 s21, s15, s9
.LBB14_3:
	s_load_dwordx4 s[12:15], s[4:5], 0x0
	s_load_dword s8, s[4:5], 0x38
	s_mul_i32 s9, s16, s7
	s_mul_hi_u32 s18, s16, s6
	s_add_i32 s9, s18, s9
	s_waitcnt lgkmcnt(0)
	s_ashr_i32 s5, s14, 31
	s_mov_b32 s4, s14
	s_mul_i32 s14, s17, s6
	s_add_i32 s17, s9, s14
	s_mul_i32 s16, s16, s6
	s_lshl_b64 s[16:17], s[16:17], 3
	s_add_u32 s9, s12, s16
	s_addc_u32 s12, s13, s17
	s_lshl_b64 s[4:5], s[4:5], 3
	s_add_u32 s4, s9, s4
	s_addc_u32 s5, s12, s5
	s_add_i32 s9, s15, s15
	v_add_u32_e32 v3, s9, v0
	v_ashrrev_i32_e32 v4, 31, v3
	v_lshlrev_b64 v[1:2], 3, v[3:4]
	v_add_u32_e32 v5, s15, v3
	v_mov_b32_e32 v4, s5
	v_add_co_u32_e32 v1, vcc, s4, v1
	v_ashrrev_i32_e32 v6, 31, v5
	v_addc_co_u32_e32 v2, vcc, v4, v2, vcc
	v_lshlrev_b64 v[3:4], 3, v[5:6]
	v_add_u32_e32 v7, s15, v5
	v_mov_b32_e32 v6, s5
	v_add_co_u32_e32 v3, vcc, s4, v3
	v_ashrrev_i32_e32 v8, 31, v7
	v_addc_co_u32_e32 v4, vcc, v6, v4, vcc
	;; [unrolled: 6-line block ×8, first 2 shown]
	v_lshlrev_b64 v[17:18], 3, v[19:20]
	v_mov_b32_e32 v21, s5
	v_add_co_u32_e32 v17, vcc, s4, v17
	v_addc_co_u32_e32 v18, vcc, v21, v18, vcc
	v_add_u32_e32 v21, s15, v19
	v_ashrrev_i32_e32 v22, 31, v21
	v_lshlrev_b64 v[19:20], 3, v[21:22]
	v_mov_b32_e32 v23, s5
	v_add_co_u32_e32 v19, vcc, s4, v19
	v_addc_co_u32_e32 v20, vcc, v23, v20, vcc
	v_add_u32_e32 v23, s15, v21
	v_ashrrev_i32_e32 v24, 31, v23
	v_lshlrev_b64 v[21:22], 3, v[23:24]
	v_mov_b32_e32 v25, s5
	v_add_co_u32_e32 v21, vcc, s4, v21
	v_addc_co_u32_e32 v22, vcc, v25, v22, vcc
	v_lshlrev_b32_e32 v33, 3, v0
	v_add_u32_e32 v29, s15, v23
	v_mov_b32_e32 v24, s5
	v_add_co_u32_e32 v23, vcc, s4, v33
	s_ashr_i32 s13, s15, 31
	s_mov_b32 s12, s15
	v_ashrrev_i32_e32 v30, 31, v29
	v_addc_co_u32_e32 v24, vcc, 0, v24, vcc
	s_lshl_b64 s[12:13], s[12:13], 3
	v_mov_b32_e32 v26, s13
	v_add_co_u32_e32 v25, vcc, s12, v23
	v_lshlrev_b64 v[27:28], 3, v[29:30]
	v_addc_co_u32_e32 v26, vcc, v24, v26, vcc
	v_mov_b32_e32 v44, s5
	v_add_co_u32_e32 v27, vcc, s4, v27
	global_load_dwordx2 v[31:32], v33, s[4:5]
	global_load_dwordx2 v[34:35], v[25:26], off
	global_load_dwordx2 v[36:37], v[1:2], off
	;; [unrolled: 1-line block ×5, first 2 shown]
	v_addc_co_u32_e32 v28, vcc, v44, v28, vcc
	global_load_dwordx2 v[44:45], v[9:10], off
	global_load_dwordx2 v[46:47], v[11:12], off
	global_load_dwordx2 v[48:49], v[13:14], off
	global_load_dwordx2 v[50:51], v[15:16], off
	global_load_dwordx2 v[52:53], v[17:18], off
	global_load_dwordx2 v[54:55], v[19:20], off
	global_load_dwordx2 v[56:57], v[21:22], off
	global_load_dwordx2 v[58:59], v[27:28], off
	v_add_u32_e32 v29, s15, v29
	v_ashrrev_i32_e32 v30, 31, v29
	v_lshlrev_b64 v[29:30], 3, v[29:30]
	v_mov_b32_e32 v60, s5
	v_add_co_u32_e32 v29, vcc, s4, v29
	v_addc_co_u32_e32 v30, vcc, v60, v30, vcc
	global_load_dwordx2 v[60:61], v[29:30], off
	s_bitcmp0_b32 s8, 0
	s_mov_b64 s[8:9], -1
	s_waitcnt vmcnt(14)
	buffer_store_dword v32, off, s[0:3], 0 offset:4
	buffer_store_dword v31, off, s[0:3], 0
	s_waitcnt vmcnt(15)
	buffer_store_dword v35, off, s[0:3], 0 offset:12
	buffer_store_dword v34, off, s[0:3], 0 offset:8
	s_waitcnt vmcnt(16)
	buffer_store_dword v37, off, s[0:3], 0 offset:20
	buffer_store_dword v36, off, s[0:3], 0 offset:16
	;; [unrolled: 3-line block ×14, first 2 shown]
	s_cbranch_scc1 .LBB14_72
; %bb.4:
	v_cmp_eq_u32_e64 s[4:5], 0, v0
	s_and_saveexec_b64 s[8:9], s[4:5]
; %bb.5:
	v_mov_b32_e32 v31, 0
	ds_write_b32 v31, v31 offset:120
; %bb.6:
	s_or_b64 exec, exec, s[8:9]
	v_mov_b32_e32 v31, 0
	v_lshl_add_u32 v35, v0, 3, v31
	s_waitcnt lgkmcnt(0)
	; wave barrier
	buffer_load_dword v31, v35, s[0:3], 0 offen
	buffer_load_dword v32, v35, s[0:3], 0 offen offset:4
	s_waitcnt vmcnt(1)
	v_cmp_eq_f32_e32 vcc, 0, v31
	s_waitcnt vmcnt(0)
	v_cmp_eq_f32_e64 s[8:9], 0, v32
	s_and_b64 s[8:9], vcc, s[8:9]
	s_and_saveexec_b64 s[12:13], s[8:9]
	s_cbranch_execz .LBB14_10
; %bb.7:
	v_mov_b32_e32 v31, 0
	ds_read_b32 v34, v31 offset:120
	v_add_u32_e32 v32, 1, v0
	s_waitcnt lgkmcnt(0)
	v_readfirstlane_b32 s8, v34
	s_cmp_eq_u32 s8, 0
	s_cselect_b64 s[14:15], -1, 0
	v_cmp_gt_i32_e32 vcc, s8, v32
	s_or_b64 s[14:15], s[14:15], vcc
	s_and_b64 exec, exec, s[14:15]
	s_cbranch_execz .LBB14_10
; %bb.8:
	s_mov_b64 s[14:15], 0
	v_mov_b32_e32 v34, s8
.LBB14_9:                               ; =>This Inner Loop Header: Depth=1
	ds_cmpst_rtn_b32 v34, v31, v34, v32 offset:120
	s_waitcnt lgkmcnt(0)
	v_cmp_ne_u32_e32 vcc, 0, v34
	v_cmp_le_i32_e64 s[8:9], v34, v32
	s_and_b64 s[8:9], vcc, s[8:9]
	s_and_b64 s[8:9], exec, s[8:9]
	s_or_b64 s[14:15], s[8:9], s[14:15]
	s_andn2_b64 exec, exec, s[14:15]
	s_cbranch_execnz .LBB14_9
.LBB14_10:
	s_or_b64 exec, exec, s[12:13]
	v_mov_b32_e32 v32, 0
	; wave barrier
	ds_read_b32 v31, v32 offset:120
	s_and_saveexec_b64 s[8:9], s[4:5]
	s_cbranch_execz .LBB14_12
; %bb.11:
	s_lshl_b64 s[12:13], s[6:7], 2
	s_add_u32 s12, s10, s12
	s_addc_u32 s13, s11, s13
	s_waitcnt lgkmcnt(0)
	global_store_dword v32, v31, s[12:13]
.LBB14_12:
	s_or_b64 exec, exec, s[8:9]
	s_waitcnt lgkmcnt(0)
	v_cmp_ne_u32_e32 vcc, 0, v31
	s_mov_b64 s[8:9], 0
	s_cbranch_vccnz .LBB14_72
; %bb.13:
	buffer_load_dword v32, v35, s[0:3], 0 offen
	buffer_load_dword v34, v35, s[0:3], 0 offen offset:4
                                        ; implicit-def: $vgpr37
                                        ; implicit-def: $vgpr36
                                        ; implicit-def: $vgpr31
	s_waitcnt vmcnt(0)
	v_cmp_ngt_f32_e64 s[8:9], |v32|, |v34|
	s_and_saveexec_b64 s[12:13], s[8:9]
	s_xor_b64 s[8:9], exec, s[12:13]
	s_cbranch_execz .LBB14_15
; %bb.14:
	v_div_scale_f32 v31, s[12:13], v34, v34, v32
	v_div_scale_f32 v36, vcc, v32, v34, v32
	v_rcp_f32_e32 v37, v31
	v_fma_f32 v38, -v31, v37, 1.0
	v_fmac_f32_e32 v37, v38, v37
	v_mul_f32_e32 v38, v36, v37
	v_fma_f32 v39, -v31, v38, v36
	v_fmac_f32_e32 v38, v39, v37
	v_fma_f32 v31, -v31, v38, v36
	v_div_fmas_f32 v31, v31, v37, v38
	v_div_fixup_f32 v31, v31, v34, v32
	v_fmac_f32_e32 v34, v32, v31
	v_div_scale_f32 v32, s[12:13], v34, v34, 1.0
	v_div_scale_f32 v36, vcc, 1.0, v34, 1.0
	v_rcp_f32_e32 v37, v32
	v_fma_f32 v38, -v32, v37, 1.0
	v_fmac_f32_e32 v37, v38, v37
	v_mul_f32_e32 v38, v36, v37
	v_fma_f32 v39, -v32, v38, v36
	v_fmac_f32_e32 v38, v39, v37
	v_fma_f32 v32, -v32, v38, v36
	v_div_fmas_f32 v32, v32, v37, v38
	v_div_fixup_f32 v32, v32, v34, 1.0
	v_mul_f32_e32 v37, v31, v32
	v_xor_b32_e32 v36, 0x80000000, v32
	v_xor_b32_e32 v31, 0x80000000, v37
                                        ; implicit-def: $vgpr32
                                        ; implicit-def: $vgpr34
.LBB14_15:
	s_andn2_saveexec_b64 s[8:9], s[8:9]
	s_cbranch_execz .LBB14_17
; %bb.16:
	v_div_scale_f32 v31, s[12:13], v32, v32, v34
	v_div_scale_f32 v36, vcc, v34, v32, v34
	v_rcp_f32_e32 v37, v31
	v_fma_f32 v38, -v31, v37, 1.0
	v_fmac_f32_e32 v37, v38, v37
	v_mul_f32_e32 v38, v36, v37
	v_fma_f32 v39, -v31, v38, v36
	v_fmac_f32_e32 v38, v39, v37
	v_fma_f32 v31, -v31, v38, v36
	v_div_fmas_f32 v31, v31, v37, v38
	v_div_fixup_f32 v36, v31, v32, v34
	v_fmac_f32_e32 v32, v34, v36
	v_div_scale_f32 v31, s[12:13], v32, v32, 1.0
	v_div_scale_f32 v34, vcc, 1.0, v32, 1.0
	v_rcp_f32_e32 v37, v31
	v_fma_f32 v38, -v31, v37, 1.0
	v_fmac_f32_e32 v37, v38, v37
	v_mul_f32_e32 v38, v34, v37
	v_fma_f32 v39, -v31, v38, v34
	v_fmac_f32_e32 v38, v39, v37
	v_fma_f32 v31, -v31, v38, v34
	v_div_fmas_f32 v31, v31, v37, v38
	v_div_fixup_f32 v37, v31, v32, 1.0
	v_xor_b32_e32 v31, 0x80000000, v37
	v_mul_f32_e64 v36, v36, -v37
.LBB14_17:
	s_or_b64 exec, exec, s[8:9]
	buffer_store_dword v37, v35, s[0:3], 0 offen
	buffer_store_dword v36, v35, s[0:3], 0 offen offset:4
	buffer_load_dword v38, off, s[0:3], 0 offset:12
	s_nop 0
	buffer_load_dword v37, off, s[0:3], 0 offset:8
	v_xor_b32_e32 v32, 0x80000000, v36
	v_add_u32_e32 v34, 0x80, v33
	s_waitcnt vmcnt(0)
	ds_write2_b64 v33, v[31:32], v[37:38] offset1:16
	s_waitcnt lgkmcnt(0)
	; wave barrier
	s_and_saveexec_b64 s[8:9], s[4:5]
	s_cbranch_execz .LBB14_19
; %bb.18:
	buffer_load_dword v38, v35, s[0:3], 0 offen offset:4
	buffer_load_dword v39, v35, s[0:3], 0 offen
	ds_read_b64 v[31:32], v34
	v_mov_b32_e32 v36, 0
	ds_read_b64 v[36:37], v36 offset:8
	s_waitcnt vmcnt(1) lgkmcnt(1)
	v_mul_f32_e32 v40, v32, v38
	v_mul_f32_e32 v38, v31, v38
	s_waitcnt vmcnt(0)
	v_fmac_f32_e32 v38, v32, v39
	v_fma_f32 v31, v31, v39, -v40
	v_add_f32_e32 v32, 0, v38
	v_add_f32_e32 v31, 0, v31
	s_waitcnt lgkmcnt(0)
	v_mul_f32_e32 v38, v32, v37
	v_mul_f32_e32 v37, v31, v37
	v_fma_f32 v31, v31, v36, -v38
	v_fmac_f32_e32 v37, v32, v36
	buffer_store_dword v31, off, s[0:3], 0 offset:8
	buffer_store_dword v37, off, s[0:3], 0 offset:12
.LBB14_19:
	s_or_b64 exec, exec, s[8:9]
	; wave barrier
	buffer_load_dword v31, off, s[0:3], 0 offset:16
	buffer_load_dword v32, off, s[0:3], 0 offset:20
	v_cmp_gt_u32_e32 vcc, 2, v0
	s_waitcnt vmcnt(0)
	ds_write_b64 v34, v[31:32]
	s_waitcnt lgkmcnt(0)
	; wave barrier
	s_and_saveexec_b64 s[8:9], vcc
	s_cbranch_execz .LBB14_23
; %bb.20:
	buffer_load_dword v36, v35, s[0:3], 0 offen offset:4
	buffer_load_dword v37, v35, s[0:3], 0 offen
	ds_read_b64 v[31:32], v34
	s_waitcnt vmcnt(1) lgkmcnt(0)
	v_mul_f32_e32 v35, v32, v36
	v_mul_f32_e32 v36, v31, v36
	s_waitcnt vmcnt(0)
	v_fma_f32 v31, v31, v37, -v35
	v_fmac_f32_e32 v36, v32, v37
	v_add_f32_e32 v32, 0, v31
	v_add_f32_e32 v31, 0, v36
	s_and_saveexec_b64 s[12:13], s[4:5]
	s_cbranch_execz .LBB14_22
; %bb.21:
	buffer_load_dword v37, off, s[0:3], 0 offset:12
	buffer_load_dword v38, off, s[0:3], 0 offset:8
	v_mov_b32_e32 v35, 0
	ds_read_b64 v[35:36], v35 offset:136
	s_waitcnt vmcnt(1) lgkmcnt(0)
	v_mul_f32_e32 v39, v35, v37
	v_mul_f32_e32 v37, v36, v37
	s_waitcnt vmcnt(0)
	v_fmac_f32_e32 v39, v36, v38
	v_fma_f32 v35, v35, v38, -v37
	v_add_f32_e32 v31, v31, v39
	v_add_f32_e32 v32, v32, v35
.LBB14_22:
	s_or_b64 exec, exec, s[12:13]
	v_mov_b32_e32 v35, 0
	ds_read_b64 v[35:36], v35 offset:16
	s_waitcnt lgkmcnt(0)
	v_mul_f32_e32 v37, v31, v36
	v_mul_f32_e32 v36, v32, v36
	v_fma_f32 v32, v32, v35, -v37
	v_fmac_f32_e32 v36, v31, v35
	buffer_store_dword v32, off, s[0:3], 0 offset:16
	buffer_store_dword v36, off, s[0:3], 0 offset:20
.LBB14_23:
	s_or_b64 exec, exec, s[8:9]
	; wave barrier
	buffer_load_dword v31, off, s[0:3], 0 offset:24
	buffer_load_dword v32, off, s[0:3], 0 offset:28
	v_cmp_gt_u32_e32 vcc, 3, v0
	s_waitcnt vmcnt(0)
	ds_write_b64 v34, v[31:32]
	v_add_u32_e32 v31, -1, v0
	s_waitcnt lgkmcnt(0)
	; wave barrier
	s_and_saveexec_b64 s[4:5], vcc
	s_cbranch_execz .LBB14_27
; %bb.24:
	v_add_u32_e32 v35, -1, v0
	v_add_u32_e32 v36, 0x80, v33
	v_mov_b32_e32 v37, v33
	v_mov_b32_e32 v32, 0
	s_mov_b64 s[8:9], 0
	v_mov_b32_e32 v38, 0
.LBB14_25:                              ; =>This Inner Loop Header: Depth=1
	buffer_load_dword v41, v37, s[0:3], 0 offen offset:4
	buffer_load_dword v42, v37, s[0:3], 0 offen
	ds_read_b64 v[39:40], v36
	v_add_u32_e32 v35, 1, v35
	v_cmp_lt_u32_e32 vcc, 1, v35
	v_add_u32_e32 v36, 8, v36
	v_add_u32_e32 v37, 8, v37
	s_or_b64 s[8:9], vcc, s[8:9]
	s_waitcnt vmcnt(1) lgkmcnt(0)
	v_mul_f32_e32 v43, v40, v41
	v_mul_f32_e32 v41, v39, v41
	s_waitcnt vmcnt(0)
	v_fma_f32 v39, v39, v42, -v43
	v_fmac_f32_e32 v41, v40, v42
	v_add_f32_e32 v38, v38, v39
	v_add_f32_e32 v32, v32, v41
	s_andn2_b64 exec, exec, s[8:9]
	s_cbranch_execnz .LBB14_25
; %bb.26:
	s_or_b64 exec, exec, s[8:9]
	v_mov_b32_e32 v35, 0
	ds_read_b64 v[35:36], v35 offset:24
	s_waitcnt lgkmcnt(0)
	v_mul_f32_e32 v37, v32, v36
	v_mul_f32_e32 v36, v38, v36
	v_fma_f32 v37, v38, v35, -v37
	v_fmac_f32_e32 v36, v32, v35
	buffer_store_dword v37, off, s[0:3], 0 offset:24
	buffer_store_dword v36, off, s[0:3], 0 offset:28
.LBB14_27:
	s_or_b64 exec, exec, s[4:5]
	; wave barrier
	buffer_load_dword v35, off, s[0:3], 0 offset:32
	buffer_load_dword v36, off, s[0:3], 0 offset:36
	v_cmp_gt_u32_e32 vcc, 4, v0
	s_waitcnt vmcnt(0)
	ds_write_b64 v34, v[35:36]
	s_waitcnt lgkmcnt(0)
	; wave barrier
	s_and_saveexec_b64 s[4:5], vcc
	s_cbranch_execz .LBB14_31
; %bb.28:
	v_add_u32_e32 v35, -1, v0
	v_add_u32_e32 v36, 0x80, v33
	v_mov_b32_e32 v37, v33
	v_mov_b32_e32 v32, 0
	s_mov_b64 s[8:9], 0
	v_mov_b32_e32 v38, 0
.LBB14_29:                              ; =>This Inner Loop Header: Depth=1
	buffer_load_dword v41, v37, s[0:3], 0 offen offset:4
	buffer_load_dword v42, v37, s[0:3], 0 offen
	ds_read_b64 v[39:40], v36
	v_add_u32_e32 v35, 1, v35
	v_cmp_lt_u32_e32 vcc, 2, v35
	v_add_u32_e32 v36, 8, v36
	v_add_u32_e32 v37, 8, v37
	s_or_b64 s[8:9], vcc, s[8:9]
	s_waitcnt vmcnt(1) lgkmcnt(0)
	v_mul_f32_e32 v43, v40, v41
	v_mul_f32_e32 v41, v39, v41
	s_waitcnt vmcnt(0)
	v_fma_f32 v39, v39, v42, -v43
	v_fmac_f32_e32 v41, v40, v42
	v_add_f32_e32 v38, v38, v39
	v_add_f32_e32 v32, v32, v41
	s_andn2_b64 exec, exec, s[8:9]
	s_cbranch_execnz .LBB14_29
; %bb.30:
	s_or_b64 exec, exec, s[8:9]
	v_mov_b32_e32 v35, 0
	ds_read_b64 v[35:36], v35 offset:32
	s_waitcnt lgkmcnt(0)
	v_mul_f32_e32 v37, v32, v36
	v_mul_f32_e32 v36, v38, v36
	v_fma_f32 v37, v38, v35, -v37
	v_fmac_f32_e32 v36, v32, v35
	buffer_store_dword v37, off, s[0:3], 0 offset:32
	buffer_store_dword v36, off, s[0:3], 0 offset:36
.LBB14_31:
	s_or_b64 exec, exec, s[4:5]
	; wave barrier
	buffer_load_dword v35, off, s[0:3], 0 offset:40
	buffer_load_dword v36, off, s[0:3], 0 offset:44
	v_cmp_gt_u32_e32 vcc, 5, v0
	s_waitcnt vmcnt(0)
	ds_write_b64 v34, v[35:36]
	;; [unrolled: 49-line block ×10, first 2 shown]
	s_waitcnt lgkmcnt(0)
	; wave barrier
	s_and_saveexec_b64 s[4:5], vcc
	s_cbranch_execz .LBB14_67
; %bb.64:
	v_add_u32_e32 v35, -1, v0
	v_add_u32_e32 v36, 0x80, v33
	v_mov_b32_e32 v37, v33
	v_mov_b32_e32 v32, 0
	s_mov_b64 s[8:9], 0
	v_mov_b32_e32 v38, 0
.LBB14_65:                              ; =>This Inner Loop Header: Depth=1
	buffer_load_dword v41, v37, s[0:3], 0 offen offset:4
	buffer_load_dword v42, v37, s[0:3], 0 offen
	ds_read_b64 v[39:40], v36
	v_add_u32_e32 v35, 1, v35
	v_cmp_lt_u32_e32 vcc, 11, v35
	v_add_u32_e32 v36, 8, v36
	v_add_u32_e32 v37, 8, v37
	s_or_b64 s[8:9], vcc, s[8:9]
	s_waitcnt vmcnt(1) lgkmcnt(0)
	v_mul_f32_e32 v43, v40, v41
	v_mul_f32_e32 v41, v39, v41
	s_waitcnt vmcnt(0)
	v_fma_f32 v39, v39, v42, -v43
	v_fmac_f32_e32 v41, v40, v42
	v_add_f32_e32 v38, v38, v39
	v_add_f32_e32 v32, v32, v41
	s_andn2_b64 exec, exec, s[8:9]
	s_cbranch_execnz .LBB14_65
; %bb.66:
	s_or_b64 exec, exec, s[8:9]
	v_mov_b32_e32 v35, 0
	ds_read_b64 v[35:36], v35 offset:104
	s_waitcnt lgkmcnt(0)
	v_mul_f32_e32 v37, v32, v36
	v_mul_f32_e32 v36, v38, v36
	v_fma_f32 v37, v38, v35, -v37
	v_fmac_f32_e32 v36, v32, v35
	buffer_store_dword v37, off, s[0:3], 0 offset:104
	buffer_store_dword v36, off, s[0:3], 0 offset:108
.LBB14_67:
	s_or_b64 exec, exec, s[4:5]
	; wave barrier
	buffer_load_dword v35, off, s[0:3], 0 offset:112
	buffer_load_dword v36, off, s[0:3], 0 offset:116
	v_cmp_ne_u32_e32 vcc, 14, v0
	s_waitcnt vmcnt(0)
	ds_write_b64 v34, v[35:36]
	s_waitcnt lgkmcnt(0)
	; wave barrier
	s_and_saveexec_b64 s[4:5], vcc
	s_cbranch_execz .LBB14_71
; %bb.68:
	v_add_u32_e32 v34, 0x80, v33
	v_mov_b32_e32 v32, 0
	s_mov_b64 s[8:9], 0
	v_mov_b32_e32 v35, 0
.LBB14_69:                              ; =>This Inner Loop Header: Depth=1
	buffer_load_dword v38, v33, s[0:3], 0 offen offset:4
	buffer_load_dword v39, v33, s[0:3], 0 offen
	ds_read_b64 v[36:37], v34
	v_add_u32_e32 v31, 1, v31
	v_cmp_lt_u32_e32 vcc, 12, v31
	v_add_u32_e32 v34, 8, v34
	v_add_u32_e32 v33, 8, v33
	s_or_b64 s[8:9], vcc, s[8:9]
	s_waitcnt vmcnt(1) lgkmcnt(0)
	v_mul_f32_e32 v40, v37, v38
	v_mul_f32_e32 v38, v36, v38
	s_waitcnt vmcnt(0)
	v_fma_f32 v36, v36, v39, -v40
	v_fmac_f32_e32 v38, v37, v39
	v_add_f32_e32 v35, v35, v36
	v_add_f32_e32 v32, v32, v38
	s_andn2_b64 exec, exec, s[8:9]
	s_cbranch_execnz .LBB14_69
; %bb.70:
	s_or_b64 exec, exec, s[8:9]
	v_mov_b32_e32 v31, 0
	ds_read_b64 v[33:34], v31 offset:112
	s_waitcnt lgkmcnt(0)
	v_mul_f32_e32 v31, v32, v34
	v_mul_f32_e32 v34, v35, v34
	v_fma_f32 v31, v35, v33, -v31
	v_fmac_f32_e32 v34, v32, v33
	buffer_store_dword v31, off, s[0:3], 0 offset:112
	buffer_store_dword v34, off, s[0:3], 0 offset:116
.LBB14_71:
	s_or_b64 exec, exec, s[4:5]
	s_mov_b64 s[8:9], -1
	; wave barrier
.LBB14_72:
	s_and_b64 vcc, exec, s[8:9]
	s_cbranch_vccz .LBB14_74
; %bb.73:
	s_lshl_b64 s[4:5], s[6:7], 2
	s_add_u32 s4, s10, s4
	s_addc_u32 s5, s11, s5
	v_mov_b32_e32 v31, 0
	global_load_dword v31, v31, s[4:5]
	s_waitcnt vmcnt(0)
	v_cmp_ne_u32_e32 vcc, 0, v31
	s_cbranch_vccz .LBB14_75
.LBB14_74:
	s_endpgm
.LBB14_75:
	v_mov_b32_e32 v31, 0x80
	v_lshl_add_u32 v31, v0, 3, v31
	v_cmp_eq_u32_e32 vcc, 14, v0
	s_and_saveexec_b64 s[4:5], vcc
	s_cbranch_execz .LBB14_77
; %bb.76:
	buffer_load_dword v32, off, s[0:3], 0 offset:104
	buffer_load_dword v33, off, s[0:3], 0 offset:108
	v_mov_b32_e32 v34, 0
	buffer_store_dword v34, off, s[0:3], 0 offset:104
	buffer_store_dword v34, off, s[0:3], 0 offset:108
	s_waitcnt vmcnt(2)
	ds_write_b64 v31, v[32:33]
.LBB14_77:
	s_or_b64 exec, exec, s[4:5]
	s_waitcnt lgkmcnt(0)
	; wave barrier
	buffer_load_dword v35, off, s[0:3], 0 offset:116
	buffer_load_dword v36, off, s[0:3], 0 offset:112
	;; [unrolled: 1-line block ×4, first 2 shown]
	v_mov_b32_e32 v32, 0
	ds_read_b64 v[33:34], v32 offset:240
	v_cmp_lt_u32_e32 vcc, 12, v0
	s_waitcnt vmcnt(3) lgkmcnt(0)
	v_mul_f32_e32 v39, v33, v35
	v_mul_f32_e32 v35, v34, v35
	s_waitcnt vmcnt(2)
	v_fma_f32 v33, v33, v36, -v35
	v_fmac_f32_e32 v39, v34, v36
	v_add_f32_e32 v33, 0, v33
	v_add_f32_e32 v34, 0, v39
	s_waitcnt vmcnt(1)
	v_sub_f32_e32 v33, v37, v33
	s_waitcnt vmcnt(0)
	v_sub_f32_e32 v34, v38, v34
	buffer_store_dword v33, off, s[0:3], 0 offset:104
	buffer_store_dword v34, off, s[0:3], 0 offset:108
	s_and_saveexec_b64 s[4:5], vcc
	s_cbranch_execz .LBB14_79
; %bb.78:
	buffer_load_dword v33, off, s[0:3], 0 offset:96
	buffer_load_dword v34, off, s[0:3], 0 offset:100
	s_waitcnt vmcnt(0)
	ds_write_b64 v31, v[33:34]
	buffer_store_dword v32, off, s[0:3], 0 offset:96
	buffer_store_dword v32, off, s[0:3], 0 offset:100
.LBB14_79:
	s_or_b64 exec, exec, s[4:5]
	s_waitcnt lgkmcnt(0)
	; wave barrier
	buffer_load_dword v36, off, s[0:3], 0 offset:108
	buffer_load_dword v37, off, s[0:3], 0 offset:116
	;; [unrolled: 1-line block ×6, first 2 shown]
	ds_read2_b64 v[32:35], v32 offset0:29 offset1:30
	v_cmp_lt_u32_e32 vcc, 11, v0
	s_waitcnt vmcnt(5) lgkmcnt(0)
	v_mul_f32_e32 v42, v32, v36
	v_mul_f32_e32 v36, v33, v36
	s_waitcnt vmcnt(4)
	v_mul_f32_e32 v43, v34, v37
	v_mul_f32_e32 v37, v35, v37
	s_waitcnt vmcnt(3)
	v_fma_f32 v32, v32, v38, -v36
	v_fmac_f32_e32 v42, v33, v38
	s_waitcnt vmcnt(2)
	v_fma_f32 v33, v34, v39, -v37
	v_add_f32_e32 v32, 0, v32
	v_fmac_f32_e32 v43, v35, v39
	v_add_f32_e32 v34, 0, v42
	v_add_f32_e32 v32, v32, v33
	;; [unrolled: 1-line block ×3, first 2 shown]
	s_waitcnt vmcnt(1)
	v_sub_f32_e32 v32, v40, v32
	s_waitcnt vmcnt(0)
	v_sub_f32_e32 v33, v41, v34
	buffer_store_dword v32, off, s[0:3], 0 offset:96
	buffer_store_dword v33, off, s[0:3], 0 offset:100
	s_and_saveexec_b64 s[4:5], vcc
	s_cbranch_execz .LBB14_81
; %bb.80:
	buffer_load_dword v32, off, s[0:3], 0 offset:88
	buffer_load_dword v33, off, s[0:3], 0 offset:92
	v_mov_b32_e32 v34, 0
	buffer_store_dword v34, off, s[0:3], 0 offset:88
	buffer_store_dword v34, off, s[0:3], 0 offset:92
	s_waitcnt vmcnt(2)
	ds_write_b64 v31, v[32:33]
.LBB14_81:
	s_or_b64 exec, exec, s[4:5]
	s_waitcnt lgkmcnt(0)
	; wave barrier
	buffer_load_dword v39, off, s[0:3], 0 offset:100
	buffer_load_dword v40, off, s[0:3], 0 offset:108
	;; [unrolled: 1-line block ×8, first 2 shown]
	v_mov_b32_e32 v32, 0
	ds_read_b128 v[33:36], v32 offset:224
	ds_read_b64 v[37:38], v32 offset:240
	v_cmp_lt_u32_e32 vcc, 10, v0
	s_waitcnt vmcnt(7) lgkmcnt(1)
	v_mul_f32_e32 v47, v33, v39
	v_mul_f32_e32 v39, v34, v39
	s_waitcnt vmcnt(6)
	v_mul_f32_e32 v48, v35, v40
	v_mul_f32_e32 v40, v36, v40
	s_waitcnt vmcnt(4)
	v_fma_f32 v33, v33, v42, -v39
	s_waitcnt lgkmcnt(0)
	v_mul_f32_e32 v49, v37, v41
	v_mul_f32_e32 v41, v38, v41
	v_fmac_f32_e32 v47, v34, v42
	s_waitcnt vmcnt(3)
	v_fma_f32 v34, v35, v43, -v40
	v_add_f32_e32 v33, 0, v33
	v_fmac_f32_e32 v48, v36, v43
	s_waitcnt vmcnt(2)
	v_fma_f32 v35, v37, v44, -v41
	v_add_f32_e32 v36, 0, v47
	v_add_f32_e32 v33, v33, v34
	v_fmac_f32_e32 v49, v38, v44
	v_add_f32_e32 v36, v36, v48
	v_add_f32_e32 v33, v33, v35
	;; [unrolled: 1-line block ×3, first 2 shown]
	s_waitcnt vmcnt(1)
	v_sub_f32_e32 v33, v45, v33
	s_waitcnt vmcnt(0)
	v_sub_f32_e32 v34, v46, v34
	buffer_store_dword v33, off, s[0:3], 0 offset:88
	buffer_store_dword v34, off, s[0:3], 0 offset:92
	s_and_saveexec_b64 s[4:5], vcc
	s_cbranch_execz .LBB14_83
; %bb.82:
	buffer_load_dword v33, off, s[0:3], 0 offset:80
	buffer_load_dword v34, off, s[0:3], 0 offset:84
	s_waitcnt vmcnt(0)
	ds_write_b64 v31, v[33:34]
	buffer_store_dword v32, off, s[0:3], 0 offset:80
	buffer_store_dword v32, off, s[0:3], 0 offset:84
.LBB14_83:
	s_or_b64 exec, exec, s[4:5]
	s_waitcnt lgkmcnt(0)
	; wave barrier
	buffer_load_dword v41, off, s[0:3], 0 offset:92
	buffer_load_dword v42, off, s[0:3], 0 offset:100
	;; [unrolled: 1-line block ×10, first 2 shown]
	ds_read2_b64 v[33:36], v32 offset0:27 offset1:28
	ds_read2_b64 v[37:40], v32 offset0:29 offset1:30
	v_cmp_lt_u32_e32 vcc, 9, v0
	s_waitcnt vmcnt(9) lgkmcnt(1)
	v_mul_f32_e32 v32, v33, v41
	v_mul_f32_e32 v41, v34, v41
	s_waitcnt vmcnt(8)
	v_mul_f32_e32 v51, v35, v42
	v_mul_f32_e32 v42, v36, v42
	s_waitcnt vmcnt(5)
	v_fma_f32 v33, v33, v45, -v41
	s_waitcnt lgkmcnt(0)
	v_mul_f32_e32 v52, v37, v43
	v_mul_f32_e32 v43, v38, v43
	v_fmac_f32_e32 v32, v34, v45
	s_waitcnt vmcnt(4)
	v_fma_f32 v34, v35, v46, -v42
	v_add_f32_e32 v33, 0, v33
	v_mul_f32_e32 v53, v39, v44
	v_mul_f32_e32 v44, v40, v44
	v_fmac_f32_e32 v51, v36, v46
	s_waitcnt vmcnt(3)
	v_fma_f32 v35, v37, v47, -v43
	v_add_f32_e32 v32, 0, v32
	v_add_f32_e32 v33, v33, v34
	v_fmac_f32_e32 v52, v38, v47
	s_waitcnt vmcnt(2)
	v_fma_f32 v36, v39, v48, -v44
	v_add_f32_e32 v32, v32, v51
	v_add_f32_e32 v33, v33, v35
	v_fmac_f32_e32 v53, v40, v48
	v_add_f32_e32 v32, v32, v52
	v_add_f32_e32 v33, v33, v36
	;; [unrolled: 1-line block ×3, first 2 shown]
	s_waitcnt vmcnt(1)
	v_sub_f32_e32 v33, v49, v33
	s_waitcnt vmcnt(0)
	v_sub_f32_e32 v32, v50, v32
	buffer_store_dword v33, off, s[0:3], 0 offset:80
	buffer_store_dword v32, off, s[0:3], 0 offset:84
	s_and_saveexec_b64 s[4:5], vcc
	s_cbranch_execz .LBB14_85
; %bb.84:
	buffer_load_dword v32, off, s[0:3], 0 offset:72
	buffer_load_dword v33, off, s[0:3], 0 offset:76
	v_mov_b32_e32 v34, 0
	buffer_store_dword v34, off, s[0:3], 0 offset:72
	buffer_store_dword v34, off, s[0:3], 0 offset:76
	s_waitcnt vmcnt(2)
	ds_write_b64 v31, v[32:33]
.LBB14_85:
	s_or_b64 exec, exec, s[4:5]
	s_waitcnt lgkmcnt(0)
	; wave barrier
	buffer_load_dword v43, off, s[0:3], 0 offset:84
	buffer_load_dword v44, off, s[0:3], 0 offset:92
	;; [unrolled: 1-line block ×12, first 2 shown]
	v_mov_b32_e32 v32, 0
	ds_read_b128 v[33:36], v32 offset:208
	ds_read_b128 v[37:40], v32 offset:224
	ds_read_b64 v[41:42], v32 offset:240
	v_cmp_lt_u32_e32 vcc, 8, v0
	s_waitcnt vmcnt(11) lgkmcnt(2)
	v_mul_f32_e32 v55, v33, v43
	v_mul_f32_e32 v43, v34, v43
	s_waitcnt vmcnt(10)
	v_mul_f32_e32 v56, v35, v44
	v_mul_f32_e32 v44, v36, v44
	s_waitcnt vmcnt(9) lgkmcnt(1)
	v_mul_f32_e32 v57, v37, v45
	s_waitcnt vmcnt(6)
	v_fma_f32 v33, v33, v48, -v43
	v_mul_f32_e32 v45, v38, v45
	v_fmac_f32_e32 v55, v34, v48
	s_waitcnt vmcnt(5)
	v_fma_f32 v34, v35, v49, -v44
	v_add_f32_e32 v33, 0, v33
	v_mul_f32_e32 v58, v39, v46
	v_mul_f32_e32 v46, v40, v46
	v_fmac_f32_e32 v56, v36, v49
	s_waitcnt vmcnt(4)
	v_fmac_f32_e32 v57, v38, v50
	v_fma_f32 v35, v37, v50, -v45
	v_add_f32_e32 v38, 0, v55
	v_add_f32_e32 v33, v33, v34
	s_waitcnt lgkmcnt(0)
	v_mul_f32_e32 v59, v41, v47
	v_mul_f32_e32 v47, v42, v47
	s_waitcnt vmcnt(3)
	v_fma_f32 v36, v39, v51, -v46
	v_add_f32_e32 v38, v38, v56
	v_add_f32_e32 v33, v33, v35
	v_fmac_f32_e32 v58, v40, v51
	s_waitcnt vmcnt(2)
	v_fma_f32 v37, v41, v52, -v47
	v_add_f32_e32 v34, v38, v57
	v_add_f32_e32 v33, v33, v36
	v_fmac_f32_e32 v59, v42, v52
	v_add_f32_e32 v34, v34, v58
	v_add_f32_e32 v33, v33, v37
	;; [unrolled: 1-line block ×3, first 2 shown]
	s_waitcnt vmcnt(1)
	v_sub_f32_e32 v33, v53, v33
	s_waitcnt vmcnt(0)
	v_sub_f32_e32 v34, v54, v34
	buffer_store_dword v33, off, s[0:3], 0 offset:72
	buffer_store_dword v34, off, s[0:3], 0 offset:76
	s_and_saveexec_b64 s[4:5], vcc
	s_cbranch_execz .LBB14_87
; %bb.86:
	buffer_load_dword v33, off, s[0:3], 0 offset:64
	buffer_load_dword v34, off, s[0:3], 0 offset:68
	s_waitcnt vmcnt(0)
	ds_write_b64 v31, v[33:34]
	buffer_store_dword v32, off, s[0:3], 0 offset:64
	buffer_store_dword v32, off, s[0:3], 0 offset:68
.LBB14_87:
	s_or_b64 exec, exec, s[4:5]
	s_waitcnt lgkmcnt(0)
	; wave barrier
	ds_read2_b64 v[33:36], v32 offset0:25 offset1:26
	buffer_load_dword v45, off, s[0:3], 0 offset:64
	buffer_load_dword v46, off, s[0:3], 0 offset:68
	;; [unrolled: 1-line block ×14, first 2 shown]
	v_cmp_lt_u32_e32 vcc, 7, v0
	s_waitcnt vmcnt(10) lgkmcnt(0)
	v_mul_f32_e32 v37, v33, v48
	v_fmac_f32_e32 v37, v34, v47
	s_waitcnt vmcnt(8)
	v_mul_f32_e32 v38, v35, v50
	v_add_f32_e32 v37, 0, v37
	v_fmac_f32_e32 v38, v36, v49
	v_add_f32_e32 v41, v37, v38
	ds_read2_b64 v[37:40], v32 offset0:27 offset1:28
	v_mul_f32_e32 v34, v34, v48
	v_fma_f32 v33, v33, v47, -v34
	v_mul_f32_e32 v34, v36, v50
	v_add_f32_e32 v33, 0, v33
	s_waitcnt vmcnt(6) lgkmcnt(0)
	v_mul_f32_e32 v42, v37, v52
	v_fmac_f32_e32 v42, v38, v51
	v_add_f32_e32 v41, v41, v42
	s_waitcnt vmcnt(4)
	v_mul_f32_e32 v42, v39, v54
	v_fmac_f32_e32 v42, v40, v53
	v_add_f32_e32 v59, v41, v42
	ds_read2_b64 v[41:44], v32 offset0:29 offset1:30
	v_fma_f32 v34, v35, v49, -v34
	v_add_f32_e32 v33, v33, v34
	v_mul_f32_e32 v34, v38, v52
	v_fma_f32 v34, v37, v51, -v34
	v_add_f32_e32 v33, v33, v34
	v_mul_f32_e32 v34, v40, v54
	v_fma_f32 v34, v39, v53, -v34
	v_add_f32_e32 v33, v33, v34
	s_waitcnt vmcnt(2) lgkmcnt(0)
	v_mul_f32_e32 v34, v42, v56
	v_mul_f32_e32 v32, v41, v56
	v_fma_f32 v34, v41, v55, -v34
	v_fmac_f32_e32 v32, v42, v55
	v_add_f32_e32 v33, v33, v34
	s_waitcnt vmcnt(0)
	v_mul_f32_e32 v34, v44, v58
	v_add_f32_e32 v32, v59, v32
	v_mul_f32_e32 v59, v43, v58
	v_fma_f32 v34, v43, v57, -v34
	v_fmac_f32_e32 v59, v44, v57
	v_add_f32_e32 v33, v33, v34
	v_add_f32_e32 v32, v32, v59
	v_sub_f32_e32 v33, v45, v33
	v_sub_f32_e32 v32, v46, v32
	buffer_store_dword v33, off, s[0:3], 0 offset:64
	buffer_store_dword v32, off, s[0:3], 0 offset:68
	s_and_saveexec_b64 s[4:5], vcc
	s_cbranch_execz .LBB14_89
; %bb.88:
	buffer_load_dword v32, off, s[0:3], 0 offset:56
	buffer_load_dword v33, off, s[0:3], 0 offset:60
	v_mov_b32_e32 v34, 0
	buffer_store_dword v34, off, s[0:3], 0 offset:56
	buffer_store_dword v34, off, s[0:3], 0 offset:60
	s_waitcnt vmcnt(2)
	ds_write_b64 v31, v[32:33]
.LBB14_89:
	s_or_b64 exec, exec, s[4:5]
	s_waitcnt lgkmcnt(0)
	; wave barrier
	buffer_load_dword v47, off, s[0:3], 0 offset:68
	buffer_load_dword v48, off, s[0:3], 0 offset:76
	;; [unrolled: 1-line block ×16, first 2 shown]
	v_mov_b32_e32 v32, 0
	ds_read_b128 v[33:36], v32 offset:192
	ds_read_b128 v[37:40], v32 offset:208
	;; [unrolled: 1-line block ×3, first 2 shown]
	ds_read_b64 v[45:46], v32 offset:240
	v_cmp_lt_u32_e32 vcc, 6, v0
	s_waitcnt vmcnt(15) lgkmcnt(3)
	v_mul_f32_e32 v63, v33, v47
	v_mul_f32_e32 v47, v34, v47
	s_waitcnt vmcnt(14)
	v_mul_f32_e32 v64, v35, v48
	v_mul_f32_e32 v48, v36, v48
	s_waitcnt vmcnt(13) lgkmcnt(2)
	v_mul_f32_e32 v65, v37, v49
	s_waitcnt vmcnt(12)
	v_mul_f32_e32 v66, v39, v50
	v_mul_f32_e32 v49, v38, v49
	s_waitcnt vmcnt(8)
	v_fma_f32 v33, v33, v54, -v47
	v_fmac_f32_e32 v63, v34, v54
	s_waitcnt vmcnt(7)
	v_fma_f32 v34, v35, v55, -v48
	v_add_f32_e32 v33, 0, v33
	v_mul_f32_e32 v50, v40, v50
	v_fmac_f32_e32 v64, v36, v55
	s_waitcnt vmcnt(5)
	v_fmac_f32_e32 v66, v40, v57
	v_fma_f32 v35, v37, v56, -v49
	v_add_f32_e32 v40, 0, v63
	v_add_f32_e32 v33, v33, v34
	s_waitcnt lgkmcnt(1)
	v_mul_f32_e32 v67, v41, v51
	v_mul_f32_e32 v51, v42, v51
	v_fmac_f32_e32 v65, v38, v56
	v_fma_f32 v36, v39, v57, -v50
	v_add_f32_e32 v40, v40, v64
	v_add_f32_e32 v33, v33, v35
	v_mul_f32_e32 v68, v43, v52
	v_mul_f32_e32 v52, v44, v52
	s_waitcnt vmcnt(4)
	v_fma_f32 v37, v41, v58, -v51
	v_add_f32_e32 v34, v40, v65
	v_add_f32_e32 v33, v33, v36
	s_waitcnt lgkmcnt(0)
	v_mul_f32_e32 v69, v45, v53
	v_mul_f32_e32 v53, v46, v53
	v_fmac_f32_e32 v67, v42, v58
	s_waitcnt vmcnt(3)
	v_fma_f32 v38, v43, v59, -v52
	v_add_f32_e32 v34, v34, v66
	v_add_f32_e32 v33, v33, v37
	v_fmac_f32_e32 v68, v44, v59
	s_waitcnt vmcnt(2)
	v_fma_f32 v39, v45, v60, -v53
	v_add_f32_e32 v34, v34, v67
	v_add_f32_e32 v33, v33, v38
	v_fmac_f32_e32 v69, v46, v60
	v_add_f32_e32 v34, v34, v68
	v_add_f32_e32 v33, v33, v39
	;; [unrolled: 1-line block ×3, first 2 shown]
	s_waitcnt vmcnt(1)
	v_sub_f32_e32 v33, v61, v33
	s_waitcnt vmcnt(0)
	v_sub_f32_e32 v34, v62, v34
	buffer_store_dword v33, off, s[0:3], 0 offset:56
	buffer_store_dword v34, off, s[0:3], 0 offset:60
	s_and_saveexec_b64 s[4:5], vcc
	s_cbranch_execz .LBB14_91
; %bb.90:
	buffer_load_dword v33, off, s[0:3], 0 offset:48
	buffer_load_dword v34, off, s[0:3], 0 offset:52
	s_waitcnt vmcnt(0)
	ds_write_b64 v31, v[33:34]
	buffer_store_dword v32, off, s[0:3], 0 offset:48
	buffer_store_dword v32, off, s[0:3], 0 offset:52
.LBB14_91:
	s_or_b64 exec, exec, s[4:5]
	s_waitcnt lgkmcnt(0)
	; wave barrier
	buffer_load_dword v49, off, s[0:3], 0 offset:60
	buffer_load_dword v50, off, s[0:3], 0 offset:68
	;; [unrolled: 1-line block ×18, first 2 shown]
	ds_read2_b64 v[33:36], v32 offset0:23 offset1:24
	ds_read2_b64 v[37:40], v32 offset0:25 offset1:26
	ds_read2_b64 v[41:44], v32 offset0:27 offset1:28
	ds_read2_b64 v[45:48], v32 offset0:29 offset1:30
	v_cmp_lt_u32_e32 vcc, 5, v0
	s_waitcnt vmcnt(17) lgkmcnt(3)
	v_mul_f32_e32 v32, v33, v49
	v_mul_f32_e32 v49, v34, v49
	s_waitcnt vmcnt(16)
	v_mul_f32_e32 v67, v35, v50
	v_mul_f32_e32 v50, v36, v50
	s_waitcnt vmcnt(15) lgkmcnt(2)
	v_mul_f32_e32 v68, v37, v51
	v_mul_f32_e32 v51, v38, v51
	s_waitcnt vmcnt(14)
	v_mul_f32_e32 v69, v39, v52
	v_mul_f32_e32 v52, v40, v52
	s_waitcnt vmcnt(9)
	v_fma_f32 v33, v33, v57, -v49
	v_fmac_f32_e32 v32, v34, v57
	s_waitcnt vmcnt(8)
	v_fma_f32 v34, v35, v58, -v50
	v_add_f32_e32 v33, 0, v33
	v_fmac_f32_e32 v67, v36, v58
	s_waitcnt vmcnt(7)
	v_fma_f32 v35, v37, v59, -v51
	v_add_f32_e32 v32, 0, v32
	v_add_f32_e32 v33, v33, v34
	s_waitcnt lgkmcnt(1)
	v_mul_f32_e32 v70, v41, v53
	v_mul_f32_e32 v53, v42, v53
	v_fmac_f32_e32 v68, v38, v59
	s_waitcnt vmcnt(6)
	v_fma_f32 v36, v39, v60, -v52
	v_add_f32_e32 v32, v32, v67
	v_add_f32_e32 v33, v33, v35
	v_mul_f32_e32 v71, v43, v54
	v_mul_f32_e32 v54, v44, v54
	v_fmac_f32_e32 v69, v40, v60
	s_waitcnt vmcnt(5)
	v_fma_f32 v37, v41, v61, -v53
	v_add_f32_e32 v32, v32, v68
	v_add_f32_e32 v33, v33, v36
	s_waitcnt lgkmcnt(0)
	v_mul_f32_e32 v72, v45, v55
	v_mul_f32_e32 v55, v46, v55
	v_fmac_f32_e32 v70, v42, v61
	s_waitcnt vmcnt(4)
	v_fma_f32 v38, v43, v62, -v54
	v_add_f32_e32 v32, v32, v69
	v_add_f32_e32 v33, v33, v37
	v_mul_f32_e32 v73, v47, v56
	v_mul_f32_e32 v56, v48, v56
	v_fmac_f32_e32 v71, v44, v62
	s_waitcnt vmcnt(3)
	v_fma_f32 v39, v45, v63, -v55
	v_add_f32_e32 v32, v32, v70
	v_add_f32_e32 v33, v33, v38
	v_fmac_f32_e32 v72, v46, v63
	s_waitcnt vmcnt(2)
	v_fma_f32 v40, v47, v64, -v56
	v_add_f32_e32 v32, v32, v71
	v_add_f32_e32 v33, v33, v39
	v_fmac_f32_e32 v73, v48, v64
	v_add_f32_e32 v32, v32, v72
	v_add_f32_e32 v33, v33, v40
	;; [unrolled: 1-line block ×3, first 2 shown]
	s_waitcnt vmcnt(1)
	v_sub_f32_e32 v33, v65, v33
	s_waitcnt vmcnt(0)
	v_sub_f32_e32 v32, v66, v32
	buffer_store_dword v33, off, s[0:3], 0 offset:48
	buffer_store_dword v32, off, s[0:3], 0 offset:52
	s_and_saveexec_b64 s[4:5], vcc
	s_cbranch_execz .LBB14_93
; %bb.92:
	buffer_load_dword v32, off, s[0:3], 0 offset:40
	buffer_load_dword v33, off, s[0:3], 0 offset:44
	v_mov_b32_e32 v34, 0
	buffer_store_dword v34, off, s[0:3], 0 offset:40
	buffer_store_dword v34, off, s[0:3], 0 offset:44
	s_waitcnt vmcnt(2)
	ds_write_b64 v31, v[32:33]
.LBB14_93:
	s_or_b64 exec, exec, s[4:5]
	s_waitcnt lgkmcnt(0)
	; wave barrier
	buffer_load_dword v51, off, s[0:3], 0 offset:52
	buffer_load_dword v52, off, s[0:3], 0 offset:60
	;; [unrolled: 1-line block ×20, first 2 shown]
	v_mov_b32_e32 v32, 0
	ds_read_b128 v[33:36], v32 offset:176
	ds_read_b128 v[37:40], v32 offset:192
	;; [unrolled: 1-line block ×4, first 2 shown]
	ds_read_b64 v[49:50], v32 offset:240
	v_cmp_lt_u32_e32 vcc, 4, v0
	s_waitcnt vmcnt(19) lgkmcnt(4)
	v_mul_f32_e32 v71, v33, v51
	v_mul_f32_e32 v51, v34, v51
	s_waitcnt vmcnt(18)
	v_mul_f32_e32 v72, v35, v52
	v_mul_f32_e32 v52, v36, v52
	s_waitcnt vmcnt(17) lgkmcnt(3)
	v_mul_f32_e32 v73, v37, v53
	s_waitcnt vmcnt(15) lgkmcnt(2)
	v_mul_f32_e32 v75, v41, v55
	v_mul_f32_e32 v53, v38, v53
	;; [unrolled: 1-line block ×4, first 2 shown]
	s_waitcnt vmcnt(10)
	v_fma_f32 v33, v33, v60, -v51
	v_fmac_f32_e32 v71, v34, v60
	s_waitcnt vmcnt(9)
	v_fma_f32 v34, v35, v61, -v52
	v_add_f32_e32 v33, 0, v33
	v_mul_f32_e32 v55, v42, v55
	v_fmac_f32_e32 v72, v36, v61
	s_waitcnt vmcnt(6)
	v_fmac_f32_e32 v75, v42, v64
	v_fma_f32 v35, v37, v62, -v53
	v_add_f32_e32 v42, 0, v71
	v_add_f32_e32 v33, v33, v34
	v_fmac_f32_e32 v73, v38, v62
	v_fma_f32 v36, v39, v63, -v54
	v_add_f32_e32 v42, v42, v72
	v_add_f32_e32 v33, v33, v35
	v_mul_f32_e32 v76, v43, v56
	v_mul_f32_e32 v56, v44, v56
	v_fmac_f32_e32 v74, v40, v63
	v_fma_f32 v37, v41, v64, -v55
	v_add_f32_e32 v34, v42, v73
	v_add_f32_e32 v33, v33, v36
	s_waitcnt lgkmcnt(1)
	v_mul_f32_e32 v77, v45, v57
	v_mul_f32_e32 v57, v46, v57
	s_waitcnt vmcnt(5)
	v_fma_f32 v38, v43, v65, -v56
	v_add_f32_e32 v34, v34, v74
	v_add_f32_e32 v33, v33, v37
	v_mul_f32_e32 v78, v47, v58
	v_mul_f32_e32 v58, v48, v58
	v_fmac_f32_e32 v76, v44, v65
	s_waitcnt vmcnt(4)
	v_fma_f32 v39, v45, v66, -v57
	v_add_f32_e32 v34, v34, v75
	v_add_f32_e32 v33, v33, v38
	s_waitcnt lgkmcnt(0)
	v_mul_f32_e32 v79, v49, v59
	v_mul_f32_e32 v59, v50, v59
	v_fmac_f32_e32 v77, v46, v66
	s_waitcnt vmcnt(3)
	v_fma_f32 v40, v47, v67, -v58
	v_add_f32_e32 v34, v34, v76
	v_add_f32_e32 v33, v33, v39
	v_fmac_f32_e32 v78, v48, v67
	s_waitcnt vmcnt(2)
	v_fma_f32 v41, v49, v68, -v59
	v_add_f32_e32 v34, v34, v77
	v_add_f32_e32 v33, v33, v40
	v_fmac_f32_e32 v79, v50, v68
	v_add_f32_e32 v34, v34, v78
	v_add_f32_e32 v33, v33, v41
	;; [unrolled: 1-line block ×3, first 2 shown]
	s_waitcnt vmcnt(1)
	v_sub_f32_e32 v33, v69, v33
	s_waitcnt vmcnt(0)
	v_sub_f32_e32 v34, v70, v34
	buffer_store_dword v33, off, s[0:3], 0 offset:40
	buffer_store_dword v34, off, s[0:3], 0 offset:44
	s_and_saveexec_b64 s[4:5], vcc
	s_cbranch_execz .LBB14_95
; %bb.94:
	buffer_load_dword v33, off, s[0:3], 0 offset:32
	buffer_load_dword v34, off, s[0:3], 0 offset:36
	s_waitcnt vmcnt(0)
	ds_write_b64 v31, v[33:34]
	buffer_store_dword v32, off, s[0:3], 0 offset:32
	buffer_store_dword v32, off, s[0:3], 0 offset:36
.LBB14_95:
	s_or_b64 exec, exec, s[4:5]
	s_waitcnt lgkmcnt(0)
	; wave barrier
	ds_read2_b64 v[33:36], v32 offset0:21 offset1:22
	buffer_load_dword v53, off, s[0:3], 0 offset:32
	buffer_load_dword v54, off, s[0:3], 0 offset:36
	;; [unrolled: 1-line block ×16, first 2 shown]
	v_cmp_lt_u32_e32 vcc, 3, v0
	s_waitcnt vmcnt(12) lgkmcnt(0)
	v_mul_f32_e32 v37, v33, v56
	v_fmac_f32_e32 v37, v34, v55
	s_waitcnt vmcnt(10)
	v_mul_f32_e32 v38, v35, v58
	v_add_f32_e32 v37, 0, v37
	v_fmac_f32_e32 v38, v36, v57
	v_add_f32_e32 v41, v37, v38
	ds_read2_b64 v[37:40], v32 offset0:23 offset1:24
	v_mul_f32_e32 v34, v34, v56
	v_fma_f32 v33, v33, v55, -v34
	v_mul_f32_e32 v34, v36, v58
	v_add_f32_e32 v33, 0, v33
	s_waitcnt vmcnt(8) lgkmcnt(0)
	v_mul_f32_e32 v42, v37, v60
	v_fmac_f32_e32 v42, v38, v59
	v_add_f32_e32 v41, v41, v42
	s_waitcnt vmcnt(6)
	v_mul_f32_e32 v42, v39, v62
	v_fmac_f32_e32 v42, v40, v61
	v_add_f32_e32 v45, v41, v42
	ds_read2_b64 v[41:44], v32 offset0:25 offset1:26
	v_fma_f32 v34, v35, v57, -v34
	v_add_f32_e32 v33, v33, v34
	v_mul_f32_e32 v34, v38, v60
	v_fma_f32 v34, v37, v59, -v34
	s_waitcnt vmcnt(4) lgkmcnt(0)
	v_mul_f32_e32 v46, v41, v64
	v_fmac_f32_e32 v46, v42, v63
	v_add_f32_e32 v45, v45, v46
	s_waitcnt vmcnt(2)
	v_mul_f32_e32 v46, v43, v66
	v_fmac_f32_e32 v46, v44, v65
	v_add_f32_e32 v49, v45, v46
	ds_read2_b64 v[45:48], v32 offset0:27 offset1:28
	buffer_load_dword v69, off, s[0:3], 0 offset:96
	buffer_load_dword v70, off, s[0:3], 0 offset:100
	v_add_f32_e32 v33, v33, v34
	v_mul_f32_e32 v34, v40, v62
	v_fma_f32 v34, v39, v61, -v34
	s_waitcnt vmcnt(2) lgkmcnt(0)
	v_mul_f32_e32 v50, v45, v68
	v_fmac_f32_e32 v50, v46, v67
	v_add_f32_e32 v49, v49, v50
	v_add_f32_e32 v33, v33, v34
	v_mul_f32_e32 v34, v42, v64
	v_fma_f32 v34, v41, v63, -v34
	v_add_f32_e32 v33, v33, v34
	v_mul_f32_e32 v34, v44, v66
	v_fma_f32 v34, v43, v65, -v34
	;; [unrolled: 3-line block ×3, first 2 shown]
	v_add_f32_e32 v33, v33, v34
	s_waitcnt vmcnt(0)
	v_mul_f32_e32 v50, v47, v70
	v_fmac_f32_e32 v50, v48, v69
	v_add_f32_e32 v71, v49, v50
	ds_read2_b64 v[49:52], v32 offset0:29 offset1:30
	buffer_load_dword v32, off, s[0:3], 0 offset:104
	buffer_load_dword v72, off, s[0:3], 0 offset:108
	v_mul_f32_e32 v34, v48, v70
	v_fma_f32 v34, v47, v69, -v34
	v_add_f32_e32 v33, v33, v34
	s_waitcnt vmcnt(0) lgkmcnt(0)
	v_mul_f32_e32 v73, v49, v72
	v_fmac_f32_e32 v73, v50, v32
	v_add_f32_e32 v71, v71, v73
	buffer_load_dword v73, off, s[0:3], 0 offset:112
	buffer_load_dword v74, off, s[0:3], 0 offset:116
	v_mul_f32_e32 v34, v50, v72
	v_fma_f32 v32, v49, v32, -v34
	v_add_f32_e32 v32, v33, v32
	s_waitcnt vmcnt(0)
	v_mul_f32_e32 v33, v52, v74
	v_mul_f32_e32 v75, v51, v74
	v_fma_f32 v33, v51, v73, -v33
	v_fmac_f32_e32 v75, v52, v73
	v_add_f32_e32 v32, v32, v33
	v_add_f32_e32 v71, v71, v75
	v_sub_f32_e32 v32, v53, v32
	v_sub_f32_e32 v33, v54, v71
	buffer_store_dword v32, off, s[0:3], 0 offset:32
	buffer_store_dword v33, off, s[0:3], 0 offset:36
	s_and_saveexec_b64 s[4:5], vcc
	s_cbranch_execz .LBB14_97
; %bb.96:
	buffer_load_dword v32, off, s[0:3], 0 offset:24
	buffer_load_dword v33, off, s[0:3], 0 offset:28
	v_mov_b32_e32 v34, 0
	buffer_store_dword v34, off, s[0:3], 0 offset:24
	buffer_store_dword v34, off, s[0:3], 0 offset:28
	s_waitcnt vmcnt(2)
	ds_write_b64 v31, v[32:33]
.LBB14_97:
	s_or_b64 exec, exec, s[4:5]
	v_mov_b32_e32 v32, 0
	s_waitcnt lgkmcnt(0)
	; wave barrier
	ds_read_b128 v[33:36], v32 offset:160
	ds_read_b128 v[37:40], v32 offset:176
	;; [unrolled: 1-line block ×4, first 2 shown]
	buffer_load_dword v55, off, s[0:3], 0 offset:24
	buffer_load_dword v56, off, s[0:3], 0 offset:28
	;; [unrolled: 1-line block ×18, first 2 shown]
	v_cmp_lt_u32_e32 vcc, 2, v0
	s_waitcnt vmcnt(14) lgkmcnt(3)
	v_mul_f32_e32 v49, v33, v58
	v_fmac_f32_e32 v49, v34, v57
	s_waitcnt vmcnt(12)
	v_mul_f32_e32 v50, v35, v60
	v_add_f32_e32 v49, 0, v49
	v_fmac_f32_e32 v50, v36, v59
	v_add_f32_e32 v49, v49, v50
	s_waitcnt vmcnt(10) lgkmcnt(2)
	v_mul_f32_e32 v50, v37, v62
	v_fmac_f32_e32 v50, v38, v61
	v_add_f32_e32 v49, v49, v50
	s_waitcnt vmcnt(8)
	v_mul_f32_e32 v50, v39, v64
	v_fmac_f32_e32 v50, v40, v63
	v_add_f32_e32 v49, v49, v50
	s_waitcnt vmcnt(6) lgkmcnt(1)
	v_mul_f32_e32 v50, v41, v66
	v_fmac_f32_e32 v50, v42, v65
	v_add_f32_e32 v49, v49, v50
	s_waitcnt vmcnt(4)
	v_mul_f32_e32 v50, v43, v68
	;; [unrolled: 8-line block ×3, first 2 shown]
	v_fmac_f32_e32 v50, v48, v71
	v_add_f32_e32 v53, v49, v50
	ds_read_b128 v[49:52], v32 offset:224
	buffer_load_dword v73, off, s[0:3], 0 offset:96
	buffer_load_dword v74, off, s[0:3], 0 offset:100
	;; [unrolled: 1-line block ×4, first 2 shown]
	v_mul_f32_e32 v34, v34, v58
	v_fma_f32 v33, v33, v57, -v34
	v_mul_f32_e32 v34, v36, v60
	v_add_f32_e32 v33, 0, v33
	v_fma_f32 v34, v35, v59, -v34
	v_add_f32_e32 v33, v33, v34
	v_mul_f32_e32 v34, v38, v62
	v_fma_f32 v34, v37, v61, -v34
	v_add_f32_e32 v33, v33, v34
	v_mul_f32_e32 v34, v40, v64
	;; [unrolled: 3-line block ×6, first 2 shown]
	v_fma_f32 v34, v47, v71, -v34
	v_add_f32_e32 v33, v33, v34
	s_waitcnt vmcnt(2) lgkmcnt(0)
	v_mul_f32_e32 v54, v49, v74
	v_fmac_f32_e32 v54, v50, v73
	v_add_f32_e32 v53, v53, v54
	s_waitcnt vmcnt(0)
	v_mul_f32_e32 v54, v51, v76
	v_fmac_f32_e32 v54, v52, v75
	v_add_f32_e32 v77, v53, v54
	ds_read_b64 v[53:54], v32 offset:240
	buffer_load_dword v78, off, s[0:3], 0 offset:112
	buffer_load_dword v79, off, s[0:3], 0 offset:116
	v_mul_f32_e32 v34, v50, v74
	v_fma_f32 v34, v49, v73, -v34
	v_add_f32_e32 v33, v33, v34
	v_mul_f32_e32 v34, v52, v76
	v_fma_f32 v34, v51, v75, -v34
	v_add_f32_e32 v33, v33, v34
	s_waitcnt vmcnt(0) lgkmcnt(0)
	v_mul_f32_e32 v34, v54, v79
	v_mul_f32_e32 v80, v53, v79
	v_fma_f32 v34, v53, v78, -v34
	v_fmac_f32_e32 v80, v54, v78
	v_add_f32_e32 v33, v33, v34
	v_add_f32_e32 v77, v77, v80
	v_sub_f32_e32 v33, v55, v33
	v_sub_f32_e32 v34, v56, v77
	buffer_store_dword v33, off, s[0:3], 0 offset:24
	buffer_store_dword v34, off, s[0:3], 0 offset:28
	s_and_saveexec_b64 s[4:5], vcc
	s_cbranch_execz .LBB14_99
; %bb.98:
	buffer_load_dword v33, off, s[0:3], 0 offset:16
	buffer_load_dword v34, off, s[0:3], 0 offset:20
	s_waitcnt vmcnt(0)
	ds_write_b64 v31, v[33:34]
	buffer_store_dword v32, off, s[0:3], 0 offset:16
	buffer_store_dword v32, off, s[0:3], 0 offset:20
.LBB14_99:
	s_or_b64 exec, exec, s[4:5]
	s_waitcnt lgkmcnt(0)
	; wave barrier
	buffer_load_dword v57, off, s[0:3], 0 offset:28
	buffer_load_dword v58, off, s[0:3], 0 offset:36
	buffer_load_dword v59, off, s[0:3], 0 offset:44
	buffer_load_dword v60, off, s[0:3], 0 offset:52
	buffer_load_dword v61, off, s[0:3], 0 offset:60
	buffer_load_dword v62, off, s[0:3], 0 offset:68
	buffer_load_dword v63, off, s[0:3], 0 offset:76
	buffer_load_dword v64, off, s[0:3], 0 offset:84
	buffer_load_dword v65, off, s[0:3], 0 offset:92
	buffer_load_dword v66, off, s[0:3], 0 offset:100
	buffer_load_dword v67, off, s[0:3], 0 offset:108
	buffer_load_dword v68, off, s[0:3], 0 offset:116
	buffer_load_dword v69, off, s[0:3], 0 offset:24
	buffer_load_dword v70, off, s[0:3], 0 offset:32
	buffer_load_dword v71, off, s[0:3], 0 offset:40
	buffer_load_dword v72, off, s[0:3], 0 offset:48
	buffer_load_dword v73, off, s[0:3], 0 offset:56
	buffer_load_dword v74, off, s[0:3], 0 offset:64
	buffer_load_dword v75, off, s[0:3], 0 offset:72
	buffer_load_dword v76, off, s[0:3], 0 offset:80
	buffer_load_dword v77, off, s[0:3], 0 offset:88
	buffer_load_dword v78, off, s[0:3], 0 offset:96
	buffer_load_dword v79, off, s[0:3], 0 offset:104
	buffer_load_dword v80, off, s[0:3], 0 offset:112
	buffer_load_dword v81, off, s[0:3], 0 offset:16
	buffer_load_dword v82, off, s[0:3], 0 offset:20
	ds_read2_b64 v[33:36], v32 offset0:19 offset1:20
	ds_read2_b64 v[37:40], v32 offset0:21 offset1:22
	;; [unrolled: 1-line block ×6, first 2 shown]
	v_cmp_lt_u32_e32 vcc, 1, v0
	s_waitcnt vmcnt(25) lgkmcnt(5)
	v_mul_f32_e32 v32, v33, v57
	v_mul_f32_e32 v57, v34, v57
	s_waitcnt vmcnt(24)
	v_mul_f32_e32 v83, v35, v58
	v_mul_f32_e32 v58, v36, v58
	s_waitcnt vmcnt(23) lgkmcnt(4)
	v_mul_f32_e32 v84, v37, v59
	v_mul_f32_e32 v59, v38, v59
	s_waitcnt vmcnt(22)
	v_mul_f32_e32 v85, v39, v60
	v_mul_f32_e32 v60, v40, v60
	;; [unrolled: 6-line block ×3, first 2 shown]
	s_waitcnt vmcnt(13)
	v_fma_f32 v33, v33, v69, -v57
	v_fmac_f32_e32 v32, v34, v69
	s_waitcnt vmcnt(12)
	v_fma_f32 v34, v35, v70, -v58
	v_add_f32_e32 v33, 0, v33
	s_waitcnt vmcnt(11)
	v_fma_f32 v35, v37, v71, -v59
	v_add_f32_e32 v33, v33, v34
	v_fmac_f32_e32 v83, v36, v70
	s_waitcnt vmcnt(10)
	v_fma_f32 v36, v39, v72, -v60
	v_add_f32_e32 v33, v33, v35
	s_waitcnt vmcnt(9)
	v_fma_f32 v37, v41, v73, -v61
	v_add_f32_e32 v33, v33, v36
	s_waitcnt lgkmcnt(2)
	v_mul_f32_e32 v88, v45, v63
	v_mul_f32_e32 v63, v46, v63
	v_fmac_f32_e32 v84, v38, v71
	s_waitcnt vmcnt(8)
	v_fma_f32 v38, v43, v74, -v62
	v_add_f32_e32 v32, 0, v32
	v_add_f32_e32 v33, v33, v37
	v_mul_f32_e32 v89, v47, v64
	v_mul_f32_e32 v64, v48, v64
	s_waitcnt vmcnt(7)
	v_fma_f32 v39, v45, v75, -v63
	v_add_f32_e32 v32, v32, v83
	v_add_f32_e32 v33, v33, v38
	v_fmac_f32_e32 v85, v40, v72
	s_waitcnt vmcnt(6)
	v_fma_f32 v40, v47, v76, -v64
	v_add_f32_e32 v32, v32, v84
	v_add_f32_e32 v33, v33, v39
	s_waitcnt lgkmcnt(1)
	v_mul_f32_e32 v34, v50, v65
	v_fmac_f32_e32 v86, v42, v73
	v_add_f32_e32 v32, v32, v85
	v_add_f32_e32 v33, v33, v40
	s_waitcnt vmcnt(5)
	v_fma_f32 v34, v49, v77, -v34
	v_fmac_f32_e32 v87, v44, v74
	v_add_f32_e32 v32, v32, v86
	v_add_f32_e32 v33, v33, v34
	v_mul_f32_e32 v34, v52, v66
	v_fmac_f32_e32 v88, v46, v75
	v_add_f32_e32 v32, v32, v87
	s_waitcnt vmcnt(4)
	v_fma_f32 v34, v51, v78, -v34
	v_mul_f32_e32 v90, v49, v65
	v_fmac_f32_e32 v89, v48, v76
	v_add_f32_e32 v32, v32, v88
	v_add_f32_e32 v33, v33, v34
	s_waitcnt lgkmcnt(0)
	v_mul_f32_e32 v34, v54, v67
	v_mul_f32_e32 v91, v51, v66
	v_fmac_f32_e32 v90, v50, v77
	v_add_f32_e32 v32, v32, v89
	s_waitcnt vmcnt(3)
	v_fma_f32 v34, v53, v79, -v34
	v_mul_f32_e32 v92, v53, v67
	v_fmac_f32_e32 v91, v52, v78
	v_add_f32_e32 v32, v32, v90
	v_add_f32_e32 v33, v33, v34
	v_mul_f32_e32 v34, v56, v68
	v_mul_f32_e32 v93, v55, v68
	v_fmac_f32_e32 v92, v54, v79
	v_add_f32_e32 v32, v32, v91
	s_waitcnt vmcnt(2)
	v_fma_f32 v34, v55, v80, -v34
	v_fmac_f32_e32 v93, v56, v80
	v_add_f32_e32 v32, v32, v92
	v_add_f32_e32 v33, v33, v34
	;; [unrolled: 1-line block ×3, first 2 shown]
	s_waitcnt vmcnt(1)
	v_sub_f32_e32 v33, v81, v33
	s_waitcnt vmcnt(0)
	v_sub_f32_e32 v32, v82, v32
	buffer_store_dword v33, off, s[0:3], 0 offset:16
	buffer_store_dword v32, off, s[0:3], 0 offset:20
	s_and_saveexec_b64 s[4:5], vcc
	s_cbranch_execz .LBB14_101
; %bb.100:
	buffer_load_dword v32, off, s[0:3], 0 offset:8
	buffer_load_dword v33, off, s[0:3], 0 offset:12
	v_mov_b32_e32 v34, 0
	buffer_store_dword v34, off, s[0:3], 0 offset:8
	buffer_store_dword v34, off, s[0:3], 0 offset:12
	s_waitcnt vmcnt(2)
	ds_write_b64 v31, v[32:33]
.LBB14_101:
	s_or_b64 exec, exec, s[4:5]
	s_waitcnt lgkmcnt(0)
	; wave barrier
	buffer_load_dword v59, off, s[0:3], 0 offset:20
	buffer_load_dword v60, off, s[0:3], 0 offset:28
	;; [unrolled: 1-line block ×28, first 2 shown]
	v_mov_b32_e32 v32, 0
	ds_read_b128 v[33:36], v32 offset:144
	ds_read_b128 v[37:40], v32 offset:160
	;; [unrolled: 1-line block ×6, first 2 shown]
	ds_read_b64 v[57:58], v32 offset:240
	v_cmp_ne_u32_e32 vcc, 0, v0
	s_waitcnt vmcnt(27) lgkmcnt(6)
	v_mul_f32_e32 v87, v33, v59
	v_mul_f32_e32 v59, v34, v59
	s_waitcnt vmcnt(26)
	v_mul_f32_e32 v88, v35, v60
	v_mul_f32_e32 v60, v36, v60
	s_waitcnt vmcnt(25) lgkmcnt(5)
	v_mul_f32_e32 v89, v37, v61
	v_mul_f32_e32 v61, v38, v61
	s_waitcnt vmcnt(24)
	v_mul_f32_e32 v90, v39, v62
	v_mul_f32_e32 v62, v40, v62
	;; [unrolled: 6-line block ×3, first 2 shown]
	s_waitcnt vmcnt(21) lgkmcnt(3)
	v_mul_f32_e32 v93, v45, v65
	s_waitcnt vmcnt(14)
	v_fma_f32 v33, v33, v72, -v59
	v_fmac_f32_e32 v87, v34, v72
	s_waitcnt vmcnt(13)
	v_fma_f32 v34, v35, v73, -v60
	v_add_f32_e32 v33, 0, v33
	s_waitcnt vmcnt(12)
	v_fma_f32 v35, v37, v74, -v61
	v_add_f32_e32 v33, v33, v34
	v_fmac_f32_e32 v88, v36, v73
	s_waitcnt vmcnt(11)
	v_fma_f32 v36, v39, v75, -v62
	v_add_f32_e32 v33, v33, v35
	s_waitcnt vmcnt(10)
	v_fma_f32 v37, v41, v76, -v63
	v_add_f32_e32 v33, v33, v36
	v_fmac_f32_e32 v89, v38, v74
	s_waitcnt vmcnt(9)
	v_fma_f32 v38, v43, v77, -v64
	v_add_f32_e32 v33, v33, v37
	v_mul_f32_e32 v35, v46, v65
	v_add_f32_e32 v33, v33, v38
	s_waitcnt vmcnt(8)
	v_fma_f32 v35, v45, v78, -v35
	v_add_f32_e32 v33, v33, v35
	v_mul_f32_e32 v35, v48, v66
	v_add_f32_e32 v39, 0, v87
	s_waitcnt vmcnt(7)
	v_fma_f32 v35, v47, v79, -v35
	v_add_f32_e32 v39, v39, v88
	v_add_f32_e32 v33, v33, v35
	s_waitcnt lgkmcnt(2)
	v_mul_f32_e32 v35, v50, v67
	v_fmac_f32_e32 v90, v40, v75
	v_add_f32_e32 v34, v39, v89
	s_waitcnt vmcnt(6)
	v_fma_f32 v35, v49, v80, -v35
	v_fmac_f32_e32 v91, v42, v76
	v_add_f32_e32 v34, v34, v90
	v_add_f32_e32 v33, v33, v35
	v_mul_f32_e32 v35, v52, v68
	v_fmac_f32_e32 v92, v44, v77
	v_add_f32_e32 v34, v34, v91
	s_waitcnt vmcnt(5)
	v_fma_f32 v35, v51, v81, -v35
	v_mul_f32_e32 v94, v47, v66
	v_fmac_f32_e32 v93, v46, v78
	v_add_f32_e32 v34, v34, v92
	v_add_f32_e32 v33, v33, v35
	s_waitcnt lgkmcnt(1)
	v_mul_f32_e32 v35, v54, v69
	v_mul_f32_e32 v95, v49, v67
	v_fmac_f32_e32 v94, v48, v79
	v_add_f32_e32 v34, v34, v93
	s_waitcnt vmcnt(4)
	v_fma_f32 v35, v53, v82, -v35
	v_mul_f32_e32 v96, v51, v68
	v_fmac_f32_e32 v95, v50, v80
	v_add_f32_e32 v34, v34, v94
	v_add_f32_e32 v33, v33, v35
	v_mul_f32_e32 v35, v56, v70
	v_mul_f32_e32 v97, v53, v69
	v_fmac_f32_e32 v96, v52, v81
	v_add_f32_e32 v34, v34, v95
	s_waitcnt vmcnt(3)
	v_fma_f32 v35, v55, v83, -v35
	v_mul_f32_e32 v98, v55, v70
	v_fmac_f32_e32 v97, v54, v82
	v_add_f32_e32 v34, v34, v96
	v_add_f32_e32 v33, v33, v35
	s_waitcnt lgkmcnt(0)
	v_mul_f32_e32 v35, v58, v71
	v_mul_f32_e32 v99, v57, v71
	v_fmac_f32_e32 v98, v56, v83
	v_add_f32_e32 v34, v34, v97
	s_waitcnt vmcnt(2)
	v_fma_f32 v35, v57, v84, -v35
	v_fmac_f32_e32 v99, v58, v84
	v_add_f32_e32 v34, v34, v98
	v_add_f32_e32 v33, v33, v35
	;; [unrolled: 1-line block ×3, first 2 shown]
	s_waitcnt vmcnt(1)
	v_sub_f32_e32 v33, v85, v33
	s_waitcnt vmcnt(0)
	v_sub_f32_e32 v34, v86, v34
	buffer_store_dword v33, off, s[0:3], 0 offset:8
	buffer_store_dword v34, off, s[0:3], 0 offset:12
	s_and_saveexec_b64 s[4:5], vcc
	s_cbranch_execz .LBB14_103
; %bb.102:
	buffer_load_dword v33, off, s[0:3], 0
	buffer_load_dword v34, off, s[0:3], 0 offset:4
	s_waitcnt vmcnt(0)
	ds_write_b64 v31, v[33:34]
	buffer_store_dword v32, off, s[0:3], 0
	buffer_store_dword v32, off, s[0:3], 0 offset:4
.LBB14_103:
	s_or_b64 exec, exec, s[4:5]
	s_waitcnt lgkmcnt(0)
	; wave barrier
	buffer_load_dword v61, off, s[0:3], 0 offset:12
	buffer_load_dword v62, off, s[0:3], 0 offset:20
	;; [unrolled: 1-line block ×28, first 2 shown]
	buffer_load_dword v87, off, s[0:3], 0
	buffer_load_dword v88, off, s[0:3], 0 offset:4
	ds_read2_b64 v[33:36], v32 offset0:17 offset1:18
	ds_read2_b64 v[37:40], v32 offset0:19 offset1:20
	;; [unrolled: 1-line block ×7, first 2 shown]
	s_and_b64 vcc, exec, s[22:23]
	s_waitcnt vmcnt(29) lgkmcnt(6)
	v_mul_f32_e32 v32, v33, v61
	v_mul_f32_e32 v61, v34, v61
	s_waitcnt vmcnt(28)
	v_mul_f32_e32 v89, v35, v62
	v_mul_f32_e32 v62, v36, v62
	s_waitcnt vmcnt(27) lgkmcnt(5)
	v_mul_f32_e32 v90, v37, v63
	v_mul_f32_e32 v63, v38, v63
	s_waitcnt vmcnt(26)
	v_mul_f32_e32 v91, v39, v64
	v_mul_f32_e32 v64, v40, v64
	s_waitcnt vmcnt(25) lgkmcnt(4)
	v_mul_f32_e32 v92, v41, v65
	v_mul_f32_e32 v65, v42, v65
	s_waitcnt vmcnt(24)
	v_mul_f32_e32 v93, v43, v66
	s_waitcnt vmcnt(23) lgkmcnt(3)
	v_mul_f32_e32 v94, v45, v67
	s_waitcnt vmcnt(22)
	v_mul_f32_e32 v95, v47, v68
	s_waitcnt vmcnt(21) lgkmcnt(2)
	v_mul_f32_e32 v96, v49, v69
	s_waitcnt vmcnt(15)
	v_fma_f32 v33, v33, v74, -v61
	v_fmac_f32_e32 v32, v34, v74
	s_waitcnt vmcnt(14)
	v_fma_f32 v34, v35, v75, -v62
	v_add_f32_e32 v33, 0, v33
	s_waitcnt vmcnt(13)
	v_fma_f32 v35, v37, v76, -v63
	v_add_f32_e32 v33, v33, v34
	v_fmac_f32_e32 v89, v36, v75
	s_waitcnt vmcnt(12)
	v_fma_f32 v36, v39, v77, -v64
	v_add_f32_e32 v33, v33, v35
	s_waitcnt vmcnt(11)
	v_fma_f32 v37, v41, v78, -v65
	v_add_f32_e32 v33, v33, v36
	v_mul_f32_e32 v34, v44, v66
	v_add_f32_e32 v33, v33, v37
	s_waitcnt vmcnt(10)
	v_fma_f32 v34, v43, v79, -v34
	v_add_f32_e32 v33, v33, v34
	v_mul_f32_e32 v34, v46, v67
	s_waitcnt vmcnt(9)
	v_fma_f32 v34, v45, v80, -v34
	v_add_f32_e32 v33, v33, v34
	v_mul_f32_e32 v34, v48, v68
	s_waitcnt vmcnt(8)
	v_fma_f32 v34, v47, v81, -v34
	v_add_f32_e32 v32, 0, v32
	v_add_f32_e32 v33, v33, v34
	v_mul_f32_e32 v34, v50, v69
	v_fmac_f32_e32 v90, v38, v76
	v_add_f32_e32 v32, v32, v89
	s_waitcnt vmcnt(7)
	v_fma_f32 v34, v49, v82, -v34
	v_fmac_f32_e32 v91, v40, v77
	v_add_f32_e32 v32, v32, v90
	v_add_f32_e32 v33, v33, v34
	v_mul_f32_e32 v34, v52, v70
	v_fmac_f32_e32 v92, v42, v78
	v_add_f32_e32 v32, v32, v91
	s_waitcnt vmcnt(6)
	v_fma_f32 v34, v51, v83, -v34
	v_fmac_f32_e32 v93, v44, v79
	v_add_f32_e32 v32, v32, v92
	v_add_f32_e32 v33, v33, v34
	s_waitcnt lgkmcnt(1)
	v_mul_f32_e32 v34, v54, v71
	v_fmac_f32_e32 v94, v46, v80
	v_add_f32_e32 v32, v32, v93
	s_waitcnt vmcnt(5)
	v_fma_f32 v34, v53, v84, -v34
	v_fmac_f32_e32 v95, v48, v81
	v_add_f32_e32 v32, v32, v94
	v_add_f32_e32 v33, v33, v34
	v_mul_f32_e32 v34, v56, v72
	v_mul_f32_e32 v97, v51, v70
	v_fmac_f32_e32 v96, v50, v82
	v_add_f32_e32 v32, v32, v95
	s_waitcnt vmcnt(4)
	v_fma_f32 v34, v55, v85, -v34
	v_mul_f32_e32 v98, v53, v71
	v_fmac_f32_e32 v97, v52, v83
	v_add_f32_e32 v32, v32, v96
	v_add_f32_e32 v33, v33, v34
	s_waitcnt lgkmcnt(0)
	v_mul_f32_e32 v34, v58, v0
	v_mul_f32_e32 v99, v55, v72
	v_fmac_f32_e32 v98, v54, v84
	v_add_f32_e32 v32, v32, v97
	s_waitcnt vmcnt(2)
	v_fma_f32 v34, v57, v31, -v34
	v_mul_f32_e32 v100, v57, v0
	v_fmac_f32_e32 v99, v56, v85
	v_add_f32_e32 v32, v32, v98
	v_add_f32_e32 v33, v33, v34
	v_mul_f32_e32 v34, v60, v73
	v_mul_f32_e32 v101, v59, v73
	v_fmac_f32_e32 v100, v58, v31
	v_add_f32_e32 v32, v32, v99
	v_fma_f32 v34, v59, v86, -v34
	v_fmac_f32_e32 v101, v60, v86
	v_add_f32_e32 v32, v32, v100
	v_add_f32_e32 v33, v33, v34
	;; [unrolled: 1-line block ×3, first 2 shown]
	s_waitcnt vmcnt(1)
	v_sub_f32_e32 v33, v87, v33
	s_waitcnt vmcnt(0)
	v_sub_f32_e32 v32, v88, v32
	buffer_store_dword v33, off, s[0:3], 0
	buffer_store_dword v32, off, s[0:3], 0 offset:4
	s_cbranch_vccz .LBB14_132
; %bb.104:
	v_mov_b32_e32 v32, 0
	global_load_dword v33, v32, s[20:21] offset:52
	s_waitcnt vmcnt(0)
	v_add_u32_e32 v33, -1, v33
	v_cmp_ne_u32_e32 vcc, 13, v33
	s_cbranch_vccz .LBB14_106
; %bb.105:
	v_lshlrev_b32_e32 v33, 3, v33
	buffer_load_dword v34, v33, s[0:3], 0 offen
	buffer_load_dword v35, v33, s[0:3], 0 offen offset:4
	s_waitcnt vmcnt(1)
	buffer_store_dword v34, off, s[0:3], 0 offset:104
	s_waitcnt vmcnt(1)
	buffer_store_dword v35, off, s[0:3], 0 offset:108
	buffer_store_dword v31, v33, s[0:3], 0 offen
	buffer_store_dword v0, v33, s[0:3], 0 offen offset:4
.LBB14_106:
	global_load_dword v0, v32, s[20:21] offset:48
	s_waitcnt vmcnt(0)
	v_add_u32_e32 v0, -1, v0
	v_cmp_eq_u32_e32 vcc, 12, v0
	s_cbranch_vccnz .LBB14_108
; %bb.107:
	v_lshlrev_b32_e32 v0, 3, v0
	buffer_load_dword v31, v0, s[0:3], 0 offen
	buffer_load_dword v32, v0, s[0:3], 0 offen offset:4
	buffer_load_dword v33, off, s[0:3], 0 offset:100
	buffer_load_dword v34, off, s[0:3], 0 offset:96
	s_waitcnt vmcnt(3)
	buffer_store_dword v31, off, s[0:3], 0 offset:96
	s_waitcnt vmcnt(3)
	buffer_store_dword v32, off, s[0:3], 0 offset:100
	s_waitcnt vmcnt(3)
	buffer_store_dword v33, v0, s[0:3], 0 offen offset:4
	s_waitcnt vmcnt(3)
	buffer_store_dword v34, v0, s[0:3], 0 offen
.LBB14_108:
	v_mov_b32_e32 v0, 0
	global_load_dword v31, v0, s[20:21] offset:44
	s_waitcnt vmcnt(0)
	v_add_u32_e32 v31, -1, v31
	v_cmp_eq_u32_e32 vcc, 11, v31
	s_cbranch_vccnz .LBB14_110
; %bb.109:
	v_lshlrev_b32_e32 v31, 3, v31
	buffer_load_dword v32, v31, s[0:3], 0 offen
	buffer_load_dword v33, v31, s[0:3], 0 offen offset:4
	buffer_load_dword v34, off, s[0:3], 0 offset:88
	buffer_load_dword v35, off, s[0:3], 0 offset:92
	s_waitcnt vmcnt(3)
	buffer_store_dword v32, off, s[0:3], 0 offset:88
	s_waitcnt vmcnt(3)
	buffer_store_dword v33, off, s[0:3], 0 offset:92
	s_waitcnt vmcnt(3)
	buffer_store_dword v34, v31, s[0:3], 0 offen
	s_waitcnt vmcnt(3)
	buffer_store_dword v35, v31, s[0:3], 0 offen offset:4
.LBB14_110:
	global_load_dword v0, v0, s[20:21] offset:40
	s_waitcnt vmcnt(0)
	v_add_u32_e32 v0, -1, v0
	v_cmp_eq_u32_e32 vcc, 10, v0
	s_cbranch_vccnz .LBB14_112
; %bb.111:
	v_lshlrev_b32_e32 v0, 3, v0
	buffer_load_dword v31, v0, s[0:3], 0 offen
	buffer_load_dword v32, v0, s[0:3], 0 offen offset:4
	buffer_load_dword v33, off, s[0:3], 0 offset:84
	buffer_load_dword v34, off, s[0:3], 0 offset:80
	s_waitcnt vmcnt(3)
	buffer_store_dword v31, off, s[0:3], 0 offset:80
	s_waitcnt vmcnt(3)
	buffer_store_dword v32, off, s[0:3], 0 offset:84
	s_waitcnt vmcnt(3)
	buffer_store_dword v33, v0, s[0:3], 0 offen offset:4
	s_waitcnt vmcnt(3)
	buffer_store_dword v34, v0, s[0:3], 0 offen
.LBB14_112:
	v_mov_b32_e32 v0, 0
	global_load_dword v31, v0, s[20:21] offset:36
	s_waitcnt vmcnt(0)
	v_add_u32_e32 v31, -1, v31
	v_cmp_eq_u32_e32 vcc, 9, v31
	s_cbranch_vccnz .LBB14_114
; %bb.113:
	v_lshlrev_b32_e32 v31, 3, v31
	buffer_load_dword v32, v31, s[0:3], 0 offen
	buffer_load_dword v33, v31, s[0:3], 0 offen offset:4
	buffer_load_dword v34, off, s[0:3], 0 offset:72
	buffer_load_dword v35, off, s[0:3], 0 offset:76
	s_waitcnt vmcnt(3)
	buffer_store_dword v32, off, s[0:3], 0 offset:72
	s_waitcnt vmcnt(3)
	buffer_store_dword v33, off, s[0:3], 0 offset:76
	s_waitcnt vmcnt(3)
	buffer_store_dword v34, v31, s[0:3], 0 offen
	s_waitcnt vmcnt(3)
	buffer_store_dword v35, v31, s[0:3], 0 offen offset:4
.LBB14_114:
	;; [unrolled: 41-line block ×6, first 2 shown]
	global_load_dword v0, v0, s[20:21]
	s_waitcnt vmcnt(0)
	v_add_u32_e32 v0, -1, v0
	v_cmp_eq_u32_e32 vcc, 0, v0
	s_cbranch_vccnz .LBB14_132
; %bb.131:
	v_lshlrev_b32_e32 v0, 3, v0
	buffer_load_dword v31, v0, s[0:3], 0 offen
	buffer_load_dword v32, v0, s[0:3], 0 offen offset:4
	buffer_load_dword v33, off, s[0:3], 0 offset:4
	buffer_load_dword v34, off, s[0:3], 0
	s_waitcnt vmcnt(3)
	buffer_store_dword v31, off, s[0:3], 0
	s_waitcnt vmcnt(3)
	buffer_store_dword v32, off, s[0:3], 0 offset:4
	s_waitcnt vmcnt(3)
	buffer_store_dword v33, v0, s[0:3], 0 offen offset:4
	s_waitcnt vmcnt(3)
	buffer_store_dword v34, v0, s[0:3], 0 offen
.LBB14_132:
	buffer_load_dword v31, off, s[0:3], 0
	buffer_load_dword v32, off, s[0:3], 0 offset:4
	buffer_load_dword v33, off, s[0:3], 0 offset:8
	s_nop 0
	buffer_load_dword v34, off, s[0:3], 0 offset:12
	buffer_load_dword v35, off, s[0:3], 0 offset:16
	;; [unrolled: 1-line block ×27, first 2 shown]
	s_waitcnt vmcnt(28)
	global_store_dwordx2 v[23:24], v[31:32], off
	s_waitcnt vmcnt(27)
	global_store_dwordx2 v[25:26], v[33:34], off
	;; [unrolled: 2-line block ×9, first 2 shown]
	global_store_dwordx2 v[15:16], v[49:50], off
	global_store_dwordx2 v[17:18], v[51:52], off
	;; [unrolled: 1-line block ×3, first 2 shown]
	s_waitcnt vmcnt(16)
	global_store_dwordx2 v[21:22], v[55:56], off
	s_waitcnt vmcnt(15)
	global_store_dwordx2 v[27:28], v[57:58], off
	;; [unrolled: 2-line block ×3, first 2 shown]
	s_endpgm
	.section	.rodata,"a",@progbits
	.p2align	6, 0x0
	.amdhsa_kernel _ZN9rocsolver6v33100L18getri_kernel_smallILi15E19rocblas_complex_numIfEPS3_EEvT1_iilPiilS6_bb
		.amdhsa_group_segment_fixed_size 248
		.amdhsa_private_segment_fixed_size 128
		.amdhsa_kernarg_size 60
		.amdhsa_user_sgpr_count 6
		.amdhsa_user_sgpr_private_segment_buffer 1
		.amdhsa_user_sgpr_dispatch_ptr 0
		.amdhsa_user_sgpr_queue_ptr 0
		.amdhsa_user_sgpr_kernarg_segment_ptr 1
		.amdhsa_user_sgpr_dispatch_id 0
		.amdhsa_user_sgpr_flat_scratch_init 0
		.amdhsa_user_sgpr_private_segment_size 0
		.amdhsa_uses_dynamic_stack 0
		.amdhsa_system_sgpr_private_segment_wavefront_offset 1
		.amdhsa_system_sgpr_workgroup_id_x 1
		.amdhsa_system_sgpr_workgroup_id_y 0
		.amdhsa_system_sgpr_workgroup_id_z 0
		.amdhsa_system_sgpr_workgroup_info 0
		.amdhsa_system_vgpr_workitem_id 0
		.amdhsa_next_free_vgpr 102
		.amdhsa_next_free_sgpr 24
		.amdhsa_reserve_vcc 1
		.amdhsa_reserve_flat_scratch 0
		.amdhsa_float_round_mode_32 0
		.amdhsa_float_round_mode_16_64 0
		.amdhsa_float_denorm_mode_32 3
		.amdhsa_float_denorm_mode_16_64 3
		.amdhsa_dx10_clamp 1
		.amdhsa_ieee_mode 1
		.amdhsa_fp16_overflow 0
		.amdhsa_exception_fp_ieee_invalid_op 0
		.amdhsa_exception_fp_denorm_src 0
		.amdhsa_exception_fp_ieee_div_zero 0
		.amdhsa_exception_fp_ieee_overflow 0
		.amdhsa_exception_fp_ieee_underflow 0
		.amdhsa_exception_fp_ieee_inexact 0
		.amdhsa_exception_int_div_zero 0
	.end_amdhsa_kernel
	.section	.text._ZN9rocsolver6v33100L18getri_kernel_smallILi15E19rocblas_complex_numIfEPS3_EEvT1_iilPiilS6_bb,"axG",@progbits,_ZN9rocsolver6v33100L18getri_kernel_smallILi15E19rocblas_complex_numIfEPS3_EEvT1_iilPiilS6_bb,comdat
.Lfunc_end14:
	.size	_ZN9rocsolver6v33100L18getri_kernel_smallILi15E19rocblas_complex_numIfEPS3_EEvT1_iilPiilS6_bb, .Lfunc_end14-_ZN9rocsolver6v33100L18getri_kernel_smallILi15E19rocblas_complex_numIfEPS3_EEvT1_iilPiilS6_bb
                                        ; -- End function
	.set _ZN9rocsolver6v33100L18getri_kernel_smallILi15E19rocblas_complex_numIfEPS3_EEvT1_iilPiilS6_bb.num_vgpr, 102
	.set _ZN9rocsolver6v33100L18getri_kernel_smallILi15E19rocblas_complex_numIfEPS3_EEvT1_iilPiilS6_bb.num_agpr, 0
	.set _ZN9rocsolver6v33100L18getri_kernel_smallILi15E19rocblas_complex_numIfEPS3_EEvT1_iilPiilS6_bb.numbered_sgpr, 24
	.set _ZN9rocsolver6v33100L18getri_kernel_smallILi15E19rocblas_complex_numIfEPS3_EEvT1_iilPiilS6_bb.num_named_barrier, 0
	.set _ZN9rocsolver6v33100L18getri_kernel_smallILi15E19rocblas_complex_numIfEPS3_EEvT1_iilPiilS6_bb.private_seg_size, 128
	.set _ZN9rocsolver6v33100L18getri_kernel_smallILi15E19rocblas_complex_numIfEPS3_EEvT1_iilPiilS6_bb.uses_vcc, 1
	.set _ZN9rocsolver6v33100L18getri_kernel_smallILi15E19rocblas_complex_numIfEPS3_EEvT1_iilPiilS6_bb.uses_flat_scratch, 0
	.set _ZN9rocsolver6v33100L18getri_kernel_smallILi15E19rocblas_complex_numIfEPS3_EEvT1_iilPiilS6_bb.has_dyn_sized_stack, 0
	.set _ZN9rocsolver6v33100L18getri_kernel_smallILi15E19rocblas_complex_numIfEPS3_EEvT1_iilPiilS6_bb.has_recursion, 0
	.set _ZN9rocsolver6v33100L18getri_kernel_smallILi15E19rocblas_complex_numIfEPS3_EEvT1_iilPiilS6_bb.has_indirect_call, 0
	.section	.AMDGPU.csdata,"",@progbits
; Kernel info:
; codeLenInByte = 14088
; TotalNumSgprs: 28
; NumVgprs: 102
; ScratchSize: 128
; MemoryBound: 0
; FloatMode: 240
; IeeeMode: 1
; LDSByteSize: 248 bytes/workgroup (compile time only)
; SGPRBlocks: 3
; VGPRBlocks: 25
; NumSGPRsForWavesPerEU: 28
; NumVGPRsForWavesPerEU: 102
; Occupancy: 2
; WaveLimiterHint : 1
; COMPUTE_PGM_RSRC2:SCRATCH_EN: 1
; COMPUTE_PGM_RSRC2:USER_SGPR: 6
; COMPUTE_PGM_RSRC2:TRAP_HANDLER: 0
; COMPUTE_PGM_RSRC2:TGID_X_EN: 1
; COMPUTE_PGM_RSRC2:TGID_Y_EN: 0
; COMPUTE_PGM_RSRC2:TGID_Z_EN: 0
; COMPUTE_PGM_RSRC2:TIDIG_COMP_CNT: 0
	.section	.text._ZN9rocsolver6v33100L18getri_kernel_smallILi16E19rocblas_complex_numIfEPS3_EEvT1_iilPiilS6_bb,"axG",@progbits,_ZN9rocsolver6v33100L18getri_kernel_smallILi16E19rocblas_complex_numIfEPS3_EEvT1_iilPiilS6_bb,comdat
	.globl	_ZN9rocsolver6v33100L18getri_kernel_smallILi16E19rocblas_complex_numIfEPS3_EEvT1_iilPiilS6_bb ; -- Begin function _ZN9rocsolver6v33100L18getri_kernel_smallILi16E19rocblas_complex_numIfEPS3_EEvT1_iilPiilS6_bb
	.p2align	8
	.type	_ZN9rocsolver6v33100L18getri_kernel_smallILi16E19rocblas_complex_numIfEPS3_EEvT1_iilPiilS6_bb,@function
_ZN9rocsolver6v33100L18getri_kernel_smallILi16E19rocblas_complex_numIfEPS3_EEvT1_iilPiilS6_bb: ; @_ZN9rocsolver6v33100L18getri_kernel_smallILi16E19rocblas_complex_numIfEPS3_EEvT1_iilPiilS6_bb
; %bb.0:
	s_add_u32 s0, s0, s7
	s_addc_u32 s1, s1, 0
	v_cmp_gt_u32_e32 vcc, 16, v0
	s_and_saveexec_b64 s[8:9], vcc
	s_cbranch_execz .LBB15_78
; %bb.1:
	s_load_dword s12, s[4:5], 0x38
	s_load_dwordx4 s[16:19], s[4:5], 0x10
	s_load_dwordx4 s[8:11], s[4:5], 0x28
                                        ; implicit-def: $sgpr20_sgpr21
	s_waitcnt lgkmcnt(0)
	s_bitcmp1_b32 s12, 8
	s_cselect_b64 s[22:23], -1, 0
	s_ashr_i32 s7, s6, 31
	s_bfe_u32 s12, s12, 0x10008
	s_cmp_eq_u32 s12, 0
	s_cbranch_scc1 .LBB15_3
; %bb.2:
	s_load_dword s12, s[4:5], 0x20
	s_mul_i32 s13, s8, s7
	s_mul_hi_u32 s14, s8, s6
	s_mul_i32 s9, s9, s6
	s_add_i32 s14, s14, s13
	s_add_i32 s9, s14, s9
	s_mul_i32 s8, s8, s6
	s_waitcnt lgkmcnt(0)
	s_ashr_i32 s13, s12, 31
	s_lshl_b64 s[8:9], s[8:9], 2
	s_add_u32 s14, s18, s8
	s_addc_u32 s15, s19, s9
	s_lshl_b64 s[8:9], s[12:13], 2
	s_add_u32 s20, s14, s8
	s_addc_u32 s21, s15, s9
.LBB15_3:
	s_load_dwordx4 s[12:15], s[4:5], 0x0
	s_load_dword s8, s[4:5], 0x38
	s_mul_i32 s9, s16, s7
	s_mul_hi_u32 s18, s16, s6
	s_add_i32 s9, s18, s9
	s_waitcnt lgkmcnt(0)
	s_ashr_i32 s5, s14, 31
	s_mov_b32 s4, s14
	s_mul_i32 s14, s17, s6
	s_add_i32 s17, s9, s14
	s_mul_i32 s16, s16, s6
	s_lshl_b64 s[16:17], s[16:17], 3
	s_add_u32 s9, s12, s16
	s_addc_u32 s12, s13, s17
	s_lshl_b64 s[4:5], s[4:5], 3
	s_add_u32 s4, s9, s4
	s_addc_u32 s5, s12, s5
	s_add_i32 s9, s15, s15
	v_add_u32_e32 v3, s9, v0
	v_ashrrev_i32_e32 v4, 31, v3
	v_lshlrev_b64 v[1:2], 3, v[3:4]
	v_add_u32_e32 v5, s15, v3
	v_mov_b32_e32 v4, s5
	v_add_co_u32_e32 v1, vcc, s4, v1
	v_ashrrev_i32_e32 v6, 31, v5
	v_addc_co_u32_e32 v2, vcc, v4, v2, vcc
	v_lshlrev_b64 v[3:4], 3, v[5:6]
	v_add_u32_e32 v7, s15, v5
	v_mov_b32_e32 v6, s5
	v_add_co_u32_e32 v3, vcc, s4, v3
	v_ashrrev_i32_e32 v8, 31, v7
	v_addc_co_u32_e32 v4, vcc, v6, v4, vcc
	v_lshlrev_b64 v[5:6], 3, v[7:8]
	v_add_u32_e32 v9, s15, v7
	v_mov_b32_e32 v8, s5
	v_add_co_u32_e32 v5, vcc, s4, v5
	v_ashrrev_i32_e32 v10, 31, v9
	v_addc_co_u32_e32 v6, vcc, v8, v6, vcc
	v_lshlrev_b64 v[7:8], 3, v[9:10]
	v_add_u32_e32 v11, s15, v9
	v_mov_b32_e32 v10, s5
	v_add_co_u32_e32 v7, vcc, s4, v7
	v_ashrrev_i32_e32 v12, 31, v11
	v_addc_co_u32_e32 v8, vcc, v10, v8, vcc
	v_lshlrev_b64 v[9:10], 3, v[11:12]
	v_add_u32_e32 v13, s15, v11
	v_mov_b32_e32 v12, s5
	v_add_co_u32_e32 v9, vcc, s4, v9
	v_ashrrev_i32_e32 v14, 31, v13
	v_addc_co_u32_e32 v10, vcc, v12, v10, vcc
	v_lshlrev_b64 v[11:12], 3, v[13:14]
	v_add_u32_e32 v15, s15, v13
	v_mov_b32_e32 v14, s5
	v_add_co_u32_e32 v11, vcc, s4, v11
	v_ashrrev_i32_e32 v16, 31, v15
	v_addc_co_u32_e32 v12, vcc, v14, v12, vcc
	v_lshlrev_b64 v[13:14], 3, v[15:16]
	v_add_u32_e32 v17, s15, v15
	v_mov_b32_e32 v16, s5
	v_add_co_u32_e32 v13, vcc, s4, v13
	v_ashrrev_i32_e32 v18, 31, v17
	v_addc_co_u32_e32 v14, vcc, v16, v14, vcc
	v_lshlrev_b64 v[15:16], 3, v[17:18]
	v_add_u32_e32 v19, s15, v17
	v_mov_b32_e32 v18, s5
	v_add_co_u32_e32 v15, vcc, s4, v15
	v_ashrrev_i32_e32 v20, 31, v19
	v_addc_co_u32_e32 v16, vcc, v18, v16, vcc
	v_lshlrev_b64 v[17:18], 3, v[19:20]
	v_mov_b32_e32 v21, s5
	v_add_co_u32_e32 v17, vcc, s4, v17
	v_addc_co_u32_e32 v18, vcc, v21, v18, vcc
	v_add_u32_e32 v21, s15, v19
	v_ashrrev_i32_e32 v22, 31, v21
	v_lshlrev_b64 v[19:20], 3, v[21:22]
	v_mov_b32_e32 v23, s5
	v_add_co_u32_e32 v19, vcc, s4, v19
	v_addc_co_u32_e32 v20, vcc, v23, v20, vcc
	v_add_u32_e32 v23, s15, v21
	v_ashrrev_i32_e32 v24, 31, v23
	;; [unrolled: 6-line block ×3, first 2 shown]
	v_lshlrev_b64 v[23:24], 3, v[25:26]
	v_mov_b32_e32 v27, s5
	v_add_co_u32_e32 v23, vcc, s4, v23
	v_addc_co_u32_e32 v24, vcc, v27, v24, vcc
	v_lshlrev_b32_e32 v35, 3, v0
	v_add_u32_e32 v31, s15, v25
	v_mov_b32_e32 v26, s5
	v_add_co_u32_e32 v25, vcc, s4, v35
	s_ashr_i32 s13, s15, 31
	s_mov_b32 s12, s15
	v_ashrrev_i32_e32 v32, 31, v31
	v_addc_co_u32_e32 v26, vcc, 0, v26, vcc
	s_lshl_b64 s[12:13], s[12:13], 3
	v_mov_b32_e32 v28, s13
	v_add_co_u32_e32 v27, vcc, s12, v25
	v_lshlrev_b64 v[29:30], 3, v[31:32]
	v_addc_co_u32_e32 v28, vcc, v26, v28, vcc
	v_mov_b32_e32 v48, s5
	v_add_co_u32_e32 v29, vcc, s4, v29
	global_load_dwordx2 v[33:34], v35, s[4:5]
	global_load_dwordx2 v[36:37], v[27:28], off
	global_load_dwordx2 v[38:39], v[1:2], off
	;; [unrolled: 1-line block ×6, first 2 shown]
	v_addc_co_u32_e32 v30, vcc, v48, v30, vcc
	global_load_dwordx2 v[48:49], v[11:12], off
	global_load_dwordx2 v[50:51], v[13:14], off
	;; [unrolled: 1-line block ×8, first 2 shown]
	v_add_u32_e32 v31, s15, v31
	v_ashrrev_i32_e32 v32, 31, v31
	v_lshlrev_b64 v[31:32], 3, v[31:32]
	v_mov_b32_e32 v64, s5
	v_add_co_u32_e32 v31, vcc, s4, v31
	v_addc_co_u32_e32 v32, vcc, v64, v32, vcc
	global_load_dwordx2 v[64:65], v[31:32], off
	s_bitcmp0_b32 s8, 0
	s_mov_b64 s[8:9], -1
	s_waitcnt vmcnt(15)
	buffer_store_dword v34, off, s[0:3], 0 offset:4
	buffer_store_dword v33, off, s[0:3], 0
	s_waitcnt vmcnt(16)
	buffer_store_dword v37, off, s[0:3], 0 offset:12
	buffer_store_dword v36, off, s[0:3], 0 offset:8
	s_waitcnt vmcnt(17)
	buffer_store_dword v39, off, s[0:3], 0 offset:20
	buffer_store_dword v38, off, s[0:3], 0 offset:16
	;; [unrolled: 3-line block ×15, first 2 shown]
	s_cbranch_scc1 .LBB15_76
; %bb.4:
	v_cmp_eq_u32_e64 s[4:5], 0, v0
	s_and_saveexec_b64 s[8:9], s[4:5]
; %bb.5:
	v_mov_b32_e32 v33, 0
	ds_write_b32 v33, v33 offset:256
; %bb.6:
	s_or_b64 exec, exec, s[8:9]
	v_mov_b32_e32 v33, 0
	v_lshl_add_u32 v37, v0, 3, v33
	s_waitcnt lgkmcnt(0)
	; wave barrier
	buffer_load_dword v33, v37, s[0:3], 0 offen
	buffer_load_dword v34, v37, s[0:3], 0 offen offset:4
	s_waitcnt vmcnt(1)
	v_cmp_eq_f32_e32 vcc, 0, v33
	s_waitcnt vmcnt(0)
	v_cmp_eq_f32_e64 s[8:9], 0, v34
	s_and_b64 s[8:9], vcc, s[8:9]
	s_and_saveexec_b64 s[12:13], s[8:9]
	s_cbranch_execz .LBB15_10
; %bb.7:
	v_mov_b32_e32 v33, 0
	ds_read_b32 v36, v33 offset:256
	v_add_u32_e32 v34, 1, v0
	s_waitcnt lgkmcnt(0)
	v_readfirstlane_b32 s8, v36
	s_cmp_eq_u32 s8, 0
	s_cselect_b64 s[14:15], -1, 0
	v_cmp_gt_i32_e32 vcc, s8, v34
	s_or_b64 s[14:15], s[14:15], vcc
	s_and_b64 exec, exec, s[14:15]
	s_cbranch_execz .LBB15_10
; %bb.8:
	s_mov_b64 s[14:15], 0
	v_mov_b32_e32 v36, s8
.LBB15_9:                               ; =>This Inner Loop Header: Depth=1
	ds_cmpst_rtn_b32 v36, v33, v36, v34 offset:256
	s_waitcnt lgkmcnt(0)
	v_cmp_ne_u32_e32 vcc, 0, v36
	v_cmp_le_i32_e64 s[8:9], v36, v34
	s_and_b64 s[8:9], vcc, s[8:9]
	s_and_b64 s[8:9], exec, s[8:9]
	s_or_b64 s[14:15], s[8:9], s[14:15]
	s_andn2_b64 exec, exec, s[14:15]
	s_cbranch_execnz .LBB15_9
.LBB15_10:
	s_or_b64 exec, exec, s[12:13]
	v_mov_b32_e32 v34, 0
	; wave barrier
	ds_read_b32 v33, v34 offset:256
	s_and_saveexec_b64 s[8:9], s[4:5]
	s_cbranch_execz .LBB15_12
; %bb.11:
	s_lshl_b64 s[12:13], s[6:7], 2
	s_add_u32 s12, s10, s12
	s_addc_u32 s13, s11, s13
	s_waitcnt lgkmcnt(0)
	global_store_dword v34, v33, s[12:13]
.LBB15_12:
	s_or_b64 exec, exec, s[8:9]
	s_waitcnt lgkmcnt(0)
	v_cmp_ne_u32_e32 vcc, 0, v33
	s_mov_b64 s[8:9], 0
	s_cbranch_vccnz .LBB15_76
; %bb.13:
	buffer_load_dword v34, v37, s[0:3], 0 offen
	buffer_load_dword v36, v37, s[0:3], 0 offen offset:4
                                        ; implicit-def: $vgpr39
                                        ; implicit-def: $vgpr38
                                        ; implicit-def: $vgpr33
	s_waitcnt vmcnt(0)
	v_cmp_ngt_f32_e64 s[8:9], |v34|, |v36|
	s_and_saveexec_b64 s[12:13], s[8:9]
	s_xor_b64 s[8:9], exec, s[12:13]
	s_cbranch_execz .LBB15_15
; %bb.14:
	v_div_scale_f32 v33, s[12:13], v36, v36, v34
	v_div_scale_f32 v38, vcc, v34, v36, v34
	v_rcp_f32_e32 v39, v33
	v_fma_f32 v40, -v33, v39, 1.0
	v_fmac_f32_e32 v39, v40, v39
	v_mul_f32_e32 v40, v38, v39
	v_fma_f32 v41, -v33, v40, v38
	v_fmac_f32_e32 v40, v41, v39
	v_fma_f32 v33, -v33, v40, v38
	v_div_fmas_f32 v33, v33, v39, v40
	v_div_fixup_f32 v33, v33, v36, v34
	v_fmac_f32_e32 v36, v34, v33
	v_div_scale_f32 v34, s[12:13], v36, v36, 1.0
	v_div_scale_f32 v38, vcc, 1.0, v36, 1.0
	v_rcp_f32_e32 v39, v34
	v_fma_f32 v40, -v34, v39, 1.0
	v_fmac_f32_e32 v39, v40, v39
	v_mul_f32_e32 v40, v38, v39
	v_fma_f32 v41, -v34, v40, v38
	v_fmac_f32_e32 v40, v41, v39
	v_fma_f32 v34, -v34, v40, v38
	v_div_fmas_f32 v34, v34, v39, v40
	v_div_fixup_f32 v34, v34, v36, 1.0
	v_mul_f32_e32 v39, v33, v34
	v_xor_b32_e32 v38, 0x80000000, v34
	v_xor_b32_e32 v33, 0x80000000, v39
                                        ; implicit-def: $vgpr34
                                        ; implicit-def: $vgpr36
.LBB15_15:
	s_andn2_saveexec_b64 s[8:9], s[8:9]
	s_cbranch_execz .LBB15_17
; %bb.16:
	v_div_scale_f32 v33, s[12:13], v34, v34, v36
	v_div_scale_f32 v38, vcc, v36, v34, v36
	v_rcp_f32_e32 v39, v33
	v_fma_f32 v40, -v33, v39, 1.0
	v_fmac_f32_e32 v39, v40, v39
	v_mul_f32_e32 v40, v38, v39
	v_fma_f32 v41, -v33, v40, v38
	v_fmac_f32_e32 v40, v41, v39
	v_fma_f32 v33, -v33, v40, v38
	v_div_fmas_f32 v33, v33, v39, v40
	v_div_fixup_f32 v38, v33, v34, v36
	v_fmac_f32_e32 v34, v36, v38
	v_div_scale_f32 v33, s[12:13], v34, v34, 1.0
	v_div_scale_f32 v36, vcc, 1.0, v34, 1.0
	v_rcp_f32_e32 v39, v33
	v_fma_f32 v40, -v33, v39, 1.0
	v_fmac_f32_e32 v39, v40, v39
	v_mul_f32_e32 v40, v36, v39
	v_fma_f32 v41, -v33, v40, v36
	v_fmac_f32_e32 v40, v41, v39
	v_fma_f32 v33, -v33, v40, v36
	v_div_fmas_f32 v33, v33, v39, v40
	v_div_fixup_f32 v39, v33, v34, 1.0
	v_xor_b32_e32 v33, 0x80000000, v39
	v_mul_f32_e64 v38, v38, -v39
.LBB15_17:
	s_or_b64 exec, exec, s[8:9]
	buffer_store_dword v39, v37, s[0:3], 0 offen
	buffer_store_dword v38, v37, s[0:3], 0 offen offset:4
	buffer_load_dword v40, off, s[0:3], 0 offset:12
	s_nop 0
	buffer_load_dword v39, off, s[0:3], 0 offset:8
	v_xor_b32_e32 v34, 0x80000000, v38
	v_add_u32_e32 v36, 0x80, v35
	s_waitcnt vmcnt(0)
	ds_write2_b64 v35, v[33:34], v[39:40] offset1:16
	s_waitcnt lgkmcnt(0)
	; wave barrier
	s_and_saveexec_b64 s[8:9], s[4:5]
	s_cbranch_execz .LBB15_19
; %bb.18:
	buffer_load_dword v40, v37, s[0:3], 0 offen offset:4
	buffer_load_dword v41, v37, s[0:3], 0 offen
	ds_read_b64 v[33:34], v36
	v_mov_b32_e32 v38, 0
	ds_read_b64 v[38:39], v38 offset:8
	s_waitcnt vmcnt(1) lgkmcnt(1)
	v_mul_f32_e32 v42, v34, v40
	v_mul_f32_e32 v40, v33, v40
	s_waitcnt vmcnt(0)
	v_fmac_f32_e32 v40, v34, v41
	v_fma_f32 v33, v33, v41, -v42
	v_add_f32_e32 v34, 0, v40
	v_add_f32_e32 v33, 0, v33
	s_waitcnt lgkmcnt(0)
	v_mul_f32_e32 v40, v34, v39
	v_mul_f32_e32 v39, v33, v39
	v_fma_f32 v33, v33, v38, -v40
	v_fmac_f32_e32 v39, v34, v38
	buffer_store_dword v33, off, s[0:3], 0 offset:8
	buffer_store_dword v39, off, s[0:3], 0 offset:12
.LBB15_19:
	s_or_b64 exec, exec, s[8:9]
	; wave barrier
	buffer_load_dword v33, off, s[0:3], 0 offset:16
	buffer_load_dword v34, off, s[0:3], 0 offset:20
	v_cmp_gt_u32_e32 vcc, 2, v0
	s_waitcnt vmcnt(0)
	ds_write_b64 v36, v[33:34]
	s_waitcnt lgkmcnt(0)
	; wave barrier
	s_and_saveexec_b64 s[8:9], vcc
	s_cbranch_execz .LBB15_23
; %bb.20:
	buffer_load_dword v38, v37, s[0:3], 0 offen offset:4
	buffer_load_dword v39, v37, s[0:3], 0 offen
	ds_read_b64 v[33:34], v36
	s_waitcnt vmcnt(1) lgkmcnt(0)
	v_mul_f32_e32 v37, v34, v38
	v_mul_f32_e32 v38, v33, v38
	s_waitcnt vmcnt(0)
	v_fma_f32 v33, v33, v39, -v37
	v_fmac_f32_e32 v38, v34, v39
	v_add_f32_e32 v34, 0, v33
	v_add_f32_e32 v33, 0, v38
	s_and_saveexec_b64 s[12:13], s[4:5]
	s_cbranch_execz .LBB15_22
; %bb.21:
	buffer_load_dword v39, off, s[0:3], 0 offset:12
	buffer_load_dword v40, off, s[0:3], 0 offset:8
	v_mov_b32_e32 v37, 0
	ds_read_b64 v[37:38], v37 offset:136
	s_waitcnt vmcnt(1) lgkmcnt(0)
	v_mul_f32_e32 v41, v37, v39
	v_mul_f32_e32 v39, v38, v39
	s_waitcnt vmcnt(0)
	v_fmac_f32_e32 v41, v38, v40
	v_fma_f32 v37, v37, v40, -v39
	v_add_f32_e32 v33, v33, v41
	v_add_f32_e32 v34, v34, v37
.LBB15_22:
	s_or_b64 exec, exec, s[12:13]
	v_mov_b32_e32 v37, 0
	ds_read_b64 v[37:38], v37 offset:16
	s_waitcnt lgkmcnt(0)
	v_mul_f32_e32 v39, v33, v38
	v_mul_f32_e32 v38, v34, v38
	v_fma_f32 v34, v34, v37, -v39
	v_fmac_f32_e32 v38, v33, v37
	buffer_store_dword v34, off, s[0:3], 0 offset:16
	buffer_store_dword v38, off, s[0:3], 0 offset:20
.LBB15_23:
	s_or_b64 exec, exec, s[8:9]
	; wave barrier
	buffer_load_dword v33, off, s[0:3], 0 offset:24
	buffer_load_dword v34, off, s[0:3], 0 offset:28
	v_cmp_gt_u32_e32 vcc, 3, v0
	s_waitcnt vmcnt(0)
	ds_write_b64 v36, v[33:34]
	v_add_u32_e32 v33, -1, v0
	s_waitcnt lgkmcnt(0)
	; wave barrier
	s_and_saveexec_b64 s[4:5], vcc
	s_cbranch_execz .LBB15_27
; %bb.24:
	v_add_u32_e32 v37, -1, v0
	v_add_u32_e32 v38, 0x80, v35
	v_mov_b32_e32 v39, v35
	v_mov_b32_e32 v34, 0
	s_mov_b64 s[8:9], 0
	v_mov_b32_e32 v40, 0
.LBB15_25:                              ; =>This Inner Loop Header: Depth=1
	buffer_load_dword v43, v39, s[0:3], 0 offen offset:4
	buffer_load_dword v44, v39, s[0:3], 0 offen
	ds_read_b64 v[41:42], v38
	v_add_u32_e32 v37, 1, v37
	v_cmp_lt_u32_e32 vcc, 1, v37
	v_add_u32_e32 v38, 8, v38
	v_add_u32_e32 v39, 8, v39
	s_or_b64 s[8:9], vcc, s[8:9]
	s_waitcnt vmcnt(1) lgkmcnt(0)
	v_mul_f32_e32 v45, v42, v43
	v_mul_f32_e32 v43, v41, v43
	s_waitcnt vmcnt(0)
	v_fma_f32 v41, v41, v44, -v45
	v_fmac_f32_e32 v43, v42, v44
	v_add_f32_e32 v40, v40, v41
	v_add_f32_e32 v34, v34, v43
	s_andn2_b64 exec, exec, s[8:9]
	s_cbranch_execnz .LBB15_25
; %bb.26:
	s_or_b64 exec, exec, s[8:9]
	v_mov_b32_e32 v37, 0
	ds_read_b64 v[37:38], v37 offset:24
	s_waitcnt lgkmcnt(0)
	v_mul_f32_e32 v39, v34, v38
	v_mul_f32_e32 v38, v40, v38
	v_fma_f32 v39, v40, v37, -v39
	v_fmac_f32_e32 v38, v34, v37
	buffer_store_dword v39, off, s[0:3], 0 offset:24
	buffer_store_dword v38, off, s[0:3], 0 offset:28
.LBB15_27:
	s_or_b64 exec, exec, s[4:5]
	; wave barrier
	buffer_load_dword v37, off, s[0:3], 0 offset:32
	buffer_load_dword v38, off, s[0:3], 0 offset:36
	v_cmp_gt_u32_e32 vcc, 4, v0
	s_waitcnt vmcnt(0)
	ds_write_b64 v36, v[37:38]
	s_waitcnt lgkmcnt(0)
	; wave barrier
	s_and_saveexec_b64 s[4:5], vcc
	s_cbranch_execz .LBB15_31
; %bb.28:
	v_add_u32_e32 v37, -1, v0
	v_add_u32_e32 v38, 0x80, v35
	v_mov_b32_e32 v39, v35
	v_mov_b32_e32 v34, 0
	s_mov_b64 s[8:9], 0
	v_mov_b32_e32 v40, 0
.LBB15_29:                              ; =>This Inner Loop Header: Depth=1
	buffer_load_dword v43, v39, s[0:3], 0 offen offset:4
	buffer_load_dword v44, v39, s[0:3], 0 offen
	ds_read_b64 v[41:42], v38
	v_add_u32_e32 v37, 1, v37
	v_cmp_lt_u32_e32 vcc, 2, v37
	v_add_u32_e32 v38, 8, v38
	v_add_u32_e32 v39, 8, v39
	s_or_b64 s[8:9], vcc, s[8:9]
	s_waitcnt vmcnt(1) lgkmcnt(0)
	v_mul_f32_e32 v45, v42, v43
	v_mul_f32_e32 v43, v41, v43
	s_waitcnt vmcnt(0)
	v_fma_f32 v41, v41, v44, -v45
	v_fmac_f32_e32 v43, v42, v44
	v_add_f32_e32 v40, v40, v41
	v_add_f32_e32 v34, v34, v43
	s_andn2_b64 exec, exec, s[8:9]
	s_cbranch_execnz .LBB15_29
; %bb.30:
	s_or_b64 exec, exec, s[8:9]
	v_mov_b32_e32 v37, 0
	ds_read_b64 v[37:38], v37 offset:32
	s_waitcnt lgkmcnt(0)
	v_mul_f32_e32 v39, v34, v38
	v_mul_f32_e32 v38, v40, v38
	v_fma_f32 v39, v40, v37, -v39
	v_fmac_f32_e32 v38, v34, v37
	buffer_store_dword v39, off, s[0:3], 0 offset:32
	buffer_store_dword v38, off, s[0:3], 0 offset:36
.LBB15_31:
	s_or_b64 exec, exec, s[4:5]
	; wave barrier
	buffer_load_dword v37, off, s[0:3], 0 offset:40
	buffer_load_dword v38, off, s[0:3], 0 offset:44
	v_cmp_gt_u32_e32 vcc, 5, v0
	s_waitcnt vmcnt(0)
	ds_write_b64 v36, v[37:38]
	;; [unrolled: 49-line block ×11, first 2 shown]
	s_waitcnt lgkmcnt(0)
	; wave barrier
	s_and_saveexec_b64 s[4:5], vcc
	s_cbranch_execz .LBB15_71
; %bb.68:
	v_add_u32_e32 v37, -1, v0
	v_add_u32_e32 v38, 0x80, v35
	v_mov_b32_e32 v39, v35
	v_mov_b32_e32 v34, 0
	s_mov_b64 s[8:9], 0
	v_mov_b32_e32 v40, 0
.LBB15_69:                              ; =>This Inner Loop Header: Depth=1
	buffer_load_dword v43, v39, s[0:3], 0 offen offset:4
	buffer_load_dword v44, v39, s[0:3], 0 offen
	ds_read_b64 v[41:42], v38
	v_add_u32_e32 v37, 1, v37
	v_cmp_lt_u32_e32 vcc, 12, v37
	v_add_u32_e32 v38, 8, v38
	v_add_u32_e32 v39, 8, v39
	s_or_b64 s[8:9], vcc, s[8:9]
	s_waitcnt vmcnt(1) lgkmcnt(0)
	v_mul_f32_e32 v45, v42, v43
	v_mul_f32_e32 v43, v41, v43
	s_waitcnt vmcnt(0)
	v_fma_f32 v41, v41, v44, -v45
	v_fmac_f32_e32 v43, v42, v44
	v_add_f32_e32 v40, v40, v41
	v_add_f32_e32 v34, v34, v43
	s_andn2_b64 exec, exec, s[8:9]
	s_cbranch_execnz .LBB15_69
; %bb.70:
	s_or_b64 exec, exec, s[8:9]
	v_mov_b32_e32 v37, 0
	ds_read_b64 v[37:38], v37 offset:112
	s_waitcnt lgkmcnt(0)
	v_mul_f32_e32 v39, v34, v38
	v_mul_f32_e32 v38, v40, v38
	v_fma_f32 v39, v40, v37, -v39
	v_fmac_f32_e32 v38, v34, v37
	buffer_store_dword v39, off, s[0:3], 0 offset:112
	buffer_store_dword v38, off, s[0:3], 0 offset:116
.LBB15_71:
	s_or_b64 exec, exec, s[4:5]
	; wave barrier
	buffer_load_dword v37, off, s[0:3], 0 offset:120
	buffer_load_dword v38, off, s[0:3], 0 offset:124
	v_cmp_ne_u32_e32 vcc, 15, v0
	s_waitcnt vmcnt(0)
	ds_write_b64 v36, v[37:38]
	s_waitcnt lgkmcnt(0)
	; wave barrier
	s_and_saveexec_b64 s[4:5], vcc
	s_cbranch_execz .LBB15_75
; %bb.72:
	v_add_u32_e32 v36, 0x80, v35
	v_mov_b32_e32 v34, 0
	s_mov_b64 s[8:9], 0
	v_mov_b32_e32 v37, 0
.LBB15_73:                              ; =>This Inner Loop Header: Depth=1
	buffer_load_dword v40, v35, s[0:3], 0 offen offset:4
	buffer_load_dword v41, v35, s[0:3], 0 offen
	ds_read_b64 v[38:39], v36
	v_add_u32_e32 v33, 1, v33
	v_cmp_lt_u32_e32 vcc, 13, v33
	v_add_u32_e32 v36, 8, v36
	v_add_u32_e32 v35, 8, v35
	s_or_b64 s[8:9], vcc, s[8:9]
	s_waitcnt vmcnt(1) lgkmcnt(0)
	v_mul_f32_e32 v42, v39, v40
	v_mul_f32_e32 v40, v38, v40
	s_waitcnt vmcnt(0)
	v_fma_f32 v38, v38, v41, -v42
	v_fmac_f32_e32 v40, v39, v41
	v_add_f32_e32 v37, v37, v38
	v_add_f32_e32 v34, v34, v40
	s_andn2_b64 exec, exec, s[8:9]
	s_cbranch_execnz .LBB15_73
; %bb.74:
	s_or_b64 exec, exec, s[8:9]
	v_mov_b32_e32 v33, 0
	ds_read_b64 v[35:36], v33 offset:120
	s_waitcnt lgkmcnt(0)
	v_mul_f32_e32 v33, v34, v36
	v_mul_f32_e32 v36, v37, v36
	v_fma_f32 v33, v37, v35, -v33
	v_fmac_f32_e32 v36, v34, v35
	buffer_store_dword v33, off, s[0:3], 0 offset:120
	buffer_store_dword v36, off, s[0:3], 0 offset:124
.LBB15_75:
	s_or_b64 exec, exec, s[4:5]
	s_mov_b64 s[8:9], -1
	; wave barrier
.LBB15_76:
	s_and_b64 vcc, exec, s[8:9]
	s_cbranch_vccz .LBB15_78
; %bb.77:
	s_lshl_b64 s[4:5], s[6:7], 2
	s_add_u32 s4, s10, s4
	s_addc_u32 s5, s11, s5
	v_mov_b32_e32 v33, 0
	global_load_dword v33, v33, s[4:5]
	s_waitcnt vmcnt(0)
	v_cmp_ne_u32_e32 vcc, 0, v33
	s_cbranch_vccz .LBB15_79
.LBB15_78:
	s_endpgm
.LBB15_79:
	v_mov_b32_e32 v33, 0x80
	v_lshl_add_u32 v33, v0, 3, v33
	v_cmp_eq_u32_e32 vcc, 15, v0
	s_and_saveexec_b64 s[4:5], vcc
	s_cbranch_execz .LBB15_81
; %bb.80:
	buffer_load_dword v34, off, s[0:3], 0 offset:112
	buffer_load_dword v35, off, s[0:3], 0 offset:116
	v_mov_b32_e32 v36, 0
	buffer_store_dword v36, off, s[0:3], 0 offset:112
	buffer_store_dword v36, off, s[0:3], 0 offset:116
	s_waitcnt vmcnt(2)
	ds_write_b64 v33, v[34:35]
.LBB15_81:
	s_or_b64 exec, exec, s[4:5]
	s_waitcnt lgkmcnt(0)
	; wave barrier
	buffer_load_dword v37, off, s[0:3], 0 offset:124
	buffer_load_dword v38, off, s[0:3], 0 offset:120
	;; [unrolled: 1-line block ×4, first 2 shown]
	v_mov_b32_e32 v34, 0
	ds_read_b64 v[35:36], v34 offset:248
	v_cmp_lt_u32_e32 vcc, 13, v0
	s_waitcnt vmcnt(3) lgkmcnt(0)
	v_mul_f32_e32 v41, v35, v37
	v_mul_f32_e32 v37, v36, v37
	s_waitcnt vmcnt(2)
	v_fma_f32 v35, v35, v38, -v37
	v_fmac_f32_e32 v41, v36, v38
	v_add_f32_e32 v35, 0, v35
	v_add_f32_e32 v36, 0, v41
	s_waitcnt vmcnt(1)
	v_sub_f32_e32 v35, v39, v35
	s_waitcnt vmcnt(0)
	v_sub_f32_e32 v36, v40, v36
	buffer_store_dword v35, off, s[0:3], 0 offset:112
	buffer_store_dword v36, off, s[0:3], 0 offset:116
	s_and_saveexec_b64 s[4:5], vcc
	s_cbranch_execz .LBB15_83
; %bb.82:
	buffer_load_dword v35, off, s[0:3], 0 offset:104
	buffer_load_dword v36, off, s[0:3], 0 offset:108
	s_waitcnt vmcnt(0)
	ds_write_b64 v33, v[35:36]
	buffer_store_dword v34, off, s[0:3], 0 offset:104
	buffer_store_dword v34, off, s[0:3], 0 offset:108
.LBB15_83:
	s_or_b64 exec, exec, s[4:5]
	s_waitcnt lgkmcnt(0)
	; wave barrier
	buffer_load_dword v38, off, s[0:3], 0 offset:116
	buffer_load_dword v39, off, s[0:3], 0 offset:124
	;; [unrolled: 1-line block ×6, first 2 shown]
	ds_read_b128 v[34:37], v34 offset:240
	v_cmp_lt_u32_e32 vcc, 12, v0
	s_waitcnt vmcnt(5) lgkmcnt(0)
	v_mul_f32_e32 v44, v34, v38
	v_mul_f32_e32 v38, v35, v38
	s_waitcnt vmcnt(4)
	v_mul_f32_e32 v45, v36, v39
	v_mul_f32_e32 v39, v37, v39
	s_waitcnt vmcnt(3)
	v_fma_f32 v34, v34, v40, -v38
	v_fmac_f32_e32 v44, v35, v40
	s_waitcnt vmcnt(2)
	v_fma_f32 v35, v36, v41, -v39
	v_add_f32_e32 v34, 0, v34
	v_fmac_f32_e32 v45, v37, v41
	v_add_f32_e32 v36, 0, v44
	v_add_f32_e32 v34, v34, v35
	;; [unrolled: 1-line block ×3, first 2 shown]
	s_waitcnt vmcnt(1)
	v_sub_f32_e32 v34, v42, v34
	s_waitcnt vmcnt(0)
	v_sub_f32_e32 v35, v43, v36
	buffer_store_dword v34, off, s[0:3], 0 offset:104
	buffer_store_dword v35, off, s[0:3], 0 offset:108
	s_and_saveexec_b64 s[4:5], vcc
	s_cbranch_execz .LBB15_85
; %bb.84:
	buffer_load_dword v34, off, s[0:3], 0 offset:96
	buffer_load_dword v35, off, s[0:3], 0 offset:100
	v_mov_b32_e32 v36, 0
	buffer_store_dword v36, off, s[0:3], 0 offset:96
	buffer_store_dword v36, off, s[0:3], 0 offset:100
	s_waitcnt vmcnt(2)
	ds_write_b64 v33, v[34:35]
.LBB15_85:
	s_or_b64 exec, exec, s[4:5]
	s_waitcnt lgkmcnt(0)
	; wave barrier
	buffer_load_dword v41, off, s[0:3], 0 offset:108
	buffer_load_dword v42, off, s[0:3], 0 offset:116
	;; [unrolled: 1-line block ×8, first 2 shown]
	v_mov_b32_e32 v34, 0
	ds_read2_b64 v[35:38], v34 offset0:29 offset1:30
	ds_read_b64 v[39:40], v34 offset:248
	v_cmp_lt_u32_e32 vcc, 11, v0
	s_waitcnt vmcnt(7) lgkmcnt(1)
	v_mul_f32_e32 v49, v35, v41
	v_mul_f32_e32 v41, v36, v41
	s_waitcnt vmcnt(6)
	v_mul_f32_e32 v50, v37, v42
	v_mul_f32_e32 v42, v38, v42
	s_waitcnt vmcnt(4)
	v_fma_f32 v35, v35, v44, -v41
	s_waitcnt lgkmcnt(0)
	v_mul_f32_e32 v51, v39, v43
	v_mul_f32_e32 v43, v40, v43
	v_fmac_f32_e32 v49, v36, v44
	s_waitcnt vmcnt(3)
	v_fma_f32 v36, v37, v45, -v42
	v_add_f32_e32 v35, 0, v35
	v_fmac_f32_e32 v50, v38, v45
	s_waitcnt vmcnt(2)
	v_fma_f32 v37, v39, v46, -v43
	v_add_f32_e32 v38, 0, v49
	v_add_f32_e32 v35, v35, v36
	v_fmac_f32_e32 v51, v40, v46
	v_add_f32_e32 v38, v38, v50
	v_add_f32_e32 v35, v35, v37
	;; [unrolled: 1-line block ×3, first 2 shown]
	s_waitcnt vmcnt(1)
	v_sub_f32_e32 v35, v47, v35
	s_waitcnt vmcnt(0)
	v_sub_f32_e32 v36, v48, v36
	buffer_store_dword v35, off, s[0:3], 0 offset:96
	buffer_store_dword v36, off, s[0:3], 0 offset:100
	s_and_saveexec_b64 s[4:5], vcc
	s_cbranch_execz .LBB15_87
; %bb.86:
	buffer_load_dword v35, off, s[0:3], 0 offset:88
	buffer_load_dword v36, off, s[0:3], 0 offset:92
	s_waitcnt vmcnt(0)
	ds_write_b64 v33, v[35:36]
	buffer_store_dword v34, off, s[0:3], 0 offset:88
	buffer_store_dword v34, off, s[0:3], 0 offset:92
.LBB15_87:
	s_or_b64 exec, exec, s[4:5]
	s_waitcnt lgkmcnt(0)
	; wave barrier
	buffer_load_dword v43, off, s[0:3], 0 offset:100
	buffer_load_dword v44, off, s[0:3], 0 offset:108
	buffer_load_dword v45, off, s[0:3], 0 offset:116
	buffer_load_dword v46, off, s[0:3], 0 offset:124
	buffer_load_dword v47, off, s[0:3], 0 offset:96
	buffer_load_dword v48, off, s[0:3], 0 offset:104
	buffer_load_dword v49, off, s[0:3], 0 offset:112
	buffer_load_dword v50, off, s[0:3], 0 offset:120
	buffer_load_dword v51, off, s[0:3], 0 offset:88
	buffer_load_dword v52, off, s[0:3], 0 offset:92
	ds_read_b128 v[35:38], v34 offset:224
	ds_read_b128 v[39:42], v34 offset:240
	v_cmp_lt_u32_e32 vcc, 10, v0
	s_waitcnt vmcnt(9) lgkmcnt(1)
	v_mul_f32_e32 v34, v35, v43
	v_mul_f32_e32 v43, v36, v43
	s_waitcnt vmcnt(8)
	v_mul_f32_e32 v53, v37, v44
	v_mul_f32_e32 v44, v38, v44
	s_waitcnt vmcnt(5)
	v_fma_f32 v35, v35, v47, -v43
	s_waitcnt lgkmcnt(0)
	v_mul_f32_e32 v54, v39, v45
	v_mul_f32_e32 v45, v40, v45
	v_fmac_f32_e32 v34, v36, v47
	s_waitcnt vmcnt(4)
	v_fma_f32 v36, v37, v48, -v44
	v_add_f32_e32 v35, 0, v35
	v_mul_f32_e32 v55, v41, v46
	v_mul_f32_e32 v46, v42, v46
	v_fmac_f32_e32 v53, v38, v48
	s_waitcnt vmcnt(3)
	v_fma_f32 v37, v39, v49, -v45
	v_add_f32_e32 v34, 0, v34
	v_add_f32_e32 v35, v35, v36
	v_fmac_f32_e32 v54, v40, v49
	s_waitcnt vmcnt(2)
	v_fma_f32 v38, v41, v50, -v46
	v_add_f32_e32 v34, v34, v53
	v_add_f32_e32 v35, v35, v37
	v_fmac_f32_e32 v55, v42, v50
	v_add_f32_e32 v34, v34, v54
	v_add_f32_e32 v35, v35, v38
	;; [unrolled: 1-line block ×3, first 2 shown]
	s_waitcnt vmcnt(1)
	v_sub_f32_e32 v35, v51, v35
	s_waitcnt vmcnt(0)
	v_sub_f32_e32 v34, v52, v34
	buffer_store_dword v35, off, s[0:3], 0 offset:88
	buffer_store_dword v34, off, s[0:3], 0 offset:92
	s_and_saveexec_b64 s[4:5], vcc
	s_cbranch_execz .LBB15_89
; %bb.88:
	buffer_load_dword v34, off, s[0:3], 0 offset:80
	buffer_load_dword v35, off, s[0:3], 0 offset:84
	v_mov_b32_e32 v36, 0
	buffer_store_dword v36, off, s[0:3], 0 offset:80
	buffer_store_dword v36, off, s[0:3], 0 offset:84
	s_waitcnt vmcnt(2)
	ds_write_b64 v33, v[34:35]
.LBB15_89:
	s_or_b64 exec, exec, s[4:5]
	s_waitcnt lgkmcnt(0)
	; wave barrier
	buffer_load_dword v45, off, s[0:3], 0 offset:92
	buffer_load_dword v46, off, s[0:3], 0 offset:100
	;; [unrolled: 1-line block ×12, first 2 shown]
	v_mov_b32_e32 v34, 0
	ds_read2_b64 v[35:38], v34 offset0:27 offset1:28
	ds_read2_b64 v[39:42], v34 offset0:29 offset1:30
	ds_read_b64 v[43:44], v34 offset:248
	v_cmp_lt_u32_e32 vcc, 9, v0
	s_waitcnt vmcnt(11) lgkmcnt(2)
	v_mul_f32_e32 v57, v35, v45
	v_mul_f32_e32 v45, v36, v45
	s_waitcnt vmcnt(10)
	v_mul_f32_e32 v58, v37, v46
	v_mul_f32_e32 v46, v38, v46
	s_waitcnt vmcnt(9) lgkmcnt(1)
	v_mul_f32_e32 v59, v39, v47
	s_waitcnt vmcnt(6)
	v_fma_f32 v35, v35, v50, -v45
	v_mul_f32_e32 v47, v40, v47
	v_fmac_f32_e32 v57, v36, v50
	s_waitcnt vmcnt(5)
	v_fma_f32 v36, v37, v51, -v46
	v_add_f32_e32 v35, 0, v35
	v_mul_f32_e32 v60, v41, v48
	v_mul_f32_e32 v48, v42, v48
	v_fmac_f32_e32 v58, v38, v51
	s_waitcnt vmcnt(4)
	v_fmac_f32_e32 v59, v40, v52
	v_fma_f32 v37, v39, v52, -v47
	v_add_f32_e32 v40, 0, v57
	v_add_f32_e32 v35, v35, v36
	s_waitcnt lgkmcnt(0)
	v_mul_f32_e32 v61, v43, v49
	v_mul_f32_e32 v49, v44, v49
	s_waitcnt vmcnt(3)
	v_fma_f32 v38, v41, v53, -v48
	v_add_f32_e32 v40, v40, v58
	v_add_f32_e32 v35, v35, v37
	v_fmac_f32_e32 v60, v42, v53
	s_waitcnt vmcnt(2)
	v_fma_f32 v39, v43, v54, -v49
	v_add_f32_e32 v36, v40, v59
	v_add_f32_e32 v35, v35, v38
	v_fmac_f32_e32 v61, v44, v54
	v_add_f32_e32 v36, v36, v60
	v_add_f32_e32 v35, v35, v39
	;; [unrolled: 1-line block ×3, first 2 shown]
	s_waitcnt vmcnt(1)
	v_sub_f32_e32 v35, v55, v35
	s_waitcnt vmcnt(0)
	v_sub_f32_e32 v36, v56, v36
	buffer_store_dword v35, off, s[0:3], 0 offset:80
	buffer_store_dword v36, off, s[0:3], 0 offset:84
	s_and_saveexec_b64 s[4:5], vcc
	s_cbranch_execz .LBB15_91
; %bb.90:
	buffer_load_dword v35, off, s[0:3], 0 offset:72
	buffer_load_dword v36, off, s[0:3], 0 offset:76
	s_waitcnt vmcnt(0)
	ds_write_b64 v33, v[35:36]
	buffer_store_dword v34, off, s[0:3], 0 offset:72
	buffer_store_dword v34, off, s[0:3], 0 offset:76
.LBB15_91:
	s_or_b64 exec, exec, s[4:5]
	s_waitcnt lgkmcnt(0)
	; wave barrier
	ds_read_b128 v[35:38], v34 offset:208
	ds_read_b128 v[39:42], v34 offset:224
	;; [unrolled: 1-line block ×3, first 2 shown]
	buffer_load_dword v34, off, s[0:3], 0 offset:72
	buffer_load_dword v47, off, s[0:3], 0 offset:76
	;; [unrolled: 1-line block ×14, first 2 shown]
	v_cmp_lt_u32_e32 vcc, 8, v0
	s_waitcnt vmcnt(10) lgkmcnt(2)
	v_mul_f32_e32 v60, v35, v49
	v_fmac_f32_e32 v60, v36, v48
	v_mul_f32_e32 v36, v36, v49
	v_fma_f32 v35, v35, v48, -v36
	s_waitcnt vmcnt(8)
	v_mul_f32_e32 v36, v38, v51
	v_mul_f32_e32 v61, v37, v51
	v_add_f32_e32 v35, 0, v35
	v_fma_f32 v36, v37, v50, -v36
	v_add_f32_e32 v60, 0, v60
	v_fmac_f32_e32 v61, v38, v50
	v_add_f32_e32 v35, v35, v36
	s_waitcnt vmcnt(6) lgkmcnt(1)
	v_mul_f32_e32 v36, v40, v53
	v_add_f32_e32 v60, v60, v61
	v_mul_f32_e32 v61, v39, v53
	v_fma_f32 v36, v39, v52, -v36
	v_fmac_f32_e32 v61, v40, v52
	v_add_f32_e32 v35, v35, v36
	s_waitcnt vmcnt(4)
	v_mul_f32_e32 v36, v42, v55
	v_add_f32_e32 v60, v60, v61
	v_mul_f32_e32 v61, v41, v55
	v_fma_f32 v36, v41, v54, -v36
	v_fmac_f32_e32 v61, v42, v54
	v_add_f32_e32 v35, v35, v36
	s_waitcnt vmcnt(2) lgkmcnt(0)
	v_mul_f32_e32 v36, v44, v57
	v_add_f32_e32 v60, v60, v61
	v_mul_f32_e32 v61, v43, v57
	v_fma_f32 v36, v43, v56, -v36
	v_fmac_f32_e32 v61, v44, v56
	v_add_f32_e32 v35, v35, v36
	s_waitcnt vmcnt(0)
	v_mul_f32_e32 v36, v46, v59
	v_add_f32_e32 v60, v60, v61
	v_mul_f32_e32 v61, v45, v59
	v_fma_f32 v36, v45, v58, -v36
	v_fmac_f32_e32 v61, v46, v58
	v_add_f32_e32 v35, v35, v36
	v_add_f32_e32 v60, v60, v61
	v_sub_f32_e32 v34, v34, v35
	v_sub_f32_e32 v35, v47, v60
	buffer_store_dword v34, off, s[0:3], 0 offset:72
	buffer_store_dword v35, off, s[0:3], 0 offset:76
	s_and_saveexec_b64 s[4:5], vcc
	s_cbranch_execz .LBB15_93
; %bb.92:
	buffer_load_dword v34, off, s[0:3], 0 offset:64
	buffer_load_dword v35, off, s[0:3], 0 offset:68
	v_mov_b32_e32 v36, 0
	buffer_store_dword v36, off, s[0:3], 0 offset:64
	buffer_store_dword v36, off, s[0:3], 0 offset:68
	s_waitcnt vmcnt(2)
	ds_write_b64 v33, v[34:35]
.LBB15_93:
	s_or_b64 exec, exec, s[4:5]
	s_waitcnt lgkmcnt(0)
	; wave barrier
	buffer_load_dword v49, off, s[0:3], 0 offset:76
	buffer_load_dword v50, off, s[0:3], 0 offset:84
	;; [unrolled: 1-line block ×16, first 2 shown]
	v_mov_b32_e32 v34, 0
	ds_read2_b64 v[35:38], v34 offset0:25 offset1:26
	ds_read2_b64 v[39:42], v34 offset0:27 offset1:28
	;; [unrolled: 1-line block ×3, first 2 shown]
	ds_read_b64 v[47:48], v34 offset:248
	v_cmp_lt_u32_e32 vcc, 7, v0
	s_waitcnt vmcnt(15) lgkmcnt(3)
	v_mul_f32_e32 v65, v35, v49
	v_mul_f32_e32 v49, v36, v49
	s_waitcnt vmcnt(14)
	v_mul_f32_e32 v66, v37, v50
	v_mul_f32_e32 v50, v38, v50
	s_waitcnt vmcnt(13) lgkmcnt(2)
	v_mul_f32_e32 v67, v39, v51
	s_waitcnt vmcnt(12)
	v_mul_f32_e32 v68, v41, v52
	v_mul_f32_e32 v51, v40, v51
	s_waitcnt vmcnt(8)
	v_fma_f32 v35, v35, v56, -v49
	v_fmac_f32_e32 v65, v36, v56
	s_waitcnt vmcnt(7)
	v_fma_f32 v36, v37, v57, -v50
	v_add_f32_e32 v35, 0, v35
	v_mul_f32_e32 v52, v42, v52
	v_fmac_f32_e32 v66, v38, v57
	s_waitcnt vmcnt(5)
	v_fmac_f32_e32 v68, v42, v59
	v_fma_f32 v37, v39, v58, -v51
	v_add_f32_e32 v42, 0, v65
	v_add_f32_e32 v35, v35, v36
	s_waitcnt lgkmcnt(1)
	v_mul_f32_e32 v69, v43, v53
	v_mul_f32_e32 v53, v44, v53
	v_fmac_f32_e32 v67, v40, v58
	v_fma_f32 v38, v41, v59, -v52
	v_add_f32_e32 v42, v42, v66
	v_add_f32_e32 v35, v35, v37
	v_mul_f32_e32 v70, v45, v54
	v_mul_f32_e32 v54, v46, v54
	s_waitcnt vmcnt(4)
	v_fma_f32 v39, v43, v60, -v53
	v_add_f32_e32 v36, v42, v67
	v_add_f32_e32 v35, v35, v38
	s_waitcnt lgkmcnt(0)
	v_mul_f32_e32 v71, v47, v55
	v_mul_f32_e32 v55, v48, v55
	v_fmac_f32_e32 v69, v44, v60
	s_waitcnt vmcnt(3)
	v_fma_f32 v40, v45, v61, -v54
	v_add_f32_e32 v36, v36, v68
	v_add_f32_e32 v35, v35, v39
	v_fmac_f32_e32 v70, v46, v61
	s_waitcnt vmcnt(2)
	v_fma_f32 v41, v47, v62, -v55
	v_add_f32_e32 v36, v36, v69
	v_add_f32_e32 v35, v35, v40
	v_fmac_f32_e32 v71, v48, v62
	v_add_f32_e32 v36, v36, v70
	v_add_f32_e32 v35, v35, v41
	;; [unrolled: 1-line block ×3, first 2 shown]
	s_waitcnt vmcnt(1)
	v_sub_f32_e32 v35, v63, v35
	s_waitcnt vmcnt(0)
	v_sub_f32_e32 v36, v64, v36
	buffer_store_dword v35, off, s[0:3], 0 offset:64
	buffer_store_dword v36, off, s[0:3], 0 offset:68
	s_and_saveexec_b64 s[4:5], vcc
	s_cbranch_execz .LBB15_95
; %bb.94:
	buffer_load_dword v35, off, s[0:3], 0 offset:56
	buffer_load_dword v36, off, s[0:3], 0 offset:60
	s_waitcnt vmcnt(0)
	ds_write_b64 v33, v[35:36]
	buffer_store_dword v34, off, s[0:3], 0 offset:56
	buffer_store_dword v34, off, s[0:3], 0 offset:60
.LBB15_95:
	s_or_b64 exec, exec, s[4:5]
	s_waitcnt lgkmcnt(0)
	; wave barrier
	buffer_load_dword v51, off, s[0:3], 0 offset:68
	buffer_load_dword v52, off, s[0:3], 0 offset:76
	;; [unrolled: 1-line block ×18, first 2 shown]
	ds_read_b128 v[35:38], v34 offset:192
	ds_read_b128 v[39:42], v34 offset:208
	;; [unrolled: 1-line block ×4, first 2 shown]
	v_cmp_lt_u32_e32 vcc, 6, v0
	s_waitcnt vmcnt(17) lgkmcnt(3)
	v_mul_f32_e32 v34, v35, v51
	v_mul_f32_e32 v51, v36, v51
	s_waitcnt vmcnt(16)
	v_mul_f32_e32 v69, v37, v52
	v_mul_f32_e32 v52, v38, v52
	s_waitcnt vmcnt(15) lgkmcnt(2)
	v_mul_f32_e32 v70, v39, v53
	v_mul_f32_e32 v53, v40, v53
	s_waitcnt vmcnt(14)
	v_mul_f32_e32 v71, v41, v54
	v_mul_f32_e32 v54, v42, v54
	s_waitcnt vmcnt(9)
	v_fma_f32 v35, v35, v59, -v51
	v_fmac_f32_e32 v34, v36, v59
	s_waitcnt vmcnt(8)
	v_fma_f32 v36, v37, v60, -v52
	v_add_f32_e32 v35, 0, v35
	v_fmac_f32_e32 v69, v38, v60
	s_waitcnt vmcnt(7)
	v_fma_f32 v37, v39, v61, -v53
	v_add_f32_e32 v34, 0, v34
	v_add_f32_e32 v35, v35, v36
	s_waitcnt lgkmcnt(1)
	v_mul_f32_e32 v72, v43, v55
	v_mul_f32_e32 v55, v44, v55
	v_fmac_f32_e32 v70, v40, v61
	s_waitcnt vmcnt(6)
	v_fma_f32 v38, v41, v62, -v54
	v_add_f32_e32 v34, v34, v69
	v_add_f32_e32 v35, v35, v37
	v_mul_f32_e32 v73, v45, v56
	v_mul_f32_e32 v56, v46, v56
	v_fmac_f32_e32 v71, v42, v62
	s_waitcnt vmcnt(5)
	v_fma_f32 v39, v43, v63, -v55
	v_add_f32_e32 v34, v34, v70
	v_add_f32_e32 v35, v35, v38
	s_waitcnt lgkmcnt(0)
	v_mul_f32_e32 v74, v47, v57
	v_mul_f32_e32 v57, v48, v57
	v_fmac_f32_e32 v72, v44, v63
	s_waitcnt vmcnt(4)
	v_fma_f32 v40, v45, v64, -v56
	v_add_f32_e32 v34, v34, v71
	v_add_f32_e32 v35, v35, v39
	v_mul_f32_e32 v75, v49, v58
	v_mul_f32_e32 v58, v50, v58
	v_fmac_f32_e32 v73, v46, v64
	s_waitcnt vmcnt(3)
	v_fma_f32 v41, v47, v65, -v57
	v_add_f32_e32 v34, v34, v72
	v_add_f32_e32 v35, v35, v40
	v_fmac_f32_e32 v74, v48, v65
	s_waitcnt vmcnt(2)
	v_fma_f32 v42, v49, v66, -v58
	v_add_f32_e32 v34, v34, v73
	v_add_f32_e32 v35, v35, v41
	v_fmac_f32_e32 v75, v50, v66
	v_add_f32_e32 v34, v34, v74
	v_add_f32_e32 v35, v35, v42
	;; [unrolled: 1-line block ×3, first 2 shown]
	s_waitcnt vmcnt(1)
	v_sub_f32_e32 v35, v67, v35
	s_waitcnt vmcnt(0)
	v_sub_f32_e32 v34, v68, v34
	buffer_store_dword v35, off, s[0:3], 0 offset:56
	buffer_store_dword v34, off, s[0:3], 0 offset:60
	s_and_saveexec_b64 s[4:5], vcc
	s_cbranch_execz .LBB15_97
; %bb.96:
	buffer_load_dword v34, off, s[0:3], 0 offset:48
	buffer_load_dword v35, off, s[0:3], 0 offset:52
	v_mov_b32_e32 v36, 0
	buffer_store_dword v36, off, s[0:3], 0 offset:48
	buffer_store_dword v36, off, s[0:3], 0 offset:52
	s_waitcnt vmcnt(2)
	ds_write_b64 v33, v[34:35]
.LBB15_97:
	s_or_b64 exec, exec, s[4:5]
	s_waitcnt lgkmcnt(0)
	; wave barrier
	buffer_load_dword v53, off, s[0:3], 0 offset:60
	buffer_load_dword v54, off, s[0:3], 0 offset:68
	;; [unrolled: 1-line block ×20, first 2 shown]
	v_mov_b32_e32 v34, 0
	ds_read2_b64 v[35:38], v34 offset0:23 offset1:24
	ds_read2_b64 v[39:42], v34 offset0:25 offset1:26
	;; [unrolled: 1-line block ×4, first 2 shown]
	ds_read_b64 v[51:52], v34 offset:248
	v_cmp_lt_u32_e32 vcc, 5, v0
	s_waitcnt vmcnt(19) lgkmcnt(4)
	v_mul_f32_e32 v73, v35, v53
	v_mul_f32_e32 v53, v36, v53
	s_waitcnt vmcnt(18)
	v_mul_f32_e32 v74, v37, v54
	v_mul_f32_e32 v54, v38, v54
	s_waitcnt vmcnt(17) lgkmcnt(3)
	v_mul_f32_e32 v75, v39, v55
	s_waitcnt vmcnt(15) lgkmcnt(2)
	v_mul_f32_e32 v77, v43, v57
	v_mul_f32_e32 v55, v40, v55
	;; [unrolled: 1-line block ×4, first 2 shown]
	s_waitcnt vmcnt(10)
	v_fma_f32 v35, v35, v62, -v53
	v_fmac_f32_e32 v73, v36, v62
	s_waitcnt vmcnt(9)
	v_fma_f32 v36, v37, v63, -v54
	v_add_f32_e32 v35, 0, v35
	v_mul_f32_e32 v57, v44, v57
	v_fmac_f32_e32 v74, v38, v63
	s_waitcnt vmcnt(6)
	v_fmac_f32_e32 v77, v44, v66
	v_fma_f32 v37, v39, v64, -v55
	v_add_f32_e32 v44, 0, v73
	v_add_f32_e32 v35, v35, v36
	v_fmac_f32_e32 v75, v40, v64
	v_fma_f32 v38, v41, v65, -v56
	v_add_f32_e32 v44, v44, v74
	v_add_f32_e32 v35, v35, v37
	v_mul_f32_e32 v78, v45, v58
	v_mul_f32_e32 v58, v46, v58
	v_fmac_f32_e32 v76, v42, v65
	v_fma_f32 v39, v43, v66, -v57
	v_add_f32_e32 v36, v44, v75
	v_add_f32_e32 v35, v35, v38
	s_waitcnt lgkmcnt(1)
	v_mul_f32_e32 v79, v47, v59
	v_mul_f32_e32 v59, v48, v59
	s_waitcnt vmcnt(5)
	v_fma_f32 v40, v45, v67, -v58
	v_add_f32_e32 v36, v36, v76
	v_add_f32_e32 v35, v35, v39
	v_mul_f32_e32 v80, v49, v60
	v_mul_f32_e32 v60, v50, v60
	v_fmac_f32_e32 v78, v46, v67
	s_waitcnt vmcnt(4)
	v_fma_f32 v41, v47, v68, -v59
	v_add_f32_e32 v36, v36, v77
	v_add_f32_e32 v35, v35, v40
	s_waitcnt lgkmcnt(0)
	v_mul_f32_e32 v81, v51, v61
	v_mul_f32_e32 v61, v52, v61
	v_fmac_f32_e32 v79, v48, v68
	s_waitcnt vmcnt(3)
	v_fma_f32 v42, v49, v69, -v60
	v_add_f32_e32 v36, v36, v78
	v_add_f32_e32 v35, v35, v41
	v_fmac_f32_e32 v80, v50, v69
	s_waitcnt vmcnt(2)
	v_fma_f32 v43, v51, v70, -v61
	v_add_f32_e32 v36, v36, v79
	v_add_f32_e32 v35, v35, v42
	v_fmac_f32_e32 v81, v52, v70
	v_add_f32_e32 v36, v36, v80
	v_add_f32_e32 v35, v35, v43
	;; [unrolled: 1-line block ×3, first 2 shown]
	s_waitcnt vmcnt(1)
	v_sub_f32_e32 v35, v71, v35
	s_waitcnt vmcnt(0)
	v_sub_f32_e32 v36, v72, v36
	buffer_store_dword v35, off, s[0:3], 0 offset:48
	buffer_store_dword v36, off, s[0:3], 0 offset:52
	s_and_saveexec_b64 s[4:5], vcc
	s_cbranch_execz .LBB15_99
; %bb.98:
	buffer_load_dword v35, off, s[0:3], 0 offset:40
	buffer_load_dword v36, off, s[0:3], 0 offset:44
	s_waitcnt vmcnt(0)
	ds_write_b64 v33, v[35:36]
	buffer_store_dword v34, off, s[0:3], 0 offset:40
	buffer_store_dword v34, off, s[0:3], 0 offset:44
.LBB15_99:
	s_or_b64 exec, exec, s[4:5]
	s_waitcnt lgkmcnt(0)
	; wave barrier
	ds_read_b128 v[35:38], v34 offset:176
	ds_read_b128 v[39:42], v34 offset:192
	;; [unrolled: 1-line block ×4, first 2 shown]
	buffer_load_dword v55, off, s[0:3], 0 offset:40
	buffer_load_dword v56, off, s[0:3], 0 offset:44
	;; [unrolled: 1-line block ×18, first 2 shown]
	v_cmp_lt_u32_e32 vcc, 4, v0
	s_waitcnt vmcnt(14) lgkmcnt(3)
	v_mul_f32_e32 v51, v35, v58
	v_fmac_f32_e32 v51, v36, v57
	s_waitcnt vmcnt(12)
	v_mul_f32_e32 v52, v37, v60
	v_add_f32_e32 v51, 0, v51
	v_fmac_f32_e32 v52, v38, v59
	v_add_f32_e32 v51, v51, v52
	s_waitcnt vmcnt(10) lgkmcnt(2)
	v_mul_f32_e32 v52, v39, v62
	v_fmac_f32_e32 v52, v40, v61
	v_add_f32_e32 v51, v51, v52
	s_waitcnt vmcnt(8)
	v_mul_f32_e32 v52, v41, v64
	v_fmac_f32_e32 v52, v42, v63
	v_add_f32_e32 v51, v51, v52
	s_waitcnt vmcnt(6) lgkmcnt(1)
	v_mul_f32_e32 v52, v43, v66
	v_fmac_f32_e32 v52, v44, v65
	v_add_f32_e32 v51, v51, v52
	s_waitcnt vmcnt(4)
	v_mul_f32_e32 v52, v45, v68
	;; [unrolled: 8-line block ×3, first 2 shown]
	v_fmac_f32_e32 v52, v50, v71
	v_add_f32_e32 v73, v51, v52
	ds_read_b128 v[51:54], v34 offset:240
	buffer_load_dword v34, off, s[0:3], 0 offset:112
	buffer_load_dword v74, off, s[0:3], 0 offset:116
	v_mul_f32_e32 v36, v36, v58
	v_fma_f32 v35, v35, v57, -v36
	v_mul_f32_e32 v36, v38, v60
	v_add_f32_e32 v35, 0, v35
	v_fma_f32 v36, v37, v59, -v36
	v_add_f32_e32 v35, v35, v36
	v_mul_f32_e32 v36, v40, v62
	v_fma_f32 v36, v39, v61, -v36
	v_add_f32_e32 v35, v35, v36
	v_mul_f32_e32 v36, v42, v64
	;; [unrolled: 3-line block ×6, first 2 shown]
	v_fma_f32 v36, v49, v71, -v36
	v_add_f32_e32 v35, v35, v36
	s_waitcnt vmcnt(0) lgkmcnt(0)
	v_mul_f32_e32 v75, v51, v74
	v_fmac_f32_e32 v75, v52, v34
	v_add_f32_e32 v73, v73, v75
	buffer_load_dword v75, off, s[0:3], 0 offset:120
	buffer_load_dword v76, off, s[0:3], 0 offset:124
	v_mul_f32_e32 v36, v52, v74
	v_fma_f32 v34, v51, v34, -v36
	v_add_f32_e32 v34, v35, v34
	s_waitcnt vmcnt(0)
	v_mul_f32_e32 v35, v54, v76
	v_mul_f32_e32 v77, v53, v76
	v_fma_f32 v35, v53, v75, -v35
	v_fmac_f32_e32 v77, v54, v75
	v_add_f32_e32 v34, v34, v35
	v_add_f32_e32 v73, v73, v77
	v_sub_f32_e32 v34, v55, v34
	v_sub_f32_e32 v35, v56, v73
	buffer_store_dword v34, off, s[0:3], 0 offset:40
	buffer_store_dword v35, off, s[0:3], 0 offset:44
	s_and_saveexec_b64 s[4:5], vcc
	s_cbranch_execz .LBB15_101
; %bb.100:
	buffer_load_dword v34, off, s[0:3], 0 offset:32
	buffer_load_dword v35, off, s[0:3], 0 offset:36
	v_mov_b32_e32 v36, 0
	buffer_store_dword v36, off, s[0:3], 0 offset:32
	buffer_store_dword v36, off, s[0:3], 0 offset:36
	s_waitcnt vmcnt(2)
	ds_write_b64 v33, v[34:35]
.LBB15_101:
	s_or_b64 exec, exec, s[4:5]
	v_mov_b32_e32 v34, 0
	s_waitcnt lgkmcnt(0)
	; wave barrier
	ds_read2_b64 v[35:38], v34 offset0:21 offset1:22
	buffer_load_dword v57, off, s[0:3], 0 offset:32
	buffer_load_dword v58, off, s[0:3], 0 offset:36
	;; [unrolled: 1-line block ×16, first 2 shown]
	v_cmp_lt_u32_e32 vcc, 3, v0
	s_waitcnt vmcnt(12) lgkmcnt(0)
	v_mul_f32_e32 v39, v35, v60
	v_fmac_f32_e32 v39, v36, v59
	s_waitcnt vmcnt(10)
	v_mul_f32_e32 v40, v37, v62
	v_add_f32_e32 v39, 0, v39
	v_fmac_f32_e32 v40, v38, v61
	v_add_f32_e32 v43, v39, v40
	ds_read2_b64 v[39:42], v34 offset0:23 offset1:24
	v_mul_f32_e32 v36, v36, v60
	v_fma_f32 v35, v35, v59, -v36
	v_mul_f32_e32 v36, v38, v62
	v_add_f32_e32 v35, 0, v35
	s_waitcnt vmcnt(8) lgkmcnt(0)
	v_mul_f32_e32 v44, v39, v64
	v_fmac_f32_e32 v44, v40, v63
	v_add_f32_e32 v43, v43, v44
	s_waitcnt vmcnt(6)
	v_mul_f32_e32 v44, v41, v66
	v_fmac_f32_e32 v44, v42, v65
	v_add_f32_e32 v47, v43, v44
	ds_read2_b64 v[43:46], v34 offset0:25 offset1:26
	v_fma_f32 v36, v37, v61, -v36
	v_add_f32_e32 v35, v35, v36
	v_mul_f32_e32 v36, v40, v64
	v_fma_f32 v36, v39, v63, -v36
	s_waitcnt vmcnt(4) lgkmcnt(0)
	v_mul_f32_e32 v48, v43, v68
	v_fmac_f32_e32 v48, v44, v67
	v_add_f32_e32 v47, v47, v48
	s_waitcnt vmcnt(2)
	v_mul_f32_e32 v48, v45, v70
	v_fmac_f32_e32 v48, v46, v69
	v_add_f32_e32 v51, v47, v48
	ds_read2_b64 v[47:50], v34 offset0:27 offset1:28
	buffer_load_dword v73, off, s[0:3], 0 offset:96
	buffer_load_dword v74, off, s[0:3], 0 offset:100
	v_add_f32_e32 v35, v35, v36
	v_mul_f32_e32 v36, v42, v66
	v_fma_f32 v36, v41, v65, -v36
	s_waitcnt vmcnt(2) lgkmcnt(0)
	v_mul_f32_e32 v52, v47, v72
	v_fmac_f32_e32 v52, v48, v71
	v_add_f32_e32 v51, v51, v52
	v_add_f32_e32 v35, v35, v36
	v_mul_f32_e32 v36, v44, v68
	v_fma_f32 v36, v43, v67, -v36
	v_add_f32_e32 v35, v35, v36
	v_mul_f32_e32 v36, v46, v70
	v_fma_f32 v36, v45, v69, -v36
	;; [unrolled: 3-line block ×3, first 2 shown]
	v_add_f32_e32 v35, v35, v36
	s_waitcnt vmcnt(0)
	v_mul_f32_e32 v52, v49, v74
	v_fmac_f32_e32 v52, v50, v73
	v_add_f32_e32 v55, v51, v52
	ds_read2_b64 v[51:54], v34 offset0:29 offset1:30
	buffer_load_dword v75, off, s[0:3], 0 offset:104
	buffer_load_dword v76, off, s[0:3], 0 offset:108
	;; [unrolled: 1-line block ×4, first 2 shown]
	v_mul_f32_e32 v36, v50, v74
	v_fma_f32 v36, v49, v73, -v36
	v_add_f32_e32 v35, v35, v36
	s_waitcnt vmcnt(2) lgkmcnt(0)
	v_mul_f32_e32 v56, v51, v76
	v_fmac_f32_e32 v56, v52, v75
	v_add_f32_e32 v55, v55, v56
	s_waitcnt vmcnt(0)
	v_mul_f32_e32 v56, v53, v78
	v_fmac_f32_e32 v56, v54, v77
	v_add_f32_e32 v79, v55, v56
	ds_read_b64 v[55:56], v34 offset:248
	buffer_load_dword v80, off, s[0:3], 0 offset:120
	buffer_load_dword v81, off, s[0:3], 0 offset:124
	v_mul_f32_e32 v36, v52, v76
	v_fma_f32 v36, v51, v75, -v36
	v_add_f32_e32 v35, v35, v36
	v_mul_f32_e32 v36, v54, v78
	v_fma_f32 v36, v53, v77, -v36
	v_add_f32_e32 v35, v35, v36
	s_waitcnt vmcnt(0) lgkmcnt(0)
	v_mul_f32_e32 v36, v56, v81
	v_mul_f32_e32 v82, v55, v81
	v_fma_f32 v36, v55, v80, -v36
	v_fmac_f32_e32 v82, v56, v80
	v_add_f32_e32 v35, v35, v36
	v_add_f32_e32 v79, v79, v82
	v_sub_f32_e32 v35, v57, v35
	v_sub_f32_e32 v36, v58, v79
	buffer_store_dword v35, off, s[0:3], 0 offset:32
	buffer_store_dword v36, off, s[0:3], 0 offset:36
	s_and_saveexec_b64 s[4:5], vcc
	s_cbranch_execz .LBB15_103
; %bb.102:
	buffer_load_dword v35, off, s[0:3], 0 offset:24
	buffer_load_dword v36, off, s[0:3], 0 offset:28
	s_waitcnt vmcnt(0)
	ds_write_b64 v33, v[35:36]
	buffer_store_dword v34, off, s[0:3], 0 offset:24
	buffer_store_dword v34, off, s[0:3], 0 offset:28
.LBB15_103:
	s_or_b64 exec, exec, s[4:5]
	s_waitcnt lgkmcnt(0)
	; wave barrier
	buffer_load_dword v59, off, s[0:3], 0 offset:36
	buffer_load_dword v60, off, s[0:3], 0 offset:44
	;; [unrolled: 1-line block ×26, first 2 shown]
	ds_read_b128 v[35:38], v34 offset:160
	ds_read_b128 v[39:42], v34 offset:176
	;; [unrolled: 1-line block ×6, first 2 shown]
	v_cmp_lt_u32_e32 vcc, 2, v0
	s_waitcnt vmcnt(25) lgkmcnt(5)
	v_mul_f32_e32 v34, v35, v59
	v_mul_f32_e32 v59, v36, v59
	s_waitcnt vmcnt(24)
	v_mul_f32_e32 v85, v37, v60
	v_mul_f32_e32 v60, v38, v60
	s_waitcnt vmcnt(23) lgkmcnt(4)
	v_mul_f32_e32 v86, v39, v61
	v_mul_f32_e32 v61, v40, v61
	s_waitcnt vmcnt(22)
	v_mul_f32_e32 v87, v41, v62
	v_mul_f32_e32 v62, v42, v62
	;; [unrolled: 6-line block ×3, first 2 shown]
	s_waitcnt vmcnt(13)
	v_fma_f32 v35, v35, v71, -v59
	v_fmac_f32_e32 v34, v36, v71
	s_waitcnt vmcnt(12)
	v_fma_f32 v36, v37, v72, -v60
	v_add_f32_e32 v35, 0, v35
	s_waitcnt vmcnt(11)
	v_fma_f32 v37, v39, v73, -v61
	v_add_f32_e32 v35, v35, v36
	v_fmac_f32_e32 v85, v38, v72
	s_waitcnt vmcnt(10)
	v_fma_f32 v38, v41, v74, -v62
	v_add_f32_e32 v35, v35, v37
	s_waitcnt vmcnt(9)
	v_fma_f32 v39, v43, v75, -v63
	v_add_f32_e32 v35, v35, v38
	s_waitcnt lgkmcnt(2)
	v_mul_f32_e32 v90, v47, v65
	v_mul_f32_e32 v65, v48, v65
	v_fmac_f32_e32 v86, v40, v73
	s_waitcnt vmcnt(8)
	v_fma_f32 v40, v45, v76, -v64
	v_add_f32_e32 v34, 0, v34
	v_add_f32_e32 v35, v35, v39
	v_mul_f32_e32 v91, v49, v66
	v_mul_f32_e32 v66, v50, v66
	s_waitcnt vmcnt(7)
	v_fma_f32 v41, v47, v77, -v65
	v_add_f32_e32 v34, v34, v85
	v_add_f32_e32 v35, v35, v40
	v_fmac_f32_e32 v87, v42, v74
	s_waitcnt vmcnt(6)
	v_fma_f32 v42, v49, v78, -v66
	v_add_f32_e32 v34, v34, v86
	v_add_f32_e32 v35, v35, v41
	s_waitcnt lgkmcnt(1)
	v_mul_f32_e32 v36, v52, v67
	v_fmac_f32_e32 v88, v44, v75
	v_add_f32_e32 v34, v34, v87
	v_add_f32_e32 v35, v35, v42
	s_waitcnt vmcnt(5)
	v_fma_f32 v36, v51, v79, -v36
	v_fmac_f32_e32 v89, v46, v76
	v_add_f32_e32 v34, v34, v88
	v_add_f32_e32 v35, v35, v36
	v_mul_f32_e32 v36, v54, v68
	v_fmac_f32_e32 v90, v48, v77
	v_add_f32_e32 v34, v34, v89
	s_waitcnt vmcnt(4)
	v_fma_f32 v36, v53, v80, -v36
	v_mul_f32_e32 v92, v51, v67
	v_fmac_f32_e32 v91, v50, v78
	v_add_f32_e32 v34, v34, v90
	v_add_f32_e32 v35, v35, v36
	s_waitcnt lgkmcnt(0)
	v_mul_f32_e32 v36, v56, v69
	v_mul_f32_e32 v93, v53, v68
	v_fmac_f32_e32 v92, v52, v79
	v_add_f32_e32 v34, v34, v91
	s_waitcnt vmcnt(3)
	v_fma_f32 v36, v55, v81, -v36
	v_mul_f32_e32 v94, v55, v69
	v_fmac_f32_e32 v93, v54, v80
	v_add_f32_e32 v34, v34, v92
	v_add_f32_e32 v35, v35, v36
	v_mul_f32_e32 v36, v58, v70
	v_mul_f32_e32 v95, v57, v70
	v_fmac_f32_e32 v94, v56, v81
	v_add_f32_e32 v34, v34, v93
	s_waitcnt vmcnt(2)
	v_fma_f32 v36, v57, v82, -v36
	v_fmac_f32_e32 v95, v58, v82
	v_add_f32_e32 v34, v34, v94
	v_add_f32_e32 v35, v35, v36
	;; [unrolled: 1-line block ×3, first 2 shown]
	s_waitcnt vmcnt(1)
	v_sub_f32_e32 v35, v83, v35
	s_waitcnt vmcnt(0)
	v_sub_f32_e32 v34, v84, v34
	buffer_store_dword v35, off, s[0:3], 0 offset:24
	buffer_store_dword v34, off, s[0:3], 0 offset:28
	s_and_saveexec_b64 s[4:5], vcc
	s_cbranch_execz .LBB15_105
; %bb.104:
	buffer_load_dword v34, off, s[0:3], 0 offset:16
	buffer_load_dword v35, off, s[0:3], 0 offset:20
	v_mov_b32_e32 v36, 0
	buffer_store_dword v36, off, s[0:3], 0 offset:16
	buffer_store_dword v36, off, s[0:3], 0 offset:20
	s_waitcnt vmcnt(2)
	ds_write_b64 v33, v[34:35]
.LBB15_105:
	s_or_b64 exec, exec, s[4:5]
	s_waitcnt lgkmcnt(0)
	; wave barrier
	buffer_load_dword v61, off, s[0:3], 0 offset:28
	buffer_load_dword v62, off, s[0:3], 0 offset:36
	;; [unrolled: 1-line block ×28, first 2 shown]
	v_mov_b32_e32 v34, 0
	ds_read2_b64 v[35:38], v34 offset0:19 offset1:20
	ds_read2_b64 v[39:42], v34 offset0:21 offset1:22
	;; [unrolled: 1-line block ×6, first 2 shown]
	ds_read_b64 v[59:60], v34 offset:248
	v_cmp_lt_u32_e32 vcc, 1, v0
	s_waitcnt vmcnt(27) lgkmcnt(6)
	v_mul_f32_e32 v89, v35, v61
	v_mul_f32_e32 v61, v36, v61
	s_waitcnt vmcnt(26)
	v_mul_f32_e32 v90, v37, v62
	v_mul_f32_e32 v62, v38, v62
	s_waitcnt vmcnt(25) lgkmcnt(5)
	v_mul_f32_e32 v91, v39, v63
	v_mul_f32_e32 v63, v40, v63
	s_waitcnt vmcnt(24)
	v_mul_f32_e32 v92, v41, v64
	v_mul_f32_e32 v64, v42, v64
	;; [unrolled: 6-line block ×3, first 2 shown]
	s_waitcnt vmcnt(21) lgkmcnt(3)
	v_mul_f32_e32 v95, v47, v67
	s_waitcnt vmcnt(14)
	v_fma_f32 v35, v35, v74, -v61
	v_fmac_f32_e32 v89, v36, v74
	s_waitcnt vmcnt(13)
	v_fma_f32 v36, v37, v75, -v62
	v_add_f32_e32 v35, 0, v35
	s_waitcnt vmcnt(12)
	v_fma_f32 v37, v39, v76, -v63
	v_add_f32_e32 v35, v35, v36
	v_fmac_f32_e32 v90, v38, v75
	s_waitcnt vmcnt(11)
	v_fma_f32 v38, v41, v77, -v64
	v_add_f32_e32 v35, v35, v37
	s_waitcnt vmcnt(10)
	v_fma_f32 v39, v43, v78, -v65
	v_add_f32_e32 v35, v35, v38
	v_fmac_f32_e32 v91, v40, v76
	s_waitcnt vmcnt(9)
	v_fma_f32 v40, v45, v79, -v66
	v_add_f32_e32 v35, v35, v39
	v_mul_f32_e32 v37, v48, v67
	v_add_f32_e32 v35, v35, v40
	s_waitcnt vmcnt(8)
	v_fma_f32 v37, v47, v80, -v37
	v_add_f32_e32 v35, v35, v37
	v_mul_f32_e32 v37, v50, v68
	v_add_f32_e32 v41, 0, v89
	s_waitcnt vmcnt(7)
	v_fma_f32 v37, v49, v81, -v37
	v_add_f32_e32 v41, v41, v90
	v_add_f32_e32 v35, v35, v37
	s_waitcnt lgkmcnt(2)
	v_mul_f32_e32 v37, v52, v69
	v_fmac_f32_e32 v92, v42, v77
	v_add_f32_e32 v36, v41, v91
	s_waitcnt vmcnt(6)
	v_fma_f32 v37, v51, v82, -v37
	v_fmac_f32_e32 v93, v44, v78
	v_add_f32_e32 v36, v36, v92
	v_add_f32_e32 v35, v35, v37
	v_mul_f32_e32 v37, v54, v70
	v_fmac_f32_e32 v94, v46, v79
	v_add_f32_e32 v36, v36, v93
	s_waitcnt vmcnt(5)
	v_fma_f32 v37, v53, v83, -v37
	v_mul_f32_e32 v96, v49, v68
	v_fmac_f32_e32 v95, v48, v80
	v_add_f32_e32 v36, v36, v94
	v_add_f32_e32 v35, v35, v37
	s_waitcnt lgkmcnt(1)
	v_mul_f32_e32 v37, v56, v71
	v_mul_f32_e32 v97, v51, v69
	v_fmac_f32_e32 v96, v50, v81
	v_add_f32_e32 v36, v36, v95
	s_waitcnt vmcnt(4)
	v_fma_f32 v37, v55, v84, -v37
	v_mul_f32_e32 v98, v53, v70
	v_fmac_f32_e32 v97, v52, v82
	v_add_f32_e32 v36, v36, v96
	v_add_f32_e32 v35, v35, v37
	v_mul_f32_e32 v37, v58, v72
	v_mul_f32_e32 v99, v55, v71
	v_fmac_f32_e32 v98, v54, v83
	v_add_f32_e32 v36, v36, v97
	s_waitcnt vmcnt(3)
	v_fma_f32 v37, v57, v85, -v37
	v_mul_f32_e32 v100, v57, v72
	v_fmac_f32_e32 v99, v56, v84
	v_add_f32_e32 v36, v36, v98
	v_add_f32_e32 v35, v35, v37
	s_waitcnt lgkmcnt(0)
	v_mul_f32_e32 v37, v60, v73
	v_mul_f32_e32 v101, v59, v73
	v_fmac_f32_e32 v100, v58, v85
	v_add_f32_e32 v36, v36, v99
	s_waitcnt vmcnt(2)
	v_fma_f32 v37, v59, v86, -v37
	v_fmac_f32_e32 v101, v60, v86
	v_add_f32_e32 v36, v36, v100
	v_add_f32_e32 v35, v35, v37
	;; [unrolled: 1-line block ×3, first 2 shown]
	s_waitcnt vmcnt(1)
	v_sub_f32_e32 v35, v87, v35
	s_waitcnt vmcnt(0)
	v_sub_f32_e32 v36, v88, v36
	buffer_store_dword v35, off, s[0:3], 0 offset:16
	buffer_store_dword v36, off, s[0:3], 0 offset:20
	s_and_saveexec_b64 s[4:5], vcc
	s_cbranch_execz .LBB15_107
; %bb.106:
	buffer_load_dword v35, off, s[0:3], 0 offset:8
	buffer_load_dword v36, off, s[0:3], 0 offset:12
	s_waitcnt vmcnt(0)
	ds_write_b64 v33, v[35:36]
	buffer_store_dword v34, off, s[0:3], 0 offset:8
	buffer_store_dword v34, off, s[0:3], 0 offset:12
.LBB15_107:
	s_or_b64 exec, exec, s[4:5]
	s_waitcnt lgkmcnt(0)
	; wave barrier
	buffer_load_dword v63, off, s[0:3], 0 offset:20
	buffer_load_dword v64, off, s[0:3], 0 offset:28
	;; [unrolled: 1-line block ×30, first 2 shown]
	ds_read_b128 v[35:38], v34 offset:144
	ds_read_b128 v[39:42], v34 offset:160
	;; [unrolled: 1-line block ×7, first 2 shown]
	v_cmp_ne_u32_e32 vcc, 0, v0
	s_waitcnt vmcnt(29) lgkmcnt(6)
	v_mul_f32_e32 v34, v35, v63
	v_mul_f32_e32 v63, v36, v63
	s_waitcnt vmcnt(28)
	v_mul_f32_e32 v93, v37, v64
	v_mul_f32_e32 v64, v38, v64
	s_waitcnt vmcnt(27) lgkmcnt(5)
	v_mul_f32_e32 v94, v39, v65
	v_mul_f32_e32 v65, v40, v65
	s_waitcnt vmcnt(26)
	v_mul_f32_e32 v95, v41, v66
	v_mul_f32_e32 v66, v42, v66
	s_waitcnt vmcnt(25) lgkmcnt(4)
	v_mul_f32_e32 v96, v43, v67
	v_mul_f32_e32 v67, v44, v67
	s_waitcnt vmcnt(24)
	v_mul_f32_e32 v97, v45, v68
	s_waitcnt vmcnt(23) lgkmcnt(3)
	v_mul_f32_e32 v98, v47, v69
	s_waitcnt vmcnt(22)
	v_mul_f32_e32 v99, v49, v70
	s_waitcnt vmcnt(21) lgkmcnt(2)
	v_mul_f32_e32 v100, v51, v71
	s_waitcnt vmcnt(15)
	v_fma_f32 v35, v35, v77, -v63
	v_fmac_f32_e32 v34, v36, v77
	s_waitcnt vmcnt(14)
	v_fma_f32 v36, v37, v78, -v64
	v_add_f32_e32 v35, 0, v35
	s_waitcnt vmcnt(13)
	v_fma_f32 v37, v39, v79, -v65
	v_add_f32_e32 v35, v35, v36
	v_fmac_f32_e32 v93, v38, v78
	s_waitcnt vmcnt(12)
	v_fma_f32 v38, v41, v80, -v66
	v_add_f32_e32 v35, v35, v37
	s_waitcnt vmcnt(11)
	v_fma_f32 v39, v43, v81, -v67
	v_add_f32_e32 v35, v35, v38
	v_mul_f32_e32 v36, v46, v68
	v_add_f32_e32 v35, v35, v39
	s_waitcnt vmcnt(10)
	v_fma_f32 v36, v45, v82, -v36
	v_add_f32_e32 v35, v35, v36
	v_mul_f32_e32 v36, v48, v69
	s_waitcnt vmcnt(9)
	v_fma_f32 v36, v47, v83, -v36
	v_add_f32_e32 v35, v35, v36
	v_mul_f32_e32 v36, v50, v70
	s_waitcnt vmcnt(8)
	v_fma_f32 v36, v49, v84, -v36
	v_add_f32_e32 v34, 0, v34
	v_add_f32_e32 v35, v35, v36
	v_mul_f32_e32 v36, v52, v71
	v_fmac_f32_e32 v94, v40, v79
	v_add_f32_e32 v34, v34, v93
	s_waitcnt vmcnt(7)
	v_fma_f32 v36, v51, v85, -v36
	v_fmac_f32_e32 v95, v42, v80
	v_add_f32_e32 v34, v34, v94
	v_add_f32_e32 v35, v35, v36
	v_mul_f32_e32 v36, v54, v72
	v_fmac_f32_e32 v96, v44, v81
	v_add_f32_e32 v34, v34, v95
	s_waitcnt vmcnt(6)
	v_fma_f32 v36, v53, v86, -v36
	v_fmac_f32_e32 v97, v46, v82
	v_add_f32_e32 v34, v34, v96
	v_add_f32_e32 v35, v35, v36
	s_waitcnt lgkmcnt(1)
	v_mul_f32_e32 v36, v56, v73
	v_fmac_f32_e32 v98, v48, v83
	v_add_f32_e32 v34, v34, v97
	s_waitcnt vmcnt(5)
	v_fma_f32 v36, v55, v87, -v36
	v_fmac_f32_e32 v99, v50, v84
	v_add_f32_e32 v34, v34, v98
	v_add_f32_e32 v35, v35, v36
	v_mul_f32_e32 v36, v58, v74
	v_mul_f32_e32 v101, v53, v72
	v_fmac_f32_e32 v100, v52, v85
	v_add_f32_e32 v34, v34, v99
	s_waitcnt vmcnt(4)
	v_fma_f32 v36, v57, v88, -v36
	v_mul_f32_e32 v102, v55, v73
	v_fmac_f32_e32 v101, v54, v86
	v_add_f32_e32 v34, v34, v100
	v_add_f32_e32 v35, v35, v36
	s_waitcnt lgkmcnt(0)
	v_mul_f32_e32 v36, v60, v75
	v_mul_f32_e32 v103, v57, v74
	v_fmac_f32_e32 v102, v56, v87
	v_add_f32_e32 v34, v34, v101
	s_waitcnt vmcnt(3)
	v_fma_f32 v36, v59, v89, -v36
	v_mul_f32_e32 v104, v59, v75
	v_fmac_f32_e32 v103, v58, v88
	v_add_f32_e32 v34, v34, v102
	v_add_f32_e32 v35, v35, v36
	v_mul_f32_e32 v36, v62, v76
	v_mul_f32_e32 v105, v61, v76
	v_fmac_f32_e32 v104, v60, v89
	v_add_f32_e32 v34, v34, v103
	s_waitcnt vmcnt(2)
	v_fma_f32 v36, v61, v90, -v36
	v_fmac_f32_e32 v105, v62, v90
	v_add_f32_e32 v34, v34, v104
	v_add_f32_e32 v35, v35, v36
	;; [unrolled: 1-line block ×3, first 2 shown]
	s_waitcnt vmcnt(1)
	v_sub_f32_e32 v35, v91, v35
	s_waitcnt vmcnt(0)
	v_sub_f32_e32 v34, v92, v34
	buffer_store_dword v35, off, s[0:3], 0 offset:8
	buffer_store_dword v34, off, s[0:3], 0 offset:12
	s_and_saveexec_b64 s[4:5], vcc
	s_cbranch_execz .LBB15_109
; %bb.108:
	buffer_load_dword v34, off, s[0:3], 0
	buffer_load_dword v35, off, s[0:3], 0 offset:4
	v_mov_b32_e32 v0, 0
	buffer_store_dword v0, off, s[0:3], 0
	buffer_store_dword v0, off, s[0:3], 0 offset:4
	s_waitcnt vmcnt(2)
	ds_write_b64 v33, v[34:35]
.LBB15_109:
	s_or_b64 exec, exec, s[4:5]
	s_waitcnt lgkmcnt(0)
	; wave barrier
	buffer_load_dword v65, off, s[0:3], 0 offset:12
	buffer_load_dword v66, off, s[0:3], 0 offset:20
	;; [unrolled: 1-line block ×30, first 2 shown]
	buffer_load_dword v93, off, s[0:3], 0
	buffer_load_dword v94, off, s[0:3], 0 offset:4
	v_mov_b32_e32 v34, 0
	ds_read2_b64 v[35:38], v34 offset0:17 offset1:18
	ds_read2_b64 v[39:42], v34 offset0:19 offset1:20
	;; [unrolled: 1-line block ×7, first 2 shown]
	ds_read_b64 v[63:64], v34 offset:248
	s_and_b64 vcc, exec, s[22:23]
	s_waitcnt vmcnt(31) lgkmcnt(7)
	v_mul_f32_e32 v95, v35, v65
	v_mul_f32_e32 v65, v36, v65
	s_waitcnt vmcnt(30)
	v_mul_f32_e32 v96, v37, v66
	v_mul_f32_e32 v66, v38, v66
	s_waitcnt vmcnt(29) lgkmcnt(6)
	v_mul_f32_e32 v97, v39, v67
	v_mul_f32_e32 v67, v40, v67
	s_waitcnt vmcnt(28)
	v_mul_f32_e32 v98, v41, v68
	s_waitcnt vmcnt(27) lgkmcnt(5)
	v_mul_f32_e32 v99, v43, v69
	s_waitcnt vmcnt(26)
	v_mul_f32_e32 v100, v45, v70
	s_waitcnt vmcnt(25) lgkmcnt(4)
	;; [unrolled: 4-line block ×4, first 2 shown]
	v_mul_f32_e32 v105, v55, v75
	s_waitcnt vmcnt(20)
	v_mul_f32_e32 v106, v57, v76
	s_waitcnt vmcnt(16)
	v_fma_f32 v35, v35, v79, -v65
	v_fmac_f32_e32 v95, v36, v79
	s_waitcnt vmcnt(15)
	v_fma_f32 v36, v37, v80, -v66
	v_add_f32_e32 v35, 0, v35
	s_waitcnt vmcnt(14)
	v_fma_f32 v37, v39, v81, -v67
	v_add_f32_e32 v35, v35, v36
	v_add_f32_e32 v35, v35, v37
	v_mul_f32_e32 v37, v42, v68
	s_waitcnt vmcnt(13)
	v_fma_f32 v37, v41, v82, -v37
	v_add_f32_e32 v35, v35, v37
	v_mul_f32_e32 v37, v44, v69
	s_waitcnt vmcnt(12)
	v_fma_f32 v37, v43, v83, -v37
	v_add_f32_e32 v35, v35, v37
	v_mul_f32_e32 v37, v46, v70
	s_waitcnt vmcnt(11)
	v_fma_f32 v37, v45, v84, -v37
	v_add_f32_e32 v35, v35, v37
	v_mul_f32_e32 v37, v48, v71
	s_waitcnt vmcnt(10)
	v_fma_f32 v37, v47, v85, -v37
	v_add_f32_e32 v35, v35, v37
	v_mul_f32_e32 v37, v50, v72
	s_waitcnt vmcnt(9)
	v_fma_f32 v37, v49, v86, -v37
	v_add_f32_e32 v35, v35, v37
	v_mul_f32_e32 v37, v52, v73
	v_fmac_f32_e32 v96, v38, v80
	v_add_f32_e32 v38, 0, v95
	s_waitcnt vmcnt(8)
	v_fma_f32 v37, v51, v87, -v37
	v_fmac_f32_e32 v97, v40, v81
	v_add_f32_e32 v38, v38, v96
	v_add_f32_e32 v35, v35, v37
	v_mul_f32_e32 v37, v54, v74
	v_fmac_f32_e32 v98, v42, v82
	v_add_f32_e32 v36, v38, v97
	s_waitcnt vmcnt(7)
	v_fma_f32 v37, v53, v88, -v37
	v_fmac_f32_e32 v99, v44, v83
	v_add_f32_e32 v36, v36, v98
	;; [unrolled: 8-line block ×4, first 2 shown]
	v_add_f32_e32 v35, v35, v37
	s_waitcnt lgkmcnt(1)
	v_mul_f32_e32 v37, v60, v77
	v_fmac_f32_e32 v104, v54, v88
	v_add_f32_e32 v36, v36, v103
	s_waitcnt vmcnt(4)
	v_fma_f32 v37, v59, v91, -v37
	v_fmac_f32_e32 v105, v56, v89
	v_add_f32_e32 v36, v36, v104
	v_add_f32_e32 v35, v35, v37
	v_mul_f32_e32 v37, v62, v0
	v_mul_f32_e32 v107, v59, v77
	v_fmac_f32_e32 v106, v58, v90
	v_add_f32_e32 v36, v36, v105
	s_waitcnt vmcnt(2)
	v_fma_f32 v37, v61, v33, -v37
	v_mul_f32_e32 v108, v61, v0
	v_fmac_f32_e32 v107, v60, v91
	v_add_f32_e32 v36, v36, v106
	v_add_f32_e32 v35, v35, v37
	s_waitcnt lgkmcnt(0)
	v_mul_f32_e32 v37, v64, v78
	v_mul_f32_e32 v109, v63, v78
	v_fmac_f32_e32 v108, v62, v33
	v_add_f32_e32 v36, v36, v107
	v_fma_f32 v37, v63, v92, -v37
	v_fmac_f32_e32 v109, v64, v92
	v_add_f32_e32 v36, v36, v108
	v_add_f32_e32 v35, v35, v37
	;; [unrolled: 1-line block ×3, first 2 shown]
	s_waitcnt vmcnt(1)
	v_sub_f32_e32 v35, v93, v35
	s_waitcnt vmcnt(0)
	v_sub_f32_e32 v36, v94, v36
	buffer_store_dword v35, off, s[0:3], 0
	buffer_store_dword v36, off, s[0:3], 0 offset:4
	s_cbranch_vccz .LBB15_140
; %bb.110:
	global_load_dword v34, v34, s[20:21] offset:56
	s_waitcnt vmcnt(0)
	v_add_u32_e32 v34, -1, v34
	v_cmp_ne_u32_e32 vcc, 14, v34
	s_cbranch_vccz .LBB15_112
; %bb.111:
	v_lshlrev_b32_e32 v34, 3, v34
	buffer_load_dword v35, v34, s[0:3], 0 offen offset:4
	buffer_load_dword v36, v34, s[0:3], 0 offen
	s_waitcnt vmcnt(1)
	buffer_store_dword v35, off, s[0:3], 0 offset:116
	s_waitcnt vmcnt(1)
	buffer_store_dword v36, off, s[0:3], 0 offset:112
	buffer_store_dword v0, v34, s[0:3], 0 offen offset:4
	buffer_store_dword v33, v34, s[0:3], 0 offen
.LBB15_112:
	v_mov_b32_e32 v0, 0
	global_load_dword v33, v0, s[20:21] offset:52
	s_waitcnt vmcnt(0)
	v_add_u32_e32 v33, -1, v33
	v_cmp_eq_u32_e32 vcc, 13, v33
	s_cbranch_vccnz .LBB15_114
; %bb.113:
	v_lshlrev_b32_e32 v33, 3, v33
	buffer_load_dword v34, v33, s[0:3], 0 offen
	buffer_load_dword v35, v33, s[0:3], 0 offen offset:4
	buffer_load_dword v36, off, s[0:3], 0 offset:104
	buffer_load_dword v37, off, s[0:3], 0 offset:108
	s_waitcnt vmcnt(3)
	buffer_store_dword v34, off, s[0:3], 0 offset:104
	s_waitcnt vmcnt(3)
	buffer_store_dword v35, off, s[0:3], 0 offset:108
	s_waitcnt vmcnt(3)
	buffer_store_dword v36, v33, s[0:3], 0 offen
	s_waitcnt vmcnt(3)
	buffer_store_dword v37, v33, s[0:3], 0 offen offset:4
.LBB15_114:
	global_load_dword v0, v0, s[20:21] offset:48
	s_waitcnt vmcnt(0)
	v_add_u32_e32 v0, -1, v0
	v_cmp_eq_u32_e32 vcc, 12, v0
	s_cbranch_vccnz .LBB15_116
; %bb.115:
	v_lshlrev_b32_e32 v0, 3, v0
	buffer_load_dword v33, v0, s[0:3], 0 offen
	buffer_load_dword v34, v0, s[0:3], 0 offen offset:4
	buffer_load_dword v35, off, s[0:3], 0 offset:100
	buffer_load_dword v36, off, s[0:3], 0 offset:96
	s_waitcnt vmcnt(3)
	buffer_store_dword v33, off, s[0:3], 0 offset:96
	s_waitcnt vmcnt(3)
	buffer_store_dword v34, off, s[0:3], 0 offset:100
	s_waitcnt vmcnt(3)
	buffer_store_dword v35, v0, s[0:3], 0 offen offset:4
	s_waitcnt vmcnt(3)
	buffer_store_dword v36, v0, s[0:3], 0 offen
.LBB15_116:
	v_mov_b32_e32 v0, 0
	global_load_dword v33, v0, s[20:21] offset:44
	s_waitcnt vmcnt(0)
	v_add_u32_e32 v33, -1, v33
	v_cmp_eq_u32_e32 vcc, 11, v33
	s_cbranch_vccnz .LBB15_118
; %bb.117:
	v_lshlrev_b32_e32 v33, 3, v33
	buffer_load_dword v34, v33, s[0:3], 0 offen
	buffer_load_dword v35, v33, s[0:3], 0 offen offset:4
	buffer_load_dword v36, off, s[0:3], 0 offset:88
	buffer_load_dword v37, off, s[0:3], 0 offset:92
	s_waitcnt vmcnt(3)
	buffer_store_dword v34, off, s[0:3], 0 offset:88
	s_waitcnt vmcnt(3)
	buffer_store_dword v35, off, s[0:3], 0 offset:92
	s_waitcnt vmcnt(3)
	buffer_store_dword v36, v33, s[0:3], 0 offen
	s_waitcnt vmcnt(3)
	buffer_store_dword v37, v33, s[0:3], 0 offen offset:4
.LBB15_118:
	global_load_dword v0, v0, s[20:21] offset:40
	s_waitcnt vmcnt(0)
	v_add_u32_e32 v0, -1, v0
	v_cmp_eq_u32_e32 vcc, 10, v0
	s_cbranch_vccnz .LBB15_120
; %bb.119:
	v_lshlrev_b32_e32 v0, 3, v0
	buffer_load_dword v33, v0, s[0:3], 0 offen
	buffer_load_dword v34, v0, s[0:3], 0 offen offset:4
	buffer_load_dword v35, off, s[0:3], 0 offset:84
	buffer_load_dword v36, off, s[0:3], 0 offset:80
	s_waitcnt vmcnt(3)
	buffer_store_dword v33, off, s[0:3], 0 offset:80
	s_waitcnt vmcnt(3)
	buffer_store_dword v34, off, s[0:3], 0 offset:84
	s_waitcnt vmcnt(3)
	buffer_store_dword v35, v0, s[0:3], 0 offen offset:4
	s_waitcnt vmcnt(3)
	buffer_store_dword v36, v0, s[0:3], 0 offen
.LBB15_120:
	;; [unrolled: 41-line block ×6, first 2 shown]
	v_mov_b32_e32 v0, 0
	global_load_dword v33, v0, s[20:21] offset:4
	s_waitcnt vmcnt(0)
	v_add_u32_e32 v33, -1, v33
	v_cmp_eq_u32_e32 vcc, 1, v33
	s_cbranch_vccnz .LBB15_138
; %bb.137:
	v_lshlrev_b32_e32 v33, 3, v33
	buffer_load_dword v34, v33, s[0:3], 0 offen
	buffer_load_dword v35, v33, s[0:3], 0 offen offset:4
	buffer_load_dword v36, off, s[0:3], 0 offset:8
	buffer_load_dword v37, off, s[0:3], 0 offset:12
	s_waitcnt vmcnt(3)
	buffer_store_dword v34, off, s[0:3], 0 offset:8
	s_waitcnt vmcnt(3)
	buffer_store_dword v35, off, s[0:3], 0 offset:12
	s_waitcnt vmcnt(3)
	buffer_store_dword v36, v33, s[0:3], 0 offen
	s_waitcnt vmcnt(3)
	buffer_store_dword v37, v33, s[0:3], 0 offen offset:4
.LBB15_138:
	global_load_dword v0, v0, s[20:21]
	s_waitcnt vmcnt(0)
	v_add_u32_e32 v0, -1, v0
	v_cmp_eq_u32_e32 vcc, 0, v0
	s_cbranch_vccnz .LBB15_140
; %bb.139:
	v_lshlrev_b32_e32 v0, 3, v0
	buffer_load_dword v33, v0, s[0:3], 0 offen
	buffer_load_dword v34, v0, s[0:3], 0 offen offset:4
	buffer_load_dword v35, off, s[0:3], 0 offset:4
	buffer_load_dword v36, off, s[0:3], 0
	s_waitcnt vmcnt(3)
	buffer_store_dword v33, off, s[0:3], 0
	s_waitcnt vmcnt(3)
	buffer_store_dword v34, off, s[0:3], 0 offset:4
	s_waitcnt vmcnt(3)
	buffer_store_dword v35, v0, s[0:3], 0 offen offset:4
	s_waitcnt vmcnt(3)
	buffer_store_dword v36, v0, s[0:3], 0 offen
.LBB15_140:
	buffer_load_dword v33, off, s[0:3], 0
	buffer_load_dword v34, off, s[0:3], 0 offset:4
	buffer_load_dword v35, off, s[0:3], 0 offset:8
	s_nop 0
	buffer_load_dword v36, off, s[0:3], 0 offset:12
	buffer_load_dword v37, off, s[0:3], 0 offset:16
	buffer_load_dword v38, off, s[0:3], 0 offset:20
	buffer_load_dword v39, off, s[0:3], 0 offset:24
	buffer_load_dword v40, off, s[0:3], 0 offset:28
	buffer_load_dword v41, off, s[0:3], 0 offset:32
	buffer_load_dword v42, off, s[0:3], 0 offset:36
	buffer_load_dword v43, off, s[0:3], 0 offset:40
	buffer_load_dword v44, off, s[0:3], 0 offset:44
	buffer_load_dword v45, off, s[0:3], 0 offset:48
	buffer_load_dword v46, off, s[0:3], 0 offset:52
	buffer_load_dword v47, off, s[0:3], 0 offset:56
	buffer_load_dword v48, off, s[0:3], 0 offset:60
	buffer_load_dword v50, off, s[0:3], 0 offset:68
	buffer_load_dword v51, off, s[0:3], 0 offset:72
	buffer_load_dword v52, off, s[0:3], 0 offset:76
	buffer_load_dword v53, off, s[0:3], 0 offset:80
	buffer_load_dword v54, off, s[0:3], 0 offset:84
	buffer_load_dword v55, off, s[0:3], 0 offset:88
	buffer_load_dword v56, off, s[0:3], 0 offset:92
	buffer_load_dword v49, off, s[0:3], 0 offset:64
	buffer_load_dword v57, off, s[0:3], 0 offset:96
	buffer_load_dword v58, off, s[0:3], 0 offset:100
	buffer_load_dword v59, off, s[0:3], 0 offset:104
	buffer_load_dword v60, off, s[0:3], 0 offset:108
	buffer_load_dword v61, off, s[0:3], 0 offset:112
	buffer_load_dword v62, off, s[0:3], 0 offset:116
	buffer_load_dword v63, off, s[0:3], 0 offset:120
	buffer_load_dword v64, off, s[0:3], 0 offset:124
	s_waitcnt vmcnt(30)
	global_store_dwordx2 v[25:26], v[33:34], off
	s_waitcnt vmcnt(29)
	global_store_dwordx2 v[27:28], v[35:36], off
	;; [unrolled: 2-line block ×9, first 2 shown]
	global_store_dwordx2 v[15:16], v[51:52], off
	global_store_dwordx2 v[17:18], v[53:54], off
	;; [unrolled: 1-line block ×3, first 2 shown]
	s_waitcnt vmcnt(18)
	global_store_dwordx2 v[21:22], v[57:58], off
	s_waitcnt vmcnt(17)
	global_store_dwordx2 v[23:24], v[59:60], off
	;; [unrolled: 2-line block ×4, first 2 shown]
	s_endpgm
	.section	.rodata,"a",@progbits
	.p2align	6, 0x0
	.amdhsa_kernel _ZN9rocsolver6v33100L18getri_kernel_smallILi16E19rocblas_complex_numIfEPS3_EEvT1_iilPiilS6_bb
		.amdhsa_group_segment_fixed_size 260
		.amdhsa_private_segment_fixed_size 144
		.amdhsa_kernarg_size 60
		.amdhsa_user_sgpr_count 6
		.amdhsa_user_sgpr_private_segment_buffer 1
		.amdhsa_user_sgpr_dispatch_ptr 0
		.amdhsa_user_sgpr_queue_ptr 0
		.amdhsa_user_sgpr_kernarg_segment_ptr 1
		.amdhsa_user_sgpr_dispatch_id 0
		.amdhsa_user_sgpr_flat_scratch_init 0
		.amdhsa_user_sgpr_private_segment_size 0
		.amdhsa_uses_dynamic_stack 0
		.amdhsa_system_sgpr_private_segment_wavefront_offset 1
		.amdhsa_system_sgpr_workgroup_id_x 1
		.amdhsa_system_sgpr_workgroup_id_y 0
		.amdhsa_system_sgpr_workgroup_id_z 0
		.amdhsa_system_sgpr_workgroup_info 0
		.amdhsa_system_vgpr_workitem_id 0
		.amdhsa_next_free_vgpr 110
		.amdhsa_next_free_sgpr 24
		.amdhsa_reserve_vcc 1
		.amdhsa_reserve_flat_scratch 0
		.amdhsa_float_round_mode_32 0
		.amdhsa_float_round_mode_16_64 0
		.amdhsa_float_denorm_mode_32 3
		.amdhsa_float_denorm_mode_16_64 3
		.amdhsa_dx10_clamp 1
		.amdhsa_ieee_mode 1
		.amdhsa_fp16_overflow 0
		.amdhsa_exception_fp_ieee_invalid_op 0
		.amdhsa_exception_fp_denorm_src 0
		.amdhsa_exception_fp_ieee_div_zero 0
		.amdhsa_exception_fp_ieee_overflow 0
		.amdhsa_exception_fp_ieee_underflow 0
		.amdhsa_exception_fp_ieee_inexact 0
		.amdhsa_exception_int_div_zero 0
	.end_amdhsa_kernel
	.section	.text._ZN9rocsolver6v33100L18getri_kernel_smallILi16E19rocblas_complex_numIfEPS3_EEvT1_iilPiilS6_bb,"axG",@progbits,_ZN9rocsolver6v33100L18getri_kernel_smallILi16E19rocblas_complex_numIfEPS3_EEvT1_iilPiilS6_bb,comdat
.Lfunc_end15:
	.size	_ZN9rocsolver6v33100L18getri_kernel_smallILi16E19rocblas_complex_numIfEPS3_EEvT1_iilPiilS6_bb, .Lfunc_end15-_ZN9rocsolver6v33100L18getri_kernel_smallILi16E19rocblas_complex_numIfEPS3_EEvT1_iilPiilS6_bb
                                        ; -- End function
	.set _ZN9rocsolver6v33100L18getri_kernel_smallILi16E19rocblas_complex_numIfEPS3_EEvT1_iilPiilS6_bb.num_vgpr, 110
	.set _ZN9rocsolver6v33100L18getri_kernel_smallILi16E19rocblas_complex_numIfEPS3_EEvT1_iilPiilS6_bb.num_agpr, 0
	.set _ZN9rocsolver6v33100L18getri_kernel_smallILi16E19rocblas_complex_numIfEPS3_EEvT1_iilPiilS6_bb.numbered_sgpr, 24
	.set _ZN9rocsolver6v33100L18getri_kernel_smallILi16E19rocblas_complex_numIfEPS3_EEvT1_iilPiilS6_bb.num_named_barrier, 0
	.set _ZN9rocsolver6v33100L18getri_kernel_smallILi16E19rocblas_complex_numIfEPS3_EEvT1_iilPiilS6_bb.private_seg_size, 144
	.set _ZN9rocsolver6v33100L18getri_kernel_smallILi16E19rocblas_complex_numIfEPS3_EEvT1_iilPiilS6_bb.uses_vcc, 1
	.set _ZN9rocsolver6v33100L18getri_kernel_smallILi16E19rocblas_complex_numIfEPS3_EEvT1_iilPiilS6_bb.uses_flat_scratch, 0
	.set _ZN9rocsolver6v33100L18getri_kernel_smallILi16E19rocblas_complex_numIfEPS3_EEvT1_iilPiilS6_bb.has_dyn_sized_stack, 0
	.set _ZN9rocsolver6v33100L18getri_kernel_smallILi16E19rocblas_complex_numIfEPS3_EEvT1_iilPiilS6_bb.has_recursion, 0
	.set _ZN9rocsolver6v33100L18getri_kernel_smallILi16E19rocblas_complex_numIfEPS3_EEvT1_iilPiilS6_bb.has_indirect_call, 0
	.section	.AMDGPU.csdata,"",@progbits
; Kernel info:
; codeLenInByte = 15460
; TotalNumSgprs: 28
; NumVgprs: 110
; ScratchSize: 144
; MemoryBound: 0
; FloatMode: 240
; IeeeMode: 1
; LDSByteSize: 260 bytes/workgroup (compile time only)
; SGPRBlocks: 3
; VGPRBlocks: 27
; NumSGPRsForWavesPerEU: 28
; NumVGPRsForWavesPerEU: 110
; Occupancy: 2
; WaveLimiterHint : 1
; COMPUTE_PGM_RSRC2:SCRATCH_EN: 1
; COMPUTE_PGM_RSRC2:USER_SGPR: 6
; COMPUTE_PGM_RSRC2:TRAP_HANDLER: 0
; COMPUTE_PGM_RSRC2:TGID_X_EN: 1
; COMPUTE_PGM_RSRC2:TGID_Y_EN: 0
; COMPUTE_PGM_RSRC2:TGID_Z_EN: 0
; COMPUTE_PGM_RSRC2:TIDIG_COMP_CNT: 0
	.section	.text._ZN9rocsolver6v33100L18getri_kernel_smallILi17E19rocblas_complex_numIfEPS3_EEvT1_iilPiilS6_bb,"axG",@progbits,_ZN9rocsolver6v33100L18getri_kernel_smallILi17E19rocblas_complex_numIfEPS3_EEvT1_iilPiilS6_bb,comdat
	.globl	_ZN9rocsolver6v33100L18getri_kernel_smallILi17E19rocblas_complex_numIfEPS3_EEvT1_iilPiilS6_bb ; -- Begin function _ZN9rocsolver6v33100L18getri_kernel_smallILi17E19rocblas_complex_numIfEPS3_EEvT1_iilPiilS6_bb
	.p2align	8
	.type	_ZN9rocsolver6v33100L18getri_kernel_smallILi17E19rocblas_complex_numIfEPS3_EEvT1_iilPiilS6_bb,@function
_ZN9rocsolver6v33100L18getri_kernel_smallILi17E19rocblas_complex_numIfEPS3_EEvT1_iilPiilS6_bb: ; @_ZN9rocsolver6v33100L18getri_kernel_smallILi17E19rocblas_complex_numIfEPS3_EEvT1_iilPiilS6_bb
; %bb.0:
	s_add_u32 s0, s0, s7
	s_addc_u32 s1, s1, 0
	v_cmp_gt_u32_e32 vcc, 17, v0
	s_and_saveexec_b64 s[8:9], vcc
	s_cbranch_execz .LBB16_82
; %bb.1:
	s_load_dword s12, s[4:5], 0x38
	s_load_dwordx4 s[16:19], s[4:5], 0x10
	s_load_dwordx4 s[8:11], s[4:5], 0x28
                                        ; implicit-def: $sgpr20_sgpr21
	s_waitcnt lgkmcnt(0)
	s_bitcmp1_b32 s12, 8
	s_cselect_b64 s[22:23], -1, 0
	s_ashr_i32 s7, s6, 31
	s_bfe_u32 s12, s12, 0x10008
	s_cmp_eq_u32 s12, 0
	s_cbranch_scc1 .LBB16_3
; %bb.2:
	s_load_dword s12, s[4:5], 0x20
	s_mul_i32 s13, s8, s7
	s_mul_hi_u32 s14, s8, s6
	s_mul_i32 s9, s9, s6
	s_add_i32 s14, s14, s13
	s_add_i32 s9, s14, s9
	s_mul_i32 s8, s8, s6
	s_waitcnt lgkmcnt(0)
	s_ashr_i32 s13, s12, 31
	s_lshl_b64 s[8:9], s[8:9], 2
	s_add_u32 s14, s18, s8
	s_addc_u32 s15, s19, s9
	s_lshl_b64 s[8:9], s[12:13], 2
	s_add_u32 s20, s14, s8
	s_addc_u32 s21, s15, s9
.LBB16_3:
	s_load_dwordx4 s[12:15], s[4:5], 0x0
	s_load_dword s8, s[4:5], 0x38
	s_mul_i32 s9, s16, s7
	s_mul_hi_u32 s18, s16, s6
	s_add_i32 s9, s18, s9
	s_waitcnt lgkmcnt(0)
	s_ashr_i32 s5, s14, 31
	s_mov_b32 s4, s14
	s_mul_i32 s14, s17, s6
	s_add_i32 s17, s9, s14
	s_mul_i32 s16, s16, s6
	s_lshl_b64 s[16:17], s[16:17], 3
	s_add_u32 s9, s12, s16
	s_addc_u32 s12, s13, s17
	s_lshl_b64 s[4:5], s[4:5], 3
	s_add_u32 s4, s9, s4
	s_addc_u32 s5, s12, s5
	s_add_i32 s9, s15, s15
	v_add_u32_e32 v3, s9, v0
	v_ashrrev_i32_e32 v4, 31, v3
	v_lshlrev_b64 v[1:2], 3, v[3:4]
	v_add_u32_e32 v5, s15, v3
	v_mov_b32_e32 v4, s5
	v_add_co_u32_e32 v1, vcc, s4, v1
	v_ashrrev_i32_e32 v6, 31, v5
	v_addc_co_u32_e32 v2, vcc, v4, v2, vcc
	v_lshlrev_b64 v[3:4], 3, v[5:6]
	v_add_u32_e32 v7, s15, v5
	v_mov_b32_e32 v6, s5
	v_add_co_u32_e32 v3, vcc, s4, v3
	v_ashrrev_i32_e32 v8, 31, v7
	v_addc_co_u32_e32 v4, vcc, v6, v4, vcc
	;; [unrolled: 6-line block ×8, first 2 shown]
	v_lshlrev_b64 v[17:18], 3, v[19:20]
	v_mov_b32_e32 v21, s5
	v_add_co_u32_e32 v17, vcc, s4, v17
	v_addc_co_u32_e32 v18, vcc, v21, v18, vcc
	v_add_u32_e32 v21, s15, v19
	v_ashrrev_i32_e32 v22, 31, v21
	v_lshlrev_b64 v[19:20], 3, v[21:22]
	v_mov_b32_e32 v23, s5
	v_add_co_u32_e32 v19, vcc, s4, v19
	v_addc_co_u32_e32 v20, vcc, v23, v20, vcc
	v_add_u32_e32 v23, s15, v21
	v_ashrrev_i32_e32 v24, 31, v23
	;; [unrolled: 6-line block ×4, first 2 shown]
	v_lshlrev_b64 v[25:26], 3, v[27:28]
	v_mov_b32_e32 v29, s5
	v_add_co_u32_e32 v25, vcc, s4, v25
	v_addc_co_u32_e32 v26, vcc, v29, v26, vcc
	v_lshlrev_b32_e32 v37, 3, v0
	v_add_u32_e32 v33, s15, v27
	v_mov_b32_e32 v28, s5
	v_add_co_u32_e32 v27, vcc, s4, v37
	s_ashr_i32 s13, s15, 31
	s_mov_b32 s12, s15
	v_addc_co_u32_e32 v28, vcc, 0, v28, vcc
	s_lshl_b64 s[12:13], s[12:13], 3
	v_ashrrev_i32_e32 v34, 31, v33
	v_mov_b32_e32 v30, s13
	v_add_co_u32_e32 v29, vcc, s12, v27
	v_lshlrev_b64 v[31:32], 3, v[33:34]
	v_addc_co_u32_e32 v30, vcc, v28, v30, vcc
	v_mov_b32_e32 v52, s5
	v_add_co_u32_e32 v31, vcc, s4, v31
	global_load_dwordx2 v[35:36], v37, s[4:5]
	global_load_dwordx2 v[38:39], v[29:30], off
	global_load_dwordx2 v[40:41], v[1:2], off
	;; [unrolled: 1-line block ×7, first 2 shown]
	v_addc_co_u32_e32 v32, vcc, v52, v32, vcc
	global_load_dwordx2 v[52:53], v[13:14], off
	global_load_dwordx2 v[54:55], v[15:16], off
	;; [unrolled: 1-line block ×8, first 2 shown]
	v_add_u32_e32 v33, s15, v33
	v_ashrrev_i32_e32 v34, 31, v33
	v_lshlrev_b64 v[33:34], 3, v[33:34]
	v_mov_b32_e32 v68, s5
	v_add_co_u32_e32 v33, vcc, s4, v33
	v_addc_co_u32_e32 v34, vcc, v68, v34, vcc
	global_load_dwordx2 v[68:69], v[33:34], off
	s_bitcmp0_b32 s8, 0
	s_mov_b64 s[8:9], -1
	s_waitcnt vmcnt(16)
	buffer_store_dword v36, off, s[0:3], 0 offset:4
	buffer_store_dword v35, off, s[0:3], 0
	s_waitcnt vmcnt(17)
	buffer_store_dword v39, off, s[0:3], 0 offset:12
	buffer_store_dword v38, off, s[0:3], 0 offset:8
	s_waitcnt vmcnt(18)
	buffer_store_dword v41, off, s[0:3], 0 offset:20
	buffer_store_dword v40, off, s[0:3], 0 offset:16
	;; [unrolled: 3-line block ×16, first 2 shown]
	s_cbranch_scc1 .LBB16_80
; %bb.4:
	v_cmp_eq_u32_e64 s[4:5], 0, v0
	s_and_saveexec_b64 s[8:9], s[4:5]
; %bb.5:
	v_mov_b32_e32 v35, 0
	ds_write_b32 v35, v35 offset:136
; %bb.6:
	s_or_b64 exec, exec, s[8:9]
	v_mov_b32_e32 v35, 0
	v_lshl_add_u32 v39, v0, 3, v35
	s_waitcnt lgkmcnt(0)
	; wave barrier
	buffer_load_dword v35, v39, s[0:3], 0 offen
	buffer_load_dword v36, v39, s[0:3], 0 offen offset:4
	s_waitcnt vmcnt(1)
	v_cmp_eq_f32_e32 vcc, 0, v35
	s_waitcnt vmcnt(0)
	v_cmp_eq_f32_e64 s[8:9], 0, v36
	s_and_b64 s[8:9], vcc, s[8:9]
	s_and_saveexec_b64 s[12:13], s[8:9]
	s_cbranch_execz .LBB16_10
; %bb.7:
	v_mov_b32_e32 v35, 0
	ds_read_b32 v38, v35 offset:136
	v_add_u32_e32 v36, 1, v0
	s_waitcnt lgkmcnt(0)
	v_readfirstlane_b32 s8, v38
	s_cmp_eq_u32 s8, 0
	s_cselect_b64 s[14:15], -1, 0
	v_cmp_gt_i32_e32 vcc, s8, v36
	s_or_b64 s[14:15], s[14:15], vcc
	s_and_b64 exec, exec, s[14:15]
	s_cbranch_execz .LBB16_10
; %bb.8:
	s_mov_b64 s[14:15], 0
	v_mov_b32_e32 v38, s8
.LBB16_9:                               ; =>This Inner Loop Header: Depth=1
	ds_cmpst_rtn_b32 v38, v35, v38, v36 offset:136
	s_waitcnt lgkmcnt(0)
	v_cmp_ne_u32_e32 vcc, 0, v38
	v_cmp_le_i32_e64 s[8:9], v38, v36
	s_and_b64 s[8:9], vcc, s[8:9]
	s_and_b64 s[8:9], exec, s[8:9]
	s_or_b64 s[14:15], s[8:9], s[14:15]
	s_andn2_b64 exec, exec, s[14:15]
	s_cbranch_execnz .LBB16_9
.LBB16_10:
	s_or_b64 exec, exec, s[12:13]
	v_mov_b32_e32 v36, 0
	; wave barrier
	ds_read_b32 v35, v36 offset:136
	s_and_saveexec_b64 s[8:9], s[4:5]
	s_cbranch_execz .LBB16_12
; %bb.11:
	s_lshl_b64 s[12:13], s[6:7], 2
	s_add_u32 s12, s10, s12
	s_addc_u32 s13, s11, s13
	s_waitcnt lgkmcnt(0)
	global_store_dword v36, v35, s[12:13]
.LBB16_12:
	s_or_b64 exec, exec, s[8:9]
	s_waitcnt lgkmcnt(0)
	v_cmp_ne_u32_e32 vcc, 0, v35
	s_mov_b64 s[8:9], 0
	s_cbranch_vccnz .LBB16_80
; %bb.13:
	buffer_load_dword v36, v39, s[0:3], 0 offen
	buffer_load_dword v38, v39, s[0:3], 0 offen offset:4
                                        ; implicit-def: $vgpr41
                                        ; implicit-def: $vgpr40
                                        ; implicit-def: $vgpr35
	s_waitcnt vmcnt(0)
	v_cmp_ngt_f32_e64 s[8:9], |v36|, |v38|
	s_and_saveexec_b64 s[12:13], s[8:9]
	s_xor_b64 s[8:9], exec, s[12:13]
	s_cbranch_execz .LBB16_15
; %bb.14:
	v_div_scale_f32 v35, s[12:13], v38, v38, v36
	v_div_scale_f32 v40, vcc, v36, v38, v36
	v_rcp_f32_e32 v41, v35
	v_fma_f32 v42, -v35, v41, 1.0
	v_fmac_f32_e32 v41, v42, v41
	v_mul_f32_e32 v42, v40, v41
	v_fma_f32 v43, -v35, v42, v40
	v_fmac_f32_e32 v42, v43, v41
	v_fma_f32 v35, -v35, v42, v40
	v_div_fmas_f32 v35, v35, v41, v42
	v_div_fixup_f32 v35, v35, v38, v36
	v_fmac_f32_e32 v38, v36, v35
	v_div_scale_f32 v36, s[12:13], v38, v38, 1.0
	v_div_scale_f32 v40, vcc, 1.0, v38, 1.0
	v_rcp_f32_e32 v41, v36
	v_fma_f32 v42, -v36, v41, 1.0
	v_fmac_f32_e32 v41, v42, v41
	v_mul_f32_e32 v42, v40, v41
	v_fma_f32 v43, -v36, v42, v40
	v_fmac_f32_e32 v42, v43, v41
	v_fma_f32 v36, -v36, v42, v40
	v_div_fmas_f32 v36, v36, v41, v42
	v_div_fixup_f32 v36, v36, v38, 1.0
	v_mul_f32_e32 v41, v35, v36
	v_xor_b32_e32 v40, 0x80000000, v36
	v_xor_b32_e32 v35, 0x80000000, v41
                                        ; implicit-def: $vgpr36
                                        ; implicit-def: $vgpr38
.LBB16_15:
	s_andn2_saveexec_b64 s[8:9], s[8:9]
	s_cbranch_execz .LBB16_17
; %bb.16:
	v_div_scale_f32 v35, s[12:13], v36, v36, v38
	v_div_scale_f32 v40, vcc, v38, v36, v38
	v_rcp_f32_e32 v41, v35
	v_fma_f32 v42, -v35, v41, 1.0
	v_fmac_f32_e32 v41, v42, v41
	v_mul_f32_e32 v42, v40, v41
	v_fma_f32 v43, -v35, v42, v40
	v_fmac_f32_e32 v42, v43, v41
	v_fma_f32 v35, -v35, v42, v40
	v_div_fmas_f32 v35, v35, v41, v42
	v_div_fixup_f32 v40, v35, v36, v38
	v_fmac_f32_e32 v36, v38, v40
	v_div_scale_f32 v35, s[12:13], v36, v36, 1.0
	v_div_scale_f32 v38, vcc, 1.0, v36, 1.0
	v_rcp_f32_e32 v41, v35
	v_fma_f32 v42, -v35, v41, 1.0
	v_fmac_f32_e32 v41, v42, v41
	v_mul_f32_e32 v42, v38, v41
	v_fma_f32 v43, -v35, v42, v38
	v_fmac_f32_e32 v42, v43, v41
	v_fma_f32 v35, -v35, v42, v38
	v_div_fmas_f32 v35, v35, v41, v42
	v_div_fixup_f32 v41, v35, v36, 1.0
	v_xor_b32_e32 v35, 0x80000000, v41
	v_mul_f32_e64 v40, v40, -v41
.LBB16_17:
	s_or_b64 exec, exec, s[8:9]
	buffer_store_dword v41, v39, s[0:3], 0 offen
	buffer_store_dword v40, v39, s[0:3], 0 offen offset:4
	buffer_load_dword v42, off, s[0:3], 0 offset:12
	s_nop 0
	buffer_load_dword v41, off, s[0:3], 0 offset:8
	v_xor_b32_e32 v36, 0x80000000, v40
	v_add_u32_e32 v38, 0x90, v37
	s_waitcnt vmcnt(0)
	ds_write2_b64 v37, v[35:36], v[41:42] offset1:18
	s_waitcnt lgkmcnt(0)
	; wave barrier
	s_and_saveexec_b64 s[8:9], s[4:5]
	s_cbranch_execz .LBB16_19
; %bb.18:
	buffer_load_dword v42, v39, s[0:3], 0 offen offset:4
	buffer_load_dword v43, v39, s[0:3], 0 offen
	ds_read_b64 v[35:36], v38
	v_mov_b32_e32 v40, 0
	ds_read_b64 v[40:41], v40 offset:8
	s_waitcnt vmcnt(1) lgkmcnt(1)
	v_mul_f32_e32 v44, v36, v42
	v_mul_f32_e32 v42, v35, v42
	s_waitcnt vmcnt(0)
	v_fmac_f32_e32 v42, v36, v43
	v_fma_f32 v35, v35, v43, -v44
	v_add_f32_e32 v36, 0, v42
	v_add_f32_e32 v35, 0, v35
	s_waitcnt lgkmcnt(0)
	v_mul_f32_e32 v42, v36, v41
	v_mul_f32_e32 v41, v35, v41
	v_fma_f32 v35, v35, v40, -v42
	v_fmac_f32_e32 v41, v36, v40
	buffer_store_dword v35, off, s[0:3], 0 offset:8
	buffer_store_dword v41, off, s[0:3], 0 offset:12
.LBB16_19:
	s_or_b64 exec, exec, s[8:9]
	; wave barrier
	buffer_load_dword v35, off, s[0:3], 0 offset:16
	buffer_load_dword v36, off, s[0:3], 0 offset:20
	v_cmp_gt_u32_e32 vcc, 2, v0
	s_waitcnt vmcnt(0)
	ds_write_b64 v38, v[35:36]
	s_waitcnt lgkmcnt(0)
	; wave barrier
	s_and_saveexec_b64 s[8:9], vcc
	s_cbranch_execz .LBB16_23
; %bb.20:
	buffer_load_dword v40, v39, s[0:3], 0 offen offset:4
	buffer_load_dword v41, v39, s[0:3], 0 offen
	ds_read_b64 v[35:36], v38
	s_waitcnt vmcnt(1) lgkmcnt(0)
	v_mul_f32_e32 v39, v36, v40
	v_mul_f32_e32 v40, v35, v40
	s_waitcnt vmcnt(0)
	v_fma_f32 v35, v35, v41, -v39
	v_fmac_f32_e32 v40, v36, v41
	v_add_f32_e32 v36, 0, v35
	v_add_f32_e32 v35, 0, v40
	s_and_saveexec_b64 s[12:13], s[4:5]
	s_cbranch_execz .LBB16_22
; %bb.21:
	buffer_load_dword v41, off, s[0:3], 0 offset:12
	buffer_load_dword v42, off, s[0:3], 0 offset:8
	v_mov_b32_e32 v39, 0
	ds_read_b64 v[39:40], v39 offset:152
	s_waitcnt vmcnt(1) lgkmcnt(0)
	v_mul_f32_e32 v43, v39, v41
	v_mul_f32_e32 v41, v40, v41
	s_waitcnt vmcnt(0)
	v_fmac_f32_e32 v43, v40, v42
	v_fma_f32 v39, v39, v42, -v41
	v_add_f32_e32 v35, v35, v43
	v_add_f32_e32 v36, v36, v39
.LBB16_22:
	s_or_b64 exec, exec, s[12:13]
	v_mov_b32_e32 v39, 0
	ds_read_b64 v[39:40], v39 offset:16
	s_waitcnt lgkmcnt(0)
	v_mul_f32_e32 v41, v35, v40
	v_mul_f32_e32 v40, v36, v40
	v_fma_f32 v36, v36, v39, -v41
	v_fmac_f32_e32 v40, v35, v39
	buffer_store_dword v36, off, s[0:3], 0 offset:16
	buffer_store_dword v40, off, s[0:3], 0 offset:20
.LBB16_23:
	s_or_b64 exec, exec, s[8:9]
	; wave barrier
	buffer_load_dword v35, off, s[0:3], 0 offset:24
	buffer_load_dword v36, off, s[0:3], 0 offset:28
	v_cmp_gt_u32_e32 vcc, 3, v0
	s_waitcnt vmcnt(0)
	ds_write_b64 v38, v[35:36]
	v_add_u32_e32 v35, -1, v0
	s_waitcnt lgkmcnt(0)
	; wave barrier
	s_and_saveexec_b64 s[4:5], vcc
	s_cbranch_execz .LBB16_27
; %bb.24:
	v_add_u32_e32 v39, -1, v0
	v_add_u32_e32 v40, 0x90, v37
	v_mov_b32_e32 v41, v37
	v_mov_b32_e32 v36, 0
	s_mov_b64 s[8:9], 0
	v_mov_b32_e32 v42, 0
.LBB16_25:                              ; =>This Inner Loop Header: Depth=1
	buffer_load_dword v45, v41, s[0:3], 0 offen offset:4
	buffer_load_dword v46, v41, s[0:3], 0 offen
	ds_read_b64 v[43:44], v40
	v_add_u32_e32 v39, 1, v39
	v_cmp_lt_u32_e32 vcc, 1, v39
	v_add_u32_e32 v40, 8, v40
	v_add_u32_e32 v41, 8, v41
	s_or_b64 s[8:9], vcc, s[8:9]
	s_waitcnt vmcnt(1) lgkmcnt(0)
	v_mul_f32_e32 v47, v44, v45
	v_mul_f32_e32 v45, v43, v45
	s_waitcnt vmcnt(0)
	v_fma_f32 v43, v43, v46, -v47
	v_fmac_f32_e32 v45, v44, v46
	v_add_f32_e32 v42, v42, v43
	v_add_f32_e32 v36, v36, v45
	s_andn2_b64 exec, exec, s[8:9]
	s_cbranch_execnz .LBB16_25
; %bb.26:
	s_or_b64 exec, exec, s[8:9]
	v_mov_b32_e32 v39, 0
	ds_read_b64 v[39:40], v39 offset:24
	s_waitcnt lgkmcnt(0)
	v_mul_f32_e32 v41, v36, v40
	v_mul_f32_e32 v40, v42, v40
	v_fma_f32 v41, v42, v39, -v41
	v_fmac_f32_e32 v40, v36, v39
	buffer_store_dword v41, off, s[0:3], 0 offset:24
	buffer_store_dword v40, off, s[0:3], 0 offset:28
.LBB16_27:
	s_or_b64 exec, exec, s[4:5]
	; wave barrier
	buffer_load_dword v39, off, s[0:3], 0 offset:32
	buffer_load_dword v40, off, s[0:3], 0 offset:36
	v_cmp_gt_u32_e32 vcc, 4, v0
	s_waitcnt vmcnt(0)
	ds_write_b64 v38, v[39:40]
	s_waitcnt lgkmcnt(0)
	; wave barrier
	s_and_saveexec_b64 s[4:5], vcc
	s_cbranch_execz .LBB16_31
; %bb.28:
	v_add_u32_e32 v39, -1, v0
	v_add_u32_e32 v40, 0x90, v37
	v_mov_b32_e32 v41, v37
	v_mov_b32_e32 v36, 0
	s_mov_b64 s[8:9], 0
	v_mov_b32_e32 v42, 0
.LBB16_29:                              ; =>This Inner Loop Header: Depth=1
	buffer_load_dword v45, v41, s[0:3], 0 offen offset:4
	buffer_load_dword v46, v41, s[0:3], 0 offen
	ds_read_b64 v[43:44], v40
	v_add_u32_e32 v39, 1, v39
	v_cmp_lt_u32_e32 vcc, 2, v39
	v_add_u32_e32 v40, 8, v40
	v_add_u32_e32 v41, 8, v41
	s_or_b64 s[8:9], vcc, s[8:9]
	s_waitcnt vmcnt(1) lgkmcnt(0)
	v_mul_f32_e32 v47, v44, v45
	v_mul_f32_e32 v45, v43, v45
	s_waitcnt vmcnt(0)
	v_fma_f32 v43, v43, v46, -v47
	v_fmac_f32_e32 v45, v44, v46
	v_add_f32_e32 v42, v42, v43
	v_add_f32_e32 v36, v36, v45
	s_andn2_b64 exec, exec, s[8:9]
	s_cbranch_execnz .LBB16_29
; %bb.30:
	s_or_b64 exec, exec, s[8:9]
	v_mov_b32_e32 v39, 0
	ds_read_b64 v[39:40], v39 offset:32
	s_waitcnt lgkmcnt(0)
	v_mul_f32_e32 v41, v36, v40
	v_mul_f32_e32 v40, v42, v40
	v_fma_f32 v41, v42, v39, -v41
	v_fmac_f32_e32 v40, v36, v39
	buffer_store_dword v41, off, s[0:3], 0 offset:32
	buffer_store_dword v40, off, s[0:3], 0 offset:36
.LBB16_31:
	s_or_b64 exec, exec, s[4:5]
	; wave barrier
	buffer_load_dword v39, off, s[0:3], 0 offset:40
	buffer_load_dword v40, off, s[0:3], 0 offset:44
	v_cmp_gt_u32_e32 vcc, 5, v0
	s_waitcnt vmcnt(0)
	ds_write_b64 v38, v[39:40]
	;; [unrolled: 49-line block ×12, first 2 shown]
	s_waitcnt lgkmcnt(0)
	; wave barrier
	s_and_saveexec_b64 s[4:5], vcc
	s_cbranch_execz .LBB16_75
; %bb.72:
	v_add_u32_e32 v39, -1, v0
	v_add_u32_e32 v40, 0x90, v37
	v_mov_b32_e32 v41, v37
	v_mov_b32_e32 v36, 0
	s_mov_b64 s[8:9], 0
	v_mov_b32_e32 v42, 0
.LBB16_73:                              ; =>This Inner Loop Header: Depth=1
	buffer_load_dword v45, v41, s[0:3], 0 offen offset:4
	buffer_load_dword v46, v41, s[0:3], 0 offen
	ds_read_b64 v[43:44], v40
	v_add_u32_e32 v39, 1, v39
	v_cmp_lt_u32_e32 vcc, 13, v39
	v_add_u32_e32 v40, 8, v40
	v_add_u32_e32 v41, 8, v41
	s_or_b64 s[8:9], vcc, s[8:9]
	s_waitcnt vmcnt(1) lgkmcnt(0)
	v_mul_f32_e32 v47, v44, v45
	v_mul_f32_e32 v45, v43, v45
	s_waitcnt vmcnt(0)
	v_fma_f32 v43, v43, v46, -v47
	v_fmac_f32_e32 v45, v44, v46
	v_add_f32_e32 v42, v42, v43
	v_add_f32_e32 v36, v36, v45
	s_andn2_b64 exec, exec, s[8:9]
	s_cbranch_execnz .LBB16_73
; %bb.74:
	s_or_b64 exec, exec, s[8:9]
	v_mov_b32_e32 v39, 0
	ds_read_b64 v[39:40], v39 offset:120
	s_waitcnt lgkmcnt(0)
	v_mul_f32_e32 v41, v36, v40
	v_mul_f32_e32 v40, v42, v40
	v_fma_f32 v41, v42, v39, -v41
	v_fmac_f32_e32 v40, v36, v39
	buffer_store_dword v41, off, s[0:3], 0 offset:120
	buffer_store_dword v40, off, s[0:3], 0 offset:124
.LBB16_75:
	s_or_b64 exec, exec, s[4:5]
	; wave barrier
	buffer_load_dword v39, off, s[0:3], 0 offset:128
	buffer_load_dword v40, off, s[0:3], 0 offset:132
	v_cmp_ne_u32_e32 vcc, 16, v0
	s_waitcnt vmcnt(0)
	ds_write_b64 v38, v[39:40]
	s_waitcnt lgkmcnt(0)
	; wave barrier
	s_and_saveexec_b64 s[4:5], vcc
	s_cbranch_execz .LBB16_79
; %bb.76:
	v_add_u32_e32 v38, 0x90, v37
	v_mov_b32_e32 v36, 0
	s_mov_b64 s[8:9], 0
	v_mov_b32_e32 v39, 0
.LBB16_77:                              ; =>This Inner Loop Header: Depth=1
	buffer_load_dword v42, v37, s[0:3], 0 offen offset:4
	buffer_load_dword v43, v37, s[0:3], 0 offen
	ds_read_b64 v[40:41], v38
	v_add_u32_e32 v35, 1, v35
	v_cmp_lt_u32_e32 vcc, 14, v35
	v_add_u32_e32 v38, 8, v38
	v_add_u32_e32 v37, 8, v37
	s_or_b64 s[8:9], vcc, s[8:9]
	s_waitcnt vmcnt(1) lgkmcnt(0)
	v_mul_f32_e32 v44, v41, v42
	v_mul_f32_e32 v42, v40, v42
	s_waitcnt vmcnt(0)
	v_fma_f32 v40, v40, v43, -v44
	v_fmac_f32_e32 v42, v41, v43
	v_add_f32_e32 v39, v39, v40
	v_add_f32_e32 v36, v36, v42
	s_andn2_b64 exec, exec, s[8:9]
	s_cbranch_execnz .LBB16_77
; %bb.78:
	s_or_b64 exec, exec, s[8:9]
	v_mov_b32_e32 v35, 0
	ds_read_b64 v[37:38], v35 offset:128
	s_waitcnt lgkmcnt(0)
	v_mul_f32_e32 v35, v36, v38
	v_mul_f32_e32 v38, v39, v38
	v_fma_f32 v35, v39, v37, -v35
	v_fmac_f32_e32 v38, v36, v37
	buffer_store_dword v35, off, s[0:3], 0 offset:128
	buffer_store_dword v38, off, s[0:3], 0 offset:132
.LBB16_79:
	s_or_b64 exec, exec, s[4:5]
	s_mov_b64 s[8:9], -1
	; wave barrier
.LBB16_80:
	s_and_b64 vcc, exec, s[8:9]
	s_cbranch_vccz .LBB16_82
; %bb.81:
	s_lshl_b64 s[4:5], s[6:7], 2
	s_add_u32 s4, s10, s4
	s_addc_u32 s5, s11, s5
	v_mov_b32_e32 v35, 0
	global_load_dword v35, v35, s[4:5]
	s_waitcnt vmcnt(0)
	v_cmp_ne_u32_e32 vcc, 0, v35
	s_cbranch_vccz .LBB16_83
.LBB16_82:
	s_endpgm
.LBB16_83:
	v_mov_b32_e32 v35, 0x90
	v_lshl_add_u32 v35, v0, 3, v35
	v_cmp_eq_u32_e32 vcc, 16, v0
	s_and_saveexec_b64 s[4:5], vcc
	s_cbranch_execz .LBB16_85
; %bb.84:
	buffer_load_dword v36, off, s[0:3], 0 offset:120
	buffer_load_dword v37, off, s[0:3], 0 offset:124
	v_mov_b32_e32 v38, 0
	buffer_store_dword v38, off, s[0:3], 0 offset:120
	buffer_store_dword v38, off, s[0:3], 0 offset:124
	s_waitcnt vmcnt(2)
	ds_write_b64 v35, v[36:37]
.LBB16_85:
	s_or_b64 exec, exec, s[4:5]
	s_waitcnt lgkmcnt(0)
	; wave barrier
	buffer_load_dword v39, off, s[0:3], 0 offset:132
	buffer_load_dword v40, off, s[0:3], 0 offset:128
	;; [unrolled: 1-line block ×4, first 2 shown]
	v_mov_b32_e32 v36, 0
	ds_read_b64 v[37:38], v36 offset:272
	v_cmp_lt_u32_e32 vcc, 14, v0
	s_waitcnt vmcnt(3) lgkmcnt(0)
	v_mul_f32_e32 v43, v37, v39
	v_mul_f32_e32 v39, v38, v39
	s_waitcnt vmcnt(2)
	v_fma_f32 v37, v37, v40, -v39
	v_fmac_f32_e32 v43, v38, v40
	v_add_f32_e32 v37, 0, v37
	v_add_f32_e32 v38, 0, v43
	s_waitcnt vmcnt(1)
	v_sub_f32_e32 v37, v41, v37
	s_waitcnt vmcnt(0)
	v_sub_f32_e32 v38, v42, v38
	buffer_store_dword v37, off, s[0:3], 0 offset:120
	buffer_store_dword v38, off, s[0:3], 0 offset:124
	s_and_saveexec_b64 s[4:5], vcc
	s_cbranch_execz .LBB16_87
; %bb.86:
	buffer_load_dword v37, off, s[0:3], 0 offset:112
	buffer_load_dword v38, off, s[0:3], 0 offset:116
	s_waitcnt vmcnt(0)
	ds_write_b64 v35, v[37:38]
	buffer_store_dword v36, off, s[0:3], 0 offset:112
	buffer_store_dword v36, off, s[0:3], 0 offset:116
.LBB16_87:
	s_or_b64 exec, exec, s[4:5]
	s_waitcnt lgkmcnt(0)
	; wave barrier
	buffer_load_dword v40, off, s[0:3], 0 offset:124
	buffer_load_dword v41, off, s[0:3], 0 offset:132
	;; [unrolled: 1-line block ×6, first 2 shown]
	ds_read2_b64 v[36:39], v36 offset0:33 offset1:34
	v_cmp_lt_u32_e32 vcc, 13, v0
	s_waitcnt vmcnt(5) lgkmcnt(0)
	v_mul_f32_e32 v46, v36, v40
	v_mul_f32_e32 v40, v37, v40
	s_waitcnt vmcnt(4)
	v_mul_f32_e32 v47, v38, v41
	v_mul_f32_e32 v41, v39, v41
	s_waitcnt vmcnt(3)
	v_fma_f32 v36, v36, v42, -v40
	v_fmac_f32_e32 v46, v37, v42
	s_waitcnt vmcnt(2)
	v_fma_f32 v37, v38, v43, -v41
	v_add_f32_e32 v36, 0, v36
	v_fmac_f32_e32 v47, v39, v43
	v_add_f32_e32 v38, 0, v46
	v_add_f32_e32 v36, v36, v37
	;; [unrolled: 1-line block ×3, first 2 shown]
	s_waitcnt vmcnt(1)
	v_sub_f32_e32 v36, v44, v36
	s_waitcnt vmcnt(0)
	v_sub_f32_e32 v37, v45, v38
	buffer_store_dword v36, off, s[0:3], 0 offset:112
	buffer_store_dword v37, off, s[0:3], 0 offset:116
	s_and_saveexec_b64 s[4:5], vcc
	s_cbranch_execz .LBB16_89
; %bb.88:
	buffer_load_dword v36, off, s[0:3], 0 offset:104
	buffer_load_dword v37, off, s[0:3], 0 offset:108
	v_mov_b32_e32 v38, 0
	buffer_store_dword v38, off, s[0:3], 0 offset:104
	buffer_store_dword v38, off, s[0:3], 0 offset:108
	s_waitcnt vmcnt(2)
	ds_write_b64 v35, v[36:37]
.LBB16_89:
	s_or_b64 exec, exec, s[4:5]
	s_waitcnt lgkmcnt(0)
	; wave barrier
	buffer_load_dword v43, off, s[0:3], 0 offset:116
	buffer_load_dword v44, off, s[0:3], 0 offset:124
	;; [unrolled: 1-line block ×8, first 2 shown]
	v_mov_b32_e32 v36, 0
	ds_read_b128 v[37:40], v36 offset:256
	ds_read_b64 v[41:42], v36 offset:272
	v_cmp_lt_u32_e32 vcc, 12, v0
	s_waitcnt vmcnt(7) lgkmcnt(1)
	v_mul_f32_e32 v51, v37, v43
	v_mul_f32_e32 v43, v38, v43
	s_waitcnt vmcnt(6)
	v_mul_f32_e32 v52, v39, v44
	v_mul_f32_e32 v44, v40, v44
	s_waitcnt vmcnt(4)
	v_fma_f32 v37, v37, v46, -v43
	s_waitcnt lgkmcnt(0)
	v_mul_f32_e32 v53, v41, v45
	v_mul_f32_e32 v45, v42, v45
	v_fmac_f32_e32 v51, v38, v46
	s_waitcnt vmcnt(3)
	v_fma_f32 v38, v39, v47, -v44
	v_add_f32_e32 v37, 0, v37
	v_fmac_f32_e32 v52, v40, v47
	s_waitcnt vmcnt(2)
	v_fma_f32 v39, v41, v48, -v45
	v_add_f32_e32 v40, 0, v51
	v_add_f32_e32 v37, v37, v38
	v_fmac_f32_e32 v53, v42, v48
	v_add_f32_e32 v40, v40, v52
	v_add_f32_e32 v37, v37, v39
	;; [unrolled: 1-line block ×3, first 2 shown]
	s_waitcnt vmcnt(1)
	v_sub_f32_e32 v37, v49, v37
	s_waitcnt vmcnt(0)
	v_sub_f32_e32 v38, v50, v38
	buffer_store_dword v37, off, s[0:3], 0 offset:104
	buffer_store_dword v38, off, s[0:3], 0 offset:108
	s_and_saveexec_b64 s[4:5], vcc
	s_cbranch_execz .LBB16_91
; %bb.90:
	buffer_load_dword v37, off, s[0:3], 0 offset:96
	buffer_load_dword v38, off, s[0:3], 0 offset:100
	s_waitcnt vmcnt(0)
	ds_write_b64 v35, v[37:38]
	buffer_store_dword v36, off, s[0:3], 0 offset:96
	buffer_store_dword v36, off, s[0:3], 0 offset:100
.LBB16_91:
	s_or_b64 exec, exec, s[4:5]
	s_waitcnt lgkmcnt(0)
	; wave barrier
	buffer_load_dword v45, off, s[0:3], 0 offset:108
	buffer_load_dword v46, off, s[0:3], 0 offset:116
	;; [unrolled: 1-line block ×10, first 2 shown]
	ds_read2_b64 v[37:40], v36 offset0:31 offset1:32
	ds_read2_b64 v[41:44], v36 offset0:33 offset1:34
	v_cmp_lt_u32_e32 vcc, 11, v0
	s_waitcnt vmcnt(9) lgkmcnt(1)
	v_mul_f32_e32 v36, v37, v45
	v_mul_f32_e32 v45, v38, v45
	s_waitcnt vmcnt(8)
	v_mul_f32_e32 v55, v39, v46
	v_mul_f32_e32 v46, v40, v46
	s_waitcnt vmcnt(5)
	v_fma_f32 v37, v37, v49, -v45
	s_waitcnt lgkmcnt(0)
	v_mul_f32_e32 v56, v41, v47
	v_mul_f32_e32 v47, v42, v47
	v_fmac_f32_e32 v36, v38, v49
	s_waitcnt vmcnt(4)
	v_fma_f32 v38, v39, v50, -v46
	v_add_f32_e32 v37, 0, v37
	v_mul_f32_e32 v57, v43, v48
	v_mul_f32_e32 v48, v44, v48
	v_fmac_f32_e32 v55, v40, v50
	s_waitcnt vmcnt(3)
	v_fma_f32 v39, v41, v51, -v47
	v_add_f32_e32 v36, 0, v36
	v_add_f32_e32 v37, v37, v38
	v_fmac_f32_e32 v56, v42, v51
	s_waitcnt vmcnt(2)
	v_fma_f32 v40, v43, v52, -v48
	v_add_f32_e32 v36, v36, v55
	v_add_f32_e32 v37, v37, v39
	v_fmac_f32_e32 v57, v44, v52
	v_add_f32_e32 v36, v36, v56
	v_add_f32_e32 v37, v37, v40
	;; [unrolled: 1-line block ×3, first 2 shown]
	s_waitcnt vmcnt(1)
	v_sub_f32_e32 v37, v53, v37
	s_waitcnt vmcnt(0)
	v_sub_f32_e32 v36, v54, v36
	buffer_store_dword v37, off, s[0:3], 0 offset:96
	buffer_store_dword v36, off, s[0:3], 0 offset:100
	s_and_saveexec_b64 s[4:5], vcc
	s_cbranch_execz .LBB16_93
; %bb.92:
	buffer_load_dword v36, off, s[0:3], 0 offset:88
	buffer_load_dword v37, off, s[0:3], 0 offset:92
	v_mov_b32_e32 v38, 0
	buffer_store_dword v38, off, s[0:3], 0 offset:88
	buffer_store_dword v38, off, s[0:3], 0 offset:92
	s_waitcnt vmcnt(2)
	ds_write_b64 v35, v[36:37]
.LBB16_93:
	s_or_b64 exec, exec, s[4:5]
	v_mov_b32_e32 v36, 0
	s_waitcnt lgkmcnt(0)
	; wave barrier
	ds_read_b128 v[37:40], v36 offset:240
	ds_read_b128 v[41:44], v36 offset:256
	ds_read_b64 v[45:46], v36 offset:272
	buffer_load_dword v47, off, s[0:3], 0 offset:88
	buffer_load_dword v48, off, s[0:3], 0 offset:92
	;; [unrolled: 1-line block ×12, first 2 shown]
	v_cmp_lt_u32_e32 vcc, 10, v0
	s_waitcnt vmcnt(8) lgkmcnt(2)
	v_mul_f32_e32 v59, v37, v50
	v_fmac_f32_e32 v59, v38, v49
	v_mul_f32_e32 v38, v38, v50
	v_fma_f32 v37, v37, v49, -v38
	s_waitcnt vmcnt(6)
	v_mul_f32_e32 v38, v40, v52
	v_mul_f32_e32 v60, v39, v52
	v_add_f32_e32 v37, 0, v37
	v_fma_f32 v38, v39, v51, -v38
	v_add_f32_e32 v59, 0, v59
	v_fmac_f32_e32 v60, v40, v51
	v_add_f32_e32 v37, v37, v38
	s_waitcnt vmcnt(4) lgkmcnt(1)
	v_mul_f32_e32 v38, v42, v54
	v_add_f32_e32 v59, v59, v60
	v_mul_f32_e32 v60, v41, v54
	v_fma_f32 v38, v41, v53, -v38
	v_fmac_f32_e32 v60, v42, v53
	v_add_f32_e32 v37, v37, v38
	s_waitcnt vmcnt(2)
	v_mul_f32_e32 v38, v44, v56
	v_add_f32_e32 v59, v59, v60
	v_mul_f32_e32 v60, v43, v56
	v_fma_f32 v38, v43, v55, -v38
	v_fmac_f32_e32 v60, v44, v55
	v_add_f32_e32 v37, v37, v38
	s_waitcnt vmcnt(0) lgkmcnt(0)
	v_mul_f32_e32 v38, v46, v58
	v_add_f32_e32 v59, v59, v60
	v_mul_f32_e32 v60, v45, v58
	v_fma_f32 v38, v45, v57, -v38
	v_fmac_f32_e32 v60, v46, v57
	v_add_f32_e32 v37, v37, v38
	v_add_f32_e32 v59, v59, v60
	v_sub_f32_e32 v37, v47, v37
	v_sub_f32_e32 v38, v48, v59
	buffer_store_dword v37, off, s[0:3], 0 offset:88
	buffer_store_dword v38, off, s[0:3], 0 offset:92
	s_and_saveexec_b64 s[4:5], vcc
	s_cbranch_execz .LBB16_95
; %bb.94:
	buffer_load_dword v37, off, s[0:3], 0 offset:80
	buffer_load_dword v38, off, s[0:3], 0 offset:84
	s_waitcnt vmcnt(0)
	ds_write_b64 v35, v[37:38]
	buffer_store_dword v36, off, s[0:3], 0 offset:80
	buffer_store_dword v36, off, s[0:3], 0 offset:84
.LBB16_95:
	s_or_b64 exec, exec, s[4:5]
	s_waitcnt lgkmcnt(0)
	; wave barrier
	buffer_load_dword v49, off, s[0:3], 0 offset:92
	buffer_load_dword v50, off, s[0:3], 0 offset:100
	;; [unrolled: 1-line block ×14, first 2 shown]
	ds_read2_b64 v[37:40], v36 offset0:29 offset1:30
	ds_read2_b64 v[41:44], v36 offset0:31 offset1:32
	;; [unrolled: 1-line block ×3, first 2 shown]
	v_cmp_lt_u32_e32 vcc, 9, v0
	s_waitcnt vmcnt(13) lgkmcnt(2)
	v_mul_f32_e32 v36, v37, v49
	v_mul_f32_e32 v49, v38, v49
	s_waitcnt vmcnt(12)
	v_mul_f32_e32 v63, v39, v50
	v_mul_f32_e32 v50, v40, v50
	s_waitcnt vmcnt(11) lgkmcnt(1)
	v_mul_f32_e32 v64, v41, v51
	v_mul_f32_e32 v51, v42, v51
	s_waitcnt vmcnt(7)
	v_fma_f32 v37, v37, v55, -v49
	v_fmac_f32_e32 v36, v38, v55
	s_waitcnt vmcnt(6)
	v_fma_f32 v38, v39, v56, -v50
	v_add_f32_e32 v37, 0, v37
	v_mul_f32_e32 v65, v43, v52
	v_mul_f32_e32 v52, v44, v52
	v_fmac_f32_e32 v63, v40, v56
	s_waitcnt vmcnt(5)
	v_fma_f32 v39, v41, v57, -v51
	v_add_f32_e32 v36, 0, v36
	v_add_f32_e32 v37, v37, v38
	s_waitcnt lgkmcnt(0)
	v_mul_f32_e32 v66, v45, v53
	v_mul_f32_e32 v53, v46, v53
	v_fmac_f32_e32 v64, v42, v57
	s_waitcnt vmcnt(4)
	v_fma_f32 v40, v43, v58, -v52
	v_add_f32_e32 v36, v36, v63
	v_add_f32_e32 v37, v37, v39
	v_mul_f32_e32 v67, v47, v54
	v_mul_f32_e32 v54, v48, v54
	v_fmac_f32_e32 v65, v44, v58
	s_waitcnt vmcnt(3)
	v_fma_f32 v41, v45, v59, -v53
	v_add_f32_e32 v36, v36, v64
	v_add_f32_e32 v37, v37, v40
	v_fmac_f32_e32 v66, v46, v59
	s_waitcnt vmcnt(2)
	v_fma_f32 v42, v47, v60, -v54
	v_add_f32_e32 v36, v36, v65
	v_add_f32_e32 v37, v37, v41
	v_fmac_f32_e32 v67, v48, v60
	v_add_f32_e32 v36, v36, v66
	v_add_f32_e32 v37, v37, v42
	;; [unrolled: 1-line block ×3, first 2 shown]
	s_waitcnt vmcnt(1)
	v_sub_f32_e32 v37, v61, v37
	s_waitcnt vmcnt(0)
	v_sub_f32_e32 v36, v62, v36
	buffer_store_dword v37, off, s[0:3], 0 offset:80
	buffer_store_dword v36, off, s[0:3], 0 offset:84
	s_and_saveexec_b64 s[4:5], vcc
	s_cbranch_execz .LBB16_97
; %bb.96:
	buffer_load_dword v36, off, s[0:3], 0 offset:72
	buffer_load_dword v37, off, s[0:3], 0 offset:76
	v_mov_b32_e32 v38, 0
	buffer_store_dword v38, off, s[0:3], 0 offset:72
	buffer_store_dword v38, off, s[0:3], 0 offset:76
	s_waitcnt vmcnt(2)
	ds_write_b64 v35, v[36:37]
.LBB16_97:
	s_or_b64 exec, exec, s[4:5]
	s_waitcnt lgkmcnt(0)
	; wave barrier
	buffer_load_dword v51, off, s[0:3], 0 offset:84
	buffer_load_dword v52, off, s[0:3], 0 offset:92
	;; [unrolled: 1-line block ×16, first 2 shown]
	v_mov_b32_e32 v36, 0
	ds_read_b128 v[37:40], v36 offset:224
	ds_read_b128 v[41:44], v36 offset:240
	;; [unrolled: 1-line block ×3, first 2 shown]
	ds_read_b64 v[49:50], v36 offset:272
	v_cmp_lt_u32_e32 vcc, 8, v0
	s_waitcnt vmcnt(15) lgkmcnt(3)
	v_mul_f32_e32 v67, v37, v51
	v_mul_f32_e32 v51, v38, v51
	s_waitcnt vmcnt(14)
	v_mul_f32_e32 v68, v39, v52
	v_mul_f32_e32 v52, v40, v52
	s_waitcnt vmcnt(13) lgkmcnt(2)
	v_mul_f32_e32 v69, v41, v53
	s_waitcnt vmcnt(12)
	v_mul_f32_e32 v70, v43, v54
	v_mul_f32_e32 v53, v42, v53
	s_waitcnt vmcnt(8)
	v_fma_f32 v37, v37, v58, -v51
	v_fmac_f32_e32 v67, v38, v58
	s_waitcnt vmcnt(7)
	v_fma_f32 v38, v39, v59, -v52
	v_add_f32_e32 v37, 0, v37
	v_mul_f32_e32 v54, v44, v54
	v_fmac_f32_e32 v68, v40, v59
	s_waitcnt vmcnt(5)
	v_fmac_f32_e32 v70, v44, v61
	v_fma_f32 v39, v41, v60, -v53
	v_add_f32_e32 v44, 0, v67
	v_add_f32_e32 v37, v37, v38
	s_waitcnt lgkmcnt(1)
	v_mul_f32_e32 v71, v45, v55
	v_mul_f32_e32 v55, v46, v55
	v_fmac_f32_e32 v69, v42, v60
	v_fma_f32 v40, v43, v61, -v54
	v_add_f32_e32 v44, v44, v68
	v_add_f32_e32 v37, v37, v39
	v_mul_f32_e32 v72, v47, v56
	v_mul_f32_e32 v56, v48, v56
	s_waitcnt vmcnt(4)
	v_fma_f32 v41, v45, v62, -v55
	v_add_f32_e32 v38, v44, v69
	v_add_f32_e32 v37, v37, v40
	s_waitcnt lgkmcnt(0)
	v_mul_f32_e32 v73, v49, v57
	v_mul_f32_e32 v57, v50, v57
	v_fmac_f32_e32 v71, v46, v62
	s_waitcnt vmcnt(3)
	v_fma_f32 v42, v47, v63, -v56
	v_add_f32_e32 v38, v38, v70
	v_add_f32_e32 v37, v37, v41
	v_fmac_f32_e32 v72, v48, v63
	s_waitcnt vmcnt(2)
	v_fma_f32 v43, v49, v64, -v57
	v_add_f32_e32 v38, v38, v71
	v_add_f32_e32 v37, v37, v42
	v_fmac_f32_e32 v73, v50, v64
	v_add_f32_e32 v38, v38, v72
	v_add_f32_e32 v37, v37, v43
	;; [unrolled: 1-line block ×3, first 2 shown]
	s_waitcnt vmcnt(1)
	v_sub_f32_e32 v37, v65, v37
	s_waitcnt vmcnt(0)
	v_sub_f32_e32 v38, v66, v38
	buffer_store_dword v37, off, s[0:3], 0 offset:72
	buffer_store_dword v38, off, s[0:3], 0 offset:76
	s_and_saveexec_b64 s[4:5], vcc
	s_cbranch_execz .LBB16_99
; %bb.98:
	buffer_load_dword v37, off, s[0:3], 0 offset:64
	buffer_load_dword v38, off, s[0:3], 0 offset:68
	s_waitcnt vmcnt(0)
	ds_write_b64 v35, v[37:38]
	buffer_store_dword v36, off, s[0:3], 0 offset:64
	buffer_store_dword v36, off, s[0:3], 0 offset:68
.LBB16_99:
	s_or_b64 exec, exec, s[4:5]
	s_waitcnt lgkmcnt(0)
	; wave barrier
	buffer_load_dword v53, off, s[0:3], 0 offset:76
	buffer_load_dword v54, off, s[0:3], 0 offset:84
	;; [unrolled: 1-line block ×18, first 2 shown]
	ds_read2_b64 v[37:40], v36 offset0:27 offset1:28
	ds_read2_b64 v[41:44], v36 offset0:29 offset1:30
	;; [unrolled: 1-line block ×4, first 2 shown]
	v_cmp_lt_u32_e32 vcc, 7, v0
	s_waitcnt vmcnt(17) lgkmcnt(3)
	v_mul_f32_e32 v36, v37, v53
	v_mul_f32_e32 v53, v38, v53
	s_waitcnt vmcnt(16)
	v_mul_f32_e32 v71, v39, v54
	v_mul_f32_e32 v54, v40, v54
	s_waitcnt vmcnt(15) lgkmcnt(2)
	v_mul_f32_e32 v72, v41, v55
	v_mul_f32_e32 v55, v42, v55
	s_waitcnt vmcnt(14)
	v_mul_f32_e32 v73, v43, v56
	v_mul_f32_e32 v56, v44, v56
	s_waitcnt vmcnt(9)
	v_fma_f32 v37, v37, v61, -v53
	v_fmac_f32_e32 v36, v38, v61
	s_waitcnt vmcnt(8)
	v_fma_f32 v38, v39, v62, -v54
	v_add_f32_e32 v37, 0, v37
	v_fmac_f32_e32 v71, v40, v62
	s_waitcnt vmcnt(7)
	v_fma_f32 v39, v41, v63, -v55
	v_add_f32_e32 v36, 0, v36
	v_add_f32_e32 v37, v37, v38
	s_waitcnt lgkmcnt(1)
	v_mul_f32_e32 v74, v45, v57
	v_mul_f32_e32 v57, v46, v57
	v_fmac_f32_e32 v72, v42, v63
	s_waitcnt vmcnt(6)
	v_fma_f32 v40, v43, v64, -v56
	v_add_f32_e32 v36, v36, v71
	v_add_f32_e32 v37, v37, v39
	v_mul_f32_e32 v75, v47, v58
	v_mul_f32_e32 v58, v48, v58
	v_fmac_f32_e32 v73, v44, v64
	s_waitcnt vmcnt(5)
	v_fma_f32 v41, v45, v65, -v57
	v_add_f32_e32 v36, v36, v72
	v_add_f32_e32 v37, v37, v40
	s_waitcnt lgkmcnt(0)
	v_mul_f32_e32 v76, v49, v59
	v_mul_f32_e32 v59, v50, v59
	v_fmac_f32_e32 v74, v46, v65
	s_waitcnt vmcnt(4)
	v_fma_f32 v42, v47, v66, -v58
	v_add_f32_e32 v36, v36, v73
	v_add_f32_e32 v37, v37, v41
	v_mul_f32_e32 v77, v51, v60
	v_mul_f32_e32 v60, v52, v60
	v_fmac_f32_e32 v75, v48, v66
	s_waitcnt vmcnt(3)
	v_fma_f32 v43, v49, v67, -v59
	v_add_f32_e32 v36, v36, v74
	v_add_f32_e32 v37, v37, v42
	v_fmac_f32_e32 v76, v50, v67
	s_waitcnt vmcnt(2)
	v_fma_f32 v44, v51, v68, -v60
	v_add_f32_e32 v36, v36, v75
	v_add_f32_e32 v37, v37, v43
	v_fmac_f32_e32 v77, v52, v68
	v_add_f32_e32 v36, v36, v76
	v_add_f32_e32 v37, v37, v44
	;; [unrolled: 1-line block ×3, first 2 shown]
	s_waitcnt vmcnt(1)
	v_sub_f32_e32 v37, v69, v37
	s_waitcnt vmcnt(0)
	v_sub_f32_e32 v36, v70, v36
	buffer_store_dword v37, off, s[0:3], 0 offset:64
	buffer_store_dword v36, off, s[0:3], 0 offset:68
	s_and_saveexec_b64 s[4:5], vcc
	s_cbranch_execz .LBB16_101
; %bb.100:
	buffer_load_dword v36, off, s[0:3], 0 offset:56
	buffer_load_dword v37, off, s[0:3], 0 offset:60
	v_mov_b32_e32 v38, 0
	buffer_store_dword v38, off, s[0:3], 0 offset:56
	buffer_store_dword v38, off, s[0:3], 0 offset:60
	s_waitcnt vmcnt(2)
	ds_write_b64 v35, v[36:37]
.LBB16_101:
	s_or_b64 exec, exec, s[4:5]
	v_mov_b32_e32 v36, 0
	s_waitcnt lgkmcnt(0)
	; wave barrier
	ds_read_b128 v[37:40], v36 offset:208
	ds_read_b128 v[41:44], v36 offset:224
	;; [unrolled: 1-line block ×4, first 2 shown]
	buffer_load_dword v55, off, s[0:3], 0 offset:56
	buffer_load_dword v56, off, s[0:3], 0 offset:60
	;; [unrolled: 1-line block ×18, first 2 shown]
	v_cmp_lt_u32_e32 vcc, 6, v0
	s_waitcnt vmcnt(14) lgkmcnt(3)
	v_mul_f32_e32 v53, v37, v58
	v_fmac_f32_e32 v53, v38, v57
	s_waitcnt vmcnt(12)
	v_mul_f32_e32 v54, v39, v60
	v_add_f32_e32 v53, 0, v53
	v_fmac_f32_e32 v54, v40, v59
	v_add_f32_e32 v53, v53, v54
	s_waitcnt vmcnt(10) lgkmcnt(2)
	v_mul_f32_e32 v54, v41, v62
	v_fmac_f32_e32 v54, v42, v61
	v_add_f32_e32 v53, v53, v54
	s_waitcnt vmcnt(8)
	v_mul_f32_e32 v54, v43, v64
	v_fmac_f32_e32 v54, v44, v63
	v_add_f32_e32 v53, v53, v54
	s_waitcnt vmcnt(6) lgkmcnt(1)
	v_mul_f32_e32 v54, v45, v66
	v_fmac_f32_e32 v54, v46, v65
	v_add_f32_e32 v53, v53, v54
	s_waitcnt vmcnt(4)
	v_mul_f32_e32 v54, v47, v68
	;; [unrolled: 8-line block ×3, first 2 shown]
	v_fmac_f32_e32 v54, v52, v71
	v_add_f32_e32 v73, v53, v54
	ds_read_b64 v[53:54], v36 offset:272
	buffer_load_dword v74, off, s[0:3], 0 offset:128
	buffer_load_dword v75, off, s[0:3], 0 offset:132
	v_mul_f32_e32 v38, v38, v58
	v_fma_f32 v37, v37, v57, -v38
	v_mul_f32_e32 v38, v40, v60
	v_add_f32_e32 v37, 0, v37
	v_fma_f32 v38, v39, v59, -v38
	v_add_f32_e32 v37, v37, v38
	v_mul_f32_e32 v38, v42, v62
	v_fma_f32 v38, v41, v61, -v38
	v_add_f32_e32 v37, v37, v38
	v_mul_f32_e32 v38, v44, v64
	;; [unrolled: 3-line block ×6, first 2 shown]
	v_fma_f32 v38, v51, v71, -v38
	v_add_f32_e32 v37, v37, v38
	s_waitcnt vmcnt(0) lgkmcnt(0)
	v_mul_f32_e32 v38, v54, v75
	v_mul_f32_e32 v76, v53, v75
	v_fma_f32 v38, v53, v74, -v38
	v_fmac_f32_e32 v76, v54, v74
	v_add_f32_e32 v37, v37, v38
	v_add_f32_e32 v73, v73, v76
	v_sub_f32_e32 v37, v55, v37
	v_sub_f32_e32 v38, v56, v73
	buffer_store_dword v37, off, s[0:3], 0 offset:56
	buffer_store_dword v38, off, s[0:3], 0 offset:60
	s_and_saveexec_b64 s[4:5], vcc
	s_cbranch_execz .LBB16_103
; %bb.102:
	buffer_load_dword v37, off, s[0:3], 0 offset:48
	buffer_load_dword v38, off, s[0:3], 0 offset:52
	s_waitcnt vmcnt(0)
	ds_write_b64 v35, v[37:38]
	buffer_store_dword v36, off, s[0:3], 0 offset:48
	buffer_store_dword v36, off, s[0:3], 0 offset:52
.LBB16_103:
	s_or_b64 exec, exec, s[4:5]
	s_waitcnt lgkmcnt(0)
	; wave barrier
	ds_read2_b64 v[37:40], v36 offset0:25 offset1:26
	buffer_load_dword v57, off, s[0:3], 0 offset:48
	buffer_load_dword v58, off, s[0:3], 0 offset:52
	;; [unrolled: 1-line block ×16, first 2 shown]
	v_cmp_lt_u32_e32 vcc, 5, v0
	s_waitcnt vmcnt(12) lgkmcnt(0)
	v_mul_f32_e32 v41, v37, v60
	v_fmac_f32_e32 v41, v38, v59
	s_waitcnt vmcnt(10)
	v_mul_f32_e32 v42, v39, v62
	v_add_f32_e32 v41, 0, v41
	v_fmac_f32_e32 v42, v40, v61
	v_add_f32_e32 v45, v41, v42
	ds_read2_b64 v[41:44], v36 offset0:27 offset1:28
	v_mul_f32_e32 v38, v38, v60
	v_fma_f32 v37, v37, v59, -v38
	v_mul_f32_e32 v38, v40, v62
	v_add_f32_e32 v37, 0, v37
	s_waitcnt vmcnt(8) lgkmcnt(0)
	v_mul_f32_e32 v46, v41, v64
	v_fmac_f32_e32 v46, v42, v63
	v_add_f32_e32 v45, v45, v46
	s_waitcnt vmcnt(6)
	v_mul_f32_e32 v46, v43, v66
	v_fmac_f32_e32 v46, v44, v65
	v_add_f32_e32 v49, v45, v46
	ds_read2_b64 v[45:48], v36 offset0:29 offset1:30
	v_fma_f32 v38, v39, v61, -v38
	v_add_f32_e32 v37, v37, v38
	v_mul_f32_e32 v38, v42, v64
	v_fma_f32 v38, v41, v63, -v38
	s_waitcnt vmcnt(4) lgkmcnt(0)
	v_mul_f32_e32 v50, v45, v68
	v_fmac_f32_e32 v50, v46, v67
	v_add_f32_e32 v49, v49, v50
	s_waitcnt vmcnt(2)
	v_mul_f32_e32 v50, v47, v70
	v_fmac_f32_e32 v50, v48, v69
	v_add_f32_e32 v53, v49, v50
	ds_read2_b64 v[49:52], v36 offset0:31 offset1:32
	buffer_load_dword v73, off, s[0:3], 0 offset:112
	buffer_load_dword v74, off, s[0:3], 0 offset:116
	v_add_f32_e32 v37, v37, v38
	v_mul_f32_e32 v38, v44, v66
	v_fma_f32 v38, v43, v65, -v38
	s_waitcnt vmcnt(2) lgkmcnt(0)
	v_mul_f32_e32 v54, v49, v72
	v_fmac_f32_e32 v54, v50, v71
	v_add_f32_e32 v53, v53, v54
	v_add_f32_e32 v37, v37, v38
	v_mul_f32_e32 v38, v46, v68
	v_fma_f32 v38, v45, v67, -v38
	v_add_f32_e32 v37, v37, v38
	v_mul_f32_e32 v38, v48, v70
	v_fma_f32 v38, v47, v69, -v38
	;; [unrolled: 3-line block ×3, first 2 shown]
	v_add_f32_e32 v37, v37, v38
	s_waitcnt vmcnt(0)
	v_mul_f32_e32 v54, v51, v74
	v_fmac_f32_e32 v54, v52, v73
	v_add_f32_e32 v75, v53, v54
	ds_read2_b64 v[53:56], v36 offset0:33 offset1:34
	buffer_load_dword v36, off, s[0:3], 0 offset:120
	buffer_load_dword v76, off, s[0:3], 0 offset:124
	v_mul_f32_e32 v38, v52, v74
	v_fma_f32 v38, v51, v73, -v38
	v_add_f32_e32 v37, v37, v38
	s_waitcnt vmcnt(0) lgkmcnt(0)
	v_mul_f32_e32 v77, v53, v76
	v_fmac_f32_e32 v77, v54, v36
	v_add_f32_e32 v75, v75, v77
	buffer_load_dword v77, off, s[0:3], 0 offset:128
	buffer_load_dword v78, off, s[0:3], 0 offset:132
	v_mul_f32_e32 v38, v54, v76
	v_fma_f32 v36, v53, v36, -v38
	v_add_f32_e32 v36, v37, v36
	s_waitcnt vmcnt(0)
	v_mul_f32_e32 v37, v56, v78
	v_mul_f32_e32 v79, v55, v78
	v_fma_f32 v37, v55, v77, -v37
	v_fmac_f32_e32 v79, v56, v77
	v_add_f32_e32 v36, v36, v37
	v_add_f32_e32 v75, v75, v79
	v_sub_f32_e32 v36, v57, v36
	v_sub_f32_e32 v37, v58, v75
	buffer_store_dword v36, off, s[0:3], 0 offset:48
	buffer_store_dword v37, off, s[0:3], 0 offset:52
	s_and_saveexec_b64 s[4:5], vcc
	s_cbranch_execz .LBB16_105
; %bb.104:
	buffer_load_dword v36, off, s[0:3], 0 offset:40
	buffer_load_dword v37, off, s[0:3], 0 offset:44
	v_mov_b32_e32 v38, 0
	buffer_store_dword v38, off, s[0:3], 0 offset:40
	buffer_store_dword v38, off, s[0:3], 0 offset:44
	s_waitcnt vmcnt(2)
	ds_write_b64 v35, v[36:37]
.LBB16_105:
	s_or_b64 exec, exec, s[4:5]
	s_waitcnt lgkmcnt(0)
	; wave barrier
	buffer_load_dword v59, off, s[0:3], 0 offset:52
	buffer_load_dword v60, off, s[0:3], 0 offset:60
	;; [unrolled: 1-line block ×24, first 2 shown]
	v_mov_b32_e32 v36, 0
	ds_read_b128 v[37:40], v36 offset:192
	ds_read_b128 v[41:44], v36 offset:208
	;; [unrolled: 1-line block ×5, first 2 shown]
	ds_read_b64 v[57:58], v36 offset:272
	v_cmp_lt_u32_e32 vcc, 4, v0
	s_waitcnt vmcnt(23) lgkmcnt(5)
	v_mul_f32_e32 v83, v37, v59
	v_mul_f32_e32 v59, v38, v59
	s_waitcnt vmcnt(22)
	v_mul_f32_e32 v84, v39, v60
	v_mul_f32_e32 v60, v40, v60
	s_waitcnt vmcnt(21) lgkmcnt(4)
	v_mul_f32_e32 v85, v41, v61
	v_mul_f32_e32 v61, v42, v61
	s_waitcnt vmcnt(20)
	v_mul_f32_e32 v86, v43, v62
	s_waitcnt vmcnt(19) lgkmcnt(3)
	v_mul_f32_e32 v87, v45, v63
	v_mul_f32_e32 v62, v44, v62
	;; [unrolled: 1-line block ×3, first 2 shown]
	s_waitcnt vmcnt(18)
	v_mul_f32_e32 v88, v47, v64
	s_waitcnt vmcnt(12)
	v_fma_f32 v37, v37, v70, -v59
	v_fmac_f32_e32 v83, v38, v70
	s_waitcnt vmcnt(11)
	v_fma_f32 v38, v39, v71, -v60
	v_add_f32_e32 v37, 0, v37
	s_waitcnt vmcnt(10)
	v_fma_f32 v39, v41, v72, -v61
	v_add_f32_e32 v37, v37, v38
	v_fmac_f32_e32 v84, v40, v71
	s_waitcnt vmcnt(8)
	v_fmac_f32_e32 v87, v46, v74
	v_fma_f32 v40, v43, v73, -v62
	v_add_f32_e32 v46, 0, v83
	v_add_f32_e32 v37, v37, v39
	v_mul_f32_e32 v64, v48, v64
	v_fmac_f32_e32 v85, v42, v72
	v_fma_f32 v41, v45, v74, -v63
	v_add_f32_e32 v46, v46, v84
	v_add_f32_e32 v37, v37, v40
	s_waitcnt lgkmcnt(2)
	v_mul_f32_e32 v89, v49, v65
	v_mul_f32_e32 v65, v50, v65
	v_fmac_f32_e32 v86, v44, v73
	s_waitcnt vmcnt(7)
	v_fma_f32 v42, v47, v75, -v64
	v_add_f32_e32 v38, v46, v85
	v_add_f32_e32 v37, v37, v41
	v_mul_f32_e32 v90, v51, v66
	v_mul_f32_e32 v66, v52, v66
	s_waitcnt vmcnt(6)
	v_fma_f32 v43, v49, v76, -v65
	v_add_f32_e32 v38, v38, v86
	v_add_f32_e32 v37, v37, v42
	s_waitcnt lgkmcnt(1)
	v_mul_f32_e32 v91, v53, v67
	v_mul_f32_e32 v67, v54, v67
	v_fmac_f32_e32 v88, v48, v75
	s_waitcnt vmcnt(5)
	v_fma_f32 v44, v51, v77, -v66
	v_add_f32_e32 v38, v38, v87
	v_add_f32_e32 v37, v37, v43
	v_fmac_f32_e32 v89, v50, v76
	s_waitcnt vmcnt(4)
	v_fma_f32 v45, v53, v78, -v67
	v_add_f32_e32 v38, v38, v88
	v_add_f32_e32 v37, v37, v44
	v_mul_f32_e32 v39, v56, v68
	v_fmac_f32_e32 v90, v52, v77
	v_add_f32_e32 v38, v38, v89
	v_add_f32_e32 v37, v37, v45
	s_waitcnt vmcnt(3)
	v_fma_f32 v39, v55, v79, -v39
	v_mul_f32_e32 v92, v55, v68
	v_fmac_f32_e32 v91, v54, v78
	v_add_f32_e32 v38, v38, v90
	v_add_f32_e32 v37, v37, v39
	s_waitcnt lgkmcnt(0)
	v_mul_f32_e32 v39, v58, v69
	v_mul_f32_e32 v93, v57, v69
	v_fmac_f32_e32 v92, v56, v79
	v_add_f32_e32 v38, v38, v91
	s_waitcnt vmcnt(2)
	v_fma_f32 v39, v57, v80, -v39
	v_fmac_f32_e32 v93, v58, v80
	v_add_f32_e32 v38, v38, v92
	v_add_f32_e32 v37, v37, v39
	;; [unrolled: 1-line block ×3, first 2 shown]
	s_waitcnt vmcnt(1)
	v_sub_f32_e32 v37, v81, v37
	s_waitcnt vmcnt(0)
	v_sub_f32_e32 v38, v82, v38
	buffer_store_dword v37, off, s[0:3], 0 offset:40
	buffer_store_dword v38, off, s[0:3], 0 offset:44
	s_and_saveexec_b64 s[4:5], vcc
	s_cbranch_execz .LBB16_107
; %bb.106:
	buffer_load_dword v37, off, s[0:3], 0 offset:32
	buffer_load_dword v38, off, s[0:3], 0 offset:36
	s_waitcnt vmcnt(0)
	ds_write_b64 v35, v[37:38]
	buffer_store_dword v36, off, s[0:3], 0 offset:32
	buffer_store_dword v36, off, s[0:3], 0 offset:36
.LBB16_107:
	s_or_b64 exec, exec, s[4:5]
	s_waitcnt lgkmcnt(0)
	; wave barrier
	buffer_load_dword v61, off, s[0:3], 0 offset:44
	buffer_load_dword v62, off, s[0:3], 0 offset:52
	buffer_load_dword v63, off, s[0:3], 0 offset:60
	buffer_load_dword v64, off, s[0:3], 0 offset:68
	buffer_load_dword v65, off, s[0:3], 0 offset:76
	buffer_load_dword v66, off, s[0:3], 0 offset:84
	buffer_load_dword v67, off, s[0:3], 0 offset:92
	buffer_load_dword v68, off, s[0:3], 0 offset:100
	buffer_load_dword v69, off, s[0:3], 0 offset:108
	buffer_load_dword v70, off, s[0:3], 0 offset:116
	buffer_load_dword v71, off, s[0:3], 0 offset:124
	buffer_load_dword v72, off, s[0:3], 0 offset:132
	buffer_load_dword v73, off, s[0:3], 0 offset:40
	buffer_load_dword v74, off, s[0:3], 0 offset:48
	buffer_load_dword v75, off, s[0:3], 0 offset:56
	buffer_load_dword v76, off, s[0:3], 0 offset:64
	buffer_load_dword v77, off, s[0:3], 0 offset:72
	buffer_load_dword v78, off, s[0:3], 0 offset:80
	buffer_load_dword v79, off, s[0:3], 0 offset:88
	buffer_load_dword v80, off, s[0:3], 0 offset:96
	buffer_load_dword v81, off, s[0:3], 0 offset:104
	buffer_load_dword v82, off, s[0:3], 0 offset:112
	buffer_load_dword v83, off, s[0:3], 0 offset:120
	buffer_load_dword v84, off, s[0:3], 0 offset:128
	buffer_load_dword v85, off, s[0:3], 0 offset:32
	buffer_load_dword v86, off, s[0:3], 0 offset:36
	ds_read2_b64 v[37:40], v36 offset0:23 offset1:24
	ds_read2_b64 v[41:44], v36 offset0:25 offset1:26
	;; [unrolled: 1-line block ×6, first 2 shown]
	v_cmp_lt_u32_e32 vcc, 3, v0
	s_waitcnt vmcnt(25) lgkmcnt(5)
	v_mul_f32_e32 v36, v37, v61
	v_mul_f32_e32 v61, v38, v61
	s_waitcnt vmcnt(24)
	v_mul_f32_e32 v87, v39, v62
	v_mul_f32_e32 v62, v40, v62
	s_waitcnt vmcnt(23) lgkmcnt(4)
	v_mul_f32_e32 v88, v41, v63
	v_mul_f32_e32 v63, v42, v63
	s_waitcnt vmcnt(22)
	v_mul_f32_e32 v89, v43, v64
	v_mul_f32_e32 v64, v44, v64
	s_waitcnt vmcnt(21) lgkmcnt(3)
	v_mul_f32_e32 v90, v45, v65
	v_mul_f32_e32 v65, v46, v65
	s_waitcnt vmcnt(20)
	v_mul_f32_e32 v91, v47, v66
	v_mul_f32_e32 v66, v48, v66
	s_waitcnt vmcnt(13)
	v_fma_f32 v37, v37, v73, -v61
	v_fmac_f32_e32 v36, v38, v73
	s_waitcnt vmcnt(12)
	v_fma_f32 v38, v39, v74, -v62
	v_add_f32_e32 v37, 0, v37
	s_waitcnt vmcnt(11)
	v_fma_f32 v39, v41, v75, -v63
	v_add_f32_e32 v37, v37, v38
	v_fmac_f32_e32 v87, v40, v74
	s_waitcnt vmcnt(10)
	v_fma_f32 v40, v43, v76, -v64
	v_add_f32_e32 v37, v37, v39
	s_waitcnt vmcnt(9)
	v_fma_f32 v41, v45, v77, -v65
	v_add_f32_e32 v37, v37, v40
	s_waitcnt lgkmcnt(2)
	v_mul_f32_e32 v92, v49, v67
	v_mul_f32_e32 v67, v50, v67
	v_fmac_f32_e32 v88, v42, v75
	s_waitcnt vmcnt(8)
	v_fma_f32 v42, v47, v78, -v66
	v_add_f32_e32 v36, 0, v36
	v_add_f32_e32 v37, v37, v41
	v_mul_f32_e32 v93, v51, v68
	v_mul_f32_e32 v68, v52, v68
	s_waitcnt vmcnt(7)
	v_fma_f32 v43, v49, v79, -v67
	v_add_f32_e32 v36, v36, v87
	v_add_f32_e32 v37, v37, v42
	v_fmac_f32_e32 v89, v44, v76
	s_waitcnt vmcnt(6)
	v_fma_f32 v44, v51, v80, -v68
	v_add_f32_e32 v36, v36, v88
	v_add_f32_e32 v37, v37, v43
	s_waitcnt lgkmcnt(1)
	v_mul_f32_e32 v38, v54, v69
	v_fmac_f32_e32 v90, v46, v77
	v_add_f32_e32 v36, v36, v89
	v_add_f32_e32 v37, v37, v44
	s_waitcnt vmcnt(5)
	v_fma_f32 v38, v53, v81, -v38
	v_fmac_f32_e32 v91, v48, v78
	v_add_f32_e32 v36, v36, v90
	v_add_f32_e32 v37, v37, v38
	v_mul_f32_e32 v38, v56, v70
	v_fmac_f32_e32 v92, v50, v79
	v_add_f32_e32 v36, v36, v91
	s_waitcnt vmcnt(4)
	v_fma_f32 v38, v55, v82, -v38
	v_mul_f32_e32 v94, v53, v69
	v_fmac_f32_e32 v93, v52, v80
	v_add_f32_e32 v36, v36, v92
	v_add_f32_e32 v37, v37, v38
	s_waitcnt lgkmcnt(0)
	v_mul_f32_e32 v38, v58, v71
	v_mul_f32_e32 v95, v55, v70
	v_fmac_f32_e32 v94, v54, v81
	v_add_f32_e32 v36, v36, v93
	s_waitcnt vmcnt(3)
	v_fma_f32 v38, v57, v83, -v38
	v_mul_f32_e32 v96, v57, v71
	v_fmac_f32_e32 v95, v56, v82
	v_add_f32_e32 v36, v36, v94
	v_add_f32_e32 v37, v37, v38
	v_mul_f32_e32 v38, v60, v72
	v_mul_f32_e32 v97, v59, v72
	v_fmac_f32_e32 v96, v58, v83
	v_add_f32_e32 v36, v36, v95
	s_waitcnt vmcnt(2)
	v_fma_f32 v38, v59, v84, -v38
	v_fmac_f32_e32 v97, v60, v84
	v_add_f32_e32 v36, v36, v96
	v_add_f32_e32 v37, v37, v38
	;; [unrolled: 1-line block ×3, first 2 shown]
	s_waitcnt vmcnt(1)
	v_sub_f32_e32 v37, v85, v37
	s_waitcnt vmcnt(0)
	v_sub_f32_e32 v36, v86, v36
	buffer_store_dword v37, off, s[0:3], 0 offset:32
	buffer_store_dword v36, off, s[0:3], 0 offset:36
	s_and_saveexec_b64 s[4:5], vcc
	s_cbranch_execz .LBB16_109
; %bb.108:
	buffer_load_dword v36, off, s[0:3], 0 offset:24
	buffer_load_dword v37, off, s[0:3], 0 offset:28
	v_mov_b32_e32 v38, 0
	buffer_store_dword v38, off, s[0:3], 0 offset:24
	buffer_store_dword v38, off, s[0:3], 0 offset:28
	s_waitcnt vmcnt(2)
	ds_write_b64 v35, v[36:37]
.LBB16_109:
	s_or_b64 exec, exec, s[4:5]
	s_waitcnt lgkmcnt(0)
	; wave barrier
	buffer_load_dword v63, off, s[0:3], 0 offset:36
	buffer_load_dword v64, off, s[0:3], 0 offset:44
	;; [unrolled: 1-line block ×28, first 2 shown]
	v_mov_b32_e32 v36, 0
	ds_read_b128 v[37:40], v36 offset:176
	ds_read_b128 v[41:44], v36 offset:192
	;; [unrolled: 1-line block ×6, first 2 shown]
	ds_read_b64 v[61:62], v36 offset:272
	v_cmp_lt_u32_e32 vcc, 2, v0
	s_waitcnt vmcnt(27) lgkmcnt(6)
	v_mul_f32_e32 v91, v37, v63
	v_mul_f32_e32 v63, v38, v63
	s_waitcnt vmcnt(26)
	v_mul_f32_e32 v92, v39, v64
	v_mul_f32_e32 v64, v40, v64
	s_waitcnt vmcnt(25) lgkmcnt(5)
	v_mul_f32_e32 v93, v41, v65
	v_mul_f32_e32 v65, v42, v65
	s_waitcnt vmcnt(24)
	v_mul_f32_e32 v94, v43, v66
	v_mul_f32_e32 v66, v44, v66
	;; [unrolled: 6-line block ×3, first 2 shown]
	s_waitcnt vmcnt(21) lgkmcnt(3)
	v_mul_f32_e32 v97, v49, v69
	s_waitcnt vmcnt(14)
	v_fma_f32 v37, v37, v76, -v63
	v_fmac_f32_e32 v91, v38, v76
	s_waitcnt vmcnt(13)
	v_fma_f32 v38, v39, v77, -v64
	v_add_f32_e32 v37, 0, v37
	s_waitcnt vmcnt(12)
	v_fma_f32 v39, v41, v78, -v65
	v_add_f32_e32 v37, v37, v38
	v_fmac_f32_e32 v92, v40, v77
	s_waitcnt vmcnt(11)
	v_fma_f32 v40, v43, v79, -v66
	v_add_f32_e32 v37, v37, v39
	s_waitcnt vmcnt(10)
	v_fma_f32 v41, v45, v80, -v67
	v_add_f32_e32 v37, v37, v40
	v_fmac_f32_e32 v93, v42, v78
	s_waitcnt vmcnt(9)
	v_fma_f32 v42, v47, v81, -v68
	v_add_f32_e32 v37, v37, v41
	v_mul_f32_e32 v39, v50, v69
	v_add_f32_e32 v37, v37, v42
	s_waitcnt vmcnt(8)
	v_fma_f32 v39, v49, v82, -v39
	v_add_f32_e32 v37, v37, v39
	v_mul_f32_e32 v39, v52, v70
	v_add_f32_e32 v43, 0, v91
	s_waitcnt vmcnt(7)
	v_fma_f32 v39, v51, v83, -v39
	v_add_f32_e32 v43, v43, v92
	v_add_f32_e32 v37, v37, v39
	s_waitcnt lgkmcnt(2)
	v_mul_f32_e32 v39, v54, v71
	v_fmac_f32_e32 v94, v44, v79
	v_add_f32_e32 v38, v43, v93
	s_waitcnt vmcnt(6)
	v_fma_f32 v39, v53, v84, -v39
	v_fmac_f32_e32 v95, v46, v80
	v_add_f32_e32 v38, v38, v94
	v_add_f32_e32 v37, v37, v39
	v_mul_f32_e32 v39, v56, v72
	v_fmac_f32_e32 v96, v48, v81
	v_add_f32_e32 v38, v38, v95
	s_waitcnt vmcnt(5)
	v_fma_f32 v39, v55, v85, -v39
	v_mul_f32_e32 v98, v51, v70
	v_fmac_f32_e32 v97, v50, v82
	v_add_f32_e32 v38, v38, v96
	v_add_f32_e32 v37, v37, v39
	s_waitcnt lgkmcnt(1)
	v_mul_f32_e32 v39, v58, v73
	v_mul_f32_e32 v99, v53, v71
	v_fmac_f32_e32 v98, v52, v83
	v_add_f32_e32 v38, v38, v97
	s_waitcnt vmcnt(4)
	v_fma_f32 v39, v57, v86, -v39
	v_mul_f32_e32 v100, v55, v72
	v_fmac_f32_e32 v99, v54, v84
	v_add_f32_e32 v38, v38, v98
	v_add_f32_e32 v37, v37, v39
	v_mul_f32_e32 v39, v60, v74
	v_mul_f32_e32 v101, v57, v73
	v_fmac_f32_e32 v100, v56, v85
	v_add_f32_e32 v38, v38, v99
	s_waitcnt vmcnt(3)
	v_fma_f32 v39, v59, v87, -v39
	v_mul_f32_e32 v102, v59, v74
	v_fmac_f32_e32 v101, v58, v86
	v_add_f32_e32 v38, v38, v100
	v_add_f32_e32 v37, v37, v39
	s_waitcnt lgkmcnt(0)
	v_mul_f32_e32 v39, v62, v75
	v_mul_f32_e32 v103, v61, v75
	v_fmac_f32_e32 v102, v60, v87
	v_add_f32_e32 v38, v38, v101
	s_waitcnt vmcnt(2)
	v_fma_f32 v39, v61, v88, -v39
	v_fmac_f32_e32 v103, v62, v88
	v_add_f32_e32 v38, v38, v102
	v_add_f32_e32 v37, v37, v39
	;; [unrolled: 1-line block ×3, first 2 shown]
	s_waitcnt vmcnt(1)
	v_sub_f32_e32 v37, v89, v37
	s_waitcnt vmcnt(0)
	v_sub_f32_e32 v38, v90, v38
	buffer_store_dword v37, off, s[0:3], 0 offset:24
	buffer_store_dword v38, off, s[0:3], 0 offset:28
	s_and_saveexec_b64 s[4:5], vcc
	s_cbranch_execz .LBB16_111
; %bb.110:
	buffer_load_dword v37, off, s[0:3], 0 offset:16
	buffer_load_dword v38, off, s[0:3], 0 offset:20
	s_waitcnt vmcnt(0)
	ds_write_b64 v35, v[37:38]
	buffer_store_dword v36, off, s[0:3], 0 offset:16
	buffer_store_dword v36, off, s[0:3], 0 offset:20
.LBB16_111:
	s_or_b64 exec, exec, s[4:5]
	s_waitcnt lgkmcnt(0)
	; wave barrier
	buffer_load_dword v65, off, s[0:3], 0 offset:28
	buffer_load_dword v66, off, s[0:3], 0 offset:36
	;; [unrolled: 1-line block ×30, first 2 shown]
	ds_read2_b64 v[37:40], v36 offset0:21 offset1:22
	ds_read2_b64 v[41:44], v36 offset0:23 offset1:24
	;; [unrolled: 1-line block ×7, first 2 shown]
	v_cmp_lt_u32_e32 vcc, 1, v0
	s_waitcnt vmcnt(29) lgkmcnt(6)
	v_mul_f32_e32 v36, v37, v65
	v_mul_f32_e32 v65, v38, v65
	s_waitcnt vmcnt(28)
	v_mul_f32_e32 v95, v39, v66
	v_mul_f32_e32 v66, v40, v66
	s_waitcnt vmcnt(27) lgkmcnt(5)
	v_mul_f32_e32 v96, v41, v67
	v_mul_f32_e32 v67, v42, v67
	s_waitcnt vmcnt(26)
	v_mul_f32_e32 v97, v43, v68
	v_mul_f32_e32 v68, v44, v68
	s_waitcnt vmcnt(25) lgkmcnt(4)
	v_mul_f32_e32 v98, v45, v69
	v_mul_f32_e32 v69, v46, v69
	s_waitcnt vmcnt(24)
	v_mul_f32_e32 v99, v47, v70
	s_waitcnt vmcnt(23) lgkmcnt(3)
	v_mul_f32_e32 v100, v49, v71
	s_waitcnt vmcnt(22)
	v_mul_f32_e32 v101, v51, v72
	s_waitcnt vmcnt(21) lgkmcnt(2)
	v_mul_f32_e32 v102, v53, v73
	s_waitcnt vmcnt(15)
	v_fma_f32 v37, v37, v79, -v65
	v_fmac_f32_e32 v36, v38, v79
	s_waitcnt vmcnt(14)
	v_fma_f32 v38, v39, v80, -v66
	v_add_f32_e32 v37, 0, v37
	s_waitcnt vmcnt(13)
	v_fma_f32 v39, v41, v81, -v67
	v_add_f32_e32 v37, v37, v38
	v_fmac_f32_e32 v95, v40, v80
	s_waitcnt vmcnt(12)
	v_fma_f32 v40, v43, v82, -v68
	v_add_f32_e32 v37, v37, v39
	s_waitcnt vmcnt(11)
	v_fma_f32 v41, v45, v83, -v69
	v_add_f32_e32 v37, v37, v40
	v_mul_f32_e32 v38, v48, v70
	v_add_f32_e32 v37, v37, v41
	s_waitcnt vmcnt(10)
	v_fma_f32 v38, v47, v84, -v38
	v_add_f32_e32 v37, v37, v38
	v_mul_f32_e32 v38, v50, v71
	s_waitcnt vmcnt(9)
	v_fma_f32 v38, v49, v85, -v38
	v_add_f32_e32 v37, v37, v38
	v_mul_f32_e32 v38, v52, v72
	s_waitcnt vmcnt(8)
	v_fma_f32 v38, v51, v86, -v38
	v_add_f32_e32 v36, 0, v36
	v_add_f32_e32 v37, v37, v38
	v_mul_f32_e32 v38, v54, v73
	v_fmac_f32_e32 v96, v42, v81
	v_add_f32_e32 v36, v36, v95
	s_waitcnt vmcnt(7)
	v_fma_f32 v38, v53, v87, -v38
	v_fmac_f32_e32 v97, v44, v82
	v_add_f32_e32 v36, v36, v96
	v_add_f32_e32 v37, v37, v38
	v_mul_f32_e32 v38, v56, v74
	v_fmac_f32_e32 v98, v46, v83
	v_add_f32_e32 v36, v36, v97
	s_waitcnt vmcnt(6)
	v_fma_f32 v38, v55, v88, -v38
	v_fmac_f32_e32 v99, v48, v84
	v_add_f32_e32 v36, v36, v98
	v_add_f32_e32 v37, v37, v38
	s_waitcnt lgkmcnt(1)
	v_mul_f32_e32 v38, v58, v75
	v_fmac_f32_e32 v100, v50, v85
	v_add_f32_e32 v36, v36, v99
	s_waitcnt vmcnt(5)
	v_fma_f32 v38, v57, v89, -v38
	v_fmac_f32_e32 v101, v52, v86
	v_add_f32_e32 v36, v36, v100
	v_add_f32_e32 v37, v37, v38
	v_mul_f32_e32 v38, v60, v76
	v_mul_f32_e32 v103, v55, v74
	v_fmac_f32_e32 v102, v54, v87
	v_add_f32_e32 v36, v36, v101
	s_waitcnt vmcnt(4)
	v_fma_f32 v38, v59, v90, -v38
	v_mul_f32_e32 v104, v57, v75
	v_fmac_f32_e32 v103, v56, v88
	v_add_f32_e32 v36, v36, v102
	v_add_f32_e32 v37, v37, v38
	s_waitcnt lgkmcnt(0)
	v_mul_f32_e32 v38, v62, v77
	v_mul_f32_e32 v105, v59, v76
	v_fmac_f32_e32 v104, v58, v89
	v_add_f32_e32 v36, v36, v103
	s_waitcnt vmcnt(3)
	v_fma_f32 v38, v61, v91, -v38
	v_mul_f32_e32 v106, v61, v77
	v_fmac_f32_e32 v105, v60, v90
	v_add_f32_e32 v36, v36, v104
	v_add_f32_e32 v37, v37, v38
	v_mul_f32_e32 v38, v64, v78
	v_mul_f32_e32 v107, v63, v78
	v_fmac_f32_e32 v106, v62, v91
	v_add_f32_e32 v36, v36, v105
	s_waitcnt vmcnt(2)
	v_fma_f32 v38, v63, v92, -v38
	v_fmac_f32_e32 v107, v64, v92
	v_add_f32_e32 v36, v36, v106
	v_add_f32_e32 v37, v37, v38
	;; [unrolled: 1-line block ×3, first 2 shown]
	s_waitcnt vmcnt(1)
	v_sub_f32_e32 v37, v93, v37
	s_waitcnt vmcnt(0)
	v_sub_f32_e32 v36, v94, v36
	buffer_store_dword v37, off, s[0:3], 0 offset:16
	buffer_store_dword v36, off, s[0:3], 0 offset:20
	s_and_saveexec_b64 s[4:5], vcc
	s_cbranch_execz .LBB16_113
; %bb.112:
	buffer_load_dword v36, off, s[0:3], 0 offset:8
	buffer_load_dword v37, off, s[0:3], 0 offset:12
	v_mov_b32_e32 v38, 0
	buffer_store_dword v38, off, s[0:3], 0 offset:8
	buffer_store_dword v38, off, s[0:3], 0 offset:12
	s_waitcnt vmcnt(2)
	ds_write_b64 v35, v[36:37]
.LBB16_113:
	s_or_b64 exec, exec, s[4:5]
	s_waitcnt lgkmcnt(0)
	; wave barrier
	buffer_load_dword v67, off, s[0:3], 0 offset:20
	buffer_load_dword v68, off, s[0:3], 0 offset:28
	;; [unrolled: 1-line block ×32, first 2 shown]
	v_mov_b32_e32 v36, 0
	ds_read_b128 v[37:40], v36 offset:160
	ds_read_b128 v[41:44], v36 offset:176
	;; [unrolled: 1-line block ×7, first 2 shown]
	ds_read_b64 v[65:66], v36 offset:272
	v_cmp_ne_u32_e32 vcc, 0, v0
	s_waitcnt vmcnt(31) lgkmcnt(7)
	v_mul_f32_e32 v99, v37, v67
	v_mul_f32_e32 v67, v38, v67
	s_waitcnt vmcnt(30)
	v_mul_f32_e32 v100, v39, v68
	v_mul_f32_e32 v68, v40, v68
	s_waitcnt vmcnt(29) lgkmcnt(6)
	v_mul_f32_e32 v101, v41, v69
	v_mul_f32_e32 v69, v42, v69
	s_waitcnt vmcnt(28)
	v_mul_f32_e32 v102, v43, v70
	s_waitcnt vmcnt(27) lgkmcnt(5)
	v_mul_f32_e32 v103, v45, v71
	s_waitcnt vmcnt(26)
	v_mul_f32_e32 v104, v47, v72
	s_waitcnt vmcnt(25) lgkmcnt(4)
	;; [unrolled: 4-line block ×4, first 2 shown]
	v_mul_f32_e32 v109, v57, v77
	s_waitcnt vmcnt(20)
	v_mul_f32_e32 v110, v59, v78
	s_waitcnt vmcnt(16)
	v_fma_f32 v37, v37, v82, -v67
	v_fmac_f32_e32 v99, v38, v82
	s_waitcnt vmcnt(15)
	v_fma_f32 v38, v39, v83, -v68
	v_add_f32_e32 v37, 0, v37
	s_waitcnt vmcnt(14)
	v_fma_f32 v39, v41, v84, -v69
	v_add_f32_e32 v37, v37, v38
	v_add_f32_e32 v37, v37, v39
	v_mul_f32_e32 v39, v44, v70
	s_waitcnt vmcnt(13)
	v_fma_f32 v39, v43, v85, -v39
	v_add_f32_e32 v37, v37, v39
	v_mul_f32_e32 v39, v46, v71
	s_waitcnt vmcnt(12)
	v_fma_f32 v39, v45, v86, -v39
	;; [unrolled: 4-line block ×5, first 2 shown]
	v_add_f32_e32 v37, v37, v39
	v_mul_f32_e32 v39, v54, v75
	v_fmac_f32_e32 v100, v40, v83
	v_add_f32_e32 v40, 0, v99
	s_waitcnt vmcnt(8)
	v_fma_f32 v39, v53, v90, -v39
	v_fmac_f32_e32 v101, v42, v84
	v_add_f32_e32 v40, v40, v100
	v_add_f32_e32 v37, v37, v39
	v_mul_f32_e32 v39, v56, v76
	v_fmac_f32_e32 v102, v44, v85
	v_add_f32_e32 v38, v40, v101
	s_waitcnt vmcnt(7)
	v_fma_f32 v39, v55, v91, -v39
	v_fmac_f32_e32 v103, v46, v86
	v_add_f32_e32 v38, v38, v102
	;; [unrolled: 8-line block ×4, first 2 shown]
	v_add_f32_e32 v37, v37, v39
	s_waitcnt lgkmcnt(1)
	v_mul_f32_e32 v39, v62, v79
	v_fmac_f32_e32 v108, v56, v91
	v_add_f32_e32 v38, v38, v107
	s_waitcnt vmcnt(4)
	v_fma_f32 v39, v61, v94, -v39
	v_fmac_f32_e32 v109, v58, v92
	v_add_f32_e32 v38, v38, v108
	v_add_f32_e32 v37, v37, v39
	v_mul_f32_e32 v39, v64, v80
	v_mul_f32_e32 v111, v61, v79
	v_fmac_f32_e32 v110, v60, v93
	v_add_f32_e32 v38, v38, v109
	s_waitcnt vmcnt(3)
	v_fma_f32 v39, v63, v95, -v39
	v_mul_f32_e32 v112, v63, v80
	v_fmac_f32_e32 v111, v62, v94
	v_add_f32_e32 v38, v38, v110
	v_add_f32_e32 v37, v37, v39
	s_waitcnt lgkmcnt(0)
	v_mul_f32_e32 v39, v66, v81
	v_mul_f32_e32 v113, v65, v81
	v_fmac_f32_e32 v112, v64, v95
	v_add_f32_e32 v38, v38, v111
	s_waitcnt vmcnt(2)
	v_fma_f32 v39, v65, v96, -v39
	v_fmac_f32_e32 v113, v66, v96
	v_add_f32_e32 v38, v38, v112
	v_add_f32_e32 v37, v37, v39
	;; [unrolled: 1-line block ×3, first 2 shown]
	s_waitcnt vmcnt(1)
	v_sub_f32_e32 v37, v97, v37
	s_waitcnt vmcnt(0)
	v_sub_f32_e32 v38, v98, v38
	buffer_store_dword v37, off, s[0:3], 0 offset:8
	buffer_store_dword v38, off, s[0:3], 0 offset:12
	s_and_saveexec_b64 s[4:5], vcc
	s_cbranch_execz .LBB16_115
; %bb.114:
	buffer_load_dword v37, off, s[0:3], 0
	buffer_load_dword v38, off, s[0:3], 0 offset:4
	s_waitcnt vmcnt(0)
	ds_write_b64 v35, v[37:38]
	buffer_store_dword v36, off, s[0:3], 0
	buffer_store_dword v36, off, s[0:3], 0 offset:4
.LBB16_115:
	s_or_b64 exec, exec, s[4:5]
	s_waitcnt lgkmcnt(0)
	; wave barrier
	buffer_load_dword v69, off, s[0:3], 0 offset:12
	buffer_load_dword v70, off, s[0:3], 0 offset:20
	;; [unrolled: 1-line block ×32, first 2 shown]
	buffer_load_dword v99, off, s[0:3], 0
	buffer_load_dword v100, off, s[0:3], 0 offset:4
	ds_read2_b64 v[37:40], v36 offset0:19 offset1:20
	ds_read2_b64 v[41:44], v36 offset0:21 offset1:22
	;; [unrolled: 1-line block ×8, first 2 shown]
	s_and_b64 vcc, exec, s[22:23]
	s_waitcnt vmcnt(33) lgkmcnt(7)
	v_mul_f32_e32 v36, v37, v69
	v_mul_f32_e32 v69, v38, v69
	s_waitcnt vmcnt(32)
	v_mul_f32_e32 v101, v39, v70
	v_mul_f32_e32 v70, v40, v70
	s_waitcnt vmcnt(31) lgkmcnt(6)
	v_mul_f32_e32 v102, v41, v71
	s_waitcnt vmcnt(30)
	v_mul_f32_e32 v103, v43, v72
	s_waitcnt vmcnt(29) lgkmcnt(5)
	v_mul_f32_e32 v104, v45, v73
	s_waitcnt vmcnt(28)
	;; [unrolled: 4-line block ×6, first 2 shown]
	v_mul_f32_e32 v113, v63, v82
	s_waitcnt vmcnt(17)
	v_fma_f32 v37, v37, v84, -v69
	v_fmac_f32_e32 v36, v38, v84
	s_waitcnt vmcnt(16)
	v_fma_f32 v38, v39, v85, -v70
	v_add_f32_e32 v37, 0, v37
	v_add_f32_e32 v37, v37, v38
	v_mul_f32_e32 v38, v42, v71
	s_waitcnt vmcnt(15)
	v_fma_f32 v38, v41, v86, -v38
	v_add_f32_e32 v37, v37, v38
	v_mul_f32_e32 v38, v44, v72
	s_waitcnt vmcnt(14)
	v_fma_f32 v38, v43, v87, -v38
	;; [unrolled: 4-line block ×7, first 2 shown]
	v_fmac_f32_e32 v101, v40, v85
	v_add_f32_e32 v36, 0, v36
	v_add_f32_e32 v37, v37, v38
	v_mul_f32_e32 v38, v56, v78
	v_fmac_f32_e32 v102, v42, v86
	v_add_f32_e32 v36, v36, v101
	s_waitcnt vmcnt(8)
	v_fma_f32 v38, v55, v93, -v38
	v_fmac_f32_e32 v103, v44, v87
	v_add_f32_e32 v36, v36, v102
	v_add_f32_e32 v37, v37, v38
	v_mul_f32_e32 v38, v58, v79
	v_fmac_f32_e32 v104, v46, v88
	v_add_f32_e32 v36, v36, v103
	s_waitcnt vmcnt(7)
	v_fma_f32 v38, v57, v94, -v38
	;; [unrolled: 8-line block ×5, first 2 shown]
	v_fmac_f32_e32 v111, v60, v95
	v_add_f32_e32 v36, v36, v110
	v_add_f32_e32 v37, v37, v38
	s_waitcnt lgkmcnt(0)
	v_mul_f32_e32 v38, v66, v0
	v_fmac_f32_e32 v112, v62, v96
	v_add_f32_e32 v36, v36, v111
	s_waitcnt vmcnt(3)
	v_fma_f32 v38, v65, v35, -v38
	v_mul_f32_e32 v114, v65, v0
	v_fmac_f32_e32 v113, v64, v97
	v_add_f32_e32 v36, v36, v112
	v_add_f32_e32 v37, v37, v38
	v_mul_f32_e32 v38, v68, v83
	v_mul_f32_e32 v115, v67, v83
	v_fmac_f32_e32 v114, v66, v35
	v_add_f32_e32 v36, v36, v113
	s_waitcnt vmcnt(2)
	v_fma_f32 v38, v67, v98, -v38
	v_fmac_f32_e32 v115, v68, v98
	v_add_f32_e32 v36, v36, v114
	v_add_f32_e32 v37, v37, v38
	;; [unrolled: 1-line block ×3, first 2 shown]
	s_waitcnt vmcnt(1)
	v_sub_f32_e32 v37, v99, v37
	s_waitcnt vmcnt(0)
	v_sub_f32_e32 v36, v100, v36
	buffer_store_dword v37, off, s[0:3], 0
	buffer_store_dword v36, off, s[0:3], 0 offset:4
	s_cbranch_vccz .LBB16_148
; %bb.116:
	v_mov_b32_e32 v36, 0
	global_load_dword v37, v36, s[20:21] offset:60
	s_waitcnt vmcnt(0)
	v_add_u32_e32 v37, -1, v37
	v_cmp_ne_u32_e32 vcc, 15, v37
	s_cbranch_vccz .LBB16_118
; %bb.117:
	v_lshlrev_b32_e32 v37, 3, v37
	buffer_load_dword v38, v37, s[0:3], 0 offen
	buffer_load_dword v39, v37, s[0:3], 0 offen offset:4
	s_waitcnt vmcnt(1)
	buffer_store_dword v38, off, s[0:3], 0 offset:120
	s_waitcnt vmcnt(1)
	buffer_store_dword v39, off, s[0:3], 0 offset:124
	buffer_store_dword v35, v37, s[0:3], 0 offen
	buffer_store_dword v0, v37, s[0:3], 0 offen offset:4
.LBB16_118:
	global_load_dword v0, v36, s[20:21] offset:56
	s_waitcnt vmcnt(0)
	v_add_u32_e32 v0, -1, v0
	v_cmp_eq_u32_e32 vcc, 14, v0
	s_cbranch_vccnz .LBB16_120
; %bb.119:
	v_lshlrev_b32_e32 v0, 3, v0
	buffer_load_dword v35, v0, s[0:3], 0 offen
	buffer_load_dword v36, v0, s[0:3], 0 offen offset:4
	buffer_load_dword v37, off, s[0:3], 0 offset:116
	buffer_load_dword v38, off, s[0:3], 0 offset:112
	s_waitcnt vmcnt(3)
	buffer_store_dword v35, off, s[0:3], 0 offset:112
	s_waitcnt vmcnt(3)
	buffer_store_dword v36, off, s[0:3], 0 offset:116
	s_waitcnt vmcnt(3)
	buffer_store_dword v37, v0, s[0:3], 0 offen offset:4
	s_waitcnt vmcnt(3)
	buffer_store_dword v38, v0, s[0:3], 0 offen
.LBB16_120:
	v_mov_b32_e32 v0, 0
	global_load_dword v35, v0, s[20:21] offset:52
	s_waitcnt vmcnt(0)
	v_add_u32_e32 v35, -1, v35
	v_cmp_eq_u32_e32 vcc, 13, v35
	s_cbranch_vccnz .LBB16_122
; %bb.121:
	v_lshlrev_b32_e32 v35, 3, v35
	buffer_load_dword v36, v35, s[0:3], 0 offen
	buffer_load_dword v37, v35, s[0:3], 0 offen offset:4
	buffer_load_dword v38, off, s[0:3], 0 offset:104
	buffer_load_dword v39, off, s[0:3], 0 offset:108
	s_waitcnt vmcnt(3)
	buffer_store_dword v36, off, s[0:3], 0 offset:104
	s_waitcnt vmcnt(3)
	buffer_store_dword v37, off, s[0:3], 0 offset:108
	s_waitcnt vmcnt(3)
	buffer_store_dword v38, v35, s[0:3], 0 offen
	s_waitcnt vmcnt(3)
	buffer_store_dword v39, v35, s[0:3], 0 offen offset:4
.LBB16_122:
	global_load_dword v0, v0, s[20:21] offset:48
	s_waitcnt vmcnt(0)
	v_add_u32_e32 v0, -1, v0
	v_cmp_eq_u32_e32 vcc, 12, v0
	s_cbranch_vccnz .LBB16_124
; %bb.123:
	v_lshlrev_b32_e32 v0, 3, v0
	buffer_load_dword v35, v0, s[0:3], 0 offen
	buffer_load_dword v36, v0, s[0:3], 0 offen offset:4
	buffer_load_dword v37, off, s[0:3], 0 offset:100
	buffer_load_dword v38, off, s[0:3], 0 offset:96
	s_waitcnt vmcnt(3)
	buffer_store_dword v35, off, s[0:3], 0 offset:96
	s_waitcnt vmcnt(3)
	buffer_store_dword v36, off, s[0:3], 0 offset:100
	s_waitcnt vmcnt(3)
	buffer_store_dword v37, v0, s[0:3], 0 offen offset:4
	s_waitcnt vmcnt(3)
	buffer_store_dword v38, v0, s[0:3], 0 offen
.LBB16_124:
	v_mov_b32_e32 v0, 0
	global_load_dword v35, v0, s[20:21] offset:44
	s_waitcnt vmcnt(0)
	v_add_u32_e32 v35, -1, v35
	v_cmp_eq_u32_e32 vcc, 11, v35
	s_cbranch_vccnz .LBB16_126
; %bb.125:
	v_lshlrev_b32_e32 v35, 3, v35
	buffer_load_dword v36, v35, s[0:3], 0 offen
	buffer_load_dword v37, v35, s[0:3], 0 offen offset:4
	buffer_load_dword v38, off, s[0:3], 0 offset:88
	buffer_load_dword v39, off, s[0:3], 0 offset:92
	s_waitcnt vmcnt(3)
	buffer_store_dword v36, off, s[0:3], 0 offset:88
	s_waitcnt vmcnt(3)
	buffer_store_dword v37, off, s[0:3], 0 offset:92
	s_waitcnt vmcnt(3)
	buffer_store_dword v38, v35, s[0:3], 0 offen
	s_waitcnt vmcnt(3)
	buffer_store_dword v39, v35, s[0:3], 0 offen offset:4
.LBB16_126:
	global_load_dword v0, v0, s[20:21] offset:40
	s_waitcnt vmcnt(0)
	v_add_u32_e32 v0, -1, v0
	v_cmp_eq_u32_e32 vcc, 10, v0
	s_cbranch_vccnz .LBB16_128
; %bb.127:
	v_lshlrev_b32_e32 v0, 3, v0
	buffer_load_dword v35, v0, s[0:3], 0 offen
	buffer_load_dword v36, v0, s[0:3], 0 offen offset:4
	buffer_load_dword v37, off, s[0:3], 0 offset:84
	buffer_load_dword v38, off, s[0:3], 0 offset:80
	s_waitcnt vmcnt(3)
	buffer_store_dword v35, off, s[0:3], 0 offset:80
	s_waitcnt vmcnt(3)
	buffer_store_dword v36, off, s[0:3], 0 offset:84
	s_waitcnt vmcnt(3)
	buffer_store_dword v37, v0, s[0:3], 0 offen offset:4
	s_waitcnt vmcnt(3)
	buffer_store_dword v38, v0, s[0:3], 0 offen
.LBB16_128:
	v_mov_b32_e32 v0, 0
	global_load_dword v35, v0, s[20:21] offset:36
	s_waitcnt vmcnt(0)
	v_add_u32_e32 v35, -1, v35
	v_cmp_eq_u32_e32 vcc, 9, v35
	s_cbranch_vccnz .LBB16_130
; %bb.129:
	v_lshlrev_b32_e32 v35, 3, v35
	buffer_load_dword v36, v35, s[0:3], 0 offen
	buffer_load_dword v37, v35, s[0:3], 0 offen offset:4
	buffer_load_dword v38, off, s[0:3], 0 offset:72
	buffer_load_dword v39, off, s[0:3], 0 offset:76
	s_waitcnt vmcnt(3)
	buffer_store_dword v36, off, s[0:3], 0 offset:72
	s_waitcnt vmcnt(3)
	buffer_store_dword v37, off, s[0:3], 0 offset:76
	s_waitcnt vmcnt(3)
	buffer_store_dword v38, v35, s[0:3], 0 offen
	s_waitcnt vmcnt(3)
	buffer_store_dword v39, v35, s[0:3], 0 offen offset:4
.LBB16_130:
	global_load_dword v0, v0, s[20:21] offset:32
	s_waitcnt vmcnt(0)
	v_add_u32_e32 v0, -1, v0
	v_cmp_eq_u32_e32 vcc, 8, v0
	s_cbranch_vccnz .LBB16_132
; %bb.131:
	v_lshlrev_b32_e32 v0, 3, v0
	buffer_load_dword v35, v0, s[0:3], 0 offen
	buffer_load_dword v36, v0, s[0:3], 0 offen offset:4
	buffer_load_dword v37, off, s[0:3], 0 offset:68
	buffer_load_dword v38, off, s[0:3], 0 offset:64
	s_waitcnt vmcnt(3)
	buffer_store_dword v35, off, s[0:3], 0 offset:64
	s_waitcnt vmcnt(3)
	buffer_store_dword v36, off, s[0:3], 0 offset:68
	s_waitcnt vmcnt(3)
	buffer_store_dword v37, v0, s[0:3], 0 offen offset:4
	s_waitcnt vmcnt(3)
	buffer_store_dword v38, v0, s[0:3], 0 offen
.LBB16_132:
	v_mov_b32_e32 v0, 0
	global_load_dword v35, v0, s[20:21] offset:28
	s_waitcnt vmcnt(0)
	v_add_u32_e32 v35, -1, v35
	v_cmp_eq_u32_e32 vcc, 7, v35
	s_cbranch_vccnz .LBB16_134
; %bb.133:
	v_lshlrev_b32_e32 v35, 3, v35
	buffer_load_dword v36, v35, s[0:3], 0 offen
	buffer_load_dword v37, v35, s[0:3], 0 offen offset:4
	buffer_load_dword v38, off, s[0:3], 0 offset:56
	buffer_load_dword v39, off, s[0:3], 0 offset:60
	s_waitcnt vmcnt(3)
	buffer_store_dword v36, off, s[0:3], 0 offset:56
	s_waitcnt vmcnt(3)
	buffer_store_dword v37, off, s[0:3], 0 offset:60
	s_waitcnt vmcnt(3)
	buffer_store_dword v38, v35, s[0:3], 0 offen
	s_waitcnt vmcnt(3)
	buffer_store_dword v39, v35, s[0:3], 0 offen offset:4
.LBB16_134:
	global_load_dword v0, v0, s[20:21] offset:24
	s_waitcnt vmcnt(0)
	v_add_u32_e32 v0, -1, v0
	v_cmp_eq_u32_e32 vcc, 6, v0
	s_cbranch_vccnz .LBB16_136
; %bb.135:
	v_lshlrev_b32_e32 v0, 3, v0
	buffer_load_dword v35, v0, s[0:3], 0 offen
	buffer_load_dword v36, v0, s[0:3], 0 offen offset:4
	buffer_load_dword v37, off, s[0:3], 0 offset:52
	buffer_load_dword v38, off, s[0:3], 0 offset:48
	s_waitcnt vmcnt(3)
	buffer_store_dword v35, off, s[0:3], 0 offset:48
	s_waitcnt vmcnt(3)
	buffer_store_dword v36, off, s[0:3], 0 offset:52
	s_waitcnt vmcnt(3)
	buffer_store_dword v37, v0, s[0:3], 0 offen offset:4
	s_waitcnt vmcnt(3)
	buffer_store_dword v38, v0, s[0:3], 0 offen
.LBB16_136:
	v_mov_b32_e32 v0, 0
	global_load_dword v35, v0, s[20:21] offset:20
	s_waitcnt vmcnt(0)
	v_add_u32_e32 v35, -1, v35
	v_cmp_eq_u32_e32 vcc, 5, v35
	s_cbranch_vccnz .LBB16_138
; %bb.137:
	v_lshlrev_b32_e32 v35, 3, v35
	buffer_load_dword v36, v35, s[0:3], 0 offen
	buffer_load_dword v37, v35, s[0:3], 0 offen offset:4
	buffer_load_dword v38, off, s[0:3], 0 offset:40
	buffer_load_dword v39, off, s[0:3], 0 offset:44
	s_waitcnt vmcnt(3)
	buffer_store_dword v36, off, s[0:3], 0 offset:40
	s_waitcnt vmcnt(3)
	buffer_store_dword v37, off, s[0:3], 0 offset:44
	s_waitcnt vmcnt(3)
	buffer_store_dword v38, v35, s[0:3], 0 offen
	s_waitcnt vmcnt(3)
	buffer_store_dword v39, v35, s[0:3], 0 offen offset:4
.LBB16_138:
	global_load_dword v0, v0, s[20:21] offset:16
	s_waitcnt vmcnt(0)
	v_add_u32_e32 v0, -1, v0
	v_cmp_eq_u32_e32 vcc, 4, v0
	s_cbranch_vccnz .LBB16_140
; %bb.139:
	v_lshlrev_b32_e32 v0, 3, v0
	buffer_load_dword v35, v0, s[0:3], 0 offen
	buffer_load_dword v36, v0, s[0:3], 0 offen offset:4
	buffer_load_dword v37, off, s[0:3], 0 offset:36
	buffer_load_dword v38, off, s[0:3], 0 offset:32
	s_waitcnt vmcnt(3)
	buffer_store_dword v35, off, s[0:3], 0 offset:32
	s_waitcnt vmcnt(3)
	buffer_store_dword v36, off, s[0:3], 0 offset:36
	s_waitcnt vmcnt(3)
	buffer_store_dword v37, v0, s[0:3], 0 offen offset:4
	s_waitcnt vmcnt(3)
	buffer_store_dword v38, v0, s[0:3], 0 offen
.LBB16_140:
	v_mov_b32_e32 v0, 0
	global_load_dword v35, v0, s[20:21] offset:12
	s_waitcnt vmcnt(0)
	v_add_u32_e32 v35, -1, v35
	v_cmp_eq_u32_e32 vcc, 3, v35
	s_cbranch_vccnz .LBB16_142
; %bb.141:
	v_lshlrev_b32_e32 v35, 3, v35
	buffer_load_dword v36, v35, s[0:3], 0 offen
	buffer_load_dword v37, v35, s[0:3], 0 offen offset:4
	buffer_load_dword v38, off, s[0:3], 0 offset:24
	buffer_load_dword v39, off, s[0:3], 0 offset:28
	s_waitcnt vmcnt(3)
	buffer_store_dword v36, off, s[0:3], 0 offset:24
	s_waitcnt vmcnt(3)
	buffer_store_dword v37, off, s[0:3], 0 offset:28
	s_waitcnt vmcnt(3)
	buffer_store_dword v38, v35, s[0:3], 0 offen
	s_waitcnt vmcnt(3)
	buffer_store_dword v39, v35, s[0:3], 0 offen offset:4
.LBB16_142:
	global_load_dword v0, v0, s[20:21] offset:8
	s_waitcnt vmcnt(0)
	v_add_u32_e32 v0, -1, v0
	v_cmp_eq_u32_e32 vcc, 2, v0
	s_cbranch_vccnz .LBB16_144
; %bb.143:
	v_lshlrev_b32_e32 v0, 3, v0
	buffer_load_dword v35, v0, s[0:3], 0 offen
	buffer_load_dword v36, v0, s[0:3], 0 offen offset:4
	buffer_load_dword v37, off, s[0:3], 0 offset:20
	buffer_load_dword v38, off, s[0:3], 0 offset:16
	s_waitcnt vmcnt(3)
	buffer_store_dword v35, off, s[0:3], 0 offset:16
	s_waitcnt vmcnt(3)
	buffer_store_dword v36, off, s[0:3], 0 offset:20
	s_waitcnt vmcnt(3)
	buffer_store_dword v37, v0, s[0:3], 0 offen offset:4
	s_waitcnt vmcnt(3)
	buffer_store_dword v38, v0, s[0:3], 0 offen
.LBB16_144:
	v_mov_b32_e32 v0, 0
	global_load_dword v35, v0, s[20:21] offset:4
	s_waitcnt vmcnt(0)
	v_add_u32_e32 v35, -1, v35
	v_cmp_eq_u32_e32 vcc, 1, v35
	s_cbranch_vccnz .LBB16_146
; %bb.145:
	v_lshlrev_b32_e32 v35, 3, v35
	buffer_load_dword v36, v35, s[0:3], 0 offen
	buffer_load_dword v37, v35, s[0:3], 0 offen offset:4
	buffer_load_dword v38, off, s[0:3], 0 offset:8
	buffer_load_dword v39, off, s[0:3], 0 offset:12
	s_waitcnt vmcnt(3)
	buffer_store_dword v36, off, s[0:3], 0 offset:8
	s_waitcnt vmcnt(3)
	buffer_store_dword v37, off, s[0:3], 0 offset:12
	s_waitcnt vmcnt(3)
	buffer_store_dword v38, v35, s[0:3], 0 offen
	s_waitcnt vmcnt(3)
	buffer_store_dword v39, v35, s[0:3], 0 offen offset:4
.LBB16_146:
	global_load_dword v0, v0, s[20:21]
	s_waitcnt vmcnt(0)
	v_add_u32_e32 v0, -1, v0
	v_cmp_eq_u32_e32 vcc, 0, v0
	s_cbranch_vccnz .LBB16_148
; %bb.147:
	v_lshlrev_b32_e32 v0, 3, v0
	buffer_load_dword v35, v0, s[0:3], 0 offen
	buffer_load_dword v36, v0, s[0:3], 0 offen offset:4
	buffer_load_dword v37, off, s[0:3], 0 offset:4
	buffer_load_dword v38, off, s[0:3], 0
	s_waitcnt vmcnt(3)
	buffer_store_dword v35, off, s[0:3], 0
	s_waitcnt vmcnt(3)
	buffer_store_dword v36, off, s[0:3], 0 offset:4
	s_waitcnt vmcnt(3)
	buffer_store_dword v37, v0, s[0:3], 0 offen offset:4
	s_waitcnt vmcnt(3)
	buffer_store_dword v38, v0, s[0:3], 0 offen
.LBB16_148:
	buffer_load_dword v35, off, s[0:3], 0
	buffer_load_dword v36, off, s[0:3], 0 offset:4
	buffer_load_dword v37, off, s[0:3], 0 offset:8
	s_nop 0
	buffer_load_dword v38, off, s[0:3], 0 offset:12
	buffer_load_dword v39, off, s[0:3], 0 offset:16
	;; [unrolled: 1-line block ×31, first 2 shown]
	s_waitcnt vmcnt(32)
	global_store_dwordx2 v[27:28], v[35:36], off
	s_waitcnt vmcnt(31)
	global_store_dwordx2 v[29:30], v[37:38], off
	;; [unrolled: 2-line block ×9, first 2 shown]
	global_store_dwordx2 v[15:16], v[53:54], off
	global_store_dwordx2 v[17:18], v[55:56], off
	;; [unrolled: 1-line block ×3, first 2 shown]
	s_waitcnt vmcnt(20)
	global_store_dwordx2 v[21:22], v[59:60], off
	s_waitcnt vmcnt(19)
	global_store_dwordx2 v[23:24], v[61:62], off
	;; [unrolled: 2-line block ×5, first 2 shown]
	s_endpgm
	.section	.rodata,"a",@progbits
	.p2align	6, 0x0
	.amdhsa_kernel _ZN9rocsolver6v33100L18getri_kernel_smallILi17E19rocblas_complex_numIfEPS3_EEvT1_iilPiilS6_bb
		.amdhsa_group_segment_fixed_size 280
		.amdhsa_private_segment_fixed_size 144
		.amdhsa_kernarg_size 60
		.amdhsa_user_sgpr_count 6
		.amdhsa_user_sgpr_private_segment_buffer 1
		.amdhsa_user_sgpr_dispatch_ptr 0
		.amdhsa_user_sgpr_queue_ptr 0
		.amdhsa_user_sgpr_kernarg_segment_ptr 1
		.amdhsa_user_sgpr_dispatch_id 0
		.amdhsa_user_sgpr_flat_scratch_init 0
		.amdhsa_user_sgpr_private_segment_size 0
		.amdhsa_uses_dynamic_stack 0
		.amdhsa_system_sgpr_private_segment_wavefront_offset 1
		.amdhsa_system_sgpr_workgroup_id_x 1
		.amdhsa_system_sgpr_workgroup_id_y 0
		.amdhsa_system_sgpr_workgroup_id_z 0
		.amdhsa_system_sgpr_workgroup_info 0
		.amdhsa_system_vgpr_workitem_id 0
		.amdhsa_next_free_vgpr 116
		.amdhsa_next_free_sgpr 24
		.amdhsa_reserve_vcc 1
		.amdhsa_reserve_flat_scratch 0
		.amdhsa_float_round_mode_32 0
		.amdhsa_float_round_mode_16_64 0
		.amdhsa_float_denorm_mode_32 3
		.amdhsa_float_denorm_mode_16_64 3
		.amdhsa_dx10_clamp 1
		.amdhsa_ieee_mode 1
		.amdhsa_fp16_overflow 0
		.amdhsa_exception_fp_ieee_invalid_op 0
		.amdhsa_exception_fp_denorm_src 0
		.amdhsa_exception_fp_ieee_div_zero 0
		.amdhsa_exception_fp_ieee_overflow 0
		.amdhsa_exception_fp_ieee_underflow 0
		.amdhsa_exception_fp_ieee_inexact 0
		.amdhsa_exception_int_div_zero 0
	.end_amdhsa_kernel
	.section	.text._ZN9rocsolver6v33100L18getri_kernel_smallILi17E19rocblas_complex_numIfEPS3_EEvT1_iilPiilS6_bb,"axG",@progbits,_ZN9rocsolver6v33100L18getri_kernel_smallILi17E19rocblas_complex_numIfEPS3_EEvT1_iilPiilS6_bb,comdat
.Lfunc_end16:
	.size	_ZN9rocsolver6v33100L18getri_kernel_smallILi17E19rocblas_complex_numIfEPS3_EEvT1_iilPiilS6_bb, .Lfunc_end16-_ZN9rocsolver6v33100L18getri_kernel_smallILi17E19rocblas_complex_numIfEPS3_EEvT1_iilPiilS6_bb
                                        ; -- End function
	.set _ZN9rocsolver6v33100L18getri_kernel_smallILi17E19rocblas_complex_numIfEPS3_EEvT1_iilPiilS6_bb.num_vgpr, 116
	.set _ZN9rocsolver6v33100L18getri_kernel_smallILi17E19rocblas_complex_numIfEPS3_EEvT1_iilPiilS6_bb.num_agpr, 0
	.set _ZN9rocsolver6v33100L18getri_kernel_smallILi17E19rocblas_complex_numIfEPS3_EEvT1_iilPiilS6_bb.numbered_sgpr, 24
	.set _ZN9rocsolver6v33100L18getri_kernel_smallILi17E19rocblas_complex_numIfEPS3_EEvT1_iilPiilS6_bb.num_named_barrier, 0
	.set _ZN9rocsolver6v33100L18getri_kernel_smallILi17E19rocblas_complex_numIfEPS3_EEvT1_iilPiilS6_bb.private_seg_size, 144
	.set _ZN9rocsolver6v33100L18getri_kernel_smallILi17E19rocblas_complex_numIfEPS3_EEvT1_iilPiilS6_bb.uses_vcc, 1
	.set _ZN9rocsolver6v33100L18getri_kernel_smallILi17E19rocblas_complex_numIfEPS3_EEvT1_iilPiilS6_bb.uses_flat_scratch, 0
	.set _ZN9rocsolver6v33100L18getri_kernel_smallILi17E19rocblas_complex_numIfEPS3_EEvT1_iilPiilS6_bb.has_dyn_sized_stack, 0
	.set _ZN9rocsolver6v33100L18getri_kernel_smallILi17E19rocblas_complex_numIfEPS3_EEvT1_iilPiilS6_bb.has_recursion, 0
	.set _ZN9rocsolver6v33100L18getri_kernel_smallILi17E19rocblas_complex_numIfEPS3_EEvT1_iilPiilS6_bb.has_indirect_call, 0
	.section	.AMDGPU.csdata,"",@progbits
; Kernel info:
; codeLenInByte = 16900
; TotalNumSgprs: 28
; NumVgprs: 116
; ScratchSize: 144
; MemoryBound: 0
; FloatMode: 240
; IeeeMode: 1
; LDSByteSize: 280 bytes/workgroup (compile time only)
; SGPRBlocks: 3
; VGPRBlocks: 28
; NumSGPRsForWavesPerEU: 28
; NumVGPRsForWavesPerEU: 116
; Occupancy: 2
; WaveLimiterHint : 1
; COMPUTE_PGM_RSRC2:SCRATCH_EN: 1
; COMPUTE_PGM_RSRC2:USER_SGPR: 6
; COMPUTE_PGM_RSRC2:TRAP_HANDLER: 0
; COMPUTE_PGM_RSRC2:TGID_X_EN: 1
; COMPUTE_PGM_RSRC2:TGID_Y_EN: 0
; COMPUTE_PGM_RSRC2:TGID_Z_EN: 0
; COMPUTE_PGM_RSRC2:TIDIG_COMP_CNT: 0
	.section	.text._ZN9rocsolver6v33100L18getri_kernel_smallILi18E19rocblas_complex_numIfEPS3_EEvT1_iilPiilS6_bb,"axG",@progbits,_ZN9rocsolver6v33100L18getri_kernel_smallILi18E19rocblas_complex_numIfEPS3_EEvT1_iilPiilS6_bb,comdat
	.globl	_ZN9rocsolver6v33100L18getri_kernel_smallILi18E19rocblas_complex_numIfEPS3_EEvT1_iilPiilS6_bb ; -- Begin function _ZN9rocsolver6v33100L18getri_kernel_smallILi18E19rocblas_complex_numIfEPS3_EEvT1_iilPiilS6_bb
	.p2align	8
	.type	_ZN9rocsolver6v33100L18getri_kernel_smallILi18E19rocblas_complex_numIfEPS3_EEvT1_iilPiilS6_bb,@function
_ZN9rocsolver6v33100L18getri_kernel_smallILi18E19rocblas_complex_numIfEPS3_EEvT1_iilPiilS6_bb: ; @_ZN9rocsolver6v33100L18getri_kernel_smallILi18E19rocblas_complex_numIfEPS3_EEvT1_iilPiilS6_bb
; %bb.0:
	s_add_u32 s0, s0, s7
	s_addc_u32 s1, s1, 0
	v_cmp_gt_u32_e32 vcc, 18, v0
	s_and_saveexec_b64 s[8:9], vcc
	s_cbranch_execz .LBB17_86
; %bb.1:
	s_load_dword s12, s[4:5], 0x38
	s_load_dwordx4 s[16:19], s[4:5], 0x10
	s_load_dwordx4 s[8:11], s[4:5], 0x28
                                        ; implicit-def: $sgpr20_sgpr21
	s_waitcnt lgkmcnt(0)
	s_bitcmp1_b32 s12, 8
	s_cselect_b64 s[22:23], -1, 0
	s_ashr_i32 s7, s6, 31
	s_bfe_u32 s12, s12, 0x10008
	s_cmp_eq_u32 s12, 0
	s_cbranch_scc1 .LBB17_3
; %bb.2:
	s_load_dword s12, s[4:5], 0x20
	s_mul_i32 s13, s8, s7
	s_mul_hi_u32 s14, s8, s6
	s_mul_i32 s9, s9, s6
	s_add_i32 s14, s14, s13
	s_add_i32 s9, s14, s9
	s_mul_i32 s8, s8, s6
	s_waitcnt lgkmcnt(0)
	s_ashr_i32 s13, s12, 31
	s_lshl_b64 s[8:9], s[8:9], 2
	s_add_u32 s14, s18, s8
	s_addc_u32 s15, s19, s9
	s_lshl_b64 s[8:9], s[12:13], 2
	s_add_u32 s20, s14, s8
	s_addc_u32 s21, s15, s9
.LBB17_3:
	s_load_dwordx4 s[12:15], s[4:5], 0x0
	s_load_dword s8, s[4:5], 0x38
	s_mul_i32 s9, s16, s7
	s_mul_hi_u32 s18, s16, s6
	s_add_i32 s9, s18, s9
	s_waitcnt lgkmcnt(0)
	s_ashr_i32 s5, s14, 31
	s_mov_b32 s4, s14
	s_mul_i32 s14, s17, s6
	s_add_i32 s17, s9, s14
	s_mul_i32 s16, s16, s6
	s_lshl_b64 s[16:17], s[16:17], 3
	s_add_u32 s9, s12, s16
	s_addc_u32 s12, s13, s17
	s_lshl_b64 s[4:5], s[4:5], 3
	s_add_u32 s4, s9, s4
	s_addc_u32 s5, s12, s5
	s_add_i32 s9, s15, s15
	v_add_u32_e32 v3, s9, v0
	v_ashrrev_i32_e32 v4, 31, v3
	v_lshlrev_b64 v[1:2], 3, v[3:4]
	v_add_u32_e32 v5, s15, v3
	v_mov_b32_e32 v4, s5
	v_add_co_u32_e32 v1, vcc, s4, v1
	v_ashrrev_i32_e32 v6, 31, v5
	v_addc_co_u32_e32 v2, vcc, v4, v2, vcc
	v_lshlrev_b64 v[3:4], 3, v[5:6]
	v_add_u32_e32 v7, s15, v5
	v_mov_b32_e32 v6, s5
	v_add_co_u32_e32 v3, vcc, s4, v3
	v_ashrrev_i32_e32 v8, 31, v7
	v_addc_co_u32_e32 v4, vcc, v6, v4, vcc
	;; [unrolled: 6-line block ×8, first 2 shown]
	v_lshlrev_b64 v[17:18], 3, v[19:20]
	v_mov_b32_e32 v21, s5
	v_add_co_u32_e32 v17, vcc, s4, v17
	v_addc_co_u32_e32 v18, vcc, v21, v18, vcc
	v_add_u32_e32 v21, s15, v19
	v_ashrrev_i32_e32 v22, 31, v21
	v_lshlrev_b64 v[19:20], 3, v[21:22]
	v_mov_b32_e32 v23, s5
	v_add_co_u32_e32 v19, vcc, s4, v19
	v_addc_co_u32_e32 v20, vcc, v23, v20, vcc
	v_add_u32_e32 v23, s15, v21
	v_ashrrev_i32_e32 v24, 31, v23
	;; [unrolled: 6-line block ×4, first 2 shown]
	v_lshlrev_b64 v[25:26], 3, v[27:28]
	v_add_u32_e32 v33, s15, v27
	v_ashrrev_i32_e32 v34, 31, v33
	v_mov_b32_e32 v29, s5
	v_add_co_u32_e32 v25, vcc, s4, v25
	v_lshlrev_b64 v[27:28], 3, v[33:34]
	v_addc_co_u32_e32 v26, vcc, v29, v26, vcc
	v_add_co_u32_e32 v27, vcc, s4, v27
	v_addc_co_u32_e32 v28, vcc, v29, v28, vcc
	v_lshlrev_b32_e32 v39, 3, v0
	v_mov_b32_e32 v30, s5
	v_add_co_u32_e32 v29, vcc, s4, v39
	s_ashr_i32 s13, s15, 31
	s_mov_b32 s12, s15
	v_add_u32_e32 v35, s15, v33
	v_addc_co_u32_e32 v30, vcc, 0, v30, vcc
	s_lshl_b64 s[12:13], s[12:13], 3
	v_ashrrev_i32_e32 v36, 31, v35
	v_mov_b32_e32 v32, s13
	v_add_co_u32_e32 v31, vcc, s12, v29
	v_lshlrev_b64 v[33:34], 3, v[35:36]
	v_addc_co_u32_e32 v32, vcc, v30, v32, vcc
	v_mov_b32_e32 v56, s5
	v_add_co_u32_e32 v33, vcc, s4, v33
	global_load_dwordx2 v[37:38], v39, s[4:5]
	global_load_dwordx2 v[42:43], v[1:2], off
	global_load_dwordx2 v[44:45], v[3:4], off
	;; [unrolled: 1-line block ×8, first 2 shown]
	v_addc_co_u32_e32 v34, vcc, v56, v34, vcc
	global_load_dwordx2 v[56:57], v[15:16], off
	global_load_dwordx2 v[58:59], v[17:18], off
	;; [unrolled: 1-line block ×8, first 2 shown]
	v_add_u32_e32 v35, s15, v35
	v_ashrrev_i32_e32 v36, 31, v35
	v_lshlrev_b64 v[35:36], 3, v[35:36]
	v_mov_b32_e32 v72, s5
	v_add_co_u32_e32 v35, vcc, s4, v35
	v_addc_co_u32_e32 v36, vcc, v72, v36, vcc
	global_load_dwordx2 v[72:73], v[35:36], off
	s_bitcmp0_b32 s8, 0
	s_mov_b64 s[8:9], -1
	s_waitcnt vmcnt(17)
	buffer_store_dword v38, off, s[0:3], 0 offset:4
	buffer_store_dword v37, off, s[0:3], 0
	s_waitcnt vmcnt(15)
	buffer_store_dword v41, off, s[0:3], 0 offset:12
	buffer_store_dword v40, off, s[0:3], 0 offset:8
	buffer_store_dword v43, off, s[0:3], 0 offset:20
	buffer_store_dword v42, off, s[0:3], 0 offset:16
	buffer_store_dword v45, off, s[0:3], 0 offset:28
	buffer_store_dword v44, off, s[0:3], 0 offset:24
	buffer_store_dword v47, off, s[0:3], 0 offset:36
	buffer_store_dword v46, off, s[0:3], 0 offset:32
	s_waitcnt vmcnt(22)
	buffer_store_dword v49, off, s[0:3], 0 offset:44
	buffer_store_dword v48, off, s[0:3], 0 offset:40
	s_waitcnt vmcnt(23)
	buffer_store_dword v51, off, s[0:3], 0 offset:52
	buffer_store_dword v50, off, s[0:3], 0 offset:48
	;; [unrolled: 3-line block ×13, first 2 shown]
	s_cbranch_scc1 .LBB17_84
; %bb.4:
	v_cmp_eq_u32_e64 s[4:5], 0, v0
	s_and_saveexec_b64 s[8:9], s[4:5]
; %bb.5:
	v_mov_b32_e32 v37, 0
	ds_write_b32 v37, v37 offset:288
; %bb.6:
	s_or_b64 exec, exec, s[8:9]
	v_mov_b32_e32 v37, 0
	v_lshl_add_u32 v41, v0, 3, v37
	s_waitcnt lgkmcnt(0)
	; wave barrier
	buffer_load_dword v37, v41, s[0:3], 0 offen
	buffer_load_dword v38, v41, s[0:3], 0 offen offset:4
	s_waitcnt vmcnt(1)
	v_cmp_eq_f32_e32 vcc, 0, v37
	s_waitcnt vmcnt(0)
	v_cmp_eq_f32_e64 s[8:9], 0, v38
	s_and_b64 s[8:9], vcc, s[8:9]
	s_and_saveexec_b64 s[12:13], s[8:9]
	s_cbranch_execz .LBB17_10
; %bb.7:
	v_mov_b32_e32 v37, 0
	ds_read_b32 v40, v37 offset:288
	v_add_u32_e32 v38, 1, v0
	s_waitcnt lgkmcnt(0)
	v_readfirstlane_b32 s8, v40
	s_cmp_eq_u32 s8, 0
	s_cselect_b64 s[14:15], -1, 0
	v_cmp_gt_i32_e32 vcc, s8, v38
	s_or_b64 s[14:15], s[14:15], vcc
	s_and_b64 exec, exec, s[14:15]
	s_cbranch_execz .LBB17_10
; %bb.8:
	s_mov_b64 s[14:15], 0
	v_mov_b32_e32 v40, s8
.LBB17_9:                               ; =>This Inner Loop Header: Depth=1
	ds_cmpst_rtn_b32 v40, v37, v40, v38 offset:288
	s_waitcnt lgkmcnt(0)
	v_cmp_ne_u32_e32 vcc, 0, v40
	v_cmp_le_i32_e64 s[8:9], v40, v38
	s_and_b64 s[8:9], vcc, s[8:9]
	s_and_b64 s[8:9], exec, s[8:9]
	s_or_b64 s[14:15], s[8:9], s[14:15]
	s_andn2_b64 exec, exec, s[14:15]
	s_cbranch_execnz .LBB17_9
.LBB17_10:
	s_or_b64 exec, exec, s[12:13]
	v_mov_b32_e32 v38, 0
	; wave barrier
	ds_read_b32 v37, v38 offset:288
	s_and_saveexec_b64 s[8:9], s[4:5]
	s_cbranch_execz .LBB17_12
; %bb.11:
	s_lshl_b64 s[12:13], s[6:7], 2
	s_add_u32 s12, s10, s12
	s_addc_u32 s13, s11, s13
	s_waitcnt lgkmcnt(0)
	global_store_dword v38, v37, s[12:13]
.LBB17_12:
	s_or_b64 exec, exec, s[8:9]
	s_waitcnt lgkmcnt(0)
	v_cmp_ne_u32_e32 vcc, 0, v37
	s_mov_b64 s[8:9], 0
	s_cbranch_vccnz .LBB17_84
; %bb.13:
	buffer_load_dword v38, v41, s[0:3], 0 offen
	buffer_load_dword v40, v41, s[0:3], 0 offen offset:4
                                        ; implicit-def: $vgpr43
                                        ; implicit-def: $vgpr42
                                        ; implicit-def: $vgpr37
	s_waitcnt vmcnt(0)
	v_cmp_ngt_f32_e64 s[8:9], |v38|, |v40|
	s_and_saveexec_b64 s[12:13], s[8:9]
	s_xor_b64 s[8:9], exec, s[12:13]
	s_cbranch_execz .LBB17_15
; %bb.14:
	v_div_scale_f32 v37, s[12:13], v40, v40, v38
	v_div_scale_f32 v42, vcc, v38, v40, v38
	v_rcp_f32_e32 v43, v37
	v_fma_f32 v44, -v37, v43, 1.0
	v_fmac_f32_e32 v43, v44, v43
	v_mul_f32_e32 v44, v42, v43
	v_fma_f32 v45, -v37, v44, v42
	v_fmac_f32_e32 v44, v45, v43
	v_fma_f32 v37, -v37, v44, v42
	v_div_fmas_f32 v37, v37, v43, v44
	v_div_fixup_f32 v37, v37, v40, v38
	v_fmac_f32_e32 v40, v38, v37
	v_div_scale_f32 v38, s[12:13], v40, v40, 1.0
	v_div_scale_f32 v42, vcc, 1.0, v40, 1.0
	v_rcp_f32_e32 v43, v38
	v_fma_f32 v44, -v38, v43, 1.0
	v_fmac_f32_e32 v43, v44, v43
	v_mul_f32_e32 v44, v42, v43
	v_fma_f32 v45, -v38, v44, v42
	v_fmac_f32_e32 v44, v45, v43
	v_fma_f32 v38, -v38, v44, v42
	v_div_fmas_f32 v38, v38, v43, v44
	v_div_fixup_f32 v38, v38, v40, 1.0
	v_mul_f32_e32 v43, v37, v38
	v_xor_b32_e32 v42, 0x80000000, v38
	v_xor_b32_e32 v37, 0x80000000, v43
                                        ; implicit-def: $vgpr38
                                        ; implicit-def: $vgpr40
.LBB17_15:
	s_andn2_saveexec_b64 s[8:9], s[8:9]
	s_cbranch_execz .LBB17_17
; %bb.16:
	v_div_scale_f32 v37, s[12:13], v38, v38, v40
	v_div_scale_f32 v42, vcc, v40, v38, v40
	v_rcp_f32_e32 v43, v37
	v_fma_f32 v44, -v37, v43, 1.0
	v_fmac_f32_e32 v43, v44, v43
	v_mul_f32_e32 v44, v42, v43
	v_fma_f32 v45, -v37, v44, v42
	v_fmac_f32_e32 v44, v45, v43
	v_fma_f32 v37, -v37, v44, v42
	v_div_fmas_f32 v37, v37, v43, v44
	v_div_fixup_f32 v42, v37, v38, v40
	v_fmac_f32_e32 v38, v40, v42
	v_div_scale_f32 v37, s[12:13], v38, v38, 1.0
	v_div_scale_f32 v40, vcc, 1.0, v38, 1.0
	v_rcp_f32_e32 v43, v37
	v_fma_f32 v44, -v37, v43, 1.0
	v_fmac_f32_e32 v43, v44, v43
	v_mul_f32_e32 v44, v40, v43
	v_fma_f32 v45, -v37, v44, v40
	v_fmac_f32_e32 v44, v45, v43
	v_fma_f32 v37, -v37, v44, v40
	v_div_fmas_f32 v37, v37, v43, v44
	v_div_fixup_f32 v43, v37, v38, 1.0
	v_xor_b32_e32 v37, 0x80000000, v43
	v_mul_f32_e64 v42, v42, -v43
.LBB17_17:
	s_or_b64 exec, exec, s[8:9]
	buffer_store_dword v43, v41, s[0:3], 0 offen
	buffer_store_dword v42, v41, s[0:3], 0 offen offset:4
	buffer_load_dword v44, off, s[0:3], 0 offset:12
	s_nop 0
	buffer_load_dword v43, off, s[0:3], 0 offset:8
	v_xor_b32_e32 v38, 0x80000000, v42
	v_add_u32_e32 v40, 0x90, v39
	s_waitcnt vmcnt(0)
	ds_write2_b64 v39, v[37:38], v[43:44] offset1:18
	s_waitcnt lgkmcnt(0)
	; wave barrier
	s_and_saveexec_b64 s[8:9], s[4:5]
	s_cbranch_execz .LBB17_19
; %bb.18:
	buffer_load_dword v44, v41, s[0:3], 0 offen offset:4
	buffer_load_dword v45, v41, s[0:3], 0 offen
	ds_read_b64 v[37:38], v40
	v_mov_b32_e32 v42, 0
	ds_read_b64 v[42:43], v42 offset:8
	s_waitcnt vmcnt(1) lgkmcnt(1)
	v_mul_f32_e32 v46, v38, v44
	v_mul_f32_e32 v44, v37, v44
	s_waitcnt vmcnt(0)
	v_fmac_f32_e32 v44, v38, v45
	v_fma_f32 v37, v37, v45, -v46
	v_add_f32_e32 v38, 0, v44
	v_add_f32_e32 v37, 0, v37
	s_waitcnt lgkmcnt(0)
	v_mul_f32_e32 v44, v38, v43
	v_mul_f32_e32 v43, v37, v43
	v_fma_f32 v37, v37, v42, -v44
	v_fmac_f32_e32 v43, v38, v42
	buffer_store_dword v37, off, s[0:3], 0 offset:8
	buffer_store_dword v43, off, s[0:3], 0 offset:12
.LBB17_19:
	s_or_b64 exec, exec, s[8:9]
	; wave barrier
	buffer_load_dword v37, off, s[0:3], 0 offset:16
	buffer_load_dword v38, off, s[0:3], 0 offset:20
	v_cmp_gt_u32_e32 vcc, 2, v0
	s_waitcnt vmcnt(0)
	ds_write_b64 v40, v[37:38]
	s_waitcnt lgkmcnt(0)
	; wave barrier
	s_and_saveexec_b64 s[8:9], vcc
	s_cbranch_execz .LBB17_23
; %bb.20:
	buffer_load_dword v42, v41, s[0:3], 0 offen offset:4
	buffer_load_dword v43, v41, s[0:3], 0 offen
	ds_read_b64 v[37:38], v40
	s_waitcnt vmcnt(1) lgkmcnt(0)
	v_mul_f32_e32 v41, v38, v42
	v_mul_f32_e32 v42, v37, v42
	s_waitcnt vmcnt(0)
	v_fma_f32 v37, v37, v43, -v41
	v_fmac_f32_e32 v42, v38, v43
	v_add_f32_e32 v38, 0, v37
	v_add_f32_e32 v37, 0, v42
	s_and_saveexec_b64 s[12:13], s[4:5]
	s_cbranch_execz .LBB17_22
; %bb.21:
	buffer_load_dword v43, off, s[0:3], 0 offset:12
	buffer_load_dword v44, off, s[0:3], 0 offset:8
	v_mov_b32_e32 v41, 0
	ds_read_b64 v[41:42], v41 offset:152
	s_waitcnt vmcnt(1) lgkmcnt(0)
	v_mul_f32_e32 v45, v41, v43
	v_mul_f32_e32 v43, v42, v43
	s_waitcnt vmcnt(0)
	v_fmac_f32_e32 v45, v42, v44
	v_fma_f32 v41, v41, v44, -v43
	v_add_f32_e32 v37, v37, v45
	v_add_f32_e32 v38, v38, v41
.LBB17_22:
	s_or_b64 exec, exec, s[12:13]
	v_mov_b32_e32 v41, 0
	ds_read_b64 v[41:42], v41 offset:16
	s_waitcnt lgkmcnt(0)
	v_mul_f32_e32 v43, v37, v42
	v_mul_f32_e32 v42, v38, v42
	v_fma_f32 v38, v38, v41, -v43
	v_fmac_f32_e32 v42, v37, v41
	buffer_store_dword v38, off, s[0:3], 0 offset:16
	buffer_store_dword v42, off, s[0:3], 0 offset:20
.LBB17_23:
	s_or_b64 exec, exec, s[8:9]
	; wave barrier
	buffer_load_dword v37, off, s[0:3], 0 offset:24
	buffer_load_dword v38, off, s[0:3], 0 offset:28
	v_cmp_gt_u32_e32 vcc, 3, v0
	s_waitcnt vmcnt(0)
	ds_write_b64 v40, v[37:38]
	v_add_u32_e32 v37, -1, v0
	s_waitcnt lgkmcnt(0)
	; wave barrier
	s_and_saveexec_b64 s[4:5], vcc
	s_cbranch_execz .LBB17_27
; %bb.24:
	v_add_u32_e32 v41, -1, v0
	v_add_u32_e32 v42, 0x90, v39
	v_mov_b32_e32 v43, v39
	v_mov_b32_e32 v38, 0
	s_mov_b64 s[8:9], 0
	v_mov_b32_e32 v44, 0
.LBB17_25:                              ; =>This Inner Loop Header: Depth=1
	buffer_load_dword v47, v43, s[0:3], 0 offen offset:4
	buffer_load_dword v48, v43, s[0:3], 0 offen
	ds_read_b64 v[45:46], v42
	v_add_u32_e32 v41, 1, v41
	v_cmp_lt_u32_e32 vcc, 1, v41
	v_add_u32_e32 v42, 8, v42
	v_add_u32_e32 v43, 8, v43
	s_or_b64 s[8:9], vcc, s[8:9]
	s_waitcnt vmcnt(1) lgkmcnt(0)
	v_mul_f32_e32 v49, v46, v47
	v_mul_f32_e32 v47, v45, v47
	s_waitcnt vmcnt(0)
	v_fma_f32 v45, v45, v48, -v49
	v_fmac_f32_e32 v47, v46, v48
	v_add_f32_e32 v44, v44, v45
	v_add_f32_e32 v38, v38, v47
	s_andn2_b64 exec, exec, s[8:9]
	s_cbranch_execnz .LBB17_25
; %bb.26:
	s_or_b64 exec, exec, s[8:9]
	v_mov_b32_e32 v41, 0
	ds_read_b64 v[41:42], v41 offset:24
	s_waitcnt lgkmcnt(0)
	v_mul_f32_e32 v43, v38, v42
	v_mul_f32_e32 v42, v44, v42
	v_fma_f32 v43, v44, v41, -v43
	v_fmac_f32_e32 v42, v38, v41
	buffer_store_dword v43, off, s[0:3], 0 offset:24
	buffer_store_dword v42, off, s[0:3], 0 offset:28
.LBB17_27:
	s_or_b64 exec, exec, s[4:5]
	; wave barrier
	buffer_load_dword v41, off, s[0:3], 0 offset:32
	buffer_load_dword v42, off, s[0:3], 0 offset:36
	v_cmp_gt_u32_e32 vcc, 4, v0
	s_waitcnt vmcnt(0)
	ds_write_b64 v40, v[41:42]
	s_waitcnt lgkmcnt(0)
	; wave barrier
	s_and_saveexec_b64 s[4:5], vcc
	s_cbranch_execz .LBB17_31
; %bb.28:
	v_add_u32_e32 v41, -1, v0
	v_add_u32_e32 v42, 0x90, v39
	v_mov_b32_e32 v43, v39
	v_mov_b32_e32 v38, 0
	s_mov_b64 s[8:9], 0
	v_mov_b32_e32 v44, 0
.LBB17_29:                              ; =>This Inner Loop Header: Depth=1
	buffer_load_dword v47, v43, s[0:3], 0 offen offset:4
	buffer_load_dword v48, v43, s[0:3], 0 offen
	ds_read_b64 v[45:46], v42
	v_add_u32_e32 v41, 1, v41
	v_cmp_lt_u32_e32 vcc, 2, v41
	v_add_u32_e32 v42, 8, v42
	v_add_u32_e32 v43, 8, v43
	s_or_b64 s[8:9], vcc, s[8:9]
	s_waitcnt vmcnt(1) lgkmcnt(0)
	v_mul_f32_e32 v49, v46, v47
	v_mul_f32_e32 v47, v45, v47
	s_waitcnt vmcnt(0)
	v_fma_f32 v45, v45, v48, -v49
	v_fmac_f32_e32 v47, v46, v48
	v_add_f32_e32 v44, v44, v45
	v_add_f32_e32 v38, v38, v47
	s_andn2_b64 exec, exec, s[8:9]
	s_cbranch_execnz .LBB17_29
; %bb.30:
	s_or_b64 exec, exec, s[8:9]
	v_mov_b32_e32 v41, 0
	ds_read_b64 v[41:42], v41 offset:32
	s_waitcnt lgkmcnt(0)
	v_mul_f32_e32 v43, v38, v42
	v_mul_f32_e32 v42, v44, v42
	v_fma_f32 v43, v44, v41, -v43
	v_fmac_f32_e32 v42, v38, v41
	buffer_store_dword v43, off, s[0:3], 0 offset:32
	buffer_store_dword v42, off, s[0:3], 0 offset:36
.LBB17_31:
	s_or_b64 exec, exec, s[4:5]
	; wave barrier
	buffer_load_dword v41, off, s[0:3], 0 offset:40
	buffer_load_dword v42, off, s[0:3], 0 offset:44
	v_cmp_gt_u32_e32 vcc, 5, v0
	s_waitcnt vmcnt(0)
	ds_write_b64 v40, v[41:42]
	;; [unrolled: 49-line block ×13, first 2 shown]
	s_waitcnt lgkmcnt(0)
	; wave barrier
	s_and_saveexec_b64 s[4:5], vcc
	s_cbranch_execz .LBB17_79
; %bb.76:
	v_add_u32_e32 v41, -1, v0
	v_add_u32_e32 v42, 0x90, v39
	v_mov_b32_e32 v43, v39
	v_mov_b32_e32 v38, 0
	s_mov_b64 s[8:9], 0
	v_mov_b32_e32 v44, 0
.LBB17_77:                              ; =>This Inner Loop Header: Depth=1
	buffer_load_dword v47, v43, s[0:3], 0 offen offset:4
	buffer_load_dword v48, v43, s[0:3], 0 offen
	ds_read_b64 v[45:46], v42
	v_add_u32_e32 v41, 1, v41
	v_cmp_lt_u32_e32 vcc, 14, v41
	v_add_u32_e32 v42, 8, v42
	v_add_u32_e32 v43, 8, v43
	s_or_b64 s[8:9], vcc, s[8:9]
	s_waitcnt vmcnt(1) lgkmcnt(0)
	v_mul_f32_e32 v49, v46, v47
	v_mul_f32_e32 v47, v45, v47
	s_waitcnt vmcnt(0)
	v_fma_f32 v45, v45, v48, -v49
	v_fmac_f32_e32 v47, v46, v48
	v_add_f32_e32 v44, v44, v45
	v_add_f32_e32 v38, v38, v47
	s_andn2_b64 exec, exec, s[8:9]
	s_cbranch_execnz .LBB17_77
; %bb.78:
	s_or_b64 exec, exec, s[8:9]
	v_mov_b32_e32 v41, 0
	ds_read_b64 v[41:42], v41 offset:128
	s_waitcnt lgkmcnt(0)
	v_mul_f32_e32 v43, v38, v42
	v_mul_f32_e32 v42, v44, v42
	v_fma_f32 v43, v44, v41, -v43
	v_fmac_f32_e32 v42, v38, v41
	buffer_store_dword v43, off, s[0:3], 0 offset:128
	buffer_store_dword v42, off, s[0:3], 0 offset:132
.LBB17_79:
	s_or_b64 exec, exec, s[4:5]
	; wave barrier
	buffer_load_dword v41, off, s[0:3], 0 offset:136
	buffer_load_dword v42, off, s[0:3], 0 offset:140
	v_cmp_ne_u32_e32 vcc, 17, v0
	s_waitcnt vmcnt(0)
	ds_write_b64 v40, v[41:42]
	s_waitcnt lgkmcnt(0)
	; wave barrier
	s_and_saveexec_b64 s[4:5], vcc
	s_cbranch_execz .LBB17_83
; %bb.80:
	v_add_u32_e32 v40, 0x90, v39
	v_mov_b32_e32 v38, 0
	s_mov_b64 s[8:9], 0
	v_mov_b32_e32 v41, 0
.LBB17_81:                              ; =>This Inner Loop Header: Depth=1
	buffer_load_dword v44, v39, s[0:3], 0 offen offset:4
	buffer_load_dword v45, v39, s[0:3], 0 offen
	ds_read_b64 v[42:43], v40
	v_add_u32_e32 v37, 1, v37
	v_cmp_lt_u32_e32 vcc, 15, v37
	v_add_u32_e32 v40, 8, v40
	v_add_u32_e32 v39, 8, v39
	s_or_b64 s[8:9], vcc, s[8:9]
	s_waitcnt vmcnt(1) lgkmcnt(0)
	v_mul_f32_e32 v46, v43, v44
	v_mul_f32_e32 v44, v42, v44
	s_waitcnt vmcnt(0)
	v_fma_f32 v42, v42, v45, -v46
	v_fmac_f32_e32 v44, v43, v45
	v_add_f32_e32 v41, v41, v42
	v_add_f32_e32 v38, v38, v44
	s_andn2_b64 exec, exec, s[8:9]
	s_cbranch_execnz .LBB17_81
; %bb.82:
	s_or_b64 exec, exec, s[8:9]
	v_mov_b32_e32 v37, 0
	ds_read_b64 v[39:40], v37 offset:136
	s_waitcnt lgkmcnt(0)
	v_mul_f32_e32 v37, v38, v40
	v_mul_f32_e32 v40, v41, v40
	v_fma_f32 v37, v41, v39, -v37
	v_fmac_f32_e32 v40, v38, v39
	buffer_store_dword v37, off, s[0:3], 0 offset:136
	buffer_store_dword v40, off, s[0:3], 0 offset:140
.LBB17_83:
	s_or_b64 exec, exec, s[4:5]
	s_mov_b64 s[8:9], -1
	; wave barrier
.LBB17_84:
	s_and_b64 vcc, exec, s[8:9]
	s_cbranch_vccz .LBB17_86
; %bb.85:
	s_lshl_b64 s[4:5], s[6:7], 2
	s_add_u32 s4, s10, s4
	s_addc_u32 s5, s11, s5
	v_mov_b32_e32 v37, 0
	global_load_dword v37, v37, s[4:5]
	s_waitcnt vmcnt(0)
	v_cmp_ne_u32_e32 vcc, 0, v37
	s_cbranch_vccz .LBB17_87
.LBB17_86:
	s_endpgm
.LBB17_87:
	v_mov_b32_e32 v37, 0x90
	v_lshl_add_u32 v37, v0, 3, v37
	v_cmp_eq_u32_e32 vcc, 17, v0
	s_and_saveexec_b64 s[4:5], vcc
	s_cbranch_execz .LBB17_89
; %bb.88:
	buffer_load_dword v38, off, s[0:3], 0 offset:128
	buffer_load_dword v39, off, s[0:3], 0 offset:132
	v_mov_b32_e32 v40, 0
	buffer_store_dword v40, off, s[0:3], 0 offset:128
	buffer_store_dword v40, off, s[0:3], 0 offset:132
	s_waitcnt vmcnt(2)
	ds_write_b64 v37, v[38:39]
.LBB17_89:
	s_or_b64 exec, exec, s[4:5]
	s_waitcnt lgkmcnt(0)
	; wave barrier
	buffer_load_dword v41, off, s[0:3], 0 offset:140
	buffer_load_dword v42, off, s[0:3], 0 offset:136
	;; [unrolled: 1-line block ×4, first 2 shown]
	v_mov_b32_e32 v38, 0
	ds_read_b64 v[39:40], v38 offset:280
	v_cmp_lt_u32_e32 vcc, 15, v0
	s_waitcnt vmcnt(3) lgkmcnt(0)
	v_mul_f32_e32 v45, v39, v41
	v_mul_f32_e32 v41, v40, v41
	s_waitcnt vmcnt(2)
	v_fma_f32 v39, v39, v42, -v41
	v_fmac_f32_e32 v45, v40, v42
	v_add_f32_e32 v39, 0, v39
	v_add_f32_e32 v40, 0, v45
	s_waitcnt vmcnt(1)
	v_sub_f32_e32 v39, v43, v39
	s_waitcnt vmcnt(0)
	v_sub_f32_e32 v40, v44, v40
	buffer_store_dword v39, off, s[0:3], 0 offset:128
	buffer_store_dword v40, off, s[0:3], 0 offset:132
	s_and_saveexec_b64 s[4:5], vcc
	s_cbranch_execz .LBB17_91
; %bb.90:
	buffer_load_dword v39, off, s[0:3], 0 offset:120
	buffer_load_dword v40, off, s[0:3], 0 offset:124
	s_waitcnt vmcnt(0)
	ds_write_b64 v37, v[39:40]
	buffer_store_dword v38, off, s[0:3], 0 offset:120
	buffer_store_dword v38, off, s[0:3], 0 offset:124
.LBB17_91:
	s_or_b64 exec, exec, s[4:5]
	s_waitcnt lgkmcnt(0)
	; wave barrier
	buffer_load_dword v42, off, s[0:3], 0 offset:132
	buffer_load_dword v43, off, s[0:3], 0 offset:140
	buffer_load_dword v44, off, s[0:3], 0 offset:128
	buffer_load_dword v45, off, s[0:3], 0 offset:136
	buffer_load_dword v46, off, s[0:3], 0 offset:120
	buffer_load_dword v47, off, s[0:3], 0 offset:124
	ds_read_b128 v[38:41], v38 offset:272
	v_cmp_lt_u32_e32 vcc, 14, v0
	s_waitcnt vmcnt(5) lgkmcnt(0)
	v_mul_f32_e32 v48, v38, v42
	v_mul_f32_e32 v42, v39, v42
	s_waitcnt vmcnt(4)
	v_mul_f32_e32 v49, v40, v43
	v_mul_f32_e32 v43, v41, v43
	s_waitcnt vmcnt(3)
	v_fma_f32 v38, v38, v44, -v42
	v_fmac_f32_e32 v48, v39, v44
	s_waitcnt vmcnt(2)
	v_fma_f32 v39, v40, v45, -v43
	v_add_f32_e32 v38, 0, v38
	v_fmac_f32_e32 v49, v41, v45
	v_add_f32_e32 v40, 0, v48
	v_add_f32_e32 v38, v38, v39
	;; [unrolled: 1-line block ×3, first 2 shown]
	s_waitcnt vmcnt(1)
	v_sub_f32_e32 v38, v46, v38
	s_waitcnt vmcnt(0)
	v_sub_f32_e32 v39, v47, v40
	buffer_store_dword v38, off, s[0:3], 0 offset:120
	buffer_store_dword v39, off, s[0:3], 0 offset:124
	s_and_saveexec_b64 s[4:5], vcc
	s_cbranch_execz .LBB17_93
; %bb.92:
	buffer_load_dword v38, off, s[0:3], 0 offset:112
	buffer_load_dword v39, off, s[0:3], 0 offset:116
	v_mov_b32_e32 v40, 0
	buffer_store_dword v40, off, s[0:3], 0 offset:112
	buffer_store_dword v40, off, s[0:3], 0 offset:116
	s_waitcnt vmcnt(2)
	ds_write_b64 v37, v[38:39]
.LBB17_93:
	s_or_b64 exec, exec, s[4:5]
	s_waitcnt lgkmcnt(0)
	; wave barrier
	buffer_load_dword v45, off, s[0:3], 0 offset:124
	buffer_load_dword v46, off, s[0:3], 0 offset:132
	;; [unrolled: 1-line block ×8, first 2 shown]
	v_mov_b32_e32 v38, 0
	ds_read2_b64 v[39:42], v38 offset0:33 offset1:34
	ds_read_b64 v[43:44], v38 offset:280
	v_cmp_lt_u32_e32 vcc, 13, v0
	s_waitcnt vmcnt(7) lgkmcnt(1)
	v_mul_f32_e32 v53, v39, v45
	v_mul_f32_e32 v45, v40, v45
	s_waitcnt vmcnt(6)
	v_mul_f32_e32 v54, v41, v46
	v_mul_f32_e32 v46, v42, v46
	s_waitcnt vmcnt(4)
	v_fma_f32 v39, v39, v48, -v45
	s_waitcnt lgkmcnt(0)
	v_mul_f32_e32 v55, v43, v47
	v_mul_f32_e32 v47, v44, v47
	v_fmac_f32_e32 v53, v40, v48
	s_waitcnt vmcnt(3)
	v_fma_f32 v40, v41, v49, -v46
	v_add_f32_e32 v39, 0, v39
	v_fmac_f32_e32 v54, v42, v49
	s_waitcnt vmcnt(2)
	v_fma_f32 v41, v43, v50, -v47
	v_add_f32_e32 v42, 0, v53
	v_add_f32_e32 v39, v39, v40
	v_fmac_f32_e32 v55, v44, v50
	v_add_f32_e32 v42, v42, v54
	v_add_f32_e32 v39, v39, v41
	;; [unrolled: 1-line block ×3, first 2 shown]
	s_waitcnt vmcnt(1)
	v_sub_f32_e32 v39, v51, v39
	s_waitcnt vmcnt(0)
	v_sub_f32_e32 v40, v52, v40
	buffer_store_dword v39, off, s[0:3], 0 offset:112
	buffer_store_dword v40, off, s[0:3], 0 offset:116
	s_and_saveexec_b64 s[4:5], vcc
	s_cbranch_execz .LBB17_95
; %bb.94:
	buffer_load_dword v39, off, s[0:3], 0 offset:104
	buffer_load_dword v40, off, s[0:3], 0 offset:108
	s_waitcnt vmcnt(0)
	ds_write_b64 v37, v[39:40]
	buffer_store_dword v38, off, s[0:3], 0 offset:104
	buffer_store_dword v38, off, s[0:3], 0 offset:108
.LBB17_95:
	s_or_b64 exec, exec, s[4:5]
	s_waitcnt lgkmcnt(0)
	; wave barrier
	buffer_load_dword v47, off, s[0:3], 0 offset:116
	buffer_load_dword v48, off, s[0:3], 0 offset:124
	buffer_load_dword v49, off, s[0:3], 0 offset:132
	buffer_load_dword v50, off, s[0:3], 0 offset:140
	buffer_load_dword v51, off, s[0:3], 0 offset:112
	buffer_load_dword v52, off, s[0:3], 0 offset:120
	buffer_load_dword v53, off, s[0:3], 0 offset:128
	buffer_load_dword v54, off, s[0:3], 0 offset:136
	buffer_load_dword v55, off, s[0:3], 0 offset:104
	buffer_load_dword v56, off, s[0:3], 0 offset:108
	ds_read_b128 v[39:42], v38 offset:256
	ds_read_b128 v[43:46], v38 offset:272
	v_cmp_lt_u32_e32 vcc, 12, v0
	s_waitcnt vmcnt(9) lgkmcnt(1)
	v_mul_f32_e32 v38, v39, v47
	v_mul_f32_e32 v47, v40, v47
	s_waitcnt vmcnt(8)
	v_mul_f32_e32 v57, v41, v48
	v_mul_f32_e32 v48, v42, v48
	s_waitcnt vmcnt(5)
	v_fma_f32 v39, v39, v51, -v47
	s_waitcnt lgkmcnt(0)
	v_mul_f32_e32 v58, v43, v49
	v_mul_f32_e32 v49, v44, v49
	v_fmac_f32_e32 v38, v40, v51
	s_waitcnt vmcnt(4)
	v_fma_f32 v40, v41, v52, -v48
	v_add_f32_e32 v39, 0, v39
	v_mul_f32_e32 v59, v45, v50
	v_mul_f32_e32 v50, v46, v50
	v_fmac_f32_e32 v57, v42, v52
	s_waitcnt vmcnt(3)
	v_fma_f32 v41, v43, v53, -v49
	v_add_f32_e32 v38, 0, v38
	v_add_f32_e32 v39, v39, v40
	v_fmac_f32_e32 v58, v44, v53
	s_waitcnt vmcnt(2)
	v_fma_f32 v42, v45, v54, -v50
	v_add_f32_e32 v38, v38, v57
	v_add_f32_e32 v39, v39, v41
	v_fmac_f32_e32 v59, v46, v54
	v_add_f32_e32 v38, v38, v58
	v_add_f32_e32 v39, v39, v42
	;; [unrolled: 1-line block ×3, first 2 shown]
	s_waitcnt vmcnt(1)
	v_sub_f32_e32 v39, v55, v39
	s_waitcnt vmcnt(0)
	v_sub_f32_e32 v38, v56, v38
	buffer_store_dword v39, off, s[0:3], 0 offset:104
	buffer_store_dword v38, off, s[0:3], 0 offset:108
	s_and_saveexec_b64 s[4:5], vcc
	s_cbranch_execz .LBB17_97
; %bb.96:
	buffer_load_dword v38, off, s[0:3], 0 offset:96
	buffer_load_dword v39, off, s[0:3], 0 offset:100
	v_mov_b32_e32 v40, 0
	buffer_store_dword v40, off, s[0:3], 0 offset:96
	buffer_store_dword v40, off, s[0:3], 0 offset:100
	s_waitcnt vmcnt(2)
	ds_write_b64 v37, v[38:39]
.LBB17_97:
	s_or_b64 exec, exec, s[4:5]
	v_mov_b32_e32 v38, 0
	s_waitcnt lgkmcnt(0)
	; wave barrier
	ds_read2_b64 v[39:42], v38 offset0:31 offset1:32
	buffer_load_dword v49, off, s[0:3], 0 offset:96
	buffer_load_dword v50, off, s[0:3], 0 offset:100
	;; [unrolled: 1-line block ×12, first 2 shown]
	v_cmp_lt_u32_e32 vcc, 11, v0
	s_waitcnt vmcnt(8) lgkmcnt(0)
	v_mul_f32_e32 v43, v39, v52
	v_fmac_f32_e32 v43, v40, v51
	s_waitcnt vmcnt(6)
	v_mul_f32_e32 v44, v41, v54
	v_add_f32_e32 v43, 0, v43
	v_fmac_f32_e32 v44, v42, v53
	v_add_f32_e32 v47, v43, v44
	ds_read2_b64 v[43:46], v38 offset0:33 offset1:34
	v_mul_f32_e32 v40, v40, v52
	v_fma_f32 v39, v39, v51, -v40
	v_mul_f32_e32 v40, v42, v54
	v_add_f32_e32 v39, 0, v39
	s_waitcnt vmcnt(4) lgkmcnt(0)
	v_mul_f32_e32 v48, v43, v56
	v_fmac_f32_e32 v48, v44, v55
	v_add_f32_e32 v47, v47, v48
	s_waitcnt vmcnt(2)
	v_mul_f32_e32 v48, v45, v58
	v_fmac_f32_e32 v48, v46, v57
	v_add_f32_e32 v61, v47, v48
	ds_read_b64 v[47:48], v38 offset:280
	v_fma_f32 v40, v41, v53, -v40
	v_add_f32_e32 v39, v39, v40
	v_mul_f32_e32 v40, v44, v56
	v_fma_f32 v40, v43, v55, -v40
	v_add_f32_e32 v39, v39, v40
	v_mul_f32_e32 v40, v46, v58
	v_fma_f32 v40, v45, v57, -v40
	v_add_f32_e32 v39, v39, v40
	s_waitcnt vmcnt(0) lgkmcnt(0)
	v_mul_f32_e32 v40, v48, v60
	v_mul_f32_e32 v62, v47, v60
	v_fma_f32 v40, v47, v59, -v40
	v_fmac_f32_e32 v62, v48, v59
	v_add_f32_e32 v39, v39, v40
	v_add_f32_e32 v61, v61, v62
	v_sub_f32_e32 v39, v49, v39
	v_sub_f32_e32 v40, v50, v61
	buffer_store_dword v39, off, s[0:3], 0 offset:96
	buffer_store_dword v40, off, s[0:3], 0 offset:100
	s_and_saveexec_b64 s[4:5], vcc
	s_cbranch_execz .LBB17_99
; %bb.98:
	buffer_load_dword v39, off, s[0:3], 0 offset:88
	buffer_load_dword v40, off, s[0:3], 0 offset:92
	s_waitcnt vmcnt(0)
	ds_write_b64 v37, v[39:40]
	buffer_store_dword v38, off, s[0:3], 0 offset:88
	buffer_store_dword v38, off, s[0:3], 0 offset:92
.LBB17_99:
	s_or_b64 exec, exec, s[4:5]
	s_waitcnt lgkmcnt(0)
	; wave barrier
	buffer_load_dword v51, off, s[0:3], 0 offset:100
	buffer_load_dword v52, off, s[0:3], 0 offset:108
	;; [unrolled: 1-line block ×14, first 2 shown]
	ds_read_b128 v[39:42], v38 offset:240
	ds_read_b128 v[43:46], v38 offset:256
	;; [unrolled: 1-line block ×3, first 2 shown]
	v_cmp_lt_u32_e32 vcc, 10, v0
	s_waitcnt vmcnt(13) lgkmcnt(2)
	v_mul_f32_e32 v38, v39, v51
	v_mul_f32_e32 v51, v40, v51
	s_waitcnt vmcnt(12)
	v_mul_f32_e32 v65, v41, v52
	v_mul_f32_e32 v52, v42, v52
	s_waitcnt vmcnt(11) lgkmcnt(1)
	v_mul_f32_e32 v66, v43, v53
	v_mul_f32_e32 v53, v44, v53
	s_waitcnt vmcnt(7)
	v_fma_f32 v39, v39, v57, -v51
	v_fmac_f32_e32 v38, v40, v57
	s_waitcnt vmcnt(6)
	v_fma_f32 v40, v41, v58, -v52
	v_add_f32_e32 v39, 0, v39
	v_mul_f32_e32 v67, v45, v54
	v_mul_f32_e32 v54, v46, v54
	v_fmac_f32_e32 v65, v42, v58
	s_waitcnt vmcnt(5)
	v_fma_f32 v41, v43, v59, -v53
	v_add_f32_e32 v38, 0, v38
	v_add_f32_e32 v39, v39, v40
	s_waitcnt lgkmcnt(0)
	v_mul_f32_e32 v68, v47, v55
	v_mul_f32_e32 v55, v48, v55
	v_fmac_f32_e32 v66, v44, v59
	s_waitcnt vmcnt(4)
	v_fma_f32 v42, v45, v60, -v54
	v_add_f32_e32 v38, v38, v65
	v_add_f32_e32 v39, v39, v41
	v_mul_f32_e32 v69, v49, v56
	v_mul_f32_e32 v56, v50, v56
	v_fmac_f32_e32 v67, v46, v60
	s_waitcnt vmcnt(3)
	v_fma_f32 v43, v47, v61, -v55
	v_add_f32_e32 v38, v38, v66
	v_add_f32_e32 v39, v39, v42
	v_fmac_f32_e32 v68, v48, v61
	s_waitcnt vmcnt(2)
	v_fma_f32 v44, v49, v62, -v56
	v_add_f32_e32 v38, v38, v67
	v_add_f32_e32 v39, v39, v43
	v_fmac_f32_e32 v69, v50, v62
	v_add_f32_e32 v38, v38, v68
	v_add_f32_e32 v39, v39, v44
	;; [unrolled: 1-line block ×3, first 2 shown]
	s_waitcnt vmcnt(1)
	v_sub_f32_e32 v39, v63, v39
	s_waitcnt vmcnt(0)
	v_sub_f32_e32 v38, v64, v38
	buffer_store_dword v39, off, s[0:3], 0 offset:88
	buffer_store_dword v38, off, s[0:3], 0 offset:92
	s_and_saveexec_b64 s[4:5], vcc
	s_cbranch_execz .LBB17_101
; %bb.100:
	buffer_load_dword v38, off, s[0:3], 0 offset:80
	buffer_load_dword v39, off, s[0:3], 0 offset:84
	v_mov_b32_e32 v40, 0
	buffer_store_dword v40, off, s[0:3], 0 offset:80
	buffer_store_dword v40, off, s[0:3], 0 offset:84
	s_waitcnt vmcnt(2)
	ds_write_b64 v37, v[38:39]
.LBB17_101:
	s_or_b64 exec, exec, s[4:5]
	s_waitcnt lgkmcnt(0)
	; wave barrier
	buffer_load_dword v53, off, s[0:3], 0 offset:92
	buffer_load_dword v54, off, s[0:3], 0 offset:100
	buffer_load_dword v55, off, s[0:3], 0 offset:108
	buffer_load_dword v56, off, s[0:3], 0 offset:116
	buffer_load_dword v57, off, s[0:3], 0 offset:124
	buffer_load_dword v58, off, s[0:3], 0 offset:132
	buffer_load_dword v59, off, s[0:3], 0 offset:140
	buffer_load_dword v60, off, s[0:3], 0 offset:88
	buffer_load_dword v61, off, s[0:3], 0 offset:96
	buffer_load_dword v62, off, s[0:3], 0 offset:104
	buffer_load_dword v63, off, s[0:3], 0 offset:112
	buffer_load_dword v64, off, s[0:3], 0 offset:120
	buffer_load_dword v65, off, s[0:3], 0 offset:128
	buffer_load_dword v66, off, s[0:3], 0 offset:136
	buffer_load_dword v67, off, s[0:3], 0 offset:80
	buffer_load_dword v68, off, s[0:3], 0 offset:84
	v_mov_b32_e32 v38, 0
	ds_read2_b64 v[39:42], v38 offset0:29 offset1:30
	ds_read2_b64 v[43:46], v38 offset0:31 offset1:32
	;; [unrolled: 1-line block ×3, first 2 shown]
	ds_read_b64 v[51:52], v38 offset:280
	v_cmp_lt_u32_e32 vcc, 9, v0
	s_waitcnt vmcnt(15) lgkmcnt(3)
	v_mul_f32_e32 v69, v39, v53
	v_mul_f32_e32 v53, v40, v53
	s_waitcnt vmcnt(14)
	v_mul_f32_e32 v70, v41, v54
	v_mul_f32_e32 v54, v42, v54
	s_waitcnt vmcnt(13) lgkmcnt(2)
	v_mul_f32_e32 v71, v43, v55
	s_waitcnt vmcnt(12)
	v_mul_f32_e32 v72, v45, v56
	v_mul_f32_e32 v55, v44, v55
	s_waitcnt vmcnt(8)
	v_fma_f32 v39, v39, v60, -v53
	v_fmac_f32_e32 v69, v40, v60
	s_waitcnt vmcnt(7)
	v_fma_f32 v40, v41, v61, -v54
	v_add_f32_e32 v39, 0, v39
	v_mul_f32_e32 v56, v46, v56
	v_fmac_f32_e32 v70, v42, v61
	s_waitcnt vmcnt(5)
	v_fmac_f32_e32 v72, v46, v63
	v_fma_f32 v41, v43, v62, -v55
	v_add_f32_e32 v46, 0, v69
	v_add_f32_e32 v39, v39, v40
	s_waitcnt lgkmcnt(1)
	v_mul_f32_e32 v73, v47, v57
	v_mul_f32_e32 v57, v48, v57
	v_fmac_f32_e32 v71, v44, v62
	v_fma_f32 v42, v45, v63, -v56
	v_add_f32_e32 v46, v46, v70
	v_add_f32_e32 v39, v39, v41
	v_mul_f32_e32 v74, v49, v58
	v_mul_f32_e32 v58, v50, v58
	s_waitcnt vmcnt(4)
	v_fma_f32 v43, v47, v64, -v57
	v_add_f32_e32 v40, v46, v71
	v_add_f32_e32 v39, v39, v42
	s_waitcnt lgkmcnt(0)
	v_mul_f32_e32 v75, v51, v59
	v_mul_f32_e32 v59, v52, v59
	v_fmac_f32_e32 v73, v48, v64
	s_waitcnt vmcnt(3)
	v_fma_f32 v44, v49, v65, -v58
	v_add_f32_e32 v40, v40, v72
	v_add_f32_e32 v39, v39, v43
	v_fmac_f32_e32 v74, v50, v65
	s_waitcnt vmcnt(2)
	v_fma_f32 v45, v51, v66, -v59
	v_add_f32_e32 v40, v40, v73
	v_add_f32_e32 v39, v39, v44
	v_fmac_f32_e32 v75, v52, v66
	v_add_f32_e32 v40, v40, v74
	v_add_f32_e32 v39, v39, v45
	;; [unrolled: 1-line block ×3, first 2 shown]
	s_waitcnt vmcnt(1)
	v_sub_f32_e32 v39, v67, v39
	s_waitcnt vmcnt(0)
	v_sub_f32_e32 v40, v68, v40
	buffer_store_dword v39, off, s[0:3], 0 offset:80
	buffer_store_dword v40, off, s[0:3], 0 offset:84
	s_and_saveexec_b64 s[4:5], vcc
	s_cbranch_execz .LBB17_103
; %bb.102:
	buffer_load_dword v39, off, s[0:3], 0 offset:72
	buffer_load_dword v40, off, s[0:3], 0 offset:76
	s_waitcnt vmcnt(0)
	ds_write_b64 v37, v[39:40]
	buffer_store_dword v38, off, s[0:3], 0 offset:72
	buffer_store_dword v38, off, s[0:3], 0 offset:76
.LBB17_103:
	s_or_b64 exec, exec, s[4:5]
	s_waitcnt lgkmcnt(0)
	; wave barrier
	buffer_load_dword v55, off, s[0:3], 0 offset:84
	buffer_load_dword v56, off, s[0:3], 0 offset:92
	;; [unrolled: 1-line block ×18, first 2 shown]
	ds_read_b128 v[39:42], v38 offset:224
	ds_read_b128 v[43:46], v38 offset:240
	;; [unrolled: 1-line block ×4, first 2 shown]
	v_cmp_lt_u32_e32 vcc, 8, v0
	s_waitcnt vmcnt(17) lgkmcnt(3)
	v_mul_f32_e32 v38, v39, v55
	v_mul_f32_e32 v55, v40, v55
	s_waitcnt vmcnt(16)
	v_mul_f32_e32 v73, v41, v56
	v_mul_f32_e32 v56, v42, v56
	s_waitcnt vmcnt(15) lgkmcnt(2)
	v_mul_f32_e32 v74, v43, v57
	v_mul_f32_e32 v57, v44, v57
	s_waitcnt vmcnt(14)
	v_mul_f32_e32 v75, v45, v58
	v_mul_f32_e32 v58, v46, v58
	s_waitcnt vmcnt(9)
	v_fma_f32 v39, v39, v63, -v55
	v_fmac_f32_e32 v38, v40, v63
	s_waitcnt vmcnt(8)
	v_fma_f32 v40, v41, v64, -v56
	v_add_f32_e32 v39, 0, v39
	v_fmac_f32_e32 v73, v42, v64
	s_waitcnt vmcnt(7)
	v_fma_f32 v41, v43, v65, -v57
	v_add_f32_e32 v38, 0, v38
	v_add_f32_e32 v39, v39, v40
	s_waitcnt lgkmcnt(1)
	v_mul_f32_e32 v76, v47, v59
	v_mul_f32_e32 v59, v48, v59
	v_fmac_f32_e32 v74, v44, v65
	s_waitcnt vmcnt(6)
	v_fma_f32 v42, v45, v66, -v58
	v_add_f32_e32 v38, v38, v73
	v_add_f32_e32 v39, v39, v41
	v_mul_f32_e32 v77, v49, v60
	v_mul_f32_e32 v60, v50, v60
	v_fmac_f32_e32 v75, v46, v66
	s_waitcnt vmcnt(5)
	v_fma_f32 v43, v47, v67, -v59
	v_add_f32_e32 v38, v38, v74
	v_add_f32_e32 v39, v39, v42
	s_waitcnt lgkmcnt(0)
	v_mul_f32_e32 v78, v51, v61
	v_mul_f32_e32 v61, v52, v61
	v_fmac_f32_e32 v76, v48, v67
	s_waitcnt vmcnt(4)
	v_fma_f32 v44, v49, v68, -v60
	v_add_f32_e32 v38, v38, v75
	v_add_f32_e32 v39, v39, v43
	v_mul_f32_e32 v79, v53, v62
	v_mul_f32_e32 v62, v54, v62
	v_fmac_f32_e32 v77, v50, v68
	s_waitcnt vmcnt(3)
	v_fma_f32 v45, v51, v69, -v61
	v_add_f32_e32 v38, v38, v76
	v_add_f32_e32 v39, v39, v44
	v_fmac_f32_e32 v78, v52, v69
	s_waitcnt vmcnt(2)
	v_fma_f32 v46, v53, v70, -v62
	v_add_f32_e32 v38, v38, v77
	v_add_f32_e32 v39, v39, v45
	v_fmac_f32_e32 v79, v54, v70
	v_add_f32_e32 v38, v38, v78
	v_add_f32_e32 v39, v39, v46
	;; [unrolled: 1-line block ×3, first 2 shown]
	s_waitcnt vmcnt(1)
	v_sub_f32_e32 v39, v71, v39
	s_waitcnt vmcnt(0)
	v_sub_f32_e32 v38, v72, v38
	buffer_store_dword v39, off, s[0:3], 0 offset:72
	buffer_store_dword v38, off, s[0:3], 0 offset:76
	s_and_saveexec_b64 s[4:5], vcc
	s_cbranch_execz .LBB17_105
; %bb.104:
	buffer_load_dword v38, off, s[0:3], 0 offset:64
	buffer_load_dword v39, off, s[0:3], 0 offset:68
	v_mov_b32_e32 v40, 0
	buffer_store_dword v40, off, s[0:3], 0 offset:64
	buffer_store_dword v40, off, s[0:3], 0 offset:68
	s_waitcnt vmcnt(2)
	ds_write_b64 v37, v[38:39]
.LBB17_105:
	s_or_b64 exec, exec, s[4:5]
	v_mov_b32_e32 v38, 0
	s_waitcnt lgkmcnt(0)
	; wave barrier
	ds_read2_b64 v[39:42], v38 offset0:27 offset1:28
	buffer_load_dword v57, off, s[0:3], 0 offset:64
	buffer_load_dword v58, off, s[0:3], 0 offset:68
	;; [unrolled: 1-line block ×16, first 2 shown]
	v_cmp_lt_u32_e32 vcc, 7, v0
	s_waitcnt vmcnt(12) lgkmcnt(0)
	v_mul_f32_e32 v43, v39, v60
	v_fmac_f32_e32 v43, v40, v59
	s_waitcnt vmcnt(10)
	v_mul_f32_e32 v44, v41, v62
	v_add_f32_e32 v43, 0, v43
	v_fmac_f32_e32 v44, v42, v61
	v_add_f32_e32 v47, v43, v44
	ds_read2_b64 v[43:46], v38 offset0:29 offset1:30
	v_mul_f32_e32 v40, v40, v60
	v_fma_f32 v39, v39, v59, -v40
	v_mul_f32_e32 v40, v42, v62
	v_add_f32_e32 v39, 0, v39
	s_waitcnt vmcnt(8) lgkmcnt(0)
	v_mul_f32_e32 v48, v43, v64
	v_fmac_f32_e32 v48, v44, v63
	v_add_f32_e32 v47, v47, v48
	s_waitcnt vmcnt(6)
	v_mul_f32_e32 v48, v45, v66
	v_fmac_f32_e32 v48, v46, v65
	v_add_f32_e32 v51, v47, v48
	ds_read2_b64 v[47:50], v38 offset0:31 offset1:32
	v_fma_f32 v40, v41, v61, -v40
	v_add_f32_e32 v39, v39, v40
	v_mul_f32_e32 v40, v44, v64
	v_fma_f32 v40, v43, v63, -v40
	s_waitcnt vmcnt(4) lgkmcnt(0)
	v_mul_f32_e32 v52, v47, v68
	v_fmac_f32_e32 v52, v48, v67
	v_add_f32_e32 v51, v51, v52
	s_waitcnt vmcnt(2)
	v_mul_f32_e32 v52, v49, v70
	v_fmac_f32_e32 v52, v50, v69
	v_add_f32_e32 v55, v51, v52
	ds_read2_b64 v[51:54], v38 offset0:33 offset1:34
	buffer_load_dword v73, off, s[0:3], 0 offset:128
	buffer_load_dword v74, off, s[0:3], 0 offset:132
	v_add_f32_e32 v39, v39, v40
	v_mul_f32_e32 v40, v46, v66
	v_fma_f32 v40, v45, v65, -v40
	s_waitcnt vmcnt(2) lgkmcnt(0)
	v_mul_f32_e32 v56, v51, v72
	v_fmac_f32_e32 v56, v52, v71
	v_add_f32_e32 v55, v55, v56
	v_add_f32_e32 v39, v39, v40
	v_mul_f32_e32 v40, v48, v68
	v_fma_f32 v40, v47, v67, -v40
	v_add_f32_e32 v39, v39, v40
	v_mul_f32_e32 v40, v50, v70
	v_fma_f32 v40, v49, v69, -v40
	;; [unrolled: 3-line block ×3, first 2 shown]
	v_add_f32_e32 v39, v39, v40
	s_waitcnt vmcnt(0)
	v_mul_f32_e32 v56, v53, v74
	v_fmac_f32_e32 v56, v54, v73
	v_add_f32_e32 v75, v55, v56
	ds_read_b64 v[55:56], v38 offset:280
	buffer_load_dword v76, off, s[0:3], 0 offset:136
	buffer_load_dword v77, off, s[0:3], 0 offset:140
	v_mul_f32_e32 v40, v54, v74
	v_fma_f32 v40, v53, v73, -v40
	v_add_f32_e32 v39, v39, v40
	s_waitcnt vmcnt(0) lgkmcnt(0)
	v_mul_f32_e32 v40, v56, v77
	v_mul_f32_e32 v78, v55, v77
	v_fma_f32 v40, v55, v76, -v40
	v_fmac_f32_e32 v78, v56, v76
	v_add_f32_e32 v39, v39, v40
	v_add_f32_e32 v75, v75, v78
	v_sub_f32_e32 v39, v57, v39
	v_sub_f32_e32 v40, v58, v75
	buffer_store_dword v39, off, s[0:3], 0 offset:64
	buffer_store_dword v40, off, s[0:3], 0 offset:68
	s_and_saveexec_b64 s[4:5], vcc
	s_cbranch_execz .LBB17_107
; %bb.106:
	buffer_load_dword v39, off, s[0:3], 0 offset:56
	buffer_load_dword v40, off, s[0:3], 0 offset:60
	s_waitcnt vmcnt(0)
	ds_write_b64 v37, v[39:40]
	buffer_store_dword v38, off, s[0:3], 0 offset:56
	buffer_store_dword v38, off, s[0:3], 0 offset:60
.LBB17_107:
	s_or_b64 exec, exec, s[4:5]
	s_waitcnt lgkmcnt(0)
	; wave barrier
	ds_read_b128 v[39:42], v38 offset:208
	ds_read_b128 v[43:46], v38 offset:224
	;; [unrolled: 1-line block ×4, first 2 shown]
	buffer_load_dword v59, off, s[0:3], 0 offset:56
	buffer_load_dword v60, off, s[0:3], 0 offset:60
	;; [unrolled: 1-line block ×18, first 2 shown]
	v_cmp_lt_u32_e32 vcc, 6, v0
	s_waitcnt vmcnt(14) lgkmcnt(3)
	v_mul_f32_e32 v55, v39, v62
	v_fmac_f32_e32 v55, v40, v61
	s_waitcnt vmcnt(12)
	v_mul_f32_e32 v56, v41, v64
	v_add_f32_e32 v55, 0, v55
	v_fmac_f32_e32 v56, v42, v63
	v_add_f32_e32 v55, v55, v56
	s_waitcnt vmcnt(10) lgkmcnt(2)
	v_mul_f32_e32 v56, v43, v66
	v_fmac_f32_e32 v56, v44, v65
	v_add_f32_e32 v55, v55, v56
	s_waitcnt vmcnt(8)
	v_mul_f32_e32 v56, v45, v68
	v_fmac_f32_e32 v56, v46, v67
	v_add_f32_e32 v55, v55, v56
	s_waitcnt vmcnt(6) lgkmcnt(1)
	v_mul_f32_e32 v56, v47, v70
	v_fmac_f32_e32 v56, v48, v69
	v_add_f32_e32 v55, v55, v56
	s_waitcnt vmcnt(4)
	v_mul_f32_e32 v56, v49, v72
	;; [unrolled: 8-line block ×3, first 2 shown]
	v_fmac_f32_e32 v56, v54, v75
	v_add_f32_e32 v77, v55, v56
	ds_read_b128 v[55:58], v38 offset:272
	buffer_load_dword v38, off, s[0:3], 0 offset:128
	buffer_load_dword v78, off, s[0:3], 0 offset:132
	v_mul_f32_e32 v40, v40, v62
	v_fma_f32 v39, v39, v61, -v40
	v_mul_f32_e32 v40, v42, v64
	v_add_f32_e32 v39, 0, v39
	v_fma_f32 v40, v41, v63, -v40
	v_add_f32_e32 v39, v39, v40
	v_mul_f32_e32 v40, v44, v66
	v_fma_f32 v40, v43, v65, -v40
	v_add_f32_e32 v39, v39, v40
	v_mul_f32_e32 v40, v46, v68
	;; [unrolled: 3-line block ×6, first 2 shown]
	v_fma_f32 v40, v53, v75, -v40
	v_add_f32_e32 v39, v39, v40
	s_waitcnt vmcnt(0) lgkmcnt(0)
	v_mul_f32_e32 v79, v55, v78
	v_fmac_f32_e32 v79, v56, v38
	v_add_f32_e32 v77, v77, v79
	buffer_load_dword v79, off, s[0:3], 0 offset:136
	buffer_load_dword v80, off, s[0:3], 0 offset:140
	v_mul_f32_e32 v40, v56, v78
	v_fma_f32 v38, v55, v38, -v40
	v_add_f32_e32 v38, v39, v38
	s_waitcnt vmcnt(0)
	v_mul_f32_e32 v39, v58, v80
	v_mul_f32_e32 v81, v57, v80
	v_fma_f32 v39, v57, v79, -v39
	v_fmac_f32_e32 v81, v58, v79
	v_add_f32_e32 v38, v38, v39
	v_add_f32_e32 v77, v77, v81
	v_sub_f32_e32 v38, v59, v38
	v_sub_f32_e32 v39, v60, v77
	buffer_store_dword v38, off, s[0:3], 0 offset:56
	buffer_store_dword v39, off, s[0:3], 0 offset:60
	s_and_saveexec_b64 s[4:5], vcc
	s_cbranch_execz .LBB17_109
; %bb.108:
	buffer_load_dword v38, off, s[0:3], 0 offset:48
	buffer_load_dword v39, off, s[0:3], 0 offset:52
	v_mov_b32_e32 v40, 0
	buffer_store_dword v40, off, s[0:3], 0 offset:48
	buffer_store_dword v40, off, s[0:3], 0 offset:52
	s_waitcnt vmcnt(2)
	ds_write_b64 v37, v[38:39]
.LBB17_109:
	s_or_b64 exec, exec, s[4:5]
	s_waitcnt lgkmcnt(0)
	; wave barrier
	buffer_load_dword v61, off, s[0:3], 0 offset:60
	buffer_load_dword v62, off, s[0:3], 0 offset:68
	buffer_load_dword v63, off, s[0:3], 0 offset:76
	buffer_load_dword v64, off, s[0:3], 0 offset:84
	buffer_load_dword v65, off, s[0:3], 0 offset:92
	buffer_load_dword v66, off, s[0:3], 0 offset:100
	buffer_load_dword v67, off, s[0:3], 0 offset:108
	buffer_load_dword v68, off, s[0:3], 0 offset:116
	buffer_load_dword v69, off, s[0:3], 0 offset:124
	buffer_load_dword v70, off, s[0:3], 0 offset:132
	buffer_load_dword v71, off, s[0:3], 0 offset:140
	buffer_load_dword v72, off, s[0:3], 0 offset:56
	buffer_load_dword v73, off, s[0:3], 0 offset:64
	buffer_load_dword v74, off, s[0:3], 0 offset:72
	buffer_load_dword v75, off, s[0:3], 0 offset:80
	buffer_load_dword v76, off, s[0:3], 0 offset:88
	buffer_load_dword v77, off, s[0:3], 0 offset:96
	buffer_load_dword v78, off, s[0:3], 0 offset:104
	buffer_load_dword v79, off, s[0:3], 0 offset:112
	buffer_load_dword v80, off, s[0:3], 0 offset:120
	buffer_load_dword v81, off, s[0:3], 0 offset:128
	buffer_load_dword v82, off, s[0:3], 0 offset:136
	buffer_load_dword v83, off, s[0:3], 0 offset:48
	buffer_load_dword v84, off, s[0:3], 0 offset:52
	v_mov_b32_e32 v38, 0
	ds_read2_b64 v[39:42], v38 offset0:25 offset1:26
	ds_read2_b64 v[43:46], v38 offset0:27 offset1:28
	ds_read2_b64 v[47:50], v38 offset0:29 offset1:30
	ds_read2_b64 v[51:54], v38 offset0:31 offset1:32
	ds_read2_b64 v[55:58], v38 offset0:33 offset1:34
	ds_read_b64 v[59:60], v38 offset:280
	v_cmp_lt_u32_e32 vcc, 5, v0
	s_waitcnt vmcnt(23) lgkmcnt(5)
	v_mul_f32_e32 v85, v39, v61
	v_mul_f32_e32 v61, v40, v61
	s_waitcnt vmcnt(22)
	v_mul_f32_e32 v86, v41, v62
	v_mul_f32_e32 v62, v42, v62
	s_waitcnt vmcnt(21) lgkmcnt(4)
	v_mul_f32_e32 v87, v43, v63
	v_mul_f32_e32 v63, v44, v63
	s_waitcnt vmcnt(20)
	v_mul_f32_e32 v88, v45, v64
	s_waitcnt vmcnt(19) lgkmcnt(3)
	v_mul_f32_e32 v89, v47, v65
	v_mul_f32_e32 v64, v46, v64
	;; [unrolled: 1-line block ×3, first 2 shown]
	s_waitcnt vmcnt(18)
	v_mul_f32_e32 v90, v49, v66
	s_waitcnt vmcnt(12)
	v_fma_f32 v39, v39, v72, -v61
	v_fmac_f32_e32 v85, v40, v72
	s_waitcnt vmcnt(11)
	v_fma_f32 v40, v41, v73, -v62
	v_add_f32_e32 v39, 0, v39
	s_waitcnt vmcnt(10)
	v_fma_f32 v41, v43, v74, -v63
	v_add_f32_e32 v39, v39, v40
	v_fmac_f32_e32 v86, v42, v73
	s_waitcnt vmcnt(8)
	v_fmac_f32_e32 v89, v48, v76
	v_fma_f32 v42, v45, v75, -v64
	v_add_f32_e32 v48, 0, v85
	v_add_f32_e32 v39, v39, v41
	v_mul_f32_e32 v66, v50, v66
	v_fmac_f32_e32 v87, v44, v74
	v_fma_f32 v43, v47, v76, -v65
	v_add_f32_e32 v48, v48, v86
	v_add_f32_e32 v39, v39, v42
	s_waitcnt lgkmcnt(2)
	v_mul_f32_e32 v91, v51, v67
	v_mul_f32_e32 v67, v52, v67
	v_fmac_f32_e32 v88, v46, v75
	s_waitcnt vmcnt(7)
	v_fma_f32 v44, v49, v77, -v66
	v_add_f32_e32 v40, v48, v87
	v_add_f32_e32 v39, v39, v43
	v_mul_f32_e32 v92, v53, v68
	v_mul_f32_e32 v68, v54, v68
	s_waitcnt vmcnt(6)
	v_fma_f32 v45, v51, v78, -v67
	v_add_f32_e32 v40, v40, v88
	v_add_f32_e32 v39, v39, v44
	s_waitcnt lgkmcnt(1)
	v_mul_f32_e32 v93, v55, v69
	v_mul_f32_e32 v69, v56, v69
	v_fmac_f32_e32 v90, v50, v77
	s_waitcnt vmcnt(5)
	v_fma_f32 v46, v53, v79, -v68
	v_add_f32_e32 v40, v40, v89
	v_add_f32_e32 v39, v39, v45
	v_fmac_f32_e32 v91, v52, v78
	s_waitcnt vmcnt(4)
	v_fma_f32 v47, v55, v80, -v69
	v_add_f32_e32 v40, v40, v90
	v_add_f32_e32 v39, v39, v46
	v_mul_f32_e32 v41, v58, v70
	v_fmac_f32_e32 v92, v54, v79
	v_add_f32_e32 v40, v40, v91
	v_add_f32_e32 v39, v39, v47
	s_waitcnt vmcnt(3)
	v_fma_f32 v41, v57, v81, -v41
	v_mul_f32_e32 v94, v57, v70
	v_fmac_f32_e32 v93, v56, v80
	v_add_f32_e32 v40, v40, v92
	v_add_f32_e32 v39, v39, v41
	s_waitcnt lgkmcnt(0)
	v_mul_f32_e32 v41, v60, v71
	v_mul_f32_e32 v95, v59, v71
	v_fmac_f32_e32 v94, v58, v81
	v_add_f32_e32 v40, v40, v93
	s_waitcnt vmcnt(2)
	v_fma_f32 v41, v59, v82, -v41
	v_fmac_f32_e32 v95, v60, v82
	v_add_f32_e32 v40, v40, v94
	v_add_f32_e32 v39, v39, v41
	;; [unrolled: 1-line block ×3, first 2 shown]
	s_waitcnt vmcnt(1)
	v_sub_f32_e32 v39, v83, v39
	s_waitcnt vmcnt(0)
	v_sub_f32_e32 v40, v84, v40
	buffer_store_dword v39, off, s[0:3], 0 offset:48
	buffer_store_dword v40, off, s[0:3], 0 offset:52
	s_and_saveexec_b64 s[4:5], vcc
	s_cbranch_execz .LBB17_111
; %bb.110:
	buffer_load_dword v39, off, s[0:3], 0 offset:40
	buffer_load_dword v40, off, s[0:3], 0 offset:44
	s_waitcnt vmcnt(0)
	ds_write_b64 v37, v[39:40]
	buffer_store_dword v38, off, s[0:3], 0 offset:40
	buffer_store_dword v38, off, s[0:3], 0 offset:44
.LBB17_111:
	s_or_b64 exec, exec, s[4:5]
	s_waitcnt lgkmcnt(0)
	; wave barrier
	buffer_load_dword v63, off, s[0:3], 0 offset:52
	buffer_load_dword v64, off, s[0:3], 0 offset:60
	;; [unrolled: 1-line block ×26, first 2 shown]
	ds_read_b128 v[39:42], v38 offset:192
	ds_read_b128 v[43:46], v38 offset:208
	;; [unrolled: 1-line block ×6, first 2 shown]
	v_cmp_lt_u32_e32 vcc, 4, v0
	s_waitcnt vmcnt(25) lgkmcnt(5)
	v_mul_f32_e32 v38, v39, v63
	v_mul_f32_e32 v63, v40, v63
	s_waitcnt vmcnt(24)
	v_mul_f32_e32 v89, v41, v64
	v_mul_f32_e32 v64, v42, v64
	s_waitcnt vmcnt(23) lgkmcnt(4)
	v_mul_f32_e32 v90, v43, v65
	v_mul_f32_e32 v65, v44, v65
	s_waitcnt vmcnt(22)
	v_mul_f32_e32 v91, v45, v66
	v_mul_f32_e32 v66, v46, v66
	;; [unrolled: 6-line block ×3, first 2 shown]
	s_waitcnt vmcnt(13)
	v_fma_f32 v39, v39, v75, -v63
	v_fmac_f32_e32 v38, v40, v75
	s_waitcnt vmcnt(12)
	v_fma_f32 v40, v41, v76, -v64
	v_add_f32_e32 v39, 0, v39
	s_waitcnt vmcnt(11)
	v_fma_f32 v41, v43, v77, -v65
	v_add_f32_e32 v39, v39, v40
	v_fmac_f32_e32 v89, v42, v76
	s_waitcnt vmcnt(10)
	v_fma_f32 v42, v45, v78, -v66
	v_add_f32_e32 v39, v39, v41
	s_waitcnt vmcnt(9)
	v_fma_f32 v43, v47, v79, -v67
	v_add_f32_e32 v39, v39, v42
	s_waitcnt lgkmcnt(2)
	v_mul_f32_e32 v94, v51, v69
	v_mul_f32_e32 v69, v52, v69
	v_fmac_f32_e32 v90, v44, v77
	s_waitcnt vmcnt(8)
	v_fma_f32 v44, v49, v80, -v68
	v_add_f32_e32 v38, 0, v38
	v_add_f32_e32 v39, v39, v43
	v_mul_f32_e32 v95, v53, v70
	v_mul_f32_e32 v70, v54, v70
	s_waitcnt vmcnt(7)
	v_fma_f32 v45, v51, v81, -v69
	v_add_f32_e32 v38, v38, v89
	v_add_f32_e32 v39, v39, v44
	v_fmac_f32_e32 v91, v46, v78
	s_waitcnt vmcnt(6)
	v_fma_f32 v46, v53, v82, -v70
	v_add_f32_e32 v38, v38, v90
	v_add_f32_e32 v39, v39, v45
	s_waitcnt lgkmcnt(1)
	v_mul_f32_e32 v40, v56, v71
	v_fmac_f32_e32 v92, v48, v79
	v_add_f32_e32 v38, v38, v91
	v_add_f32_e32 v39, v39, v46
	s_waitcnt vmcnt(5)
	v_fma_f32 v40, v55, v83, -v40
	v_fmac_f32_e32 v93, v50, v80
	v_add_f32_e32 v38, v38, v92
	v_add_f32_e32 v39, v39, v40
	v_mul_f32_e32 v40, v58, v72
	v_fmac_f32_e32 v94, v52, v81
	v_add_f32_e32 v38, v38, v93
	s_waitcnt vmcnt(4)
	v_fma_f32 v40, v57, v84, -v40
	v_mul_f32_e32 v96, v55, v71
	v_fmac_f32_e32 v95, v54, v82
	v_add_f32_e32 v38, v38, v94
	v_add_f32_e32 v39, v39, v40
	s_waitcnt lgkmcnt(0)
	v_mul_f32_e32 v40, v60, v73
	v_mul_f32_e32 v97, v57, v72
	v_fmac_f32_e32 v96, v56, v83
	v_add_f32_e32 v38, v38, v95
	s_waitcnt vmcnt(3)
	v_fma_f32 v40, v59, v85, -v40
	v_mul_f32_e32 v98, v59, v73
	v_fmac_f32_e32 v97, v58, v84
	v_add_f32_e32 v38, v38, v96
	v_add_f32_e32 v39, v39, v40
	v_mul_f32_e32 v40, v62, v74
	v_mul_f32_e32 v99, v61, v74
	v_fmac_f32_e32 v98, v60, v85
	v_add_f32_e32 v38, v38, v97
	s_waitcnt vmcnt(2)
	v_fma_f32 v40, v61, v86, -v40
	v_fmac_f32_e32 v99, v62, v86
	v_add_f32_e32 v38, v38, v98
	v_add_f32_e32 v39, v39, v40
	;; [unrolled: 1-line block ×3, first 2 shown]
	s_waitcnt vmcnt(1)
	v_sub_f32_e32 v39, v87, v39
	s_waitcnt vmcnt(0)
	v_sub_f32_e32 v38, v88, v38
	buffer_store_dword v39, off, s[0:3], 0 offset:40
	buffer_store_dword v38, off, s[0:3], 0 offset:44
	s_and_saveexec_b64 s[4:5], vcc
	s_cbranch_execz .LBB17_113
; %bb.112:
	buffer_load_dword v38, off, s[0:3], 0 offset:32
	buffer_load_dword v39, off, s[0:3], 0 offset:36
	v_mov_b32_e32 v40, 0
	buffer_store_dword v40, off, s[0:3], 0 offset:32
	buffer_store_dword v40, off, s[0:3], 0 offset:36
	s_waitcnt vmcnt(2)
	ds_write_b64 v37, v[38:39]
.LBB17_113:
	s_or_b64 exec, exec, s[4:5]
	s_waitcnt lgkmcnt(0)
	; wave barrier
	buffer_load_dword v65, off, s[0:3], 0 offset:44
	buffer_load_dword v66, off, s[0:3], 0 offset:52
	;; [unrolled: 1-line block ×28, first 2 shown]
	v_mov_b32_e32 v38, 0
	ds_read2_b64 v[39:42], v38 offset0:23 offset1:24
	ds_read2_b64 v[43:46], v38 offset0:25 offset1:26
	;; [unrolled: 1-line block ×6, first 2 shown]
	ds_read_b64 v[63:64], v38 offset:280
	v_cmp_lt_u32_e32 vcc, 3, v0
	s_waitcnt vmcnt(27) lgkmcnt(6)
	v_mul_f32_e32 v93, v39, v65
	v_mul_f32_e32 v65, v40, v65
	s_waitcnt vmcnt(26)
	v_mul_f32_e32 v94, v41, v66
	v_mul_f32_e32 v66, v42, v66
	s_waitcnt vmcnt(25) lgkmcnt(5)
	v_mul_f32_e32 v95, v43, v67
	v_mul_f32_e32 v67, v44, v67
	s_waitcnt vmcnt(24)
	v_mul_f32_e32 v96, v45, v68
	v_mul_f32_e32 v68, v46, v68
	;; [unrolled: 6-line block ×3, first 2 shown]
	s_waitcnt vmcnt(21) lgkmcnt(3)
	v_mul_f32_e32 v99, v51, v71
	s_waitcnt vmcnt(14)
	v_fma_f32 v39, v39, v78, -v65
	v_fmac_f32_e32 v93, v40, v78
	s_waitcnt vmcnt(13)
	v_fma_f32 v40, v41, v79, -v66
	v_add_f32_e32 v39, 0, v39
	s_waitcnt vmcnt(12)
	v_fma_f32 v41, v43, v80, -v67
	v_add_f32_e32 v39, v39, v40
	v_fmac_f32_e32 v94, v42, v79
	s_waitcnt vmcnt(11)
	v_fma_f32 v42, v45, v81, -v68
	v_add_f32_e32 v39, v39, v41
	s_waitcnt vmcnt(10)
	v_fma_f32 v43, v47, v82, -v69
	v_add_f32_e32 v39, v39, v42
	v_fmac_f32_e32 v95, v44, v80
	s_waitcnt vmcnt(9)
	v_fma_f32 v44, v49, v83, -v70
	v_add_f32_e32 v39, v39, v43
	v_mul_f32_e32 v41, v52, v71
	v_add_f32_e32 v39, v39, v44
	s_waitcnt vmcnt(8)
	v_fma_f32 v41, v51, v84, -v41
	v_add_f32_e32 v39, v39, v41
	v_mul_f32_e32 v41, v54, v72
	v_add_f32_e32 v45, 0, v93
	s_waitcnt vmcnt(7)
	v_fma_f32 v41, v53, v85, -v41
	v_add_f32_e32 v45, v45, v94
	v_add_f32_e32 v39, v39, v41
	s_waitcnt lgkmcnt(2)
	v_mul_f32_e32 v41, v56, v73
	v_fmac_f32_e32 v96, v46, v81
	v_add_f32_e32 v40, v45, v95
	s_waitcnt vmcnt(6)
	v_fma_f32 v41, v55, v86, -v41
	v_fmac_f32_e32 v97, v48, v82
	v_add_f32_e32 v40, v40, v96
	v_add_f32_e32 v39, v39, v41
	v_mul_f32_e32 v41, v58, v74
	v_fmac_f32_e32 v98, v50, v83
	v_add_f32_e32 v40, v40, v97
	s_waitcnt vmcnt(5)
	v_fma_f32 v41, v57, v87, -v41
	v_mul_f32_e32 v100, v53, v72
	v_fmac_f32_e32 v99, v52, v84
	v_add_f32_e32 v40, v40, v98
	v_add_f32_e32 v39, v39, v41
	s_waitcnt lgkmcnt(1)
	v_mul_f32_e32 v41, v60, v75
	v_mul_f32_e32 v101, v55, v73
	v_fmac_f32_e32 v100, v54, v85
	v_add_f32_e32 v40, v40, v99
	s_waitcnt vmcnt(4)
	v_fma_f32 v41, v59, v88, -v41
	v_mul_f32_e32 v102, v57, v74
	v_fmac_f32_e32 v101, v56, v86
	v_add_f32_e32 v40, v40, v100
	v_add_f32_e32 v39, v39, v41
	v_mul_f32_e32 v41, v62, v76
	v_mul_f32_e32 v103, v59, v75
	v_fmac_f32_e32 v102, v58, v87
	v_add_f32_e32 v40, v40, v101
	s_waitcnt vmcnt(3)
	v_fma_f32 v41, v61, v89, -v41
	v_mul_f32_e32 v104, v61, v76
	v_fmac_f32_e32 v103, v60, v88
	v_add_f32_e32 v40, v40, v102
	v_add_f32_e32 v39, v39, v41
	s_waitcnt lgkmcnt(0)
	v_mul_f32_e32 v41, v64, v77
	v_mul_f32_e32 v105, v63, v77
	v_fmac_f32_e32 v104, v62, v89
	v_add_f32_e32 v40, v40, v103
	s_waitcnt vmcnt(2)
	v_fma_f32 v41, v63, v90, -v41
	v_fmac_f32_e32 v105, v64, v90
	v_add_f32_e32 v40, v40, v104
	v_add_f32_e32 v39, v39, v41
	;; [unrolled: 1-line block ×3, first 2 shown]
	s_waitcnt vmcnt(1)
	v_sub_f32_e32 v39, v91, v39
	s_waitcnt vmcnt(0)
	v_sub_f32_e32 v40, v92, v40
	buffer_store_dword v39, off, s[0:3], 0 offset:32
	buffer_store_dword v40, off, s[0:3], 0 offset:36
	s_and_saveexec_b64 s[4:5], vcc
	s_cbranch_execz .LBB17_115
; %bb.114:
	buffer_load_dword v39, off, s[0:3], 0 offset:24
	buffer_load_dword v40, off, s[0:3], 0 offset:28
	s_waitcnt vmcnt(0)
	ds_write_b64 v37, v[39:40]
	buffer_store_dword v38, off, s[0:3], 0 offset:24
	buffer_store_dword v38, off, s[0:3], 0 offset:28
.LBB17_115:
	s_or_b64 exec, exec, s[4:5]
	s_waitcnt lgkmcnt(0)
	; wave barrier
	buffer_load_dword v67, off, s[0:3], 0 offset:36
	buffer_load_dword v68, off, s[0:3], 0 offset:44
	;; [unrolled: 1-line block ×30, first 2 shown]
	ds_read_b128 v[39:42], v38 offset:176
	ds_read_b128 v[43:46], v38 offset:192
	;; [unrolled: 1-line block ×7, first 2 shown]
	v_cmp_lt_u32_e32 vcc, 2, v0
	s_waitcnt vmcnt(29) lgkmcnt(6)
	v_mul_f32_e32 v38, v39, v67
	v_mul_f32_e32 v67, v40, v67
	s_waitcnt vmcnt(28)
	v_mul_f32_e32 v97, v41, v68
	v_mul_f32_e32 v68, v42, v68
	s_waitcnt vmcnt(27) lgkmcnt(5)
	v_mul_f32_e32 v98, v43, v69
	v_mul_f32_e32 v69, v44, v69
	s_waitcnt vmcnt(26)
	v_mul_f32_e32 v99, v45, v70
	v_mul_f32_e32 v70, v46, v70
	s_waitcnt vmcnt(25) lgkmcnt(4)
	v_mul_f32_e32 v100, v47, v71
	v_mul_f32_e32 v71, v48, v71
	s_waitcnt vmcnt(24)
	v_mul_f32_e32 v101, v49, v72
	s_waitcnt vmcnt(23) lgkmcnt(3)
	v_mul_f32_e32 v102, v51, v73
	s_waitcnt vmcnt(22)
	v_mul_f32_e32 v103, v53, v74
	s_waitcnt vmcnt(21) lgkmcnt(2)
	v_mul_f32_e32 v104, v55, v75
	s_waitcnt vmcnt(15)
	v_fma_f32 v39, v39, v81, -v67
	v_fmac_f32_e32 v38, v40, v81
	s_waitcnt vmcnt(14)
	v_fma_f32 v40, v41, v82, -v68
	v_add_f32_e32 v39, 0, v39
	s_waitcnt vmcnt(13)
	v_fma_f32 v41, v43, v83, -v69
	v_add_f32_e32 v39, v39, v40
	v_fmac_f32_e32 v97, v42, v82
	s_waitcnt vmcnt(12)
	v_fma_f32 v42, v45, v84, -v70
	v_add_f32_e32 v39, v39, v41
	s_waitcnt vmcnt(11)
	v_fma_f32 v43, v47, v85, -v71
	v_add_f32_e32 v39, v39, v42
	v_mul_f32_e32 v40, v50, v72
	v_add_f32_e32 v39, v39, v43
	s_waitcnt vmcnt(10)
	v_fma_f32 v40, v49, v86, -v40
	v_add_f32_e32 v39, v39, v40
	v_mul_f32_e32 v40, v52, v73
	s_waitcnt vmcnt(9)
	v_fma_f32 v40, v51, v87, -v40
	v_add_f32_e32 v39, v39, v40
	v_mul_f32_e32 v40, v54, v74
	s_waitcnt vmcnt(8)
	v_fma_f32 v40, v53, v88, -v40
	v_add_f32_e32 v38, 0, v38
	v_add_f32_e32 v39, v39, v40
	v_mul_f32_e32 v40, v56, v75
	v_fmac_f32_e32 v98, v44, v83
	v_add_f32_e32 v38, v38, v97
	s_waitcnt vmcnt(7)
	v_fma_f32 v40, v55, v89, -v40
	v_fmac_f32_e32 v99, v46, v84
	v_add_f32_e32 v38, v38, v98
	v_add_f32_e32 v39, v39, v40
	v_mul_f32_e32 v40, v58, v76
	v_fmac_f32_e32 v100, v48, v85
	v_add_f32_e32 v38, v38, v99
	s_waitcnt vmcnt(6)
	v_fma_f32 v40, v57, v90, -v40
	v_fmac_f32_e32 v101, v50, v86
	v_add_f32_e32 v38, v38, v100
	v_add_f32_e32 v39, v39, v40
	s_waitcnt lgkmcnt(1)
	v_mul_f32_e32 v40, v60, v77
	v_fmac_f32_e32 v102, v52, v87
	v_add_f32_e32 v38, v38, v101
	s_waitcnt vmcnt(5)
	v_fma_f32 v40, v59, v91, -v40
	v_fmac_f32_e32 v103, v54, v88
	v_add_f32_e32 v38, v38, v102
	v_add_f32_e32 v39, v39, v40
	v_mul_f32_e32 v40, v62, v78
	v_mul_f32_e32 v105, v57, v76
	v_fmac_f32_e32 v104, v56, v89
	v_add_f32_e32 v38, v38, v103
	s_waitcnt vmcnt(4)
	v_fma_f32 v40, v61, v92, -v40
	v_mul_f32_e32 v106, v59, v77
	v_fmac_f32_e32 v105, v58, v90
	v_add_f32_e32 v38, v38, v104
	v_add_f32_e32 v39, v39, v40
	s_waitcnt lgkmcnt(0)
	v_mul_f32_e32 v40, v64, v79
	v_mul_f32_e32 v107, v61, v78
	v_fmac_f32_e32 v106, v60, v91
	v_add_f32_e32 v38, v38, v105
	s_waitcnt vmcnt(3)
	v_fma_f32 v40, v63, v93, -v40
	v_mul_f32_e32 v108, v63, v79
	v_fmac_f32_e32 v107, v62, v92
	v_add_f32_e32 v38, v38, v106
	v_add_f32_e32 v39, v39, v40
	v_mul_f32_e32 v40, v66, v80
	v_mul_f32_e32 v109, v65, v80
	v_fmac_f32_e32 v108, v64, v93
	v_add_f32_e32 v38, v38, v107
	s_waitcnt vmcnt(2)
	v_fma_f32 v40, v65, v94, -v40
	v_fmac_f32_e32 v109, v66, v94
	v_add_f32_e32 v38, v38, v108
	v_add_f32_e32 v39, v39, v40
	;; [unrolled: 1-line block ×3, first 2 shown]
	s_waitcnt vmcnt(1)
	v_sub_f32_e32 v39, v95, v39
	s_waitcnt vmcnt(0)
	v_sub_f32_e32 v38, v96, v38
	buffer_store_dword v39, off, s[0:3], 0 offset:24
	buffer_store_dword v38, off, s[0:3], 0 offset:28
	s_and_saveexec_b64 s[4:5], vcc
	s_cbranch_execz .LBB17_117
; %bb.116:
	buffer_load_dword v38, off, s[0:3], 0 offset:16
	buffer_load_dword v39, off, s[0:3], 0 offset:20
	v_mov_b32_e32 v40, 0
	buffer_store_dword v40, off, s[0:3], 0 offset:16
	buffer_store_dword v40, off, s[0:3], 0 offset:20
	s_waitcnt vmcnt(2)
	ds_write_b64 v37, v[38:39]
.LBB17_117:
	s_or_b64 exec, exec, s[4:5]
	s_waitcnt lgkmcnt(0)
	; wave barrier
	buffer_load_dword v69, off, s[0:3], 0 offset:28
	buffer_load_dword v70, off, s[0:3], 0 offset:36
	;; [unrolled: 1-line block ×32, first 2 shown]
	v_mov_b32_e32 v38, 0
	ds_read2_b64 v[39:42], v38 offset0:21 offset1:22
	ds_read2_b64 v[43:46], v38 offset0:23 offset1:24
	;; [unrolled: 1-line block ×7, first 2 shown]
	ds_read_b64 v[67:68], v38 offset:280
	v_cmp_lt_u32_e32 vcc, 1, v0
	s_waitcnt vmcnt(31) lgkmcnt(7)
	v_mul_f32_e32 v101, v39, v69
	v_mul_f32_e32 v69, v40, v69
	s_waitcnt vmcnt(30)
	v_mul_f32_e32 v102, v41, v70
	v_mul_f32_e32 v70, v42, v70
	s_waitcnt vmcnt(29) lgkmcnt(6)
	v_mul_f32_e32 v103, v43, v71
	v_mul_f32_e32 v71, v44, v71
	s_waitcnt vmcnt(28)
	v_mul_f32_e32 v104, v45, v72
	s_waitcnt vmcnt(27) lgkmcnt(5)
	v_mul_f32_e32 v105, v47, v73
	s_waitcnt vmcnt(26)
	v_mul_f32_e32 v106, v49, v74
	s_waitcnt vmcnt(25) lgkmcnt(4)
	;; [unrolled: 4-line block ×4, first 2 shown]
	v_mul_f32_e32 v111, v59, v79
	s_waitcnt vmcnt(20)
	v_mul_f32_e32 v112, v61, v80
	s_waitcnt vmcnt(16)
	v_fma_f32 v39, v39, v84, -v69
	v_fmac_f32_e32 v101, v40, v84
	s_waitcnt vmcnt(15)
	v_fma_f32 v40, v41, v85, -v70
	v_add_f32_e32 v39, 0, v39
	s_waitcnt vmcnt(14)
	v_fma_f32 v41, v43, v86, -v71
	v_add_f32_e32 v39, v39, v40
	v_add_f32_e32 v39, v39, v41
	v_mul_f32_e32 v41, v46, v72
	s_waitcnt vmcnt(13)
	v_fma_f32 v41, v45, v87, -v41
	v_add_f32_e32 v39, v39, v41
	v_mul_f32_e32 v41, v48, v73
	s_waitcnt vmcnt(12)
	v_fma_f32 v41, v47, v88, -v41
	;; [unrolled: 4-line block ×5, first 2 shown]
	v_add_f32_e32 v39, v39, v41
	v_mul_f32_e32 v41, v56, v77
	v_fmac_f32_e32 v102, v42, v85
	v_add_f32_e32 v42, 0, v101
	s_waitcnt vmcnt(8)
	v_fma_f32 v41, v55, v92, -v41
	v_fmac_f32_e32 v103, v44, v86
	v_add_f32_e32 v42, v42, v102
	v_add_f32_e32 v39, v39, v41
	v_mul_f32_e32 v41, v58, v78
	v_fmac_f32_e32 v104, v46, v87
	v_add_f32_e32 v40, v42, v103
	s_waitcnt vmcnt(7)
	v_fma_f32 v41, v57, v93, -v41
	v_fmac_f32_e32 v105, v48, v88
	v_add_f32_e32 v40, v40, v104
	;; [unrolled: 8-line block ×4, first 2 shown]
	v_add_f32_e32 v39, v39, v41
	s_waitcnt lgkmcnt(1)
	v_mul_f32_e32 v41, v64, v81
	v_fmac_f32_e32 v110, v58, v93
	v_add_f32_e32 v40, v40, v109
	s_waitcnt vmcnt(4)
	v_fma_f32 v41, v63, v96, -v41
	v_fmac_f32_e32 v111, v60, v94
	v_add_f32_e32 v40, v40, v110
	v_add_f32_e32 v39, v39, v41
	v_mul_f32_e32 v41, v66, v82
	v_mul_f32_e32 v113, v63, v81
	v_fmac_f32_e32 v112, v62, v95
	v_add_f32_e32 v40, v40, v111
	s_waitcnt vmcnt(3)
	v_fma_f32 v41, v65, v97, -v41
	v_mul_f32_e32 v114, v65, v82
	v_fmac_f32_e32 v113, v64, v96
	v_add_f32_e32 v40, v40, v112
	v_add_f32_e32 v39, v39, v41
	s_waitcnt lgkmcnt(0)
	v_mul_f32_e32 v41, v68, v83
	v_mul_f32_e32 v115, v67, v83
	v_fmac_f32_e32 v114, v66, v97
	v_add_f32_e32 v40, v40, v113
	s_waitcnt vmcnt(2)
	v_fma_f32 v41, v67, v98, -v41
	v_fmac_f32_e32 v115, v68, v98
	v_add_f32_e32 v40, v40, v114
	v_add_f32_e32 v39, v39, v41
	;; [unrolled: 1-line block ×3, first 2 shown]
	s_waitcnt vmcnt(1)
	v_sub_f32_e32 v39, v99, v39
	s_waitcnt vmcnt(0)
	v_sub_f32_e32 v40, v100, v40
	buffer_store_dword v39, off, s[0:3], 0 offset:16
	buffer_store_dword v40, off, s[0:3], 0 offset:20
	s_and_saveexec_b64 s[4:5], vcc
	s_cbranch_execz .LBB17_119
; %bb.118:
	buffer_load_dword v39, off, s[0:3], 0 offset:8
	buffer_load_dword v40, off, s[0:3], 0 offset:12
	s_waitcnt vmcnt(0)
	ds_write_b64 v37, v[39:40]
	buffer_store_dword v38, off, s[0:3], 0 offset:8
	buffer_store_dword v38, off, s[0:3], 0 offset:12
.LBB17_119:
	s_or_b64 exec, exec, s[4:5]
	s_waitcnt lgkmcnt(0)
	; wave barrier
	buffer_load_dword v71, off, s[0:3], 0 offset:20
	buffer_load_dword v72, off, s[0:3], 0 offset:28
	;; [unrolled: 1-line block ×34, first 2 shown]
	ds_read_b128 v[39:42], v38 offset:160
	ds_read_b128 v[43:46], v38 offset:176
	;; [unrolled: 1-line block ×8, first 2 shown]
	v_cmp_ne_u32_e32 vcc, 0, v0
	s_waitcnt vmcnt(33) lgkmcnt(7)
	v_mul_f32_e32 v38, v39, v71
	v_mul_f32_e32 v71, v40, v71
	s_waitcnt vmcnt(32)
	v_mul_f32_e32 v105, v41, v72
	v_mul_f32_e32 v72, v42, v72
	s_waitcnt vmcnt(31) lgkmcnt(6)
	v_mul_f32_e32 v106, v43, v73
	s_waitcnt vmcnt(30)
	v_mul_f32_e32 v107, v45, v74
	s_waitcnt vmcnt(29) lgkmcnt(5)
	v_mul_f32_e32 v108, v47, v75
	s_waitcnt vmcnt(28)
	v_mul_f32_e32 v109, v49, v76
	s_waitcnt vmcnt(27) lgkmcnt(4)
	v_mul_f32_e32 v110, v51, v77
	s_waitcnt vmcnt(26)
	v_mul_f32_e32 v111, v53, v78
	s_waitcnt vmcnt(25) lgkmcnt(3)
	v_mul_f32_e32 v112, v55, v79
	s_waitcnt vmcnt(24)
	v_mul_f32_e32 v113, v57, v80
	s_waitcnt vmcnt(23) lgkmcnt(2)
	v_mul_f32_e32 v114, v59, v81
	s_waitcnt vmcnt(22)
	v_mul_f32_e32 v115, v61, v82
	s_waitcnt vmcnt(21) lgkmcnt(1)
	v_mul_f32_e32 v116, v63, v83
	s_waitcnt vmcnt(20)
	v_mul_f32_e32 v117, v65, v84
	s_waitcnt vmcnt(17)
	v_fma_f32 v39, v39, v87, -v71
	v_fmac_f32_e32 v38, v40, v87
	s_waitcnt vmcnt(16)
	v_fma_f32 v40, v41, v88, -v72
	v_add_f32_e32 v39, 0, v39
	v_add_f32_e32 v39, v39, v40
	v_mul_f32_e32 v40, v44, v73
	s_waitcnt vmcnt(15)
	v_fma_f32 v40, v43, v89, -v40
	v_add_f32_e32 v39, v39, v40
	v_mul_f32_e32 v40, v46, v74
	s_waitcnt vmcnt(14)
	v_fma_f32 v40, v45, v90, -v40
	;; [unrolled: 4-line block ×7, first 2 shown]
	v_fmac_f32_e32 v105, v42, v88
	v_add_f32_e32 v38, 0, v38
	v_add_f32_e32 v39, v39, v40
	v_mul_f32_e32 v40, v58, v80
	v_fmac_f32_e32 v106, v44, v89
	v_add_f32_e32 v38, v38, v105
	s_waitcnt vmcnt(8)
	v_fma_f32 v40, v57, v96, -v40
	v_fmac_f32_e32 v107, v46, v90
	v_add_f32_e32 v38, v38, v106
	v_add_f32_e32 v39, v39, v40
	v_mul_f32_e32 v40, v60, v81
	v_fmac_f32_e32 v108, v48, v91
	v_add_f32_e32 v38, v38, v107
	s_waitcnt vmcnt(7)
	v_fma_f32 v40, v59, v97, -v40
	;; [unrolled: 8-line block ×5, first 2 shown]
	v_fmac_f32_e32 v115, v62, v98
	v_add_f32_e32 v38, v38, v114
	v_add_f32_e32 v39, v39, v40
	s_waitcnt lgkmcnt(0)
	v_mul_f32_e32 v40, v68, v85
	v_fmac_f32_e32 v116, v64, v99
	v_add_f32_e32 v38, v38, v115
	s_waitcnt vmcnt(3)
	v_fma_f32 v40, v67, v101, -v40
	v_mul_f32_e32 v118, v67, v85
	v_fmac_f32_e32 v117, v66, v100
	v_add_f32_e32 v38, v38, v116
	v_add_f32_e32 v39, v39, v40
	v_mul_f32_e32 v40, v70, v86
	v_mul_f32_e32 v119, v69, v86
	v_fmac_f32_e32 v118, v68, v101
	v_add_f32_e32 v38, v38, v117
	s_waitcnt vmcnt(2)
	v_fma_f32 v40, v69, v102, -v40
	v_fmac_f32_e32 v119, v70, v102
	v_add_f32_e32 v38, v38, v118
	v_add_f32_e32 v39, v39, v40
	v_add_f32_e32 v38, v38, v119
	s_waitcnt vmcnt(1)
	v_sub_f32_e32 v39, v103, v39
	s_waitcnt vmcnt(0)
	v_sub_f32_e32 v38, v104, v38
	buffer_store_dword v39, off, s[0:3], 0 offset:8
	buffer_store_dword v38, off, s[0:3], 0 offset:12
	s_and_saveexec_b64 s[4:5], vcc
	s_cbranch_execz .LBB17_121
; %bb.120:
	buffer_load_dword v38, off, s[0:3], 0
	buffer_load_dword v39, off, s[0:3], 0 offset:4
	v_mov_b32_e32 v0, 0
	buffer_store_dword v0, off, s[0:3], 0
	buffer_store_dword v0, off, s[0:3], 0 offset:4
	s_waitcnt vmcnt(2)
	ds_write_b64 v37, v[38:39]
.LBB17_121:
	s_or_b64 exec, exec, s[4:5]
	s_waitcnt lgkmcnt(0)
	; wave barrier
	buffer_load_dword v73, off, s[0:3], 0 offset:12
	buffer_load_dword v74, off, s[0:3], 0 offset:20
	;; [unrolled: 1-line block ×34, first 2 shown]
	buffer_load_dword v105, off, s[0:3], 0
	buffer_load_dword v106, off, s[0:3], 0 offset:4
	v_mov_b32_e32 v38, 0
	ds_read2_b64 v[39:42], v38 offset0:19 offset1:20
	ds_read2_b64 v[43:46], v38 offset0:21 offset1:22
	;; [unrolled: 1-line block ×8, first 2 shown]
	ds_read_b64 v[71:72], v38 offset:280
	s_and_b64 vcc, exec, s[22:23]
	s_waitcnt vmcnt(35) lgkmcnt(8)
	v_mul_f32_e32 v107, v39, v73
	s_waitcnt vmcnt(34)
	v_mul_f32_e32 v108, v41, v74
	s_waitcnt vmcnt(33) lgkmcnt(7)
	v_mul_f32_e32 v109, v43, v75
	s_waitcnt vmcnt(32)
	v_mul_f32_e32 v110, v45, v76
	;; [unrolled: 4-line block ×8, first 2 shown]
	s_waitcnt vmcnt(19) lgkmcnt(0)
	v_mul_f32_e32 v123, v71, v88
	s_waitcnt vmcnt(18)
	v_fmac_f32_e32 v107, v40, v89
	v_mul_f32_e32 v40, v40, v73
	v_fma_f32 v39, v39, v89, -v40
	v_mul_f32_e32 v40, v42, v74
	v_add_f32_e32 v39, 0, v39
	s_waitcnt vmcnt(17)
	v_fma_f32 v40, v41, v90, -v40
	v_add_f32_e32 v39, v39, v40
	v_mul_f32_e32 v40, v44, v75
	s_waitcnt vmcnt(16)
	v_fma_f32 v40, v43, v91, -v40
	v_add_f32_e32 v39, v39, v40
	v_mul_f32_e32 v40, v46, v76
	;; [unrolled: 4-line block ×8, first 2 shown]
	v_fmac_f32_e32 v108, v42, v90
	v_add_f32_e32 v107, 0, v107
	s_waitcnt vmcnt(9)
	v_fma_f32 v40, v57, v98, -v40
	v_fmac_f32_e32 v109, v44, v91
	v_add_f32_e32 v107, v107, v108
	v_add_f32_e32 v39, v39, v40
	v_mul_f32_e32 v40, v60, v83
	v_fmac_f32_e32 v110, v46, v92
	v_add_f32_e32 v107, v107, v109
	s_waitcnt vmcnt(8)
	v_fma_f32 v40, v59, v99, -v40
	v_fmac_f32_e32 v111, v48, v93
	v_add_f32_e32 v107, v107, v110
	v_add_f32_e32 v39, v39, v40
	v_mul_f32_e32 v40, v62, v84
	;; [unrolled: 8-line block ×7, first 2 shown]
	v_fmac_f32_e32 v122, v70, v37
	v_add_f32_e32 v107, v107, v121
	v_fma_f32 v40, v71, v104, -v40
	v_fmac_f32_e32 v123, v72, v104
	v_add_f32_e32 v107, v107, v122
	v_add_f32_e32 v39, v39, v40
	;; [unrolled: 1-line block ×3, first 2 shown]
	s_waitcnt vmcnt(1)
	v_sub_f32_e32 v39, v105, v39
	s_waitcnt vmcnt(0)
	v_sub_f32_e32 v40, v106, v107
	buffer_store_dword v39, off, s[0:3], 0
	buffer_store_dword v40, off, s[0:3], 0 offset:4
	s_cbranch_vccz .LBB17_156
; %bb.122:
	global_load_dword v38, v38, s[20:21] offset:64
	s_waitcnt vmcnt(0)
	v_add_u32_e32 v38, -1, v38
	v_cmp_ne_u32_e32 vcc, 16, v38
	s_cbranch_vccz .LBB17_124
; %bb.123:
	v_lshlrev_b32_e32 v38, 3, v38
	buffer_load_dword v39, v38, s[0:3], 0 offen offset:4
	buffer_load_dword v40, v38, s[0:3], 0 offen
	s_waitcnt vmcnt(1)
	buffer_store_dword v39, off, s[0:3], 0 offset:132
	s_waitcnt vmcnt(1)
	buffer_store_dword v40, off, s[0:3], 0 offset:128
	buffer_store_dword v0, v38, s[0:3], 0 offen offset:4
	buffer_store_dword v37, v38, s[0:3], 0 offen
.LBB17_124:
	v_mov_b32_e32 v0, 0
	global_load_dword v37, v0, s[20:21] offset:60
	s_waitcnt vmcnt(0)
	v_add_u32_e32 v37, -1, v37
	v_cmp_eq_u32_e32 vcc, 15, v37
	s_cbranch_vccnz .LBB17_126
; %bb.125:
	v_lshlrev_b32_e32 v37, 3, v37
	buffer_load_dword v38, v37, s[0:3], 0 offen
	buffer_load_dword v39, v37, s[0:3], 0 offen offset:4
	buffer_load_dword v40, off, s[0:3], 0 offset:120
	buffer_load_dword v41, off, s[0:3], 0 offset:124
	s_waitcnt vmcnt(3)
	buffer_store_dword v38, off, s[0:3], 0 offset:120
	s_waitcnt vmcnt(3)
	buffer_store_dword v39, off, s[0:3], 0 offset:124
	s_waitcnt vmcnt(3)
	buffer_store_dword v40, v37, s[0:3], 0 offen
	s_waitcnt vmcnt(3)
	buffer_store_dword v41, v37, s[0:3], 0 offen offset:4
.LBB17_126:
	global_load_dword v0, v0, s[20:21] offset:56
	s_waitcnt vmcnt(0)
	v_add_u32_e32 v0, -1, v0
	v_cmp_eq_u32_e32 vcc, 14, v0
	s_cbranch_vccnz .LBB17_128
; %bb.127:
	v_lshlrev_b32_e32 v0, 3, v0
	buffer_load_dword v37, v0, s[0:3], 0 offen
	buffer_load_dword v38, v0, s[0:3], 0 offen offset:4
	buffer_load_dword v39, off, s[0:3], 0 offset:116
	buffer_load_dword v40, off, s[0:3], 0 offset:112
	s_waitcnt vmcnt(3)
	buffer_store_dword v37, off, s[0:3], 0 offset:112
	s_waitcnt vmcnt(3)
	buffer_store_dword v38, off, s[0:3], 0 offset:116
	s_waitcnt vmcnt(3)
	buffer_store_dword v39, v0, s[0:3], 0 offen offset:4
	s_waitcnt vmcnt(3)
	buffer_store_dword v40, v0, s[0:3], 0 offen
.LBB17_128:
	v_mov_b32_e32 v0, 0
	global_load_dword v37, v0, s[20:21] offset:52
	s_waitcnt vmcnt(0)
	v_add_u32_e32 v37, -1, v37
	v_cmp_eq_u32_e32 vcc, 13, v37
	s_cbranch_vccnz .LBB17_130
; %bb.129:
	v_lshlrev_b32_e32 v37, 3, v37
	buffer_load_dword v38, v37, s[0:3], 0 offen
	buffer_load_dword v39, v37, s[0:3], 0 offen offset:4
	buffer_load_dword v40, off, s[0:3], 0 offset:104
	buffer_load_dword v41, off, s[0:3], 0 offset:108
	s_waitcnt vmcnt(3)
	buffer_store_dword v38, off, s[0:3], 0 offset:104
	s_waitcnt vmcnt(3)
	buffer_store_dword v39, off, s[0:3], 0 offset:108
	s_waitcnt vmcnt(3)
	buffer_store_dword v40, v37, s[0:3], 0 offen
	s_waitcnt vmcnt(3)
	buffer_store_dword v41, v37, s[0:3], 0 offen offset:4
.LBB17_130:
	global_load_dword v0, v0, s[20:21] offset:48
	s_waitcnt vmcnt(0)
	v_add_u32_e32 v0, -1, v0
	v_cmp_eq_u32_e32 vcc, 12, v0
	s_cbranch_vccnz .LBB17_132
; %bb.131:
	v_lshlrev_b32_e32 v0, 3, v0
	buffer_load_dword v37, v0, s[0:3], 0 offen
	buffer_load_dword v38, v0, s[0:3], 0 offen offset:4
	buffer_load_dword v39, off, s[0:3], 0 offset:100
	buffer_load_dword v40, off, s[0:3], 0 offset:96
	s_waitcnt vmcnt(3)
	buffer_store_dword v37, off, s[0:3], 0 offset:96
	s_waitcnt vmcnt(3)
	buffer_store_dword v38, off, s[0:3], 0 offset:100
	s_waitcnt vmcnt(3)
	buffer_store_dword v39, v0, s[0:3], 0 offen offset:4
	s_waitcnt vmcnt(3)
	buffer_store_dword v40, v0, s[0:3], 0 offen
.LBB17_132:
	;; [unrolled: 41-line block ×7, first 2 shown]
	v_mov_b32_e32 v0, 0
	global_load_dword v37, v0, s[20:21] offset:4
	s_waitcnt vmcnt(0)
	v_add_u32_e32 v37, -1, v37
	v_cmp_eq_u32_e32 vcc, 1, v37
	s_cbranch_vccnz .LBB17_154
; %bb.153:
	v_lshlrev_b32_e32 v37, 3, v37
	buffer_load_dword v38, v37, s[0:3], 0 offen
	buffer_load_dword v39, v37, s[0:3], 0 offen offset:4
	buffer_load_dword v40, off, s[0:3], 0 offset:8
	buffer_load_dword v41, off, s[0:3], 0 offset:12
	s_waitcnt vmcnt(3)
	buffer_store_dword v38, off, s[0:3], 0 offset:8
	s_waitcnt vmcnt(3)
	buffer_store_dword v39, off, s[0:3], 0 offset:12
	s_waitcnt vmcnt(3)
	buffer_store_dword v40, v37, s[0:3], 0 offen
	s_waitcnt vmcnt(3)
	buffer_store_dword v41, v37, s[0:3], 0 offen offset:4
.LBB17_154:
	global_load_dword v0, v0, s[20:21]
	s_waitcnt vmcnt(0)
	v_add_u32_e32 v0, -1, v0
	v_cmp_eq_u32_e32 vcc, 0, v0
	s_cbranch_vccnz .LBB17_156
; %bb.155:
	v_lshlrev_b32_e32 v0, 3, v0
	buffer_load_dword v37, v0, s[0:3], 0 offen
	buffer_load_dword v38, v0, s[0:3], 0 offen offset:4
	buffer_load_dword v39, off, s[0:3], 0 offset:4
	buffer_load_dword v40, off, s[0:3], 0
	s_waitcnt vmcnt(3)
	buffer_store_dword v37, off, s[0:3], 0
	s_waitcnt vmcnt(3)
	buffer_store_dword v38, off, s[0:3], 0 offset:4
	s_waitcnt vmcnt(3)
	buffer_store_dword v39, v0, s[0:3], 0 offen offset:4
	s_waitcnt vmcnt(3)
	buffer_store_dword v40, v0, s[0:3], 0 offen
.LBB17_156:
	buffer_load_dword v37, off, s[0:3], 0
	buffer_load_dword v38, off, s[0:3], 0 offset:4
	buffer_load_dword v39, off, s[0:3], 0 offset:8
	s_nop 0
	buffer_load_dword v40, off, s[0:3], 0 offset:12
	buffer_load_dword v41, off, s[0:3], 0 offset:16
	;; [unrolled: 1-line block ×33, first 2 shown]
	s_waitcnt vmcnt(34)
	global_store_dwordx2 v[29:30], v[37:38], off
	s_waitcnt vmcnt(33)
	global_store_dwordx2 v[31:32], v[39:40], off
	;; [unrolled: 2-line block ×9, first 2 shown]
	global_store_dwordx2 v[15:16], v[55:56], off
	global_store_dwordx2 v[17:18], v[57:58], off
	;; [unrolled: 1-line block ×3, first 2 shown]
	s_waitcnt vmcnt(22)
	global_store_dwordx2 v[21:22], v[61:62], off
	s_waitcnt vmcnt(21)
	global_store_dwordx2 v[23:24], v[63:64], off
	;; [unrolled: 2-line block ×6, first 2 shown]
	s_endpgm
	.section	.rodata,"a",@progbits
	.p2align	6, 0x0
	.amdhsa_kernel _ZN9rocsolver6v33100L18getri_kernel_smallILi18E19rocblas_complex_numIfEPS3_EEvT1_iilPiilS6_bb
		.amdhsa_group_segment_fixed_size 292
		.amdhsa_private_segment_fixed_size 160
		.amdhsa_kernarg_size 60
		.amdhsa_user_sgpr_count 6
		.amdhsa_user_sgpr_private_segment_buffer 1
		.amdhsa_user_sgpr_dispatch_ptr 0
		.amdhsa_user_sgpr_queue_ptr 0
		.amdhsa_user_sgpr_kernarg_segment_ptr 1
		.amdhsa_user_sgpr_dispatch_id 0
		.amdhsa_user_sgpr_flat_scratch_init 0
		.amdhsa_user_sgpr_private_segment_size 0
		.amdhsa_uses_dynamic_stack 0
		.amdhsa_system_sgpr_private_segment_wavefront_offset 1
		.amdhsa_system_sgpr_workgroup_id_x 1
		.amdhsa_system_sgpr_workgroup_id_y 0
		.amdhsa_system_sgpr_workgroup_id_z 0
		.amdhsa_system_sgpr_workgroup_info 0
		.amdhsa_system_vgpr_workitem_id 0
		.amdhsa_next_free_vgpr 124
		.amdhsa_next_free_sgpr 24
		.amdhsa_reserve_vcc 1
		.amdhsa_reserve_flat_scratch 0
		.amdhsa_float_round_mode_32 0
		.amdhsa_float_round_mode_16_64 0
		.amdhsa_float_denorm_mode_32 3
		.amdhsa_float_denorm_mode_16_64 3
		.amdhsa_dx10_clamp 1
		.amdhsa_ieee_mode 1
		.amdhsa_fp16_overflow 0
		.amdhsa_exception_fp_ieee_invalid_op 0
		.amdhsa_exception_fp_denorm_src 0
		.amdhsa_exception_fp_ieee_div_zero 0
		.amdhsa_exception_fp_ieee_overflow 0
		.amdhsa_exception_fp_ieee_underflow 0
		.amdhsa_exception_fp_ieee_inexact 0
		.amdhsa_exception_int_div_zero 0
	.end_amdhsa_kernel
	.section	.text._ZN9rocsolver6v33100L18getri_kernel_smallILi18E19rocblas_complex_numIfEPS3_EEvT1_iilPiilS6_bb,"axG",@progbits,_ZN9rocsolver6v33100L18getri_kernel_smallILi18E19rocblas_complex_numIfEPS3_EEvT1_iilPiilS6_bb,comdat
.Lfunc_end17:
	.size	_ZN9rocsolver6v33100L18getri_kernel_smallILi18E19rocblas_complex_numIfEPS3_EEvT1_iilPiilS6_bb, .Lfunc_end17-_ZN9rocsolver6v33100L18getri_kernel_smallILi18E19rocblas_complex_numIfEPS3_EEvT1_iilPiilS6_bb
                                        ; -- End function
	.set _ZN9rocsolver6v33100L18getri_kernel_smallILi18E19rocblas_complex_numIfEPS3_EEvT1_iilPiilS6_bb.num_vgpr, 124
	.set _ZN9rocsolver6v33100L18getri_kernel_smallILi18E19rocblas_complex_numIfEPS3_EEvT1_iilPiilS6_bb.num_agpr, 0
	.set _ZN9rocsolver6v33100L18getri_kernel_smallILi18E19rocblas_complex_numIfEPS3_EEvT1_iilPiilS6_bb.numbered_sgpr, 24
	.set _ZN9rocsolver6v33100L18getri_kernel_smallILi18E19rocblas_complex_numIfEPS3_EEvT1_iilPiilS6_bb.num_named_barrier, 0
	.set _ZN9rocsolver6v33100L18getri_kernel_smallILi18E19rocblas_complex_numIfEPS3_EEvT1_iilPiilS6_bb.private_seg_size, 160
	.set _ZN9rocsolver6v33100L18getri_kernel_smallILi18E19rocblas_complex_numIfEPS3_EEvT1_iilPiilS6_bb.uses_vcc, 1
	.set _ZN9rocsolver6v33100L18getri_kernel_smallILi18E19rocblas_complex_numIfEPS3_EEvT1_iilPiilS6_bb.uses_flat_scratch, 0
	.set _ZN9rocsolver6v33100L18getri_kernel_smallILi18E19rocblas_complex_numIfEPS3_EEvT1_iilPiilS6_bb.has_dyn_sized_stack, 0
	.set _ZN9rocsolver6v33100L18getri_kernel_smallILi18E19rocblas_complex_numIfEPS3_EEvT1_iilPiilS6_bb.has_recursion, 0
	.set _ZN9rocsolver6v33100L18getri_kernel_smallILi18E19rocblas_complex_numIfEPS3_EEvT1_iilPiilS6_bb.has_indirect_call, 0
	.section	.AMDGPU.csdata,"",@progbits
; Kernel info:
; codeLenInByte = 18368
; TotalNumSgprs: 28
; NumVgprs: 124
; ScratchSize: 160
; MemoryBound: 0
; FloatMode: 240
; IeeeMode: 1
; LDSByteSize: 292 bytes/workgroup (compile time only)
; SGPRBlocks: 3
; VGPRBlocks: 30
; NumSGPRsForWavesPerEU: 28
; NumVGPRsForWavesPerEU: 124
; Occupancy: 2
; WaveLimiterHint : 1
; COMPUTE_PGM_RSRC2:SCRATCH_EN: 1
; COMPUTE_PGM_RSRC2:USER_SGPR: 6
; COMPUTE_PGM_RSRC2:TRAP_HANDLER: 0
; COMPUTE_PGM_RSRC2:TGID_X_EN: 1
; COMPUTE_PGM_RSRC2:TGID_Y_EN: 0
; COMPUTE_PGM_RSRC2:TGID_Z_EN: 0
; COMPUTE_PGM_RSRC2:TIDIG_COMP_CNT: 0
	.section	.text._ZN9rocsolver6v33100L18getri_kernel_smallILi19E19rocblas_complex_numIfEPS3_EEvT1_iilPiilS6_bb,"axG",@progbits,_ZN9rocsolver6v33100L18getri_kernel_smallILi19E19rocblas_complex_numIfEPS3_EEvT1_iilPiilS6_bb,comdat
	.globl	_ZN9rocsolver6v33100L18getri_kernel_smallILi19E19rocblas_complex_numIfEPS3_EEvT1_iilPiilS6_bb ; -- Begin function _ZN9rocsolver6v33100L18getri_kernel_smallILi19E19rocblas_complex_numIfEPS3_EEvT1_iilPiilS6_bb
	.p2align	8
	.type	_ZN9rocsolver6v33100L18getri_kernel_smallILi19E19rocblas_complex_numIfEPS3_EEvT1_iilPiilS6_bb,@function
_ZN9rocsolver6v33100L18getri_kernel_smallILi19E19rocblas_complex_numIfEPS3_EEvT1_iilPiilS6_bb: ; @_ZN9rocsolver6v33100L18getri_kernel_smallILi19E19rocblas_complex_numIfEPS3_EEvT1_iilPiilS6_bb
; %bb.0:
	s_add_u32 s0, s0, s7
	s_addc_u32 s1, s1, 0
	v_cmp_gt_u32_e32 vcc, 19, v0
	s_and_saveexec_b64 s[8:9], vcc
	s_cbranch_execz .LBB18_90
; %bb.1:
	s_load_dword s12, s[4:5], 0x38
	s_load_dwordx4 s[16:19], s[4:5], 0x10
	s_load_dwordx4 s[8:11], s[4:5], 0x28
                                        ; implicit-def: $sgpr20_sgpr21
	s_waitcnt lgkmcnt(0)
	s_bitcmp1_b32 s12, 8
	s_cselect_b64 s[22:23], -1, 0
	s_ashr_i32 s7, s6, 31
	s_bfe_u32 s12, s12, 0x10008
	s_cmp_eq_u32 s12, 0
	s_cbranch_scc1 .LBB18_3
; %bb.2:
	s_load_dword s12, s[4:5], 0x20
	s_mul_i32 s13, s8, s7
	s_mul_hi_u32 s14, s8, s6
	s_mul_i32 s9, s9, s6
	s_add_i32 s14, s14, s13
	s_add_i32 s9, s14, s9
	s_mul_i32 s8, s8, s6
	s_waitcnt lgkmcnt(0)
	s_ashr_i32 s13, s12, 31
	s_lshl_b64 s[8:9], s[8:9], 2
	s_add_u32 s14, s18, s8
	s_addc_u32 s15, s19, s9
	s_lshl_b64 s[8:9], s[12:13], 2
	s_add_u32 s20, s14, s8
	s_addc_u32 s21, s15, s9
.LBB18_3:
	s_load_dwordx4 s[12:15], s[4:5], 0x0
	s_load_dword s8, s[4:5], 0x38
	s_mul_i32 s9, s16, s7
	s_mul_hi_u32 s18, s16, s6
	s_add_i32 s9, s18, s9
	s_waitcnt lgkmcnt(0)
	s_ashr_i32 s5, s14, 31
	s_mov_b32 s4, s14
	s_mul_i32 s14, s17, s6
	s_add_i32 s17, s9, s14
	s_mul_i32 s16, s16, s6
	s_lshl_b64 s[16:17], s[16:17], 3
	s_add_u32 s9, s12, s16
	s_addc_u32 s12, s13, s17
	s_lshl_b64 s[4:5], s[4:5], 3
	s_add_u32 s4, s9, s4
	s_addc_u32 s5, s12, s5
	s_add_i32 s9, s15, s15
	v_add_u32_e32 v3, s9, v0
	v_ashrrev_i32_e32 v4, 31, v3
	v_lshlrev_b64 v[1:2], 3, v[3:4]
	v_add_u32_e32 v5, s15, v3
	v_mov_b32_e32 v4, s5
	v_add_co_u32_e32 v1, vcc, s4, v1
	v_ashrrev_i32_e32 v6, 31, v5
	v_addc_co_u32_e32 v2, vcc, v4, v2, vcc
	v_lshlrev_b64 v[3:4], 3, v[5:6]
	v_add_u32_e32 v7, s15, v5
	v_mov_b32_e32 v6, s5
	v_add_co_u32_e32 v3, vcc, s4, v3
	v_ashrrev_i32_e32 v8, 31, v7
	v_addc_co_u32_e32 v4, vcc, v6, v4, vcc
	;; [unrolled: 6-line block ×8, first 2 shown]
	v_lshlrev_b64 v[17:18], 3, v[19:20]
	v_mov_b32_e32 v21, s5
	v_add_co_u32_e32 v17, vcc, s4, v17
	v_addc_co_u32_e32 v18, vcc, v21, v18, vcc
	v_add_u32_e32 v21, s15, v19
	v_ashrrev_i32_e32 v22, 31, v21
	v_lshlrev_b64 v[19:20], 3, v[21:22]
	v_mov_b32_e32 v23, s5
	v_add_co_u32_e32 v19, vcc, s4, v19
	v_addc_co_u32_e32 v20, vcc, v23, v20, vcc
	v_add_u32_e32 v23, s15, v21
	v_ashrrev_i32_e32 v24, 31, v23
	;; [unrolled: 6-line block ×5, first 2 shown]
	v_lshlrev_b64 v[27:28], 3, v[29:30]
	v_mov_b32_e32 v31, s5
	v_add_co_u32_e32 v27, vcc, s4, v27
	v_addc_co_u32_e32 v28, vcc, v31, v28, vcc
	v_lshlrev_b32_e32 v41, 3, v0
	v_add_u32_e32 v35, s15, v29
	v_mov_b32_e32 v32, s5
	v_add_co_u32_e32 v31, vcc, s4, v41
	s_ashr_i32 s13, s15, 31
	s_mov_b32 s12, s15
	v_ashrrev_i32_e32 v36, 31, v35
	v_addc_co_u32_e32 v32, vcc, 0, v32, vcc
	s_lshl_b64 s[12:13], s[12:13], 3
	v_lshlrev_b64 v[29:30], 3, v[35:36]
	v_mov_b32_e32 v34, s13
	v_add_co_u32_e32 v33, vcc, s12, v31
	v_addc_co_u32_e32 v34, vcc, v32, v34, vcc
	v_mov_b32_e32 v37, s5
	v_add_co_u32_e32 v29, vcc, s4, v29
	v_addc_co_u32_e32 v30, vcc, v37, v30, vcc
	v_add_u32_e32 v37, s15, v35
	v_ashrrev_i32_e32 v38, 31, v37
	v_lshlrev_b64 v[35:36], 3, v[37:38]
	v_mov_b32_e32 v60, s5
	v_add_co_u32_e32 v35, vcc, s4, v35
	global_load_dwordx2 v[39:40], v41, s[4:5]
	global_load_dwordx2 v[44:45], v[1:2], off
	global_load_dwordx2 v[46:47], v[3:4], off
	;; [unrolled: 1-line block ×9, first 2 shown]
	v_addc_co_u32_e32 v36, vcc, v60, v36, vcc
	global_load_dwordx2 v[60:61], v[17:18], off
	global_load_dwordx2 v[62:63], v[19:20], off
	;; [unrolled: 1-line block ×8, first 2 shown]
	v_add_u32_e32 v37, s15, v37
	v_ashrrev_i32_e32 v38, 31, v37
	v_lshlrev_b64 v[37:38], 3, v[37:38]
	v_mov_b32_e32 v76, s5
	v_add_co_u32_e32 v37, vcc, s4, v37
	v_addc_co_u32_e32 v38, vcc, v76, v38, vcc
	global_load_dwordx2 v[76:77], v[37:38], off
	s_bitcmp0_b32 s8, 0
	s_mov_b64 s[8:9], -1
	s_waitcnt vmcnt(18)
	buffer_store_dword v40, off, s[0:3], 0 offset:4
	buffer_store_dword v39, off, s[0:3], 0
	s_waitcnt vmcnt(16)
	buffer_store_dword v43, off, s[0:3], 0 offset:12
	buffer_store_dword v42, off, s[0:3], 0 offset:8
	buffer_store_dword v45, off, s[0:3], 0 offset:20
	buffer_store_dword v44, off, s[0:3], 0 offset:16
	buffer_store_dword v47, off, s[0:3], 0 offset:28
	buffer_store_dword v46, off, s[0:3], 0 offset:24
	buffer_store_dword v49, off, s[0:3], 0 offset:36
	buffer_store_dword v48, off, s[0:3], 0 offset:32
	s_waitcnt vmcnt(23)
	buffer_store_dword v51, off, s[0:3], 0 offset:44
	buffer_store_dword v50, off, s[0:3], 0 offset:40
	s_waitcnt vmcnt(24)
	buffer_store_dword v53, off, s[0:3], 0 offset:52
	buffer_store_dword v52, off, s[0:3], 0 offset:48
	;; [unrolled: 3-line block ×14, first 2 shown]
	s_cbranch_scc1 .LBB18_88
; %bb.4:
	v_cmp_eq_u32_e64 s[4:5], 0, v0
	s_and_saveexec_b64 s[8:9], s[4:5]
; %bb.5:
	v_mov_b32_e32 v39, 0
	ds_write_b32 v39, v39 offset:152
; %bb.6:
	s_or_b64 exec, exec, s[8:9]
	v_mov_b32_e32 v39, 0
	v_lshl_add_u32 v43, v0, 3, v39
	s_waitcnt lgkmcnt(0)
	; wave barrier
	buffer_load_dword v39, v43, s[0:3], 0 offen
	buffer_load_dword v40, v43, s[0:3], 0 offen offset:4
	s_waitcnt vmcnt(1)
	v_cmp_eq_f32_e32 vcc, 0, v39
	s_waitcnt vmcnt(0)
	v_cmp_eq_f32_e64 s[8:9], 0, v40
	s_and_b64 s[8:9], vcc, s[8:9]
	s_and_saveexec_b64 s[12:13], s[8:9]
	s_cbranch_execz .LBB18_10
; %bb.7:
	v_mov_b32_e32 v39, 0
	ds_read_b32 v42, v39 offset:152
	v_add_u32_e32 v40, 1, v0
	s_waitcnt lgkmcnt(0)
	v_readfirstlane_b32 s8, v42
	s_cmp_eq_u32 s8, 0
	s_cselect_b64 s[14:15], -1, 0
	v_cmp_gt_i32_e32 vcc, s8, v40
	s_or_b64 s[14:15], s[14:15], vcc
	s_and_b64 exec, exec, s[14:15]
	s_cbranch_execz .LBB18_10
; %bb.8:
	s_mov_b64 s[14:15], 0
	v_mov_b32_e32 v42, s8
.LBB18_9:                               ; =>This Inner Loop Header: Depth=1
	ds_cmpst_rtn_b32 v42, v39, v42, v40 offset:152
	s_waitcnt lgkmcnt(0)
	v_cmp_ne_u32_e32 vcc, 0, v42
	v_cmp_le_i32_e64 s[8:9], v42, v40
	s_and_b64 s[8:9], vcc, s[8:9]
	s_and_b64 s[8:9], exec, s[8:9]
	s_or_b64 s[14:15], s[8:9], s[14:15]
	s_andn2_b64 exec, exec, s[14:15]
	s_cbranch_execnz .LBB18_9
.LBB18_10:
	s_or_b64 exec, exec, s[12:13]
	v_mov_b32_e32 v40, 0
	; wave barrier
	ds_read_b32 v39, v40 offset:152
	s_and_saveexec_b64 s[8:9], s[4:5]
	s_cbranch_execz .LBB18_12
; %bb.11:
	s_lshl_b64 s[12:13], s[6:7], 2
	s_add_u32 s12, s10, s12
	s_addc_u32 s13, s11, s13
	s_waitcnt lgkmcnt(0)
	global_store_dword v40, v39, s[12:13]
.LBB18_12:
	s_or_b64 exec, exec, s[8:9]
	s_waitcnt lgkmcnt(0)
	v_cmp_ne_u32_e32 vcc, 0, v39
	s_mov_b64 s[8:9], 0
	s_cbranch_vccnz .LBB18_88
; %bb.13:
	buffer_load_dword v40, v43, s[0:3], 0 offen
	buffer_load_dword v42, v43, s[0:3], 0 offen offset:4
                                        ; implicit-def: $vgpr45
                                        ; implicit-def: $vgpr44
                                        ; implicit-def: $vgpr39
	s_waitcnt vmcnt(0)
	v_cmp_ngt_f32_e64 s[8:9], |v40|, |v42|
	s_and_saveexec_b64 s[12:13], s[8:9]
	s_xor_b64 s[8:9], exec, s[12:13]
	s_cbranch_execz .LBB18_15
; %bb.14:
	v_div_scale_f32 v39, s[12:13], v42, v42, v40
	v_div_scale_f32 v44, vcc, v40, v42, v40
	v_rcp_f32_e32 v45, v39
	v_fma_f32 v46, -v39, v45, 1.0
	v_fmac_f32_e32 v45, v46, v45
	v_mul_f32_e32 v46, v44, v45
	v_fma_f32 v47, -v39, v46, v44
	v_fmac_f32_e32 v46, v47, v45
	v_fma_f32 v39, -v39, v46, v44
	v_div_fmas_f32 v39, v39, v45, v46
	v_div_fixup_f32 v39, v39, v42, v40
	v_fmac_f32_e32 v42, v40, v39
	v_div_scale_f32 v40, s[12:13], v42, v42, 1.0
	v_div_scale_f32 v44, vcc, 1.0, v42, 1.0
	v_rcp_f32_e32 v45, v40
	v_fma_f32 v46, -v40, v45, 1.0
	v_fmac_f32_e32 v45, v46, v45
	v_mul_f32_e32 v46, v44, v45
	v_fma_f32 v47, -v40, v46, v44
	v_fmac_f32_e32 v46, v47, v45
	v_fma_f32 v40, -v40, v46, v44
	v_div_fmas_f32 v40, v40, v45, v46
	v_div_fixup_f32 v40, v40, v42, 1.0
	v_mul_f32_e32 v45, v39, v40
	v_xor_b32_e32 v44, 0x80000000, v40
	v_xor_b32_e32 v39, 0x80000000, v45
                                        ; implicit-def: $vgpr40
                                        ; implicit-def: $vgpr42
.LBB18_15:
	s_andn2_saveexec_b64 s[8:9], s[8:9]
	s_cbranch_execz .LBB18_17
; %bb.16:
	v_div_scale_f32 v39, s[12:13], v40, v40, v42
	v_div_scale_f32 v44, vcc, v42, v40, v42
	v_rcp_f32_e32 v45, v39
	v_fma_f32 v46, -v39, v45, 1.0
	v_fmac_f32_e32 v45, v46, v45
	v_mul_f32_e32 v46, v44, v45
	v_fma_f32 v47, -v39, v46, v44
	v_fmac_f32_e32 v46, v47, v45
	v_fma_f32 v39, -v39, v46, v44
	v_div_fmas_f32 v39, v39, v45, v46
	v_div_fixup_f32 v44, v39, v40, v42
	v_fmac_f32_e32 v40, v42, v44
	v_div_scale_f32 v39, s[12:13], v40, v40, 1.0
	v_div_scale_f32 v42, vcc, 1.0, v40, 1.0
	v_rcp_f32_e32 v45, v39
	v_fma_f32 v46, -v39, v45, 1.0
	v_fmac_f32_e32 v45, v46, v45
	v_mul_f32_e32 v46, v42, v45
	v_fma_f32 v47, -v39, v46, v42
	v_fmac_f32_e32 v46, v47, v45
	v_fma_f32 v39, -v39, v46, v42
	v_div_fmas_f32 v39, v39, v45, v46
	v_div_fixup_f32 v45, v39, v40, 1.0
	v_xor_b32_e32 v39, 0x80000000, v45
	v_mul_f32_e64 v44, v44, -v45
.LBB18_17:
	s_or_b64 exec, exec, s[8:9]
	buffer_store_dword v45, v43, s[0:3], 0 offen
	buffer_store_dword v44, v43, s[0:3], 0 offen offset:4
	buffer_load_dword v46, off, s[0:3], 0 offset:12
	s_nop 0
	buffer_load_dword v45, off, s[0:3], 0 offset:8
	v_xor_b32_e32 v40, 0x80000000, v44
	v_add_u32_e32 v42, 0xa0, v41
	s_waitcnt vmcnt(0)
	ds_write2_b64 v41, v[39:40], v[45:46] offset1:20
	s_waitcnt lgkmcnt(0)
	; wave barrier
	s_and_saveexec_b64 s[8:9], s[4:5]
	s_cbranch_execz .LBB18_19
; %bb.18:
	buffer_load_dword v46, v43, s[0:3], 0 offen offset:4
	buffer_load_dword v47, v43, s[0:3], 0 offen
	ds_read_b64 v[39:40], v42
	v_mov_b32_e32 v44, 0
	ds_read_b64 v[44:45], v44 offset:8
	s_waitcnt vmcnt(1) lgkmcnt(1)
	v_mul_f32_e32 v48, v40, v46
	v_mul_f32_e32 v46, v39, v46
	s_waitcnt vmcnt(0)
	v_fmac_f32_e32 v46, v40, v47
	v_fma_f32 v39, v39, v47, -v48
	v_add_f32_e32 v40, 0, v46
	v_add_f32_e32 v39, 0, v39
	s_waitcnt lgkmcnt(0)
	v_mul_f32_e32 v46, v40, v45
	v_mul_f32_e32 v45, v39, v45
	v_fma_f32 v39, v39, v44, -v46
	v_fmac_f32_e32 v45, v40, v44
	buffer_store_dword v39, off, s[0:3], 0 offset:8
	buffer_store_dword v45, off, s[0:3], 0 offset:12
.LBB18_19:
	s_or_b64 exec, exec, s[8:9]
	; wave barrier
	buffer_load_dword v39, off, s[0:3], 0 offset:16
	buffer_load_dword v40, off, s[0:3], 0 offset:20
	v_cmp_gt_u32_e32 vcc, 2, v0
	s_waitcnt vmcnt(0)
	ds_write_b64 v42, v[39:40]
	s_waitcnt lgkmcnt(0)
	; wave barrier
	s_and_saveexec_b64 s[8:9], vcc
	s_cbranch_execz .LBB18_23
; %bb.20:
	buffer_load_dword v44, v43, s[0:3], 0 offen offset:4
	buffer_load_dword v45, v43, s[0:3], 0 offen
	ds_read_b64 v[39:40], v42
	s_waitcnt vmcnt(1) lgkmcnt(0)
	v_mul_f32_e32 v43, v40, v44
	v_mul_f32_e32 v44, v39, v44
	s_waitcnt vmcnt(0)
	v_fma_f32 v39, v39, v45, -v43
	v_fmac_f32_e32 v44, v40, v45
	v_add_f32_e32 v40, 0, v39
	v_add_f32_e32 v39, 0, v44
	s_and_saveexec_b64 s[12:13], s[4:5]
	s_cbranch_execz .LBB18_22
; %bb.21:
	buffer_load_dword v45, off, s[0:3], 0 offset:12
	buffer_load_dword v46, off, s[0:3], 0 offset:8
	v_mov_b32_e32 v43, 0
	ds_read_b64 v[43:44], v43 offset:168
	s_waitcnt vmcnt(1) lgkmcnt(0)
	v_mul_f32_e32 v47, v43, v45
	v_mul_f32_e32 v45, v44, v45
	s_waitcnt vmcnt(0)
	v_fmac_f32_e32 v47, v44, v46
	v_fma_f32 v43, v43, v46, -v45
	v_add_f32_e32 v39, v39, v47
	v_add_f32_e32 v40, v40, v43
.LBB18_22:
	s_or_b64 exec, exec, s[12:13]
	v_mov_b32_e32 v43, 0
	ds_read_b64 v[43:44], v43 offset:16
	s_waitcnt lgkmcnt(0)
	v_mul_f32_e32 v45, v39, v44
	v_mul_f32_e32 v44, v40, v44
	v_fma_f32 v40, v40, v43, -v45
	v_fmac_f32_e32 v44, v39, v43
	buffer_store_dword v40, off, s[0:3], 0 offset:16
	buffer_store_dword v44, off, s[0:3], 0 offset:20
.LBB18_23:
	s_or_b64 exec, exec, s[8:9]
	; wave barrier
	buffer_load_dword v39, off, s[0:3], 0 offset:24
	buffer_load_dword v40, off, s[0:3], 0 offset:28
	v_cmp_gt_u32_e32 vcc, 3, v0
	s_waitcnt vmcnt(0)
	ds_write_b64 v42, v[39:40]
	v_add_u32_e32 v39, -1, v0
	s_waitcnt lgkmcnt(0)
	; wave barrier
	s_and_saveexec_b64 s[4:5], vcc
	s_cbranch_execz .LBB18_27
; %bb.24:
	v_add_u32_e32 v43, -1, v0
	v_add_u32_e32 v44, 0xa0, v41
	v_mov_b32_e32 v45, v41
	v_mov_b32_e32 v40, 0
	s_mov_b64 s[8:9], 0
	v_mov_b32_e32 v46, 0
.LBB18_25:                              ; =>This Inner Loop Header: Depth=1
	buffer_load_dword v49, v45, s[0:3], 0 offen offset:4
	buffer_load_dword v50, v45, s[0:3], 0 offen
	ds_read_b64 v[47:48], v44
	v_add_u32_e32 v43, 1, v43
	v_cmp_lt_u32_e32 vcc, 1, v43
	v_add_u32_e32 v44, 8, v44
	v_add_u32_e32 v45, 8, v45
	s_or_b64 s[8:9], vcc, s[8:9]
	s_waitcnt vmcnt(1) lgkmcnt(0)
	v_mul_f32_e32 v51, v48, v49
	v_mul_f32_e32 v49, v47, v49
	s_waitcnt vmcnt(0)
	v_fma_f32 v47, v47, v50, -v51
	v_fmac_f32_e32 v49, v48, v50
	v_add_f32_e32 v46, v46, v47
	v_add_f32_e32 v40, v40, v49
	s_andn2_b64 exec, exec, s[8:9]
	s_cbranch_execnz .LBB18_25
; %bb.26:
	s_or_b64 exec, exec, s[8:9]
	v_mov_b32_e32 v43, 0
	ds_read_b64 v[43:44], v43 offset:24
	s_waitcnt lgkmcnt(0)
	v_mul_f32_e32 v45, v40, v44
	v_mul_f32_e32 v44, v46, v44
	v_fma_f32 v45, v46, v43, -v45
	v_fmac_f32_e32 v44, v40, v43
	buffer_store_dword v45, off, s[0:3], 0 offset:24
	buffer_store_dword v44, off, s[0:3], 0 offset:28
.LBB18_27:
	s_or_b64 exec, exec, s[4:5]
	; wave barrier
	buffer_load_dword v43, off, s[0:3], 0 offset:32
	buffer_load_dword v44, off, s[0:3], 0 offset:36
	v_cmp_gt_u32_e32 vcc, 4, v0
	s_waitcnt vmcnt(0)
	ds_write_b64 v42, v[43:44]
	s_waitcnt lgkmcnt(0)
	; wave barrier
	s_and_saveexec_b64 s[4:5], vcc
	s_cbranch_execz .LBB18_31
; %bb.28:
	v_add_u32_e32 v43, -1, v0
	v_add_u32_e32 v44, 0xa0, v41
	v_mov_b32_e32 v45, v41
	v_mov_b32_e32 v40, 0
	s_mov_b64 s[8:9], 0
	v_mov_b32_e32 v46, 0
.LBB18_29:                              ; =>This Inner Loop Header: Depth=1
	buffer_load_dword v49, v45, s[0:3], 0 offen offset:4
	buffer_load_dword v50, v45, s[0:3], 0 offen
	ds_read_b64 v[47:48], v44
	v_add_u32_e32 v43, 1, v43
	v_cmp_lt_u32_e32 vcc, 2, v43
	v_add_u32_e32 v44, 8, v44
	v_add_u32_e32 v45, 8, v45
	s_or_b64 s[8:9], vcc, s[8:9]
	s_waitcnt vmcnt(1) lgkmcnt(0)
	v_mul_f32_e32 v51, v48, v49
	v_mul_f32_e32 v49, v47, v49
	s_waitcnt vmcnt(0)
	v_fma_f32 v47, v47, v50, -v51
	v_fmac_f32_e32 v49, v48, v50
	v_add_f32_e32 v46, v46, v47
	v_add_f32_e32 v40, v40, v49
	s_andn2_b64 exec, exec, s[8:9]
	s_cbranch_execnz .LBB18_29
; %bb.30:
	s_or_b64 exec, exec, s[8:9]
	v_mov_b32_e32 v43, 0
	ds_read_b64 v[43:44], v43 offset:32
	s_waitcnt lgkmcnt(0)
	v_mul_f32_e32 v45, v40, v44
	v_mul_f32_e32 v44, v46, v44
	v_fma_f32 v45, v46, v43, -v45
	v_fmac_f32_e32 v44, v40, v43
	buffer_store_dword v45, off, s[0:3], 0 offset:32
	buffer_store_dword v44, off, s[0:3], 0 offset:36
.LBB18_31:
	s_or_b64 exec, exec, s[4:5]
	; wave barrier
	buffer_load_dword v43, off, s[0:3], 0 offset:40
	buffer_load_dword v44, off, s[0:3], 0 offset:44
	v_cmp_gt_u32_e32 vcc, 5, v0
	s_waitcnt vmcnt(0)
	ds_write_b64 v42, v[43:44]
	;; [unrolled: 49-line block ×14, first 2 shown]
	s_waitcnt lgkmcnt(0)
	; wave barrier
	s_and_saveexec_b64 s[4:5], vcc
	s_cbranch_execz .LBB18_83
; %bb.80:
	v_add_u32_e32 v43, -1, v0
	v_add_u32_e32 v44, 0xa0, v41
	v_mov_b32_e32 v45, v41
	v_mov_b32_e32 v40, 0
	s_mov_b64 s[8:9], 0
	v_mov_b32_e32 v46, 0
.LBB18_81:                              ; =>This Inner Loop Header: Depth=1
	buffer_load_dword v49, v45, s[0:3], 0 offen offset:4
	buffer_load_dword v50, v45, s[0:3], 0 offen
	ds_read_b64 v[47:48], v44
	v_add_u32_e32 v43, 1, v43
	v_cmp_lt_u32_e32 vcc, 15, v43
	v_add_u32_e32 v44, 8, v44
	v_add_u32_e32 v45, 8, v45
	s_or_b64 s[8:9], vcc, s[8:9]
	s_waitcnt vmcnt(1) lgkmcnt(0)
	v_mul_f32_e32 v51, v48, v49
	v_mul_f32_e32 v49, v47, v49
	s_waitcnt vmcnt(0)
	v_fma_f32 v47, v47, v50, -v51
	v_fmac_f32_e32 v49, v48, v50
	v_add_f32_e32 v46, v46, v47
	v_add_f32_e32 v40, v40, v49
	s_andn2_b64 exec, exec, s[8:9]
	s_cbranch_execnz .LBB18_81
; %bb.82:
	s_or_b64 exec, exec, s[8:9]
	v_mov_b32_e32 v43, 0
	ds_read_b64 v[43:44], v43 offset:136
	s_waitcnt lgkmcnt(0)
	v_mul_f32_e32 v45, v40, v44
	v_mul_f32_e32 v44, v46, v44
	v_fma_f32 v45, v46, v43, -v45
	v_fmac_f32_e32 v44, v40, v43
	buffer_store_dword v45, off, s[0:3], 0 offset:136
	buffer_store_dword v44, off, s[0:3], 0 offset:140
.LBB18_83:
	s_or_b64 exec, exec, s[4:5]
	; wave barrier
	buffer_load_dword v43, off, s[0:3], 0 offset:144
	buffer_load_dword v44, off, s[0:3], 0 offset:148
	v_cmp_ne_u32_e32 vcc, 18, v0
	s_waitcnt vmcnt(0)
	ds_write_b64 v42, v[43:44]
	s_waitcnt lgkmcnt(0)
	; wave barrier
	s_and_saveexec_b64 s[4:5], vcc
	s_cbranch_execz .LBB18_87
; %bb.84:
	v_add_u32_e32 v42, 0xa0, v41
	v_mov_b32_e32 v40, 0
	s_mov_b64 s[8:9], 0
	v_mov_b32_e32 v43, 0
.LBB18_85:                              ; =>This Inner Loop Header: Depth=1
	buffer_load_dword v46, v41, s[0:3], 0 offen offset:4
	buffer_load_dword v47, v41, s[0:3], 0 offen
	ds_read_b64 v[44:45], v42
	v_add_u32_e32 v39, 1, v39
	v_cmp_lt_u32_e32 vcc, 16, v39
	v_add_u32_e32 v42, 8, v42
	v_add_u32_e32 v41, 8, v41
	s_or_b64 s[8:9], vcc, s[8:9]
	s_waitcnt vmcnt(1) lgkmcnt(0)
	v_mul_f32_e32 v48, v45, v46
	v_mul_f32_e32 v46, v44, v46
	s_waitcnt vmcnt(0)
	v_fma_f32 v44, v44, v47, -v48
	v_fmac_f32_e32 v46, v45, v47
	v_add_f32_e32 v43, v43, v44
	v_add_f32_e32 v40, v40, v46
	s_andn2_b64 exec, exec, s[8:9]
	s_cbranch_execnz .LBB18_85
; %bb.86:
	s_or_b64 exec, exec, s[8:9]
	v_mov_b32_e32 v39, 0
	ds_read_b64 v[41:42], v39 offset:144
	s_waitcnt lgkmcnt(0)
	v_mul_f32_e32 v39, v40, v42
	v_mul_f32_e32 v42, v43, v42
	v_fma_f32 v39, v43, v41, -v39
	v_fmac_f32_e32 v42, v40, v41
	buffer_store_dword v39, off, s[0:3], 0 offset:144
	buffer_store_dword v42, off, s[0:3], 0 offset:148
.LBB18_87:
	s_or_b64 exec, exec, s[4:5]
	s_mov_b64 s[8:9], -1
	; wave barrier
.LBB18_88:
	s_and_b64 vcc, exec, s[8:9]
	s_cbranch_vccz .LBB18_90
; %bb.89:
	s_lshl_b64 s[4:5], s[6:7], 2
	s_add_u32 s4, s10, s4
	s_addc_u32 s5, s11, s5
	v_mov_b32_e32 v39, 0
	global_load_dword v39, v39, s[4:5]
	s_waitcnt vmcnt(0)
	v_cmp_ne_u32_e32 vcc, 0, v39
	s_cbranch_vccz .LBB18_91
.LBB18_90:
	s_endpgm
.LBB18_91:
	v_mov_b32_e32 v39, 0xa0
	v_lshl_add_u32 v39, v0, 3, v39
	v_cmp_eq_u32_e32 vcc, 18, v0
	s_and_saveexec_b64 s[4:5], vcc
	s_cbranch_execz .LBB18_93
; %bb.92:
	buffer_load_dword v40, off, s[0:3], 0 offset:136
	buffer_load_dword v41, off, s[0:3], 0 offset:140
	v_mov_b32_e32 v42, 0
	buffer_store_dword v42, off, s[0:3], 0 offset:136
	buffer_store_dword v42, off, s[0:3], 0 offset:140
	s_waitcnt vmcnt(2)
	ds_write_b64 v39, v[40:41]
.LBB18_93:
	s_or_b64 exec, exec, s[4:5]
	s_waitcnt lgkmcnt(0)
	; wave barrier
	buffer_load_dword v43, off, s[0:3], 0 offset:148
	buffer_load_dword v44, off, s[0:3], 0 offset:144
	;; [unrolled: 1-line block ×4, first 2 shown]
	v_mov_b32_e32 v40, 0
	ds_read_b64 v[41:42], v40 offset:304
	v_cmp_lt_u32_e32 vcc, 16, v0
	s_waitcnt vmcnt(3) lgkmcnt(0)
	v_mul_f32_e32 v47, v41, v43
	v_mul_f32_e32 v43, v42, v43
	s_waitcnt vmcnt(2)
	v_fma_f32 v41, v41, v44, -v43
	v_fmac_f32_e32 v47, v42, v44
	v_add_f32_e32 v41, 0, v41
	v_add_f32_e32 v42, 0, v47
	s_waitcnt vmcnt(1)
	v_sub_f32_e32 v41, v45, v41
	s_waitcnt vmcnt(0)
	v_sub_f32_e32 v42, v46, v42
	buffer_store_dword v41, off, s[0:3], 0 offset:136
	buffer_store_dword v42, off, s[0:3], 0 offset:140
	s_and_saveexec_b64 s[4:5], vcc
	s_cbranch_execz .LBB18_95
; %bb.94:
	buffer_load_dword v41, off, s[0:3], 0 offset:128
	buffer_load_dword v42, off, s[0:3], 0 offset:132
	s_waitcnt vmcnt(0)
	ds_write_b64 v39, v[41:42]
	buffer_store_dword v40, off, s[0:3], 0 offset:128
	buffer_store_dword v40, off, s[0:3], 0 offset:132
.LBB18_95:
	s_or_b64 exec, exec, s[4:5]
	s_waitcnt lgkmcnt(0)
	; wave barrier
	buffer_load_dword v44, off, s[0:3], 0 offset:140
	buffer_load_dword v45, off, s[0:3], 0 offset:148
	;; [unrolled: 1-line block ×6, first 2 shown]
	ds_read2_b64 v[40:43], v40 offset0:37 offset1:38
	v_cmp_lt_u32_e32 vcc, 15, v0
	s_waitcnt vmcnt(5) lgkmcnt(0)
	v_mul_f32_e32 v50, v40, v44
	v_mul_f32_e32 v44, v41, v44
	s_waitcnt vmcnt(4)
	v_mul_f32_e32 v51, v42, v45
	v_mul_f32_e32 v45, v43, v45
	s_waitcnt vmcnt(3)
	v_fma_f32 v40, v40, v46, -v44
	v_fmac_f32_e32 v50, v41, v46
	s_waitcnt vmcnt(2)
	v_fma_f32 v41, v42, v47, -v45
	v_add_f32_e32 v40, 0, v40
	v_fmac_f32_e32 v51, v43, v47
	v_add_f32_e32 v42, 0, v50
	v_add_f32_e32 v40, v40, v41
	;; [unrolled: 1-line block ×3, first 2 shown]
	s_waitcnt vmcnt(1)
	v_sub_f32_e32 v40, v48, v40
	s_waitcnt vmcnt(0)
	v_sub_f32_e32 v41, v49, v42
	buffer_store_dword v40, off, s[0:3], 0 offset:128
	buffer_store_dword v41, off, s[0:3], 0 offset:132
	s_and_saveexec_b64 s[4:5], vcc
	s_cbranch_execz .LBB18_97
; %bb.96:
	buffer_load_dword v40, off, s[0:3], 0 offset:120
	buffer_load_dword v41, off, s[0:3], 0 offset:124
	v_mov_b32_e32 v42, 0
	buffer_store_dword v42, off, s[0:3], 0 offset:120
	buffer_store_dword v42, off, s[0:3], 0 offset:124
	s_waitcnt vmcnt(2)
	ds_write_b64 v39, v[40:41]
.LBB18_97:
	s_or_b64 exec, exec, s[4:5]
	s_waitcnt lgkmcnt(0)
	; wave barrier
	buffer_load_dword v47, off, s[0:3], 0 offset:132
	buffer_load_dword v48, off, s[0:3], 0 offset:140
	buffer_load_dword v49, off, s[0:3], 0 offset:148
	buffer_load_dword v50, off, s[0:3], 0 offset:128
	buffer_load_dword v51, off, s[0:3], 0 offset:136
	buffer_load_dword v52, off, s[0:3], 0 offset:144
	buffer_load_dword v53, off, s[0:3], 0 offset:120
	buffer_load_dword v54, off, s[0:3], 0 offset:124
	v_mov_b32_e32 v40, 0
	ds_read_b128 v[41:44], v40 offset:288
	ds_read_b64 v[45:46], v40 offset:304
	v_cmp_lt_u32_e32 vcc, 14, v0
	s_waitcnt vmcnt(7) lgkmcnt(1)
	v_mul_f32_e32 v55, v41, v47
	v_mul_f32_e32 v47, v42, v47
	s_waitcnt vmcnt(6)
	v_mul_f32_e32 v56, v43, v48
	v_mul_f32_e32 v48, v44, v48
	s_waitcnt vmcnt(4)
	v_fma_f32 v41, v41, v50, -v47
	s_waitcnt lgkmcnt(0)
	v_mul_f32_e32 v57, v45, v49
	v_mul_f32_e32 v49, v46, v49
	v_fmac_f32_e32 v55, v42, v50
	s_waitcnt vmcnt(3)
	v_fma_f32 v42, v43, v51, -v48
	v_add_f32_e32 v41, 0, v41
	v_fmac_f32_e32 v56, v44, v51
	s_waitcnt vmcnt(2)
	v_fma_f32 v43, v45, v52, -v49
	v_add_f32_e32 v44, 0, v55
	v_add_f32_e32 v41, v41, v42
	v_fmac_f32_e32 v57, v46, v52
	v_add_f32_e32 v44, v44, v56
	v_add_f32_e32 v41, v41, v43
	;; [unrolled: 1-line block ×3, first 2 shown]
	s_waitcnt vmcnt(1)
	v_sub_f32_e32 v41, v53, v41
	s_waitcnt vmcnt(0)
	v_sub_f32_e32 v42, v54, v42
	buffer_store_dword v41, off, s[0:3], 0 offset:120
	buffer_store_dword v42, off, s[0:3], 0 offset:124
	s_and_saveexec_b64 s[4:5], vcc
	s_cbranch_execz .LBB18_99
; %bb.98:
	buffer_load_dword v41, off, s[0:3], 0 offset:112
	buffer_load_dword v42, off, s[0:3], 0 offset:116
	s_waitcnt vmcnt(0)
	ds_write_b64 v39, v[41:42]
	buffer_store_dword v40, off, s[0:3], 0 offset:112
	buffer_store_dword v40, off, s[0:3], 0 offset:116
.LBB18_99:
	s_or_b64 exec, exec, s[4:5]
	s_waitcnt lgkmcnt(0)
	; wave barrier
	buffer_load_dword v49, off, s[0:3], 0 offset:124
	buffer_load_dword v50, off, s[0:3], 0 offset:132
	;; [unrolled: 1-line block ×10, first 2 shown]
	ds_read2_b64 v[41:44], v40 offset0:35 offset1:36
	ds_read2_b64 v[45:48], v40 offset0:37 offset1:38
	v_cmp_lt_u32_e32 vcc, 13, v0
	s_waitcnt vmcnt(9) lgkmcnt(1)
	v_mul_f32_e32 v40, v41, v49
	v_mul_f32_e32 v49, v42, v49
	s_waitcnt vmcnt(8)
	v_mul_f32_e32 v59, v43, v50
	v_mul_f32_e32 v50, v44, v50
	s_waitcnt vmcnt(5)
	v_fma_f32 v41, v41, v53, -v49
	s_waitcnt lgkmcnt(0)
	v_mul_f32_e32 v60, v45, v51
	v_mul_f32_e32 v51, v46, v51
	v_fmac_f32_e32 v40, v42, v53
	s_waitcnt vmcnt(4)
	v_fma_f32 v42, v43, v54, -v50
	v_add_f32_e32 v41, 0, v41
	v_mul_f32_e32 v61, v47, v52
	v_mul_f32_e32 v52, v48, v52
	v_fmac_f32_e32 v59, v44, v54
	s_waitcnt vmcnt(3)
	v_fma_f32 v43, v45, v55, -v51
	v_add_f32_e32 v40, 0, v40
	v_add_f32_e32 v41, v41, v42
	v_fmac_f32_e32 v60, v46, v55
	s_waitcnt vmcnt(2)
	v_fma_f32 v44, v47, v56, -v52
	v_add_f32_e32 v40, v40, v59
	v_add_f32_e32 v41, v41, v43
	v_fmac_f32_e32 v61, v48, v56
	v_add_f32_e32 v40, v40, v60
	v_add_f32_e32 v41, v41, v44
	;; [unrolled: 1-line block ×3, first 2 shown]
	s_waitcnt vmcnt(1)
	v_sub_f32_e32 v41, v57, v41
	s_waitcnt vmcnt(0)
	v_sub_f32_e32 v40, v58, v40
	buffer_store_dword v41, off, s[0:3], 0 offset:112
	buffer_store_dword v40, off, s[0:3], 0 offset:116
	s_and_saveexec_b64 s[4:5], vcc
	s_cbranch_execz .LBB18_101
; %bb.100:
	buffer_load_dword v40, off, s[0:3], 0 offset:104
	buffer_load_dword v41, off, s[0:3], 0 offset:108
	v_mov_b32_e32 v42, 0
	buffer_store_dword v42, off, s[0:3], 0 offset:104
	buffer_store_dword v42, off, s[0:3], 0 offset:108
	s_waitcnt vmcnt(2)
	ds_write_b64 v39, v[40:41]
.LBB18_101:
	s_or_b64 exec, exec, s[4:5]
	s_waitcnt lgkmcnt(0)
	; wave barrier
	buffer_load_dword v51, off, s[0:3], 0 offset:116
	buffer_load_dword v52, off, s[0:3], 0 offset:124
	;; [unrolled: 1-line block ×12, first 2 shown]
	v_mov_b32_e32 v40, 0
	ds_read_b128 v[41:44], v40 offset:272
	ds_read_b128 v[45:48], v40 offset:288
	ds_read_b64 v[49:50], v40 offset:304
	v_cmp_lt_u32_e32 vcc, 12, v0
	s_waitcnt vmcnt(11) lgkmcnt(2)
	v_mul_f32_e32 v63, v41, v51
	v_mul_f32_e32 v51, v42, v51
	s_waitcnt vmcnt(10)
	v_mul_f32_e32 v64, v43, v52
	v_mul_f32_e32 v52, v44, v52
	s_waitcnt vmcnt(9) lgkmcnt(1)
	v_mul_f32_e32 v65, v45, v53
	s_waitcnt vmcnt(6)
	v_fma_f32 v41, v41, v56, -v51
	v_mul_f32_e32 v53, v46, v53
	v_fmac_f32_e32 v63, v42, v56
	s_waitcnt vmcnt(5)
	v_fma_f32 v42, v43, v57, -v52
	v_add_f32_e32 v41, 0, v41
	v_mul_f32_e32 v66, v47, v54
	v_mul_f32_e32 v54, v48, v54
	v_fmac_f32_e32 v64, v44, v57
	s_waitcnt vmcnt(4)
	v_fmac_f32_e32 v65, v46, v58
	v_fma_f32 v43, v45, v58, -v53
	v_add_f32_e32 v46, 0, v63
	v_add_f32_e32 v41, v41, v42
	s_waitcnt lgkmcnt(0)
	v_mul_f32_e32 v67, v49, v55
	v_mul_f32_e32 v55, v50, v55
	s_waitcnt vmcnt(3)
	v_fma_f32 v44, v47, v59, -v54
	v_add_f32_e32 v46, v46, v64
	v_add_f32_e32 v41, v41, v43
	v_fmac_f32_e32 v66, v48, v59
	s_waitcnt vmcnt(2)
	v_fma_f32 v45, v49, v60, -v55
	v_add_f32_e32 v42, v46, v65
	v_add_f32_e32 v41, v41, v44
	v_fmac_f32_e32 v67, v50, v60
	v_add_f32_e32 v42, v42, v66
	v_add_f32_e32 v41, v41, v45
	;; [unrolled: 1-line block ×3, first 2 shown]
	s_waitcnt vmcnt(1)
	v_sub_f32_e32 v41, v61, v41
	s_waitcnt vmcnt(0)
	v_sub_f32_e32 v42, v62, v42
	buffer_store_dword v41, off, s[0:3], 0 offset:104
	buffer_store_dword v42, off, s[0:3], 0 offset:108
	s_and_saveexec_b64 s[4:5], vcc
	s_cbranch_execz .LBB18_103
; %bb.102:
	buffer_load_dword v41, off, s[0:3], 0 offset:96
	buffer_load_dword v42, off, s[0:3], 0 offset:100
	s_waitcnt vmcnt(0)
	ds_write_b64 v39, v[41:42]
	buffer_store_dword v40, off, s[0:3], 0 offset:96
	buffer_store_dword v40, off, s[0:3], 0 offset:100
.LBB18_103:
	s_or_b64 exec, exec, s[4:5]
	s_waitcnt lgkmcnt(0)
	; wave barrier
	buffer_load_dword v53, off, s[0:3], 0 offset:108
	buffer_load_dword v54, off, s[0:3], 0 offset:116
	;; [unrolled: 1-line block ×14, first 2 shown]
	ds_read2_b64 v[41:44], v40 offset0:33 offset1:34
	ds_read2_b64 v[45:48], v40 offset0:35 offset1:36
	;; [unrolled: 1-line block ×3, first 2 shown]
	v_cmp_lt_u32_e32 vcc, 11, v0
	s_waitcnt vmcnt(13) lgkmcnt(2)
	v_mul_f32_e32 v40, v41, v53
	v_mul_f32_e32 v53, v42, v53
	s_waitcnt vmcnt(12)
	v_mul_f32_e32 v67, v43, v54
	v_mul_f32_e32 v54, v44, v54
	s_waitcnt vmcnt(11) lgkmcnt(1)
	v_mul_f32_e32 v68, v45, v55
	v_mul_f32_e32 v55, v46, v55
	s_waitcnt vmcnt(7)
	v_fma_f32 v41, v41, v59, -v53
	v_fmac_f32_e32 v40, v42, v59
	s_waitcnt vmcnt(6)
	v_fma_f32 v42, v43, v60, -v54
	v_add_f32_e32 v41, 0, v41
	v_mul_f32_e32 v69, v47, v56
	v_mul_f32_e32 v56, v48, v56
	v_fmac_f32_e32 v67, v44, v60
	s_waitcnt vmcnt(5)
	v_fma_f32 v43, v45, v61, -v55
	v_add_f32_e32 v40, 0, v40
	v_add_f32_e32 v41, v41, v42
	s_waitcnt lgkmcnt(0)
	v_mul_f32_e32 v70, v49, v57
	v_mul_f32_e32 v57, v50, v57
	v_fmac_f32_e32 v68, v46, v61
	s_waitcnt vmcnt(4)
	v_fma_f32 v44, v47, v62, -v56
	v_add_f32_e32 v40, v40, v67
	v_add_f32_e32 v41, v41, v43
	v_mul_f32_e32 v71, v51, v58
	v_mul_f32_e32 v58, v52, v58
	v_fmac_f32_e32 v69, v48, v62
	s_waitcnt vmcnt(3)
	v_fma_f32 v45, v49, v63, -v57
	v_add_f32_e32 v40, v40, v68
	v_add_f32_e32 v41, v41, v44
	v_fmac_f32_e32 v70, v50, v63
	s_waitcnt vmcnt(2)
	v_fma_f32 v46, v51, v64, -v58
	v_add_f32_e32 v40, v40, v69
	v_add_f32_e32 v41, v41, v45
	v_fmac_f32_e32 v71, v52, v64
	v_add_f32_e32 v40, v40, v70
	v_add_f32_e32 v41, v41, v46
	;; [unrolled: 1-line block ×3, first 2 shown]
	s_waitcnt vmcnt(1)
	v_sub_f32_e32 v41, v65, v41
	s_waitcnt vmcnt(0)
	v_sub_f32_e32 v40, v66, v40
	buffer_store_dword v41, off, s[0:3], 0 offset:96
	buffer_store_dword v40, off, s[0:3], 0 offset:100
	s_and_saveexec_b64 s[4:5], vcc
	s_cbranch_execz .LBB18_105
; %bb.104:
	buffer_load_dword v40, off, s[0:3], 0 offset:88
	buffer_load_dword v41, off, s[0:3], 0 offset:92
	v_mov_b32_e32 v42, 0
	buffer_store_dword v42, off, s[0:3], 0 offset:88
	buffer_store_dword v42, off, s[0:3], 0 offset:92
	s_waitcnt vmcnt(2)
	ds_write_b64 v39, v[40:41]
.LBB18_105:
	s_or_b64 exec, exec, s[4:5]
	s_waitcnt lgkmcnt(0)
	; wave barrier
	buffer_load_dword v55, off, s[0:3], 0 offset:100
	buffer_load_dword v56, off, s[0:3], 0 offset:108
	;; [unrolled: 1-line block ×16, first 2 shown]
	v_mov_b32_e32 v40, 0
	ds_read_b128 v[41:44], v40 offset:256
	ds_read_b128 v[45:48], v40 offset:272
	;; [unrolled: 1-line block ×3, first 2 shown]
	ds_read_b64 v[53:54], v40 offset:304
	v_cmp_lt_u32_e32 vcc, 10, v0
	s_waitcnt vmcnt(15) lgkmcnt(3)
	v_mul_f32_e32 v71, v41, v55
	v_mul_f32_e32 v55, v42, v55
	s_waitcnt vmcnt(14)
	v_mul_f32_e32 v72, v43, v56
	v_mul_f32_e32 v56, v44, v56
	s_waitcnt vmcnt(13) lgkmcnt(2)
	v_mul_f32_e32 v73, v45, v57
	s_waitcnt vmcnt(12)
	v_mul_f32_e32 v74, v47, v58
	v_mul_f32_e32 v57, v46, v57
	s_waitcnt vmcnt(8)
	v_fma_f32 v41, v41, v62, -v55
	v_fmac_f32_e32 v71, v42, v62
	s_waitcnt vmcnt(7)
	v_fma_f32 v42, v43, v63, -v56
	v_add_f32_e32 v41, 0, v41
	v_mul_f32_e32 v58, v48, v58
	v_fmac_f32_e32 v72, v44, v63
	s_waitcnt vmcnt(5)
	v_fmac_f32_e32 v74, v48, v65
	v_fma_f32 v43, v45, v64, -v57
	v_add_f32_e32 v48, 0, v71
	v_add_f32_e32 v41, v41, v42
	s_waitcnt lgkmcnt(1)
	v_mul_f32_e32 v75, v49, v59
	v_mul_f32_e32 v59, v50, v59
	v_fmac_f32_e32 v73, v46, v64
	v_fma_f32 v44, v47, v65, -v58
	v_add_f32_e32 v48, v48, v72
	v_add_f32_e32 v41, v41, v43
	v_mul_f32_e32 v76, v51, v60
	v_mul_f32_e32 v60, v52, v60
	s_waitcnt vmcnt(4)
	v_fma_f32 v45, v49, v66, -v59
	v_add_f32_e32 v42, v48, v73
	v_add_f32_e32 v41, v41, v44
	s_waitcnt lgkmcnt(0)
	v_mul_f32_e32 v77, v53, v61
	v_mul_f32_e32 v61, v54, v61
	v_fmac_f32_e32 v75, v50, v66
	s_waitcnt vmcnt(3)
	v_fma_f32 v46, v51, v67, -v60
	v_add_f32_e32 v42, v42, v74
	v_add_f32_e32 v41, v41, v45
	v_fmac_f32_e32 v76, v52, v67
	s_waitcnt vmcnt(2)
	v_fma_f32 v47, v53, v68, -v61
	v_add_f32_e32 v42, v42, v75
	v_add_f32_e32 v41, v41, v46
	v_fmac_f32_e32 v77, v54, v68
	v_add_f32_e32 v42, v42, v76
	v_add_f32_e32 v41, v41, v47
	;; [unrolled: 1-line block ×3, first 2 shown]
	s_waitcnt vmcnt(1)
	v_sub_f32_e32 v41, v69, v41
	s_waitcnt vmcnt(0)
	v_sub_f32_e32 v42, v70, v42
	buffer_store_dword v41, off, s[0:3], 0 offset:88
	buffer_store_dword v42, off, s[0:3], 0 offset:92
	s_and_saveexec_b64 s[4:5], vcc
	s_cbranch_execz .LBB18_107
; %bb.106:
	buffer_load_dword v41, off, s[0:3], 0 offset:80
	buffer_load_dword v42, off, s[0:3], 0 offset:84
	s_waitcnt vmcnt(0)
	ds_write_b64 v39, v[41:42]
	buffer_store_dword v40, off, s[0:3], 0 offset:80
	buffer_store_dword v40, off, s[0:3], 0 offset:84
.LBB18_107:
	s_or_b64 exec, exec, s[4:5]
	s_waitcnt lgkmcnt(0)
	; wave barrier
	buffer_load_dword v57, off, s[0:3], 0 offset:92
	buffer_load_dword v58, off, s[0:3], 0 offset:100
	;; [unrolled: 1-line block ×18, first 2 shown]
	ds_read2_b64 v[41:44], v40 offset0:31 offset1:32
	ds_read2_b64 v[45:48], v40 offset0:33 offset1:34
	;; [unrolled: 1-line block ×4, first 2 shown]
	v_cmp_lt_u32_e32 vcc, 9, v0
	s_waitcnt vmcnt(17) lgkmcnt(3)
	v_mul_f32_e32 v40, v41, v57
	v_mul_f32_e32 v57, v42, v57
	s_waitcnt vmcnt(16)
	v_mul_f32_e32 v75, v43, v58
	v_mul_f32_e32 v58, v44, v58
	s_waitcnt vmcnt(15) lgkmcnt(2)
	v_mul_f32_e32 v76, v45, v59
	v_mul_f32_e32 v59, v46, v59
	s_waitcnt vmcnt(14)
	v_mul_f32_e32 v77, v47, v60
	v_mul_f32_e32 v60, v48, v60
	s_waitcnt vmcnt(9)
	v_fma_f32 v41, v41, v65, -v57
	v_fmac_f32_e32 v40, v42, v65
	s_waitcnt vmcnt(8)
	v_fma_f32 v42, v43, v66, -v58
	v_add_f32_e32 v41, 0, v41
	v_fmac_f32_e32 v75, v44, v66
	s_waitcnt vmcnt(7)
	v_fma_f32 v43, v45, v67, -v59
	v_add_f32_e32 v40, 0, v40
	v_add_f32_e32 v41, v41, v42
	s_waitcnt lgkmcnt(1)
	v_mul_f32_e32 v78, v49, v61
	v_mul_f32_e32 v61, v50, v61
	v_fmac_f32_e32 v76, v46, v67
	s_waitcnt vmcnt(6)
	v_fma_f32 v44, v47, v68, -v60
	v_add_f32_e32 v40, v40, v75
	v_add_f32_e32 v41, v41, v43
	v_mul_f32_e32 v79, v51, v62
	v_mul_f32_e32 v62, v52, v62
	v_fmac_f32_e32 v77, v48, v68
	s_waitcnt vmcnt(5)
	v_fma_f32 v45, v49, v69, -v61
	v_add_f32_e32 v40, v40, v76
	v_add_f32_e32 v41, v41, v44
	s_waitcnt lgkmcnt(0)
	v_mul_f32_e32 v80, v53, v63
	v_mul_f32_e32 v63, v54, v63
	v_fmac_f32_e32 v78, v50, v69
	s_waitcnt vmcnt(4)
	v_fma_f32 v46, v51, v70, -v62
	v_add_f32_e32 v40, v40, v77
	v_add_f32_e32 v41, v41, v45
	v_mul_f32_e32 v81, v55, v64
	v_mul_f32_e32 v64, v56, v64
	v_fmac_f32_e32 v79, v52, v70
	s_waitcnt vmcnt(3)
	v_fma_f32 v47, v53, v71, -v63
	v_add_f32_e32 v40, v40, v78
	v_add_f32_e32 v41, v41, v46
	v_fmac_f32_e32 v80, v54, v71
	s_waitcnt vmcnt(2)
	v_fma_f32 v48, v55, v72, -v64
	v_add_f32_e32 v40, v40, v79
	v_add_f32_e32 v41, v41, v47
	v_fmac_f32_e32 v81, v56, v72
	v_add_f32_e32 v40, v40, v80
	v_add_f32_e32 v41, v41, v48
	;; [unrolled: 1-line block ×3, first 2 shown]
	s_waitcnt vmcnt(1)
	v_sub_f32_e32 v41, v73, v41
	s_waitcnt vmcnt(0)
	v_sub_f32_e32 v40, v74, v40
	buffer_store_dword v41, off, s[0:3], 0 offset:80
	buffer_store_dword v40, off, s[0:3], 0 offset:84
	s_and_saveexec_b64 s[4:5], vcc
	s_cbranch_execz .LBB18_109
; %bb.108:
	buffer_load_dword v40, off, s[0:3], 0 offset:72
	buffer_load_dword v41, off, s[0:3], 0 offset:76
	v_mov_b32_e32 v42, 0
	buffer_store_dword v42, off, s[0:3], 0 offset:72
	buffer_store_dword v42, off, s[0:3], 0 offset:76
	s_waitcnt vmcnt(2)
	ds_write_b64 v39, v[40:41]
.LBB18_109:
	s_or_b64 exec, exec, s[4:5]
	v_mov_b32_e32 v40, 0
	s_waitcnt lgkmcnt(0)
	; wave barrier
	ds_read_b128 v[41:44], v40 offset:240
	ds_read_b128 v[45:48], v40 offset:256
	;; [unrolled: 1-line block ×4, first 2 shown]
	buffer_load_dword v59, off, s[0:3], 0 offset:72
	buffer_load_dword v60, off, s[0:3], 0 offset:76
	;; [unrolled: 1-line block ×18, first 2 shown]
	v_cmp_lt_u32_e32 vcc, 8, v0
	s_waitcnt vmcnt(14) lgkmcnt(3)
	v_mul_f32_e32 v57, v41, v62
	v_fmac_f32_e32 v57, v42, v61
	s_waitcnt vmcnt(12)
	v_mul_f32_e32 v58, v43, v64
	v_add_f32_e32 v57, 0, v57
	v_fmac_f32_e32 v58, v44, v63
	v_add_f32_e32 v57, v57, v58
	s_waitcnt vmcnt(10) lgkmcnt(2)
	v_mul_f32_e32 v58, v45, v66
	v_fmac_f32_e32 v58, v46, v65
	v_add_f32_e32 v57, v57, v58
	s_waitcnt vmcnt(8)
	v_mul_f32_e32 v58, v47, v68
	v_fmac_f32_e32 v58, v48, v67
	v_add_f32_e32 v57, v57, v58
	s_waitcnt vmcnt(6) lgkmcnt(1)
	v_mul_f32_e32 v58, v49, v70
	v_fmac_f32_e32 v58, v50, v69
	v_add_f32_e32 v57, v57, v58
	s_waitcnt vmcnt(4)
	v_mul_f32_e32 v58, v51, v72
	;; [unrolled: 8-line block ×3, first 2 shown]
	v_fmac_f32_e32 v58, v56, v75
	v_add_f32_e32 v77, v57, v58
	ds_read_b64 v[57:58], v40 offset:304
	buffer_load_dword v78, off, s[0:3], 0 offset:144
	buffer_load_dword v79, off, s[0:3], 0 offset:148
	v_mul_f32_e32 v42, v42, v62
	v_fma_f32 v41, v41, v61, -v42
	v_mul_f32_e32 v42, v44, v64
	v_add_f32_e32 v41, 0, v41
	v_fma_f32 v42, v43, v63, -v42
	v_add_f32_e32 v41, v41, v42
	v_mul_f32_e32 v42, v46, v66
	v_fma_f32 v42, v45, v65, -v42
	v_add_f32_e32 v41, v41, v42
	v_mul_f32_e32 v42, v48, v68
	v_fma_f32 v42, v47, v67, -v42
	v_add_f32_e32 v41, v41, v42
	v_mul_f32_e32 v42, v50, v70
	v_fma_f32 v42, v49, v69, -v42
	v_add_f32_e32 v41, v41, v42
	v_mul_f32_e32 v42, v52, v72
	v_fma_f32 v42, v51, v71, -v42
	v_add_f32_e32 v41, v41, v42
	v_mul_f32_e32 v42, v54, v74
	v_fma_f32 v42, v53, v73, -v42
	v_add_f32_e32 v41, v41, v42
	v_mul_f32_e32 v42, v56, v76
	v_fma_f32 v42, v55, v75, -v42
	v_add_f32_e32 v41, v41, v42
	s_waitcnt vmcnt(0) lgkmcnt(0)
	v_mul_f32_e32 v42, v58, v79
	v_mul_f32_e32 v80, v57, v79
	v_fma_f32 v42, v57, v78, -v42
	v_fmac_f32_e32 v80, v58, v78
	v_add_f32_e32 v41, v41, v42
	v_add_f32_e32 v77, v77, v80
	v_sub_f32_e32 v41, v59, v41
	v_sub_f32_e32 v42, v60, v77
	buffer_store_dword v41, off, s[0:3], 0 offset:72
	buffer_store_dword v42, off, s[0:3], 0 offset:76
	s_and_saveexec_b64 s[4:5], vcc
	s_cbranch_execz .LBB18_111
; %bb.110:
	buffer_load_dword v41, off, s[0:3], 0 offset:64
	buffer_load_dword v42, off, s[0:3], 0 offset:68
	s_waitcnt vmcnt(0)
	ds_write_b64 v39, v[41:42]
	buffer_store_dword v40, off, s[0:3], 0 offset:64
	buffer_store_dword v40, off, s[0:3], 0 offset:68
.LBB18_111:
	s_or_b64 exec, exec, s[4:5]
	s_waitcnt lgkmcnt(0)
	; wave barrier
	buffer_load_dword v61, off, s[0:3], 0 offset:76
	buffer_load_dword v62, off, s[0:3], 0 offset:84
	;; [unrolled: 1-line block ×22, first 2 shown]
	ds_read2_b64 v[41:44], v40 offset0:29 offset1:30
	ds_read2_b64 v[45:48], v40 offset0:31 offset1:32
	;; [unrolled: 1-line block ×5, first 2 shown]
	v_cmp_lt_u32_e32 vcc, 7, v0
	s_waitcnt vmcnt(21) lgkmcnt(4)
	v_mul_f32_e32 v40, v41, v61
	v_mul_f32_e32 v61, v42, v61
	s_waitcnt vmcnt(20)
	v_mul_f32_e32 v83, v43, v62
	v_mul_f32_e32 v62, v44, v62
	s_waitcnt vmcnt(19) lgkmcnt(3)
	v_mul_f32_e32 v84, v45, v63
	v_mul_f32_e32 v63, v46, v63
	s_waitcnt vmcnt(18)
	v_mul_f32_e32 v85, v47, v64
	v_mul_f32_e32 v64, v48, v64
	s_waitcnt vmcnt(17) lgkmcnt(2)
	v_mul_f32_e32 v86, v49, v65
	v_mul_f32_e32 v65, v50, v65
	s_waitcnt vmcnt(11)
	v_fma_f32 v41, v41, v71, -v61
	v_fmac_f32_e32 v40, v42, v71
	s_waitcnt vmcnt(10)
	v_fma_f32 v42, v43, v72, -v62
	v_add_f32_e32 v41, 0, v41
	v_fmac_f32_e32 v83, v44, v72
	s_waitcnt vmcnt(9)
	v_fma_f32 v43, v45, v73, -v63
	v_add_f32_e32 v40, 0, v40
	v_add_f32_e32 v41, v41, v42
	v_fmac_f32_e32 v84, v46, v73
	s_waitcnt vmcnt(8)
	v_fma_f32 v44, v47, v74, -v64
	v_add_f32_e32 v40, v40, v83
	v_add_f32_e32 v41, v41, v43
	v_mul_f32_e32 v87, v51, v66
	v_mul_f32_e32 v66, v52, v66
	v_fmac_f32_e32 v85, v48, v74
	s_waitcnt vmcnt(7)
	v_fma_f32 v45, v49, v75, -v65
	v_add_f32_e32 v40, v40, v84
	v_add_f32_e32 v41, v41, v44
	s_waitcnt lgkmcnt(1)
	v_mul_f32_e32 v88, v53, v67
	v_mul_f32_e32 v67, v54, v67
	v_fmac_f32_e32 v86, v50, v75
	s_waitcnt vmcnt(6)
	v_fma_f32 v46, v51, v76, -v66
	v_add_f32_e32 v40, v40, v85
	v_add_f32_e32 v41, v41, v45
	v_mul_f32_e32 v89, v55, v68
	v_mul_f32_e32 v68, v56, v68
	v_fmac_f32_e32 v87, v52, v76
	s_waitcnt vmcnt(5)
	v_fma_f32 v47, v53, v77, -v67
	v_add_f32_e32 v40, v40, v86
	v_add_f32_e32 v41, v41, v46
	s_waitcnt lgkmcnt(0)
	v_mul_f32_e32 v90, v57, v69
	v_mul_f32_e32 v69, v58, v69
	v_fmac_f32_e32 v88, v54, v77
	s_waitcnt vmcnt(4)
	v_fma_f32 v48, v55, v78, -v68
	v_add_f32_e32 v40, v40, v87
	v_add_f32_e32 v41, v41, v47
	v_mul_f32_e32 v91, v59, v70
	v_mul_f32_e32 v70, v60, v70
	v_fmac_f32_e32 v89, v56, v78
	s_waitcnt vmcnt(3)
	v_fma_f32 v49, v57, v79, -v69
	v_add_f32_e32 v40, v40, v88
	v_add_f32_e32 v41, v41, v48
	v_fmac_f32_e32 v90, v58, v79
	s_waitcnt vmcnt(2)
	v_fma_f32 v50, v59, v80, -v70
	v_add_f32_e32 v40, v40, v89
	v_add_f32_e32 v41, v41, v49
	v_fmac_f32_e32 v91, v60, v80
	v_add_f32_e32 v40, v40, v90
	v_add_f32_e32 v41, v41, v50
	;; [unrolled: 1-line block ×3, first 2 shown]
	s_waitcnt vmcnt(1)
	v_sub_f32_e32 v41, v81, v41
	s_waitcnt vmcnt(0)
	v_sub_f32_e32 v40, v82, v40
	buffer_store_dword v41, off, s[0:3], 0 offset:64
	buffer_store_dword v40, off, s[0:3], 0 offset:68
	s_and_saveexec_b64 s[4:5], vcc
	s_cbranch_execz .LBB18_113
; %bb.112:
	buffer_load_dword v40, off, s[0:3], 0 offset:56
	buffer_load_dword v41, off, s[0:3], 0 offset:60
	v_mov_b32_e32 v42, 0
	buffer_store_dword v42, off, s[0:3], 0 offset:56
	buffer_store_dword v42, off, s[0:3], 0 offset:60
	s_waitcnt vmcnt(2)
	ds_write_b64 v39, v[40:41]
.LBB18_113:
	s_or_b64 exec, exec, s[4:5]
	s_waitcnt lgkmcnt(0)
	; wave barrier
	buffer_load_dword v63, off, s[0:3], 0 offset:68
	buffer_load_dword v64, off, s[0:3], 0 offset:76
	;; [unrolled: 1-line block ×24, first 2 shown]
	v_mov_b32_e32 v40, 0
	ds_read_b128 v[41:44], v40 offset:224
	ds_read_b128 v[45:48], v40 offset:240
	;; [unrolled: 1-line block ×5, first 2 shown]
	ds_read_b64 v[61:62], v40 offset:304
	v_cmp_lt_u32_e32 vcc, 6, v0
	s_waitcnt vmcnt(23) lgkmcnt(5)
	v_mul_f32_e32 v87, v41, v63
	v_mul_f32_e32 v63, v42, v63
	s_waitcnt vmcnt(22)
	v_mul_f32_e32 v88, v43, v64
	v_mul_f32_e32 v64, v44, v64
	s_waitcnt vmcnt(21) lgkmcnt(4)
	v_mul_f32_e32 v89, v45, v65
	v_mul_f32_e32 v65, v46, v65
	s_waitcnt vmcnt(20)
	v_mul_f32_e32 v90, v47, v66
	s_waitcnt vmcnt(19) lgkmcnt(3)
	v_mul_f32_e32 v91, v49, v67
	v_mul_f32_e32 v66, v48, v66
	v_mul_f32_e32 v67, v50, v67
	s_waitcnt vmcnt(18)
	v_mul_f32_e32 v92, v51, v68
	s_waitcnt vmcnt(12)
	v_fma_f32 v41, v41, v74, -v63
	v_fmac_f32_e32 v87, v42, v74
	s_waitcnt vmcnt(11)
	v_fma_f32 v42, v43, v75, -v64
	v_add_f32_e32 v41, 0, v41
	s_waitcnt vmcnt(10)
	v_fma_f32 v43, v45, v76, -v65
	v_add_f32_e32 v41, v41, v42
	v_fmac_f32_e32 v88, v44, v75
	s_waitcnt vmcnt(8)
	v_fmac_f32_e32 v91, v50, v78
	v_fma_f32 v44, v47, v77, -v66
	v_add_f32_e32 v50, 0, v87
	v_add_f32_e32 v41, v41, v43
	v_mul_f32_e32 v68, v52, v68
	v_fmac_f32_e32 v89, v46, v76
	v_fma_f32 v45, v49, v78, -v67
	v_add_f32_e32 v50, v50, v88
	v_add_f32_e32 v41, v41, v44
	s_waitcnt lgkmcnt(2)
	v_mul_f32_e32 v93, v53, v69
	v_mul_f32_e32 v69, v54, v69
	v_fmac_f32_e32 v90, v48, v77
	s_waitcnt vmcnt(7)
	v_fma_f32 v46, v51, v79, -v68
	v_add_f32_e32 v42, v50, v89
	v_add_f32_e32 v41, v41, v45
	v_mul_f32_e32 v94, v55, v70
	v_mul_f32_e32 v70, v56, v70
	s_waitcnt vmcnt(6)
	v_fma_f32 v47, v53, v80, -v69
	v_add_f32_e32 v42, v42, v90
	v_add_f32_e32 v41, v41, v46
	s_waitcnt lgkmcnt(1)
	v_mul_f32_e32 v95, v57, v71
	v_mul_f32_e32 v71, v58, v71
	v_fmac_f32_e32 v92, v52, v79
	s_waitcnt vmcnt(5)
	v_fma_f32 v48, v55, v81, -v70
	v_add_f32_e32 v42, v42, v91
	v_add_f32_e32 v41, v41, v47
	v_fmac_f32_e32 v93, v54, v80
	s_waitcnt vmcnt(4)
	v_fma_f32 v49, v57, v82, -v71
	v_add_f32_e32 v42, v42, v92
	v_add_f32_e32 v41, v41, v48
	v_mul_f32_e32 v43, v60, v72
	v_fmac_f32_e32 v94, v56, v81
	v_add_f32_e32 v42, v42, v93
	v_add_f32_e32 v41, v41, v49
	s_waitcnt vmcnt(3)
	v_fma_f32 v43, v59, v83, -v43
	v_mul_f32_e32 v96, v59, v72
	v_fmac_f32_e32 v95, v58, v82
	v_add_f32_e32 v42, v42, v94
	v_add_f32_e32 v41, v41, v43
	s_waitcnt lgkmcnt(0)
	v_mul_f32_e32 v43, v62, v73
	v_mul_f32_e32 v97, v61, v73
	v_fmac_f32_e32 v96, v60, v83
	v_add_f32_e32 v42, v42, v95
	s_waitcnt vmcnt(2)
	v_fma_f32 v43, v61, v84, -v43
	v_fmac_f32_e32 v97, v62, v84
	v_add_f32_e32 v42, v42, v96
	v_add_f32_e32 v41, v41, v43
	;; [unrolled: 1-line block ×3, first 2 shown]
	s_waitcnt vmcnt(1)
	v_sub_f32_e32 v41, v85, v41
	s_waitcnt vmcnt(0)
	v_sub_f32_e32 v42, v86, v42
	buffer_store_dword v41, off, s[0:3], 0 offset:56
	buffer_store_dword v42, off, s[0:3], 0 offset:60
	s_and_saveexec_b64 s[4:5], vcc
	s_cbranch_execz .LBB18_115
; %bb.114:
	buffer_load_dword v41, off, s[0:3], 0 offset:48
	buffer_load_dword v42, off, s[0:3], 0 offset:52
	s_waitcnt vmcnt(0)
	ds_write_b64 v39, v[41:42]
	buffer_store_dword v40, off, s[0:3], 0 offset:48
	buffer_store_dword v40, off, s[0:3], 0 offset:52
.LBB18_115:
	s_or_b64 exec, exec, s[4:5]
	s_waitcnt lgkmcnt(0)
	; wave barrier
	buffer_load_dword v65, off, s[0:3], 0 offset:60
	buffer_load_dword v66, off, s[0:3], 0 offset:68
	;; [unrolled: 1-line block ×26, first 2 shown]
	ds_read2_b64 v[41:44], v40 offset0:27 offset1:28
	ds_read2_b64 v[45:48], v40 offset0:29 offset1:30
	;; [unrolled: 1-line block ×6, first 2 shown]
	v_cmp_lt_u32_e32 vcc, 5, v0
	s_waitcnt vmcnt(25) lgkmcnt(5)
	v_mul_f32_e32 v40, v41, v65
	v_mul_f32_e32 v65, v42, v65
	s_waitcnt vmcnt(24)
	v_mul_f32_e32 v91, v43, v66
	v_mul_f32_e32 v66, v44, v66
	s_waitcnt vmcnt(23) lgkmcnt(4)
	v_mul_f32_e32 v92, v45, v67
	v_mul_f32_e32 v67, v46, v67
	s_waitcnt vmcnt(22)
	v_mul_f32_e32 v93, v47, v68
	v_mul_f32_e32 v68, v48, v68
	;; [unrolled: 6-line block ×3, first 2 shown]
	s_waitcnt vmcnt(13)
	v_fma_f32 v41, v41, v77, -v65
	v_fmac_f32_e32 v40, v42, v77
	s_waitcnt vmcnt(12)
	v_fma_f32 v42, v43, v78, -v66
	v_add_f32_e32 v41, 0, v41
	s_waitcnt vmcnt(11)
	v_fma_f32 v43, v45, v79, -v67
	v_add_f32_e32 v41, v41, v42
	v_fmac_f32_e32 v91, v44, v78
	s_waitcnt vmcnt(10)
	v_fma_f32 v44, v47, v80, -v68
	v_add_f32_e32 v41, v41, v43
	s_waitcnt vmcnt(9)
	v_fma_f32 v45, v49, v81, -v69
	v_add_f32_e32 v41, v41, v44
	s_waitcnt lgkmcnt(2)
	v_mul_f32_e32 v96, v53, v71
	v_mul_f32_e32 v71, v54, v71
	v_fmac_f32_e32 v92, v46, v79
	s_waitcnt vmcnt(8)
	v_fma_f32 v46, v51, v82, -v70
	v_add_f32_e32 v40, 0, v40
	v_add_f32_e32 v41, v41, v45
	v_mul_f32_e32 v97, v55, v72
	v_mul_f32_e32 v72, v56, v72
	s_waitcnt vmcnt(7)
	v_fma_f32 v47, v53, v83, -v71
	v_add_f32_e32 v40, v40, v91
	v_add_f32_e32 v41, v41, v46
	v_fmac_f32_e32 v93, v48, v80
	s_waitcnt vmcnt(6)
	v_fma_f32 v48, v55, v84, -v72
	v_add_f32_e32 v40, v40, v92
	v_add_f32_e32 v41, v41, v47
	s_waitcnt lgkmcnt(1)
	v_mul_f32_e32 v42, v58, v73
	v_fmac_f32_e32 v94, v50, v81
	v_add_f32_e32 v40, v40, v93
	v_add_f32_e32 v41, v41, v48
	s_waitcnt vmcnt(5)
	v_fma_f32 v42, v57, v85, -v42
	v_fmac_f32_e32 v95, v52, v82
	v_add_f32_e32 v40, v40, v94
	v_add_f32_e32 v41, v41, v42
	v_mul_f32_e32 v42, v60, v74
	v_fmac_f32_e32 v96, v54, v83
	v_add_f32_e32 v40, v40, v95
	s_waitcnt vmcnt(4)
	v_fma_f32 v42, v59, v86, -v42
	v_mul_f32_e32 v98, v57, v73
	v_fmac_f32_e32 v97, v56, v84
	v_add_f32_e32 v40, v40, v96
	v_add_f32_e32 v41, v41, v42
	s_waitcnt lgkmcnt(0)
	v_mul_f32_e32 v42, v62, v75
	v_mul_f32_e32 v99, v59, v74
	v_fmac_f32_e32 v98, v58, v85
	v_add_f32_e32 v40, v40, v97
	s_waitcnt vmcnt(3)
	v_fma_f32 v42, v61, v87, -v42
	v_mul_f32_e32 v100, v61, v75
	v_fmac_f32_e32 v99, v60, v86
	v_add_f32_e32 v40, v40, v98
	v_add_f32_e32 v41, v41, v42
	v_mul_f32_e32 v42, v64, v76
	v_mul_f32_e32 v101, v63, v76
	v_fmac_f32_e32 v100, v62, v87
	v_add_f32_e32 v40, v40, v99
	s_waitcnt vmcnt(2)
	v_fma_f32 v42, v63, v88, -v42
	v_fmac_f32_e32 v101, v64, v88
	v_add_f32_e32 v40, v40, v100
	v_add_f32_e32 v41, v41, v42
	;; [unrolled: 1-line block ×3, first 2 shown]
	s_waitcnt vmcnt(1)
	v_sub_f32_e32 v41, v89, v41
	s_waitcnt vmcnt(0)
	v_sub_f32_e32 v40, v90, v40
	buffer_store_dword v41, off, s[0:3], 0 offset:48
	buffer_store_dword v40, off, s[0:3], 0 offset:52
	s_and_saveexec_b64 s[4:5], vcc
	s_cbranch_execz .LBB18_117
; %bb.116:
	buffer_load_dword v40, off, s[0:3], 0 offset:40
	buffer_load_dword v41, off, s[0:3], 0 offset:44
	v_mov_b32_e32 v42, 0
	buffer_store_dword v42, off, s[0:3], 0 offset:40
	buffer_store_dword v42, off, s[0:3], 0 offset:44
	s_waitcnt vmcnt(2)
	ds_write_b64 v39, v[40:41]
.LBB18_117:
	s_or_b64 exec, exec, s[4:5]
	s_waitcnt lgkmcnt(0)
	; wave barrier
	buffer_load_dword v67, off, s[0:3], 0 offset:52
	buffer_load_dword v68, off, s[0:3], 0 offset:60
	;; [unrolled: 1-line block ×28, first 2 shown]
	v_mov_b32_e32 v40, 0
	ds_read_b128 v[41:44], v40 offset:208
	ds_read_b128 v[45:48], v40 offset:224
	ds_read_b128 v[49:52], v40 offset:240
	ds_read_b128 v[53:56], v40 offset:256
	ds_read_b128 v[57:60], v40 offset:272
	ds_read_b128 v[61:64], v40 offset:288
	ds_read_b64 v[65:66], v40 offset:304
	v_cmp_lt_u32_e32 vcc, 4, v0
	s_waitcnt vmcnt(27) lgkmcnt(6)
	v_mul_f32_e32 v95, v41, v67
	v_mul_f32_e32 v67, v42, v67
	s_waitcnt vmcnt(26)
	v_mul_f32_e32 v96, v43, v68
	v_mul_f32_e32 v68, v44, v68
	s_waitcnt vmcnt(25) lgkmcnt(5)
	v_mul_f32_e32 v97, v45, v69
	v_mul_f32_e32 v69, v46, v69
	s_waitcnt vmcnt(24)
	v_mul_f32_e32 v98, v47, v70
	v_mul_f32_e32 v70, v48, v70
	;; [unrolled: 6-line block ×3, first 2 shown]
	s_waitcnt vmcnt(21) lgkmcnt(3)
	v_mul_f32_e32 v101, v53, v73
	s_waitcnt vmcnt(14)
	v_fma_f32 v41, v41, v80, -v67
	v_fmac_f32_e32 v95, v42, v80
	s_waitcnt vmcnt(13)
	v_fma_f32 v42, v43, v81, -v68
	v_add_f32_e32 v41, 0, v41
	s_waitcnt vmcnt(12)
	v_fma_f32 v43, v45, v82, -v69
	v_add_f32_e32 v41, v41, v42
	v_fmac_f32_e32 v96, v44, v81
	s_waitcnt vmcnt(11)
	v_fma_f32 v44, v47, v83, -v70
	v_add_f32_e32 v41, v41, v43
	s_waitcnt vmcnt(10)
	v_fma_f32 v45, v49, v84, -v71
	v_add_f32_e32 v41, v41, v44
	v_fmac_f32_e32 v97, v46, v82
	s_waitcnt vmcnt(9)
	v_fma_f32 v46, v51, v85, -v72
	v_add_f32_e32 v41, v41, v45
	v_mul_f32_e32 v43, v54, v73
	v_add_f32_e32 v41, v41, v46
	s_waitcnt vmcnt(8)
	v_fma_f32 v43, v53, v86, -v43
	v_add_f32_e32 v41, v41, v43
	v_mul_f32_e32 v43, v56, v74
	v_add_f32_e32 v47, 0, v95
	s_waitcnt vmcnt(7)
	v_fma_f32 v43, v55, v87, -v43
	v_add_f32_e32 v47, v47, v96
	v_add_f32_e32 v41, v41, v43
	s_waitcnt lgkmcnt(2)
	v_mul_f32_e32 v43, v58, v75
	v_fmac_f32_e32 v98, v48, v83
	v_add_f32_e32 v42, v47, v97
	s_waitcnt vmcnt(6)
	v_fma_f32 v43, v57, v88, -v43
	v_fmac_f32_e32 v99, v50, v84
	v_add_f32_e32 v42, v42, v98
	v_add_f32_e32 v41, v41, v43
	v_mul_f32_e32 v43, v60, v76
	v_fmac_f32_e32 v100, v52, v85
	v_add_f32_e32 v42, v42, v99
	s_waitcnt vmcnt(5)
	v_fma_f32 v43, v59, v89, -v43
	v_mul_f32_e32 v102, v55, v74
	v_fmac_f32_e32 v101, v54, v86
	v_add_f32_e32 v42, v42, v100
	v_add_f32_e32 v41, v41, v43
	s_waitcnt lgkmcnt(1)
	v_mul_f32_e32 v43, v62, v77
	v_mul_f32_e32 v103, v57, v75
	v_fmac_f32_e32 v102, v56, v87
	v_add_f32_e32 v42, v42, v101
	s_waitcnt vmcnt(4)
	v_fma_f32 v43, v61, v90, -v43
	v_mul_f32_e32 v104, v59, v76
	v_fmac_f32_e32 v103, v58, v88
	v_add_f32_e32 v42, v42, v102
	v_add_f32_e32 v41, v41, v43
	v_mul_f32_e32 v43, v64, v78
	v_mul_f32_e32 v105, v61, v77
	v_fmac_f32_e32 v104, v60, v89
	v_add_f32_e32 v42, v42, v103
	s_waitcnt vmcnt(3)
	v_fma_f32 v43, v63, v91, -v43
	v_mul_f32_e32 v106, v63, v78
	v_fmac_f32_e32 v105, v62, v90
	v_add_f32_e32 v42, v42, v104
	v_add_f32_e32 v41, v41, v43
	s_waitcnt lgkmcnt(0)
	v_mul_f32_e32 v43, v66, v79
	v_mul_f32_e32 v107, v65, v79
	v_fmac_f32_e32 v106, v64, v91
	v_add_f32_e32 v42, v42, v105
	s_waitcnt vmcnt(2)
	v_fma_f32 v43, v65, v92, -v43
	v_fmac_f32_e32 v107, v66, v92
	v_add_f32_e32 v42, v42, v106
	v_add_f32_e32 v41, v41, v43
	;; [unrolled: 1-line block ×3, first 2 shown]
	s_waitcnt vmcnt(1)
	v_sub_f32_e32 v41, v93, v41
	s_waitcnt vmcnt(0)
	v_sub_f32_e32 v42, v94, v42
	buffer_store_dword v41, off, s[0:3], 0 offset:40
	buffer_store_dword v42, off, s[0:3], 0 offset:44
	s_and_saveexec_b64 s[4:5], vcc
	s_cbranch_execz .LBB18_119
; %bb.118:
	buffer_load_dword v41, off, s[0:3], 0 offset:32
	buffer_load_dword v42, off, s[0:3], 0 offset:36
	s_waitcnt vmcnt(0)
	ds_write_b64 v39, v[41:42]
	buffer_store_dword v40, off, s[0:3], 0 offset:32
	buffer_store_dword v40, off, s[0:3], 0 offset:36
.LBB18_119:
	s_or_b64 exec, exec, s[4:5]
	s_waitcnt lgkmcnt(0)
	; wave barrier
	buffer_load_dword v69, off, s[0:3], 0 offset:44
	buffer_load_dword v70, off, s[0:3], 0 offset:52
	;; [unrolled: 1-line block ×30, first 2 shown]
	ds_read2_b64 v[41:44], v40 offset0:25 offset1:26
	ds_read2_b64 v[45:48], v40 offset0:27 offset1:28
	;; [unrolled: 1-line block ×7, first 2 shown]
	v_cmp_lt_u32_e32 vcc, 3, v0
	s_waitcnt vmcnt(29) lgkmcnt(6)
	v_mul_f32_e32 v40, v41, v69
	v_mul_f32_e32 v69, v42, v69
	s_waitcnt vmcnt(28)
	v_mul_f32_e32 v99, v43, v70
	v_mul_f32_e32 v70, v44, v70
	s_waitcnt vmcnt(27) lgkmcnt(5)
	v_mul_f32_e32 v100, v45, v71
	v_mul_f32_e32 v71, v46, v71
	s_waitcnt vmcnt(26)
	v_mul_f32_e32 v101, v47, v72
	v_mul_f32_e32 v72, v48, v72
	s_waitcnt vmcnt(25) lgkmcnt(4)
	v_mul_f32_e32 v102, v49, v73
	v_mul_f32_e32 v73, v50, v73
	s_waitcnt vmcnt(24)
	v_mul_f32_e32 v103, v51, v74
	s_waitcnt vmcnt(23) lgkmcnt(3)
	v_mul_f32_e32 v104, v53, v75
	s_waitcnt vmcnt(22)
	v_mul_f32_e32 v105, v55, v76
	s_waitcnt vmcnt(21) lgkmcnt(2)
	v_mul_f32_e32 v106, v57, v77
	s_waitcnt vmcnt(15)
	v_fma_f32 v41, v41, v83, -v69
	v_fmac_f32_e32 v40, v42, v83
	s_waitcnt vmcnt(14)
	v_fma_f32 v42, v43, v84, -v70
	v_add_f32_e32 v41, 0, v41
	s_waitcnt vmcnt(13)
	v_fma_f32 v43, v45, v85, -v71
	v_add_f32_e32 v41, v41, v42
	v_fmac_f32_e32 v99, v44, v84
	s_waitcnt vmcnt(12)
	v_fma_f32 v44, v47, v86, -v72
	v_add_f32_e32 v41, v41, v43
	s_waitcnt vmcnt(11)
	v_fma_f32 v45, v49, v87, -v73
	v_add_f32_e32 v41, v41, v44
	v_mul_f32_e32 v42, v52, v74
	v_add_f32_e32 v41, v41, v45
	s_waitcnt vmcnt(10)
	v_fma_f32 v42, v51, v88, -v42
	v_add_f32_e32 v41, v41, v42
	v_mul_f32_e32 v42, v54, v75
	s_waitcnt vmcnt(9)
	v_fma_f32 v42, v53, v89, -v42
	v_add_f32_e32 v41, v41, v42
	v_mul_f32_e32 v42, v56, v76
	s_waitcnt vmcnt(8)
	v_fma_f32 v42, v55, v90, -v42
	v_add_f32_e32 v40, 0, v40
	v_add_f32_e32 v41, v41, v42
	v_mul_f32_e32 v42, v58, v77
	v_fmac_f32_e32 v100, v46, v85
	v_add_f32_e32 v40, v40, v99
	s_waitcnt vmcnt(7)
	v_fma_f32 v42, v57, v91, -v42
	v_fmac_f32_e32 v101, v48, v86
	v_add_f32_e32 v40, v40, v100
	v_add_f32_e32 v41, v41, v42
	v_mul_f32_e32 v42, v60, v78
	v_fmac_f32_e32 v102, v50, v87
	v_add_f32_e32 v40, v40, v101
	s_waitcnt vmcnt(6)
	v_fma_f32 v42, v59, v92, -v42
	v_fmac_f32_e32 v103, v52, v88
	v_add_f32_e32 v40, v40, v102
	v_add_f32_e32 v41, v41, v42
	s_waitcnt lgkmcnt(1)
	v_mul_f32_e32 v42, v62, v79
	v_fmac_f32_e32 v104, v54, v89
	v_add_f32_e32 v40, v40, v103
	s_waitcnt vmcnt(5)
	v_fma_f32 v42, v61, v93, -v42
	v_fmac_f32_e32 v105, v56, v90
	v_add_f32_e32 v40, v40, v104
	v_add_f32_e32 v41, v41, v42
	v_mul_f32_e32 v42, v64, v80
	v_mul_f32_e32 v107, v59, v78
	v_fmac_f32_e32 v106, v58, v91
	v_add_f32_e32 v40, v40, v105
	s_waitcnt vmcnt(4)
	v_fma_f32 v42, v63, v94, -v42
	v_mul_f32_e32 v108, v61, v79
	v_fmac_f32_e32 v107, v60, v92
	v_add_f32_e32 v40, v40, v106
	v_add_f32_e32 v41, v41, v42
	s_waitcnt lgkmcnt(0)
	v_mul_f32_e32 v42, v66, v81
	v_mul_f32_e32 v109, v63, v80
	v_fmac_f32_e32 v108, v62, v93
	v_add_f32_e32 v40, v40, v107
	s_waitcnt vmcnt(3)
	v_fma_f32 v42, v65, v95, -v42
	v_mul_f32_e32 v110, v65, v81
	v_fmac_f32_e32 v109, v64, v94
	v_add_f32_e32 v40, v40, v108
	v_add_f32_e32 v41, v41, v42
	v_mul_f32_e32 v42, v68, v82
	v_mul_f32_e32 v111, v67, v82
	v_fmac_f32_e32 v110, v66, v95
	v_add_f32_e32 v40, v40, v109
	s_waitcnt vmcnt(2)
	v_fma_f32 v42, v67, v96, -v42
	v_fmac_f32_e32 v111, v68, v96
	v_add_f32_e32 v40, v40, v110
	v_add_f32_e32 v41, v41, v42
	;; [unrolled: 1-line block ×3, first 2 shown]
	s_waitcnt vmcnt(1)
	v_sub_f32_e32 v41, v97, v41
	s_waitcnt vmcnt(0)
	v_sub_f32_e32 v40, v98, v40
	buffer_store_dword v41, off, s[0:3], 0 offset:32
	buffer_store_dword v40, off, s[0:3], 0 offset:36
	s_and_saveexec_b64 s[4:5], vcc
	s_cbranch_execz .LBB18_121
; %bb.120:
	buffer_load_dword v40, off, s[0:3], 0 offset:24
	buffer_load_dword v41, off, s[0:3], 0 offset:28
	v_mov_b32_e32 v42, 0
	buffer_store_dword v42, off, s[0:3], 0 offset:24
	buffer_store_dword v42, off, s[0:3], 0 offset:28
	s_waitcnt vmcnt(2)
	ds_write_b64 v39, v[40:41]
.LBB18_121:
	s_or_b64 exec, exec, s[4:5]
	s_waitcnt lgkmcnt(0)
	; wave barrier
	buffer_load_dword v71, off, s[0:3], 0 offset:36
	buffer_load_dword v72, off, s[0:3], 0 offset:44
	;; [unrolled: 1-line block ×32, first 2 shown]
	v_mov_b32_e32 v40, 0
	ds_read_b128 v[41:44], v40 offset:192
	ds_read_b128 v[45:48], v40 offset:208
	;; [unrolled: 1-line block ×7, first 2 shown]
	ds_read_b64 v[69:70], v40 offset:304
	v_cmp_lt_u32_e32 vcc, 2, v0
	s_waitcnt vmcnt(31) lgkmcnt(7)
	v_mul_f32_e32 v103, v41, v71
	v_mul_f32_e32 v71, v42, v71
	s_waitcnt vmcnt(30)
	v_mul_f32_e32 v104, v43, v72
	v_mul_f32_e32 v72, v44, v72
	s_waitcnt vmcnt(29) lgkmcnt(6)
	v_mul_f32_e32 v105, v45, v73
	v_mul_f32_e32 v73, v46, v73
	s_waitcnt vmcnt(28)
	v_mul_f32_e32 v106, v47, v74
	s_waitcnt vmcnt(27) lgkmcnt(5)
	v_mul_f32_e32 v107, v49, v75
	s_waitcnt vmcnt(26)
	v_mul_f32_e32 v108, v51, v76
	s_waitcnt vmcnt(25) lgkmcnt(4)
	v_mul_f32_e32 v109, v53, v77
	s_waitcnt vmcnt(24)
	v_mul_f32_e32 v110, v55, v78
	s_waitcnt vmcnt(23) lgkmcnt(3)
	v_mul_f32_e32 v111, v57, v79
	s_waitcnt vmcnt(22)
	v_mul_f32_e32 v112, v59, v80
	s_waitcnt vmcnt(21) lgkmcnt(2)
	v_mul_f32_e32 v113, v61, v81
	s_waitcnt vmcnt(20)
	v_mul_f32_e32 v114, v63, v82
	s_waitcnt vmcnt(16)
	v_fma_f32 v41, v41, v86, -v71
	v_fmac_f32_e32 v103, v42, v86
	s_waitcnt vmcnt(15)
	v_fma_f32 v42, v43, v87, -v72
	v_add_f32_e32 v41, 0, v41
	s_waitcnt vmcnt(14)
	v_fma_f32 v43, v45, v88, -v73
	v_add_f32_e32 v41, v41, v42
	v_add_f32_e32 v41, v41, v43
	v_mul_f32_e32 v43, v48, v74
	s_waitcnt vmcnt(13)
	v_fma_f32 v43, v47, v89, -v43
	v_add_f32_e32 v41, v41, v43
	v_mul_f32_e32 v43, v50, v75
	s_waitcnt vmcnt(12)
	v_fma_f32 v43, v49, v90, -v43
	;; [unrolled: 4-line block ×5, first 2 shown]
	v_add_f32_e32 v41, v41, v43
	v_mul_f32_e32 v43, v58, v79
	v_fmac_f32_e32 v104, v44, v87
	v_add_f32_e32 v44, 0, v103
	s_waitcnt vmcnt(8)
	v_fma_f32 v43, v57, v94, -v43
	v_fmac_f32_e32 v105, v46, v88
	v_add_f32_e32 v44, v44, v104
	v_add_f32_e32 v41, v41, v43
	v_mul_f32_e32 v43, v60, v80
	v_fmac_f32_e32 v106, v48, v89
	v_add_f32_e32 v42, v44, v105
	s_waitcnt vmcnt(7)
	v_fma_f32 v43, v59, v95, -v43
	v_fmac_f32_e32 v107, v50, v90
	v_add_f32_e32 v42, v42, v106
	;; [unrolled: 8-line block ×4, first 2 shown]
	v_add_f32_e32 v41, v41, v43
	s_waitcnt lgkmcnt(1)
	v_mul_f32_e32 v43, v66, v83
	v_fmac_f32_e32 v112, v60, v95
	v_add_f32_e32 v42, v42, v111
	s_waitcnt vmcnt(4)
	v_fma_f32 v43, v65, v98, -v43
	v_fmac_f32_e32 v113, v62, v96
	v_add_f32_e32 v42, v42, v112
	v_add_f32_e32 v41, v41, v43
	v_mul_f32_e32 v43, v68, v84
	v_mul_f32_e32 v115, v65, v83
	v_fmac_f32_e32 v114, v64, v97
	v_add_f32_e32 v42, v42, v113
	s_waitcnt vmcnt(3)
	v_fma_f32 v43, v67, v99, -v43
	v_mul_f32_e32 v116, v67, v84
	v_fmac_f32_e32 v115, v66, v98
	v_add_f32_e32 v42, v42, v114
	v_add_f32_e32 v41, v41, v43
	s_waitcnt lgkmcnt(0)
	v_mul_f32_e32 v43, v70, v85
	v_mul_f32_e32 v117, v69, v85
	v_fmac_f32_e32 v116, v68, v99
	v_add_f32_e32 v42, v42, v115
	s_waitcnt vmcnt(2)
	v_fma_f32 v43, v69, v100, -v43
	v_fmac_f32_e32 v117, v70, v100
	v_add_f32_e32 v42, v42, v116
	v_add_f32_e32 v41, v41, v43
	;; [unrolled: 1-line block ×3, first 2 shown]
	s_waitcnt vmcnt(1)
	v_sub_f32_e32 v41, v101, v41
	s_waitcnt vmcnt(0)
	v_sub_f32_e32 v42, v102, v42
	buffer_store_dword v41, off, s[0:3], 0 offset:24
	buffer_store_dword v42, off, s[0:3], 0 offset:28
	s_and_saveexec_b64 s[4:5], vcc
	s_cbranch_execz .LBB18_123
; %bb.122:
	buffer_load_dword v41, off, s[0:3], 0 offset:16
	buffer_load_dword v42, off, s[0:3], 0 offset:20
	s_waitcnt vmcnt(0)
	ds_write_b64 v39, v[41:42]
	buffer_store_dword v40, off, s[0:3], 0 offset:16
	buffer_store_dword v40, off, s[0:3], 0 offset:20
.LBB18_123:
	s_or_b64 exec, exec, s[4:5]
	s_waitcnt lgkmcnt(0)
	; wave barrier
	buffer_load_dword v73, off, s[0:3], 0 offset:28
	buffer_load_dword v74, off, s[0:3], 0 offset:36
	;; [unrolled: 1-line block ×34, first 2 shown]
	ds_read2_b64 v[41:44], v40 offset0:23 offset1:24
	ds_read2_b64 v[45:48], v40 offset0:25 offset1:26
	;; [unrolled: 1-line block ×8, first 2 shown]
	v_cmp_lt_u32_e32 vcc, 1, v0
	s_waitcnt vmcnt(33) lgkmcnt(7)
	v_mul_f32_e32 v40, v41, v73
	v_mul_f32_e32 v73, v42, v73
	s_waitcnt vmcnt(32)
	v_mul_f32_e32 v107, v43, v74
	v_mul_f32_e32 v74, v44, v74
	s_waitcnt vmcnt(31) lgkmcnt(6)
	v_mul_f32_e32 v108, v45, v75
	s_waitcnt vmcnt(30)
	v_mul_f32_e32 v109, v47, v76
	s_waitcnt vmcnt(29) lgkmcnt(5)
	v_mul_f32_e32 v110, v49, v77
	s_waitcnt vmcnt(28)
	;; [unrolled: 4-line block ×6, first 2 shown]
	v_mul_f32_e32 v119, v67, v86
	s_waitcnt vmcnt(17)
	v_fma_f32 v41, v41, v89, -v73
	v_fmac_f32_e32 v40, v42, v89
	s_waitcnt vmcnt(16)
	v_fma_f32 v42, v43, v90, -v74
	v_add_f32_e32 v41, 0, v41
	v_add_f32_e32 v41, v41, v42
	v_mul_f32_e32 v42, v46, v75
	s_waitcnt vmcnt(15)
	v_fma_f32 v42, v45, v91, -v42
	v_add_f32_e32 v41, v41, v42
	v_mul_f32_e32 v42, v48, v76
	s_waitcnt vmcnt(14)
	v_fma_f32 v42, v47, v92, -v42
	v_add_f32_e32 v41, v41, v42
	v_mul_f32_e32 v42, v50, v77
	s_waitcnt vmcnt(13)
	v_fma_f32 v42, v49, v93, -v42
	v_add_f32_e32 v41, v41, v42
	v_mul_f32_e32 v42, v52, v78
	s_waitcnt vmcnt(12)
	v_fma_f32 v42, v51, v94, -v42
	v_add_f32_e32 v41, v41, v42
	v_mul_f32_e32 v42, v54, v79
	s_waitcnt vmcnt(11)
	v_fma_f32 v42, v53, v95, -v42
	v_add_f32_e32 v41, v41, v42
	v_mul_f32_e32 v42, v56, v80
	s_waitcnt vmcnt(10)
	v_fma_f32 v42, v55, v96, -v42
	v_add_f32_e32 v41, v41, v42
	v_mul_f32_e32 v42, v58, v81
	s_waitcnt vmcnt(9)
	v_fma_f32 v42, v57, v97, -v42
	v_fmac_f32_e32 v107, v44, v90
	v_add_f32_e32 v40, 0, v40
	v_add_f32_e32 v41, v41, v42
	v_mul_f32_e32 v42, v60, v82
	v_fmac_f32_e32 v108, v46, v91
	v_add_f32_e32 v40, v40, v107
	s_waitcnt vmcnt(8)
	v_fma_f32 v42, v59, v98, -v42
	v_fmac_f32_e32 v109, v48, v92
	v_add_f32_e32 v40, v40, v108
	v_add_f32_e32 v41, v41, v42
	v_mul_f32_e32 v42, v62, v83
	v_fmac_f32_e32 v110, v50, v93
	v_add_f32_e32 v40, v40, v109
	s_waitcnt vmcnt(7)
	v_fma_f32 v42, v61, v99, -v42
	;; [unrolled: 8-line block ×5, first 2 shown]
	v_fmac_f32_e32 v117, v64, v100
	v_add_f32_e32 v40, v40, v116
	v_add_f32_e32 v41, v41, v42
	s_waitcnt lgkmcnt(0)
	v_mul_f32_e32 v42, v70, v87
	v_fmac_f32_e32 v118, v66, v101
	v_add_f32_e32 v40, v40, v117
	s_waitcnt vmcnt(3)
	v_fma_f32 v42, v69, v103, -v42
	v_mul_f32_e32 v120, v69, v87
	v_fmac_f32_e32 v119, v68, v102
	v_add_f32_e32 v40, v40, v118
	v_add_f32_e32 v41, v41, v42
	v_mul_f32_e32 v42, v72, v88
	v_mul_f32_e32 v121, v71, v88
	v_fmac_f32_e32 v120, v70, v103
	v_add_f32_e32 v40, v40, v119
	s_waitcnt vmcnt(2)
	v_fma_f32 v42, v71, v104, -v42
	v_fmac_f32_e32 v121, v72, v104
	v_add_f32_e32 v40, v40, v120
	v_add_f32_e32 v41, v41, v42
	;; [unrolled: 1-line block ×3, first 2 shown]
	s_waitcnt vmcnt(1)
	v_sub_f32_e32 v41, v105, v41
	s_waitcnt vmcnt(0)
	v_sub_f32_e32 v40, v106, v40
	buffer_store_dword v41, off, s[0:3], 0 offset:16
	buffer_store_dword v40, off, s[0:3], 0 offset:20
	s_and_saveexec_b64 s[4:5], vcc
	s_cbranch_execz .LBB18_125
; %bb.124:
	buffer_load_dword v40, off, s[0:3], 0 offset:8
	buffer_load_dword v41, off, s[0:3], 0 offset:12
	v_mov_b32_e32 v42, 0
	buffer_store_dword v42, off, s[0:3], 0 offset:8
	buffer_store_dword v42, off, s[0:3], 0 offset:12
	s_waitcnt vmcnt(2)
	ds_write_b64 v39, v[40:41]
.LBB18_125:
	s_or_b64 exec, exec, s[4:5]
	v_mov_b32_e32 v40, 0
	s_waitcnt lgkmcnt(0)
	; wave barrier
	ds_read_b128 v[41:44], v40 offset:176
	ds_read_b128 v[45:48], v40 offset:192
	;; [unrolled: 1-line block ×4, first 2 shown]
	buffer_load_dword v75, off, s[0:3], 0 offset:8
	buffer_load_dword v76, off, s[0:3], 0 offset:12
	;; [unrolled: 1-line block ×18, first 2 shown]
	v_cmp_ne_u32_e32 vcc, 0, v0
	s_waitcnt vmcnt(14) lgkmcnt(3)
	v_mul_f32_e32 v57, v41, v78
	v_fmac_f32_e32 v57, v42, v77
	s_waitcnt vmcnt(12)
	v_mul_f32_e32 v58, v43, v80
	v_add_f32_e32 v57, 0, v57
	v_fmac_f32_e32 v58, v44, v79
	v_add_f32_e32 v57, v57, v58
	s_waitcnt vmcnt(10) lgkmcnt(2)
	v_mul_f32_e32 v58, v45, v82
	v_fmac_f32_e32 v58, v46, v81
	v_add_f32_e32 v57, v57, v58
	s_waitcnt vmcnt(8)
	v_mul_f32_e32 v58, v47, v84
	v_fmac_f32_e32 v58, v48, v83
	v_add_f32_e32 v57, v57, v58
	s_waitcnt vmcnt(6) lgkmcnt(1)
	v_mul_f32_e32 v58, v49, v86
	v_fmac_f32_e32 v58, v50, v85
	v_add_f32_e32 v57, v57, v58
	s_waitcnt vmcnt(4)
	v_mul_f32_e32 v58, v51, v88
	;; [unrolled: 8-line block ×3, first 2 shown]
	v_fmac_f32_e32 v58, v56, v91
	v_add_f32_e32 v61, v57, v58
	ds_read_b128 v[57:60], v40 offset:240
	buffer_load_dword v93, off, s[0:3], 0 offset:80
	buffer_load_dword v94, off, s[0:3], 0 offset:84
	;; [unrolled: 1-line block ×4, first 2 shown]
	v_mul_f32_e32 v42, v42, v78
	v_fma_f32 v41, v41, v77, -v42
	v_mul_f32_e32 v42, v44, v80
	v_add_f32_e32 v41, 0, v41
	v_fma_f32 v42, v43, v79, -v42
	v_add_f32_e32 v41, v41, v42
	v_mul_f32_e32 v42, v46, v82
	v_fma_f32 v42, v45, v81, -v42
	v_add_f32_e32 v41, v41, v42
	v_mul_f32_e32 v42, v48, v84
	;; [unrolled: 3-line block ×6, first 2 shown]
	v_fma_f32 v42, v55, v91, -v42
	v_add_f32_e32 v41, v41, v42
	s_waitcnt vmcnt(2) lgkmcnt(0)
	v_mul_f32_e32 v62, v57, v94
	v_fmac_f32_e32 v62, v58, v93
	v_add_f32_e32 v61, v61, v62
	s_waitcnt vmcnt(0)
	v_mul_f32_e32 v62, v59, v96
	v_fmac_f32_e32 v62, v60, v95
	v_add_f32_e32 v65, v61, v62
	ds_read_b128 v[61:64], v40 offset:256
	buffer_load_dword v97, off, s[0:3], 0 offset:96
	buffer_load_dword v98, off, s[0:3], 0 offset:100
	buffer_load_dword v99, off, s[0:3], 0 offset:104
	buffer_load_dword v100, off, s[0:3], 0 offset:108
	v_mul_f32_e32 v42, v58, v94
	v_fma_f32 v42, v57, v93, -v42
	v_add_f32_e32 v41, v41, v42
	v_mul_f32_e32 v42, v60, v96
	v_fma_f32 v42, v59, v95, -v42
	v_add_f32_e32 v41, v41, v42
	s_waitcnt vmcnt(2) lgkmcnt(0)
	v_mul_f32_e32 v66, v61, v98
	v_fmac_f32_e32 v66, v62, v97
	v_add_f32_e32 v65, v65, v66
	s_waitcnt vmcnt(0)
	v_mul_f32_e32 v66, v63, v100
	v_fmac_f32_e32 v66, v64, v99
	v_add_f32_e32 v69, v65, v66
	ds_read_b128 v[65:68], v40 offset:272
	buffer_load_dword v101, off, s[0:3], 0 offset:112
	buffer_load_dword v102, off, s[0:3], 0 offset:116
	buffer_load_dword v103, off, s[0:3], 0 offset:120
	buffer_load_dword v104, off, s[0:3], 0 offset:124
	v_mul_f32_e32 v42, v62, v98
	v_fma_f32 v42, v61, v97, -v42
	v_add_f32_e32 v41, v41, v42
	v_mul_f32_e32 v42, v64, v100
	v_fma_f32 v42, v63, v99, -v42
	v_add_f32_e32 v41, v41, v42
	s_waitcnt vmcnt(2) lgkmcnt(0)
	v_mul_f32_e32 v70, v65, v102
	v_fmac_f32_e32 v70, v66, v101
	v_add_f32_e32 v69, v69, v70
	s_waitcnt vmcnt(0)
	v_mul_f32_e32 v70, v67, v104
	v_fmac_f32_e32 v70, v68, v103
	v_add_f32_e32 v73, v69, v70
	ds_read_b128 v[69:72], v40 offset:288
	buffer_load_dword v105, off, s[0:3], 0 offset:128
	buffer_load_dword v106, off, s[0:3], 0 offset:132
	buffer_load_dword v107, off, s[0:3], 0 offset:136
	buffer_load_dword v108, off, s[0:3], 0 offset:140
	v_mul_f32_e32 v42, v66, v102
	v_fma_f32 v42, v65, v101, -v42
	v_add_f32_e32 v41, v41, v42
	v_mul_f32_e32 v42, v68, v104
	v_fma_f32 v42, v67, v103, -v42
	v_add_f32_e32 v41, v41, v42
	s_waitcnt vmcnt(2) lgkmcnt(0)
	v_mul_f32_e32 v74, v69, v106
	v_fmac_f32_e32 v74, v70, v105
	v_add_f32_e32 v73, v73, v74
	s_waitcnt vmcnt(0)
	v_mul_f32_e32 v74, v71, v108
	v_fmac_f32_e32 v74, v72, v107
	v_add_f32_e32 v109, v73, v74
	ds_read_b64 v[73:74], v40 offset:304
	buffer_load_dword v110, off, s[0:3], 0 offset:144
	buffer_load_dword v111, off, s[0:3], 0 offset:148
	v_mul_f32_e32 v42, v70, v106
	v_fma_f32 v42, v69, v105, -v42
	v_add_f32_e32 v41, v41, v42
	v_mul_f32_e32 v42, v72, v108
	v_fma_f32 v42, v71, v107, -v42
	v_add_f32_e32 v41, v41, v42
	s_waitcnt vmcnt(0) lgkmcnt(0)
	v_mul_f32_e32 v42, v74, v111
	v_mul_f32_e32 v112, v73, v111
	v_fma_f32 v42, v73, v110, -v42
	v_fmac_f32_e32 v112, v74, v110
	v_add_f32_e32 v41, v41, v42
	v_add_f32_e32 v109, v109, v112
	v_sub_f32_e32 v41, v75, v41
	v_sub_f32_e32 v42, v76, v109
	buffer_store_dword v41, off, s[0:3], 0 offset:8
	buffer_store_dword v42, off, s[0:3], 0 offset:12
	s_and_saveexec_b64 s[4:5], vcc
	s_cbranch_execz .LBB18_127
; %bb.126:
	buffer_load_dword v41, off, s[0:3], 0
	buffer_load_dword v42, off, s[0:3], 0 offset:4
	s_waitcnt vmcnt(0)
	ds_write_b64 v39, v[41:42]
	buffer_store_dword v40, off, s[0:3], 0
	buffer_store_dword v40, off, s[0:3], 0 offset:4
.LBB18_127:
	s_or_b64 exec, exec, s[4:5]
	s_waitcnt lgkmcnt(0)
	; wave barrier
	ds_read2_b64 v[41:44], v40 offset0:21 offset1:22
	buffer_load_dword v0, off, s[0:3], 0
	buffer_load_dword v39, off, s[0:3], 0 offset:4
	buffer_load_dword v77, off, s[0:3], 0 offset:8
	buffer_load_dword v78, off, s[0:3], 0 offset:12
	buffer_load_dword v79, off, s[0:3], 0 offset:16
	buffer_load_dword v80, off, s[0:3], 0 offset:20
	buffer_load_dword v81, off, s[0:3], 0 offset:24
	buffer_load_dword v82, off, s[0:3], 0 offset:28
	buffer_load_dword v83, off, s[0:3], 0 offset:32
	buffer_load_dword v84, off, s[0:3], 0 offset:36
	buffer_load_dword v85, off, s[0:3], 0 offset:40
	buffer_load_dword v86, off, s[0:3], 0 offset:44
	buffer_load_dword v87, off, s[0:3], 0 offset:48
	buffer_load_dword v88, off, s[0:3], 0 offset:52
	buffer_load_dword v89, off, s[0:3], 0 offset:56
	buffer_load_dword v90, off, s[0:3], 0 offset:60
	s_and_b64 vcc, exec, s[22:23]
	s_waitcnt vmcnt(12) lgkmcnt(0)
	v_mul_f32_e32 v45, v41, v78
	v_fmac_f32_e32 v45, v42, v77
	s_waitcnt vmcnt(10)
	v_mul_f32_e32 v46, v43, v80
	v_add_f32_e32 v45, 0, v45
	v_fmac_f32_e32 v46, v44, v79
	v_add_f32_e32 v49, v45, v46
	ds_read2_b64 v[45:48], v40 offset0:23 offset1:24
	v_mul_f32_e32 v42, v42, v78
	v_fma_f32 v41, v41, v77, -v42
	v_mul_f32_e32 v42, v44, v80
	v_add_f32_e32 v41, 0, v41
	s_waitcnt vmcnt(8) lgkmcnt(0)
	v_mul_f32_e32 v50, v45, v82
	v_fmac_f32_e32 v50, v46, v81
	v_add_f32_e32 v49, v49, v50
	s_waitcnt vmcnt(6)
	v_mul_f32_e32 v50, v47, v84
	v_fmac_f32_e32 v50, v48, v83
	v_add_f32_e32 v53, v49, v50
	ds_read2_b64 v[49:52], v40 offset0:25 offset1:26
	v_fma_f32 v42, v43, v79, -v42
	v_add_f32_e32 v41, v41, v42
	v_mul_f32_e32 v42, v46, v82
	v_fma_f32 v42, v45, v81, -v42
	s_waitcnt vmcnt(4) lgkmcnt(0)
	v_mul_f32_e32 v54, v49, v86
	v_fmac_f32_e32 v54, v50, v85
	v_add_f32_e32 v53, v53, v54
	s_waitcnt vmcnt(2)
	v_mul_f32_e32 v54, v51, v88
	v_fmac_f32_e32 v54, v52, v87
	v_add_f32_e32 v57, v53, v54
	ds_read2_b64 v[53:56], v40 offset0:27 offset1:28
	buffer_load_dword v91, off, s[0:3], 0 offset:64
	buffer_load_dword v92, off, s[0:3], 0 offset:68
	v_add_f32_e32 v41, v41, v42
	v_mul_f32_e32 v42, v48, v84
	v_fma_f32 v42, v47, v83, -v42
	s_waitcnt vmcnt(2) lgkmcnt(0)
	v_mul_f32_e32 v58, v53, v90
	v_fmac_f32_e32 v58, v54, v89
	v_add_f32_e32 v57, v57, v58
	v_add_f32_e32 v41, v41, v42
	v_mul_f32_e32 v42, v50, v86
	v_fma_f32 v42, v49, v85, -v42
	v_add_f32_e32 v41, v41, v42
	v_mul_f32_e32 v42, v52, v88
	v_fma_f32 v42, v51, v87, -v42
	;; [unrolled: 3-line block ×3, first 2 shown]
	v_add_f32_e32 v41, v41, v42
	s_waitcnt vmcnt(0)
	v_mul_f32_e32 v58, v55, v92
	v_fmac_f32_e32 v58, v56, v91
	v_add_f32_e32 v61, v57, v58
	ds_read2_b64 v[57:60], v40 offset0:29 offset1:30
	buffer_load_dword v93, off, s[0:3], 0 offset:72
	buffer_load_dword v94, off, s[0:3], 0 offset:76
	;; [unrolled: 1-line block ×4, first 2 shown]
	v_mul_f32_e32 v42, v56, v92
	v_fma_f32 v42, v55, v91, -v42
	v_add_f32_e32 v41, v41, v42
	s_waitcnt vmcnt(2) lgkmcnt(0)
	v_mul_f32_e32 v62, v57, v94
	v_fmac_f32_e32 v62, v58, v93
	v_add_f32_e32 v61, v61, v62
	s_waitcnt vmcnt(0)
	v_mul_f32_e32 v62, v59, v96
	v_fmac_f32_e32 v62, v60, v95
	v_add_f32_e32 v65, v61, v62
	ds_read2_b64 v[61:64], v40 offset0:31 offset1:32
	buffer_load_dword v97, off, s[0:3], 0 offset:88
	buffer_load_dword v98, off, s[0:3], 0 offset:92
	buffer_load_dword v99, off, s[0:3], 0 offset:96
	buffer_load_dword v100, off, s[0:3], 0 offset:100
	v_mul_f32_e32 v42, v58, v94
	v_fma_f32 v42, v57, v93, -v42
	v_add_f32_e32 v41, v41, v42
	v_mul_f32_e32 v42, v60, v96
	v_fma_f32 v42, v59, v95, -v42
	v_add_f32_e32 v41, v41, v42
	s_waitcnt vmcnt(2) lgkmcnt(0)
	v_mul_f32_e32 v66, v61, v98
	v_fmac_f32_e32 v66, v62, v97
	v_add_f32_e32 v65, v65, v66
	s_waitcnt vmcnt(0)
	v_mul_f32_e32 v66, v63, v100
	v_fmac_f32_e32 v66, v64, v99
	v_add_f32_e32 v69, v65, v66
	ds_read2_b64 v[65:68], v40 offset0:33 offset1:34
	buffer_load_dword v101, off, s[0:3], 0 offset:104
	buffer_load_dword v102, off, s[0:3], 0 offset:108
	buffer_load_dword v103, off, s[0:3], 0 offset:112
	buffer_load_dword v104, off, s[0:3], 0 offset:116
	v_mul_f32_e32 v42, v62, v98
	v_fma_f32 v42, v61, v97, -v42
	v_add_f32_e32 v41, v41, v42
	;; [unrolled: 19-line block ×3, first 2 shown]
	v_mul_f32_e32 v42, v68, v104
	v_fma_f32 v42, v67, v103, -v42
	v_add_f32_e32 v41, v41, v42
	s_waitcnt vmcnt(2) lgkmcnt(0)
	v_mul_f32_e32 v74, v69, v106
	v_fmac_f32_e32 v74, v70, v105
	v_add_f32_e32 v73, v73, v74
	s_waitcnt vmcnt(0)
	v_mul_f32_e32 v74, v71, v108
	v_fmac_f32_e32 v74, v72, v107
	v_add_f32_e32 v109, v73, v74
	ds_read2_b64 v[73:76], v40 offset0:37 offset1:38
	buffer_load_dword v40, off, s[0:3], 0 offset:136
	buffer_load_dword v110, off, s[0:3], 0 offset:140
	v_mul_f32_e32 v42, v70, v106
	v_fma_f32 v42, v69, v105, -v42
	v_add_f32_e32 v41, v41, v42
	v_mul_f32_e32 v42, v72, v108
	v_fma_f32 v42, v71, v107, -v42
	v_add_f32_e32 v41, v41, v42
	s_waitcnt vmcnt(0) lgkmcnt(0)
	v_mul_f32_e32 v111, v73, v110
	v_fmac_f32_e32 v111, v74, v40
	v_add_f32_e32 v109, v109, v111
	buffer_load_dword v111, off, s[0:3], 0 offset:144
	buffer_load_dword v112, off, s[0:3], 0 offset:148
	v_mul_f32_e32 v42, v74, v110
	v_fma_f32 v40, v73, v40, -v42
	v_add_f32_e32 v40, v41, v40
	s_waitcnt vmcnt(0)
	v_mul_f32_e32 v41, v76, v112
	v_mul_f32_e32 v113, v75, v112
	v_fma_f32 v41, v75, v111, -v41
	v_fmac_f32_e32 v113, v76, v111
	v_add_f32_e32 v40, v40, v41
	v_add_f32_e32 v109, v109, v113
	v_sub_f32_e32 v0, v0, v40
	v_sub_f32_e32 v39, v39, v109
	buffer_store_dword v0, off, s[0:3], 0
	buffer_store_dword v39, off, s[0:3], 0 offset:4
	s_cbranch_vccz .LBB18_164
; %bb.128:
	v_mov_b32_e32 v0, 0
	global_load_dword v39, v0, s[20:21] offset:68
	s_waitcnt vmcnt(0)
	v_add_u32_e32 v39, -1, v39
	v_cmp_ne_u32_e32 vcc, 17, v39
	s_cbranch_vccz .LBB18_130
; %bb.129:
	v_lshlrev_b32_e32 v39, 3, v39
	buffer_load_dword v40, v39, s[0:3], 0 offen
	buffer_load_dword v41, v39, s[0:3], 0 offen offset:4
	buffer_load_dword v42, off, s[0:3], 0 offset:136
	buffer_load_dword v43, off, s[0:3], 0 offset:140
	s_waitcnt vmcnt(3)
	buffer_store_dword v40, off, s[0:3], 0 offset:136
	s_waitcnt vmcnt(3)
	buffer_store_dword v41, off, s[0:3], 0 offset:140
	s_waitcnt vmcnt(3)
	buffer_store_dword v42, v39, s[0:3], 0 offen
	s_waitcnt vmcnt(3)
	buffer_store_dword v43, v39, s[0:3], 0 offen offset:4
.LBB18_130:
	global_load_dword v0, v0, s[20:21] offset:64
	s_waitcnt vmcnt(0)
	v_add_u32_e32 v0, -1, v0
	v_cmp_eq_u32_e32 vcc, 16, v0
	s_cbranch_vccnz .LBB18_132
; %bb.131:
	v_lshlrev_b32_e32 v0, 3, v0
	buffer_load_dword v39, v0, s[0:3], 0 offen
	buffer_load_dword v40, v0, s[0:3], 0 offen offset:4
	buffer_load_dword v41, off, s[0:3], 0 offset:132
	buffer_load_dword v42, off, s[0:3], 0 offset:128
	s_waitcnt vmcnt(3)
	buffer_store_dword v39, off, s[0:3], 0 offset:128
	s_waitcnt vmcnt(3)
	buffer_store_dword v40, off, s[0:3], 0 offset:132
	s_waitcnt vmcnt(3)
	buffer_store_dword v41, v0, s[0:3], 0 offen offset:4
	s_waitcnt vmcnt(3)
	buffer_store_dword v42, v0, s[0:3], 0 offen
.LBB18_132:
	v_mov_b32_e32 v0, 0
	global_load_dword v39, v0, s[20:21] offset:60
	s_waitcnt vmcnt(0)
	v_add_u32_e32 v39, -1, v39
	v_cmp_eq_u32_e32 vcc, 15, v39
	s_cbranch_vccnz .LBB18_134
; %bb.133:
	v_lshlrev_b32_e32 v39, 3, v39
	buffer_load_dword v40, v39, s[0:3], 0 offen
	buffer_load_dword v41, v39, s[0:3], 0 offen offset:4
	buffer_load_dword v42, off, s[0:3], 0 offset:120
	buffer_load_dword v43, off, s[0:3], 0 offset:124
	s_waitcnt vmcnt(3)
	buffer_store_dword v40, off, s[0:3], 0 offset:120
	s_waitcnt vmcnt(3)
	buffer_store_dword v41, off, s[0:3], 0 offset:124
	s_waitcnt vmcnt(3)
	buffer_store_dword v42, v39, s[0:3], 0 offen
	s_waitcnt vmcnt(3)
	buffer_store_dword v43, v39, s[0:3], 0 offen offset:4
.LBB18_134:
	global_load_dword v0, v0, s[20:21] offset:56
	s_waitcnt vmcnt(0)
	v_add_u32_e32 v0, -1, v0
	v_cmp_eq_u32_e32 vcc, 14, v0
	s_cbranch_vccnz .LBB18_136
; %bb.135:
	v_lshlrev_b32_e32 v0, 3, v0
	buffer_load_dword v39, v0, s[0:3], 0 offen
	buffer_load_dword v40, v0, s[0:3], 0 offen offset:4
	buffer_load_dword v41, off, s[0:3], 0 offset:116
	buffer_load_dword v42, off, s[0:3], 0 offset:112
	s_waitcnt vmcnt(3)
	buffer_store_dword v39, off, s[0:3], 0 offset:112
	s_waitcnt vmcnt(3)
	buffer_store_dword v40, off, s[0:3], 0 offset:116
	s_waitcnt vmcnt(3)
	buffer_store_dword v41, v0, s[0:3], 0 offen offset:4
	s_waitcnt vmcnt(3)
	buffer_store_dword v42, v0, s[0:3], 0 offen
.LBB18_136:
	v_mov_b32_e32 v0, 0
	global_load_dword v39, v0, s[20:21] offset:52
	s_waitcnt vmcnt(0)
	v_add_u32_e32 v39, -1, v39
	v_cmp_eq_u32_e32 vcc, 13, v39
	s_cbranch_vccnz .LBB18_138
; %bb.137:
	v_lshlrev_b32_e32 v39, 3, v39
	buffer_load_dword v40, v39, s[0:3], 0 offen
	buffer_load_dword v41, v39, s[0:3], 0 offen offset:4
	buffer_load_dword v42, off, s[0:3], 0 offset:104
	buffer_load_dword v43, off, s[0:3], 0 offset:108
	s_waitcnt vmcnt(3)
	buffer_store_dword v40, off, s[0:3], 0 offset:104
	s_waitcnt vmcnt(3)
	buffer_store_dword v41, off, s[0:3], 0 offset:108
	s_waitcnt vmcnt(3)
	buffer_store_dword v42, v39, s[0:3], 0 offen
	s_waitcnt vmcnt(3)
	buffer_store_dword v43, v39, s[0:3], 0 offen offset:4
.LBB18_138:
	;; [unrolled: 41-line block ×8, first 2 shown]
	global_load_dword v0, v0, s[20:21]
	s_waitcnt vmcnt(0)
	v_add_u32_e32 v0, -1, v0
	v_cmp_eq_u32_e32 vcc, 0, v0
	s_cbranch_vccnz .LBB18_164
; %bb.163:
	v_lshlrev_b32_e32 v0, 3, v0
	buffer_load_dword v39, v0, s[0:3], 0 offen
	buffer_load_dword v40, v0, s[0:3], 0 offen offset:4
	buffer_load_dword v41, off, s[0:3], 0 offset:4
	buffer_load_dword v42, off, s[0:3], 0
	s_waitcnt vmcnt(3)
	buffer_store_dword v39, off, s[0:3], 0
	s_waitcnt vmcnt(3)
	buffer_store_dword v40, off, s[0:3], 0 offset:4
	s_waitcnt vmcnt(3)
	buffer_store_dword v41, v0, s[0:3], 0 offen offset:4
	s_waitcnt vmcnt(3)
	buffer_store_dword v42, v0, s[0:3], 0 offen
.LBB18_164:
	buffer_load_dword v39, off, s[0:3], 0
	buffer_load_dword v40, off, s[0:3], 0 offset:4
	buffer_load_dword v41, off, s[0:3], 0 offset:8
	s_nop 0
	buffer_load_dword v42, off, s[0:3], 0 offset:12
	buffer_load_dword v43, off, s[0:3], 0 offset:16
	buffer_load_dword v44, off, s[0:3], 0 offset:20
	buffer_load_dword v45, off, s[0:3], 0 offset:24
	buffer_load_dword v46, off, s[0:3], 0 offset:28
	buffer_load_dword v47, off, s[0:3], 0 offset:32
	buffer_load_dword v48, off, s[0:3], 0 offset:36
	buffer_load_dword v49, off, s[0:3], 0 offset:40
	buffer_load_dword v50, off, s[0:3], 0 offset:44
	buffer_load_dword v51, off, s[0:3], 0 offset:48
	buffer_load_dword v52, off, s[0:3], 0 offset:52
	buffer_load_dword v53, off, s[0:3], 0 offset:56
	buffer_load_dword v54, off, s[0:3], 0 offset:60
	buffer_load_dword v56, off, s[0:3], 0 offset:68
	buffer_load_dword v57, off, s[0:3], 0 offset:72
	buffer_load_dword v58, off, s[0:3], 0 offset:76
	buffer_load_dword v59, off, s[0:3], 0 offset:80
	buffer_load_dword v60, off, s[0:3], 0 offset:84
	buffer_load_dword v61, off, s[0:3], 0 offset:88
	buffer_load_dword v62, off, s[0:3], 0 offset:92
	buffer_load_dword v55, off, s[0:3], 0 offset:64
	buffer_load_dword v63, off, s[0:3], 0 offset:96
	buffer_load_dword v64, off, s[0:3], 0 offset:100
	buffer_load_dword v65, off, s[0:3], 0 offset:104
	buffer_load_dword v66, off, s[0:3], 0 offset:108
	buffer_load_dword v67, off, s[0:3], 0 offset:112
	buffer_load_dword v68, off, s[0:3], 0 offset:116
	buffer_load_dword v69, off, s[0:3], 0 offset:120
	buffer_load_dword v70, off, s[0:3], 0 offset:124
	buffer_load_dword v71, off, s[0:3], 0 offset:128
	buffer_load_dword v72, off, s[0:3], 0 offset:132
	buffer_load_dword v73, off, s[0:3], 0 offset:136
	buffer_load_dword v74, off, s[0:3], 0 offset:140
	buffer_load_dword v75, off, s[0:3], 0 offset:144
	buffer_load_dword v76, off, s[0:3], 0 offset:148
	s_waitcnt vmcnt(36)
	global_store_dwordx2 v[31:32], v[39:40], off
	s_waitcnt vmcnt(35)
	global_store_dwordx2 v[33:34], v[41:42], off
	s_waitcnt vmcnt(34)
	global_store_dwordx2 v[1:2], v[43:44], off
	s_waitcnt vmcnt(33)
	global_store_dwordx2 v[3:4], v[45:46], off
	s_waitcnt vmcnt(32)
	global_store_dwordx2 v[5:6], v[47:48], off
	s_waitcnt vmcnt(31)
	global_store_dwordx2 v[7:8], v[49:50], off
	s_waitcnt vmcnt(30)
	global_store_dwordx2 v[9:10], v[51:52], off
	s_waitcnt vmcnt(29)
	global_store_dwordx2 v[11:12], v[53:54], off
	s_waitcnt vmcnt(22)
	global_store_dwordx2 v[13:14], v[55:56], off
	global_store_dwordx2 v[15:16], v[57:58], off
	global_store_dwordx2 v[17:18], v[59:60], off
	;; [unrolled: 1-line block ×3, first 2 shown]
	s_waitcnt vmcnt(24)
	global_store_dwordx2 v[21:22], v[63:64], off
	s_waitcnt vmcnt(23)
	global_store_dwordx2 v[23:24], v[65:66], off
	;; [unrolled: 2-line block ×7, first 2 shown]
	s_endpgm
	.section	.rodata,"a",@progbits
	.p2align	6, 0x0
	.amdhsa_kernel _ZN9rocsolver6v33100L18getri_kernel_smallILi19E19rocblas_complex_numIfEPS3_EEvT1_iilPiilS6_bb
		.amdhsa_group_segment_fixed_size 312
		.amdhsa_private_segment_fixed_size 160
		.amdhsa_kernarg_size 60
		.amdhsa_user_sgpr_count 6
		.amdhsa_user_sgpr_private_segment_buffer 1
		.amdhsa_user_sgpr_dispatch_ptr 0
		.amdhsa_user_sgpr_queue_ptr 0
		.amdhsa_user_sgpr_kernarg_segment_ptr 1
		.amdhsa_user_sgpr_dispatch_id 0
		.amdhsa_user_sgpr_flat_scratch_init 0
		.amdhsa_user_sgpr_private_segment_size 0
		.amdhsa_uses_dynamic_stack 0
		.amdhsa_system_sgpr_private_segment_wavefront_offset 1
		.amdhsa_system_sgpr_workgroup_id_x 1
		.amdhsa_system_sgpr_workgroup_id_y 0
		.amdhsa_system_sgpr_workgroup_id_z 0
		.amdhsa_system_sgpr_workgroup_info 0
		.amdhsa_system_vgpr_workitem_id 0
		.amdhsa_next_free_vgpr 122
		.amdhsa_next_free_sgpr 24
		.amdhsa_reserve_vcc 1
		.amdhsa_reserve_flat_scratch 0
		.amdhsa_float_round_mode_32 0
		.amdhsa_float_round_mode_16_64 0
		.amdhsa_float_denorm_mode_32 3
		.amdhsa_float_denorm_mode_16_64 3
		.amdhsa_dx10_clamp 1
		.amdhsa_ieee_mode 1
		.amdhsa_fp16_overflow 0
		.amdhsa_exception_fp_ieee_invalid_op 0
		.amdhsa_exception_fp_denorm_src 0
		.amdhsa_exception_fp_ieee_div_zero 0
		.amdhsa_exception_fp_ieee_overflow 0
		.amdhsa_exception_fp_ieee_underflow 0
		.amdhsa_exception_fp_ieee_inexact 0
		.amdhsa_exception_int_div_zero 0
	.end_amdhsa_kernel
	.section	.text._ZN9rocsolver6v33100L18getri_kernel_smallILi19E19rocblas_complex_numIfEPS3_EEvT1_iilPiilS6_bb,"axG",@progbits,_ZN9rocsolver6v33100L18getri_kernel_smallILi19E19rocblas_complex_numIfEPS3_EEvT1_iilPiilS6_bb,comdat
.Lfunc_end18:
	.size	_ZN9rocsolver6v33100L18getri_kernel_smallILi19E19rocblas_complex_numIfEPS3_EEvT1_iilPiilS6_bb, .Lfunc_end18-_ZN9rocsolver6v33100L18getri_kernel_smallILi19E19rocblas_complex_numIfEPS3_EEvT1_iilPiilS6_bb
                                        ; -- End function
	.set _ZN9rocsolver6v33100L18getri_kernel_smallILi19E19rocblas_complex_numIfEPS3_EEvT1_iilPiilS6_bb.num_vgpr, 122
	.set _ZN9rocsolver6v33100L18getri_kernel_smallILi19E19rocblas_complex_numIfEPS3_EEvT1_iilPiilS6_bb.num_agpr, 0
	.set _ZN9rocsolver6v33100L18getri_kernel_smallILi19E19rocblas_complex_numIfEPS3_EEvT1_iilPiilS6_bb.numbered_sgpr, 24
	.set _ZN9rocsolver6v33100L18getri_kernel_smallILi19E19rocblas_complex_numIfEPS3_EEvT1_iilPiilS6_bb.num_named_barrier, 0
	.set _ZN9rocsolver6v33100L18getri_kernel_smallILi19E19rocblas_complex_numIfEPS3_EEvT1_iilPiilS6_bb.private_seg_size, 160
	.set _ZN9rocsolver6v33100L18getri_kernel_smallILi19E19rocblas_complex_numIfEPS3_EEvT1_iilPiilS6_bb.uses_vcc, 1
	.set _ZN9rocsolver6v33100L18getri_kernel_smallILi19E19rocblas_complex_numIfEPS3_EEvT1_iilPiilS6_bb.uses_flat_scratch, 0
	.set _ZN9rocsolver6v33100L18getri_kernel_smallILi19E19rocblas_complex_numIfEPS3_EEvT1_iilPiilS6_bb.has_dyn_sized_stack, 0
	.set _ZN9rocsolver6v33100L18getri_kernel_smallILi19E19rocblas_complex_numIfEPS3_EEvT1_iilPiilS6_bb.has_recursion, 0
	.set _ZN9rocsolver6v33100L18getri_kernel_smallILi19E19rocblas_complex_numIfEPS3_EEvT1_iilPiilS6_bb.has_indirect_call, 0
	.section	.AMDGPU.csdata,"",@progbits
; Kernel info:
; codeLenInByte = 19840
; TotalNumSgprs: 28
; NumVgprs: 122
; ScratchSize: 160
; MemoryBound: 0
; FloatMode: 240
; IeeeMode: 1
; LDSByteSize: 312 bytes/workgroup (compile time only)
; SGPRBlocks: 3
; VGPRBlocks: 30
; NumSGPRsForWavesPerEU: 28
; NumVGPRsForWavesPerEU: 122
; Occupancy: 2
; WaveLimiterHint : 1
; COMPUTE_PGM_RSRC2:SCRATCH_EN: 1
; COMPUTE_PGM_RSRC2:USER_SGPR: 6
; COMPUTE_PGM_RSRC2:TRAP_HANDLER: 0
; COMPUTE_PGM_RSRC2:TGID_X_EN: 1
; COMPUTE_PGM_RSRC2:TGID_Y_EN: 0
; COMPUTE_PGM_RSRC2:TGID_Z_EN: 0
; COMPUTE_PGM_RSRC2:TIDIG_COMP_CNT: 0
	.section	.text._ZN9rocsolver6v33100L18getri_kernel_smallILi20E19rocblas_complex_numIfEPS3_EEvT1_iilPiilS6_bb,"axG",@progbits,_ZN9rocsolver6v33100L18getri_kernel_smallILi20E19rocblas_complex_numIfEPS3_EEvT1_iilPiilS6_bb,comdat
	.globl	_ZN9rocsolver6v33100L18getri_kernel_smallILi20E19rocblas_complex_numIfEPS3_EEvT1_iilPiilS6_bb ; -- Begin function _ZN9rocsolver6v33100L18getri_kernel_smallILi20E19rocblas_complex_numIfEPS3_EEvT1_iilPiilS6_bb
	.p2align	8
	.type	_ZN9rocsolver6v33100L18getri_kernel_smallILi20E19rocblas_complex_numIfEPS3_EEvT1_iilPiilS6_bb,@function
_ZN9rocsolver6v33100L18getri_kernel_smallILi20E19rocblas_complex_numIfEPS3_EEvT1_iilPiilS6_bb: ; @_ZN9rocsolver6v33100L18getri_kernel_smallILi20E19rocblas_complex_numIfEPS3_EEvT1_iilPiilS6_bb
; %bb.0:
	s_add_u32 s0, s0, s7
	s_addc_u32 s1, s1, 0
	v_cmp_gt_u32_e32 vcc, 20, v0
	s_and_saveexec_b64 s[8:9], vcc
	s_cbranch_execz .LBB19_94
; %bb.1:
	s_load_dword s12, s[4:5], 0x38
	s_load_dwordx4 s[16:19], s[4:5], 0x10
	s_load_dwordx4 s[8:11], s[4:5], 0x28
                                        ; implicit-def: $sgpr20_sgpr21
	s_waitcnt lgkmcnt(0)
	s_bitcmp1_b32 s12, 8
	s_cselect_b64 s[22:23], -1, 0
	s_ashr_i32 s7, s6, 31
	s_bfe_u32 s12, s12, 0x10008
	s_cmp_eq_u32 s12, 0
	s_cbranch_scc1 .LBB19_3
; %bb.2:
	s_load_dword s12, s[4:5], 0x20
	s_mul_i32 s13, s8, s7
	s_mul_hi_u32 s14, s8, s6
	s_mul_i32 s9, s9, s6
	s_add_i32 s14, s14, s13
	s_add_i32 s9, s14, s9
	s_mul_i32 s8, s8, s6
	s_waitcnt lgkmcnt(0)
	s_ashr_i32 s13, s12, 31
	s_lshl_b64 s[8:9], s[8:9], 2
	s_add_u32 s14, s18, s8
	s_addc_u32 s15, s19, s9
	s_lshl_b64 s[8:9], s[12:13], 2
	s_add_u32 s20, s14, s8
	s_addc_u32 s21, s15, s9
.LBB19_3:
	s_load_dwordx4 s[12:15], s[4:5], 0x0
	s_load_dword s8, s[4:5], 0x38
	s_mul_i32 s9, s16, s7
	s_mul_hi_u32 s18, s16, s6
	s_add_i32 s9, s18, s9
	s_waitcnt lgkmcnt(0)
	s_ashr_i32 s5, s14, 31
	s_mov_b32 s4, s14
	s_mul_i32 s14, s17, s6
	s_add_i32 s17, s9, s14
	s_mul_i32 s16, s16, s6
	s_lshl_b64 s[16:17], s[16:17], 3
	s_add_u32 s9, s12, s16
	s_addc_u32 s12, s13, s17
	s_lshl_b64 s[4:5], s[4:5], 3
	s_add_u32 s4, s9, s4
	s_addc_u32 s5, s12, s5
	s_add_i32 s9, s15, s15
	v_add_u32_e32 v3, s9, v0
	v_ashrrev_i32_e32 v4, 31, v3
	v_lshlrev_b64 v[1:2], 3, v[3:4]
	v_add_u32_e32 v5, s15, v3
	v_mov_b32_e32 v4, s5
	v_add_co_u32_e32 v1, vcc, s4, v1
	v_ashrrev_i32_e32 v6, 31, v5
	v_addc_co_u32_e32 v2, vcc, v4, v2, vcc
	v_lshlrev_b64 v[3:4], 3, v[5:6]
	v_add_u32_e32 v7, s15, v5
	v_mov_b32_e32 v6, s5
	v_add_co_u32_e32 v3, vcc, s4, v3
	v_ashrrev_i32_e32 v8, 31, v7
	v_addc_co_u32_e32 v4, vcc, v6, v4, vcc
	;; [unrolled: 6-line block ×8, first 2 shown]
	v_lshlrev_b64 v[17:18], 3, v[19:20]
	v_mov_b32_e32 v21, s5
	v_add_co_u32_e32 v17, vcc, s4, v17
	v_addc_co_u32_e32 v18, vcc, v21, v18, vcc
	v_add_u32_e32 v21, s15, v19
	v_ashrrev_i32_e32 v22, 31, v21
	v_lshlrev_b64 v[19:20], 3, v[21:22]
	v_mov_b32_e32 v23, s5
	v_add_co_u32_e32 v19, vcc, s4, v19
	v_addc_co_u32_e32 v20, vcc, v23, v20, vcc
	v_add_u32_e32 v23, s15, v21
	v_ashrrev_i32_e32 v24, 31, v23
	;; [unrolled: 6-line block ×6, first 2 shown]
	v_lshlrev_b64 v[29:30], 3, v[31:32]
	v_mov_b32_e32 v33, s5
	v_add_co_u32_e32 v29, vcc, s4, v29
	v_addc_co_u32_e32 v30, vcc, v33, v30, vcc
	v_lshlrev_b32_e32 v43, 3, v0
	v_add_u32_e32 v37, s15, v31
	v_mov_b32_e32 v34, s5
	v_add_co_u32_e32 v33, vcc, s4, v43
	s_ashr_i32 s13, s15, 31
	s_mov_b32 s12, s15
	v_ashrrev_i32_e32 v38, 31, v37
	v_addc_co_u32_e32 v34, vcc, 0, v34, vcc
	s_lshl_b64 s[12:13], s[12:13], 3
	v_lshlrev_b64 v[31:32], 3, v[37:38]
	v_mov_b32_e32 v36, s13
	v_add_co_u32_e32 v35, vcc, s12, v33
	v_addc_co_u32_e32 v36, vcc, v34, v36, vcc
	v_mov_b32_e32 v39, s5
	v_add_co_u32_e32 v31, vcc, s4, v31
	v_addc_co_u32_e32 v32, vcc, v39, v32, vcc
	v_add_u32_e32 v39, s15, v37
	v_ashrrev_i32_e32 v40, 31, v39
	v_lshlrev_b64 v[37:38], 3, v[39:40]
	v_mov_b32_e32 v64, s5
	v_add_co_u32_e32 v37, vcc, s4, v37
	global_load_dwordx2 v[41:42], v43, s[4:5]
	global_load_dwordx2 v[44:45], v[35:36], off
	global_load_dwordx2 v[46:47], v[1:2], off
	global_load_dwordx2 v[48:49], v[3:4], off
	global_load_dwordx2 v[50:51], v[5:6], off
	global_load_dwordx2 v[52:53], v[7:8], off
	global_load_dwordx2 v[54:55], v[9:10], off
	global_load_dwordx2 v[56:57], v[11:12], off
	global_load_dwordx2 v[58:59], v[13:14], off
	global_load_dwordx2 v[60:61], v[15:16], off
	global_load_dwordx2 v[62:63], v[17:18], off
	v_addc_co_u32_e32 v38, vcc, v64, v38, vcc
	global_load_dwordx2 v[64:65], v[19:20], off
	global_load_dwordx2 v[66:67], v[21:22], off
	;; [unrolled: 1-line block ×8, first 2 shown]
	v_add_u32_e32 v39, s15, v39
	v_ashrrev_i32_e32 v40, 31, v39
	v_lshlrev_b64 v[39:40], 3, v[39:40]
	v_mov_b32_e32 v80, s5
	v_add_co_u32_e32 v39, vcc, s4, v39
	v_addc_co_u32_e32 v40, vcc, v80, v40, vcc
	global_load_dwordx2 v[80:81], v[39:40], off
	s_bitcmp0_b32 s8, 0
	s_mov_b64 s[8:9], -1
	s_waitcnt vmcnt(19)
	buffer_store_dword v42, off, s[0:3], 0 offset:4
	buffer_store_dword v41, off, s[0:3], 0
	s_waitcnt vmcnt(20)
	buffer_store_dword v45, off, s[0:3], 0 offset:12
	buffer_store_dword v44, off, s[0:3], 0 offset:8
	s_waitcnt vmcnt(21)
	buffer_store_dword v47, off, s[0:3], 0 offset:20
	buffer_store_dword v46, off, s[0:3], 0 offset:16
	;; [unrolled: 3-line block ×19, first 2 shown]
	s_cbranch_scc1 .LBB19_92
; %bb.4:
	v_cmp_eq_u32_e64 s[4:5], 0, v0
	s_and_saveexec_b64 s[8:9], s[4:5]
; %bb.5:
	v_mov_b32_e32 v41, 0
	ds_write_b32 v41, v41 offset:320
; %bb.6:
	s_or_b64 exec, exec, s[8:9]
	v_mov_b32_e32 v41, 0
	v_lshl_add_u32 v45, v0, 3, v41
	s_waitcnt lgkmcnt(0)
	; wave barrier
	buffer_load_dword v41, v45, s[0:3], 0 offen
	buffer_load_dword v42, v45, s[0:3], 0 offen offset:4
	s_waitcnt vmcnt(1)
	v_cmp_eq_f32_e32 vcc, 0, v41
	s_waitcnt vmcnt(0)
	v_cmp_eq_f32_e64 s[8:9], 0, v42
	s_and_b64 s[8:9], vcc, s[8:9]
	s_and_saveexec_b64 s[12:13], s[8:9]
	s_cbranch_execz .LBB19_10
; %bb.7:
	v_mov_b32_e32 v41, 0
	ds_read_b32 v44, v41 offset:320
	v_add_u32_e32 v42, 1, v0
	s_waitcnt lgkmcnt(0)
	v_readfirstlane_b32 s8, v44
	s_cmp_eq_u32 s8, 0
	s_cselect_b64 s[14:15], -1, 0
	v_cmp_gt_i32_e32 vcc, s8, v42
	s_or_b64 s[14:15], s[14:15], vcc
	s_and_b64 exec, exec, s[14:15]
	s_cbranch_execz .LBB19_10
; %bb.8:
	s_mov_b64 s[14:15], 0
	v_mov_b32_e32 v44, s8
.LBB19_9:                               ; =>This Inner Loop Header: Depth=1
	ds_cmpst_rtn_b32 v44, v41, v44, v42 offset:320
	s_waitcnt lgkmcnt(0)
	v_cmp_ne_u32_e32 vcc, 0, v44
	v_cmp_le_i32_e64 s[8:9], v44, v42
	s_and_b64 s[8:9], vcc, s[8:9]
	s_and_b64 s[8:9], exec, s[8:9]
	s_or_b64 s[14:15], s[8:9], s[14:15]
	s_andn2_b64 exec, exec, s[14:15]
	s_cbranch_execnz .LBB19_9
.LBB19_10:
	s_or_b64 exec, exec, s[12:13]
	v_mov_b32_e32 v42, 0
	; wave barrier
	ds_read_b32 v41, v42 offset:320
	s_and_saveexec_b64 s[8:9], s[4:5]
	s_cbranch_execz .LBB19_12
; %bb.11:
	s_lshl_b64 s[12:13], s[6:7], 2
	s_add_u32 s12, s10, s12
	s_addc_u32 s13, s11, s13
	s_waitcnt lgkmcnt(0)
	global_store_dword v42, v41, s[12:13]
.LBB19_12:
	s_or_b64 exec, exec, s[8:9]
	s_waitcnt lgkmcnt(0)
	v_cmp_ne_u32_e32 vcc, 0, v41
	s_mov_b64 s[8:9], 0
	s_cbranch_vccnz .LBB19_92
; %bb.13:
	buffer_load_dword v42, v45, s[0:3], 0 offen
	buffer_load_dword v44, v45, s[0:3], 0 offen offset:4
                                        ; implicit-def: $vgpr47
                                        ; implicit-def: $vgpr46
                                        ; implicit-def: $vgpr41
	s_waitcnt vmcnt(0)
	v_cmp_ngt_f32_e64 s[8:9], |v42|, |v44|
	s_and_saveexec_b64 s[12:13], s[8:9]
	s_xor_b64 s[8:9], exec, s[12:13]
	s_cbranch_execz .LBB19_15
; %bb.14:
	v_div_scale_f32 v41, s[12:13], v44, v44, v42
	v_div_scale_f32 v46, vcc, v42, v44, v42
	v_rcp_f32_e32 v47, v41
	v_fma_f32 v48, -v41, v47, 1.0
	v_fmac_f32_e32 v47, v48, v47
	v_mul_f32_e32 v48, v46, v47
	v_fma_f32 v49, -v41, v48, v46
	v_fmac_f32_e32 v48, v49, v47
	v_fma_f32 v41, -v41, v48, v46
	v_div_fmas_f32 v41, v41, v47, v48
	v_div_fixup_f32 v41, v41, v44, v42
	v_fmac_f32_e32 v44, v42, v41
	v_div_scale_f32 v42, s[12:13], v44, v44, 1.0
	v_div_scale_f32 v46, vcc, 1.0, v44, 1.0
	v_rcp_f32_e32 v47, v42
	v_fma_f32 v48, -v42, v47, 1.0
	v_fmac_f32_e32 v47, v48, v47
	v_mul_f32_e32 v48, v46, v47
	v_fma_f32 v49, -v42, v48, v46
	v_fmac_f32_e32 v48, v49, v47
	v_fma_f32 v42, -v42, v48, v46
	v_div_fmas_f32 v42, v42, v47, v48
	v_div_fixup_f32 v42, v42, v44, 1.0
	v_mul_f32_e32 v47, v41, v42
	v_xor_b32_e32 v46, 0x80000000, v42
	v_xor_b32_e32 v41, 0x80000000, v47
                                        ; implicit-def: $vgpr42
                                        ; implicit-def: $vgpr44
.LBB19_15:
	s_andn2_saveexec_b64 s[8:9], s[8:9]
	s_cbranch_execz .LBB19_17
; %bb.16:
	v_div_scale_f32 v41, s[12:13], v42, v42, v44
	v_div_scale_f32 v46, vcc, v44, v42, v44
	v_rcp_f32_e32 v47, v41
	v_fma_f32 v48, -v41, v47, 1.0
	v_fmac_f32_e32 v47, v48, v47
	v_mul_f32_e32 v48, v46, v47
	v_fma_f32 v49, -v41, v48, v46
	v_fmac_f32_e32 v48, v49, v47
	v_fma_f32 v41, -v41, v48, v46
	v_div_fmas_f32 v41, v41, v47, v48
	v_div_fixup_f32 v46, v41, v42, v44
	v_fmac_f32_e32 v42, v44, v46
	v_div_scale_f32 v41, s[12:13], v42, v42, 1.0
	v_div_scale_f32 v44, vcc, 1.0, v42, 1.0
	v_rcp_f32_e32 v47, v41
	v_fma_f32 v48, -v41, v47, 1.0
	v_fmac_f32_e32 v47, v48, v47
	v_mul_f32_e32 v48, v44, v47
	v_fma_f32 v49, -v41, v48, v44
	v_fmac_f32_e32 v48, v49, v47
	v_fma_f32 v41, -v41, v48, v44
	v_div_fmas_f32 v41, v41, v47, v48
	v_div_fixup_f32 v47, v41, v42, 1.0
	v_xor_b32_e32 v41, 0x80000000, v47
	v_mul_f32_e64 v46, v46, -v47
.LBB19_17:
	s_or_b64 exec, exec, s[8:9]
	buffer_store_dword v47, v45, s[0:3], 0 offen
	buffer_store_dword v46, v45, s[0:3], 0 offen offset:4
	buffer_load_dword v48, off, s[0:3], 0 offset:12
	s_nop 0
	buffer_load_dword v47, off, s[0:3], 0 offset:8
	v_xor_b32_e32 v42, 0x80000000, v46
	v_add_u32_e32 v44, 0xa0, v43
	s_waitcnt vmcnt(0)
	ds_write2_b64 v43, v[41:42], v[47:48] offset1:20
	s_waitcnt lgkmcnt(0)
	; wave barrier
	s_and_saveexec_b64 s[8:9], s[4:5]
	s_cbranch_execz .LBB19_19
; %bb.18:
	buffer_load_dword v48, v45, s[0:3], 0 offen offset:4
	buffer_load_dword v49, v45, s[0:3], 0 offen
	ds_read_b64 v[41:42], v44
	v_mov_b32_e32 v46, 0
	ds_read_b64 v[46:47], v46 offset:8
	s_waitcnt vmcnt(1) lgkmcnt(1)
	v_mul_f32_e32 v50, v42, v48
	v_mul_f32_e32 v48, v41, v48
	s_waitcnt vmcnt(0)
	v_fmac_f32_e32 v48, v42, v49
	v_fma_f32 v41, v41, v49, -v50
	v_add_f32_e32 v42, 0, v48
	v_add_f32_e32 v41, 0, v41
	s_waitcnt lgkmcnt(0)
	v_mul_f32_e32 v48, v42, v47
	v_mul_f32_e32 v47, v41, v47
	v_fma_f32 v41, v41, v46, -v48
	v_fmac_f32_e32 v47, v42, v46
	buffer_store_dword v41, off, s[0:3], 0 offset:8
	buffer_store_dword v47, off, s[0:3], 0 offset:12
.LBB19_19:
	s_or_b64 exec, exec, s[8:9]
	; wave barrier
	buffer_load_dword v41, off, s[0:3], 0 offset:16
	buffer_load_dword v42, off, s[0:3], 0 offset:20
	v_cmp_gt_u32_e32 vcc, 2, v0
	s_waitcnt vmcnt(0)
	ds_write_b64 v44, v[41:42]
	s_waitcnt lgkmcnt(0)
	; wave barrier
	s_and_saveexec_b64 s[8:9], vcc
	s_cbranch_execz .LBB19_23
; %bb.20:
	buffer_load_dword v46, v45, s[0:3], 0 offen offset:4
	buffer_load_dword v47, v45, s[0:3], 0 offen
	ds_read_b64 v[41:42], v44
	s_waitcnt vmcnt(1) lgkmcnt(0)
	v_mul_f32_e32 v45, v42, v46
	v_mul_f32_e32 v46, v41, v46
	s_waitcnt vmcnt(0)
	v_fma_f32 v41, v41, v47, -v45
	v_fmac_f32_e32 v46, v42, v47
	v_add_f32_e32 v42, 0, v41
	v_add_f32_e32 v41, 0, v46
	s_and_saveexec_b64 s[12:13], s[4:5]
	s_cbranch_execz .LBB19_22
; %bb.21:
	buffer_load_dword v47, off, s[0:3], 0 offset:12
	buffer_load_dword v48, off, s[0:3], 0 offset:8
	v_mov_b32_e32 v45, 0
	ds_read_b64 v[45:46], v45 offset:168
	s_waitcnt vmcnt(1) lgkmcnt(0)
	v_mul_f32_e32 v49, v45, v47
	v_mul_f32_e32 v47, v46, v47
	s_waitcnt vmcnt(0)
	v_fmac_f32_e32 v49, v46, v48
	v_fma_f32 v45, v45, v48, -v47
	v_add_f32_e32 v41, v41, v49
	v_add_f32_e32 v42, v42, v45
.LBB19_22:
	s_or_b64 exec, exec, s[12:13]
	v_mov_b32_e32 v45, 0
	ds_read_b64 v[45:46], v45 offset:16
	s_waitcnt lgkmcnt(0)
	v_mul_f32_e32 v47, v41, v46
	v_mul_f32_e32 v46, v42, v46
	v_fma_f32 v42, v42, v45, -v47
	v_fmac_f32_e32 v46, v41, v45
	buffer_store_dword v42, off, s[0:3], 0 offset:16
	buffer_store_dword v46, off, s[0:3], 0 offset:20
.LBB19_23:
	s_or_b64 exec, exec, s[8:9]
	; wave barrier
	buffer_load_dword v41, off, s[0:3], 0 offset:24
	buffer_load_dword v42, off, s[0:3], 0 offset:28
	v_cmp_gt_u32_e32 vcc, 3, v0
	s_waitcnt vmcnt(0)
	ds_write_b64 v44, v[41:42]
	v_add_u32_e32 v41, -1, v0
	s_waitcnt lgkmcnt(0)
	; wave barrier
	s_and_saveexec_b64 s[4:5], vcc
	s_cbranch_execz .LBB19_27
; %bb.24:
	v_add_u32_e32 v45, -1, v0
	v_add_u32_e32 v46, 0xa0, v43
	v_mov_b32_e32 v47, v43
	v_mov_b32_e32 v42, 0
	s_mov_b64 s[8:9], 0
	v_mov_b32_e32 v48, 0
.LBB19_25:                              ; =>This Inner Loop Header: Depth=1
	buffer_load_dword v51, v47, s[0:3], 0 offen offset:4
	buffer_load_dword v52, v47, s[0:3], 0 offen
	ds_read_b64 v[49:50], v46
	v_add_u32_e32 v45, 1, v45
	v_cmp_lt_u32_e32 vcc, 1, v45
	v_add_u32_e32 v46, 8, v46
	v_add_u32_e32 v47, 8, v47
	s_or_b64 s[8:9], vcc, s[8:9]
	s_waitcnt vmcnt(1) lgkmcnt(0)
	v_mul_f32_e32 v53, v50, v51
	v_mul_f32_e32 v51, v49, v51
	s_waitcnt vmcnt(0)
	v_fma_f32 v49, v49, v52, -v53
	v_fmac_f32_e32 v51, v50, v52
	v_add_f32_e32 v48, v48, v49
	v_add_f32_e32 v42, v42, v51
	s_andn2_b64 exec, exec, s[8:9]
	s_cbranch_execnz .LBB19_25
; %bb.26:
	s_or_b64 exec, exec, s[8:9]
	v_mov_b32_e32 v45, 0
	ds_read_b64 v[45:46], v45 offset:24
	s_waitcnt lgkmcnt(0)
	v_mul_f32_e32 v47, v42, v46
	v_mul_f32_e32 v46, v48, v46
	v_fma_f32 v47, v48, v45, -v47
	v_fmac_f32_e32 v46, v42, v45
	buffer_store_dword v47, off, s[0:3], 0 offset:24
	buffer_store_dword v46, off, s[0:3], 0 offset:28
.LBB19_27:
	s_or_b64 exec, exec, s[4:5]
	; wave barrier
	buffer_load_dword v45, off, s[0:3], 0 offset:32
	buffer_load_dword v46, off, s[0:3], 0 offset:36
	v_cmp_gt_u32_e32 vcc, 4, v0
	s_waitcnt vmcnt(0)
	ds_write_b64 v44, v[45:46]
	s_waitcnt lgkmcnt(0)
	; wave barrier
	s_and_saveexec_b64 s[4:5], vcc
	s_cbranch_execz .LBB19_31
; %bb.28:
	v_add_u32_e32 v45, -1, v0
	v_add_u32_e32 v46, 0xa0, v43
	v_mov_b32_e32 v47, v43
	v_mov_b32_e32 v42, 0
	s_mov_b64 s[8:9], 0
	v_mov_b32_e32 v48, 0
.LBB19_29:                              ; =>This Inner Loop Header: Depth=1
	buffer_load_dword v51, v47, s[0:3], 0 offen offset:4
	buffer_load_dword v52, v47, s[0:3], 0 offen
	ds_read_b64 v[49:50], v46
	v_add_u32_e32 v45, 1, v45
	v_cmp_lt_u32_e32 vcc, 2, v45
	v_add_u32_e32 v46, 8, v46
	v_add_u32_e32 v47, 8, v47
	s_or_b64 s[8:9], vcc, s[8:9]
	s_waitcnt vmcnt(1) lgkmcnt(0)
	v_mul_f32_e32 v53, v50, v51
	v_mul_f32_e32 v51, v49, v51
	s_waitcnt vmcnt(0)
	v_fma_f32 v49, v49, v52, -v53
	v_fmac_f32_e32 v51, v50, v52
	v_add_f32_e32 v48, v48, v49
	v_add_f32_e32 v42, v42, v51
	s_andn2_b64 exec, exec, s[8:9]
	s_cbranch_execnz .LBB19_29
; %bb.30:
	s_or_b64 exec, exec, s[8:9]
	v_mov_b32_e32 v45, 0
	ds_read_b64 v[45:46], v45 offset:32
	s_waitcnt lgkmcnt(0)
	v_mul_f32_e32 v47, v42, v46
	v_mul_f32_e32 v46, v48, v46
	v_fma_f32 v47, v48, v45, -v47
	v_fmac_f32_e32 v46, v42, v45
	buffer_store_dword v47, off, s[0:3], 0 offset:32
	buffer_store_dword v46, off, s[0:3], 0 offset:36
.LBB19_31:
	s_or_b64 exec, exec, s[4:5]
	; wave barrier
	buffer_load_dword v45, off, s[0:3], 0 offset:40
	buffer_load_dword v46, off, s[0:3], 0 offset:44
	v_cmp_gt_u32_e32 vcc, 5, v0
	s_waitcnt vmcnt(0)
	ds_write_b64 v44, v[45:46]
	;; [unrolled: 49-line block ×15, first 2 shown]
	s_waitcnt lgkmcnt(0)
	; wave barrier
	s_and_saveexec_b64 s[4:5], vcc
	s_cbranch_execz .LBB19_87
; %bb.84:
	v_add_u32_e32 v45, -1, v0
	v_add_u32_e32 v46, 0xa0, v43
	v_mov_b32_e32 v47, v43
	v_mov_b32_e32 v42, 0
	s_mov_b64 s[8:9], 0
	v_mov_b32_e32 v48, 0
.LBB19_85:                              ; =>This Inner Loop Header: Depth=1
	buffer_load_dword v51, v47, s[0:3], 0 offen offset:4
	buffer_load_dword v52, v47, s[0:3], 0 offen
	ds_read_b64 v[49:50], v46
	v_add_u32_e32 v45, 1, v45
	v_cmp_lt_u32_e32 vcc, 16, v45
	v_add_u32_e32 v46, 8, v46
	v_add_u32_e32 v47, 8, v47
	s_or_b64 s[8:9], vcc, s[8:9]
	s_waitcnt vmcnt(1) lgkmcnt(0)
	v_mul_f32_e32 v53, v50, v51
	v_mul_f32_e32 v51, v49, v51
	s_waitcnt vmcnt(0)
	v_fma_f32 v49, v49, v52, -v53
	v_fmac_f32_e32 v51, v50, v52
	v_add_f32_e32 v48, v48, v49
	v_add_f32_e32 v42, v42, v51
	s_andn2_b64 exec, exec, s[8:9]
	s_cbranch_execnz .LBB19_85
; %bb.86:
	s_or_b64 exec, exec, s[8:9]
	v_mov_b32_e32 v45, 0
	ds_read_b64 v[45:46], v45 offset:144
	s_waitcnt lgkmcnt(0)
	v_mul_f32_e32 v47, v42, v46
	v_mul_f32_e32 v46, v48, v46
	v_fma_f32 v47, v48, v45, -v47
	v_fmac_f32_e32 v46, v42, v45
	buffer_store_dword v47, off, s[0:3], 0 offset:144
	buffer_store_dword v46, off, s[0:3], 0 offset:148
.LBB19_87:
	s_or_b64 exec, exec, s[4:5]
	; wave barrier
	buffer_load_dword v45, off, s[0:3], 0 offset:152
	buffer_load_dword v46, off, s[0:3], 0 offset:156
	v_cmp_ne_u32_e32 vcc, 19, v0
	s_waitcnt vmcnt(0)
	ds_write_b64 v44, v[45:46]
	s_waitcnt lgkmcnt(0)
	; wave barrier
	s_and_saveexec_b64 s[4:5], vcc
	s_cbranch_execz .LBB19_91
; %bb.88:
	v_add_u32_e32 v44, 0xa0, v43
	v_mov_b32_e32 v42, 0
	s_mov_b64 s[8:9], 0
	v_mov_b32_e32 v45, 0
.LBB19_89:                              ; =>This Inner Loop Header: Depth=1
	buffer_load_dword v48, v43, s[0:3], 0 offen offset:4
	buffer_load_dword v49, v43, s[0:3], 0 offen
	ds_read_b64 v[46:47], v44
	v_add_u32_e32 v41, 1, v41
	v_cmp_lt_u32_e32 vcc, 17, v41
	v_add_u32_e32 v44, 8, v44
	v_add_u32_e32 v43, 8, v43
	s_or_b64 s[8:9], vcc, s[8:9]
	s_waitcnt vmcnt(1) lgkmcnt(0)
	v_mul_f32_e32 v50, v47, v48
	v_mul_f32_e32 v48, v46, v48
	s_waitcnt vmcnt(0)
	v_fma_f32 v46, v46, v49, -v50
	v_fmac_f32_e32 v48, v47, v49
	v_add_f32_e32 v45, v45, v46
	v_add_f32_e32 v42, v42, v48
	s_andn2_b64 exec, exec, s[8:9]
	s_cbranch_execnz .LBB19_89
; %bb.90:
	s_or_b64 exec, exec, s[8:9]
	v_mov_b32_e32 v41, 0
	ds_read_b64 v[43:44], v41 offset:152
	s_waitcnt lgkmcnt(0)
	v_mul_f32_e32 v41, v42, v44
	v_mul_f32_e32 v44, v45, v44
	v_fma_f32 v41, v45, v43, -v41
	v_fmac_f32_e32 v44, v42, v43
	buffer_store_dword v41, off, s[0:3], 0 offset:152
	buffer_store_dword v44, off, s[0:3], 0 offset:156
.LBB19_91:
	s_or_b64 exec, exec, s[4:5]
	s_mov_b64 s[8:9], -1
	; wave barrier
.LBB19_92:
	s_and_b64 vcc, exec, s[8:9]
	s_cbranch_vccz .LBB19_94
; %bb.93:
	s_lshl_b64 s[4:5], s[6:7], 2
	s_add_u32 s4, s10, s4
	s_addc_u32 s5, s11, s5
	v_mov_b32_e32 v41, 0
	global_load_dword v41, v41, s[4:5]
	s_waitcnt vmcnt(0)
	v_cmp_ne_u32_e32 vcc, 0, v41
	s_cbranch_vccz .LBB19_95
.LBB19_94:
	s_endpgm
.LBB19_95:
	v_mov_b32_e32 v41, 0xa0
	v_lshl_add_u32 v41, v0, 3, v41
	v_cmp_eq_u32_e32 vcc, 19, v0
	s_and_saveexec_b64 s[4:5], vcc
	s_cbranch_execz .LBB19_97
; %bb.96:
	buffer_load_dword v42, off, s[0:3], 0 offset:144
	buffer_load_dword v43, off, s[0:3], 0 offset:148
	v_mov_b32_e32 v44, 0
	buffer_store_dword v44, off, s[0:3], 0 offset:144
	buffer_store_dword v44, off, s[0:3], 0 offset:148
	s_waitcnt vmcnt(2)
	ds_write_b64 v41, v[42:43]
.LBB19_97:
	s_or_b64 exec, exec, s[4:5]
	s_waitcnt lgkmcnt(0)
	; wave barrier
	buffer_load_dword v45, off, s[0:3], 0 offset:156
	buffer_load_dword v46, off, s[0:3], 0 offset:152
	;; [unrolled: 1-line block ×4, first 2 shown]
	v_mov_b32_e32 v42, 0
	ds_read_b64 v[43:44], v42 offset:312
	v_cmp_lt_u32_e32 vcc, 17, v0
	s_waitcnt vmcnt(3) lgkmcnt(0)
	v_mul_f32_e32 v49, v43, v45
	v_mul_f32_e32 v45, v44, v45
	s_waitcnt vmcnt(2)
	v_fma_f32 v43, v43, v46, -v45
	v_fmac_f32_e32 v49, v44, v46
	v_add_f32_e32 v43, 0, v43
	v_add_f32_e32 v44, 0, v49
	s_waitcnt vmcnt(1)
	v_sub_f32_e32 v43, v47, v43
	s_waitcnt vmcnt(0)
	v_sub_f32_e32 v44, v48, v44
	buffer_store_dword v43, off, s[0:3], 0 offset:144
	buffer_store_dword v44, off, s[0:3], 0 offset:148
	s_and_saveexec_b64 s[4:5], vcc
	s_cbranch_execz .LBB19_99
; %bb.98:
	buffer_load_dword v43, off, s[0:3], 0 offset:136
	buffer_load_dword v44, off, s[0:3], 0 offset:140
	s_waitcnt vmcnt(0)
	ds_write_b64 v41, v[43:44]
	buffer_store_dword v42, off, s[0:3], 0 offset:136
	buffer_store_dword v42, off, s[0:3], 0 offset:140
.LBB19_99:
	s_or_b64 exec, exec, s[4:5]
	s_waitcnt lgkmcnt(0)
	; wave barrier
	buffer_load_dword v46, off, s[0:3], 0 offset:148
	buffer_load_dword v47, off, s[0:3], 0 offset:156
	;; [unrolled: 1-line block ×6, first 2 shown]
	ds_read_b128 v[42:45], v42 offset:304
	v_cmp_lt_u32_e32 vcc, 16, v0
	s_waitcnt vmcnt(5) lgkmcnt(0)
	v_mul_f32_e32 v52, v42, v46
	v_mul_f32_e32 v46, v43, v46
	s_waitcnt vmcnt(4)
	v_mul_f32_e32 v53, v44, v47
	v_mul_f32_e32 v47, v45, v47
	s_waitcnt vmcnt(3)
	v_fma_f32 v42, v42, v48, -v46
	v_fmac_f32_e32 v52, v43, v48
	s_waitcnt vmcnt(2)
	v_fma_f32 v43, v44, v49, -v47
	v_add_f32_e32 v42, 0, v42
	v_fmac_f32_e32 v53, v45, v49
	v_add_f32_e32 v44, 0, v52
	v_add_f32_e32 v42, v42, v43
	;; [unrolled: 1-line block ×3, first 2 shown]
	s_waitcnt vmcnt(1)
	v_sub_f32_e32 v42, v50, v42
	s_waitcnt vmcnt(0)
	v_sub_f32_e32 v43, v51, v44
	buffer_store_dword v42, off, s[0:3], 0 offset:136
	buffer_store_dword v43, off, s[0:3], 0 offset:140
	s_and_saveexec_b64 s[4:5], vcc
	s_cbranch_execz .LBB19_101
; %bb.100:
	buffer_load_dword v42, off, s[0:3], 0 offset:128
	buffer_load_dword v43, off, s[0:3], 0 offset:132
	v_mov_b32_e32 v44, 0
	buffer_store_dword v44, off, s[0:3], 0 offset:128
	buffer_store_dword v44, off, s[0:3], 0 offset:132
	s_waitcnt vmcnt(2)
	ds_write_b64 v41, v[42:43]
.LBB19_101:
	s_or_b64 exec, exec, s[4:5]
	s_waitcnt lgkmcnt(0)
	; wave barrier
	buffer_load_dword v49, off, s[0:3], 0 offset:140
	buffer_load_dword v50, off, s[0:3], 0 offset:148
	;; [unrolled: 1-line block ×8, first 2 shown]
	v_mov_b32_e32 v42, 0
	ds_read2_b64 v[43:46], v42 offset0:37 offset1:38
	ds_read_b64 v[47:48], v42 offset:312
	v_cmp_lt_u32_e32 vcc, 15, v0
	s_waitcnt vmcnt(7) lgkmcnt(1)
	v_mul_f32_e32 v57, v43, v49
	v_mul_f32_e32 v49, v44, v49
	s_waitcnt vmcnt(6)
	v_mul_f32_e32 v58, v45, v50
	v_mul_f32_e32 v50, v46, v50
	s_waitcnt vmcnt(4)
	v_fma_f32 v43, v43, v52, -v49
	s_waitcnt lgkmcnt(0)
	v_mul_f32_e32 v59, v47, v51
	v_mul_f32_e32 v51, v48, v51
	v_fmac_f32_e32 v57, v44, v52
	s_waitcnt vmcnt(3)
	v_fma_f32 v44, v45, v53, -v50
	v_add_f32_e32 v43, 0, v43
	v_fmac_f32_e32 v58, v46, v53
	s_waitcnt vmcnt(2)
	v_fma_f32 v45, v47, v54, -v51
	v_add_f32_e32 v46, 0, v57
	v_add_f32_e32 v43, v43, v44
	v_fmac_f32_e32 v59, v48, v54
	v_add_f32_e32 v46, v46, v58
	v_add_f32_e32 v43, v43, v45
	;; [unrolled: 1-line block ×3, first 2 shown]
	s_waitcnt vmcnt(1)
	v_sub_f32_e32 v43, v55, v43
	s_waitcnt vmcnt(0)
	v_sub_f32_e32 v44, v56, v44
	buffer_store_dword v43, off, s[0:3], 0 offset:128
	buffer_store_dword v44, off, s[0:3], 0 offset:132
	s_and_saveexec_b64 s[4:5], vcc
	s_cbranch_execz .LBB19_103
; %bb.102:
	buffer_load_dword v43, off, s[0:3], 0 offset:120
	buffer_load_dword v44, off, s[0:3], 0 offset:124
	s_waitcnt vmcnt(0)
	ds_write_b64 v41, v[43:44]
	buffer_store_dword v42, off, s[0:3], 0 offset:120
	buffer_store_dword v42, off, s[0:3], 0 offset:124
.LBB19_103:
	s_or_b64 exec, exec, s[4:5]
	s_waitcnt lgkmcnt(0)
	; wave barrier
	ds_read_b128 v[43:46], v42 offset:288
	ds_read_b128 v[47:50], v42 offset:304
	buffer_load_dword v42, off, s[0:3], 0 offset:120
	buffer_load_dword v51, off, s[0:3], 0 offset:124
	buffer_load_dword v52, off, s[0:3], 0 offset:128
	buffer_load_dword v53, off, s[0:3], 0 offset:132
	buffer_load_dword v54, off, s[0:3], 0 offset:136
	buffer_load_dword v55, off, s[0:3], 0 offset:140
	buffer_load_dword v56, off, s[0:3], 0 offset:144
	buffer_load_dword v57, off, s[0:3], 0 offset:148
	buffer_load_dword v58, off, s[0:3], 0 offset:152
	buffer_load_dword v59, off, s[0:3], 0 offset:156
	v_cmp_lt_u32_e32 vcc, 14, v0
	s_waitcnt vmcnt(6) lgkmcnt(1)
	v_mul_f32_e32 v60, v43, v53
	v_fmac_f32_e32 v60, v44, v52
	v_mul_f32_e32 v44, v44, v53
	v_fma_f32 v43, v43, v52, -v44
	s_waitcnt vmcnt(4)
	v_mul_f32_e32 v44, v46, v55
	v_mul_f32_e32 v61, v45, v55
	v_add_f32_e32 v43, 0, v43
	v_fma_f32 v44, v45, v54, -v44
	v_add_f32_e32 v60, 0, v60
	v_fmac_f32_e32 v61, v46, v54
	v_add_f32_e32 v43, v43, v44
	s_waitcnt vmcnt(2) lgkmcnt(0)
	v_mul_f32_e32 v44, v48, v57
	v_add_f32_e32 v60, v60, v61
	v_mul_f32_e32 v61, v47, v57
	v_fma_f32 v44, v47, v56, -v44
	v_fmac_f32_e32 v61, v48, v56
	v_add_f32_e32 v43, v43, v44
	s_waitcnt vmcnt(0)
	v_mul_f32_e32 v44, v50, v59
	v_add_f32_e32 v60, v60, v61
	v_mul_f32_e32 v61, v49, v59
	v_fma_f32 v44, v49, v58, -v44
	v_fmac_f32_e32 v61, v50, v58
	v_add_f32_e32 v43, v43, v44
	v_add_f32_e32 v60, v60, v61
	v_sub_f32_e32 v42, v42, v43
	v_sub_f32_e32 v43, v51, v60
	buffer_store_dword v42, off, s[0:3], 0 offset:120
	buffer_store_dword v43, off, s[0:3], 0 offset:124
	s_and_saveexec_b64 s[4:5], vcc
	s_cbranch_execz .LBB19_105
; %bb.104:
	buffer_load_dword v42, off, s[0:3], 0 offset:112
	buffer_load_dword v43, off, s[0:3], 0 offset:116
	v_mov_b32_e32 v44, 0
	buffer_store_dword v44, off, s[0:3], 0 offset:112
	buffer_store_dword v44, off, s[0:3], 0 offset:116
	s_waitcnt vmcnt(2)
	ds_write_b64 v41, v[42:43]
.LBB19_105:
	s_or_b64 exec, exec, s[4:5]
	s_waitcnt lgkmcnt(0)
	; wave barrier
	buffer_load_dword v53, off, s[0:3], 0 offset:124
	buffer_load_dword v54, off, s[0:3], 0 offset:132
	;; [unrolled: 1-line block ×12, first 2 shown]
	v_mov_b32_e32 v42, 0
	ds_read2_b64 v[43:46], v42 offset0:35 offset1:36
	ds_read2_b64 v[47:50], v42 offset0:37 offset1:38
	ds_read_b64 v[51:52], v42 offset:312
	v_cmp_lt_u32_e32 vcc, 13, v0
	s_waitcnt vmcnt(11) lgkmcnt(2)
	v_mul_f32_e32 v65, v43, v53
	v_mul_f32_e32 v53, v44, v53
	s_waitcnt vmcnt(10)
	v_mul_f32_e32 v66, v45, v54
	v_mul_f32_e32 v54, v46, v54
	s_waitcnt vmcnt(9) lgkmcnt(1)
	v_mul_f32_e32 v67, v47, v55
	s_waitcnt vmcnt(6)
	v_fma_f32 v43, v43, v58, -v53
	v_mul_f32_e32 v55, v48, v55
	v_fmac_f32_e32 v65, v44, v58
	s_waitcnt vmcnt(5)
	v_fma_f32 v44, v45, v59, -v54
	v_add_f32_e32 v43, 0, v43
	v_mul_f32_e32 v68, v49, v56
	v_mul_f32_e32 v56, v50, v56
	v_fmac_f32_e32 v66, v46, v59
	s_waitcnt vmcnt(4)
	v_fmac_f32_e32 v67, v48, v60
	v_fma_f32 v45, v47, v60, -v55
	v_add_f32_e32 v48, 0, v65
	v_add_f32_e32 v43, v43, v44
	s_waitcnt lgkmcnt(0)
	v_mul_f32_e32 v69, v51, v57
	v_mul_f32_e32 v57, v52, v57
	s_waitcnt vmcnt(3)
	v_fma_f32 v46, v49, v61, -v56
	v_add_f32_e32 v48, v48, v66
	v_add_f32_e32 v43, v43, v45
	v_fmac_f32_e32 v68, v50, v61
	s_waitcnt vmcnt(2)
	v_fma_f32 v47, v51, v62, -v57
	v_add_f32_e32 v44, v48, v67
	v_add_f32_e32 v43, v43, v46
	v_fmac_f32_e32 v69, v52, v62
	v_add_f32_e32 v44, v44, v68
	v_add_f32_e32 v43, v43, v47
	v_add_f32_e32 v44, v44, v69
	s_waitcnt vmcnt(1)
	v_sub_f32_e32 v43, v63, v43
	s_waitcnt vmcnt(0)
	v_sub_f32_e32 v44, v64, v44
	buffer_store_dword v43, off, s[0:3], 0 offset:112
	buffer_store_dword v44, off, s[0:3], 0 offset:116
	s_and_saveexec_b64 s[4:5], vcc
	s_cbranch_execz .LBB19_107
; %bb.106:
	buffer_load_dword v43, off, s[0:3], 0 offset:104
	buffer_load_dword v44, off, s[0:3], 0 offset:108
	s_waitcnt vmcnt(0)
	ds_write_b64 v41, v[43:44]
	buffer_store_dword v42, off, s[0:3], 0 offset:104
	buffer_store_dword v42, off, s[0:3], 0 offset:108
.LBB19_107:
	s_or_b64 exec, exec, s[4:5]
	s_waitcnt lgkmcnt(0)
	; wave barrier
	buffer_load_dword v55, off, s[0:3], 0 offset:116
	buffer_load_dword v56, off, s[0:3], 0 offset:124
	;; [unrolled: 1-line block ×14, first 2 shown]
	ds_read_b128 v[43:46], v42 offset:272
	ds_read_b128 v[47:50], v42 offset:288
	ds_read_b128 v[51:54], v42 offset:304
	v_cmp_lt_u32_e32 vcc, 12, v0
	s_waitcnt vmcnt(13) lgkmcnt(2)
	v_mul_f32_e32 v42, v43, v55
	v_mul_f32_e32 v55, v44, v55
	s_waitcnt vmcnt(12)
	v_mul_f32_e32 v69, v45, v56
	v_mul_f32_e32 v56, v46, v56
	s_waitcnt vmcnt(11) lgkmcnt(1)
	v_mul_f32_e32 v70, v47, v57
	v_mul_f32_e32 v57, v48, v57
	s_waitcnt vmcnt(7)
	v_fma_f32 v43, v43, v61, -v55
	v_fmac_f32_e32 v42, v44, v61
	s_waitcnt vmcnt(6)
	v_fma_f32 v44, v45, v62, -v56
	v_add_f32_e32 v43, 0, v43
	v_mul_f32_e32 v71, v49, v58
	v_mul_f32_e32 v58, v50, v58
	v_fmac_f32_e32 v69, v46, v62
	s_waitcnt vmcnt(5)
	v_fma_f32 v45, v47, v63, -v57
	v_add_f32_e32 v42, 0, v42
	v_add_f32_e32 v43, v43, v44
	s_waitcnt lgkmcnt(0)
	v_mul_f32_e32 v72, v51, v59
	v_mul_f32_e32 v59, v52, v59
	v_fmac_f32_e32 v70, v48, v63
	s_waitcnt vmcnt(4)
	v_fma_f32 v46, v49, v64, -v58
	v_add_f32_e32 v42, v42, v69
	v_add_f32_e32 v43, v43, v45
	v_mul_f32_e32 v73, v53, v60
	v_mul_f32_e32 v60, v54, v60
	v_fmac_f32_e32 v71, v50, v64
	s_waitcnt vmcnt(3)
	v_fma_f32 v47, v51, v65, -v59
	v_add_f32_e32 v42, v42, v70
	v_add_f32_e32 v43, v43, v46
	v_fmac_f32_e32 v72, v52, v65
	s_waitcnt vmcnt(2)
	v_fma_f32 v48, v53, v66, -v60
	v_add_f32_e32 v42, v42, v71
	v_add_f32_e32 v43, v43, v47
	v_fmac_f32_e32 v73, v54, v66
	v_add_f32_e32 v42, v42, v72
	v_add_f32_e32 v43, v43, v48
	;; [unrolled: 1-line block ×3, first 2 shown]
	s_waitcnt vmcnt(1)
	v_sub_f32_e32 v43, v67, v43
	s_waitcnt vmcnt(0)
	v_sub_f32_e32 v42, v68, v42
	buffer_store_dword v43, off, s[0:3], 0 offset:104
	buffer_store_dword v42, off, s[0:3], 0 offset:108
	s_and_saveexec_b64 s[4:5], vcc
	s_cbranch_execz .LBB19_109
; %bb.108:
	buffer_load_dword v42, off, s[0:3], 0 offset:96
	buffer_load_dword v43, off, s[0:3], 0 offset:100
	v_mov_b32_e32 v44, 0
	buffer_store_dword v44, off, s[0:3], 0 offset:96
	buffer_store_dword v44, off, s[0:3], 0 offset:100
	s_waitcnt vmcnt(2)
	ds_write_b64 v41, v[42:43]
.LBB19_109:
	s_or_b64 exec, exec, s[4:5]
	s_waitcnt lgkmcnt(0)
	; wave barrier
	buffer_load_dword v57, off, s[0:3], 0 offset:108
	buffer_load_dword v58, off, s[0:3], 0 offset:116
	;; [unrolled: 1-line block ×16, first 2 shown]
	v_mov_b32_e32 v42, 0
	ds_read2_b64 v[43:46], v42 offset0:33 offset1:34
	ds_read2_b64 v[47:50], v42 offset0:35 offset1:36
	;; [unrolled: 1-line block ×3, first 2 shown]
	ds_read_b64 v[55:56], v42 offset:312
	v_cmp_lt_u32_e32 vcc, 11, v0
	s_waitcnt vmcnt(15) lgkmcnt(3)
	v_mul_f32_e32 v73, v43, v57
	v_mul_f32_e32 v57, v44, v57
	s_waitcnt vmcnt(14)
	v_mul_f32_e32 v74, v45, v58
	v_mul_f32_e32 v58, v46, v58
	s_waitcnt vmcnt(13) lgkmcnt(2)
	v_mul_f32_e32 v75, v47, v59
	s_waitcnt vmcnt(12)
	v_mul_f32_e32 v76, v49, v60
	v_mul_f32_e32 v59, v48, v59
	s_waitcnt vmcnt(8)
	v_fma_f32 v43, v43, v64, -v57
	v_fmac_f32_e32 v73, v44, v64
	s_waitcnt vmcnt(7)
	v_fma_f32 v44, v45, v65, -v58
	v_add_f32_e32 v43, 0, v43
	v_mul_f32_e32 v60, v50, v60
	v_fmac_f32_e32 v74, v46, v65
	s_waitcnt vmcnt(5)
	v_fmac_f32_e32 v76, v50, v67
	v_fma_f32 v45, v47, v66, -v59
	v_add_f32_e32 v50, 0, v73
	v_add_f32_e32 v43, v43, v44
	s_waitcnt lgkmcnt(1)
	v_mul_f32_e32 v77, v51, v61
	v_mul_f32_e32 v61, v52, v61
	v_fmac_f32_e32 v75, v48, v66
	v_fma_f32 v46, v49, v67, -v60
	v_add_f32_e32 v50, v50, v74
	v_add_f32_e32 v43, v43, v45
	v_mul_f32_e32 v78, v53, v62
	v_mul_f32_e32 v62, v54, v62
	s_waitcnt vmcnt(4)
	v_fma_f32 v47, v51, v68, -v61
	v_add_f32_e32 v44, v50, v75
	v_add_f32_e32 v43, v43, v46
	s_waitcnt lgkmcnt(0)
	v_mul_f32_e32 v79, v55, v63
	v_mul_f32_e32 v63, v56, v63
	v_fmac_f32_e32 v77, v52, v68
	s_waitcnt vmcnt(3)
	v_fma_f32 v48, v53, v69, -v62
	v_add_f32_e32 v44, v44, v76
	v_add_f32_e32 v43, v43, v47
	v_fmac_f32_e32 v78, v54, v69
	s_waitcnt vmcnt(2)
	v_fma_f32 v49, v55, v70, -v63
	v_add_f32_e32 v44, v44, v77
	v_add_f32_e32 v43, v43, v48
	v_fmac_f32_e32 v79, v56, v70
	v_add_f32_e32 v44, v44, v78
	v_add_f32_e32 v43, v43, v49
	;; [unrolled: 1-line block ×3, first 2 shown]
	s_waitcnt vmcnt(1)
	v_sub_f32_e32 v43, v71, v43
	s_waitcnt vmcnt(0)
	v_sub_f32_e32 v44, v72, v44
	buffer_store_dword v43, off, s[0:3], 0 offset:96
	buffer_store_dword v44, off, s[0:3], 0 offset:100
	s_and_saveexec_b64 s[4:5], vcc
	s_cbranch_execz .LBB19_111
; %bb.110:
	buffer_load_dword v43, off, s[0:3], 0 offset:88
	buffer_load_dword v44, off, s[0:3], 0 offset:92
	s_waitcnt vmcnt(0)
	ds_write_b64 v41, v[43:44]
	buffer_store_dword v42, off, s[0:3], 0 offset:88
	buffer_store_dword v42, off, s[0:3], 0 offset:92
.LBB19_111:
	s_or_b64 exec, exec, s[4:5]
	s_waitcnt lgkmcnt(0)
	; wave barrier
	ds_read_b128 v[43:46], v42 offset:256
	ds_read_b128 v[47:50], v42 offset:272
	;; [unrolled: 1-line block ×4, first 2 shown]
	buffer_load_dword v42, off, s[0:3], 0 offset:88
	buffer_load_dword v59, off, s[0:3], 0 offset:92
	buffer_load_dword v60, off, s[0:3], 0 offset:96
	buffer_load_dword v61, off, s[0:3], 0 offset:100
	buffer_load_dword v62, off, s[0:3], 0 offset:104
	buffer_load_dword v63, off, s[0:3], 0 offset:108
	buffer_load_dword v64, off, s[0:3], 0 offset:112
	buffer_load_dword v65, off, s[0:3], 0 offset:116
	buffer_load_dword v66, off, s[0:3], 0 offset:120
	buffer_load_dword v67, off, s[0:3], 0 offset:124
	buffer_load_dword v68, off, s[0:3], 0 offset:128
	buffer_load_dword v69, off, s[0:3], 0 offset:132
	buffer_load_dword v70, off, s[0:3], 0 offset:136
	buffer_load_dword v71, off, s[0:3], 0 offset:140
	buffer_load_dword v72, off, s[0:3], 0 offset:144
	buffer_load_dword v73, off, s[0:3], 0 offset:148
	v_cmp_lt_u32_e32 vcc, 10, v0
	s_waitcnt vmcnt(12) lgkmcnt(3)
	v_mul_f32_e32 v74, v43, v61
	v_fmac_f32_e32 v74, v44, v60
	s_waitcnt vmcnt(10)
	v_mul_f32_e32 v75, v45, v63
	v_add_f32_e32 v74, 0, v74
	v_fmac_f32_e32 v75, v46, v62
	v_add_f32_e32 v74, v74, v75
	s_waitcnt vmcnt(8) lgkmcnt(2)
	v_mul_f32_e32 v75, v47, v65
	v_fmac_f32_e32 v75, v48, v64
	v_add_f32_e32 v74, v74, v75
	s_waitcnt vmcnt(6)
	v_mul_f32_e32 v75, v49, v67
	v_fmac_f32_e32 v75, v50, v66
	v_add_f32_e32 v74, v74, v75
	s_waitcnt vmcnt(4) lgkmcnt(1)
	v_mul_f32_e32 v75, v51, v69
	v_fmac_f32_e32 v75, v52, v68
	v_add_f32_e32 v74, v74, v75
	s_waitcnt vmcnt(2)
	v_mul_f32_e32 v75, v53, v71
	v_fmac_f32_e32 v75, v54, v70
	v_add_f32_e32 v74, v74, v75
	s_waitcnt vmcnt(0) lgkmcnt(0)
	v_mul_f32_e32 v75, v55, v73
	v_fmac_f32_e32 v75, v56, v72
	v_add_f32_e32 v74, v74, v75
	buffer_load_dword v75, off, s[0:3], 0 offset:152
	buffer_load_dword v76, off, s[0:3], 0 offset:156
	v_mul_f32_e32 v44, v44, v61
	v_fma_f32 v43, v43, v60, -v44
	v_mul_f32_e32 v44, v46, v63
	v_add_f32_e32 v43, 0, v43
	v_fma_f32 v44, v45, v62, -v44
	v_add_f32_e32 v43, v43, v44
	v_mul_f32_e32 v44, v48, v65
	v_fma_f32 v44, v47, v64, -v44
	v_add_f32_e32 v43, v43, v44
	v_mul_f32_e32 v44, v50, v67
	;; [unrolled: 3-line block ×5, first 2 shown]
	v_fma_f32 v44, v55, v72, -v44
	v_add_f32_e32 v43, v43, v44
	s_waitcnt vmcnt(0)
	v_mul_f32_e32 v44, v58, v76
	v_mul_f32_e32 v77, v57, v76
	v_fma_f32 v44, v57, v75, -v44
	v_fmac_f32_e32 v77, v58, v75
	v_add_f32_e32 v43, v43, v44
	v_add_f32_e32 v74, v74, v77
	v_sub_f32_e32 v42, v42, v43
	v_sub_f32_e32 v43, v59, v74
	buffer_store_dword v42, off, s[0:3], 0 offset:88
	buffer_store_dword v43, off, s[0:3], 0 offset:92
	s_and_saveexec_b64 s[4:5], vcc
	s_cbranch_execz .LBB19_113
; %bb.112:
	buffer_load_dword v42, off, s[0:3], 0 offset:80
	buffer_load_dword v43, off, s[0:3], 0 offset:84
	v_mov_b32_e32 v44, 0
	buffer_store_dword v44, off, s[0:3], 0 offset:80
	buffer_store_dword v44, off, s[0:3], 0 offset:84
	s_waitcnt vmcnt(2)
	ds_write_b64 v41, v[42:43]
.LBB19_113:
	s_or_b64 exec, exec, s[4:5]
	v_mov_b32_e32 v42, 0
	s_waitcnt lgkmcnt(0)
	; wave barrier
	ds_read2_b64 v[43:46], v42 offset0:31 offset1:32
	buffer_load_dword v61, off, s[0:3], 0 offset:80
	buffer_load_dword v62, off, s[0:3], 0 offset:84
	;; [unrolled: 1-line block ×16, first 2 shown]
	v_cmp_lt_u32_e32 vcc, 9, v0
	s_waitcnt vmcnt(12) lgkmcnt(0)
	v_mul_f32_e32 v47, v43, v64
	v_fmac_f32_e32 v47, v44, v63
	s_waitcnt vmcnt(10)
	v_mul_f32_e32 v48, v45, v66
	v_add_f32_e32 v47, 0, v47
	v_fmac_f32_e32 v48, v46, v65
	v_add_f32_e32 v51, v47, v48
	ds_read2_b64 v[47:50], v42 offset0:33 offset1:34
	v_mul_f32_e32 v44, v44, v64
	v_fma_f32 v43, v43, v63, -v44
	v_mul_f32_e32 v44, v46, v66
	v_add_f32_e32 v43, 0, v43
	s_waitcnt vmcnt(8) lgkmcnt(0)
	v_mul_f32_e32 v52, v47, v68
	v_fmac_f32_e32 v52, v48, v67
	v_add_f32_e32 v51, v51, v52
	s_waitcnt vmcnt(6)
	v_mul_f32_e32 v52, v49, v70
	v_fmac_f32_e32 v52, v50, v69
	v_add_f32_e32 v55, v51, v52
	ds_read2_b64 v[51:54], v42 offset0:35 offset1:36
	v_fma_f32 v44, v45, v65, -v44
	v_add_f32_e32 v43, v43, v44
	v_mul_f32_e32 v44, v48, v68
	v_fma_f32 v44, v47, v67, -v44
	s_waitcnt vmcnt(4) lgkmcnt(0)
	v_mul_f32_e32 v56, v51, v72
	v_fmac_f32_e32 v56, v52, v71
	v_add_f32_e32 v55, v55, v56
	s_waitcnt vmcnt(2)
	v_mul_f32_e32 v56, v53, v74
	v_fmac_f32_e32 v56, v54, v73
	v_add_f32_e32 v59, v55, v56
	ds_read2_b64 v[55:58], v42 offset0:37 offset1:38
	buffer_load_dword v77, off, s[0:3], 0 offset:144
	buffer_load_dword v78, off, s[0:3], 0 offset:148
	v_add_f32_e32 v43, v43, v44
	v_mul_f32_e32 v44, v50, v70
	v_fma_f32 v44, v49, v69, -v44
	s_waitcnt vmcnt(2) lgkmcnt(0)
	v_mul_f32_e32 v60, v55, v76
	v_fmac_f32_e32 v60, v56, v75
	v_add_f32_e32 v59, v59, v60
	v_add_f32_e32 v43, v43, v44
	v_mul_f32_e32 v44, v52, v72
	v_fma_f32 v44, v51, v71, -v44
	v_add_f32_e32 v43, v43, v44
	v_mul_f32_e32 v44, v54, v74
	v_fma_f32 v44, v53, v73, -v44
	;; [unrolled: 3-line block ×3, first 2 shown]
	v_add_f32_e32 v43, v43, v44
	s_waitcnt vmcnt(0)
	v_mul_f32_e32 v60, v57, v78
	v_fmac_f32_e32 v60, v58, v77
	v_add_f32_e32 v79, v59, v60
	ds_read_b64 v[59:60], v42 offset:312
	buffer_load_dword v80, off, s[0:3], 0 offset:152
	buffer_load_dword v81, off, s[0:3], 0 offset:156
	v_mul_f32_e32 v44, v58, v78
	v_fma_f32 v44, v57, v77, -v44
	v_add_f32_e32 v43, v43, v44
	s_waitcnt vmcnt(0) lgkmcnt(0)
	v_mul_f32_e32 v44, v60, v81
	v_mul_f32_e32 v82, v59, v81
	v_fma_f32 v44, v59, v80, -v44
	v_fmac_f32_e32 v82, v60, v80
	v_add_f32_e32 v43, v43, v44
	v_add_f32_e32 v79, v79, v82
	v_sub_f32_e32 v43, v61, v43
	v_sub_f32_e32 v44, v62, v79
	buffer_store_dword v43, off, s[0:3], 0 offset:80
	buffer_store_dword v44, off, s[0:3], 0 offset:84
	s_and_saveexec_b64 s[4:5], vcc
	s_cbranch_execz .LBB19_115
; %bb.114:
	buffer_load_dword v43, off, s[0:3], 0 offset:72
	buffer_load_dword v44, off, s[0:3], 0 offset:76
	s_waitcnt vmcnt(0)
	ds_write_b64 v41, v[43:44]
	buffer_store_dword v42, off, s[0:3], 0 offset:72
	buffer_store_dword v42, off, s[0:3], 0 offset:76
.LBB19_115:
	s_or_b64 exec, exec, s[4:5]
	s_waitcnt lgkmcnt(0)
	; wave barrier
	buffer_load_dword v63, off, s[0:3], 0 offset:84
	buffer_load_dword v64, off, s[0:3], 0 offset:92
	buffer_load_dword v65, off, s[0:3], 0 offset:100
	buffer_load_dword v66, off, s[0:3], 0 offset:108
	buffer_load_dword v67, off, s[0:3], 0 offset:116
	buffer_load_dword v68, off, s[0:3], 0 offset:124
	buffer_load_dword v69, off, s[0:3], 0 offset:132
	buffer_load_dword v70, off, s[0:3], 0 offset:140
	buffer_load_dword v71, off, s[0:3], 0 offset:148
	buffer_load_dword v72, off, s[0:3], 0 offset:156
	buffer_load_dword v73, off, s[0:3], 0 offset:80
	buffer_load_dword v74, off, s[0:3], 0 offset:88
	buffer_load_dword v75, off, s[0:3], 0 offset:96
	buffer_load_dword v76, off, s[0:3], 0 offset:104
	buffer_load_dword v77, off, s[0:3], 0 offset:112
	buffer_load_dword v78, off, s[0:3], 0 offset:120
	buffer_load_dword v79, off, s[0:3], 0 offset:128
	buffer_load_dword v80, off, s[0:3], 0 offset:136
	buffer_load_dword v81, off, s[0:3], 0 offset:144
	buffer_load_dword v82, off, s[0:3], 0 offset:152
	buffer_load_dword v83, off, s[0:3], 0 offset:72
	buffer_load_dword v84, off, s[0:3], 0 offset:76
	ds_read_b128 v[43:46], v42 offset:240
	ds_read_b128 v[47:50], v42 offset:256
	;; [unrolled: 1-line block ×5, first 2 shown]
	v_cmp_lt_u32_e32 vcc, 8, v0
	s_waitcnt vmcnt(21) lgkmcnt(4)
	v_mul_f32_e32 v42, v43, v63
	v_mul_f32_e32 v63, v44, v63
	s_waitcnt vmcnt(20)
	v_mul_f32_e32 v85, v45, v64
	v_mul_f32_e32 v64, v46, v64
	s_waitcnt vmcnt(19) lgkmcnt(3)
	v_mul_f32_e32 v86, v47, v65
	v_mul_f32_e32 v65, v48, v65
	s_waitcnt vmcnt(18)
	v_mul_f32_e32 v87, v49, v66
	v_mul_f32_e32 v66, v50, v66
	s_waitcnt vmcnt(17) lgkmcnt(2)
	v_mul_f32_e32 v88, v51, v67
	v_mul_f32_e32 v67, v52, v67
	s_waitcnt vmcnt(11)
	v_fma_f32 v43, v43, v73, -v63
	v_fmac_f32_e32 v42, v44, v73
	s_waitcnt vmcnt(10)
	v_fma_f32 v44, v45, v74, -v64
	v_add_f32_e32 v43, 0, v43
	v_fmac_f32_e32 v85, v46, v74
	s_waitcnt vmcnt(9)
	v_fma_f32 v45, v47, v75, -v65
	v_add_f32_e32 v42, 0, v42
	v_add_f32_e32 v43, v43, v44
	v_fmac_f32_e32 v86, v48, v75
	s_waitcnt vmcnt(8)
	v_fma_f32 v46, v49, v76, -v66
	v_add_f32_e32 v42, v42, v85
	v_add_f32_e32 v43, v43, v45
	v_mul_f32_e32 v89, v53, v68
	v_mul_f32_e32 v68, v54, v68
	v_fmac_f32_e32 v87, v50, v76
	s_waitcnt vmcnt(7)
	v_fma_f32 v47, v51, v77, -v67
	v_add_f32_e32 v42, v42, v86
	v_add_f32_e32 v43, v43, v46
	s_waitcnt lgkmcnt(1)
	v_mul_f32_e32 v90, v55, v69
	v_mul_f32_e32 v69, v56, v69
	v_fmac_f32_e32 v88, v52, v77
	s_waitcnt vmcnt(6)
	v_fma_f32 v48, v53, v78, -v68
	v_add_f32_e32 v42, v42, v87
	v_add_f32_e32 v43, v43, v47
	v_mul_f32_e32 v91, v57, v70
	v_mul_f32_e32 v70, v58, v70
	v_fmac_f32_e32 v89, v54, v78
	s_waitcnt vmcnt(5)
	v_fma_f32 v49, v55, v79, -v69
	v_add_f32_e32 v42, v42, v88
	v_add_f32_e32 v43, v43, v48
	s_waitcnt lgkmcnt(0)
	v_mul_f32_e32 v92, v59, v71
	v_mul_f32_e32 v71, v60, v71
	v_fmac_f32_e32 v90, v56, v79
	s_waitcnt vmcnt(4)
	v_fma_f32 v50, v57, v80, -v70
	v_add_f32_e32 v42, v42, v89
	v_add_f32_e32 v43, v43, v49
	v_mul_f32_e32 v93, v61, v72
	v_mul_f32_e32 v72, v62, v72
	v_fmac_f32_e32 v91, v58, v80
	s_waitcnt vmcnt(3)
	v_fma_f32 v51, v59, v81, -v71
	v_add_f32_e32 v42, v42, v90
	v_add_f32_e32 v43, v43, v50
	v_fmac_f32_e32 v92, v60, v81
	s_waitcnt vmcnt(2)
	v_fma_f32 v52, v61, v82, -v72
	v_add_f32_e32 v42, v42, v91
	v_add_f32_e32 v43, v43, v51
	v_fmac_f32_e32 v93, v62, v82
	v_add_f32_e32 v42, v42, v92
	v_add_f32_e32 v43, v43, v52
	;; [unrolled: 1-line block ×3, first 2 shown]
	s_waitcnt vmcnt(1)
	v_sub_f32_e32 v43, v83, v43
	s_waitcnt vmcnt(0)
	v_sub_f32_e32 v42, v84, v42
	buffer_store_dword v43, off, s[0:3], 0 offset:72
	buffer_store_dword v42, off, s[0:3], 0 offset:76
	s_and_saveexec_b64 s[4:5], vcc
	s_cbranch_execz .LBB19_117
; %bb.116:
	buffer_load_dword v42, off, s[0:3], 0 offset:64
	buffer_load_dword v43, off, s[0:3], 0 offset:68
	v_mov_b32_e32 v44, 0
	buffer_store_dword v44, off, s[0:3], 0 offset:64
	buffer_store_dword v44, off, s[0:3], 0 offset:68
	s_waitcnt vmcnt(2)
	ds_write_b64 v41, v[42:43]
.LBB19_117:
	s_or_b64 exec, exec, s[4:5]
	s_waitcnt lgkmcnt(0)
	; wave barrier
	buffer_load_dword v65, off, s[0:3], 0 offset:76
	buffer_load_dword v66, off, s[0:3], 0 offset:84
	;; [unrolled: 1-line block ×24, first 2 shown]
	v_mov_b32_e32 v42, 0
	ds_read2_b64 v[43:46], v42 offset0:29 offset1:30
	ds_read2_b64 v[47:50], v42 offset0:31 offset1:32
	;; [unrolled: 1-line block ×5, first 2 shown]
	ds_read_b64 v[63:64], v42 offset:312
	v_cmp_lt_u32_e32 vcc, 7, v0
	s_waitcnt vmcnt(23) lgkmcnt(5)
	v_mul_f32_e32 v89, v43, v65
	v_mul_f32_e32 v65, v44, v65
	s_waitcnt vmcnt(22)
	v_mul_f32_e32 v90, v45, v66
	v_mul_f32_e32 v66, v46, v66
	s_waitcnt vmcnt(21) lgkmcnt(4)
	v_mul_f32_e32 v91, v47, v67
	v_mul_f32_e32 v67, v48, v67
	s_waitcnt vmcnt(20)
	v_mul_f32_e32 v92, v49, v68
	s_waitcnt vmcnt(19) lgkmcnt(3)
	v_mul_f32_e32 v93, v51, v69
	v_mul_f32_e32 v68, v50, v68
	;; [unrolled: 1-line block ×3, first 2 shown]
	s_waitcnt vmcnt(18)
	v_mul_f32_e32 v94, v53, v70
	s_waitcnt vmcnt(12)
	v_fma_f32 v43, v43, v76, -v65
	v_fmac_f32_e32 v89, v44, v76
	s_waitcnt vmcnt(11)
	v_fma_f32 v44, v45, v77, -v66
	v_add_f32_e32 v43, 0, v43
	s_waitcnt vmcnt(10)
	v_fma_f32 v45, v47, v78, -v67
	v_add_f32_e32 v43, v43, v44
	v_fmac_f32_e32 v90, v46, v77
	s_waitcnt vmcnt(8)
	v_fmac_f32_e32 v93, v52, v80
	v_fma_f32 v46, v49, v79, -v68
	v_add_f32_e32 v52, 0, v89
	v_add_f32_e32 v43, v43, v45
	v_mul_f32_e32 v70, v54, v70
	v_fmac_f32_e32 v91, v48, v78
	v_fma_f32 v47, v51, v80, -v69
	v_add_f32_e32 v52, v52, v90
	v_add_f32_e32 v43, v43, v46
	s_waitcnt lgkmcnt(2)
	v_mul_f32_e32 v95, v55, v71
	v_mul_f32_e32 v71, v56, v71
	v_fmac_f32_e32 v92, v50, v79
	s_waitcnt vmcnt(7)
	v_fma_f32 v48, v53, v81, -v70
	v_add_f32_e32 v44, v52, v91
	v_add_f32_e32 v43, v43, v47
	v_mul_f32_e32 v96, v57, v72
	v_mul_f32_e32 v72, v58, v72
	s_waitcnt vmcnt(6)
	v_fma_f32 v49, v55, v82, -v71
	v_add_f32_e32 v44, v44, v92
	v_add_f32_e32 v43, v43, v48
	s_waitcnt lgkmcnt(1)
	v_mul_f32_e32 v97, v59, v73
	v_mul_f32_e32 v73, v60, v73
	v_fmac_f32_e32 v94, v54, v81
	s_waitcnt vmcnt(5)
	v_fma_f32 v50, v57, v83, -v72
	v_add_f32_e32 v44, v44, v93
	v_add_f32_e32 v43, v43, v49
	v_fmac_f32_e32 v95, v56, v82
	s_waitcnt vmcnt(4)
	v_fma_f32 v51, v59, v84, -v73
	v_add_f32_e32 v44, v44, v94
	v_add_f32_e32 v43, v43, v50
	v_mul_f32_e32 v45, v62, v74
	v_fmac_f32_e32 v96, v58, v83
	v_add_f32_e32 v44, v44, v95
	v_add_f32_e32 v43, v43, v51
	s_waitcnt vmcnt(3)
	v_fma_f32 v45, v61, v85, -v45
	v_mul_f32_e32 v98, v61, v74
	v_fmac_f32_e32 v97, v60, v84
	v_add_f32_e32 v44, v44, v96
	v_add_f32_e32 v43, v43, v45
	s_waitcnt lgkmcnt(0)
	v_mul_f32_e32 v45, v64, v75
	v_mul_f32_e32 v99, v63, v75
	v_fmac_f32_e32 v98, v62, v85
	v_add_f32_e32 v44, v44, v97
	s_waitcnt vmcnt(2)
	v_fma_f32 v45, v63, v86, -v45
	v_fmac_f32_e32 v99, v64, v86
	v_add_f32_e32 v44, v44, v98
	v_add_f32_e32 v43, v43, v45
	;; [unrolled: 1-line block ×3, first 2 shown]
	s_waitcnt vmcnt(1)
	v_sub_f32_e32 v43, v87, v43
	s_waitcnt vmcnt(0)
	v_sub_f32_e32 v44, v88, v44
	buffer_store_dword v43, off, s[0:3], 0 offset:64
	buffer_store_dword v44, off, s[0:3], 0 offset:68
	s_and_saveexec_b64 s[4:5], vcc
	s_cbranch_execz .LBB19_119
; %bb.118:
	buffer_load_dword v43, off, s[0:3], 0 offset:56
	buffer_load_dword v44, off, s[0:3], 0 offset:60
	s_waitcnt vmcnt(0)
	ds_write_b64 v41, v[43:44]
	buffer_store_dword v42, off, s[0:3], 0 offset:56
	buffer_store_dword v42, off, s[0:3], 0 offset:60
.LBB19_119:
	s_or_b64 exec, exec, s[4:5]
	s_waitcnt lgkmcnt(0)
	; wave barrier
	buffer_load_dword v67, off, s[0:3], 0 offset:68
	buffer_load_dword v68, off, s[0:3], 0 offset:76
	;; [unrolled: 1-line block ×26, first 2 shown]
	ds_read_b128 v[43:46], v42 offset:224
	ds_read_b128 v[47:50], v42 offset:240
	;; [unrolled: 1-line block ×6, first 2 shown]
	v_cmp_lt_u32_e32 vcc, 6, v0
	s_waitcnt vmcnt(25) lgkmcnt(5)
	v_mul_f32_e32 v42, v43, v67
	v_mul_f32_e32 v67, v44, v67
	s_waitcnt vmcnt(24)
	v_mul_f32_e32 v93, v45, v68
	v_mul_f32_e32 v68, v46, v68
	s_waitcnt vmcnt(23) lgkmcnt(4)
	v_mul_f32_e32 v94, v47, v69
	v_mul_f32_e32 v69, v48, v69
	s_waitcnt vmcnt(22)
	v_mul_f32_e32 v95, v49, v70
	v_mul_f32_e32 v70, v50, v70
	;; [unrolled: 6-line block ×3, first 2 shown]
	s_waitcnt vmcnt(13)
	v_fma_f32 v43, v43, v79, -v67
	v_fmac_f32_e32 v42, v44, v79
	s_waitcnt vmcnt(12)
	v_fma_f32 v44, v45, v80, -v68
	v_add_f32_e32 v43, 0, v43
	s_waitcnt vmcnt(11)
	v_fma_f32 v45, v47, v81, -v69
	v_add_f32_e32 v43, v43, v44
	v_fmac_f32_e32 v93, v46, v80
	s_waitcnt vmcnt(10)
	v_fma_f32 v46, v49, v82, -v70
	v_add_f32_e32 v43, v43, v45
	s_waitcnt vmcnt(9)
	v_fma_f32 v47, v51, v83, -v71
	v_add_f32_e32 v43, v43, v46
	s_waitcnt lgkmcnt(2)
	v_mul_f32_e32 v98, v55, v73
	v_mul_f32_e32 v73, v56, v73
	v_fmac_f32_e32 v94, v48, v81
	s_waitcnt vmcnt(8)
	v_fma_f32 v48, v53, v84, -v72
	v_add_f32_e32 v42, 0, v42
	v_add_f32_e32 v43, v43, v47
	v_mul_f32_e32 v99, v57, v74
	v_mul_f32_e32 v74, v58, v74
	s_waitcnt vmcnt(7)
	v_fma_f32 v49, v55, v85, -v73
	v_add_f32_e32 v42, v42, v93
	v_add_f32_e32 v43, v43, v48
	v_fmac_f32_e32 v95, v50, v82
	s_waitcnt vmcnt(6)
	v_fma_f32 v50, v57, v86, -v74
	v_add_f32_e32 v42, v42, v94
	v_add_f32_e32 v43, v43, v49
	s_waitcnt lgkmcnt(1)
	v_mul_f32_e32 v44, v60, v75
	v_fmac_f32_e32 v96, v52, v83
	v_add_f32_e32 v42, v42, v95
	v_add_f32_e32 v43, v43, v50
	s_waitcnt vmcnt(5)
	v_fma_f32 v44, v59, v87, -v44
	v_fmac_f32_e32 v97, v54, v84
	v_add_f32_e32 v42, v42, v96
	v_add_f32_e32 v43, v43, v44
	v_mul_f32_e32 v44, v62, v76
	v_fmac_f32_e32 v98, v56, v85
	v_add_f32_e32 v42, v42, v97
	s_waitcnt vmcnt(4)
	v_fma_f32 v44, v61, v88, -v44
	v_mul_f32_e32 v100, v59, v75
	v_fmac_f32_e32 v99, v58, v86
	v_add_f32_e32 v42, v42, v98
	v_add_f32_e32 v43, v43, v44
	s_waitcnt lgkmcnt(0)
	v_mul_f32_e32 v44, v64, v77
	v_mul_f32_e32 v101, v61, v76
	v_fmac_f32_e32 v100, v60, v87
	v_add_f32_e32 v42, v42, v99
	s_waitcnt vmcnt(3)
	v_fma_f32 v44, v63, v89, -v44
	v_mul_f32_e32 v102, v63, v77
	v_fmac_f32_e32 v101, v62, v88
	v_add_f32_e32 v42, v42, v100
	v_add_f32_e32 v43, v43, v44
	v_mul_f32_e32 v44, v66, v78
	v_mul_f32_e32 v103, v65, v78
	v_fmac_f32_e32 v102, v64, v89
	v_add_f32_e32 v42, v42, v101
	s_waitcnt vmcnt(2)
	v_fma_f32 v44, v65, v90, -v44
	v_fmac_f32_e32 v103, v66, v90
	v_add_f32_e32 v42, v42, v102
	v_add_f32_e32 v43, v43, v44
	;; [unrolled: 1-line block ×3, first 2 shown]
	s_waitcnt vmcnt(1)
	v_sub_f32_e32 v43, v91, v43
	s_waitcnt vmcnt(0)
	v_sub_f32_e32 v42, v92, v42
	buffer_store_dword v43, off, s[0:3], 0 offset:56
	buffer_store_dword v42, off, s[0:3], 0 offset:60
	s_and_saveexec_b64 s[4:5], vcc
	s_cbranch_execz .LBB19_121
; %bb.120:
	buffer_load_dword v42, off, s[0:3], 0 offset:48
	buffer_load_dword v43, off, s[0:3], 0 offset:52
	v_mov_b32_e32 v44, 0
	buffer_store_dword v44, off, s[0:3], 0 offset:48
	buffer_store_dword v44, off, s[0:3], 0 offset:52
	s_waitcnt vmcnt(2)
	ds_write_b64 v41, v[42:43]
.LBB19_121:
	s_or_b64 exec, exec, s[4:5]
	s_waitcnt lgkmcnt(0)
	; wave barrier
	buffer_load_dword v69, off, s[0:3], 0 offset:60
	buffer_load_dword v70, off, s[0:3], 0 offset:68
	;; [unrolled: 1-line block ×28, first 2 shown]
	v_mov_b32_e32 v42, 0
	ds_read2_b64 v[43:46], v42 offset0:27 offset1:28
	ds_read2_b64 v[47:50], v42 offset0:29 offset1:30
	;; [unrolled: 1-line block ×6, first 2 shown]
	ds_read_b64 v[67:68], v42 offset:312
	v_cmp_lt_u32_e32 vcc, 5, v0
	s_waitcnt vmcnt(27) lgkmcnt(6)
	v_mul_f32_e32 v97, v43, v69
	v_mul_f32_e32 v69, v44, v69
	s_waitcnt vmcnt(26)
	v_mul_f32_e32 v98, v45, v70
	v_mul_f32_e32 v70, v46, v70
	s_waitcnt vmcnt(25) lgkmcnt(5)
	v_mul_f32_e32 v99, v47, v71
	v_mul_f32_e32 v71, v48, v71
	s_waitcnt vmcnt(24)
	v_mul_f32_e32 v100, v49, v72
	v_mul_f32_e32 v72, v50, v72
	;; [unrolled: 6-line block ×3, first 2 shown]
	s_waitcnt vmcnt(21) lgkmcnt(3)
	v_mul_f32_e32 v103, v55, v75
	s_waitcnt vmcnt(14)
	v_fma_f32 v43, v43, v82, -v69
	v_fmac_f32_e32 v97, v44, v82
	s_waitcnt vmcnt(13)
	v_fma_f32 v44, v45, v83, -v70
	v_add_f32_e32 v43, 0, v43
	s_waitcnt vmcnt(12)
	v_fma_f32 v45, v47, v84, -v71
	v_add_f32_e32 v43, v43, v44
	v_fmac_f32_e32 v98, v46, v83
	s_waitcnt vmcnt(11)
	v_fma_f32 v46, v49, v85, -v72
	v_add_f32_e32 v43, v43, v45
	s_waitcnt vmcnt(10)
	v_fma_f32 v47, v51, v86, -v73
	v_add_f32_e32 v43, v43, v46
	v_fmac_f32_e32 v99, v48, v84
	s_waitcnt vmcnt(9)
	v_fma_f32 v48, v53, v87, -v74
	v_add_f32_e32 v43, v43, v47
	v_mul_f32_e32 v45, v56, v75
	v_add_f32_e32 v43, v43, v48
	s_waitcnt vmcnt(8)
	v_fma_f32 v45, v55, v88, -v45
	v_add_f32_e32 v43, v43, v45
	v_mul_f32_e32 v45, v58, v76
	v_add_f32_e32 v49, 0, v97
	s_waitcnt vmcnt(7)
	v_fma_f32 v45, v57, v89, -v45
	v_add_f32_e32 v49, v49, v98
	v_add_f32_e32 v43, v43, v45
	s_waitcnt lgkmcnt(2)
	v_mul_f32_e32 v45, v60, v77
	v_fmac_f32_e32 v100, v50, v85
	v_add_f32_e32 v44, v49, v99
	s_waitcnt vmcnt(6)
	v_fma_f32 v45, v59, v90, -v45
	v_fmac_f32_e32 v101, v52, v86
	v_add_f32_e32 v44, v44, v100
	v_add_f32_e32 v43, v43, v45
	v_mul_f32_e32 v45, v62, v78
	v_fmac_f32_e32 v102, v54, v87
	v_add_f32_e32 v44, v44, v101
	s_waitcnt vmcnt(5)
	v_fma_f32 v45, v61, v91, -v45
	v_mul_f32_e32 v104, v57, v76
	v_fmac_f32_e32 v103, v56, v88
	v_add_f32_e32 v44, v44, v102
	v_add_f32_e32 v43, v43, v45
	s_waitcnt lgkmcnt(1)
	v_mul_f32_e32 v45, v64, v79
	v_mul_f32_e32 v105, v59, v77
	v_fmac_f32_e32 v104, v58, v89
	v_add_f32_e32 v44, v44, v103
	s_waitcnt vmcnt(4)
	v_fma_f32 v45, v63, v92, -v45
	v_mul_f32_e32 v106, v61, v78
	v_fmac_f32_e32 v105, v60, v90
	v_add_f32_e32 v44, v44, v104
	v_add_f32_e32 v43, v43, v45
	v_mul_f32_e32 v45, v66, v80
	v_mul_f32_e32 v107, v63, v79
	v_fmac_f32_e32 v106, v62, v91
	v_add_f32_e32 v44, v44, v105
	s_waitcnt vmcnt(3)
	v_fma_f32 v45, v65, v93, -v45
	v_mul_f32_e32 v108, v65, v80
	v_fmac_f32_e32 v107, v64, v92
	v_add_f32_e32 v44, v44, v106
	v_add_f32_e32 v43, v43, v45
	s_waitcnt lgkmcnt(0)
	v_mul_f32_e32 v45, v68, v81
	v_mul_f32_e32 v109, v67, v81
	v_fmac_f32_e32 v108, v66, v93
	v_add_f32_e32 v44, v44, v107
	s_waitcnt vmcnt(2)
	v_fma_f32 v45, v67, v94, -v45
	v_fmac_f32_e32 v109, v68, v94
	v_add_f32_e32 v44, v44, v108
	v_add_f32_e32 v43, v43, v45
	v_add_f32_e32 v44, v44, v109
	s_waitcnt vmcnt(1)
	v_sub_f32_e32 v43, v95, v43
	s_waitcnt vmcnt(0)
	v_sub_f32_e32 v44, v96, v44
	buffer_store_dword v43, off, s[0:3], 0 offset:48
	buffer_store_dword v44, off, s[0:3], 0 offset:52
	s_and_saveexec_b64 s[4:5], vcc
	s_cbranch_execz .LBB19_123
; %bb.122:
	buffer_load_dword v43, off, s[0:3], 0 offset:40
	buffer_load_dword v44, off, s[0:3], 0 offset:44
	s_waitcnt vmcnt(0)
	ds_write_b64 v41, v[43:44]
	buffer_store_dword v42, off, s[0:3], 0 offset:40
	buffer_store_dword v42, off, s[0:3], 0 offset:44
.LBB19_123:
	s_or_b64 exec, exec, s[4:5]
	s_waitcnt lgkmcnt(0)
	; wave barrier
	buffer_load_dword v71, off, s[0:3], 0 offset:52
	buffer_load_dword v72, off, s[0:3], 0 offset:60
	;; [unrolled: 1-line block ×30, first 2 shown]
	ds_read_b128 v[43:46], v42 offset:208
	ds_read_b128 v[47:50], v42 offset:224
	;; [unrolled: 1-line block ×7, first 2 shown]
	v_cmp_lt_u32_e32 vcc, 4, v0
	s_waitcnt vmcnt(29) lgkmcnt(6)
	v_mul_f32_e32 v42, v43, v71
	v_mul_f32_e32 v71, v44, v71
	s_waitcnt vmcnt(28)
	v_mul_f32_e32 v101, v45, v72
	v_mul_f32_e32 v72, v46, v72
	s_waitcnt vmcnt(27) lgkmcnt(5)
	v_mul_f32_e32 v102, v47, v73
	v_mul_f32_e32 v73, v48, v73
	s_waitcnt vmcnt(26)
	v_mul_f32_e32 v103, v49, v74
	v_mul_f32_e32 v74, v50, v74
	s_waitcnt vmcnt(25) lgkmcnt(4)
	v_mul_f32_e32 v104, v51, v75
	v_mul_f32_e32 v75, v52, v75
	s_waitcnt vmcnt(24)
	v_mul_f32_e32 v105, v53, v76
	s_waitcnt vmcnt(23) lgkmcnt(3)
	v_mul_f32_e32 v106, v55, v77
	s_waitcnt vmcnt(22)
	v_mul_f32_e32 v107, v57, v78
	s_waitcnt vmcnt(21) lgkmcnt(2)
	v_mul_f32_e32 v108, v59, v79
	s_waitcnt vmcnt(15)
	v_fma_f32 v43, v43, v85, -v71
	v_fmac_f32_e32 v42, v44, v85
	s_waitcnt vmcnt(14)
	v_fma_f32 v44, v45, v86, -v72
	v_add_f32_e32 v43, 0, v43
	s_waitcnt vmcnt(13)
	v_fma_f32 v45, v47, v87, -v73
	v_add_f32_e32 v43, v43, v44
	v_fmac_f32_e32 v101, v46, v86
	s_waitcnt vmcnt(12)
	v_fma_f32 v46, v49, v88, -v74
	v_add_f32_e32 v43, v43, v45
	s_waitcnt vmcnt(11)
	v_fma_f32 v47, v51, v89, -v75
	v_add_f32_e32 v43, v43, v46
	v_mul_f32_e32 v44, v54, v76
	v_add_f32_e32 v43, v43, v47
	s_waitcnt vmcnt(10)
	v_fma_f32 v44, v53, v90, -v44
	v_add_f32_e32 v43, v43, v44
	v_mul_f32_e32 v44, v56, v77
	s_waitcnt vmcnt(9)
	v_fma_f32 v44, v55, v91, -v44
	v_add_f32_e32 v43, v43, v44
	v_mul_f32_e32 v44, v58, v78
	s_waitcnt vmcnt(8)
	v_fma_f32 v44, v57, v92, -v44
	v_add_f32_e32 v42, 0, v42
	v_add_f32_e32 v43, v43, v44
	v_mul_f32_e32 v44, v60, v79
	v_fmac_f32_e32 v102, v48, v87
	v_add_f32_e32 v42, v42, v101
	s_waitcnt vmcnt(7)
	v_fma_f32 v44, v59, v93, -v44
	v_fmac_f32_e32 v103, v50, v88
	v_add_f32_e32 v42, v42, v102
	v_add_f32_e32 v43, v43, v44
	v_mul_f32_e32 v44, v62, v80
	v_fmac_f32_e32 v104, v52, v89
	v_add_f32_e32 v42, v42, v103
	s_waitcnt vmcnt(6)
	v_fma_f32 v44, v61, v94, -v44
	v_fmac_f32_e32 v105, v54, v90
	v_add_f32_e32 v42, v42, v104
	v_add_f32_e32 v43, v43, v44
	s_waitcnt lgkmcnt(1)
	v_mul_f32_e32 v44, v64, v81
	v_fmac_f32_e32 v106, v56, v91
	v_add_f32_e32 v42, v42, v105
	s_waitcnt vmcnt(5)
	v_fma_f32 v44, v63, v95, -v44
	v_fmac_f32_e32 v107, v58, v92
	v_add_f32_e32 v42, v42, v106
	v_add_f32_e32 v43, v43, v44
	v_mul_f32_e32 v44, v66, v82
	v_mul_f32_e32 v109, v61, v80
	v_fmac_f32_e32 v108, v60, v93
	v_add_f32_e32 v42, v42, v107
	s_waitcnt vmcnt(4)
	v_fma_f32 v44, v65, v96, -v44
	v_mul_f32_e32 v110, v63, v81
	v_fmac_f32_e32 v109, v62, v94
	v_add_f32_e32 v42, v42, v108
	v_add_f32_e32 v43, v43, v44
	s_waitcnt lgkmcnt(0)
	v_mul_f32_e32 v44, v68, v83
	v_mul_f32_e32 v111, v65, v82
	v_fmac_f32_e32 v110, v64, v95
	v_add_f32_e32 v42, v42, v109
	s_waitcnt vmcnt(3)
	v_fma_f32 v44, v67, v97, -v44
	v_mul_f32_e32 v112, v67, v83
	v_fmac_f32_e32 v111, v66, v96
	v_add_f32_e32 v42, v42, v110
	v_add_f32_e32 v43, v43, v44
	v_mul_f32_e32 v44, v70, v84
	v_mul_f32_e32 v113, v69, v84
	v_fmac_f32_e32 v112, v68, v97
	v_add_f32_e32 v42, v42, v111
	s_waitcnt vmcnt(2)
	v_fma_f32 v44, v69, v98, -v44
	v_fmac_f32_e32 v113, v70, v98
	v_add_f32_e32 v42, v42, v112
	v_add_f32_e32 v43, v43, v44
	;; [unrolled: 1-line block ×3, first 2 shown]
	s_waitcnt vmcnt(1)
	v_sub_f32_e32 v43, v99, v43
	s_waitcnt vmcnt(0)
	v_sub_f32_e32 v42, v100, v42
	buffer_store_dword v43, off, s[0:3], 0 offset:40
	buffer_store_dword v42, off, s[0:3], 0 offset:44
	s_and_saveexec_b64 s[4:5], vcc
	s_cbranch_execz .LBB19_125
; %bb.124:
	buffer_load_dword v42, off, s[0:3], 0 offset:32
	buffer_load_dword v43, off, s[0:3], 0 offset:36
	v_mov_b32_e32 v44, 0
	buffer_store_dword v44, off, s[0:3], 0 offset:32
	buffer_store_dword v44, off, s[0:3], 0 offset:36
	s_waitcnt vmcnt(2)
	ds_write_b64 v41, v[42:43]
.LBB19_125:
	s_or_b64 exec, exec, s[4:5]
	s_waitcnt lgkmcnt(0)
	; wave barrier
	buffer_load_dword v73, off, s[0:3], 0 offset:44
	buffer_load_dword v74, off, s[0:3], 0 offset:52
	;; [unrolled: 1-line block ×32, first 2 shown]
	v_mov_b32_e32 v42, 0
	ds_read2_b64 v[43:46], v42 offset0:25 offset1:26
	ds_read2_b64 v[47:50], v42 offset0:27 offset1:28
	;; [unrolled: 1-line block ×7, first 2 shown]
	ds_read_b64 v[71:72], v42 offset:312
	v_cmp_lt_u32_e32 vcc, 3, v0
	s_waitcnt vmcnt(31) lgkmcnt(7)
	v_mul_f32_e32 v105, v43, v73
	v_mul_f32_e32 v73, v44, v73
	s_waitcnt vmcnt(30)
	v_mul_f32_e32 v106, v45, v74
	v_mul_f32_e32 v74, v46, v74
	s_waitcnt vmcnt(29) lgkmcnt(6)
	v_mul_f32_e32 v107, v47, v75
	v_mul_f32_e32 v75, v48, v75
	s_waitcnt vmcnt(28)
	v_mul_f32_e32 v108, v49, v76
	s_waitcnt vmcnt(27) lgkmcnt(5)
	v_mul_f32_e32 v109, v51, v77
	s_waitcnt vmcnt(26)
	v_mul_f32_e32 v110, v53, v78
	s_waitcnt vmcnt(25) lgkmcnt(4)
	;; [unrolled: 4-line block ×4, first 2 shown]
	v_mul_f32_e32 v115, v63, v83
	s_waitcnt vmcnt(20)
	v_mul_f32_e32 v116, v65, v84
	s_waitcnt vmcnt(16)
	v_fma_f32 v43, v43, v88, -v73
	v_fmac_f32_e32 v105, v44, v88
	s_waitcnt vmcnt(15)
	v_fma_f32 v44, v45, v89, -v74
	v_add_f32_e32 v43, 0, v43
	s_waitcnt vmcnt(14)
	v_fma_f32 v45, v47, v90, -v75
	v_add_f32_e32 v43, v43, v44
	v_add_f32_e32 v43, v43, v45
	v_mul_f32_e32 v45, v50, v76
	s_waitcnt vmcnt(13)
	v_fma_f32 v45, v49, v91, -v45
	v_add_f32_e32 v43, v43, v45
	v_mul_f32_e32 v45, v52, v77
	s_waitcnt vmcnt(12)
	v_fma_f32 v45, v51, v92, -v45
	;; [unrolled: 4-line block ×5, first 2 shown]
	v_add_f32_e32 v43, v43, v45
	v_mul_f32_e32 v45, v60, v81
	v_fmac_f32_e32 v106, v46, v89
	v_add_f32_e32 v46, 0, v105
	s_waitcnt vmcnt(8)
	v_fma_f32 v45, v59, v96, -v45
	v_fmac_f32_e32 v107, v48, v90
	v_add_f32_e32 v46, v46, v106
	v_add_f32_e32 v43, v43, v45
	v_mul_f32_e32 v45, v62, v82
	v_fmac_f32_e32 v108, v50, v91
	v_add_f32_e32 v44, v46, v107
	s_waitcnt vmcnt(7)
	v_fma_f32 v45, v61, v97, -v45
	v_fmac_f32_e32 v109, v52, v92
	v_add_f32_e32 v44, v44, v108
	;; [unrolled: 8-line block ×4, first 2 shown]
	v_add_f32_e32 v43, v43, v45
	s_waitcnt lgkmcnt(1)
	v_mul_f32_e32 v45, v68, v85
	v_fmac_f32_e32 v114, v62, v97
	v_add_f32_e32 v44, v44, v113
	s_waitcnt vmcnt(4)
	v_fma_f32 v45, v67, v100, -v45
	v_fmac_f32_e32 v115, v64, v98
	v_add_f32_e32 v44, v44, v114
	v_add_f32_e32 v43, v43, v45
	v_mul_f32_e32 v45, v70, v86
	v_mul_f32_e32 v117, v67, v85
	v_fmac_f32_e32 v116, v66, v99
	v_add_f32_e32 v44, v44, v115
	s_waitcnt vmcnt(3)
	v_fma_f32 v45, v69, v101, -v45
	v_mul_f32_e32 v118, v69, v86
	v_fmac_f32_e32 v117, v68, v100
	v_add_f32_e32 v44, v44, v116
	v_add_f32_e32 v43, v43, v45
	s_waitcnt lgkmcnt(0)
	v_mul_f32_e32 v45, v72, v87
	v_mul_f32_e32 v119, v71, v87
	v_fmac_f32_e32 v118, v70, v101
	v_add_f32_e32 v44, v44, v117
	s_waitcnt vmcnt(2)
	v_fma_f32 v45, v71, v102, -v45
	v_fmac_f32_e32 v119, v72, v102
	v_add_f32_e32 v44, v44, v118
	v_add_f32_e32 v43, v43, v45
	;; [unrolled: 1-line block ×3, first 2 shown]
	s_waitcnt vmcnt(1)
	v_sub_f32_e32 v43, v103, v43
	s_waitcnt vmcnt(0)
	v_sub_f32_e32 v44, v104, v44
	buffer_store_dword v43, off, s[0:3], 0 offset:32
	buffer_store_dword v44, off, s[0:3], 0 offset:36
	s_and_saveexec_b64 s[4:5], vcc
	s_cbranch_execz .LBB19_127
; %bb.126:
	buffer_load_dword v43, off, s[0:3], 0 offset:24
	buffer_load_dword v44, off, s[0:3], 0 offset:28
	s_waitcnt vmcnt(0)
	ds_write_b64 v41, v[43:44]
	buffer_store_dword v42, off, s[0:3], 0 offset:24
	buffer_store_dword v42, off, s[0:3], 0 offset:28
.LBB19_127:
	s_or_b64 exec, exec, s[4:5]
	s_waitcnt lgkmcnt(0)
	; wave barrier
	buffer_load_dword v75, off, s[0:3], 0 offset:36
	buffer_load_dword v76, off, s[0:3], 0 offset:44
	;; [unrolled: 1-line block ×34, first 2 shown]
	ds_read_b128 v[43:46], v42 offset:192
	ds_read_b128 v[47:50], v42 offset:208
	;; [unrolled: 1-line block ×8, first 2 shown]
	v_cmp_lt_u32_e32 vcc, 2, v0
	s_waitcnt vmcnt(33) lgkmcnt(7)
	v_mul_f32_e32 v42, v43, v75
	v_mul_f32_e32 v75, v44, v75
	s_waitcnt vmcnt(32)
	v_mul_f32_e32 v109, v45, v76
	v_mul_f32_e32 v76, v46, v76
	s_waitcnt vmcnt(31) lgkmcnt(6)
	v_mul_f32_e32 v110, v47, v77
	s_waitcnt vmcnt(30)
	v_mul_f32_e32 v111, v49, v78
	s_waitcnt vmcnt(29) lgkmcnt(5)
	v_mul_f32_e32 v112, v51, v79
	s_waitcnt vmcnt(28)
	;; [unrolled: 4-line block ×6, first 2 shown]
	v_mul_f32_e32 v121, v69, v88
	s_waitcnt vmcnt(17)
	v_fma_f32 v43, v43, v91, -v75
	v_fmac_f32_e32 v42, v44, v91
	s_waitcnt vmcnt(16)
	v_fma_f32 v44, v45, v92, -v76
	v_add_f32_e32 v43, 0, v43
	v_add_f32_e32 v43, v43, v44
	v_mul_f32_e32 v44, v48, v77
	s_waitcnt vmcnt(15)
	v_fma_f32 v44, v47, v93, -v44
	v_add_f32_e32 v43, v43, v44
	v_mul_f32_e32 v44, v50, v78
	s_waitcnt vmcnt(14)
	v_fma_f32 v44, v49, v94, -v44
	;; [unrolled: 4-line block ×7, first 2 shown]
	v_fmac_f32_e32 v109, v46, v92
	v_add_f32_e32 v42, 0, v42
	v_add_f32_e32 v43, v43, v44
	v_mul_f32_e32 v44, v62, v84
	v_fmac_f32_e32 v110, v48, v93
	v_add_f32_e32 v42, v42, v109
	s_waitcnt vmcnt(8)
	v_fma_f32 v44, v61, v100, -v44
	v_fmac_f32_e32 v111, v50, v94
	v_add_f32_e32 v42, v42, v110
	v_add_f32_e32 v43, v43, v44
	v_mul_f32_e32 v44, v64, v85
	v_fmac_f32_e32 v112, v52, v95
	v_add_f32_e32 v42, v42, v111
	s_waitcnt vmcnt(7)
	v_fma_f32 v44, v63, v101, -v44
	;; [unrolled: 8-line block ×5, first 2 shown]
	v_fmac_f32_e32 v119, v66, v102
	v_add_f32_e32 v42, v42, v118
	v_add_f32_e32 v43, v43, v44
	s_waitcnt lgkmcnt(0)
	v_mul_f32_e32 v44, v72, v89
	v_fmac_f32_e32 v120, v68, v103
	v_add_f32_e32 v42, v42, v119
	s_waitcnt vmcnt(3)
	v_fma_f32 v44, v71, v105, -v44
	v_mul_f32_e32 v122, v71, v89
	v_fmac_f32_e32 v121, v70, v104
	v_add_f32_e32 v42, v42, v120
	v_add_f32_e32 v43, v43, v44
	v_mul_f32_e32 v44, v74, v90
	v_mul_f32_e32 v123, v73, v90
	v_fmac_f32_e32 v122, v72, v105
	v_add_f32_e32 v42, v42, v121
	s_waitcnt vmcnt(2)
	v_fma_f32 v44, v73, v106, -v44
	v_fmac_f32_e32 v123, v74, v106
	v_add_f32_e32 v42, v42, v122
	v_add_f32_e32 v43, v43, v44
	;; [unrolled: 1-line block ×3, first 2 shown]
	s_waitcnt vmcnt(1)
	v_sub_f32_e32 v43, v107, v43
	s_waitcnt vmcnt(0)
	v_sub_f32_e32 v42, v108, v42
	buffer_store_dword v43, off, s[0:3], 0 offset:24
	buffer_store_dword v42, off, s[0:3], 0 offset:28
	s_and_saveexec_b64 s[4:5], vcc
	s_cbranch_execz .LBB19_129
; %bb.128:
	buffer_load_dword v42, off, s[0:3], 0 offset:16
	buffer_load_dword v43, off, s[0:3], 0 offset:20
	v_mov_b32_e32 v44, 0
	buffer_store_dword v44, off, s[0:3], 0 offset:16
	buffer_store_dword v44, off, s[0:3], 0 offset:20
	s_waitcnt vmcnt(2)
	ds_write_b64 v41, v[42:43]
.LBB19_129:
	s_or_b64 exec, exec, s[4:5]
	v_mov_b32_e32 v42, 0
	s_waitcnt lgkmcnt(0)
	; wave barrier
	ds_read2_b64 v[43:46], v42 offset0:23 offset1:24
	buffer_load_dword v77, off, s[0:3], 0 offset:16
	buffer_load_dword v78, off, s[0:3], 0 offset:20
	;; [unrolled: 1-line block ×16, first 2 shown]
	v_cmp_lt_u32_e32 vcc, 1, v0
	s_waitcnt vmcnt(12) lgkmcnt(0)
	v_mul_f32_e32 v47, v43, v80
	v_fmac_f32_e32 v47, v44, v79
	s_waitcnt vmcnt(10)
	v_mul_f32_e32 v48, v45, v82
	v_add_f32_e32 v47, 0, v47
	v_fmac_f32_e32 v48, v46, v81
	v_add_f32_e32 v51, v47, v48
	ds_read2_b64 v[47:50], v42 offset0:25 offset1:26
	v_mul_f32_e32 v44, v44, v80
	v_fma_f32 v43, v43, v79, -v44
	v_mul_f32_e32 v44, v46, v82
	v_add_f32_e32 v43, 0, v43
	s_waitcnt vmcnt(8) lgkmcnt(0)
	v_mul_f32_e32 v52, v47, v84
	v_fmac_f32_e32 v52, v48, v83
	v_add_f32_e32 v51, v51, v52
	s_waitcnt vmcnt(6)
	v_mul_f32_e32 v52, v49, v86
	v_fmac_f32_e32 v52, v50, v85
	v_add_f32_e32 v55, v51, v52
	ds_read2_b64 v[51:54], v42 offset0:27 offset1:28
	v_fma_f32 v44, v45, v81, -v44
	v_add_f32_e32 v43, v43, v44
	v_mul_f32_e32 v44, v48, v84
	v_fma_f32 v44, v47, v83, -v44
	s_waitcnt vmcnt(4) lgkmcnt(0)
	v_mul_f32_e32 v56, v51, v88
	v_fmac_f32_e32 v56, v52, v87
	v_add_f32_e32 v55, v55, v56
	s_waitcnt vmcnt(2)
	v_mul_f32_e32 v56, v53, v90
	v_fmac_f32_e32 v56, v54, v89
	v_add_f32_e32 v59, v55, v56
	ds_read2_b64 v[55:58], v42 offset0:29 offset1:30
	buffer_load_dword v93, off, s[0:3], 0 offset:80
	buffer_load_dword v94, off, s[0:3], 0 offset:84
	v_add_f32_e32 v43, v43, v44
	v_mul_f32_e32 v44, v50, v86
	v_fma_f32 v44, v49, v85, -v44
	s_waitcnt vmcnt(2) lgkmcnt(0)
	v_mul_f32_e32 v60, v55, v92
	v_fmac_f32_e32 v60, v56, v91
	v_add_f32_e32 v59, v59, v60
	v_add_f32_e32 v43, v43, v44
	v_mul_f32_e32 v44, v52, v88
	v_fma_f32 v44, v51, v87, -v44
	v_add_f32_e32 v43, v43, v44
	v_mul_f32_e32 v44, v54, v90
	v_fma_f32 v44, v53, v89, -v44
	;; [unrolled: 3-line block ×3, first 2 shown]
	v_add_f32_e32 v43, v43, v44
	s_waitcnt vmcnt(0)
	v_mul_f32_e32 v60, v57, v94
	v_fmac_f32_e32 v60, v58, v93
	v_add_f32_e32 v63, v59, v60
	ds_read2_b64 v[59:62], v42 offset0:31 offset1:32
	buffer_load_dword v95, off, s[0:3], 0 offset:88
	buffer_load_dword v96, off, s[0:3], 0 offset:92
	;; [unrolled: 1-line block ×4, first 2 shown]
	v_mul_f32_e32 v44, v58, v94
	v_fma_f32 v44, v57, v93, -v44
	v_add_f32_e32 v43, v43, v44
	s_waitcnt vmcnt(2) lgkmcnt(0)
	v_mul_f32_e32 v64, v59, v96
	v_fmac_f32_e32 v64, v60, v95
	v_add_f32_e32 v63, v63, v64
	s_waitcnt vmcnt(0)
	v_mul_f32_e32 v64, v61, v98
	v_fmac_f32_e32 v64, v62, v97
	v_add_f32_e32 v67, v63, v64
	ds_read2_b64 v[63:66], v42 offset0:33 offset1:34
	buffer_load_dword v99, off, s[0:3], 0 offset:104
	buffer_load_dword v100, off, s[0:3], 0 offset:108
	buffer_load_dword v101, off, s[0:3], 0 offset:112
	buffer_load_dword v102, off, s[0:3], 0 offset:116
	v_mul_f32_e32 v44, v60, v96
	v_fma_f32 v44, v59, v95, -v44
	v_add_f32_e32 v43, v43, v44
	v_mul_f32_e32 v44, v62, v98
	v_fma_f32 v44, v61, v97, -v44
	v_add_f32_e32 v43, v43, v44
	s_waitcnt vmcnt(2) lgkmcnt(0)
	v_mul_f32_e32 v68, v63, v100
	v_fmac_f32_e32 v68, v64, v99
	v_add_f32_e32 v67, v67, v68
	s_waitcnt vmcnt(0)
	v_mul_f32_e32 v68, v65, v102
	v_fmac_f32_e32 v68, v66, v101
	v_add_f32_e32 v71, v67, v68
	ds_read2_b64 v[67:70], v42 offset0:35 offset1:36
	buffer_load_dword v103, off, s[0:3], 0 offset:120
	buffer_load_dword v104, off, s[0:3], 0 offset:124
	buffer_load_dword v105, off, s[0:3], 0 offset:128
	buffer_load_dword v106, off, s[0:3], 0 offset:132
	v_mul_f32_e32 v44, v64, v100
	v_fma_f32 v44, v63, v99, -v44
	v_add_f32_e32 v43, v43, v44
	;; [unrolled: 19-line block ×3, first 2 shown]
	v_mul_f32_e32 v44, v70, v106
	v_fma_f32 v44, v69, v105, -v44
	v_add_f32_e32 v43, v43, v44
	s_waitcnt vmcnt(2) lgkmcnt(0)
	v_mul_f32_e32 v76, v71, v108
	v_fmac_f32_e32 v76, v72, v107
	v_add_f32_e32 v75, v75, v76
	s_waitcnt vmcnt(0)
	v_mul_f32_e32 v76, v73, v110
	v_fmac_f32_e32 v76, v74, v109
	v_add_f32_e32 v111, v75, v76
	ds_read_b64 v[75:76], v42 offset:312
	buffer_load_dword v112, off, s[0:3], 0 offset:152
	buffer_load_dword v113, off, s[0:3], 0 offset:156
	v_mul_f32_e32 v44, v72, v108
	v_fma_f32 v44, v71, v107, -v44
	v_add_f32_e32 v43, v43, v44
	v_mul_f32_e32 v44, v74, v110
	v_fma_f32 v44, v73, v109, -v44
	v_add_f32_e32 v43, v43, v44
	s_waitcnt vmcnt(0) lgkmcnt(0)
	v_mul_f32_e32 v44, v76, v113
	v_mul_f32_e32 v114, v75, v113
	v_fma_f32 v44, v75, v112, -v44
	v_fmac_f32_e32 v114, v76, v112
	v_add_f32_e32 v43, v43, v44
	v_add_f32_e32 v111, v111, v114
	v_sub_f32_e32 v43, v77, v43
	v_sub_f32_e32 v44, v78, v111
	buffer_store_dword v43, off, s[0:3], 0 offset:16
	buffer_store_dword v44, off, s[0:3], 0 offset:20
	s_and_saveexec_b64 s[4:5], vcc
	s_cbranch_execz .LBB19_131
; %bb.130:
	buffer_load_dword v43, off, s[0:3], 0 offset:8
	buffer_load_dword v44, off, s[0:3], 0 offset:12
	s_waitcnt vmcnt(0)
	ds_write_b64 v41, v[43:44]
	buffer_store_dword v42, off, s[0:3], 0 offset:8
	buffer_store_dword v42, off, s[0:3], 0 offset:12
.LBB19_131:
	s_or_b64 exec, exec, s[4:5]
	s_waitcnt lgkmcnt(0)
	; wave barrier
	ds_read_b128 v[43:46], v42 offset:176
	ds_read_b128 v[47:50], v42 offset:192
	;; [unrolled: 1-line block ×4, first 2 shown]
	buffer_load_dword v79, off, s[0:3], 0 offset:8
	buffer_load_dword v80, off, s[0:3], 0 offset:12
	;; [unrolled: 1-line block ×18, first 2 shown]
	v_cmp_ne_u32_e32 vcc, 0, v0
	s_waitcnt vmcnt(14) lgkmcnt(3)
	v_mul_f32_e32 v59, v43, v82
	v_fmac_f32_e32 v59, v44, v81
	s_waitcnt vmcnt(12)
	v_mul_f32_e32 v60, v45, v84
	v_add_f32_e32 v59, 0, v59
	v_fmac_f32_e32 v60, v46, v83
	v_add_f32_e32 v59, v59, v60
	s_waitcnt vmcnt(10) lgkmcnt(2)
	v_mul_f32_e32 v60, v47, v86
	v_fmac_f32_e32 v60, v48, v85
	v_add_f32_e32 v59, v59, v60
	s_waitcnt vmcnt(8)
	v_mul_f32_e32 v60, v49, v88
	v_fmac_f32_e32 v60, v50, v87
	v_add_f32_e32 v59, v59, v60
	s_waitcnt vmcnt(6) lgkmcnt(1)
	v_mul_f32_e32 v60, v51, v90
	v_fmac_f32_e32 v60, v52, v89
	v_add_f32_e32 v59, v59, v60
	s_waitcnt vmcnt(4)
	v_mul_f32_e32 v60, v53, v92
	;; [unrolled: 8-line block ×3, first 2 shown]
	v_fmac_f32_e32 v60, v58, v95
	v_add_f32_e32 v63, v59, v60
	ds_read_b128 v[59:62], v42 offset:240
	buffer_load_dword v97, off, s[0:3], 0 offset:80
	buffer_load_dword v98, off, s[0:3], 0 offset:84
	;; [unrolled: 1-line block ×4, first 2 shown]
	v_mul_f32_e32 v44, v44, v82
	v_fma_f32 v43, v43, v81, -v44
	v_mul_f32_e32 v44, v46, v84
	v_add_f32_e32 v43, 0, v43
	v_fma_f32 v44, v45, v83, -v44
	v_add_f32_e32 v43, v43, v44
	v_mul_f32_e32 v44, v48, v86
	v_fma_f32 v44, v47, v85, -v44
	v_add_f32_e32 v43, v43, v44
	v_mul_f32_e32 v44, v50, v88
	;; [unrolled: 3-line block ×6, first 2 shown]
	v_fma_f32 v44, v57, v95, -v44
	v_add_f32_e32 v43, v43, v44
	s_waitcnt vmcnt(2) lgkmcnt(0)
	v_mul_f32_e32 v64, v59, v98
	v_fmac_f32_e32 v64, v60, v97
	v_add_f32_e32 v63, v63, v64
	s_waitcnt vmcnt(0)
	v_mul_f32_e32 v64, v61, v100
	v_fmac_f32_e32 v64, v62, v99
	v_add_f32_e32 v67, v63, v64
	ds_read_b128 v[63:66], v42 offset:256
	buffer_load_dword v101, off, s[0:3], 0 offset:96
	buffer_load_dword v102, off, s[0:3], 0 offset:100
	buffer_load_dword v103, off, s[0:3], 0 offset:104
	buffer_load_dword v104, off, s[0:3], 0 offset:108
	v_mul_f32_e32 v44, v60, v98
	v_fma_f32 v44, v59, v97, -v44
	v_add_f32_e32 v43, v43, v44
	v_mul_f32_e32 v44, v62, v100
	v_fma_f32 v44, v61, v99, -v44
	v_add_f32_e32 v43, v43, v44
	s_waitcnt vmcnt(2) lgkmcnt(0)
	v_mul_f32_e32 v68, v63, v102
	v_fmac_f32_e32 v68, v64, v101
	v_add_f32_e32 v67, v67, v68
	s_waitcnt vmcnt(0)
	v_mul_f32_e32 v68, v65, v104
	v_fmac_f32_e32 v68, v66, v103
	v_add_f32_e32 v71, v67, v68
	ds_read_b128 v[67:70], v42 offset:272
	buffer_load_dword v105, off, s[0:3], 0 offset:112
	buffer_load_dword v106, off, s[0:3], 0 offset:116
	buffer_load_dword v107, off, s[0:3], 0 offset:120
	buffer_load_dword v108, off, s[0:3], 0 offset:124
	v_mul_f32_e32 v44, v64, v102
	v_fma_f32 v44, v63, v101, -v44
	v_add_f32_e32 v43, v43, v44
	v_mul_f32_e32 v44, v66, v104
	;; [unrolled: 19-line block ×3, first 2 shown]
	v_fma_f32 v44, v69, v107, -v44
	v_add_f32_e32 v43, v43, v44
	s_waitcnt vmcnt(2) lgkmcnt(0)
	v_mul_f32_e32 v76, v71, v110
	v_fmac_f32_e32 v76, v72, v109
	v_add_f32_e32 v75, v75, v76
	s_waitcnt vmcnt(0)
	v_mul_f32_e32 v76, v73, v112
	v_fmac_f32_e32 v76, v74, v111
	v_add_f32_e32 v113, v75, v76
	ds_read_b128 v[75:78], v42 offset:304
	buffer_load_dword v42, off, s[0:3], 0 offset:144
	buffer_load_dword v114, off, s[0:3], 0 offset:148
	v_mul_f32_e32 v44, v72, v110
	v_fma_f32 v44, v71, v109, -v44
	v_add_f32_e32 v43, v43, v44
	v_mul_f32_e32 v44, v74, v112
	v_fma_f32 v44, v73, v111, -v44
	v_add_f32_e32 v43, v43, v44
	s_waitcnt vmcnt(0) lgkmcnt(0)
	v_mul_f32_e32 v115, v75, v114
	v_fmac_f32_e32 v115, v76, v42
	v_add_f32_e32 v113, v113, v115
	buffer_load_dword v115, off, s[0:3], 0 offset:152
	buffer_load_dword v116, off, s[0:3], 0 offset:156
	v_mul_f32_e32 v44, v76, v114
	v_fma_f32 v42, v75, v42, -v44
	v_add_f32_e32 v42, v43, v42
	s_waitcnt vmcnt(0)
	v_mul_f32_e32 v43, v78, v116
	v_mul_f32_e32 v117, v77, v116
	v_fma_f32 v43, v77, v115, -v43
	v_fmac_f32_e32 v117, v78, v115
	v_add_f32_e32 v42, v42, v43
	v_add_f32_e32 v113, v113, v117
	v_sub_f32_e32 v42, v79, v42
	v_sub_f32_e32 v43, v80, v113
	buffer_store_dword v42, off, s[0:3], 0 offset:8
	buffer_store_dword v43, off, s[0:3], 0 offset:12
	s_and_saveexec_b64 s[4:5], vcc
	s_cbranch_execz .LBB19_133
; %bb.132:
	buffer_load_dword v42, off, s[0:3], 0
	buffer_load_dword v43, off, s[0:3], 0 offset:4
	v_mov_b32_e32 v0, 0
	buffer_store_dword v0, off, s[0:3], 0
	buffer_store_dword v0, off, s[0:3], 0 offset:4
	s_waitcnt vmcnt(2)
	ds_write_b64 v41, v[42:43]
.LBB19_133:
	s_or_b64 exec, exec, s[4:5]
	v_mov_b32_e32 v0, 0
	s_waitcnt lgkmcnt(0)
	; wave barrier
	ds_read2_b64 v[41:44], v0 offset0:21 offset1:22
	buffer_load_dword v79, off, s[0:3], 0
	buffer_load_dword v80, off, s[0:3], 0 offset:4
	buffer_load_dword v81, off, s[0:3], 0 offset:8
	;; [unrolled: 1-line block ×15, first 2 shown]
	s_and_b64 vcc, exec, s[22:23]
	s_waitcnt vmcnt(12) lgkmcnt(0)
	v_mul_f32_e32 v45, v41, v82
	v_fmac_f32_e32 v45, v42, v81
	s_waitcnt vmcnt(10)
	v_mul_f32_e32 v46, v43, v84
	v_add_f32_e32 v45, 0, v45
	v_fmac_f32_e32 v46, v44, v83
	v_add_f32_e32 v49, v45, v46
	ds_read2_b64 v[45:48], v0 offset0:23 offset1:24
	v_mul_f32_e32 v42, v42, v82
	v_fma_f32 v41, v41, v81, -v42
	v_mul_f32_e32 v42, v44, v84
	v_add_f32_e32 v41, 0, v41
	s_waitcnt vmcnt(8) lgkmcnt(0)
	v_mul_f32_e32 v50, v45, v86
	v_fmac_f32_e32 v50, v46, v85
	v_add_f32_e32 v49, v49, v50
	s_waitcnt vmcnt(6)
	v_mul_f32_e32 v50, v47, v88
	v_fmac_f32_e32 v50, v48, v87
	v_add_f32_e32 v53, v49, v50
	ds_read2_b64 v[49:52], v0 offset0:25 offset1:26
	v_fma_f32 v42, v43, v83, -v42
	v_add_f32_e32 v41, v41, v42
	v_mul_f32_e32 v42, v46, v86
	v_fma_f32 v42, v45, v85, -v42
	s_waitcnt vmcnt(4) lgkmcnt(0)
	v_mul_f32_e32 v54, v49, v90
	v_fmac_f32_e32 v54, v50, v89
	v_add_f32_e32 v53, v53, v54
	s_waitcnt vmcnt(2)
	v_mul_f32_e32 v54, v51, v92
	v_fmac_f32_e32 v54, v52, v91
	v_add_f32_e32 v57, v53, v54
	ds_read2_b64 v[53:56], v0 offset0:27 offset1:28
	buffer_load_dword v95, off, s[0:3], 0 offset:64
	buffer_load_dword v96, off, s[0:3], 0 offset:68
	v_add_f32_e32 v41, v41, v42
	v_mul_f32_e32 v42, v48, v88
	v_fma_f32 v42, v47, v87, -v42
	s_waitcnt vmcnt(2) lgkmcnt(0)
	v_mul_f32_e32 v58, v53, v94
	v_fmac_f32_e32 v58, v54, v93
	v_add_f32_e32 v57, v57, v58
	v_add_f32_e32 v41, v41, v42
	v_mul_f32_e32 v42, v50, v90
	v_fma_f32 v42, v49, v89, -v42
	v_add_f32_e32 v41, v41, v42
	v_mul_f32_e32 v42, v52, v92
	v_fma_f32 v42, v51, v91, -v42
	;; [unrolled: 3-line block ×3, first 2 shown]
	v_add_f32_e32 v41, v41, v42
	s_waitcnt vmcnt(0)
	v_mul_f32_e32 v58, v55, v96
	v_fmac_f32_e32 v58, v56, v95
	v_add_f32_e32 v61, v57, v58
	ds_read2_b64 v[57:60], v0 offset0:29 offset1:30
	buffer_load_dword v97, off, s[0:3], 0 offset:72
	buffer_load_dword v98, off, s[0:3], 0 offset:76
	;; [unrolled: 1-line block ×4, first 2 shown]
	v_mul_f32_e32 v42, v56, v96
	v_fma_f32 v42, v55, v95, -v42
	v_add_f32_e32 v41, v41, v42
	s_waitcnt vmcnt(2) lgkmcnt(0)
	v_mul_f32_e32 v62, v57, v98
	v_fmac_f32_e32 v62, v58, v97
	v_add_f32_e32 v61, v61, v62
	s_waitcnt vmcnt(0)
	v_mul_f32_e32 v62, v59, v100
	v_fmac_f32_e32 v62, v60, v99
	v_add_f32_e32 v65, v61, v62
	ds_read2_b64 v[61:64], v0 offset0:31 offset1:32
	buffer_load_dword v101, off, s[0:3], 0 offset:88
	buffer_load_dword v102, off, s[0:3], 0 offset:92
	buffer_load_dword v103, off, s[0:3], 0 offset:96
	buffer_load_dword v104, off, s[0:3], 0 offset:100
	v_mul_f32_e32 v42, v58, v98
	v_fma_f32 v42, v57, v97, -v42
	v_add_f32_e32 v41, v41, v42
	v_mul_f32_e32 v42, v60, v100
	v_fma_f32 v42, v59, v99, -v42
	v_add_f32_e32 v41, v41, v42
	s_waitcnt vmcnt(2) lgkmcnt(0)
	v_mul_f32_e32 v66, v61, v102
	v_fmac_f32_e32 v66, v62, v101
	v_add_f32_e32 v65, v65, v66
	s_waitcnt vmcnt(0)
	v_mul_f32_e32 v66, v63, v104
	v_fmac_f32_e32 v66, v64, v103
	v_add_f32_e32 v69, v65, v66
	ds_read2_b64 v[65:68], v0 offset0:33 offset1:34
	buffer_load_dword v105, off, s[0:3], 0 offset:104
	buffer_load_dword v106, off, s[0:3], 0 offset:108
	buffer_load_dword v107, off, s[0:3], 0 offset:112
	buffer_load_dword v108, off, s[0:3], 0 offset:116
	v_mul_f32_e32 v42, v62, v102
	v_fma_f32 v42, v61, v101, -v42
	v_add_f32_e32 v41, v41, v42
	;; [unrolled: 19-line block ×4, first 2 shown]
	v_mul_f32_e32 v42, v72, v112
	v_fma_f32 v42, v71, v111, -v42
	v_add_f32_e32 v41, v41, v42
	s_waitcnt vmcnt(2) lgkmcnt(0)
	v_mul_f32_e32 v78, v73, v114
	v_fmac_f32_e32 v78, v74, v113
	v_add_f32_e32 v77, v77, v78
	s_waitcnt vmcnt(0)
	v_mul_f32_e32 v78, v75, v116
	v_fmac_f32_e32 v78, v76, v115
	v_add_f32_e32 v117, v77, v78
	ds_read_b64 v[77:78], v0 offset:312
	buffer_load_dword v118, off, s[0:3], 0 offset:152
	buffer_load_dword v119, off, s[0:3], 0 offset:156
	v_mul_f32_e32 v42, v74, v114
	v_fma_f32 v42, v73, v113, -v42
	v_add_f32_e32 v41, v41, v42
	v_mul_f32_e32 v42, v76, v116
	v_fma_f32 v42, v75, v115, -v42
	v_add_f32_e32 v41, v41, v42
	s_waitcnt vmcnt(0) lgkmcnt(0)
	v_mul_f32_e32 v42, v78, v119
	v_mul_f32_e32 v120, v77, v119
	v_fma_f32 v42, v77, v118, -v42
	v_fmac_f32_e32 v120, v78, v118
	v_add_f32_e32 v41, v41, v42
	v_add_f32_e32 v117, v117, v120
	v_sub_f32_e32 v41, v79, v41
	v_sub_f32_e32 v42, v80, v117
	buffer_store_dword v41, off, s[0:3], 0
	buffer_store_dword v42, off, s[0:3], 0 offset:4
	s_cbranch_vccz .LBB19_172
; %bb.134:
	global_load_dword v0, v0, s[20:21] offset:72
	s_waitcnt vmcnt(0)
	v_add_u32_e32 v0, -1, v0
	v_cmp_ne_u32_e32 vcc, 18, v0
	s_cbranch_vccz .LBB19_136
; %bb.135:
	v_lshlrev_b32_e32 v0, 3, v0
	buffer_load_dword v41, v0, s[0:3], 0 offen
	buffer_load_dword v42, v0, s[0:3], 0 offen offset:4
	buffer_load_dword v43, off, s[0:3], 0 offset:148
	buffer_load_dword v44, off, s[0:3], 0 offset:144
	s_waitcnt vmcnt(3)
	buffer_store_dword v41, off, s[0:3], 0 offset:144
	s_waitcnt vmcnt(3)
	buffer_store_dword v42, off, s[0:3], 0 offset:148
	s_waitcnt vmcnt(3)
	buffer_store_dword v43, v0, s[0:3], 0 offen offset:4
	s_waitcnt vmcnt(3)
	buffer_store_dword v44, v0, s[0:3], 0 offen
.LBB19_136:
	v_mov_b32_e32 v0, 0
	global_load_dword v41, v0, s[20:21] offset:68
	s_waitcnt vmcnt(0)
	v_add_u32_e32 v41, -1, v41
	v_cmp_eq_u32_e32 vcc, 17, v41
	s_cbranch_vccnz .LBB19_138
; %bb.137:
	v_lshlrev_b32_e32 v41, 3, v41
	buffer_load_dword v42, v41, s[0:3], 0 offen
	buffer_load_dword v43, v41, s[0:3], 0 offen offset:4
	buffer_load_dword v44, off, s[0:3], 0 offset:136
	buffer_load_dword v45, off, s[0:3], 0 offset:140
	s_waitcnt vmcnt(3)
	buffer_store_dword v42, off, s[0:3], 0 offset:136
	s_waitcnt vmcnt(3)
	buffer_store_dword v43, off, s[0:3], 0 offset:140
	s_waitcnt vmcnt(3)
	buffer_store_dword v44, v41, s[0:3], 0 offen
	s_waitcnt vmcnt(3)
	buffer_store_dword v45, v41, s[0:3], 0 offen offset:4
.LBB19_138:
	global_load_dword v0, v0, s[20:21] offset:64
	s_waitcnt vmcnt(0)
	v_add_u32_e32 v0, -1, v0
	v_cmp_eq_u32_e32 vcc, 16, v0
	s_cbranch_vccnz .LBB19_140
; %bb.139:
	v_lshlrev_b32_e32 v0, 3, v0
	buffer_load_dword v41, v0, s[0:3], 0 offen
	buffer_load_dword v42, v0, s[0:3], 0 offen offset:4
	buffer_load_dword v43, off, s[0:3], 0 offset:132
	buffer_load_dword v44, off, s[0:3], 0 offset:128
	s_waitcnt vmcnt(3)
	buffer_store_dword v41, off, s[0:3], 0 offset:128
	s_waitcnt vmcnt(3)
	buffer_store_dword v42, off, s[0:3], 0 offset:132
	s_waitcnt vmcnt(3)
	buffer_store_dword v43, v0, s[0:3], 0 offen offset:4
	s_waitcnt vmcnt(3)
	buffer_store_dword v44, v0, s[0:3], 0 offen
.LBB19_140:
	v_mov_b32_e32 v0, 0
	global_load_dword v41, v0, s[20:21] offset:60
	s_waitcnt vmcnt(0)
	v_add_u32_e32 v41, -1, v41
	v_cmp_eq_u32_e32 vcc, 15, v41
	s_cbranch_vccnz .LBB19_142
; %bb.141:
	v_lshlrev_b32_e32 v41, 3, v41
	buffer_load_dword v42, v41, s[0:3], 0 offen
	buffer_load_dword v43, v41, s[0:3], 0 offen offset:4
	buffer_load_dword v44, off, s[0:3], 0 offset:120
	buffer_load_dword v45, off, s[0:3], 0 offset:124
	s_waitcnt vmcnt(3)
	buffer_store_dword v42, off, s[0:3], 0 offset:120
	s_waitcnt vmcnt(3)
	buffer_store_dword v43, off, s[0:3], 0 offset:124
	s_waitcnt vmcnt(3)
	buffer_store_dword v44, v41, s[0:3], 0 offen
	s_waitcnt vmcnt(3)
	buffer_store_dword v45, v41, s[0:3], 0 offen offset:4
.LBB19_142:
	global_load_dword v0, v0, s[20:21] offset:56
	s_waitcnt vmcnt(0)
	v_add_u32_e32 v0, -1, v0
	v_cmp_eq_u32_e32 vcc, 14, v0
	s_cbranch_vccnz .LBB19_144
; %bb.143:
	v_lshlrev_b32_e32 v0, 3, v0
	buffer_load_dword v41, v0, s[0:3], 0 offen
	buffer_load_dword v42, v0, s[0:3], 0 offen offset:4
	buffer_load_dword v43, off, s[0:3], 0 offset:116
	buffer_load_dword v44, off, s[0:3], 0 offset:112
	s_waitcnt vmcnt(3)
	buffer_store_dword v41, off, s[0:3], 0 offset:112
	s_waitcnt vmcnt(3)
	buffer_store_dword v42, off, s[0:3], 0 offset:116
	s_waitcnt vmcnt(3)
	buffer_store_dword v43, v0, s[0:3], 0 offen offset:4
	s_waitcnt vmcnt(3)
	buffer_store_dword v44, v0, s[0:3], 0 offen
.LBB19_144:
	v_mov_b32_e32 v0, 0
	global_load_dword v41, v0, s[20:21] offset:52
	s_waitcnt vmcnt(0)
	v_add_u32_e32 v41, -1, v41
	v_cmp_eq_u32_e32 vcc, 13, v41
	s_cbranch_vccnz .LBB19_146
; %bb.145:
	v_lshlrev_b32_e32 v41, 3, v41
	buffer_load_dword v42, v41, s[0:3], 0 offen
	buffer_load_dword v43, v41, s[0:3], 0 offen offset:4
	buffer_load_dword v44, off, s[0:3], 0 offset:104
	buffer_load_dword v45, off, s[0:3], 0 offset:108
	s_waitcnt vmcnt(3)
	buffer_store_dword v42, off, s[0:3], 0 offset:104
	s_waitcnt vmcnt(3)
	buffer_store_dword v43, off, s[0:3], 0 offset:108
	s_waitcnt vmcnt(3)
	buffer_store_dword v44, v41, s[0:3], 0 offen
	s_waitcnt vmcnt(3)
	buffer_store_dword v45, v41, s[0:3], 0 offen offset:4
.LBB19_146:
	global_load_dword v0, v0, s[20:21] offset:48
	s_waitcnt vmcnt(0)
	v_add_u32_e32 v0, -1, v0
	v_cmp_eq_u32_e32 vcc, 12, v0
	s_cbranch_vccnz .LBB19_148
; %bb.147:
	v_lshlrev_b32_e32 v0, 3, v0
	buffer_load_dword v41, v0, s[0:3], 0 offen
	buffer_load_dword v42, v0, s[0:3], 0 offen offset:4
	buffer_load_dword v43, off, s[0:3], 0 offset:100
	buffer_load_dword v44, off, s[0:3], 0 offset:96
	s_waitcnt vmcnt(3)
	buffer_store_dword v41, off, s[0:3], 0 offset:96
	s_waitcnt vmcnt(3)
	buffer_store_dword v42, off, s[0:3], 0 offset:100
	s_waitcnt vmcnt(3)
	buffer_store_dword v43, v0, s[0:3], 0 offen offset:4
	s_waitcnt vmcnt(3)
	buffer_store_dword v44, v0, s[0:3], 0 offen
.LBB19_148:
	v_mov_b32_e32 v0, 0
	global_load_dword v41, v0, s[20:21] offset:44
	s_waitcnt vmcnt(0)
	v_add_u32_e32 v41, -1, v41
	v_cmp_eq_u32_e32 vcc, 11, v41
	s_cbranch_vccnz .LBB19_150
; %bb.149:
	v_lshlrev_b32_e32 v41, 3, v41
	buffer_load_dword v42, v41, s[0:3], 0 offen
	buffer_load_dword v43, v41, s[0:3], 0 offen offset:4
	buffer_load_dword v44, off, s[0:3], 0 offset:88
	buffer_load_dword v45, off, s[0:3], 0 offset:92
	s_waitcnt vmcnt(3)
	buffer_store_dword v42, off, s[0:3], 0 offset:88
	s_waitcnt vmcnt(3)
	buffer_store_dword v43, off, s[0:3], 0 offset:92
	s_waitcnt vmcnt(3)
	buffer_store_dword v44, v41, s[0:3], 0 offen
	s_waitcnt vmcnt(3)
	buffer_store_dword v45, v41, s[0:3], 0 offen offset:4
.LBB19_150:
	global_load_dword v0, v0, s[20:21] offset:40
	s_waitcnt vmcnt(0)
	v_add_u32_e32 v0, -1, v0
	v_cmp_eq_u32_e32 vcc, 10, v0
	s_cbranch_vccnz .LBB19_152
; %bb.151:
	v_lshlrev_b32_e32 v0, 3, v0
	buffer_load_dword v41, v0, s[0:3], 0 offen
	buffer_load_dword v42, v0, s[0:3], 0 offen offset:4
	buffer_load_dword v43, off, s[0:3], 0 offset:84
	buffer_load_dword v44, off, s[0:3], 0 offset:80
	s_waitcnt vmcnt(3)
	buffer_store_dword v41, off, s[0:3], 0 offset:80
	s_waitcnt vmcnt(3)
	buffer_store_dword v42, off, s[0:3], 0 offset:84
	s_waitcnt vmcnt(3)
	buffer_store_dword v43, v0, s[0:3], 0 offen offset:4
	s_waitcnt vmcnt(3)
	buffer_store_dword v44, v0, s[0:3], 0 offen
.LBB19_152:
	v_mov_b32_e32 v0, 0
	global_load_dword v41, v0, s[20:21] offset:36
	s_waitcnt vmcnt(0)
	v_add_u32_e32 v41, -1, v41
	v_cmp_eq_u32_e32 vcc, 9, v41
	s_cbranch_vccnz .LBB19_154
; %bb.153:
	v_lshlrev_b32_e32 v41, 3, v41
	buffer_load_dword v42, v41, s[0:3], 0 offen
	buffer_load_dword v43, v41, s[0:3], 0 offen offset:4
	buffer_load_dword v44, off, s[0:3], 0 offset:72
	buffer_load_dword v45, off, s[0:3], 0 offset:76
	s_waitcnt vmcnt(3)
	buffer_store_dword v42, off, s[0:3], 0 offset:72
	s_waitcnt vmcnt(3)
	buffer_store_dword v43, off, s[0:3], 0 offset:76
	s_waitcnt vmcnt(3)
	buffer_store_dword v44, v41, s[0:3], 0 offen
	s_waitcnt vmcnt(3)
	buffer_store_dword v45, v41, s[0:3], 0 offen offset:4
.LBB19_154:
	global_load_dword v0, v0, s[20:21] offset:32
	s_waitcnt vmcnt(0)
	v_add_u32_e32 v0, -1, v0
	v_cmp_eq_u32_e32 vcc, 8, v0
	s_cbranch_vccnz .LBB19_156
; %bb.155:
	v_lshlrev_b32_e32 v0, 3, v0
	buffer_load_dword v41, v0, s[0:3], 0 offen
	buffer_load_dword v42, v0, s[0:3], 0 offen offset:4
	buffer_load_dword v43, off, s[0:3], 0 offset:68
	buffer_load_dword v44, off, s[0:3], 0 offset:64
	s_waitcnt vmcnt(3)
	buffer_store_dword v41, off, s[0:3], 0 offset:64
	s_waitcnt vmcnt(3)
	buffer_store_dword v42, off, s[0:3], 0 offset:68
	s_waitcnt vmcnt(3)
	buffer_store_dword v43, v0, s[0:3], 0 offen offset:4
	s_waitcnt vmcnt(3)
	buffer_store_dword v44, v0, s[0:3], 0 offen
.LBB19_156:
	v_mov_b32_e32 v0, 0
	global_load_dword v41, v0, s[20:21] offset:28
	s_waitcnt vmcnt(0)
	v_add_u32_e32 v41, -1, v41
	v_cmp_eq_u32_e32 vcc, 7, v41
	s_cbranch_vccnz .LBB19_158
; %bb.157:
	v_lshlrev_b32_e32 v41, 3, v41
	buffer_load_dword v42, v41, s[0:3], 0 offen
	buffer_load_dword v43, v41, s[0:3], 0 offen offset:4
	buffer_load_dword v44, off, s[0:3], 0 offset:56
	buffer_load_dword v45, off, s[0:3], 0 offset:60
	s_waitcnt vmcnt(3)
	buffer_store_dword v42, off, s[0:3], 0 offset:56
	s_waitcnt vmcnt(3)
	buffer_store_dword v43, off, s[0:3], 0 offset:60
	s_waitcnt vmcnt(3)
	buffer_store_dword v44, v41, s[0:3], 0 offen
	s_waitcnt vmcnt(3)
	buffer_store_dword v45, v41, s[0:3], 0 offen offset:4
.LBB19_158:
	global_load_dword v0, v0, s[20:21] offset:24
	s_waitcnt vmcnt(0)
	v_add_u32_e32 v0, -1, v0
	v_cmp_eq_u32_e32 vcc, 6, v0
	s_cbranch_vccnz .LBB19_160
; %bb.159:
	v_lshlrev_b32_e32 v0, 3, v0
	buffer_load_dword v41, v0, s[0:3], 0 offen
	buffer_load_dword v42, v0, s[0:3], 0 offen offset:4
	buffer_load_dword v43, off, s[0:3], 0 offset:52
	buffer_load_dword v44, off, s[0:3], 0 offset:48
	s_waitcnt vmcnt(3)
	buffer_store_dword v41, off, s[0:3], 0 offset:48
	s_waitcnt vmcnt(3)
	buffer_store_dword v42, off, s[0:3], 0 offset:52
	s_waitcnt vmcnt(3)
	buffer_store_dword v43, v0, s[0:3], 0 offen offset:4
	s_waitcnt vmcnt(3)
	buffer_store_dword v44, v0, s[0:3], 0 offen
.LBB19_160:
	v_mov_b32_e32 v0, 0
	global_load_dword v41, v0, s[20:21] offset:20
	s_waitcnt vmcnt(0)
	v_add_u32_e32 v41, -1, v41
	v_cmp_eq_u32_e32 vcc, 5, v41
	s_cbranch_vccnz .LBB19_162
; %bb.161:
	v_lshlrev_b32_e32 v41, 3, v41
	buffer_load_dword v42, v41, s[0:3], 0 offen
	buffer_load_dword v43, v41, s[0:3], 0 offen offset:4
	buffer_load_dword v44, off, s[0:3], 0 offset:40
	buffer_load_dword v45, off, s[0:3], 0 offset:44
	s_waitcnt vmcnt(3)
	buffer_store_dword v42, off, s[0:3], 0 offset:40
	s_waitcnt vmcnt(3)
	buffer_store_dword v43, off, s[0:3], 0 offset:44
	s_waitcnt vmcnt(3)
	buffer_store_dword v44, v41, s[0:3], 0 offen
	s_waitcnt vmcnt(3)
	buffer_store_dword v45, v41, s[0:3], 0 offen offset:4
.LBB19_162:
	global_load_dword v0, v0, s[20:21] offset:16
	s_waitcnt vmcnt(0)
	v_add_u32_e32 v0, -1, v0
	v_cmp_eq_u32_e32 vcc, 4, v0
	s_cbranch_vccnz .LBB19_164
; %bb.163:
	v_lshlrev_b32_e32 v0, 3, v0
	buffer_load_dword v41, v0, s[0:3], 0 offen
	buffer_load_dword v42, v0, s[0:3], 0 offen offset:4
	buffer_load_dword v43, off, s[0:3], 0 offset:36
	buffer_load_dword v44, off, s[0:3], 0 offset:32
	s_waitcnt vmcnt(3)
	buffer_store_dword v41, off, s[0:3], 0 offset:32
	s_waitcnt vmcnt(3)
	buffer_store_dword v42, off, s[0:3], 0 offset:36
	s_waitcnt vmcnt(3)
	buffer_store_dword v43, v0, s[0:3], 0 offen offset:4
	s_waitcnt vmcnt(3)
	buffer_store_dword v44, v0, s[0:3], 0 offen
.LBB19_164:
	v_mov_b32_e32 v0, 0
	global_load_dword v41, v0, s[20:21] offset:12
	s_waitcnt vmcnt(0)
	v_add_u32_e32 v41, -1, v41
	v_cmp_eq_u32_e32 vcc, 3, v41
	s_cbranch_vccnz .LBB19_166
; %bb.165:
	v_lshlrev_b32_e32 v41, 3, v41
	buffer_load_dword v42, v41, s[0:3], 0 offen
	buffer_load_dword v43, v41, s[0:3], 0 offen offset:4
	buffer_load_dword v44, off, s[0:3], 0 offset:24
	buffer_load_dword v45, off, s[0:3], 0 offset:28
	s_waitcnt vmcnt(3)
	buffer_store_dword v42, off, s[0:3], 0 offset:24
	s_waitcnt vmcnt(3)
	buffer_store_dword v43, off, s[0:3], 0 offset:28
	s_waitcnt vmcnt(3)
	buffer_store_dword v44, v41, s[0:3], 0 offen
	s_waitcnt vmcnt(3)
	buffer_store_dword v45, v41, s[0:3], 0 offen offset:4
.LBB19_166:
	global_load_dword v0, v0, s[20:21] offset:8
	s_waitcnt vmcnt(0)
	v_add_u32_e32 v0, -1, v0
	v_cmp_eq_u32_e32 vcc, 2, v0
	s_cbranch_vccnz .LBB19_168
; %bb.167:
	v_lshlrev_b32_e32 v0, 3, v0
	buffer_load_dword v41, v0, s[0:3], 0 offen
	buffer_load_dword v42, v0, s[0:3], 0 offen offset:4
	buffer_load_dword v43, off, s[0:3], 0 offset:20
	buffer_load_dword v44, off, s[0:3], 0 offset:16
	s_waitcnt vmcnt(3)
	buffer_store_dword v41, off, s[0:3], 0 offset:16
	s_waitcnt vmcnt(3)
	buffer_store_dword v42, off, s[0:3], 0 offset:20
	s_waitcnt vmcnt(3)
	buffer_store_dword v43, v0, s[0:3], 0 offen offset:4
	s_waitcnt vmcnt(3)
	buffer_store_dword v44, v0, s[0:3], 0 offen
.LBB19_168:
	v_mov_b32_e32 v0, 0
	global_load_dword v41, v0, s[20:21] offset:4
	s_waitcnt vmcnt(0)
	v_add_u32_e32 v41, -1, v41
	v_cmp_eq_u32_e32 vcc, 1, v41
	s_cbranch_vccnz .LBB19_170
; %bb.169:
	v_lshlrev_b32_e32 v41, 3, v41
	buffer_load_dword v42, v41, s[0:3], 0 offen
	buffer_load_dword v43, v41, s[0:3], 0 offen offset:4
	buffer_load_dword v44, off, s[0:3], 0 offset:8
	buffer_load_dword v45, off, s[0:3], 0 offset:12
	s_waitcnt vmcnt(3)
	buffer_store_dword v42, off, s[0:3], 0 offset:8
	s_waitcnt vmcnt(3)
	buffer_store_dword v43, off, s[0:3], 0 offset:12
	s_waitcnt vmcnt(3)
	buffer_store_dword v44, v41, s[0:3], 0 offen
	s_waitcnt vmcnt(3)
	buffer_store_dword v45, v41, s[0:3], 0 offen offset:4
.LBB19_170:
	global_load_dword v0, v0, s[20:21]
	s_waitcnt vmcnt(0)
	v_add_u32_e32 v0, -1, v0
	v_cmp_eq_u32_e32 vcc, 0, v0
	s_cbranch_vccnz .LBB19_172
; %bb.171:
	v_lshlrev_b32_e32 v0, 3, v0
	buffer_load_dword v41, v0, s[0:3], 0 offen
	buffer_load_dword v42, v0, s[0:3], 0 offen offset:4
	buffer_load_dword v43, off, s[0:3], 0 offset:4
	buffer_load_dword v44, off, s[0:3], 0
	s_waitcnt vmcnt(3)
	buffer_store_dword v41, off, s[0:3], 0
	s_waitcnt vmcnt(3)
	buffer_store_dword v42, off, s[0:3], 0 offset:4
	s_waitcnt vmcnt(3)
	buffer_store_dword v43, v0, s[0:3], 0 offen offset:4
	s_waitcnt vmcnt(3)
	buffer_store_dword v44, v0, s[0:3], 0 offen
.LBB19_172:
	buffer_load_dword v41, off, s[0:3], 0
	buffer_load_dword v42, off, s[0:3], 0 offset:4
	buffer_load_dword v43, off, s[0:3], 0 offset:8
	s_nop 0
	buffer_load_dword v44, off, s[0:3], 0 offset:12
	buffer_load_dword v45, off, s[0:3], 0 offset:16
	;; [unrolled: 1-line block ×37, first 2 shown]
	s_waitcnt vmcnt(38)
	global_store_dwordx2 v[33:34], v[41:42], off
	s_waitcnt vmcnt(37)
	global_store_dwordx2 v[35:36], v[43:44], off
	;; [unrolled: 2-line block ×9, first 2 shown]
	global_store_dwordx2 v[15:16], v[59:60], off
	global_store_dwordx2 v[17:18], v[61:62], off
	;; [unrolled: 1-line block ×3, first 2 shown]
	s_waitcnt vmcnt(26)
	global_store_dwordx2 v[21:22], v[65:66], off
	s_waitcnt vmcnt(25)
	global_store_dwordx2 v[23:24], v[67:68], off
	;; [unrolled: 2-line block ×8, first 2 shown]
	s_endpgm
	.section	.rodata,"a",@progbits
	.p2align	6, 0x0
	.amdhsa_kernel _ZN9rocsolver6v33100L18getri_kernel_smallILi20E19rocblas_complex_numIfEPS3_EEvT1_iilPiilS6_bb
		.amdhsa_group_segment_fixed_size 324
		.amdhsa_private_segment_fixed_size 176
		.amdhsa_kernarg_size 60
		.amdhsa_user_sgpr_count 6
		.amdhsa_user_sgpr_private_segment_buffer 1
		.amdhsa_user_sgpr_dispatch_ptr 0
		.amdhsa_user_sgpr_queue_ptr 0
		.amdhsa_user_sgpr_kernarg_segment_ptr 1
		.amdhsa_user_sgpr_dispatch_id 0
		.amdhsa_user_sgpr_flat_scratch_init 0
		.amdhsa_user_sgpr_private_segment_size 0
		.amdhsa_uses_dynamic_stack 0
		.amdhsa_system_sgpr_private_segment_wavefront_offset 1
		.amdhsa_system_sgpr_workgroup_id_x 1
		.amdhsa_system_sgpr_workgroup_id_y 0
		.amdhsa_system_sgpr_workgroup_id_z 0
		.amdhsa_system_sgpr_workgroup_info 0
		.amdhsa_system_vgpr_workitem_id 0
		.amdhsa_next_free_vgpr 124
		.amdhsa_next_free_sgpr 24
		.amdhsa_reserve_vcc 1
		.amdhsa_reserve_flat_scratch 0
		.amdhsa_float_round_mode_32 0
		.amdhsa_float_round_mode_16_64 0
		.amdhsa_float_denorm_mode_32 3
		.amdhsa_float_denorm_mode_16_64 3
		.amdhsa_dx10_clamp 1
		.amdhsa_ieee_mode 1
		.amdhsa_fp16_overflow 0
		.amdhsa_exception_fp_ieee_invalid_op 0
		.amdhsa_exception_fp_denorm_src 0
		.amdhsa_exception_fp_ieee_div_zero 0
		.amdhsa_exception_fp_ieee_overflow 0
		.amdhsa_exception_fp_ieee_underflow 0
		.amdhsa_exception_fp_ieee_inexact 0
		.amdhsa_exception_int_div_zero 0
	.end_amdhsa_kernel
	.section	.text._ZN9rocsolver6v33100L18getri_kernel_smallILi20E19rocblas_complex_numIfEPS3_EEvT1_iilPiilS6_bb,"axG",@progbits,_ZN9rocsolver6v33100L18getri_kernel_smallILi20E19rocblas_complex_numIfEPS3_EEvT1_iilPiilS6_bb,comdat
.Lfunc_end19:
	.size	_ZN9rocsolver6v33100L18getri_kernel_smallILi20E19rocblas_complex_numIfEPS3_EEvT1_iilPiilS6_bb, .Lfunc_end19-_ZN9rocsolver6v33100L18getri_kernel_smallILi20E19rocblas_complex_numIfEPS3_EEvT1_iilPiilS6_bb
                                        ; -- End function
	.set _ZN9rocsolver6v33100L18getri_kernel_smallILi20E19rocblas_complex_numIfEPS3_EEvT1_iilPiilS6_bb.num_vgpr, 124
	.set _ZN9rocsolver6v33100L18getri_kernel_smallILi20E19rocblas_complex_numIfEPS3_EEvT1_iilPiilS6_bb.num_agpr, 0
	.set _ZN9rocsolver6v33100L18getri_kernel_smallILi20E19rocblas_complex_numIfEPS3_EEvT1_iilPiilS6_bb.numbered_sgpr, 24
	.set _ZN9rocsolver6v33100L18getri_kernel_smallILi20E19rocblas_complex_numIfEPS3_EEvT1_iilPiilS6_bb.num_named_barrier, 0
	.set _ZN9rocsolver6v33100L18getri_kernel_smallILi20E19rocblas_complex_numIfEPS3_EEvT1_iilPiilS6_bb.private_seg_size, 176
	.set _ZN9rocsolver6v33100L18getri_kernel_smallILi20E19rocblas_complex_numIfEPS3_EEvT1_iilPiilS6_bb.uses_vcc, 1
	.set _ZN9rocsolver6v33100L18getri_kernel_smallILi20E19rocblas_complex_numIfEPS3_EEvT1_iilPiilS6_bb.uses_flat_scratch, 0
	.set _ZN9rocsolver6v33100L18getri_kernel_smallILi20E19rocblas_complex_numIfEPS3_EEvT1_iilPiilS6_bb.has_dyn_sized_stack, 0
	.set _ZN9rocsolver6v33100L18getri_kernel_smallILi20E19rocblas_complex_numIfEPS3_EEvT1_iilPiilS6_bb.has_recursion, 0
	.set _ZN9rocsolver6v33100L18getri_kernel_smallILi20E19rocblas_complex_numIfEPS3_EEvT1_iilPiilS6_bb.has_indirect_call, 0
	.section	.AMDGPU.csdata,"",@progbits
; Kernel info:
; codeLenInByte = 21316
; TotalNumSgprs: 28
; NumVgprs: 124
; ScratchSize: 176
; MemoryBound: 0
; FloatMode: 240
; IeeeMode: 1
; LDSByteSize: 324 bytes/workgroup (compile time only)
; SGPRBlocks: 3
; VGPRBlocks: 30
; NumSGPRsForWavesPerEU: 28
; NumVGPRsForWavesPerEU: 124
; Occupancy: 2
; WaveLimiterHint : 1
; COMPUTE_PGM_RSRC2:SCRATCH_EN: 1
; COMPUTE_PGM_RSRC2:USER_SGPR: 6
; COMPUTE_PGM_RSRC2:TRAP_HANDLER: 0
; COMPUTE_PGM_RSRC2:TGID_X_EN: 1
; COMPUTE_PGM_RSRC2:TGID_Y_EN: 0
; COMPUTE_PGM_RSRC2:TGID_Z_EN: 0
; COMPUTE_PGM_RSRC2:TIDIG_COMP_CNT: 0
	.section	.text._ZN9rocsolver6v33100L18getri_kernel_smallILi21E19rocblas_complex_numIfEPS3_EEvT1_iilPiilS6_bb,"axG",@progbits,_ZN9rocsolver6v33100L18getri_kernel_smallILi21E19rocblas_complex_numIfEPS3_EEvT1_iilPiilS6_bb,comdat
	.globl	_ZN9rocsolver6v33100L18getri_kernel_smallILi21E19rocblas_complex_numIfEPS3_EEvT1_iilPiilS6_bb ; -- Begin function _ZN9rocsolver6v33100L18getri_kernel_smallILi21E19rocblas_complex_numIfEPS3_EEvT1_iilPiilS6_bb
	.p2align	8
	.type	_ZN9rocsolver6v33100L18getri_kernel_smallILi21E19rocblas_complex_numIfEPS3_EEvT1_iilPiilS6_bb,@function
_ZN9rocsolver6v33100L18getri_kernel_smallILi21E19rocblas_complex_numIfEPS3_EEvT1_iilPiilS6_bb: ; @_ZN9rocsolver6v33100L18getri_kernel_smallILi21E19rocblas_complex_numIfEPS3_EEvT1_iilPiilS6_bb
; %bb.0:
	s_add_u32 s0, s0, s7
	s_addc_u32 s1, s1, 0
	v_cmp_gt_u32_e32 vcc, 21, v0
	s_and_saveexec_b64 s[8:9], vcc
	s_cbranch_execz .LBB20_98
; %bb.1:
	s_load_dword s12, s[4:5], 0x38
	s_load_dwordx4 s[16:19], s[4:5], 0x10
	s_load_dwordx4 s[8:11], s[4:5], 0x28
                                        ; implicit-def: $sgpr20_sgpr21
	s_waitcnt lgkmcnt(0)
	s_bitcmp1_b32 s12, 8
	s_cselect_b64 s[22:23], -1, 0
	s_ashr_i32 s7, s6, 31
	s_bfe_u32 s12, s12, 0x10008
	s_cmp_eq_u32 s12, 0
	s_cbranch_scc1 .LBB20_3
; %bb.2:
	s_load_dword s12, s[4:5], 0x20
	s_mul_i32 s13, s8, s7
	s_mul_hi_u32 s14, s8, s6
	s_mul_i32 s9, s9, s6
	s_add_i32 s14, s14, s13
	s_add_i32 s9, s14, s9
	s_mul_i32 s8, s8, s6
	s_waitcnt lgkmcnt(0)
	s_ashr_i32 s13, s12, 31
	s_lshl_b64 s[8:9], s[8:9], 2
	s_add_u32 s14, s18, s8
	s_addc_u32 s15, s19, s9
	s_lshl_b64 s[8:9], s[12:13], 2
	s_add_u32 s20, s14, s8
	s_addc_u32 s21, s15, s9
.LBB20_3:
	s_load_dwordx4 s[12:15], s[4:5], 0x0
	s_load_dword s8, s[4:5], 0x38
	s_mul_i32 s9, s16, s7
	s_mul_hi_u32 s18, s16, s6
	s_add_i32 s9, s18, s9
	s_waitcnt lgkmcnt(0)
	s_ashr_i32 s5, s14, 31
	s_mov_b32 s4, s14
	s_mul_i32 s14, s17, s6
	s_add_i32 s17, s9, s14
	s_mul_i32 s16, s16, s6
	s_lshl_b64 s[16:17], s[16:17], 3
	s_add_u32 s9, s12, s16
	s_addc_u32 s12, s13, s17
	s_lshl_b64 s[4:5], s[4:5], 3
	s_add_u32 s4, s9, s4
	s_addc_u32 s5, s12, s5
	s_add_i32 s9, s15, s15
	v_add_u32_e32 v3, s9, v0
	v_ashrrev_i32_e32 v4, 31, v3
	v_lshlrev_b64 v[1:2], 3, v[3:4]
	v_add_u32_e32 v5, s15, v3
	v_mov_b32_e32 v4, s5
	v_add_co_u32_e32 v1, vcc, s4, v1
	v_ashrrev_i32_e32 v6, 31, v5
	v_addc_co_u32_e32 v2, vcc, v4, v2, vcc
	v_lshlrev_b64 v[3:4], 3, v[5:6]
	v_add_u32_e32 v7, s15, v5
	v_mov_b32_e32 v6, s5
	v_add_co_u32_e32 v3, vcc, s4, v3
	v_ashrrev_i32_e32 v8, 31, v7
	v_addc_co_u32_e32 v4, vcc, v6, v4, vcc
	;; [unrolled: 6-line block ×8, first 2 shown]
	v_lshlrev_b64 v[17:18], 3, v[19:20]
	v_mov_b32_e32 v21, s5
	v_add_co_u32_e32 v17, vcc, s4, v17
	v_addc_co_u32_e32 v18, vcc, v21, v18, vcc
	v_add_u32_e32 v21, s15, v19
	v_ashrrev_i32_e32 v22, 31, v21
	v_lshlrev_b64 v[19:20], 3, v[21:22]
	v_mov_b32_e32 v23, s5
	v_add_co_u32_e32 v19, vcc, s4, v19
	v_addc_co_u32_e32 v20, vcc, v23, v20, vcc
	v_add_u32_e32 v23, s15, v21
	v_ashrrev_i32_e32 v24, 31, v23
	;; [unrolled: 6-line block ×7, first 2 shown]
	v_lshlrev_b64 v[31:32], 3, v[33:34]
	v_mov_b32_e32 v35, s5
	v_add_co_u32_e32 v31, vcc, s4, v31
	v_addc_co_u32_e32 v32, vcc, v35, v32, vcc
	v_lshlrev_b32_e32 v45, 3, v0
	v_add_u32_e32 v39, s15, v33
	v_mov_b32_e32 v36, s5
	v_add_co_u32_e32 v35, vcc, s4, v45
	s_ashr_i32 s13, s15, 31
	s_mov_b32 s12, s15
	v_ashrrev_i32_e32 v40, 31, v39
	v_addc_co_u32_e32 v36, vcc, 0, v36, vcc
	s_lshl_b64 s[12:13], s[12:13], 3
	v_lshlrev_b64 v[33:34], 3, v[39:40]
	v_mov_b32_e32 v38, s13
	v_add_co_u32_e32 v37, vcc, s12, v35
	v_addc_co_u32_e32 v38, vcc, v36, v38, vcc
	v_mov_b32_e32 v41, s5
	v_add_co_u32_e32 v33, vcc, s4, v33
	v_addc_co_u32_e32 v34, vcc, v41, v34, vcc
	v_add_u32_e32 v41, s15, v39
	v_ashrrev_i32_e32 v42, 31, v41
	v_lshlrev_b64 v[39:40], 3, v[41:42]
	v_mov_b32_e32 v68, s5
	v_add_co_u32_e32 v39, vcc, s4, v39
	global_load_dwordx2 v[43:44], v45, s[4:5]
	global_load_dwordx2 v[46:47], v[37:38], off
	global_load_dwordx2 v[48:49], v[1:2], off
	;; [unrolled: 1-line block ×11, first 2 shown]
	v_addc_co_u32_e32 v40, vcc, v68, v40, vcc
	global_load_dwordx2 v[68:69], v[21:22], off
	global_load_dwordx2 v[70:71], v[23:24], off
	;; [unrolled: 1-line block ×8, first 2 shown]
	v_add_u32_e32 v41, s15, v41
	v_ashrrev_i32_e32 v42, 31, v41
	v_lshlrev_b64 v[41:42], 3, v[41:42]
	v_mov_b32_e32 v84, s5
	v_add_co_u32_e32 v41, vcc, s4, v41
	v_addc_co_u32_e32 v42, vcc, v84, v42, vcc
	global_load_dwordx2 v[84:85], v[41:42], off
	s_bitcmp0_b32 s8, 0
	s_mov_b64 s[8:9], -1
	s_waitcnt vmcnt(20)
	buffer_store_dword v44, off, s[0:3], 0 offset:4
	buffer_store_dword v43, off, s[0:3], 0
	s_waitcnt vmcnt(21)
	buffer_store_dword v47, off, s[0:3], 0 offset:12
	buffer_store_dword v46, off, s[0:3], 0 offset:8
	s_waitcnt vmcnt(22)
	buffer_store_dword v49, off, s[0:3], 0 offset:20
	buffer_store_dword v48, off, s[0:3], 0 offset:16
	;; [unrolled: 3-line block ×20, first 2 shown]
	s_cbranch_scc1 .LBB20_96
; %bb.4:
	v_cmp_eq_u32_e64 s[4:5], 0, v0
	s_and_saveexec_b64 s[8:9], s[4:5]
; %bb.5:
	v_mov_b32_e32 v43, 0
	ds_write_b32 v43, v43 offset:168
; %bb.6:
	s_or_b64 exec, exec, s[8:9]
	v_mov_b32_e32 v43, 0
	v_lshl_add_u32 v47, v0, 3, v43
	s_waitcnt lgkmcnt(0)
	; wave barrier
	buffer_load_dword v43, v47, s[0:3], 0 offen
	buffer_load_dword v44, v47, s[0:3], 0 offen offset:4
	s_waitcnt vmcnt(1)
	v_cmp_eq_f32_e32 vcc, 0, v43
	s_waitcnt vmcnt(0)
	v_cmp_eq_f32_e64 s[8:9], 0, v44
	s_and_b64 s[8:9], vcc, s[8:9]
	s_and_saveexec_b64 s[12:13], s[8:9]
	s_cbranch_execz .LBB20_10
; %bb.7:
	v_mov_b32_e32 v43, 0
	ds_read_b32 v46, v43 offset:168
	v_add_u32_e32 v44, 1, v0
	s_waitcnt lgkmcnt(0)
	v_readfirstlane_b32 s8, v46
	s_cmp_eq_u32 s8, 0
	s_cselect_b64 s[14:15], -1, 0
	v_cmp_gt_i32_e32 vcc, s8, v44
	s_or_b64 s[14:15], s[14:15], vcc
	s_and_b64 exec, exec, s[14:15]
	s_cbranch_execz .LBB20_10
; %bb.8:
	s_mov_b64 s[14:15], 0
	v_mov_b32_e32 v46, s8
.LBB20_9:                               ; =>This Inner Loop Header: Depth=1
	ds_cmpst_rtn_b32 v46, v43, v46, v44 offset:168
	s_waitcnt lgkmcnt(0)
	v_cmp_ne_u32_e32 vcc, 0, v46
	v_cmp_le_i32_e64 s[8:9], v46, v44
	s_and_b64 s[8:9], vcc, s[8:9]
	s_and_b64 s[8:9], exec, s[8:9]
	s_or_b64 s[14:15], s[8:9], s[14:15]
	s_andn2_b64 exec, exec, s[14:15]
	s_cbranch_execnz .LBB20_9
.LBB20_10:
	s_or_b64 exec, exec, s[12:13]
	v_mov_b32_e32 v44, 0
	; wave barrier
	ds_read_b32 v43, v44 offset:168
	s_and_saveexec_b64 s[8:9], s[4:5]
	s_cbranch_execz .LBB20_12
; %bb.11:
	s_lshl_b64 s[12:13], s[6:7], 2
	s_add_u32 s12, s10, s12
	s_addc_u32 s13, s11, s13
	s_waitcnt lgkmcnt(0)
	global_store_dword v44, v43, s[12:13]
.LBB20_12:
	s_or_b64 exec, exec, s[8:9]
	s_waitcnt lgkmcnt(0)
	v_cmp_ne_u32_e32 vcc, 0, v43
	s_mov_b64 s[8:9], 0
	s_cbranch_vccnz .LBB20_96
; %bb.13:
	buffer_load_dword v44, v47, s[0:3], 0 offen
	buffer_load_dword v46, v47, s[0:3], 0 offen offset:4
                                        ; implicit-def: $vgpr49
                                        ; implicit-def: $vgpr48
                                        ; implicit-def: $vgpr43
	s_waitcnt vmcnt(0)
	v_cmp_ngt_f32_e64 s[8:9], |v44|, |v46|
	s_and_saveexec_b64 s[12:13], s[8:9]
	s_xor_b64 s[8:9], exec, s[12:13]
	s_cbranch_execz .LBB20_15
; %bb.14:
	v_div_scale_f32 v43, s[12:13], v46, v46, v44
	v_div_scale_f32 v48, vcc, v44, v46, v44
	v_rcp_f32_e32 v49, v43
	v_fma_f32 v50, -v43, v49, 1.0
	v_fmac_f32_e32 v49, v50, v49
	v_mul_f32_e32 v50, v48, v49
	v_fma_f32 v51, -v43, v50, v48
	v_fmac_f32_e32 v50, v51, v49
	v_fma_f32 v43, -v43, v50, v48
	v_div_fmas_f32 v43, v43, v49, v50
	v_div_fixup_f32 v43, v43, v46, v44
	v_fmac_f32_e32 v46, v44, v43
	v_div_scale_f32 v44, s[12:13], v46, v46, 1.0
	v_div_scale_f32 v48, vcc, 1.0, v46, 1.0
	v_rcp_f32_e32 v49, v44
	v_fma_f32 v50, -v44, v49, 1.0
	v_fmac_f32_e32 v49, v50, v49
	v_mul_f32_e32 v50, v48, v49
	v_fma_f32 v51, -v44, v50, v48
	v_fmac_f32_e32 v50, v51, v49
	v_fma_f32 v44, -v44, v50, v48
	v_div_fmas_f32 v44, v44, v49, v50
	v_div_fixup_f32 v44, v44, v46, 1.0
	v_mul_f32_e32 v49, v43, v44
	v_xor_b32_e32 v48, 0x80000000, v44
	v_xor_b32_e32 v43, 0x80000000, v49
                                        ; implicit-def: $vgpr44
                                        ; implicit-def: $vgpr46
.LBB20_15:
	s_andn2_saveexec_b64 s[8:9], s[8:9]
	s_cbranch_execz .LBB20_17
; %bb.16:
	v_div_scale_f32 v43, s[12:13], v44, v44, v46
	v_div_scale_f32 v48, vcc, v46, v44, v46
	v_rcp_f32_e32 v49, v43
	v_fma_f32 v50, -v43, v49, 1.0
	v_fmac_f32_e32 v49, v50, v49
	v_mul_f32_e32 v50, v48, v49
	v_fma_f32 v51, -v43, v50, v48
	v_fmac_f32_e32 v50, v51, v49
	v_fma_f32 v43, -v43, v50, v48
	v_div_fmas_f32 v43, v43, v49, v50
	v_div_fixup_f32 v48, v43, v44, v46
	v_fmac_f32_e32 v44, v46, v48
	v_div_scale_f32 v43, s[12:13], v44, v44, 1.0
	v_div_scale_f32 v46, vcc, 1.0, v44, 1.0
	v_rcp_f32_e32 v49, v43
	v_fma_f32 v50, -v43, v49, 1.0
	v_fmac_f32_e32 v49, v50, v49
	v_mul_f32_e32 v50, v46, v49
	v_fma_f32 v51, -v43, v50, v46
	v_fmac_f32_e32 v50, v51, v49
	v_fma_f32 v43, -v43, v50, v46
	v_div_fmas_f32 v43, v43, v49, v50
	v_div_fixup_f32 v49, v43, v44, 1.0
	v_xor_b32_e32 v43, 0x80000000, v49
	v_mul_f32_e64 v48, v48, -v49
.LBB20_17:
	s_or_b64 exec, exec, s[8:9]
	buffer_store_dword v49, v47, s[0:3], 0 offen
	buffer_store_dword v48, v47, s[0:3], 0 offen offset:4
	buffer_load_dword v50, off, s[0:3], 0 offset:12
	s_nop 0
	buffer_load_dword v49, off, s[0:3], 0 offset:8
	v_xor_b32_e32 v44, 0x80000000, v48
	v_add_u32_e32 v46, 0xb0, v45
	s_waitcnt vmcnt(0)
	ds_write2_b64 v45, v[43:44], v[49:50] offset1:22
	s_waitcnt lgkmcnt(0)
	; wave barrier
	s_and_saveexec_b64 s[8:9], s[4:5]
	s_cbranch_execz .LBB20_19
; %bb.18:
	buffer_load_dword v50, v47, s[0:3], 0 offen offset:4
	buffer_load_dword v51, v47, s[0:3], 0 offen
	ds_read_b64 v[43:44], v46
	v_mov_b32_e32 v48, 0
	ds_read_b64 v[48:49], v48 offset:8
	s_waitcnt vmcnt(1) lgkmcnt(1)
	v_mul_f32_e32 v52, v44, v50
	v_mul_f32_e32 v50, v43, v50
	s_waitcnt vmcnt(0)
	v_fmac_f32_e32 v50, v44, v51
	v_fma_f32 v43, v43, v51, -v52
	v_add_f32_e32 v44, 0, v50
	v_add_f32_e32 v43, 0, v43
	s_waitcnt lgkmcnt(0)
	v_mul_f32_e32 v50, v44, v49
	v_mul_f32_e32 v49, v43, v49
	v_fma_f32 v43, v43, v48, -v50
	v_fmac_f32_e32 v49, v44, v48
	buffer_store_dword v43, off, s[0:3], 0 offset:8
	buffer_store_dword v49, off, s[0:3], 0 offset:12
.LBB20_19:
	s_or_b64 exec, exec, s[8:9]
	; wave barrier
	buffer_load_dword v43, off, s[0:3], 0 offset:16
	buffer_load_dword v44, off, s[0:3], 0 offset:20
	v_cmp_gt_u32_e32 vcc, 2, v0
	s_waitcnt vmcnt(0)
	ds_write_b64 v46, v[43:44]
	s_waitcnt lgkmcnt(0)
	; wave barrier
	s_and_saveexec_b64 s[8:9], vcc
	s_cbranch_execz .LBB20_23
; %bb.20:
	buffer_load_dword v48, v47, s[0:3], 0 offen offset:4
	buffer_load_dword v49, v47, s[0:3], 0 offen
	ds_read_b64 v[43:44], v46
	s_waitcnt vmcnt(1) lgkmcnt(0)
	v_mul_f32_e32 v47, v44, v48
	v_mul_f32_e32 v48, v43, v48
	s_waitcnt vmcnt(0)
	v_fma_f32 v43, v43, v49, -v47
	v_fmac_f32_e32 v48, v44, v49
	v_add_f32_e32 v44, 0, v43
	v_add_f32_e32 v43, 0, v48
	s_and_saveexec_b64 s[12:13], s[4:5]
	s_cbranch_execz .LBB20_22
; %bb.21:
	buffer_load_dword v49, off, s[0:3], 0 offset:12
	buffer_load_dword v50, off, s[0:3], 0 offset:8
	v_mov_b32_e32 v47, 0
	ds_read_b64 v[47:48], v47 offset:184
	s_waitcnt vmcnt(1) lgkmcnt(0)
	v_mul_f32_e32 v51, v47, v49
	v_mul_f32_e32 v49, v48, v49
	s_waitcnt vmcnt(0)
	v_fmac_f32_e32 v51, v48, v50
	v_fma_f32 v47, v47, v50, -v49
	v_add_f32_e32 v43, v43, v51
	v_add_f32_e32 v44, v44, v47
.LBB20_22:
	s_or_b64 exec, exec, s[12:13]
	v_mov_b32_e32 v47, 0
	ds_read_b64 v[47:48], v47 offset:16
	s_waitcnt lgkmcnt(0)
	v_mul_f32_e32 v49, v43, v48
	v_mul_f32_e32 v48, v44, v48
	v_fma_f32 v44, v44, v47, -v49
	v_fmac_f32_e32 v48, v43, v47
	buffer_store_dword v44, off, s[0:3], 0 offset:16
	buffer_store_dword v48, off, s[0:3], 0 offset:20
.LBB20_23:
	s_or_b64 exec, exec, s[8:9]
	; wave barrier
	buffer_load_dword v43, off, s[0:3], 0 offset:24
	buffer_load_dword v44, off, s[0:3], 0 offset:28
	v_cmp_gt_u32_e32 vcc, 3, v0
	s_waitcnt vmcnt(0)
	ds_write_b64 v46, v[43:44]
	v_add_u32_e32 v43, -1, v0
	s_waitcnt lgkmcnt(0)
	; wave barrier
	s_and_saveexec_b64 s[4:5], vcc
	s_cbranch_execz .LBB20_27
; %bb.24:
	v_add_u32_e32 v47, -1, v0
	v_add_u32_e32 v48, 0xb0, v45
	v_mov_b32_e32 v49, v45
	v_mov_b32_e32 v44, 0
	s_mov_b64 s[8:9], 0
	v_mov_b32_e32 v50, 0
.LBB20_25:                              ; =>This Inner Loop Header: Depth=1
	buffer_load_dword v53, v49, s[0:3], 0 offen offset:4
	buffer_load_dword v54, v49, s[0:3], 0 offen
	ds_read_b64 v[51:52], v48
	v_add_u32_e32 v47, 1, v47
	v_cmp_lt_u32_e32 vcc, 1, v47
	v_add_u32_e32 v48, 8, v48
	v_add_u32_e32 v49, 8, v49
	s_or_b64 s[8:9], vcc, s[8:9]
	s_waitcnt vmcnt(1) lgkmcnt(0)
	v_mul_f32_e32 v55, v52, v53
	v_mul_f32_e32 v53, v51, v53
	s_waitcnt vmcnt(0)
	v_fma_f32 v51, v51, v54, -v55
	v_fmac_f32_e32 v53, v52, v54
	v_add_f32_e32 v50, v50, v51
	v_add_f32_e32 v44, v44, v53
	s_andn2_b64 exec, exec, s[8:9]
	s_cbranch_execnz .LBB20_25
; %bb.26:
	s_or_b64 exec, exec, s[8:9]
	v_mov_b32_e32 v47, 0
	ds_read_b64 v[47:48], v47 offset:24
	s_waitcnt lgkmcnt(0)
	v_mul_f32_e32 v49, v44, v48
	v_mul_f32_e32 v48, v50, v48
	v_fma_f32 v49, v50, v47, -v49
	v_fmac_f32_e32 v48, v44, v47
	buffer_store_dword v49, off, s[0:3], 0 offset:24
	buffer_store_dword v48, off, s[0:3], 0 offset:28
.LBB20_27:
	s_or_b64 exec, exec, s[4:5]
	; wave barrier
	buffer_load_dword v47, off, s[0:3], 0 offset:32
	buffer_load_dword v48, off, s[0:3], 0 offset:36
	v_cmp_gt_u32_e32 vcc, 4, v0
	s_waitcnt vmcnt(0)
	ds_write_b64 v46, v[47:48]
	s_waitcnt lgkmcnt(0)
	; wave barrier
	s_and_saveexec_b64 s[4:5], vcc
	s_cbranch_execz .LBB20_31
; %bb.28:
	v_add_u32_e32 v47, -1, v0
	v_add_u32_e32 v48, 0xb0, v45
	v_mov_b32_e32 v49, v45
	v_mov_b32_e32 v44, 0
	s_mov_b64 s[8:9], 0
	v_mov_b32_e32 v50, 0
.LBB20_29:                              ; =>This Inner Loop Header: Depth=1
	buffer_load_dword v53, v49, s[0:3], 0 offen offset:4
	buffer_load_dword v54, v49, s[0:3], 0 offen
	ds_read_b64 v[51:52], v48
	v_add_u32_e32 v47, 1, v47
	v_cmp_lt_u32_e32 vcc, 2, v47
	v_add_u32_e32 v48, 8, v48
	v_add_u32_e32 v49, 8, v49
	s_or_b64 s[8:9], vcc, s[8:9]
	s_waitcnt vmcnt(1) lgkmcnt(0)
	v_mul_f32_e32 v55, v52, v53
	v_mul_f32_e32 v53, v51, v53
	s_waitcnt vmcnt(0)
	v_fma_f32 v51, v51, v54, -v55
	v_fmac_f32_e32 v53, v52, v54
	v_add_f32_e32 v50, v50, v51
	v_add_f32_e32 v44, v44, v53
	s_andn2_b64 exec, exec, s[8:9]
	s_cbranch_execnz .LBB20_29
; %bb.30:
	s_or_b64 exec, exec, s[8:9]
	v_mov_b32_e32 v47, 0
	ds_read_b64 v[47:48], v47 offset:32
	s_waitcnt lgkmcnt(0)
	v_mul_f32_e32 v49, v44, v48
	v_mul_f32_e32 v48, v50, v48
	v_fma_f32 v49, v50, v47, -v49
	v_fmac_f32_e32 v48, v44, v47
	buffer_store_dword v49, off, s[0:3], 0 offset:32
	buffer_store_dword v48, off, s[0:3], 0 offset:36
.LBB20_31:
	s_or_b64 exec, exec, s[4:5]
	; wave barrier
	buffer_load_dword v47, off, s[0:3], 0 offset:40
	buffer_load_dword v48, off, s[0:3], 0 offset:44
	v_cmp_gt_u32_e32 vcc, 5, v0
	s_waitcnt vmcnt(0)
	ds_write_b64 v46, v[47:48]
	;; [unrolled: 49-line block ×16, first 2 shown]
	s_waitcnt lgkmcnt(0)
	; wave barrier
	s_and_saveexec_b64 s[4:5], vcc
	s_cbranch_execz .LBB20_91
; %bb.88:
	v_add_u32_e32 v47, -1, v0
	v_add_u32_e32 v48, 0xb0, v45
	v_mov_b32_e32 v49, v45
	v_mov_b32_e32 v44, 0
	s_mov_b64 s[8:9], 0
	v_mov_b32_e32 v50, 0
.LBB20_89:                              ; =>This Inner Loop Header: Depth=1
	buffer_load_dword v53, v49, s[0:3], 0 offen offset:4
	buffer_load_dword v54, v49, s[0:3], 0 offen
	ds_read_b64 v[51:52], v48
	v_add_u32_e32 v47, 1, v47
	v_cmp_lt_u32_e32 vcc, 17, v47
	v_add_u32_e32 v48, 8, v48
	v_add_u32_e32 v49, 8, v49
	s_or_b64 s[8:9], vcc, s[8:9]
	s_waitcnt vmcnt(1) lgkmcnt(0)
	v_mul_f32_e32 v55, v52, v53
	v_mul_f32_e32 v53, v51, v53
	s_waitcnt vmcnt(0)
	v_fma_f32 v51, v51, v54, -v55
	v_fmac_f32_e32 v53, v52, v54
	v_add_f32_e32 v50, v50, v51
	v_add_f32_e32 v44, v44, v53
	s_andn2_b64 exec, exec, s[8:9]
	s_cbranch_execnz .LBB20_89
; %bb.90:
	s_or_b64 exec, exec, s[8:9]
	v_mov_b32_e32 v47, 0
	ds_read_b64 v[47:48], v47 offset:152
	s_waitcnt lgkmcnt(0)
	v_mul_f32_e32 v49, v44, v48
	v_mul_f32_e32 v48, v50, v48
	v_fma_f32 v49, v50, v47, -v49
	v_fmac_f32_e32 v48, v44, v47
	buffer_store_dword v49, off, s[0:3], 0 offset:152
	buffer_store_dword v48, off, s[0:3], 0 offset:156
.LBB20_91:
	s_or_b64 exec, exec, s[4:5]
	; wave barrier
	buffer_load_dword v47, off, s[0:3], 0 offset:160
	buffer_load_dword v48, off, s[0:3], 0 offset:164
	v_cmp_ne_u32_e32 vcc, 20, v0
	s_waitcnt vmcnt(0)
	ds_write_b64 v46, v[47:48]
	s_waitcnt lgkmcnt(0)
	; wave barrier
	s_and_saveexec_b64 s[4:5], vcc
	s_cbranch_execz .LBB20_95
; %bb.92:
	v_add_u32_e32 v46, 0xb0, v45
	v_mov_b32_e32 v44, 0
	s_mov_b64 s[8:9], 0
	v_mov_b32_e32 v47, 0
.LBB20_93:                              ; =>This Inner Loop Header: Depth=1
	buffer_load_dword v50, v45, s[0:3], 0 offen offset:4
	buffer_load_dword v51, v45, s[0:3], 0 offen
	ds_read_b64 v[48:49], v46
	v_add_u32_e32 v43, 1, v43
	v_cmp_lt_u32_e32 vcc, 18, v43
	v_add_u32_e32 v46, 8, v46
	v_add_u32_e32 v45, 8, v45
	s_or_b64 s[8:9], vcc, s[8:9]
	s_waitcnt vmcnt(1) lgkmcnt(0)
	v_mul_f32_e32 v52, v49, v50
	v_mul_f32_e32 v50, v48, v50
	s_waitcnt vmcnt(0)
	v_fma_f32 v48, v48, v51, -v52
	v_fmac_f32_e32 v50, v49, v51
	v_add_f32_e32 v47, v47, v48
	v_add_f32_e32 v44, v44, v50
	s_andn2_b64 exec, exec, s[8:9]
	s_cbranch_execnz .LBB20_93
; %bb.94:
	s_or_b64 exec, exec, s[8:9]
	v_mov_b32_e32 v43, 0
	ds_read_b64 v[45:46], v43 offset:160
	s_waitcnt lgkmcnt(0)
	v_mul_f32_e32 v43, v44, v46
	v_mul_f32_e32 v46, v47, v46
	v_fma_f32 v43, v47, v45, -v43
	v_fmac_f32_e32 v46, v44, v45
	buffer_store_dword v43, off, s[0:3], 0 offset:160
	buffer_store_dword v46, off, s[0:3], 0 offset:164
.LBB20_95:
	s_or_b64 exec, exec, s[4:5]
	s_mov_b64 s[8:9], -1
	; wave barrier
.LBB20_96:
	s_and_b64 vcc, exec, s[8:9]
	s_cbranch_vccz .LBB20_98
; %bb.97:
	s_lshl_b64 s[4:5], s[6:7], 2
	s_add_u32 s4, s10, s4
	s_addc_u32 s5, s11, s5
	v_mov_b32_e32 v43, 0
	global_load_dword v43, v43, s[4:5]
	s_waitcnt vmcnt(0)
	v_cmp_ne_u32_e32 vcc, 0, v43
	s_cbranch_vccz .LBB20_99
.LBB20_98:
	s_endpgm
.LBB20_99:
	v_mov_b32_e32 v43, 0xb0
	v_lshl_add_u32 v43, v0, 3, v43
	v_cmp_eq_u32_e32 vcc, 20, v0
	s_and_saveexec_b64 s[4:5], vcc
	s_cbranch_execz .LBB20_101
; %bb.100:
	buffer_load_dword v44, off, s[0:3], 0 offset:152
	buffer_load_dword v45, off, s[0:3], 0 offset:156
	v_mov_b32_e32 v46, 0
	buffer_store_dword v46, off, s[0:3], 0 offset:152
	buffer_store_dword v46, off, s[0:3], 0 offset:156
	s_waitcnt vmcnt(2)
	ds_write_b64 v43, v[44:45]
.LBB20_101:
	s_or_b64 exec, exec, s[4:5]
	s_waitcnt lgkmcnt(0)
	; wave barrier
	buffer_load_dword v47, off, s[0:3], 0 offset:164
	buffer_load_dword v48, off, s[0:3], 0 offset:160
	;; [unrolled: 1-line block ×4, first 2 shown]
	v_mov_b32_e32 v44, 0
	ds_read_b64 v[45:46], v44 offset:336
	v_cmp_lt_u32_e32 vcc, 18, v0
	s_waitcnt vmcnt(3) lgkmcnt(0)
	v_mul_f32_e32 v51, v45, v47
	v_mul_f32_e32 v47, v46, v47
	s_waitcnt vmcnt(2)
	v_fma_f32 v45, v45, v48, -v47
	v_fmac_f32_e32 v51, v46, v48
	v_add_f32_e32 v45, 0, v45
	v_add_f32_e32 v46, 0, v51
	s_waitcnt vmcnt(1)
	v_sub_f32_e32 v45, v49, v45
	s_waitcnt vmcnt(0)
	v_sub_f32_e32 v46, v50, v46
	buffer_store_dword v45, off, s[0:3], 0 offset:152
	buffer_store_dword v46, off, s[0:3], 0 offset:156
	s_and_saveexec_b64 s[4:5], vcc
	s_cbranch_execz .LBB20_103
; %bb.102:
	buffer_load_dword v45, off, s[0:3], 0 offset:144
	buffer_load_dword v46, off, s[0:3], 0 offset:148
	s_waitcnt vmcnt(0)
	ds_write_b64 v43, v[45:46]
	buffer_store_dword v44, off, s[0:3], 0 offset:144
	buffer_store_dword v44, off, s[0:3], 0 offset:148
.LBB20_103:
	s_or_b64 exec, exec, s[4:5]
	s_waitcnt lgkmcnt(0)
	; wave barrier
	buffer_load_dword v48, off, s[0:3], 0 offset:156
	buffer_load_dword v49, off, s[0:3], 0 offset:164
	;; [unrolled: 1-line block ×6, first 2 shown]
	ds_read2_b64 v[44:47], v44 offset0:41 offset1:42
	v_cmp_lt_u32_e32 vcc, 17, v0
	s_waitcnt vmcnt(5) lgkmcnt(0)
	v_mul_f32_e32 v54, v44, v48
	v_mul_f32_e32 v48, v45, v48
	s_waitcnt vmcnt(4)
	v_mul_f32_e32 v55, v46, v49
	v_mul_f32_e32 v49, v47, v49
	s_waitcnt vmcnt(3)
	v_fma_f32 v44, v44, v50, -v48
	v_fmac_f32_e32 v54, v45, v50
	s_waitcnt vmcnt(2)
	v_fma_f32 v45, v46, v51, -v49
	v_add_f32_e32 v44, 0, v44
	v_fmac_f32_e32 v55, v47, v51
	v_add_f32_e32 v46, 0, v54
	v_add_f32_e32 v44, v44, v45
	;; [unrolled: 1-line block ×3, first 2 shown]
	s_waitcnt vmcnt(1)
	v_sub_f32_e32 v44, v52, v44
	s_waitcnt vmcnt(0)
	v_sub_f32_e32 v45, v53, v46
	buffer_store_dword v44, off, s[0:3], 0 offset:144
	buffer_store_dword v45, off, s[0:3], 0 offset:148
	s_and_saveexec_b64 s[4:5], vcc
	s_cbranch_execz .LBB20_105
; %bb.104:
	buffer_load_dword v44, off, s[0:3], 0 offset:136
	buffer_load_dword v45, off, s[0:3], 0 offset:140
	v_mov_b32_e32 v46, 0
	buffer_store_dword v46, off, s[0:3], 0 offset:136
	buffer_store_dword v46, off, s[0:3], 0 offset:140
	s_waitcnt vmcnt(2)
	ds_write_b64 v43, v[44:45]
.LBB20_105:
	s_or_b64 exec, exec, s[4:5]
	s_waitcnt lgkmcnt(0)
	; wave barrier
	buffer_load_dword v51, off, s[0:3], 0 offset:148
	buffer_load_dword v52, off, s[0:3], 0 offset:156
	;; [unrolled: 1-line block ×8, first 2 shown]
	v_mov_b32_e32 v44, 0
	ds_read_b128 v[45:48], v44 offset:320
	ds_read_b64 v[49:50], v44 offset:336
	v_cmp_lt_u32_e32 vcc, 16, v0
	s_waitcnt vmcnt(7) lgkmcnt(1)
	v_mul_f32_e32 v59, v45, v51
	v_mul_f32_e32 v51, v46, v51
	s_waitcnt vmcnt(6)
	v_mul_f32_e32 v60, v47, v52
	v_mul_f32_e32 v52, v48, v52
	s_waitcnt vmcnt(4)
	v_fma_f32 v45, v45, v54, -v51
	s_waitcnt lgkmcnt(0)
	v_mul_f32_e32 v61, v49, v53
	v_mul_f32_e32 v53, v50, v53
	v_fmac_f32_e32 v59, v46, v54
	s_waitcnt vmcnt(3)
	v_fma_f32 v46, v47, v55, -v52
	v_add_f32_e32 v45, 0, v45
	v_fmac_f32_e32 v60, v48, v55
	s_waitcnt vmcnt(2)
	v_fma_f32 v47, v49, v56, -v53
	v_add_f32_e32 v48, 0, v59
	v_add_f32_e32 v45, v45, v46
	v_fmac_f32_e32 v61, v50, v56
	v_add_f32_e32 v48, v48, v60
	v_add_f32_e32 v45, v45, v47
	;; [unrolled: 1-line block ×3, first 2 shown]
	s_waitcnt vmcnt(1)
	v_sub_f32_e32 v45, v57, v45
	s_waitcnt vmcnt(0)
	v_sub_f32_e32 v46, v58, v46
	buffer_store_dword v45, off, s[0:3], 0 offset:136
	buffer_store_dword v46, off, s[0:3], 0 offset:140
	s_and_saveexec_b64 s[4:5], vcc
	s_cbranch_execz .LBB20_107
; %bb.106:
	buffer_load_dword v45, off, s[0:3], 0 offset:128
	buffer_load_dword v46, off, s[0:3], 0 offset:132
	s_waitcnt vmcnt(0)
	ds_write_b64 v43, v[45:46]
	buffer_store_dword v44, off, s[0:3], 0 offset:128
	buffer_store_dword v44, off, s[0:3], 0 offset:132
.LBB20_107:
	s_or_b64 exec, exec, s[4:5]
	s_waitcnt lgkmcnt(0)
	; wave barrier
	buffer_load_dword v53, off, s[0:3], 0 offset:140
	buffer_load_dword v54, off, s[0:3], 0 offset:148
	;; [unrolled: 1-line block ×10, first 2 shown]
	ds_read2_b64 v[45:48], v44 offset0:39 offset1:40
	ds_read2_b64 v[49:52], v44 offset0:41 offset1:42
	v_cmp_lt_u32_e32 vcc, 15, v0
	s_waitcnt vmcnt(9) lgkmcnt(1)
	v_mul_f32_e32 v44, v45, v53
	v_mul_f32_e32 v53, v46, v53
	s_waitcnt vmcnt(8)
	v_mul_f32_e32 v63, v47, v54
	v_mul_f32_e32 v54, v48, v54
	s_waitcnt vmcnt(5)
	v_fma_f32 v45, v45, v57, -v53
	s_waitcnt lgkmcnt(0)
	v_mul_f32_e32 v64, v49, v55
	v_mul_f32_e32 v55, v50, v55
	v_fmac_f32_e32 v44, v46, v57
	s_waitcnt vmcnt(4)
	v_fma_f32 v46, v47, v58, -v54
	v_add_f32_e32 v45, 0, v45
	v_mul_f32_e32 v65, v51, v56
	v_mul_f32_e32 v56, v52, v56
	v_fmac_f32_e32 v63, v48, v58
	s_waitcnt vmcnt(3)
	v_fma_f32 v47, v49, v59, -v55
	v_add_f32_e32 v44, 0, v44
	v_add_f32_e32 v45, v45, v46
	v_fmac_f32_e32 v64, v50, v59
	s_waitcnt vmcnt(2)
	v_fma_f32 v48, v51, v60, -v56
	v_add_f32_e32 v44, v44, v63
	v_add_f32_e32 v45, v45, v47
	v_fmac_f32_e32 v65, v52, v60
	v_add_f32_e32 v44, v44, v64
	v_add_f32_e32 v45, v45, v48
	;; [unrolled: 1-line block ×3, first 2 shown]
	s_waitcnt vmcnt(1)
	v_sub_f32_e32 v45, v61, v45
	s_waitcnt vmcnt(0)
	v_sub_f32_e32 v44, v62, v44
	buffer_store_dword v45, off, s[0:3], 0 offset:128
	buffer_store_dword v44, off, s[0:3], 0 offset:132
	s_and_saveexec_b64 s[4:5], vcc
	s_cbranch_execz .LBB20_109
; %bb.108:
	buffer_load_dword v44, off, s[0:3], 0 offset:120
	buffer_load_dword v45, off, s[0:3], 0 offset:124
	v_mov_b32_e32 v46, 0
	buffer_store_dword v46, off, s[0:3], 0 offset:120
	buffer_store_dword v46, off, s[0:3], 0 offset:124
	s_waitcnt vmcnt(2)
	ds_write_b64 v43, v[44:45]
.LBB20_109:
	s_or_b64 exec, exec, s[4:5]
	s_waitcnt lgkmcnt(0)
	; wave barrier
	buffer_load_dword v55, off, s[0:3], 0 offset:132
	buffer_load_dword v56, off, s[0:3], 0 offset:140
	;; [unrolled: 1-line block ×12, first 2 shown]
	v_mov_b32_e32 v44, 0
	ds_read_b128 v[45:48], v44 offset:304
	ds_read_b128 v[49:52], v44 offset:320
	ds_read_b64 v[53:54], v44 offset:336
	v_cmp_lt_u32_e32 vcc, 14, v0
	s_waitcnt vmcnt(11) lgkmcnt(2)
	v_mul_f32_e32 v67, v45, v55
	v_mul_f32_e32 v55, v46, v55
	s_waitcnt vmcnt(10)
	v_mul_f32_e32 v68, v47, v56
	v_mul_f32_e32 v56, v48, v56
	s_waitcnt vmcnt(9) lgkmcnt(1)
	v_mul_f32_e32 v69, v49, v57
	s_waitcnt vmcnt(6)
	v_fma_f32 v45, v45, v60, -v55
	v_mul_f32_e32 v57, v50, v57
	v_fmac_f32_e32 v67, v46, v60
	s_waitcnt vmcnt(5)
	v_fma_f32 v46, v47, v61, -v56
	v_add_f32_e32 v45, 0, v45
	v_mul_f32_e32 v70, v51, v58
	v_mul_f32_e32 v58, v52, v58
	v_fmac_f32_e32 v68, v48, v61
	s_waitcnt vmcnt(4)
	v_fmac_f32_e32 v69, v50, v62
	v_fma_f32 v47, v49, v62, -v57
	v_add_f32_e32 v50, 0, v67
	v_add_f32_e32 v45, v45, v46
	s_waitcnt lgkmcnt(0)
	v_mul_f32_e32 v71, v53, v59
	v_mul_f32_e32 v59, v54, v59
	s_waitcnt vmcnt(3)
	v_fma_f32 v48, v51, v63, -v58
	v_add_f32_e32 v50, v50, v68
	v_add_f32_e32 v45, v45, v47
	v_fmac_f32_e32 v70, v52, v63
	s_waitcnt vmcnt(2)
	v_fma_f32 v49, v53, v64, -v59
	v_add_f32_e32 v46, v50, v69
	v_add_f32_e32 v45, v45, v48
	v_fmac_f32_e32 v71, v54, v64
	v_add_f32_e32 v46, v46, v70
	v_add_f32_e32 v45, v45, v49
	v_add_f32_e32 v46, v46, v71
	s_waitcnt vmcnt(1)
	v_sub_f32_e32 v45, v65, v45
	s_waitcnt vmcnt(0)
	v_sub_f32_e32 v46, v66, v46
	buffer_store_dword v45, off, s[0:3], 0 offset:120
	buffer_store_dword v46, off, s[0:3], 0 offset:124
	s_and_saveexec_b64 s[4:5], vcc
	s_cbranch_execz .LBB20_111
; %bb.110:
	buffer_load_dword v45, off, s[0:3], 0 offset:112
	buffer_load_dword v46, off, s[0:3], 0 offset:116
	s_waitcnt vmcnt(0)
	ds_write_b64 v43, v[45:46]
	buffer_store_dword v44, off, s[0:3], 0 offset:112
	buffer_store_dword v44, off, s[0:3], 0 offset:116
.LBB20_111:
	s_or_b64 exec, exec, s[4:5]
	s_waitcnt lgkmcnt(0)
	; wave barrier
	buffer_load_dword v57, off, s[0:3], 0 offset:124
	buffer_load_dword v58, off, s[0:3], 0 offset:132
	;; [unrolled: 1-line block ×14, first 2 shown]
	ds_read2_b64 v[45:48], v44 offset0:37 offset1:38
	ds_read2_b64 v[49:52], v44 offset0:39 offset1:40
	ds_read2_b64 v[53:56], v44 offset0:41 offset1:42
	v_cmp_lt_u32_e32 vcc, 13, v0
	s_waitcnt vmcnt(13) lgkmcnt(2)
	v_mul_f32_e32 v44, v45, v57
	v_mul_f32_e32 v57, v46, v57
	s_waitcnt vmcnt(12)
	v_mul_f32_e32 v71, v47, v58
	v_mul_f32_e32 v58, v48, v58
	s_waitcnt vmcnt(11) lgkmcnt(1)
	v_mul_f32_e32 v72, v49, v59
	v_mul_f32_e32 v59, v50, v59
	s_waitcnt vmcnt(7)
	v_fma_f32 v45, v45, v63, -v57
	v_fmac_f32_e32 v44, v46, v63
	s_waitcnt vmcnt(6)
	v_fma_f32 v46, v47, v64, -v58
	v_add_f32_e32 v45, 0, v45
	v_mul_f32_e32 v73, v51, v60
	v_mul_f32_e32 v60, v52, v60
	v_fmac_f32_e32 v71, v48, v64
	s_waitcnt vmcnt(5)
	v_fma_f32 v47, v49, v65, -v59
	v_add_f32_e32 v44, 0, v44
	v_add_f32_e32 v45, v45, v46
	s_waitcnt lgkmcnt(0)
	v_mul_f32_e32 v74, v53, v61
	v_mul_f32_e32 v61, v54, v61
	v_fmac_f32_e32 v72, v50, v65
	s_waitcnt vmcnt(4)
	v_fma_f32 v48, v51, v66, -v60
	v_add_f32_e32 v44, v44, v71
	v_add_f32_e32 v45, v45, v47
	v_mul_f32_e32 v75, v55, v62
	v_mul_f32_e32 v62, v56, v62
	v_fmac_f32_e32 v73, v52, v66
	s_waitcnt vmcnt(3)
	v_fma_f32 v49, v53, v67, -v61
	v_add_f32_e32 v44, v44, v72
	v_add_f32_e32 v45, v45, v48
	v_fmac_f32_e32 v74, v54, v67
	s_waitcnt vmcnt(2)
	v_fma_f32 v50, v55, v68, -v62
	v_add_f32_e32 v44, v44, v73
	v_add_f32_e32 v45, v45, v49
	v_fmac_f32_e32 v75, v56, v68
	v_add_f32_e32 v44, v44, v74
	v_add_f32_e32 v45, v45, v50
	;; [unrolled: 1-line block ×3, first 2 shown]
	s_waitcnt vmcnt(1)
	v_sub_f32_e32 v45, v69, v45
	s_waitcnt vmcnt(0)
	v_sub_f32_e32 v44, v70, v44
	buffer_store_dword v45, off, s[0:3], 0 offset:112
	buffer_store_dword v44, off, s[0:3], 0 offset:116
	s_and_saveexec_b64 s[4:5], vcc
	s_cbranch_execz .LBB20_113
; %bb.112:
	buffer_load_dword v44, off, s[0:3], 0 offset:104
	buffer_load_dword v45, off, s[0:3], 0 offset:108
	v_mov_b32_e32 v46, 0
	buffer_store_dword v46, off, s[0:3], 0 offset:104
	buffer_store_dword v46, off, s[0:3], 0 offset:108
	s_waitcnt vmcnt(2)
	ds_write_b64 v43, v[44:45]
.LBB20_113:
	s_or_b64 exec, exec, s[4:5]
	s_waitcnt lgkmcnt(0)
	; wave barrier
	buffer_load_dword v59, off, s[0:3], 0 offset:116
	buffer_load_dword v60, off, s[0:3], 0 offset:124
	;; [unrolled: 1-line block ×16, first 2 shown]
	v_mov_b32_e32 v44, 0
	ds_read_b128 v[45:48], v44 offset:288
	ds_read_b128 v[49:52], v44 offset:304
	;; [unrolled: 1-line block ×3, first 2 shown]
	ds_read_b64 v[57:58], v44 offset:336
	v_cmp_lt_u32_e32 vcc, 12, v0
	s_waitcnt vmcnt(15) lgkmcnt(3)
	v_mul_f32_e32 v75, v45, v59
	v_mul_f32_e32 v59, v46, v59
	s_waitcnt vmcnt(14)
	v_mul_f32_e32 v76, v47, v60
	v_mul_f32_e32 v60, v48, v60
	s_waitcnt vmcnt(13) lgkmcnt(2)
	v_mul_f32_e32 v77, v49, v61
	s_waitcnt vmcnt(12)
	v_mul_f32_e32 v78, v51, v62
	v_mul_f32_e32 v61, v50, v61
	s_waitcnt vmcnt(8)
	v_fma_f32 v45, v45, v66, -v59
	v_fmac_f32_e32 v75, v46, v66
	s_waitcnt vmcnt(7)
	v_fma_f32 v46, v47, v67, -v60
	v_add_f32_e32 v45, 0, v45
	v_mul_f32_e32 v62, v52, v62
	v_fmac_f32_e32 v76, v48, v67
	s_waitcnt vmcnt(5)
	v_fmac_f32_e32 v78, v52, v69
	v_fma_f32 v47, v49, v68, -v61
	v_add_f32_e32 v52, 0, v75
	v_add_f32_e32 v45, v45, v46
	s_waitcnt lgkmcnt(1)
	v_mul_f32_e32 v79, v53, v63
	v_mul_f32_e32 v63, v54, v63
	v_fmac_f32_e32 v77, v50, v68
	v_fma_f32 v48, v51, v69, -v62
	v_add_f32_e32 v52, v52, v76
	v_add_f32_e32 v45, v45, v47
	v_mul_f32_e32 v80, v55, v64
	v_mul_f32_e32 v64, v56, v64
	s_waitcnt vmcnt(4)
	v_fma_f32 v49, v53, v70, -v63
	v_add_f32_e32 v46, v52, v77
	v_add_f32_e32 v45, v45, v48
	s_waitcnt lgkmcnt(0)
	v_mul_f32_e32 v81, v57, v65
	v_mul_f32_e32 v65, v58, v65
	v_fmac_f32_e32 v79, v54, v70
	s_waitcnt vmcnt(3)
	v_fma_f32 v50, v55, v71, -v64
	v_add_f32_e32 v46, v46, v78
	v_add_f32_e32 v45, v45, v49
	v_fmac_f32_e32 v80, v56, v71
	s_waitcnt vmcnt(2)
	v_fma_f32 v51, v57, v72, -v65
	v_add_f32_e32 v46, v46, v79
	v_add_f32_e32 v45, v45, v50
	v_fmac_f32_e32 v81, v58, v72
	v_add_f32_e32 v46, v46, v80
	v_add_f32_e32 v45, v45, v51
	;; [unrolled: 1-line block ×3, first 2 shown]
	s_waitcnt vmcnt(1)
	v_sub_f32_e32 v45, v73, v45
	s_waitcnt vmcnt(0)
	v_sub_f32_e32 v46, v74, v46
	buffer_store_dword v45, off, s[0:3], 0 offset:104
	buffer_store_dword v46, off, s[0:3], 0 offset:108
	s_and_saveexec_b64 s[4:5], vcc
	s_cbranch_execz .LBB20_115
; %bb.114:
	buffer_load_dword v45, off, s[0:3], 0 offset:96
	buffer_load_dword v46, off, s[0:3], 0 offset:100
	s_waitcnt vmcnt(0)
	ds_write_b64 v43, v[45:46]
	buffer_store_dword v44, off, s[0:3], 0 offset:96
	buffer_store_dword v44, off, s[0:3], 0 offset:100
.LBB20_115:
	s_or_b64 exec, exec, s[4:5]
	s_waitcnt lgkmcnt(0)
	; wave barrier
	ds_read2_b64 v[45:48], v44 offset0:35 offset1:36
	buffer_load_dword v61, off, s[0:3], 0 offset:96
	buffer_load_dword v62, off, s[0:3], 0 offset:100
	;; [unrolled: 1-line block ×16, first 2 shown]
	v_cmp_lt_u32_e32 vcc, 11, v0
	s_waitcnt vmcnt(12) lgkmcnt(0)
	v_mul_f32_e32 v49, v45, v64
	v_fmac_f32_e32 v49, v46, v63
	s_waitcnt vmcnt(10)
	v_mul_f32_e32 v50, v47, v66
	v_add_f32_e32 v49, 0, v49
	v_fmac_f32_e32 v50, v48, v65
	v_add_f32_e32 v53, v49, v50
	ds_read2_b64 v[49:52], v44 offset0:37 offset1:38
	v_mul_f32_e32 v46, v46, v64
	v_fma_f32 v45, v45, v63, -v46
	v_mul_f32_e32 v46, v48, v66
	v_add_f32_e32 v45, 0, v45
	s_waitcnt vmcnt(8) lgkmcnt(0)
	v_mul_f32_e32 v54, v49, v68
	v_fmac_f32_e32 v54, v50, v67
	v_add_f32_e32 v53, v53, v54
	s_waitcnt vmcnt(6)
	v_mul_f32_e32 v54, v51, v70
	v_fmac_f32_e32 v54, v52, v69
	v_add_f32_e32 v57, v53, v54
	ds_read2_b64 v[53:56], v44 offset0:39 offset1:40
	v_fma_f32 v46, v47, v65, -v46
	v_add_f32_e32 v45, v45, v46
	v_mul_f32_e32 v46, v50, v68
	v_fma_f32 v46, v49, v67, -v46
	s_waitcnt vmcnt(4) lgkmcnt(0)
	v_mul_f32_e32 v58, v53, v72
	v_fmac_f32_e32 v58, v54, v71
	v_add_f32_e32 v57, v57, v58
	s_waitcnt vmcnt(2)
	v_mul_f32_e32 v58, v55, v74
	v_fmac_f32_e32 v58, v56, v73
	v_add_f32_e32 v77, v57, v58
	ds_read2_b64 v[57:60], v44 offset0:41 offset1:42
	v_add_f32_e32 v45, v45, v46
	v_mul_f32_e32 v46, v52, v70
	v_fma_f32 v46, v51, v69, -v46
	v_add_f32_e32 v45, v45, v46
	s_waitcnt vmcnt(0) lgkmcnt(0)
	v_mul_f32_e32 v44, v57, v76
	v_fmac_f32_e32 v44, v58, v75
	v_add_f32_e32 v44, v77, v44
	buffer_load_dword v77, off, s[0:3], 0 offset:160
	buffer_load_dword v78, off, s[0:3], 0 offset:164
	v_mul_f32_e32 v46, v54, v72
	v_fma_f32 v46, v53, v71, -v46
	v_add_f32_e32 v45, v45, v46
	v_mul_f32_e32 v46, v56, v74
	v_fma_f32 v46, v55, v73, -v46
	v_add_f32_e32 v45, v45, v46
	;; [unrolled: 3-line block ×3, first 2 shown]
	s_waitcnt vmcnt(0)
	v_mul_f32_e32 v46, v60, v78
	v_mul_f32_e32 v79, v59, v78
	v_fma_f32 v46, v59, v77, -v46
	v_fmac_f32_e32 v79, v60, v77
	v_add_f32_e32 v45, v45, v46
	v_add_f32_e32 v44, v44, v79
	v_sub_f32_e32 v45, v61, v45
	v_sub_f32_e32 v44, v62, v44
	buffer_store_dword v45, off, s[0:3], 0 offset:96
	buffer_store_dword v44, off, s[0:3], 0 offset:100
	s_and_saveexec_b64 s[4:5], vcc
	s_cbranch_execz .LBB20_117
; %bb.116:
	buffer_load_dword v44, off, s[0:3], 0 offset:88
	buffer_load_dword v45, off, s[0:3], 0 offset:92
	v_mov_b32_e32 v46, 0
	buffer_store_dword v46, off, s[0:3], 0 offset:88
	buffer_store_dword v46, off, s[0:3], 0 offset:92
	s_waitcnt vmcnt(2)
	ds_write_b64 v43, v[44:45]
.LBB20_117:
	s_or_b64 exec, exec, s[4:5]
	s_waitcnt lgkmcnt(0)
	; wave barrier
	buffer_load_dword v63, off, s[0:3], 0 offset:100
	buffer_load_dword v64, off, s[0:3], 0 offset:108
	;; [unrolled: 1-line block ×20, first 2 shown]
	v_mov_b32_e32 v44, 0
	ds_read_b128 v[45:48], v44 offset:272
	ds_read_b128 v[49:52], v44 offset:288
	;; [unrolled: 1-line block ×4, first 2 shown]
	ds_read_b64 v[61:62], v44 offset:336
	v_cmp_lt_u32_e32 vcc, 10, v0
	s_waitcnt vmcnt(19) lgkmcnt(4)
	v_mul_f32_e32 v83, v45, v63
	v_mul_f32_e32 v63, v46, v63
	s_waitcnt vmcnt(18)
	v_mul_f32_e32 v84, v47, v64
	v_mul_f32_e32 v64, v48, v64
	s_waitcnt vmcnt(17) lgkmcnt(3)
	v_mul_f32_e32 v85, v49, v65
	s_waitcnt vmcnt(15) lgkmcnt(2)
	v_mul_f32_e32 v87, v53, v67
	v_mul_f32_e32 v65, v50, v65
	;; [unrolled: 1-line block ×4, first 2 shown]
	s_waitcnt vmcnt(10)
	v_fma_f32 v45, v45, v72, -v63
	v_fmac_f32_e32 v83, v46, v72
	s_waitcnt vmcnt(9)
	v_fma_f32 v46, v47, v73, -v64
	v_add_f32_e32 v45, 0, v45
	v_mul_f32_e32 v67, v54, v67
	v_fmac_f32_e32 v84, v48, v73
	s_waitcnt vmcnt(6)
	v_fmac_f32_e32 v87, v54, v76
	v_fma_f32 v47, v49, v74, -v65
	v_add_f32_e32 v54, 0, v83
	v_add_f32_e32 v45, v45, v46
	v_fmac_f32_e32 v85, v50, v74
	v_fma_f32 v48, v51, v75, -v66
	v_add_f32_e32 v54, v54, v84
	v_add_f32_e32 v45, v45, v47
	v_mul_f32_e32 v88, v55, v68
	v_mul_f32_e32 v68, v56, v68
	v_fmac_f32_e32 v86, v52, v75
	v_fma_f32 v49, v53, v76, -v67
	v_add_f32_e32 v46, v54, v85
	v_add_f32_e32 v45, v45, v48
	s_waitcnt lgkmcnt(1)
	v_mul_f32_e32 v89, v57, v69
	v_mul_f32_e32 v69, v58, v69
	s_waitcnt vmcnt(5)
	v_fma_f32 v50, v55, v77, -v68
	v_add_f32_e32 v46, v46, v86
	v_add_f32_e32 v45, v45, v49
	v_mul_f32_e32 v90, v59, v70
	v_mul_f32_e32 v70, v60, v70
	v_fmac_f32_e32 v88, v56, v77
	s_waitcnt vmcnt(4)
	v_fma_f32 v51, v57, v78, -v69
	v_add_f32_e32 v46, v46, v87
	v_add_f32_e32 v45, v45, v50
	s_waitcnt lgkmcnt(0)
	v_mul_f32_e32 v91, v61, v71
	v_mul_f32_e32 v71, v62, v71
	v_fmac_f32_e32 v89, v58, v78
	s_waitcnt vmcnt(3)
	v_fma_f32 v52, v59, v79, -v70
	v_add_f32_e32 v46, v46, v88
	v_add_f32_e32 v45, v45, v51
	v_fmac_f32_e32 v90, v60, v79
	s_waitcnt vmcnt(2)
	v_fma_f32 v53, v61, v80, -v71
	v_add_f32_e32 v46, v46, v89
	v_add_f32_e32 v45, v45, v52
	v_fmac_f32_e32 v91, v62, v80
	v_add_f32_e32 v46, v46, v90
	v_add_f32_e32 v45, v45, v53
	;; [unrolled: 1-line block ×3, first 2 shown]
	s_waitcnt vmcnt(1)
	v_sub_f32_e32 v45, v81, v45
	s_waitcnt vmcnt(0)
	v_sub_f32_e32 v46, v82, v46
	buffer_store_dword v45, off, s[0:3], 0 offset:88
	buffer_store_dword v46, off, s[0:3], 0 offset:92
	s_and_saveexec_b64 s[4:5], vcc
	s_cbranch_execz .LBB20_119
; %bb.118:
	buffer_load_dword v45, off, s[0:3], 0 offset:80
	buffer_load_dword v46, off, s[0:3], 0 offset:84
	s_waitcnt vmcnt(0)
	ds_write_b64 v43, v[45:46]
	buffer_store_dword v44, off, s[0:3], 0 offset:80
	buffer_store_dword v44, off, s[0:3], 0 offset:84
.LBB20_119:
	s_or_b64 exec, exec, s[4:5]
	s_waitcnt lgkmcnt(0)
	; wave barrier
	buffer_load_dword v65, off, s[0:3], 0 offset:92
	buffer_load_dword v66, off, s[0:3], 0 offset:100
	;; [unrolled: 1-line block ×22, first 2 shown]
	ds_read2_b64 v[45:48], v44 offset0:33 offset1:34
	ds_read2_b64 v[49:52], v44 offset0:35 offset1:36
	;; [unrolled: 1-line block ×5, first 2 shown]
	v_cmp_lt_u32_e32 vcc, 9, v0
	s_waitcnt vmcnt(21) lgkmcnt(4)
	v_mul_f32_e32 v44, v45, v65
	v_mul_f32_e32 v65, v46, v65
	s_waitcnt vmcnt(20)
	v_mul_f32_e32 v87, v47, v66
	v_mul_f32_e32 v66, v48, v66
	s_waitcnt vmcnt(19) lgkmcnt(3)
	v_mul_f32_e32 v88, v49, v67
	v_mul_f32_e32 v67, v50, v67
	s_waitcnt vmcnt(18)
	v_mul_f32_e32 v89, v51, v68
	v_mul_f32_e32 v68, v52, v68
	s_waitcnt vmcnt(17) lgkmcnt(2)
	v_mul_f32_e32 v90, v53, v69
	v_mul_f32_e32 v69, v54, v69
	s_waitcnt vmcnt(11)
	v_fma_f32 v45, v45, v75, -v65
	v_fmac_f32_e32 v44, v46, v75
	s_waitcnt vmcnt(10)
	v_fma_f32 v46, v47, v76, -v66
	v_add_f32_e32 v45, 0, v45
	v_fmac_f32_e32 v87, v48, v76
	s_waitcnt vmcnt(9)
	v_fma_f32 v47, v49, v77, -v67
	v_add_f32_e32 v44, 0, v44
	v_add_f32_e32 v45, v45, v46
	v_fmac_f32_e32 v88, v50, v77
	s_waitcnt vmcnt(8)
	v_fma_f32 v48, v51, v78, -v68
	v_add_f32_e32 v44, v44, v87
	v_add_f32_e32 v45, v45, v47
	v_mul_f32_e32 v91, v55, v70
	v_mul_f32_e32 v70, v56, v70
	v_fmac_f32_e32 v89, v52, v78
	s_waitcnt vmcnt(7)
	v_fma_f32 v49, v53, v79, -v69
	v_add_f32_e32 v44, v44, v88
	v_add_f32_e32 v45, v45, v48
	s_waitcnt lgkmcnt(1)
	v_mul_f32_e32 v92, v57, v71
	v_mul_f32_e32 v71, v58, v71
	v_fmac_f32_e32 v90, v54, v79
	s_waitcnt vmcnt(6)
	v_fma_f32 v50, v55, v80, -v70
	v_add_f32_e32 v44, v44, v89
	v_add_f32_e32 v45, v45, v49
	v_mul_f32_e32 v93, v59, v72
	v_mul_f32_e32 v72, v60, v72
	v_fmac_f32_e32 v91, v56, v80
	s_waitcnt vmcnt(5)
	v_fma_f32 v51, v57, v81, -v71
	v_add_f32_e32 v44, v44, v90
	v_add_f32_e32 v45, v45, v50
	s_waitcnt lgkmcnt(0)
	v_mul_f32_e32 v94, v61, v73
	v_mul_f32_e32 v73, v62, v73
	v_fmac_f32_e32 v92, v58, v81
	s_waitcnt vmcnt(4)
	v_fma_f32 v52, v59, v82, -v72
	v_add_f32_e32 v44, v44, v91
	v_add_f32_e32 v45, v45, v51
	v_mul_f32_e32 v95, v63, v74
	v_mul_f32_e32 v74, v64, v74
	v_fmac_f32_e32 v93, v60, v82
	s_waitcnt vmcnt(3)
	v_fma_f32 v53, v61, v83, -v73
	v_add_f32_e32 v44, v44, v92
	v_add_f32_e32 v45, v45, v52
	v_fmac_f32_e32 v94, v62, v83
	s_waitcnt vmcnt(2)
	v_fma_f32 v54, v63, v84, -v74
	v_add_f32_e32 v44, v44, v93
	v_add_f32_e32 v45, v45, v53
	v_fmac_f32_e32 v95, v64, v84
	v_add_f32_e32 v44, v44, v94
	v_add_f32_e32 v45, v45, v54
	v_add_f32_e32 v44, v44, v95
	s_waitcnt vmcnt(1)
	v_sub_f32_e32 v45, v85, v45
	s_waitcnt vmcnt(0)
	v_sub_f32_e32 v44, v86, v44
	buffer_store_dword v45, off, s[0:3], 0 offset:80
	buffer_store_dword v44, off, s[0:3], 0 offset:84
	s_and_saveexec_b64 s[4:5], vcc
	s_cbranch_execz .LBB20_121
; %bb.120:
	buffer_load_dword v44, off, s[0:3], 0 offset:72
	buffer_load_dword v45, off, s[0:3], 0 offset:76
	v_mov_b32_e32 v46, 0
	buffer_store_dword v46, off, s[0:3], 0 offset:72
	buffer_store_dword v46, off, s[0:3], 0 offset:76
	s_waitcnt vmcnt(2)
	ds_write_b64 v43, v[44:45]
.LBB20_121:
	s_or_b64 exec, exec, s[4:5]
	s_waitcnt lgkmcnt(0)
	; wave barrier
	buffer_load_dword v67, off, s[0:3], 0 offset:84
	buffer_load_dword v68, off, s[0:3], 0 offset:92
	;; [unrolled: 1-line block ×24, first 2 shown]
	v_mov_b32_e32 v44, 0
	ds_read_b128 v[45:48], v44 offset:256
	ds_read_b128 v[49:52], v44 offset:272
	;; [unrolled: 1-line block ×5, first 2 shown]
	ds_read_b64 v[65:66], v44 offset:336
	v_cmp_lt_u32_e32 vcc, 8, v0
	s_waitcnt vmcnt(23) lgkmcnt(5)
	v_mul_f32_e32 v91, v45, v67
	v_mul_f32_e32 v67, v46, v67
	s_waitcnt vmcnt(22)
	v_mul_f32_e32 v92, v47, v68
	v_mul_f32_e32 v68, v48, v68
	s_waitcnt vmcnt(21) lgkmcnt(4)
	v_mul_f32_e32 v93, v49, v69
	v_mul_f32_e32 v69, v50, v69
	s_waitcnt vmcnt(20)
	v_mul_f32_e32 v94, v51, v70
	s_waitcnt vmcnt(19) lgkmcnt(3)
	v_mul_f32_e32 v95, v53, v71
	v_mul_f32_e32 v70, v52, v70
	;; [unrolled: 1-line block ×3, first 2 shown]
	s_waitcnt vmcnt(18)
	v_mul_f32_e32 v96, v55, v72
	s_waitcnt vmcnt(12)
	v_fma_f32 v45, v45, v78, -v67
	v_fmac_f32_e32 v91, v46, v78
	s_waitcnt vmcnt(11)
	v_fma_f32 v46, v47, v79, -v68
	v_add_f32_e32 v45, 0, v45
	s_waitcnt vmcnt(10)
	v_fma_f32 v47, v49, v80, -v69
	v_add_f32_e32 v45, v45, v46
	v_fmac_f32_e32 v92, v48, v79
	s_waitcnt vmcnt(8)
	v_fmac_f32_e32 v95, v54, v82
	v_fma_f32 v48, v51, v81, -v70
	v_add_f32_e32 v54, 0, v91
	v_add_f32_e32 v45, v45, v47
	v_mul_f32_e32 v72, v56, v72
	v_fmac_f32_e32 v93, v50, v80
	v_fma_f32 v49, v53, v82, -v71
	v_add_f32_e32 v54, v54, v92
	v_add_f32_e32 v45, v45, v48
	s_waitcnt lgkmcnt(2)
	v_mul_f32_e32 v97, v57, v73
	v_mul_f32_e32 v73, v58, v73
	v_fmac_f32_e32 v94, v52, v81
	s_waitcnt vmcnt(7)
	v_fma_f32 v50, v55, v83, -v72
	v_add_f32_e32 v46, v54, v93
	v_add_f32_e32 v45, v45, v49
	v_mul_f32_e32 v98, v59, v74
	v_mul_f32_e32 v74, v60, v74
	s_waitcnt vmcnt(6)
	v_fma_f32 v51, v57, v84, -v73
	v_add_f32_e32 v46, v46, v94
	v_add_f32_e32 v45, v45, v50
	s_waitcnt lgkmcnt(1)
	v_mul_f32_e32 v99, v61, v75
	v_mul_f32_e32 v75, v62, v75
	v_fmac_f32_e32 v96, v56, v83
	s_waitcnt vmcnt(5)
	v_fma_f32 v52, v59, v85, -v74
	v_add_f32_e32 v46, v46, v95
	v_add_f32_e32 v45, v45, v51
	v_fmac_f32_e32 v97, v58, v84
	s_waitcnt vmcnt(4)
	v_fma_f32 v53, v61, v86, -v75
	v_add_f32_e32 v46, v46, v96
	v_add_f32_e32 v45, v45, v52
	v_mul_f32_e32 v47, v64, v76
	v_fmac_f32_e32 v98, v60, v85
	v_add_f32_e32 v46, v46, v97
	v_add_f32_e32 v45, v45, v53
	s_waitcnt vmcnt(3)
	v_fma_f32 v47, v63, v87, -v47
	v_mul_f32_e32 v100, v63, v76
	v_fmac_f32_e32 v99, v62, v86
	v_add_f32_e32 v46, v46, v98
	v_add_f32_e32 v45, v45, v47
	s_waitcnt lgkmcnt(0)
	v_mul_f32_e32 v47, v66, v77
	v_mul_f32_e32 v101, v65, v77
	v_fmac_f32_e32 v100, v64, v87
	v_add_f32_e32 v46, v46, v99
	s_waitcnt vmcnt(2)
	v_fma_f32 v47, v65, v88, -v47
	v_fmac_f32_e32 v101, v66, v88
	v_add_f32_e32 v46, v46, v100
	v_add_f32_e32 v45, v45, v47
	;; [unrolled: 1-line block ×3, first 2 shown]
	s_waitcnt vmcnt(1)
	v_sub_f32_e32 v45, v89, v45
	s_waitcnt vmcnt(0)
	v_sub_f32_e32 v46, v90, v46
	buffer_store_dword v45, off, s[0:3], 0 offset:72
	buffer_store_dword v46, off, s[0:3], 0 offset:76
	s_and_saveexec_b64 s[4:5], vcc
	s_cbranch_execz .LBB20_123
; %bb.122:
	buffer_load_dword v45, off, s[0:3], 0 offset:64
	buffer_load_dword v46, off, s[0:3], 0 offset:68
	s_waitcnt vmcnt(0)
	ds_write_b64 v43, v[45:46]
	buffer_store_dword v44, off, s[0:3], 0 offset:64
	buffer_store_dword v44, off, s[0:3], 0 offset:68
.LBB20_123:
	s_or_b64 exec, exec, s[4:5]
	s_waitcnt lgkmcnt(0)
	; wave barrier
	buffer_load_dword v69, off, s[0:3], 0 offset:76
	buffer_load_dword v70, off, s[0:3], 0 offset:84
	;; [unrolled: 1-line block ×26, first 2 shown]
	ds_read2_b64 v[45:48], v44 offset0:31 offset1:32
	ds_read2_b64 v[49:52], v44 offset0:33 offset1:34
	;; [unrolled: 1-line block ×6, first 2 shown]
	v_cmp_lt_u32_e32 vcc, 7, v0
	s_waitcnt vmcnt(25) lgkmcnt(5)
	v_mul_f32_e32 v44, v45, v69
	v_mul_f32_e32 v69, v46, v69
	s_waitcnt vmcnt(24)
	v_mul_f32_e32 v95, v47, v70
	v_mul_f32_e32 v70, v48, v70
	s_waitcnt vmcnt(23) lgkmcnt(4)
	v_mul_f32_e32 v96, v49, v71
	v_mul_f32_e32 v71, v50, v71
	s_waitcnt vmcnt(22)
	v_mul_f32_e32 v97, v51, v72
	v_mul_f32_e32 v72, v52, v72
	;; [unrolled: 6-line block ×3, first 2 shown]
	s_waitcnt vmcnt(13)
	v_fma_f32 v45, v45, v81, -v69
	v_fmac_f32_e32 v44, v46, v81
	s_waitcnt vmcnt(12)
	v_fma_f32 v46, v47, v82, -v70
	v_add_f32_e32 v45, 0, v45
	s_waitcnt vmcnt(11)
	v_fma_f32 v47, v49, v83, -v71
	v_add_f32_e32 v45, v45, v46
	v_fmac_f32_e32 v95, v48, v82
	s_waitcnt vmcnt(10)
	v_fma_f32 v48, v51, v84, -v72
	v_add_f32_e32 v45, v45, v47
	s_waitcnt vmcnt(9)
	v_fma_f32 v49, v53, v85, -v73
	v_add_f32_e32 v45, v45, v48
	s_waitcnt lgkmcnt(2)
	v_mul_f32_e32 v100, v57, v75
	v_mul_f32_e32 v75, v58, v75
	v_fmac_f32_e32 v96, v50, v83
	s_waitcnt vmcnt(8)
	v_fma_f32 v50, v55, v86, -v74
	v_add_f32_e32 v44, 0, v44
	v_add_f32_e32 v45, v45, v49
	v_mul_f32_e32 v101, v59, v76
	v_mul_f32_e32 v76, v60, v76
	s_waitcnt vmcnt(7)
	v_fma_f32 v51, v57, v87, -v75
	v_add_f32_e32 v44, v44, v95
	v_add_f32_e32 v45, v45, v50
	v_fmac_f32_e32 v97, v52, v84
	s_waitcnt vmcnt(6)
	v_fma_f32 v52, v59, v88, -v76
	v_add_f32_e32 v44, v44, v96
	v_add_f32_e32 v45, v45, v51
	s_waitcnt lgkmcnt(1)
	v_mul_f32_e32 v46, v62, v77
	v_fmac_f32_e32 v98, v54, v85
	v_add_f32_e32 v44, v44, v97
	v_add_f32_e32 v45, v45, v52
	s_waitcnt vmcnt(5)
	v_fma_f32 v46, v61, v89, -v46
	v_fmac_f32_e32 v99, v56, v86
	v_add_f32_e32 v44, v44, v98
	v_add_f32_e32 v45, v45, v46
	v_mul_f32_e32 v46, v64, v78
	v_fmac_f32_e32 v100, v58, v87
	v_add_f32_e32 v44, v44, v99
	s_waitcnt vmcnt(4)
	v_fma_f32 v46, v63, v90, -v46
	v_mul_f32_e32 v102, v61, v77
	v_fmac_f32_e32 v101, v60, v88
	v_add_f32_e32 v44, v44, v100
	v_add_f32_e32 v45, v45, v46
	s_waitcnt lgkmcnt(0)
	v_mul_f32_e32 v46, v66, v79
	v_mul_f32_e32 v103, v63, v78
	v_fmac_f32_e32 v102, v62, v89
	v_add_f32_e32 v44, v44, v101
	s_waitcnt vmcnt(3)
	v_fma_f32 v46, v65, v91, -v46
	v_mul_f32_e32 v104, v65, v79
	v_fmac_f32_e32 v103, v64, v90
	v_add_f32_e32 v44, v44, v102
	v_add_f32_e32 v45, v45, v46
	v_mul_f32_e32 v46, v68, v80
	v_mul_f32_e32 v105, v67, v80
	v_fmac_f32_e32 v104, v66, v91
	v_add_f32_e32 v44, v44, v103
	s_waitcnt vmcnt(2)
	v_fma_f32 v46, v67, v92, -v46
	v_fmac_f32_e32 v105, v68, v92
	v_add_f32_e32 v44, v44, v104
	v_add_f32_e32 v45, v45, v46
	;; [unrolled: 1-line block ×3, first 2 shown]
	s_waitcnt vmcnt(1)
	v_sub_f32_e32 v45, v93, v45
	s_waitcnt vmcnt(0)
	v_sub_f32_e32 v44, v94, v44
	buffer_store_dword v45, off, s[0:3], 0 offset:64
	buffer_store_dword v44, off, s[0:3], 0 offset:68
	s_and_saveexec_b64 s[4:5], vcc
	s_cbranch_execz .LBB20_125
; %bb.124:
	buffer_load_dword v44, off, s[0:3], 0 offset:56
	buffer_load_dword v45, off, s[0:3], 0 offset:60
	v_mov_b32_e32 v46, 0
	buffer_store_dword v46, off, s[0:3], 0 offset:56
	buffer_store_dword v46, off, s[0:3], 0 offset:60
	s_waitcnt vmcnt(2)
	ds_write_b64 v43, v[44:45]
.LBB20_125:
	s_or_b64 exec, exec, s[4:5]
	s_waitcnt lgkmcnt(0)
	; wave barrier
	buffer_load_dword v71, off, s[0:3], 0 offset:68
	buffer_load_dword v72, off, s[0:3], 0 offset:76
	buffer_load_dword v73, off, s[0:3], 0 offset:84
	buffer_load_dword v74, off, s[0:3], 0 offset:92
	buffer_load_dword v75, off, s[0:3], 0 offset:100
	buffer_load_dword v76, off, s[0:3], 0 offset:108
	buffer_load_dword v77, off, s[0:3], 0 offset:116
	buffer_load_dword v78, off, s[0:3], 0 offset:124
	buffer_load_dword v79, off, s[0:3], 0 offset:132
	buffer_load_dword v80, off, s[0:3], 0 offset:140
	buffer_load_dword v81, off, s[0:3], 0 offset:148
	buffer_load_dword v82, off, s[0:3], 0 offset:156
	buffer_load_dword v83, off, s[0:3], 0 offset:164
	buffer_load_dword v84, off, s[0:3], 0 offset:64
	buffer_load_dword v85, off, s[0:3], 0 offset:72
	buffer_load_dword v86, off, s[0:3], 0 offset:80
	buffer_load_dword v87, off, s[0:3], 0 offset:88
	buffer_load_dword v88, off, s[0:3], 0 offset:96
	buffer_load_dword v89, off, s[0:3], 0 offset:104
	buffer_load_dword v90, off, s[0:3], 0 offset:112
	buffer_load_dword v91, off, s[0:3], 0 offset:120
	buffer_load_dword v92, off, s[0:3], 0 offset:128
	buffer_load_dword v93, off, s[0:3], 0 offset:136
	buffer_load_dword v94, off, s[0:3], 0 offset:144
	buffer_load_dword v95, off, s[0:3], 0 offset:152
	buffer_load_dword v96, off, s[0:3], 0 offset:160
	buffer_load_dword v97, off, s[0:3], 0 offset:56
	buffer_load_dword v98, off, s[0:3], 0 offset:60
	v_mov_b32_e32 v44, 0
	ds_read_b128 v[45:48], v44 offset:240
	ds_read_b128 v[49:52], v44 offset:256
	;; [unrolled: 1-line block ×6, first 2 shown]
	ds_read_b64 v[69:70], v44 offset:336
	v_cmp_lt_u32_e32 vcc, 6, v0
	s_waitcnt vmcnt(27) lgkmcnt(6)
	v_mul_f32_e32 v99, v45, v71
	v_mul_f32_e32 v71, v46, v71
	s_waitcnt vmcnt(26)
	v_mul_f32_e32 v100, v47, v72
	v_mul_f32_e32 v72, v48, v72
	s_waitcnt vmcnt(25) lgkmcnt(5)
	v_mul_f32_e32 v101, v49, v73
	v_mul_f32_e32 v73, v50, v73
	s_waitcnt vmcnt(24)
	v_mul_f32_e32 v102, v51, v74
	v_mul_f32_e32 v74, v52, v74
	;; [unrolled: 6-line block ×3, first 2 shown]
	s_waitcnt vmcnt(21) lgkmcnt(3)
	v_mul_f32_e32 v105, v57, v77
	s_waitcnt vmcnt(14)
	v_fma_f32 v45, v45, v84, -v71
	v_fmac_f32_e32 v99, v46, v84
	s_waitcnt vmcnt(13)
	v_fma_f32 v46, v47, v85, -v72
	v_add_f32_e32 v45, 0, v45
	s_waitcnt vmcnt(12)
	v_fma_f32 v47, v49, v86, -v73
	v_add_f32_e32 v45, v45, v46
	v_fmac_f32_e32 v100, v48, v85
	s_waitcnt vmcnt(11)
	v_fma_f32 v48, v51, v87, -v74
	v_add_f32_e32 v45, v45, v47
	s_waitcnt vmcnt(10)
	v_fma_f32 v49, v53, v88, -v75
	v_add_f32_e32 v45, v45, v48
	v_fmac_f32_e32 v101, v50, v86
	s_waitcnt vmcnt(9)
	v_fma_f32 v50, v55, v89, -v76
	v_add_f32_e32 v45, v45, v49
	v_mul_f32_e32 v47, v58, v77
	v_add_f32_e32 v45, v45, v50
	s_waitcnt vmcnt(8)
	v_fma_f32 v47, v57, v90, -v47
	v_add_f32_e32 v45, v45, v47
	v_mul_f32_e32 v47, v60, v78
	v_add_f32_e32 v51, 0, v99
	s_waitcnt vmcnt(7)
	v_fma_f32 v47, v59, v91, -v47
	v_add_f32_e32 v51, v51, v100
	v_add_f32_e32 v45, v45, v47
	s_waitcnt lgkmcnt(2)
	v_mul_f32_e32 v47, v62, v79
	v_fmac_f32_e32 v102, v52, v87
	v_add_f32_e32 v46, v51, v101
	s_waitcnt vmcnt(6)
	v_fma_f32 v47, v61, v92, -v47
	v_fmac_f32_e32 v103, v54, v88
	v_add_f32_e32 v46, v46, v102
	v_add_f32_e32 v45, v45, v47
	v_mul_f32_e32 v47, v64, v80
	v_fmac_f32_e32 v104, v56, v89
	v_add_f32_e32 v46, v46, v103
	s_waitcnt vmcnt(5)
	v_fma_f32 v47, v63, v93, -v47
	v_mul_f32_e32 v106, v59, v78
	v_fmac_f32_e32 v105, v58, v90
	v_add_f32_e32 v46, v46, v104
	v_add_f32_e32 v45, v45, v47
	s_waitcnt lgkmcnt(1)
	v_mul_f32_e32 v47, v66, v81
	v_mul_f32_e32 v107, v61, v79
	v_fmac_f32_e32 v106, v60, v91
	v_add_f32_e32 v46, v46, v105
	s_waitcnt vmcnt(4)
	v_fma_f32 v47, v65, v94, -v47
	v_mul_f32_e32 v108, v63, v80
	v_fmac_f32_e32 v107, v62, v92
	v_add_f32_e32 v46, v46, v106
	v_add_f32_e32 v45, v45, v47
	v_mul_f32_e32 v47, v68, v82
	v_mul_f32_e32 v109, v65, v81
	v_fmac_f32_e32 v108, v64, v93
	v_add_f32_e32 v46, v46, v107
	s_waitcnt vmcnt(3)
	v_fma_f32 v47, v67, v95, -v47
	v_mul_f32_e32 v110, v67, v82
	v_fmac_f32_e32 v109, v66, v94
	v_add_f32_e32 v46, v46, v108
	v_add_f32_e32 v45, v45, v47
	s_waitcnt lgkmcnt(0)
	v_mul_f32_e32 v47, v70, v83
	v_mul_f32_e32 v111, v69, v83
	v_fmac_f32_e32 v110, v68, v95
	v_add_f32_e32 v46, v46, v109
	s_waitcnt vmcnt(2)
	v_fma_f32 v47, v69, v96, -v47
	v_fmac_f32_e32 v111, v70, v96
	v_add_f32_e32 v46, v46, v110
	v_add_f32_e32 v45, v45, v47
	;; [unrolled: 1-line block ×3, first 2 shown]
	s_waitcnt vmcnt(1)
	v_sub_f32_e32 v45, v97, v45
	s_waitcnt vmcnt(0)
	v_sub_f32_e32 v46, v98, v46
	buffer_store_dword v45, off, s[0:3], 0 offset:56
	buffer_store_dword v46, off, s[0:3], 0 offset:60
	s_and_saveexec_b64 s[4:5], vcc
	s_cbranch_execz .LBB20_127
; %bb.126:
	buffer_load_dword v45, off, s[0:3], 0 offset:48
	buffer_load_dword v46, off, s[0:3], 0 offset:52
	s_waitcnt vmcnt(0)
	ds_write_b64 v43, v[45:46]
	buffer_store_dword v44, off, s[0:3], 0 offset:48
	buffer_store_dword v44, off, s[0:3], 0 offset:52
.LBB20_127:
	s_or_b64 exec, exec, s[4:5]
	s_waitcnt lgkmcnt(0)
	; wave barrier
	buffer_load_dword v73, off, s[0:3], 0 offset:60
	buffer_load_dword v74, off, s[0:3], 0 offset:68
	;; [unrolled: 1-line block ×30, first 2 shown]
	ds_read2_b64 v[45:48], v44 offset0:29 offset1:30
	ds_read2_b64 v[49:52], v44 offset0:31 offset1:32
	;; [unrolled: 1-line block ×7, first 2 shown]
	v_cmp_lt_u32_e32 vcc, 5, v0
	s_waitcnt vmcnt(29) lgkmcnt(6)
	v_mul_f32_e32 v44, v45, v73
	v_mul_f32_e32 v73, v46, v73
	s_waitcnt vmcnt(28)
	v_mul_f32_e32 v103, v47, v74
	v_mul_f32_e32 v74, v48, v74
	s_waitcnt vmcnt(27) lgkmcnt(5)
	v_mul_f32_e32 v104, v49, v75
	v_mul_f32_e32 v75, v50, v75
	s_waitcnt vmcnt(26)
	v_mul_f32_e32 v105, v51, v76
	v_mul_f32_e32 v76, v52, v76
	s_waitcnt vmcnt(25) lgkmcnt(4)
	v_mul_f32_e32 v106, v53, v77
	v_mul_f32_e32 v77, v54, v77
	s_waitcnt vmcnt(24)
	v_mul_f32_e32 v107, v55, v78
	s_waitcnt vmcnt(23) lgkmcnt(3)
	v_mul_f32_e32 v108, v57, v79
	s_waitcnt vmcnt(22)
	v_mul_f32_e32 v109, v59, v80
	s_waitcnt vmcnt(21) lgkmcnt(2)
	v_mul_f32_e32 v110, v61, v81
	s_waitcnt vmcnt(15)
	v_fma_f32 v45, v45, v87, -v73
	v_fmac_f32_e32 v44, v46, v87
	s_waitcnt vmcnt(14)
	v_fma_f32 v46, v47, v88, -v74
	v_add_f32_e32 v45, 0, v45
	s_waitcnt vmcnt(13)
	v_fma_f32 v47, v49, v89, -v75
	v_add_f32_e32 v45, v45, v46
	v_fmac_f32_e32 v103, v48, v88
	s_waitcnt vmcnt(12)
	v_fma_f32 v48, v51, v90, -v76
	v_add_f32_e32 v45, v45, v47
	s_waitcnt vmcnt(11)
	v_fma_f32 v49, v53, v91, -v77
	v_add_f32_e32 v45, v45, v48
	v_mul_f32_e32 v46, v56, v78
	v_add_f32_e32 v45, v45, v49
	s_waitcnt vmcnt(10)
	v_fma_f32 v46, v55, v92, -v46
	v_add_f32_e32 v45, v45, v46
	v_mul_f32_e32 v46, v58, v79
	s_waitcnt vmcnt(9)
	v_fma_f32 v46, v57, v93, -v46
	v_add_f32_e32 v45, v45, v46
	v_mul_f32_e32 v46, v60, v80
	s_waitcnt vmcnt(8)
	v_fma_f32 v46, v59, v94, -v46
	v_add_f32_e32 v44, 0, v44
	v_add_f32_e32 v45, v45, v46
	v_mul_f32_e32 v46, v62, v81
	v_fmac_f32_e32 v104, v50, v89
	v_add_f32_e32 v44, v44, v103
	s_waitcnt vmcnt(7)
	v_fma_f32 v46, v61, v95, -v46
	v_fmac_f32_e32 v105, v52, v90
	v_add_f32_e32 v44, v44, v104
	v_add_f32_e32 v45, v45, v46
	v_mul_f32_e32 v46, v64, v82
	v_fmac_f32_e32 v106, v54, v91
	v_add_f32_e32 v44, v44, v105
	s_waitcnt vmcnt(6)
	v_fma_f32 v46, v63, v96, -v46
	v_fmac_f32_e32 v107, v56, v92
	v_add_f32_e32 v44, v44, v106
	v_add_f32_e32 v45, v45, v46
	s_waitcnt lgkmcnt(1)
	v_mul_f32_e32 v46, v66, v83
	v_fmac_f32_e32 v108, v58, v93
	v_add_f32_e32 v44, v44, v107
	s_waitcnt vmcnt(5)
	v_fma_f32 v46, v65, v97, -v46
	v_fmac_f32_e32 v109, v60, v94
	v_add_f32_e32 v44, v44, v108
	v_add_f32_e32 v45, v45, v46
	v_mul_f32_e32 v46, v68, v84
	v_mul_f32_e32 v111, v63, v82
	v_fmac_f32_e32 v110, v62, v95
	v_add_f32_e32 v44, v44, v109
	s_waitcnt vmcnt(4)
	v_fma_f32 v46, v67, v98, -v46
	v_mul_f32_e32 v112, v65, v83
	v_fmac_f32_e32 v111, v64, v96
	v_add_f32_e32 v44, v44, v110
	v_add_f32_e32 v45, v45, v46
	s_waitcnt lgkmcnt(0)
	v_mul_f32_e32 v46, v70, v85
	v_mul_f32_e32 v113, v67, v84
	v_fmac_f32_e32 v112, v66, v97
	v_add_f32_e32 v44, v44, v111
	s_waitcnt vmcnt(3)
	v_fma_f32 v46, v69, v99, -v46
	v_mul_f32_e32 v114, v69, v85
	v_fmac_f32_e32 v113, v68, v98
	v_add_f32_e32 v44, v44, v112
	v_add_f32_e32 v45, v45, v46
	v_mul_f32_e32 v46, v72, v86
	v_mul_f32_e32 v115, v71, v86
	v_fmac_f32_e32 v114, v70, v99
	v_add_f32_e32 v44, v44, v113
	s_waitcnt vmcnt(2)
	v_fma_f32 v46, v71, v100, -v46
	v_fmac_f32_e32 v115, v72, v100
	v_add_f32_e32 v44, v44, v114
	v_add_f32_e32 v45, v45, v46
	;; [unrolled: 1-line block ×3, first 2 shown]
	s_waitcnt vmcnt(1)
	v_sub_f32_e32 v45, v101, v45
	s_waitcnt vmcnt(0)
	v_sub_f32_e32 v44, v102, v44
	buffer_store_dword v45, off, s[0:3], 0 offset:48
	buffer_store_dword v44, off, s[0:3], 0 offset:52
	s_and_saveexec_b64 s[4:5], vcc
	s_cbranch_execz .LBB20_129
; %bb.128:
	buffer_load_dword v44, off, s[0:3], 0 offset:40
	buffer_load_dword v45, off, s[0:3], 0 offset:44
	v_mov_b32_e32 v46, 0
	buffer_store_dword v46, off, s[0:3], 0 offset:40
	buffer_store_dword v46, off, s[0:3], 0 offset:44
	s_waitcnt vmcnt(2)
	ds_write_b64 v43, v[44:45]
.LBB20_129:
	s_or_b64 exec, exec, s[4:5]
	s_waitcnt lgkmcnt(0)
	; wave barrier
	buffer_load_dword v75, off, s[0:3], 0 offset:52
	buffer_load_dword v76, off, s[0:3], 0 offset:60
	;; [unrolled: 1-line block ×32, first 2 shown]
	v_mov_b32_e32 v44, 0
	ds_read_b128 v[45:48], v44 offset:224
	ds_read_b128 v[49:52], v44 offset:240
	;; [unrolled: 1-line block ×7, first 2 shown]
	ds_read_b64 v[73:74], v44 offset:336
	v_cmp_lt_u32_e32 vcc, 4, v0
	s_waitcnt vmcnt(31) lgkmcnt(7)
	v_mul_f32_e32 v107, v45, v75
	v_mul_f32_e32 v75, v46, v75
	s_waitcnt vmcnt(30)
	v_mul_f32_e32 v108, v47, v76
	v_mul_f32_e32 v76, v48, v76
	s_waitcnt vmcnt(29) lgkmcnt(6)
	v_mul_f32_e32 v109, v49, v77
	v_mul_f32_e32 v77, v50, v77
	s_waitcnt vmcnt(28)
	v_mul_f32_e32 v110, v51, v78
	s_waitcnt vmcnt(27) lgkmcnt(5)
	v_mul_f32_e32 v111, v53, v79
	s_waitcnt vmcnt(26)
	v_mul_f32_e32 v112, v55, v80
	s_waitcnt vmcnt(25) lgkmcnt(4)
	;; [unrolled: 4-line block ×4, first 2 shown]
	v_mul_f32_e32 v117, v65, v85
	s_waitcnt vmcnt(20)
	v_mul_f32_e32 v118, v67, v86
	s_waitcnt vmcnt(16)
	v_fma_f32 v45, v45, v90, -v75
	v_fmac_f32_e32 v107, v46, v90
	s_waitcnt vmcnt(15)
	v_fma_f32 v46, v47, v91, -v76
	v_add_f32_e32 v45, 0, v45
	s_waitcnt vmcnt(14)
	v_fma_f32 v47, v49, v92, -v77
	v_add_f32_e32 v45, v45, v46
	v_add_f32_e32 v45, v45, v47
	v_mul_f32_e32 v47, v52, v78
	s_waitcnt vmcnt(13)
	v_fma_f32 v47, v51, v93, -v47
	v_add_f32_e32 v45, v45, v47
	v_mul_f32_e32 v47, v54, v79
	s_waitcnt vmcnt(12)
	v_fma_f32 v47, v53, v94, -v47
	;; [unrolled: 4-line block ×5, first 2 shown]
	v_add_f32_e32 v45, v45, v47
	v_mul_f32_e32 v47, v62, v83
	v_fmac_f32_e32 v108, v48, v91
	v_add_f32_e32 v48, 0, v107
	s_waitcnt vmcnt(8)
	v_fma_f32 v47, v61, v98, -v47
	v_fmac_f32_e32 v109, v50, v92
	v_add_f32_e32 v48, v48, v108
	v_add_f32_e32 v45, v45, v47
	v_mul_f32_e32 v47, v64, v84
	v_fmac_f32_e32 v110, v52, v93
	v_add_f32_e32 v46, v48, v109
	s_waitcnt vmcnt(7)
	v_fma_f32 v47, v63, v99, -v47
	v_fmac_f32_e32 v111, v54, v94
	v_add_f32_e32 v46, v46, v110
	v_add_f32_e32 v45, v45, v47
	v_mul_f32_e32 v47, v66, v85
	v_fmac_f32_e32 v112, v56, v95
	v_add_f32_e32 v46, v46, v111
	s_waitcnt vmcnt(6)
	v_fma_f32 v47, v65, v100, -v47
	v_fmac_f32_e32 v113, v58, v96
	v_add_f32_e32 v46, v46, v112
	v_add_f32_e32 v45, v45, v47
	v_mul_f32_e32 v47, v68, v86
	v_fmac_f32_e32 v114, v60, v97
	v_add_f32_e32 v46, v46, v113
	s_waitcnt vmcnt(5)
	v_fma_f32 v47, v67, v101, -v47
	v_fmac_f32_e32 v115, v62, v98
	v_add_f32_e32 v46, v46, v114
	v_add_f32_e32 v45, v45, v47
	s_waitcnt lgkmcnt(1)
	v_mul_f32_e32 v47, v70, v87
	v_fmac_f32_e32 v116, v64, v99
	v_add_f32_e32 v46, v46, v115
	s_waitcnt vmcnt(4)
	v_fma_f32 v47, v69, v102, -v47
	v_fmac_f32_e32 v117, v66, v100
	v_add_f32_e32 v46, v46, v116
	v_add_f32_e32 v45, v45, v47
	v_mul_f32_e32 v47, v72, v88
	v_mul_f32_e32 v119, v69, v87
	v_fmac_f32_e32 v118, v68, v101
	v_add_f32_e32 v46, v46, v117
	s_waitcnt vmcnt(3)
	v_fma_f32 v47, v71, v103, -v47
	v_mul_f32_e32 v120, v71, v88
	v_fmac_f32_e32 v119, v70, v102
	v_add_f32_e32 v46, v46, v118
	v_add_f32_e32 v45, v45, v47
	s_waitcnt lgkmcnt(0)
	v_mul_f32_e32 v47, v74, v89
	v_mul_f32_e32 v121, v73, v89
	v_fmac_f32_e32 v120, v72, v103
	v_add_f32_e32 v46, v46, v119
	s_waitcnt vmcnt(2)
	v_fma_f32 v47, v73, v104, -v47
	v_fmac_f32_e32 v121, v74, v104
	v_add_f32_e32 v46, v46, v120
	v_add_f32_e32 v45, v45, v47
	v_add_f32_e32 v46, v46, v121
	s_waitcnt vmcnt(1)
	v_sub_f32_e32 v45, v105, v45
	s_waitcnt vmcnt(0)
	v_sub_f32_e32 v46, v106, v46
	buffer_store_dword v45, off, s[0:3], 0 offset:40
	buffer_store_dword v46, off, s[0:3], 0 offset:44
	s_and_saveexec_b64 s[4:5], vcc
	s_cbranch_execz .LBB20_131
; %bb.130:
	buffer_load_dword v45, off, s[0:3], 0 offset:32
	buffer_load_dword v46, off, s[0:3], 0 offset:36
	s_waitcnt vmcnt(0)
	ds_write_b64 v43, v[45:46]
	buffer_store_dword v44, off, s[0:3], 0 offset:32
	buffer_store_dword v44, off, s[0:3], 0 offset:36
.LBB20_131:
	s_or_b64 exec, exec, s[4:5]
	s_waitcnt lgkmcnt(0)
	; wave barrier
	buffer_load_dword v77, off, s[0:3], 0 offset:44
	buffer_load_dword v78, off, s[0:3], 0 offset:52
	;; [unrolled: 1-line block ×34, first 2 shown]
	ds_read2_b64 v[45:48], v44 offset0:27 offset1:28
	ds_read2_b64 v[49:52], v44 offset0:29 offset1:30
	;; [unrolled: 1-line block ×8, first 2 shown]
	v_cmp_lt_u32_e32 vcc, 3, v0
	s_waitcnt vmcnt(33) lgkmcnt(7)
	v_mul_f32_e32 v44, v45, v77
	v_mul_f32_e32 v77, v46, v77
	s_waitcnt vmcnt(32)
	v_mul_f32_e32 v111, v47, v78
	v_mul_f32_e32 v78, v48, v78
	s_waitcnt vmcnt(31) lgkmcnt(6)
	v_mul_f32_e32 v112, v49, v79
	s_waitcnt vmcnt(30)
	v_mul_f32_e32 v113, v51, v80
	s_waitcnt vmcnt(29) lgkmcnt(5)
	v_mul_f32_e32 v114, v53, v81
	s_waitcnt vmcnt(28)
	;; [unrolled: 4-line block ×6, first 2 shown]
	v_mul_f32_e32 v123, v71, v90
	s_waitcnt vmcnt(17)
	v_fma_f32 v45, v45, v93, -v77
	v_fmac_f32_e32 v44, v46, v93
	s_waitcnt vmcnt(16)
	v_fma_f32 v46, v47, v94, -v78
	v_add_f32_e32 v45, 0, v45
	v_add_f32_e32 v45, v45, v46
	v_mul_f32_e32 v46, v50, v79
	s_waitcnt vmcnt(15)
	v_fma_f32 v46, v49, v95, -v46
	v_add_f32_e32 v45, v45, v46
	v_mul_f32_e32 v46, v52, v80
	s_waitcnt vmcnt(14)
	v_fma_f32 v46, v51, v96, -v46
	;; [unrolled: 4-line block ×7, first 2 shown]
	v_fmac_f32_e32 v111, v48, v94
	v_add_f32_e32 v44, 0, v44
	v_add_f32_e32 v45, v45, v46
	v_mul_f32_e32 v46, v64, v86
	v_fmac_f32_e32 v112, v50, v95
	v_add_f32_e32 v44, v44, v111
	s_waitcnt vmcnt(8)
	v_fma_f32 v46, v63, v102, -v46
	v_fmac_f32_e32 v113, v52, v96
	v_add_f32_e32 v44, v44, v112
	v_add_f32_e32 v45, v45, v46
	v_mul_f32_e32 v46, v66, v87
	v_fmac_f32_e32 v114, v54, v97
	v_add_f32_e32 v44, v44, v113
	s_waitcnt vmcnt(7)
	v_fma_f32 v46, v65, v103, -v46
	;; [unrolled: 8-line block ×5, first 2 shown]
	v_fmac_f32_e32 v121, v68, v104
	v_add_f32_e32 v44, v44, v120
	v_add_f32_e32 v45, v45, v46
	s_waitcnt lgkmcnt(0)
	v_mul_f32_e32 v46, v74, v91
	v_fmac_f32_e32 v122, v70, v105
	v_add_f32_e32 v44, v44, v121
	s_waitcnt vmcnt(3)
	v_fma_f32 v46, v73, v107, -v46
	v_mul_f32_e32 v124, v73, v91
	v_fmac_f32_e32 v123, v72, v106
	v_add_f32_e32 v44, v44, v122
	v_add_f32_e32 v45, v45, v46
	v_mul_f32_e32 v46, v76, v92
	v_mul_f32_e32 v125, v75, v92
	v_fmac_f32_e32 v124, v74, v107
	v_add_f32_e32 v44, v44, v123
	s_waitcnt vmcnt(2)
	v_fma_f32 v46, v75, v108, -v46
	v_fmac_f32_e32 v125, v76, v108
	v_add_f32_e32 v44, v44, v124
	v_add_f32_e32 v45, v45, v46
	;; [unrolled: 1-line block ×3, first 2 shown]
	s_waitcnt vmcnt(1)
	v_sub_f32_e32 v45, v109, v45
	s_waitcnt vmcnt(0)
	v_sub_f32_e32 v44, v110, v44
	buffer_store_dword v45, off, s[0:3], 0 offset:32
	buffer_store_dword v44, off, s[0:3], 0 offset:36
	s_and_saveexec_b64 s[4:5], vcc
	s_cbranch_execz .LBB20_133
; %bb.132:
	buffer_load_dword v44, off, s[0:3], 0 offset:24
	buffer_load_dword v45, off, s[0:3], 0 offset:28
	v_mov_b32_e32 v46, 0
	buffer_store_dword v46, off, s[0:3], 0 offset:24
	buffer_store_dword v46, off, s[0:3], 0 offset:28
	s_waitcnt vmcnt(2)
	ds_write_b64 v43, v[44:45]
.LBB20_133:
	s_or_b64 exec, exec, s[4:5]
	v_mov_b32_e32 v44, 0
	s_waitcnt lgkmcnt(0)
	; wave barrier
	ds_read_b128 v[45:48], v44 offset:208
	ds_read_b128 v[49:52], v44 offset:224
	;; [unrolled: 1-line block ×4, first 2 shown]
	buffer_load_dword v79, off, s[0:3], 0 offset:24
	buffer_load_dword v80, off, s[0:3], 0 offset:28
	;; [unrolled: 1-line block ×18, first 2 shown]
	v_cmp_lt_u32_e32 vcc, 2, v0
	s_waitcnt vmcnt(14) lgkmcnt(3)
	v_mul_f32_e32 v61, v45, v82
	v_fmac_f32_e32 v61, v46, v81
	s_waitcnt vmcnt(12)
	v_mul_f32_e32 v62, v47, v84
	v_add_f32_e32 v61, 0, v61
	v_fmac_f32_e32 v62, v48, v83
	v_add_f32_e32 v61, v61, v62
	s_waitcnt vmcnt(10) lgkmcnt(2)
	v_mul_f32_e32 v62, v49, v86
	v_fmac_f32_e32 v62, v50, v85
	v_add_f32_e32 v61, v61, v62
	s_waitcnt vmcnt(8)
	v_mul_f32_e32 v62, v51, v88
	v_fmac_f32_e32 v62, v52, v87
	v_add_f32_e32 v61, v61, v62
	s_waitcnt vmcnt(6) lgkmcnt(1)
	v_mul_f32_e32 v62, v53, v90
	v_fmac_f32_e32 v62, v54, v89
	v_add_f32_e32 v61, v61, v62
	s_waitcnt vmcnt(4)
	v_mul_f32_e32 v62, v55, v92
	;; [unrolled: 8-line block ×3, first 2 shown]
	v_fmac_f32_e32 v62, v60, v95
	v_add_f32_e32 v65, v61, v62
	ds_read_b128 v[61:64], v44 offset:272
	buffer_load_dword v97, off, s[0:3], 0 offset:96
	buffer_load_dword v98, off, s[0:3], 0 offset:100
	;; [unrolled: 1-line block ×4, first 2 shown]
	v_mul_f32_e32 v46, v46, v82
	v_fma_f32 v45, v45, v81, -v46
	v_mul_f32_e32 v46, v48, v84
	v_add_f32_e32 v45, 0, v45
	v_fma_f32 v46, v47, v83, -v46
	v_add_f32_e32 v45, v45, v46
	v_mul_f32_e32 v46, v50, v86
	v_fma_f32 v46, v49, v85, -v46
	v_add_f32_e32 v45, v45, v46
	v_mul_f32_e32 v46, v52, v88
	;; [unrolled: 3-line block ×6, first 2 shown]
	v_fma_f32 v46, v59, v95, -v46
	v_add_f32_e32 v45, v45, v46
	s_waitcnt vmcnt(2) lgkmcnt(0)
	v_mul_f32_e32 v66, v61, v98
	v_fmac_f32_e32 v66, v62, v97
	v_add_f32_e32 v65, v65, v66
	s_waitcnt vmcnt(0)
	v_mul_f32_e32 v66, v63, v100
	v_fmac_f32_e32 v66, v64, v99
	v_add_f32_e32 v69, v65, v66
	ds_read_b128 v[65:68], v44 offset:288
	buffer_load_dword v101, off, s[0:3], 0 offset:112
	buffer_load_dword v102, off, s[0:3], 0 offset:116
	buffer_load_dword v103, off, s[0:3], 0 offset:120
	buffer_load_dword v104, off, s[0:3], 0 offset:124
	v_mul_f32_e32 v46, v62, v98
	v_fma_f32 v46, v61, v97, -v46
	v_add_f32_e32 v45, v45, v46
	v_mul_f32_e32 v46, v64, v100
	v_fma_f32 v46, v63, v99, -v46
	v_add_f32_e32 v45, v45, v46
	s_waitcnt vmcnt(2) lgkmcnt(0)
	v_mul_f32_e32 v70, v65, v102
	v_fmac_f32_e32 v70, v66, v101
	v_add_f32_e32 v69, v69, v70
	s_waitcnt vmcnt(0)
	v_mul_f32_e32 v70, v67, v104
	v_fmac_f32_e32 v70, v68, v103
	v_add_f32_e32 v73, v69, v70
	ds_read_b128 v[69:72], v44 offset:304
	buffer_load_dword v105, off, s[0:3], 0 offset:128
	buffer_load_dword v106, off, s[0:3], 0 offset:132
	buffer_load_dword v107, off, s[0:3], 0 offset:136
	buffer_load_dword v108, off, s[0:3], 0 offset:140
	v_mul_f32_e32 v46, v66, v102
	v_fma_f32 v46, v65, v101, -v46
	v_add_f32_e32 v45, v45, v46
	v_mul_f32_e32 v46, v68, v104
	;; [unrolled: 19-line block ×3, first 2 shown]
	v_fma_f32 v46, v71, v107, -v46
	v_add_f32_e32 v45, v45, v46
	s_waitcnt vmcnt(2) lgkmcnt(0)
	v_mul_f32_e32 v78, v73, v110
	v_fmac_f32_e32 v78, v74, v109
	v_add_f32_e32 v77, v77, v78
	s_waitcnt vmcnt(0)
	v_mul_f32_e32 v78, v75, v112
	v_fmac_f32_e32 v78, v76, v111
	v_add_f32_e32 v113, v77, v78
	ds_read_b64 v[77:78], v44 offset:336
	buffer_load_dword v114, off, s[0:3], 0 offset:160
	buffer_load_dword v115, off, s[0:3], 0 offset:164
	v_mul_f32_e32 v46, v74, v110
	v_fma_f32 v46, v73, v109, -v46
	v_add_f32_e32 v45, v45, v46
	v_mul_f32_e32 v46, v76, v112
	v_fma_f32 v46, v75, v111, -v46
	v_add_f32_e32 v45, v45, v46
	s_waitcnt vmcnt(0) lgkmcnt(0)
	v_mul_f32_e32 v46, v78, v115
	v_mul_f32_e32 v116, v77, v115
	v_fma_f32 v46, v77, v114, -v46
	v_fmac_f32_e32 v116, v78, v114
	v_add_f32_e32 v45, v45, v46
	v_add_f32_e32 v113, v113, v116
	v_sub_f32_e32 v45, v79, v45
	v_sub_f32_e32 v46, v80, v113
	buffer_store_dword v45, off, s[0:3], 0 offset:24
	buffer_store_dword v46, off, s[0:3], 0 offset:28
	s_and_saveexec_b64 s[4:5], vcc
	s_cbranch_execz .LBB20_135
; %bb.134:
	buffer_load_dword v45, off, s[0:3], 0 offset:16
	buffer_load_dword v46, off, s[0:3], 0 offset:20
	s_waitcnt vmcnt(0)
	ds_write_b64 v43, v[45:46]
	buffer_store_dword v44, off, s[0:3], 0 offset:16
	buffer_store_dword v44, off, s[0:3], 0 offset:20
.LBB20_135:
	s_or_b64 exec, exec, s[4:5]
	s_waitcnt lgkmcnt(0)
	; wave barrier
	ds_read2_b64 v[45:48], v44 offset0:25 offset1:26
	buffer_load_dword v81, off, s[0:3], 0 offset:16
	buffer_load_dword v82, off, s[0:3], 0 offset:20
	;; [unrolled: 1-line block ×16, first 2 shown]
	v_cmp_lt_u32_e32 vcc, 1, v0
	s_waitcnt vmcnt(12) lgkmcnt(0)
	v_mul_f32_e32 v49, v45, v84
	v_fmac_f32_e32 v49, v46, v83
	s_waitcnt vmcnt(10)
	v_mul_f32_e32 v50, v47, v86
	v_add_f32_e32 v49, 0, v49
	v_fmac_f32_e32 v50, v48, v85
	v_add_f32_e32 v53, v49, v50
	ds_read2_b64 v[49:52], v44 offset0:27 offset1:28
	v_mul_f32_e32 v46, v46, v84
	v_fma_f32 v45, v45, v83, -v46
	v_mul_f32_e32 v46, v48, v86
	v_add_f32_e32 v45, 0, v45
	s_waitcnt vmcnt(8) lgkmcnt(0)
	v_mul_f32_e32 v54, v49, v88
	v_fmac_f32_e32 v54, v50, v87
	v_add_f32_e32 v53, v53, v54
	s_waitcnt vmcnt(6)
	v_mul_f32_e32 v54, v51, v90
	v_fmac_f32_e32 v54, v52, v89
	v_add_f32_e32 v57, v53, v54
	ds_read2_b64 v[53:56], v44 offset0:29 offset1:30
	v_fma_f32 v46, v47, v85, -v46
	v_add_f32_e32 v45, v45, v46
	v_mul_f32_e32 v46, v50, v88
	v_fma_f32 v46, v49, v87, -v46
	s_waitcnt vmcnt(4) lgkmcnt(0)
	v_mul_f32_e32 v58, v53, v92
	v_fmac_f32_e32 v58, v54, v91
	v_add_f32_e32 v57, v57, v58
	s_waitcnt vmcnt(2)
	v_mul_f32_e32 v58, v55, v94
	v_fmac_f32_e32 v58, v56, v93
	v_add_f32_e32 v61, v57, v58
	ds_read2_b64 v[57:60], v44 offset0:31 offset1:32
	buffer_load_dword v97, off, s[0:3], 0 offset:80
	buffer_load_dword v98, off, s[0:3], 0 offset:84
	v_add_f32_e32 v45, v45, v46
	v_mul_f32_e32 v46, v52, v90
	v_fma_f32 v46, v51, v89, -v46
	s_waitcnt vmcnt(2) lgkmcnt(0)
	v_mul_f32_e32 v62, v57, v96
	v_fmac_f32_e32 v62, v58, v95
	v_add_f32_e32 v61, v61, v62
	v_add_f32_e32 v45, v45, v46
	v_mul_f32_e32 v46, v54, v92
	v_fma_f32 v46, v53, v91, -v46
	v_add_f32_e32 v45, v45, v46
	v_mul_f32_e32 v46, v56, v94
	v_fma_f32 v46, v55, v93, -v46
	;; [unrolled: 3-line block ×3, first 2 shown]
	v_add_f32_e32 v45, v45, v46
	s_waitcnt vmcnt(0)
	v_mul_f32_e32 v62, v59, v98
	v_fmac_f32_e32 v62, v60, v97
	v_add_f32_e32 v65, v61, v62
	ds_read2_b64 v[61:64], v44 offset0:33 offset1:34
	buffer_load_dword v99, off, s[0:3], 0 offset:88
	buffer_load_dword v100, off, s[0:3], 0 offset:92
	buffer_load_dword v101, off, s[0:3], 0 offset:96
	buffer_load_dword v102, off, s[0:3], 0 offset:100
	v_mul_f32_e32 v46, v60, v98
	v_fma_f32 v46, v59, v97, -v46
	v_add_f32_e32 v45, v45, v46
	s_waitcnt vmcnt(2) lgkmcnt(0)
	v_mul_f32_e32 v66, v61, v100
	v_fmac_f32_e32 v66, v62, v99
	v_add_f32_e32 v65, v65, v66
	s_waitcnt vmcnt(0)
	v_mul_f32_e32 v66, v63, v102
	v_fmac_f32_e32 v66, v64, v101
	v_add_f32_e32 v69, v65, v66
	ds_read2_b64 v[65:68], v44 offset0:35 offset1:36
	buffer_load_dword v103, off, s[0:3], 0 offset:104
	buffer_load_dword v104, off, s[0:3], 0 offset:108
	buffer_load_dword v105, off, s[0:3], 0 offset:112
	buffer_load_dword v106, off, s[0:3], 0 offset:116
	v_mul_f32_e32 v46, v62, v100
	v_fma_f32 v46, v61, v99, -v46
	v_add_f32_e32 v45, v45, v46
	v_mul_f32_e32 v46, v64, v102
	v_fma_f32 v46, v63, v101, -v46
	v_add_f32_e32 v45, v45, v46
	s_waitcnt vmcnt(2) lgkmcnt(0)
	v_mul_f32_e32 v70, v65, v104
	v_fmac_f32_e32 v70, v66, v103
	v_add_f32_e32 v69, v69, v70
	s_waitcnt vmcnt(0)
	v_mul_f32_e32 v70, v67, v106
	v_fmac_f32_e32 v70, v68, v105
	v_add_f32_e32 v73, v69, v70
	ds_read2_b64 v[69:72], v44 offset0:37 offset1:38
	buffer_load_dword v107, off, s[0:3], 0 offset:120
	buffer_load_dword v108, off, s[0:3], 0 offset:124
	buffer_load_dword v109, off, s[0:3], 0 offset:128
	buffer_load_dword v110, off, s[0:3], 0 offset:132
	v_mul_f32_e32 v46, v66, v104
	v_fma_f32 v46, v65, v103, -v46
	v_add_f32_e32 v45, v45, v46
	;; [unrolled: 19-line block ×3, first 2 shown]
	v_mul_f32_e32 v46, v72, v110
	v_fma_f32 v46, v71, v109, -v46
	v_add_f32_e32 v45, v45, v46
	s_waitcnt vmcnt(2) lgkmcnt(0)
	v_mul_f32_e32 v78, v73, v112
	v_fmac_f32_e32 v78, v74, v111
	v_add_f32_e32 v77, v77, v78
	s_waitcnt vmcnt(0)
	v_mul_f32_e32 v78, v75, v114
	v_fmac_f32_e32 v78, v76, v113
	v_add_f32_e32 v115, v77, v78
	ds_read2_b64 v[77:80], v44 offset0:41 offset1:42
	buffer_load_dword v44, off, s[0:3], 0 offset:152
	buffer_load_dword v116, off, s[0:3], 0 offset:156
	v_mul_f32_e32 v46, v74, v112
	v_fma_f32 v46, v73, v111, -v46
	v_add_f32_e32 v45, v45, v46
	v_mul_f32_e32 v46, v76, v114
	v_fma_f32 v46, v75, v113, -v46
	v_add_f32_e32 v45, v45, v46
	s_waitcnt vmcnt(0) lgkmcnt(0)
	v_mul_f32_e32 v117, v77, v116
	v_fmac_f32_e32 v117, v78, v44
	v_add_f32_e32 v115, v115, v117
	buffer_load_dword v117, off, s[0:3], 0 offset:160
	buffer_load_dword v118, off, s[0:3], 0 offset:164
	v_mul_f32_e32 v46, v78, v116
	v_fma_f32 v44, v77, v44, -v46
	v_add_f32_e32 v44, v45, v44
	s_waitcnt vmcnt(0)
	v_mul_f32_e32 v45, v80, v118
	v_mul_f32_e32 v119, v79, v118
	v_fma_f32 v45, v79, v117, -v45
	v_fmac_f32_e32 v119, v80, v117
	v_add_f32_e32 v44, v44, v45
	v_add_f32_e32 v115, v115, v119
	v_sub_f32_e32 v44, v81, v44
	v_sub_f32_e32 v45, v82, v115
	buffer_store_dword v44, off, s[0:3], 0 offset:16
	buffer_store_dword v45, off, s[0:3], 0 offset:20
	s_and_saveexec_b64 s[4:5], vcc
	s_cbranch_execz .LBB20_137
; %bb.136:
	buffer_load_dword v44, off, s[0:3], 0 offset:8
	buffer_load_dword v45, off, s[0:3], 0 offset:12
	v_mov_b32_e32 v46, 0
	buffer_store_dword v46, off, s[0:3], 0 offset:8
	buffer_store_dword v46, off, s[0:3], 0 offset:12
	s_waitcnt vmcnt(2)
	ds_write_b64 v43, v[44:45]
.LBB20_137:
	s_or_b64 exec, exec, s[4:5]
	v_mov_b32_e32 v44, 0
	s_waitcnt lgkmcnt(0)
	; wave barrier
	ds_read_b128 v[45:48], v44 offset:192
	ds_read_b128 v[49:52], v44 offset:208
	;; [unrolled: 1-line block ×4, first 2 shown]
	buffer_load_dword v83, off, s[0:3], 0 offset:8
	buffer_load_dword v84, off, s[0:3], 0 offset:12
	;; [unrolled: 1-line block ×18, first 2 shown]
	v_cmp_ne_u32_e32 vcc, 0, v0
	s_waitcnt vmcnt(14) lgkmcnt(3)
	v_mul_f32_e32 v61, v45, v86
	v_fmac_f32_e32 v61, v46, v85
	s_waitcnt vmcnt(12)
	v_mul_f32_e32 v62, v47, v88
	v_add_f32_e32 v61, 0, v61
	v_fmac_f32_e32 v62, v48, v87
	v_add_f32_e32 v61, v61, v62
	s_waitcnt vmcnt(10) lgkmcnt(2)
	v_mul_f32_e32 v62, v49, v90
	v_fmac_f32_e32 v62, v50, v89
	v_add_f32_e32 v61, v61, v62
	s_waitcnt vmcnt(8)
	v_mul_f32_e32 v62, v51, v92
	v_fmac_f32_e32 v62, v52, v91
	v_add_f32_e32 v61, v61, v62
	s_waitcnt vmcnt(6) lgkmcnt(1)
	v_mul_f32_e32 v62, v53, v94
	v_fmac_f32_e32 v62, v54, v93
	v_add_f32_e32 v61, v61, v62
	s_waitcnt vmcnt(4)
	v_mul_f32_e32 v62, v55, v96
	v_fmac_f32_e32 v62, v56, v95
	v_add_f32_e32 v61, v61, v62
	s_waitcnt vmcnt(2) lgkmcnt(0)
	v_mul_f32_e32 v62, v57, v98
	v_fmac_f32_e32 v62, v58, v97
	v_add_f32_e32 v61, v61, v62
	s_waitcnt vmcnt(0)
	v_mul_f32_e32 v62, v59, v100
	v_fmac_f32_e32 v62, v60, v99
	v_add_f32_e32 v65, v61, v62
	ds_read_b128 v[61:64], v44 offset:256
	buffer_load_dword v101, off, s[0:3], 0 offset:80
	buffer_load_dword v102, off, s[0:3], 0 offset:84
	;; [unrolled: 1-line block ×4, first 2 shown]
	v_mul_f32_e32 v46, v46, v86
	v_fma_f32 v45, v45, v85, -v46
	v_mul_f32_e32 v46, v48, v88
	v_add_f32_e32 v45, 0, v45
	v_fma_f32 v46, v47, v87, -v46
	v_add_f32_e32 v45, v45, v46
	v_mul_f32_e32 v46, v50, v90
	v_fma_f32 v46, v49, v89, -v46
	v_add_f32_e32 v45, v45, v46
	v_mul_f32_e32 v46, v52, v92
	v_fma_f32 v46, v51, v91, -v46
	v_add_f32_e32 v45, v45, v46
	v_mul_f32_e32 v46, v54, v94
	v_fma_f32 v46, v53, v93, -v46
	v_add_f32_e32 v45, v45, v46
	v_mul_f32_e32 v46, v56, v96
	v_fma_f32 v46, v55, v95, -v46
	v_add_f32_e32 v45, v45, v46
	v_mul_f32_e32 v46, v58, v98
	v_fma_f32 v46, v57, v97, -v46
	v_add_f32_e32 v45, v45, v46
	v_mul_f32_e32 v46, v60, v100
	v_fma_f32 v46, v59, v99, -v46
	v_add_f32_e32 v45, v45, v46
	s_waitcnt vmcnt(2) lgkmcnt(0)
	v_mul_f32_e32 v66, v61, v102
	v_fmac_f32_e32 v66, v62, v101
	v_add_f32_e32 v65, v65, v66
	s_waitcnt vmcnt(0)
	v_mul_f32_e32 v66, v63, v104
	v_fmac_f32_e32 v66, v64, v103
	v_add_f32_e32 v69, v65, v66
	ds_read_b128 v[65:68], v44 offset:272
	buffer_load_dword v105, off, s[0:3], 0 offset:96
	buffer_load_dword v106, off, s[0:3], 0 offset:100
	buffer_load_dword v107, off, s[0:3], 0 offset:104
	buffer_load_dword v108, off, s[0:3], 0 offset:108
	v_mul_f32_e32 v46, v62, v102
	v_fma_f32 v46, v61, v101, -v46
	v_add_f32_e32 v45, v45, v46
	v_mul_f32_e32 v46, v64, v104
	v_fma_f32 v46, v63, v103, -v46
	v_add_f32_e32 v45, v45, v46
	s_waitcnt vmcnt(2) lgkmcnt(0)
	v_mul_f32_e32 v70, v65, v106
	v_fmac_f32_e32 v70, v66, v105
	v_add_f32_e32 v69, v69, v70
	s_waitcnt vmcnt(0)
	v_mul_f32_e32 v70, v67, v108
	v_fmac_f32_e32 v70, v68, v107
	v_add_f32_e32 v73, v69, v70
	ds_read_b128 v[69:72], v44 offset:288
	buffer_load_dword v109, off, s[0:3], 0 offset:112
	buffer_load_dword v110, off, s[0:3], 0 offset:116
	buffer_load_dword v111, off, s[0:3], 0 offset:120
	buffer_load_dword v112, off, s[0:3], 0 offset:124
	v_mul_f32_e32 v46, v66, v106
	v_fma_f32 v46, v65, v105, -v46
	v_add_f32_e32 v45, v45, v46
	v_mul_f32_e32 v46, v68, v108
	;; [unrolled: 19-line block ×4, first 2 shown]
	v_fma_f32 v46, v75, v115, -v46
	v_add_f32_e32 v45, v45, v46
	s_waitcnt vmcnt(2) lgkmcnt(0)
	v_mul_f32_e32 v82, v77, v118
	v_fmac_f32_e32 v82, v78, v117
	v_add_f32_e32 v81, v81, v82
	s_waitcnt vmcnt(0)
	v_mul_f32_e32 v82, v79, v120
	v_fmac_f32_e32 v82, v80, v119
	v_add_f32_e32 v121, v81, v82
	ds_read_b64 v[81:82], v44 offset:336
	buffer_load_dword v122, off, s[0:3], 0 offset:160
	buffer_load_dword v123, off, s[0:3], 0 offset:164
	v_mul_f32_e32 v46, v78, v118
	v_fma_f32 v46, v77, v117, -v46
	v_add_f32_e32 v45, v45, v46
	v_mul_f32_e32 v46, v80, v120
	v_fma_f32 v46, v79, v119, -v46
	v_add_f32_e32 v45, v45, v46
	s_waitcnt vmcnt(0) lgkmcnt(0)
	v_mul_f32_e32 v46, v82, v123
	v_mul_f32_e32 v124, v81, v123
	v_fma_f32 v46, v81, v122, -v46
	v_fmac_f32_e32 v124, v82, v122
	v_add_f32_e32 v45, v45, v46
	v_add_f32_e32 v121, v121, v124
	v_sub_f32_e32 v45, v83, v45
	v_sub_f32_e32 v46, v84, v121
	buffer_store_dword v45, off, s[0:3], 0 offset:8
	buffer_store_dword v46, off, s[0:3], 0 offset:12
	s_and_saveexec_b64 s[4:5], vcc
	s_cbranch_execz .LBB20_139
; %bb.138:
	buffer_load_dword v45, off, s[0:3], 0
	buffer_load_dword v46, off, s[0:3], 0 offset:4
	s_waitcnt vmcnt(0)
	ds_write_b64 v43, v[45:46]
	buffer_store_dword v44, off, s[0:3], 0
	buffer_store_dword v44, off, s[0:3], 0 offset:4
.LBB20_139:
	s_or_b64 exec, exec, s[4:5]
	s_waitcnt lgkmcnt(0)
	; wave barrier
	ds_read2_b64 v[45:48], v44 offset0:23 offset1:24
	buffer_load_dword v0, off, s[0:3], 0
	buffer_load_dword v43, off, s[0:3], 0 offset:4
	buffer_load_dword v85, off, s[0:3], 0 offset:8
	;; [unrolled: 1-line block ×15, first 2 shown]
	s_and_b64 vcc, exec, s[22:23]
	s_waitcnt vmcnt(12) lgkmcnt(0)
	v_mul_f32_e32 v49, v45, v86
	v_fmac_f32_e32 v49, v46, v85
	s_waitcnt vmcnt(10)
	v_mul_f32_e32 v50, v47, v88
	v_add_f32_e32 v49, 0, v49
	v_fmac_f32_e32 v50, v48, v87
	v_add_f32_e32 v53, v49, v50
	ds_read2_b64 v[49:52], v44 offset0:25 offset1:26
	v_mul_f32_e32 v46, v46, v86
	v_fma_f32 v45, v45, v85, -v46
	v_mul_f32_e32 v46, v48, v88
	v_add_f32_e32 v45, 0, v45
	s_waitcnt vmcnt(8) lgkmcnt(0)
	v_mul_f32_e32 v54, v49, v90
	v_fmac_f32_e32 v54, v50, v89
	v_add_f32_e32 v53, v53, v54
	s_waitcnt vmcnt(6)
	v_mul_f32_e32 v54, v51, v92
	v_fmac_f32_e32 v54, v52, v91
	v_add_f32_e32 v57, v53, v54
	ds_read2_b64 v[53:56], v44 offset0:27 offset1:28
	v_fma_f32 v46, v47, v87, -v46
	v_add_f32_e32 v45, v45, v46
	v_mul_f32_e32 v46, v50, v90
	v_fma_f32 v46, v49, v89, -v46
	s_waitcnt vmcnt(4) lgkmcnt(0)
	v_mul_f32_e32 v58, v53, v94
	v_fmac_f32_e32 v58, v54, v93
	v_add_f32_e32 v57, v57, v58
	s_waitcnt vmcnt(2)
	v_mul_f32_e32 v58, v55, v96
	v_fmac_f32_e32 v58, v56, v95
	v_add_f32_e32 v61, v57, v58
	ds_read2_b64 v[57:60], v44 offset0:29 offset1:30
	buffer_load_dword v99, off, s[0:3], 0 offset:64
	buffer_load_dword v100, off, s[0:3], 0 offset:68
	v_add_f32_e32 v45, v45, v46
	v_mul_f32_e32 v46, v52, v92
	v_fma_f32 v46, v51, v91, -v46
	s_waitcnt vmcnt(2) lgkmcnt(0)
	v_mul_f32_e32 v62, v57, v98
	v_fmac_f32_e32 v62, v58, v97
	v_add_f32_e32 v61, v61, v62
	v_add_f32_e32 v45, v45, v46
	v_mul_f32_e32 v46, v54, v94
	v_fma_f32 v46, v53, v93, -v46
	v_add_f32_e32 v45, v45, v46
	v_mul_f32_e32 v46, v56, v96
	v_fma_f32 v46, v55, v95, -v46
	;; [unrolled: 3-line block ×3, first 2 shown]
	v_add_f32_e32 v45, v45, v46
	s_waitcnt vmcnt(0)
	v_mul_f32_e32 v62, v59, v100
	v_fmac_f32_e32 v62, v60, v99
	v_add_f32_e32 v65, v61, v62
	ds_read2_b64 v[61:64], v44 offset0:31 offset1:32
	buffer_load_dword v101, off, s[0:3], 0 offset:72
	buffer_load_dword v102, off, s[0:3], 0 offset:76
	;; [unrolled: 1-line block ×4, first 2 shown]
	v_mul_f32_e32 v46, v60, v100
	v_fma_f32 v46, v59, v99, -v46
	v_add_f32_e32 v45, v45, v46
	s_waitcnt vmcnt(2) lgkmcnt(0)
	v_mul_f32_e32 v66, v61, v102
	v_fmac_f32_e32 v66, v62, v101
	v_add_f32_e32 v65, v65, v66
	s_waitcnt vmcnt(0)
	v_mul_f32_e32 v66, v63, v104
	v_fmac_f32_e32 v66, v64, v103
	v_add_f32_e32 v69, v65, v66
	ds_read2_b64 v[65:68], v44 offset0:33 offset1:34
	buffer_load_dword v105, off, s[0:3], 0 offset:88
	buffer_load_dword v106, off, s[0:3], 0 offset:92
	buffer_load_dword v107, off, s[0:3], 0 offset:96
	buffer_load_dword v108, off, s[0:3], 0 offset:100
	v_mul_f32_e32 v46, v62, v102
	v_fma_f32 v46, v61, v101, -v46
	v_add_f32_e32 v45, v45, v46
	v_mul_f32_e32 v46, v64, v104
	v_fma_f32 v46, v63, v103, -v46
	v_add_f32_e32 v45, v45, v46
	s_waitcnt vmcnt(2) lgkmcnt(0)
	v_mul_f32_e32 v70, v65, v106
	v_fmac_f32_e32 v70, v66, v105
	v_add_f32_e32 v69, v69, v70
	s_waitcnt vmcnt(0)
	v_mul_f32_e32 v70, v67, v108
	v_fmac_f32_e32 v70, v68, v107
	v_add_f32_e32 v73, v69, v70
	ds_read2_b64 v[69:72], v44 offset0:35 offset1:36
	buffer_load_dword v109, off, s[0:3], 0 offset:104
	buffer_load_dword v110, off, s[0:3], 0 offset:108
	buffer_load_dword v111, off, s[0:3], 0 offset:112
	buffer_load_dword v112, off, s[0:3], 0 offset:116
	v_mul_f32_e32 v46, v66, v106
	v_fma_f32 v46, v65, v105, -v46
	v_add_f32_e32 v45, v45, v46
	;; [unrolled: 19-line block ×4, first 2 shown]
	v_mul_f32_e32 v46, v76, v116
	v_fma_f32 v46, v75, v115, -v46
	v_add_f32_e32 v45, v45, v46
	s_waitcnt vmcnt(2) lgkmcnt(0)
	v_mul_f32_e32 v82, v77, v118
	v_fmac_f32_e32 v82, v78, v117
	v_add_f32_e32 v81, v81, v82
	s_waitcnt vmcnt(0)
	v_mul_f32_e32 v82, v79, v120
	v_fmac_f32_e32 v82, v80, v119
	v_add_f32_e32 v121, v81, v82
	ds_read2_b64 v[81:84], v44 offset0:41 offset1:42
	buffer_load_dword v44, off, s[0:3], 0 offset:152
	buffer_load_dword v122, off, s[0:3], 0 offset:156
	v_mul_f32_e32 v46, v78, v118
	v_fma_f32 v46, v77, v117, -v46
	v_add_f32_e32 v45, v45, v46
	v_mul_f32_e32 v46, v80, v120
	v_fma_f32 v46, v79, v119, -v46
	v_add_f32_e32 v45, v45, v46
	s_waitcnt vmcnt(0) lgkmcnt(0)
	v_mul_f32_e32 v123, v81, v122
	v_fmac_f32_e32 v123, v82, v44
	v_add_f32_e32 v121, v121, v123
	buffer_load_dword v123, off, s[0:3], 0 offset:160
	buffer_load_dword v124, off, s[0:3], 0 offset:164
	v_mul_f32_e32 v46, v82, v122
	v_fma_f32 v44, v81, v44, -v46
	v_add_f32_e32 v44, v45, v44
	s_waitcnt vmcnt(0)
	v_mul_f32_e32 v45, v84, v124
	v_mul_f32_e32 v125, v83, v124
	v_fma_f32 v45, v83, v123, -v45
	v_fmac_f32_e32 v125, v84, v123
	v_add_f32_e32 v44, v44, v45
	v_add_f32_e32 v121, v121, v125
	v_sub_f32_e32 v0, v0, v44
	v_sub_f32_e32 v43, v43, v121
	buffer_store_dword v0, off, s[0:3], 0
	buffer_store_dword v43, off, s[0:3], 0 offset:4
	s_cbranch_vccz .LBB20_180
; %bb.140:
	v_mov_b32_e32 v0, 0
	global_load_dword v43, v0, s[20:21] offset:76
	s_waitcnt vmcnt(0)
	v_add_u32_e32 v43, -1, v43
	v_cmp_ne_u32_e32 vcc, 19, v43
	s_cbranch_vccz .LBB20_142
; %bb.141:
	v_lshlrev_b32_e32 v43, 3, v43
	buffer_load_dword v44, v43, s[0:3], 0 offen
	buffer_load_dword v45, v43, s[0:3], 0 offen offset:4
	buffer_load_dword v46, off, s[0:3], 0 offset:152
	buffer_load_dword v47, off, s[0:3], 0 offset:156
	s_waitcnt vmcnt(3)
	buffer_store_dword v44, off, s[0:3], 0 offset:152
	s_waitcnt vmcnt(3)
	buffer_store_dword v45, off, s[0:3], 0 offset:156
	s_waitcnt vmcnt(3)
	buffer_store_dword v46, v43, s[0:3], 0 offen
	s_waitcnt vmcnt(3)
	buffer_store_dword v47, v43, s[0:3], 0 offen offset:4
.LBB20_142:
	global_load_dword v0, v0, s[20:21] offset:72
	s_waitcnt vmcnt(0)
	v_add_u32_e32 v0, -1, v0
	v_cmp_eq_u32_e32 vcc, 18, v0
	s_cbranch_vccnz .LBB20_144
; %bb.143:
	v_lshlrev_b32_e32 v0, 3, v0
	buffer_load_dword v43, v0, s[0:3], 0 offen
	buffer_load_dword v44, v0, s[0:3], 0 offen offset:4
	buffer_load_dword v45, off, s[0:3], 0 offset:148
	buffer_load_dword v46, off, s[0:3], 0 offset:144
	s_waitcnt vmcnt(3)
	buffer_store_dword v43, off, s[0:3], 0 offset:144
	s_waitcnt vmcnt(3)
	buffer_store_dword v44, off, s[0:3], 0 offset:148
	s_waitcnt vmcnt(3)
	buffer_store_dword v45, v0, s[0:3], 0 offen offset:4
	s_waitcnt vmcnt(3)
	buffer_store_dword v46, v0, s[0:3], 0 offen
.LBB20_144:
	v_mov_b32_e32 v0, 0
	global_load_dword v43, v0, s[20:21] offset:68
	s_waitcnt vmcnt(0)
	v_add_u32_e32 v43, -1, v43
	v_cmp_eq_u32_e32 vcc, 17, v43
	s_cbranch_vccnz .LBB20_146
; %bb.145:
	v_lshlrev_b32_e32 v43, 3, v43
	buffer_load_dword v44, v43, s[0:3], 0 offen
	buffer_load_dword v45, v43, s[0:3], 0 offen offset:4
	buffer_load_dword v46, off, s[0:3], 0 offset:136
	buffer_load_dword v47, off, s[0:3], 0 offset:140
	s_waitcnt vmcnt(3)
	buffer_store_dword v44, off, s[0:3], 0 offset:136
	s_waitcnt vmcnt(3)
	buffer_store_dword v45, off, s[0:3], 0 offset:140
	s_waitcnt vmcnt(3)
	buffer_store_dword v46, v43, s[0:3], 0 offen
	s_waitcnt vmcnt(3)
	buffer_store_dword v47, v43, s[0:3], 0 offen offset:4
.LBB20_146:
	global_load_dword v0, v0, s[20:21] offset:64
	s_waitcnt vmcnt(0)
	v_add_u32_e32 v0, -1, v0
	v_cmp_eq_u32_e32 vcc, 16, v0
	s_cbranch_vccnz .LBB20_148
; %bb.147:
	v_lshlrev_b32_e32 v0, 3, v0
	buffer_load_dword v43, v0, s[0:3], 0 offen
	buffer_load_dword v44, v0, s[0:3], 0 offen offset:4
	buffer_load_dword v45, off, s[0:3], 0 offset:132
	buffer_load_dword v46, off, s[0:3], 0 offset:128
	s_waitcnt vmcnt(3)
	buffer_store_dword v43, off, s[0:3], 0 offset:128
	s_waitcnt vmcnt(3)
	buffer_store_dword v44, off, s[0:3], 0 offset:132
	s_waitcnt vmcnt(3)
	buffer_store_dword v45, v0, s[0:3], 0 offen offset:4
	s_waitcnt vmcnt(3)
	buffer_store_dword v46, v0, s[0:3], 0 offen
.LBB20_148:
	v_mov_b32_e32 v0, 0
	global_load_dword v43, v0, s[20:21] offset:60
	s_waitcnt vmcnt(0)
	v_add_u32_e32 v43, -1, v43
	v_cmp_eq_u32_e32 vcc, 15, v43
	s_cbranch_vccnz .LBB20_150
; %bb.149:
	v_lshlrev_b32_e32 v43, 3, v43
	buffer_load_dword v44, v43, s[0:3], 0 offen
	buffer_load_dword v45, v43, s[0:3], 0 offen offset:4
	buffer_load_dword v46, off, s[0:3], 0 offset:120
	buffer_load_dword v47, off, s[0:3], 0 offset:124
	s_waitcnt vmcnt(3)
	buffer_store_dword v44, off, s[0:3], 0 offset:120
	s_waitcnt vmcnt(3)
	buffer_store_dword v45, off, s[0:3], 0 offset:124
	s_waitcnt vmcnt(3)
	buffer_store_dword v46, v43, s[0:3], 0 offen
	s_waitcnt vmcnt(3)
	buffer_store_dword v47, v43, s[0:3], 0 offen offset:4
.LBB20_150:
	;; [unrolled: 41-line block ×9, first 2 shown]
	global_load_dword v0, v0, s[20:21]
	s_waitcnt vmcnt(0)
	v_add_u32_e32 v0, -1, v0
	v_cmp_eq_u32_e32 vcc, 0, v0
	s_cbranch_vccnz .LBB20_180
; %bb.179:
	v_lshlrev_b32_e32 v0, 3, v0
	buffer_load_dword v43, v0, s[0:3], 0 offen
	buffer_load_dword v44, v0, s[0:3], 0 offen offset:4
	buffer_load_dword v45, off, s[0:3], 0 offset:4
	buffer_load_dword v46, off, s[0:3], 0
	s_waitcnt vmcnt(3)
	buffer_store_dword v43, off, s[0:3], 0
	s_waitcnt vmcnt(3)
	buffer_store_dword v44, off, s[0:3], 0 offset:4
	s_waitcnt vmcnt(3)
	buffer_store_dword v45, v0, s[0:3], 0 offen offset:4
	s_waitcnt vmcnt(3)
	buffer_store_dword v46, v0, s[0:3], 0 offen
.LBB20_180:
	buffer_load_dword v43, off, s[0:3], 0
	buffer_load_dword v44, off, s[0:3], 0 offset:4
	buffer_load_dword v45, off, s[0:3], 0 offset:8
	s_nop 0
	buffer_load_dword v46, off, s[0:3], 0 offset:12
	buffer_load_dword v47, off, s[0:3], 0 offset:16
	;; [unrolled: 1-line block ×39, first 2 shown]
	s_waitcnt vmcnt(40)
	global_store_dwordx2 v[35:36], v[43:44], off
	s_waitcnt vmcnt(39)
	global_store_dwordx2 v[37:38], v[45:46], off
	;; [unrolled: 2-line block ×9, first 2 shown]
	global_store_dwordx2 v[15:16], v[61:62], off
	global_store_dwordx2 v[17:18], v[63:64], off
	;; [unrolled: 1-line block ×3, first 2 shown]
	s_waitcnt vmcnt(28)
	global_store_dwordx2 v[21:22], v[67:68], off
	s_waitcnt vmcnt(27)
	global_store_dwordx2 v[23:24], v[69:70], off
	;; [unrolled: 2-line block ×9, first 2 shown]
	s_endpgm
	.section	.rodata,"a",@progbits
	.p2align	6, 0x0
	.amdhsa_kernel _ZN9rocsolver6v33100L18getri_kernel_smallILi21E19rocblas_complex_numIfEPS3_EEvT1_iilPiilS6_bb
		.amdhsa_group_segment_fixed_size 344
		.amdhsa_private_segment_fixed_size 176
		.amdhsa_kernarg_size 60
		.amdhsa_user_sgpr_count 6
		.amdhsa_user_sgpr_private_segment_buffer 1
		.amdhsa_user_sgpr_dispatch_ptr 0
		.amdhsa_user_sgpr_queue_ptr 0
		.amdhsa_user_sgpr_kernarg_segment_ptr 1
		.amdhsa_user_sgpr_dispatch_id 0
		.amdhsa_user_sgpr_flat_scratch_init 0
		.amdhsa_user_sgpr_private_segment_size 0
		.amdhsa_uses_dynamic_stack 0
		.amdhsa_system_sgpr_private_segment_wavefront_offset 1
		.amdhsa_system_sgpr_workgroup_id_x 1
		.amdhsa_system_sgpr_workgroup_id_y 0
		.amdhsa_system_sgpr_workgroup_id_z 0
		.amdhsa_system_sgpr_workgroup_info 0
		.amdhsa_system_vgpr_workitem_id 0
		.amdhsa_next_free_vgpr 126
		.amdhsa_next_free_sgpr 24
		.amdhsa_reserve_vcc 1
		.amdhsa_reserve_flat_scratch 0
		.amdhsa_float_round_mode_32 0
		.amdhsa_float_round_mode_16_64 0
		.amdhsa_float_denorm_mode_32 3
		.amdhsa_float_denorm_mode_16_64 3
		.amdhsa_dx10_clamp 1
		.amdhsa_ieee_mode 1
		.amdhsa_fp16_overflow 0
		.amdhsa_exception_fp_ieee_invalid_op 0
		.amdhsa_exception_fp_denorm_src 0
		.amdhsa_exception_fp_ieee_div_zero 0
		.amdhsa_exception_fp_ieee_overflow 0
		.amdhsa_exception_fp_ieee_underflow 0
		.amdhsa_exception_fp_ieee_inexact 0
		.amdhsa_exception_int_div_zero 0
	.end_amdhsa_kernel
	.section	.text._ZN9rocsolver6v33100L18getri_kernel_smallILi21E19rocblas_complex_numIfEPS3_EEvT1_iilPiilS6_bb,"axG",@progbits,_ZN9rocsolver6v33100L18getri_kernel_smallILi21E19rocblas_complex_numIfEPS3_EEvT1_iilPiilS6_bb,comdat
.Lfunc_end20:
	.size	_ZN9rocsolver6v33100L18getri_kernel_smallILi21E19rocblas_complex_numIfEPS3_EEvT1_iilPiilS6_bb, .Lfunc_end20-_ZN9rocsolver6v33100L18getri_kernel_smallILi21E19rocblas_complex_numIfEPS3_EEvT1_iilPiilS6_bb
                                        ; -- End function
	.set _ZN9rocsolver6v33100L18getri_kernel_smallILi21E19rocblas_complex_numIfEPS3_EEvT1_iilPiilS6_bb.num_vgpr, 126
	.set _ZN9rocsolver6v33100L18getri_kernel_smallILi21E19rocblas_complex_numIfEPS3_EEvT1_iilPiilS6_bb.num_agpr, 0
	.set _ZN9rocsolver6v33100L18getri_kernel_smallILi21E19rocblas_complex_numIfEPS3_EEvT1_iilPiilS6_bb.numbered_sgpr, 24
	.set _ZN9rocsolver6v33100L18getri_kernel_smallILi21E19rocblas_complex_numIfEPS3_EEvT1_iilPiilS6_bb.num_named_barrier, 0
	.set _ZN9rocsolver6v33100L18getri_kernel_smallILi21E19rocblas_complex_numIfEPS3_EEvT1_iilPiilS6_bb.private_seg_size, 176
	.set _ZN9rocsolver6v33100L18getri_kernel_smallILi21E19rocblas_complex_numIfEPS3_EEvT1_iilPiilS6_bb.uses_vcc, 1
	.set _ZN9rocsolver6v33100L18getri_kernel_smallILi21E19rocblas_complex_numIfEPS3_EEvT1_iilPiilS6_bb.uses_flat_scratch, 0
	.set _ZN9rocsolver6v33100L18getri_kernel_smallILi21E19rocblas_complex_numIfEPS3_EEvT1_iilPiilS6_bb.has_dyn_sized_stack, 0
	.set _ZN9rocsolver6v33100L18getri_kernel_smallILi21E19rocblas_complex_numIfEPS3_EEvT1_iilPiilS6_bb.has_recursion, 0
	.set _ZN9rocsolver6v33100L18getri_kernel_smallILi21E19rocblas_complex_numIfEPS3_EEvT1_iilPiilS6_bb.has_indirect_call, 0
	.section	.AMDGPU.csdata,"",@progbits
; Kernel info:
; codeLenInByte = 22920
; TotalNumSgprs: 28
; NumVgprs: 126
; ScratchSize: 176
; MemoryBound: 0
; FloatMode: 240
; IeeeMode: 1
; LDSByteSize: 344 bytes/workgroup (compile time only)
; SGPRBlocks: 3
; VGPRBlocks: 31
; NumSGPRsForWavesPerEU: 28
; NumVGPRsForWavesPerEU: 126
; Occupancy: 2
; WaveLimiterHint : 1
; COMPUTE_PGM_RSRC2:SCRATCH_EN: 1
; COMPUTE_PGM_RSRC2:USER_SGPR: 6
; COMPUTE_PGM_RSRC2:TRAP_HANDLER: 0
; COMPUTE_PGM_RSRC2:TGID_X_EN: 1
; COMPUTE_PGM_RSRC2:TGID_Y_EN: 0
; COMPUTE_PGM_RSRC2:TGID_Z_EN: 0
; COMPUTE_PGM_RSRC2:TIDIG_COMP_CNT: 0
	.section	.text._ZN9rocsolver6v33100L18getri_kernel_smallILi22E19rocblas_complex_numIfEPS3_EEvT1_iilPiilS6_bb,"axG",@progbits,_ZN9rocsolver6v33100L18getri_kernel_smallILi22E19rocblas_complex_numIfEPS3_EEvT1_iilPiilS6_bb,comdat
	.globl	_ZN9rocsolver6v33100L18getri_kernel_smallILi22E19rocblas_complex_numIfEPS3_EEvT1_iilPiilS6_bb ; -- Begin function _ZN9rocsolver6v33100L18getri_kernel_smallILi22E19rocblas_complex_numIfEPS3_EEvT1_iilPiilS6_bb
	.p2align	8
	.type	_ZN9rocsolver6v33100L18getri_kernel_smallILi22E19rocblas_complex_numIfEPS3_EEvT1_iilPiilS6_bb,@function
_ZN9rocsolver6v33100L18getri_kernel_smallILi22E19rocblas_complex_numIfEPS3_EEvT1_iilPiilS6_bb: ; @_ZN9rocsolver6v33100L18getri_kernel_smallILi22E19rocblas_complex_numIfEPS3_EEvT1_iilPiilS6_bb
; %bb.0:
	s_add_u32 s0, s0, s7
	s_addc_u32 s1, s1, 0
	v_cmp_gt_u32_e32 vcc, 22, v0
	s_and_saveexec_b64 s[8:9], vcc
	s_cbranch_execz .LBB21_102
; %bb.1:
	s_load_dword s12, s[4:5], 0x38
	s_load_dwordx4 s[16:19], s[4:5], 0x10
	s_load_dwordx4 s[8:11], s[4:5], 0x28
                                        ; implicit-def: $sgpr20_sgpr21
	s_waitcnt lgkmcnt(0)
	s_bitcmp1_b32 s12, 8
	s_cselect_b64 s[22:23], -1, 0
	s_ashr_i32 s7, s6, 31
	s_bfe_u32 s12, s12, 0x10008
	s_cmp_eq_u32 s12, 0
	s_cbranch_scc1 .LBB21_3
; %bb.2:
	s_load_dword s12, s[4:5], 0x20
	s_mul_i32 s13, s8, s7
	s_mul_hi_u32 s14, s8, s6
	s_mul_i32 s9, s9, s6
	s_add_i32 s14, s14, s13
	s_add_i32 s9, s14, s9
	s_mul_i32 s8, s8, s6
	s_waitcnt lgkmcnt(0)
	s_ashr_i32 s13, s12, 31
	s_lshl_b64 s[8:9], s[8:9], 2
	s_add_u32 s14, s18, s8
	s_addc_u32 s15, s19, s9
	s_lshl_b64 s[8:9], s[12:13], 2
	s_add_u32 s20, s14, s8
	s_addc_u32 s21, s15, s9
.LBB21_3:
	s_load_dwordx4 s[12:15], s[4:5], 0x0
	s_load_dword s8, s[4:5], 0x38
	s_mul_i32 s9, s16, s7
	s_mul_hi_u32 s18, s16, s6
	s_add_i32 s9, s18, s9
	s_waitcnt lgkmcnt(0)
	s_ashr_i32 s5, s14, 31
	s_mov_b32 s4, s14
	s_mul_i32 s14, s17, s6
	s_add_i32 s17, s9, s14
	s_mul_i32 s16, s16, s6
	s_lshl_b64 s[16:17], s[16:17], 3
	s_add_u32 s9, s12, s16
	s_addc_u32 s12, s13, s17
	s_lshl_b64 s[4:5], s[4:5], 3
	s_add_u32 s4, s9, s4
	s_addc_u32 s5, s12, s5
	s_add_i32 s9, s15, s15
	v_add_u32_e32 v3, s9, v0
	v_ashrrev_i32_e32 v4, 31, v3
	v_lshlrev_b64 v[1:2], 3, v[3:4]
	v_add_u32_e32 v5, s15, v3
	v_mov_b32_e32 v4, s5
	v_add_co_u32_e32 v1, vcc, s4, v1
	v_ashrrev_i32_e32 v6, 31, v5
	v_addc_co_u32_e32 v2, vcc, v4, v2, vcc
	v_lshlrev_b64 v[3:4], 3, v[5:6]
	v_add_u32_e32 v7, s15, v5
	v_mov_b32_e32 v6, s5
	v_add_co_u32_e32 v3, vcc, s4, v3
	v_ashrrev_i32_e32 v8, 31, v7
	v_addc_co_u32_e32 v4, vcc, v6, v4, vcc
	v_lshlrev_b64 v[5:6], 3, v[7:8]
	v_add_u32_e32 v9, s15, v7
	v_mov_b32_e32 v8, s5
	v_add_co_u32_e32 v5, vcc, s4, v5
	v_ashrrev_i32_e32 v10, 31, v9
	v_addc_co_u32_e32 v6, vcc, v8, v6, vcc
	v_lshlrev_b64 v[7:8], 3, v[9:10]
	v_add_u32_e32 v11, s15, v9
	v_mov_b32_e32 v10, s5
	v_add_co_u32_e32 v7, vcc, s4, v7
	v_ashrrev_i32_e32 v12, 31, v11
	v_addc_co_u32_e32 v8, vcc, v10, v8, vcc
	v_lshlrev_b64 v[9:10], 3, v[11:12]
	v_add_u32_e32 v13, s15, v11
	v_mov_b32_e32 v12, s5
	v_add_co_u32_e32 v9, vcc, s4, v9
	v_ashrrev_i32_e32 v14, 31, v13
	v_addc_co_u32_e32 v10, vcc, v12, v10, vcc
	v_lshlrev_b64 v[11:12], 3, v[13:14]
	v_add_u32_e32 v15, s15, v13
	v_mov_b32_e32 v14, s5
	v_add_co_u32_e32 v11, vcc, s4, v11
	v_ashrrev_i32_e32 v16, 31, v15
	v_addc_co_u32_e32 v12, vcc, v14, v12, vcc
	v_lshlrev_b64 v[13:14], 3, v[15:16]
	v_add_u32_e32 v17, s15, v15
	v_mov_b32_e32 v16, s5
	v_add_co_u32_e32 v13, vcc, s4, v13
	v_ashrrev_i32_e32 v18, 31, v17
	v_addc_co_u32_e32 v14, vcc, v16, v14, vcc
	v_lshlrev_b64 v[15:16], 3, v[17:18]
	v_add_u32_e32 v19, s15, v17
	v_mov_b32_e32 v18, s5
	v_add_co_u32_e32 v15, vcc, s4, v15
	v_ashrrev_i32_e32 v20, 31, v19
	v_addc_co_u32_e32 v16, vcc, v18, v16, vcc
	v_lshlrev_b64 v[17:18], 3, v[19:20]
	v_mov_b32_e32 v21, s5
	v_add_co_u32_e32 v17, vcc, s4, v17
	v_addc_co_u32_e32 v18, vcc, v21, v18, vcc
	v_add_u32_e32 v21, s15, v19
	v_ashrrev_i32_e32 v22, 31, v21
	v_lshlrev_b64 v[19:20], 3, v[21:22]
	v_mov_b32_e32 v23, s5
	v_add_co_u32_e32 v19, vcc, s4, v19
	v_addc_co_u32_e32 v20, vcc, v23, v20, vcc
	v_add_u32_e32 v23, s15, v21
	v_ashrrev_i32_e32 v24, 31, v23
	v_lshlrev_b64 v[21:22], 3, v[23:24]
	v_mov_b32_e32 v25, s5
	v_add_co_u32_e32 v21, vcc, s4, v21
	v_addc_co_u32_e32 v22, vcc, v25, v22, vcc
	v_add_u32_e32 v25, s15, v23
	v_ashrrev_i32_e32 v26, 31, v25
	v_lshlrev_b64 v[23:24], 3, v[25:26]
	v_mov_b32_e32 v27, s5
	v_add_co_u32_e32 v23, vcc, s4, v23
	v_addc_co_u32_e32 v24, vcc, v27, v24, vcc
	v_add_u32_e32 v27, s15, v25
	v_ashrrev_i32_e32 v28, 31, v27
	v_lshlrev_b64 v[25:26], 3, v[27:28]
	v_mov_b32_e32 v29, s5
	v_add_co_u32_e32 v25, vcc, s4, v25
	v_addc_co_u32_e32 v26, vcc, v29, v26, vcc
	v_add_u32_e32 v29, s15, v27
	v_ashrrev_i32_e32 v30, 31, v29
	v_lshlrev_b64 v[27:28], 3, v[29:30]
	v_mov_b32_e32 v31, s5
	v_add_co_u32_e32 v27, vcc, s4, v27
	v_addc_co_u32_e32 v28, vcc, v31, v28, vcc
	v_add_u32_e32 v31, s15, v29
	v_ashrrev_i32_e32 v32, 31, v31
	v_lshlrev_b64 v[29:30], 3, v[31:32]
	v_mov_b32_e32 v33, s5
	v_add_co_u32_e32 v29, vcc, s4, v29
	v_addc_co_u32_e32 v30, vcc, v33, v30, vcc
	v_add_u32_e32 v33, s15, v31
	v_ashrrev_i32_e32 v34, 31, v33
	v_lshlrev_b64 v[31:32], 3, v[33:34]
	v_mov_b32_e32 v35, s5
	v_add_co_u32_e32 v31, vcc, s4, v31
	v_addc_co_u32_e32 v32, vcc, v35, v32, vcc
	v_add_u32_e32 v35, s15, v33
	v_ashrrev_i32_e32 v36, 31, v35
	v_lshlrev_b64 v[33:34], 3, v[35:36]
	v_mov_b32_e32 v37, s5
	v_add_co_u32_e32 v33, vcc, s4, v33
	v_addc_co_u32_e32 v34, vcc, v37, v34, vcc
	v_lshlrev_b32_e32 v47, 3, v0
	v_add_u32_e32 v41, s15, v35
	v_mov_b32_e32 v38, s5
	v_add_co_u32_e32 v37, vcc, s4, v47
	s_ashr_i32 s13, s15, 31
	s_mov_b32 s12, s15
	v_ashrrev_i32_e32 v42, 31, v41
	v_addc_co_u32_e32 v38, vcc, 0, v38, vcc
	s_lshl_b64 s[12:13], s[12:13], 3
	v_lshlrev_b64 v[35:36], 3, v[41:42]
	v_mov_b32_e32 v40, s13
	v_add_co_u32_e32 v39, vcc, s12, v37
	v_addc_co_u32_e32 v40, vcc, v38, v40, vcc
	v_mov_b32_e32 v43, s5
	v_add_co_u32_e32 v35, vcc, s4, v35
	v_addc_co_u32_e32 v36, vcc, v43, v36, vcc
	v_add_u32_e32 v43, s15, v41
	v_ashrrev_i32_e32 v44, 31, v43
	v_lshlrev_b64 v[41:42], 3, v[43:44]
	v_mov_b32_e32 v72, s5
	v_add_co_u32_e32 v41, vcc, s4, v41
	global_load_dwordx2 v[45:46], v47, s[4:5]
	global_load_dwordx2 v[48:49], v[39:40], off
	global_load_dwordx2 v[50:51], v[1:2], off
	;; [unrolled: 1-line block ×12, first 2 shown]
	v_addc_co_u32_e32 v42, vcc, v72, v42, vcc
	global_load_dwordx2 v[72:73], v[23:24], off
	global_load_dwordx2 v[74:75], v[25:26], off
	;; [unrolled: 1-line block ×8, first 2 shown]
	v_add_u32_e32 v43, s15, v43
	v_ashrrev_i32_e32 v44, 31, v43
	v_lshlrev_b64 v[43:44], 3, v[43:44]
	v_mov_b32_e32 v88, s5
	v_add_co_u32_e32 v43, vcc, s4, v43
	v_addc_co_u32_e32 v44, vcc, v88, v44, vcc
	global_load_dwordx2 v[88:89], v[43:44], off
	s_bitcmp0_b32 s8, 0
	s_mov_b64 s[8:9], -1
	s_waitcnt vmcnt(21)
	buffer_store_dword v46, off, s[0:3], 0 offset:4
	buffer_store_dword v45, off, s[0:3], 0
	s_waitcnt vmcnt(22)
	buffer_store_dword v49, off, s[0:3], 0 offset:12
	buffer_store_dword v48, off, s[0:3], 0 offset:8
	s_waitcnt vmcnt(23)
	buffer_store_dword v51, off, s[0:3], 0 offset:20
	buffer_store_dword v50, off, s[0:3], 0 offset:16
	;; [unrolled: 3-line block ×21, first 2 shown]
	s_cbranch_scc1 .LBB21_100
; %bb.4:
	v_cmp_eq_u32_e64 s[4:5], 0, v0
	s_and_saveexec_b64 s[8:9], s[4:5]
; %bb.5:
	v_mov_b32_e32 v45, 0
	ds_write_b32 v45, v45 offset:352
; %bb.6:
	s_or_b64 exec, exec, s[8:9]
	v_mov_b32_e32 v45, 0
	v_lshl_add_u32 v49, v0, 3, v45
	s_waitcnt lgkmcnt(0)
	; wave barrier
	buffer_load_dword v45, v49, s[0:3], 0 offen
	buffer_load_dword v46, v49, s[0:3], 0 offen offset:4
	s_waitcnt vmcnt(1)
	v_cmp_eq_f32_e32 vcc, 0, v45
	s_waitcnt vmcnt(0)
	v_cmp_eq_f32_e64 s[8:9], 0, v46
	s_and_b64 s[8:9], vcc, s[8:9]
	s_and_saveexec_b64 s[12:13], s[8:9]
	s_cbranch_execz .LBB21_10
; %bb.7:
	v_mov_b32_e32 v45, 0
	ds_read_b32 v48, v45 offset:352
	v_add_u32_e32 v46, 1, v0
	s_waitcnt lgkmcnt(0)
	v_readfirstlane_b32 s8, v48
	s_cmp_eq_u32 s8, 0
	s_cselect_b64 s[14:15], -1, 0
	v_cmp_gt_i32_e32 vcc, s8, v46
	s_or_b64 s[14:15], s[14:15], vcc
	s_and_b64 exec, exec, s[14:15]
	s_cbranch_execz .LBB21_10
; %bb.8:
	s_mov_b64 s[14:15], 0
	v_mov_b32_e32 v48, s8
.LBB21_9:                               ; =>This Inner Loop Header: Depth=1
	ds_cmpst_rtn_b32 v48, v45, v48, v46 offset:352
	s_waitcnt lgkmcnt(0)
	v_cmp_ne_u32_e32 vcc, 0, v48
	v_cmp_le_i32_e64 s[8:9], v48, v46
	s_and_b64 s[8:9], vcc, s[8:9]
	s_and_b64 s[8:9], exec, s[8:9]
	s_or_b64 s[14:15], s[8:9], s[14:15]
	s_andn2_b64 exec, exec, s[14:15]
	s_cbranch_execnz .LBB21_9
.LBB21_10:
	s_or_b64 exec, exec, s[12:13]
	v_mov_b32_e32 v46, 0
	; wave barrier
	ds_read_b32 v45, v46 offset:352
	s_and_saveexec_b64 s[8:9], s[4:5]
	s_cbranch_execz .LBB21_12
; %bb.11:
	s_lshl_b64 s[12:13], s[6:7], 2
	s_add_u32 s12, s10, s12
	s_addc_u32 s13, s11, s13
	s_waitcnt lgkmcnt(0)
	global_store_dword v46, v45, s[12:13]
.LBB21_12:
	s_or_b64 exec, exec, s[8:9]
	s_waitcnt lgkmcnt(0)
	v_cmp_ne_u32_e32 vcc, 0, v45
	s_mov_b64 s[8:9], 0
	s_cbranch_vccnz .LBB21_100
; %bb.13:
	buffer_load_dword v46, v49, s[0:3], 0 offen
	buffer_load_dword v48, v49, s[0:3], 0 offen offset:4
                                        ; implicit-def: $vgpr51
                                        ; implicit-def: $vgpr50
                                        ; implicit-def: $vgpr45
	s_waitcnt vmcnt(0)
	v_cmp_ngt_f32_e64 s[8:9], |v46|, |v48|
	s_and_saveexec_b64 s[12:13], s[8:9]
	s_xor_b64 s[8:9], exec, s[12:13]
	s_cbranch_execz .LBB21_15
; %bb.14:
	v_div_scale_f32 v45, s[12:13], v48, v48, v46
	v_div_scale_f32 v50, vcc, v46, v48, v46
	v_rcp_f32_e32 v51, v45
	v_fma_f32 v52, -v45, v51, 1.0
	v_fmac_f32_e32 v51, v52, v51
	v_mul_f32_e32 v52, v50, v51
	v_fma_f32 v53, -v45, v52, v50
	v_fmac_f32_e32 v52, v53, v51
	v_fma_f32 v45, -v45, v52, v50
	v_div_fmas_f32 v45, v45, v51, v52
	v_div_fixup_f32 v45, v45, v48, v46
	v_fmac_f32_e32 v48, v46, v45
	v_div_scale_f32 v46, s[12:13], v48, v48, 1.0
	v_div_scale_f32 v50, vcc, 1.0, v48, 1.0
	v_rcp_f32_e32 v51, v46
	v_fma_f32 v52, -v46, v51, 1.0
	v_fmac_f32_e32 v51, v52, v51
	v_mul_f32_e32 v52, v50, v51
	v_fma_f32 v53, -v46, v52, v50
	v_fmac_f32_e32 v52, v53, v51
	v_fma_f32 v46, -v46, v52, v50
	v_div_fmas_f32 v46, v46, v51, v52
	v_div_fixup_f32 v46, v46, v48, 1.0
	v_mul_f32_e32 v51, v45, v46
	v_xor_b32_e32 v50, 0x80000000, v46
	v_xor_b32_e32 v45, 0x80000000, v51
                                        ; implicit-def: $vgpr46
                                        ; implicit-def: $vgpr48
.LBB21_15:
	s_andn2_saveexec_b64 s[8:9], s[8:9]
	s_cbranch_execz .LBB21_17
; %bb.16:
	v_div_scale_f32 v45, s[12:13], v46, v46, v48
	v_div_scale_f32 v50, vcc, v48, v46, v48
	v_rcp_f32_e32 v51, v45
	v_fma_f32 v52, -v45, v51, 1.0
	v_fmac_f32_e32 v51, v52, v51
	v_mul_f32_e32 v52, v50, v51
	v_fma_f32 v53, -v45, v52, v50
	v_fmac_f32_e32 v52, v53, v51
	v_fma_f32 v45, -v45, v52, v50
	v_div_fmas_f32 v45, v45, v51, v52
	v_div_fixup_f32 v50, v45, v46, v48
	v_fmac_f32_e32 v46, v48, v50
	v_div_scale_f32 v45, s[12:13], v46, v46, 1.0
	v_div_scale_f32 v48, vcc, 1.0, v46, 1.0
	v_rcp_f32_e32 v51, v45
	v_fma_f32 v52, -v45, v51, 1.0
	v_fmac_f32_e32 v51, v52, v51
	v_mul_f32_e32 v52, v48, v51
	v_fma_f32 v53, -v45, v52, v48
	v_fmac_f32_e32 v52, v53, v51
	v_fma_f32 v45, -v45, v52, v48
	v_div_fmas_f32 v45, v45, v51, v52
	v_div_fixup_f32 v51, v45, v46, 1.0
	v_xor_b32_e32 v45, 0x80000000, v51
	v_mul_f32_e64 v50, v50, -v51
.LBB21_17:
	s_or_b64 exec, exec, s[8:9]
	buffer_store_dword v51, v49, s[0:3], 0 offen
	buffer_store_dword v50, v49, s[0:3], 0 offen offset:4
	buffer_load_dword v52, off, s[0:3], 0 offset:12
	s_nop 0
	buffer_load_dword v51, off, s[0:3], 0 offset:8
	v_xor_b32_e32 v46, 0x80000000, v50
	v_add_u32_e32 v48, 0xb0, v47
	s_waitcnt vmcnt(0)
	ds_write2_b64 v47, v[45:46], v[51:52] offset1:22
	s_waitcnt lgkmcnt(0)
	; wave barrier
	s_and_saveexec_b64 s[8:9], s[4:5]
	s_cbranch_execz .LBB21_19
; %bb.18:
	buffer_load_dword v52, v49, s[0:3], 0 offen offset:4
	buffer_load_dword v53, v49, s[0:3], 0 offen
	ds_read_b64 v[45:46], v48
	v_mov_b32_e32 v50, 0
	ds_read_b64 v[50:51], v50 offset:8
	s_waitcnt vmcnt(1) lgkmcnt(1)
	v_mul_f32_e32 v54, v46, v52
	v_mul_f32_e32 v52, v45, v52
	s_waitcnt vmcnt(0)
	v_fmac_f32_e32 v52, v46, v53
	v_fma_f32 v45, v45, v53, -v54
	v_add_f32_e32 v46, 0, v52
	v_add_f32_e32 v45, 0, v45
	s_waitcnt lgkmcnt(0)
	v_mul_f32_e32 v52, v46, v51
	v_mul_f32_e32 v51, v45, v51
	v_fma_f32 v45, v45, v50, -v52
	v_fmac_f32_e32 v51, v46, v50
	buffer_store_dword v45, off, s[0:3], 0 offset:8
	buffer_store_dword v51, off, s[0:3], 0 offset:12
.LBB21_19:
	s_or_b64 exec, exec, s[8:9]
	; wave barrier
	buffer_load_dword v45, off, s[0:3], 0 offset:16
	buffer_load_dword v46, off, s[0:3], 0 offset:20
	v_cmp_gt_u32_e32 vcc, 2, v0
	s_waitcnt vmcnt(0)
	ds_write_b64 v48, v[45:46]
	s_waitcnt lgkmcnt(0)
	; wave barrier
	s_and_saveexec_b64 s[8:9], vcc
	s_cbranch_execz .LBB21_23
; %bb.20:
	buffer_load_dword v50, v49, s[0:3], 0 offen offset:4
	buffer_load_dword v51, v49, s[0:3], 0 offen
	ds_read_b64 v[45:46], v48
	s_waitcnt vmcnt(1) lgkmcnt(0)
	v_mul_f32_e32 v49, v46, v50
	v_mul_f32_e32 v50, v45, v50
	s_waitcnt vmcnt(0)
	v_fma_f32 v45, v45, v51, -v49
	v_fmac_f32_e32 v50, v46, v51
	v_add_f32_e32 v46, 0, v45
	v_add_f32_e32 v45, 0, v50
	s_and_saveexec_b64 s[12:13], s[4:5]
	s_cbranch_execz .LBB21_22
; %bb.21:
	buffer_load_dword v51, off, s[0:3], 0 offset:12
	buffer_load_dword v52, off, s[0:3], 0 offset:8
	v_mov_b32_e32 v49, 0
	ds_read_b64 v[49:50], v49 offset:184
	s_waitcnt vmcnt(1) lgkmcnt(0)
	v_mul_f32_e32 v53, v49, v51
	v_mul_f32_e32 v51, v50, v51
	s_waitcnt vmcnt(0)
	v_fmac_f32_e32 v53, v50, v52
	v_fma_f32 v49, v49, v52, -v51
	v_add_f32_e32 v45, v45, v53
	v_add_f32_e32 v46, v46, v49
.LBB21_22:
	s_or_b64 exec, exec, s[12:13]
	v_mov_b32_e32 v49, 0
	ds_read_b64 v[49:50], v49 offset:16
	s_waitcnt lgkmcnt(0)
	v_mul_f32_e32 v51, v45, v50
	v_mul_f32_e32 v50, v46, v50
	v_fma_f32 v46, v46, v49, -v51
	v_fmac_f32_e32 v50, v45, v49
	buffer_store_dword v46, off, s[0:3], 0 offset:16
	buffer_store_dword v50, off, s[0:3], 0 offset:20
.LBB21_23:
	s_or_b64 exec, exec, s[8:9]
	; wave barrier
	buffer_load_dword v45, off, s[0:3], 0 offset:24
	buffer_load_dword v46, off, s[0:3], 0 offset:28
	v_cmp_gt_u32_e32 vcc, 3, v0
	s_waitcnt vmcnt(0)
	ds_write_b64 v48, v[45:46]
	v_add_u32_e32 v45, -1, v0
	s_waitcnt lgkmcnt(0)
	; wave barrier
	s_and_saveexec_b64 s[4:5], vcc
	s_cbranch_execz .LBB21_27
; %bb.24:
	v_add_u32_e32 v49, -1, v0
	v_add_u32_e32 v50, 0xb0, v47
	v_mov_b32_e32 v51, v47
	v_mov_b32_e32 v46, 0
	s_mov_b64 s[8:9], 0
	v_mov_b32_e32 v52, 0
.LBB21_25:                              ; =>This Inner Loop Header: Depth=1
	buffer_load_dword v55, v51, s[0:3], 0 offen offset:4
	buffer_load_dword v56, v51, s[0:3], 0 offen
	ds_read_b64 v[53:54], v50
	v_add_u32_e32 v49, 1, v49
	v_cmp_lt_u32_e32 vcc, 1, v49
	v_add_u32_e32 v50, 8, v50
	v_add_u32_e32 v51, 8, v51
	s_or_b64 s[8:9], vcc, s[8:9]
	s_waitcnt vmcnt(1) lgkmcnt(0)
	v_mul_f32_e32 v57, v54, v55
	v_mul_f32_e32 v55, v53, v55
	s_waitcnt vmcnt(0)
	v_fma_f32 v53, v53, v56, -v57
	v_fmac_f32_e32 v55, v54, v56
	v_add_f32_e32 v52, v52, v53
	v_add_f32_e32 v46, v46, v55
	s_andn2_b64 exec, exec, s[8:9]
	s_cbranch_execnz .LBB21_25
; %bb.26:
	s_or_b64 exec, exec, s[8:9]
	v_mov_b32_e32 v49, 0
	ds_read_b64 v[49:50], v49 offset:24
	s_waitcnt lgkmcnt(0)
	v_mul_f32_e32 v51, v46, v50
	v_mul_f32_e32 v50, v52, v50
	v_fma_f32 v51, v52, v49, -v51
	v_fmac_f32_e32 v50, v46, v49
	buffer_store_dword v51, off, s[0:3], 0 offset:24
	buffer_store_dword v50, off, s[0:3], 0 offset:28
.LBB21_27:
	s_or_b64 exec, exec, s[4:5]
	; wave barrier
	buffer_load_dword v49, off, s[0:3], 0 offset:32
	buffer_load_dword v50, off, s[0:3], 0 offset:36
	v_cmp_gt_u32_e32 vcc, 4, v0
	s_waitcnt vmcnt(0)
	ds_write_b64 v48, v[49:50]
	s_waitcnt lgkmcnt(0)
	; wave barrier
	s_and_saveexec_b64 s[4:5], vcc
	s_cbranch_execz .LBB21_31
; %bb.28:
	v_add_u32_e32 v49, -1, v0
	v_add_u32_e32 v50, 0xb0, v47
	v_mov_b32_e32 v51, v47
	v_mov_b32_e32 v46, 0
	s_mov_b64 s[8:9], 0
	v_mov_b32_e32 v52, 0
.LBB21_29:                              ; =>This Inner Loop Header: Depth=1
	buffer_load_dword v55, v51, s[0:3], 0 offen offset:4
	buffer_load_dword v56, v51, s[0:3], 0 offen
	ds_read_b64 v[53:54], v50
	v_add_u32_e32 v49, 1, v49
	v_cmp_lt_u32_e32 vcc, 2, v49
	v_add_u32_e32 v50, 8, v50
	v_add_u32_e32 v51, 8, v51
	s_or_b64 s[8:9], vcc, s[8:9]
	s_waitcnt vmcnt(1) lgkmcnt(0)
	v_mul_f32_e32 v57, v54, v55
	v_mul_f32_e32 v55, v53, v55
	s_waitcnt vmcnt(0)
	v_fma_f32 v53, v53, v56, -v57
	v_fmac_f32_e32 v55, v54, v56
	v_add_f32_e32 v52, v52, v53
	v_add_f32_e32 v46, v46, v55
	s_andn2_b64 exec, exec, s[8:9]
	s_cbranch_execnz .LBB21_29
; %bb.30:
	s_or_b64 exec, exec, s[8:9]
	v_mov_b32_e32 v49, 0
	ds_read_b64 v[49:50], v49 offset:32
	s_waitcnt lgkmcnt(0)
	v_mul_f32_e32 v51, v46, v50
	v_mul_f32_e32 v50, v52, v50
	v_fma_f32 v51, v52, v49, -v51
	v_fmac_f32_e32 v50, v46, v49
	buffer_store_dword v51, off, s[0:3], 0 offset:32
	buffer_store_dword v50, off, s[0:3], 0 offset:36
.LBB21_31:
	s_or_b64 exec, exec, s[4:5]
	; wave barrier
	buffer_load_dword v49, off, s[0:3], 0 offset:40
	buffer_load_dword v50, off, s[0:3], 0 offset:44
	v_cmp_gt_u32_e32 vcc, 5, v0
	s_waitcnt vmcnt(0)
	ds_write_b64 v48, v[49:50]
	;; [unrolled: 49-line block ×17, first 2 shown]
	s_waitcnt lgkmcnt(0)
	; wave barrier
	s_and_saveexec_b64 s[4:5], vcc
	s_cbranch_execz .LBB21_95
; %bb.92:
	v_add_u32_e32 v49, -1, v0
	v_add_u32_e32 v50, 0xb0, v47
	v_mov_b32_e32 v51, v47
	v_mov_b32_e32 v46, 0
	s_mov_b64 s[8:9], 0
	v_mov_b32_e32 v52, 0
.LBB21_93:                              ; =>This Inner Loop Header: Depth=1
	buffer_load_dword v55, v51, s[0:3], 0 offen offset:4
	buffer_load_dword v56, v51, s[0:3], 0 offen
	ds_read_b64 v[53:54], v50
	v_add_u32_e32 v49, 1, v49
	v_cmp_lt_u32_e32 vcc, 18, v49
	v_add_u32_e32 v50, 8, v50
	v_add_u32_e32 v51, 8, v51
	s_or_b64 s[8:9], vcc, s[8:9]
	s_waitcnt vmcnt(1) lgkmcnt(0)
	v_mul_f32_e32 v57, v54, v55
	v_mul_f32_e32 v55, v53, v55
	s_waitcnt vmcnt(0)
	v_fma_f32 v53, v53, v56, -v57
	v_fmac_f32_e32 v55, v54, v56
	v_add_f32_e32 v52, v52, v53
	v_add_f32_e32 v46, v46, v55
	s_andn2_b64 exec, exec, s[8:9]
	s_cbranch_execnz .LBB21_93
; %bb.94:
	s_or_b64 exec, exec, s[8:9]
	v_mov_b32_e32 v49, 0
	ds_read_b64 v[49:50], v49 offset:160
	s_waitcnt lgkmcnt(0)
	v_mul_f32_e32 v51, v46, v50
	v_mul_f32_e32 v50, v52, v50
	v_fma_f32 v51, v52, v49, -v51
	v_fmac_f32_e32 v50, v46, v49
	buffer_store_dword v51, off, s[0:3], 0 offset:160
	buffer_store_dword v50, off, s[0:3], 0 offset:164
.LBB21_95:
	s_or_b64 exec, exec, s[4:5]
	; wave barrier
	buffer_load_dword v49, off, s[0:3], 0 offset:168
	buffer_load_dword v50, off, s[0:3], 0 offset:172
	v_cmp_ne_u32_e32 vcc, 21, v0
	s_waitcnt vmcnt(0)
	ds_write_b64 v48, v[49:50]
	s_waitcnt lgkmcnt(0)
	; wave barrier
	s_and_saveexec_b64 s[4:5], vcc
	s_cbranch_execz .LBB21_99
; %bb.96:
	v_add_u32_e32 v48, 0xb0, v47
	v_mov_b32_e32 v46, 0
	s_mov_b64 s[8:9], 0
	v_mov_b32_e32 v49, 0
.LBB21_97:                              ; =>This Inner Loop Header: Depth=1
	buffer_load_dword v52, v47, s[0:3], 0 offen offset:4
	buffer_load_dword v53, v47, s[0:3], 0 offen
	ds_read_b64 v[50:51], v48
	v_add_u32_e32 v45, 1, v45
	v_cmp_lt_u32_e32 vcc, 19, v45
	v_add_u32_e32 v48, 8, v48
	v_add_u32_e32 v47, 8, v47
	s_or_b64 s[8:9], vcc, s[8:9]
	s_waitcnt vmcnt(1) lgkmcnt(0)
	v_mul_f32_e32 v54, v51, v52
	v_mul_f32_e32 v52, v50, v52
	s_waitcnt vmcnt(0)
	v_fma_f32 v50, v50, v53, -v54
	v_fmac_f32_e32 v52, v51, v53
	v_add_f32_e32 v49, v49, v50
	v_add_f32_e32 v46, v46, v52
	s_andn2_b64 exec, exec, s[8:9]
	s_cbranch_execnz .LBB21_97
; %bb.98:
	s_or_b64 exec, exec, s[8:9]
	v_mov_b32_e32 v45, 0
	ds_read_b64 v[47:48], v45 offset:168
	s_waitcnt lgkmcnt(0)
	v_mul_f32_e32 v45, v46, v48
	v_mul_f32_e32 v48, v49, v48
	v_fma_f32 v45, v49, v47, -v45
	v_fmac_f32_e32 v48, v46, v47
	buffer_store_dword v45, off, s[0:3], 0 offset:168
	buffer_store_dword v48, off, s[0:3], 0 offset:172
.LBB21_99:
	s_or_b64 exec, exec, s[4:5]
	s_mov_b64 s[8:9], -1
	; wave barrier
.LBB21_100:
	s_and_b64 vcc, exec, s[8:9]
	s_cbranch_vccz .LBB21_102
; %bb.101:
	s_lshl_b64 s[4:5], s[6:7], 2
	s_add_u32 s4, s10, s4
	s_addc_u32 s5, s11, s5
	v_mov_b32_e32 v45, 0
	global_load_dword v45, v45, s[4:5]
	s_waitcnt vmcnt(0)
	v_cmp_ne_u32_e32 vcc, 0, v45
	s_cbranch_vccz .LBB21_103
.LBB21_102:
	s_endpgm
.LBB21_103:
	v_mov_b32_e32 v45, 0xb0
	v_lshl_add_u32 v45, v0, 3, v45
	v_cmp_eq_u32_e32 vcc, 21, v0
	s_and_saveexec_b64 s[4:5], vcc
	s_cbranch_execz .LBB21_105
; %bb.104:
	buffer_load_dword v46, off, s[0:3], 0 offset:160
	buffer_load_dword v47, off, s[0:3], 0 offset:164
	v_mov_b32_e32 v48, 0
	buffer_store_dword v48, off, s[0:3], 0 offset:160
	buffer_store_dword v48, off, s[0:3], 0 offset:164
	s_waitcnt vmcnt(2)
	ds_write_b64 v45, v[46:47]
.LBB21_105:
	s_or_b64 exec, exec, s[4:5]
	s_waitcnt lgkmcnt(0)
	; wave barrier
	buffer_load_dword v49, off, s[0:3], 0 offset:172
	buffer_load_dword v50, off, s[0:3], 0 offset:168
	;; [unrolled: 1-line block ×4, first 2 shown]
	v_mov_b32_e32 v46, 0
	ds_read_b64 v[47:48], v46 offset:344
	v_cmp_lt_u32_e32 vcc, 19, v0
	s_waitcnt vmcnt(3) lgkmcnt(0)
	v_mul_f32_e32 v53, v47, v49
	v_mul_f32_e32 v49, v48, v49
	s_waitcnt vmcnt(2)
	v_fma_f32 v47, v47, v50, -v49
	v_fmac_f32_e32 v53, v48, v50
	v_add_f32_e32 v47, 0, v47
	v_add_f32_e32 v48, 0, v53
	s_waitcnt vmcnt(1)
	v_sub_f32_e32 v47, v51, v47
	s_waitcnt vmcnt(0)
	v_sub_f32_e32 v48, v52, v48
	buffer_store_dword v47, off, s[0:3], 0 offset:160
	buffer_store_dword v48, off, s[0:3], 0 offset:164
	s_and_saveexec_b64 s[4:5], vcc
	s_cbranch_execz .LBB21_107
; %bb.106:
	buffer_load_dword v47, off, s[0:3], 0 offset:152
	buffer_load_dword v48, off, s[0:3], 0 offset:156
	s_waitcnt vmcnt(0)
	ds_write_b64 v45, v[47:48]
	buffer_store_dword v46, off, s[0:3], 0 offset:152
	buffer_store_dword v46, off, s[0:3], 0 offset:156
.LBB21_107:
	s_or_b64 exec, exec, s[4:5]
	s_waitcnt lgkmcnt(0)
	; wave barrier
	buffer_load_dword v50, off, s[0:3], 0 offset:164
	buffer_load_dword v51, off, s[0:3], 0 offset:172
	;; [unrolled: 1-line block ×6, first 2 shown]
	ds_read_b128 v[46:49], v46 offset:336
	v_cmp_lt_u32_e32 vcc, 18, v0
	s_waitcnt vmcnt(5) lgkmcnt(0)
	v_mul_f32_e32 v56, v46, v50
	v_mul_f32_e32 v50, v47, v50
	s_waitcnt vmcnt(4)
	v_mul_f32_e32 v57, v48, v51
	v_mul_f32_e32 v51, v49, v51
	s_waitcnt vmcnt(3)
	v_fma_f32 v46, v46, v52, -v50
	v_fmac_f32_e32 v56, v47, v52
	s_waitcnt vmcnt(2)
	v_fma_f32 v47, v48, v53, -v51
	v_add_f32_e32 v46, 0, v46
	v_fmac_f32_e32 v57, v49, v53
	v_add_f32_e32 v48, 0, v56
	v_add_f32_e32 v46, v46, v47
	v_add_f32_e32 v48, v48, v57
	s_waitcnt vmcnt(1)
	v_sub_f32_e32 v46, v54, v46
	s_waitcnt vmcnt(0)
	v_sub_f32_e32 v47, v55, v48
	buffer_store_dword v46, off, s[0:3], 0 offset:152
	buffer_store_dword v47, off, s[0:3], 0 offset:156
	s_and_saveexec_b64 s[4:5], vcc
	s_cbranch_execz .LBB21_109
; %bb.108:
	buffer_load_dword v46, off, s[0:3], 0 offset:144
	buffer_load_dword v47, off, s[0:3], 0 offset:148
	v_mov_b32_e32 v48, 0
	buffer_store_dword v48, off, s[0:3], 0 offset:144
	buffer_store_dword v48, off, s[0:3], 0 offset:148
	s_waitcnt vmcnt(2)
	ds_write_b64 v45, v[46:47]
.LBB21_109:
	s_or_b64 exec, exec, s[4:5]
	v_mov_b32_e32 v46, 0
	s_waitcnt lgkmcnt(0)
	; wave barrier
	ds_read2_b64 v[47:50], v46 offset0:41 offset1:42
	buffer_load_dword v53, off, s[0:3], 0 offset:144
	buffer_load_dword v54, off, s[0:3], 0 offset:148
	;; [unrolled: 1-line block ×8, first 2 shown]
	v_cmp_lt_u32_e32 vcc, 17, v0
	s_waitcnt vmcnt(4) lgkmcnt(0)
	v_mul_f32_e32 v51, v47, v56
	v_fmac_f32_e32 v51, v48, v55
	s_waitcnt vmcnt(2)
	v_mul_f32_e32 v52, v49, v58
	v_add_f32_e32 v51, 0, v51
	v_fmac_f32_e32 v52, v50, v57
	v_add_f32_e32 v61, v51, v52
	ds_read_b64 v[51:52], v46 offset:344
	v_mul_f32_e32 v48, v48, v56
	v_fma_f32 v47, v47, v55, -v48
	v_mul_f32_e32 v48, v50, v58
	v_add_f32_e32 v47, 0, v47
	v_fma_f32 v48, v49, v57, -v48
	v_add_f32_e32 v47, v47, v48
	s_waitcnt vmcnt(0) lgkmcnt(0)
	v_mul_f32_e32 v48, v52, v60
	v_mul_f32_e32 v62, v51, v60
	v_fma_f32 v48, v51, v59, -v48
	v_fmac_f32_e32 v62, v52, v59
	v_add_f32_e32 v47, v47, v48
	v_add_f32_e32 v61, v61, v62
	v_sub_f32_e32 v47, v53, v47
	v_sub_f32_e32 v48, v54, v61
	buffer_store_dword v47, off, s[0:3], 0 offset:144
	buffer_store_dword v48, off, s[0:3], 0 offset:148
	s_and_saveexec_b64 s[4:5], vcc
	s_cbranch_execz .LBB21_111
; %bb.110:
	buffer_load_dword v47, off, s[0:3], 0 offset:136
	buffer_load_dword v48, off, s[0:3], 0 offset:140
	s_waitcnt vmcnt(0)
	ds_write_b64 v45, v[47:48]
	buffer_store_dword v46, off, s[0:3], 0 offset:136
	buffer_store_dword v46, off, s[0:3], 0 offset:140
.LBB21_111:
	s_or_b64 exec, exec, s[4:5]
	s_waitcnt lgkmcnt(0)
	; wave barrier
	buffer_load_dword v55, off, s[0:3], 0 offset:148
	buffer_load_dword v56, off, s[0:3], 0 offset:156
	buffer_load_dword v57, off, s[0:3], 0 offset:164
	buffer_load_dword v58, off, s[0:3], 0 offset:172
	buffer_load_dword v59, off, s[0:3], 0 offset:144
	buffer_load_dword v60, off, s[0:3], 0 offset:152
	buffer_load_dword v61, off, s[0:3], 0 offset:160
	buffer_load_dword v62, off, s[0:3], 0 offset:168
	buffer_load_dword v63, off, s[0:3], 0 offset:136
	buffer_load_dword v64, off, s[0:3], 0 offset:140
	ds_read_b128 v[47:50], v46 offset:320
	ds_read_b128 v[51:54], v46 offset:336
	v_cmp_lt_u32_e32 vcc, 16, v0
	s_waitcnt vmcnt(9) lgkmcnt(1)
	v_mul_f32_e32 v46, v47, v55
	v_mul_f32_e32 v55, v48, v55
	s_waitcnt vmcnt(8)
	v_mul_f32_e32 v65, v49, v56
	v_mul_f32_e32 v56, v50, v56
	s_waitcnt vmcnt(5)
	v_fma_f32 v47, v47, v59, -v55
	s_waitcnt lgkmcnt(0)
	v_mul_f32_e32 v66, v51, v57
	v_mul_f32_e32 v57, v52, v57
	v_fmac_f32_e32 v46, v48, v59
	s_waitcnt vmcnt(4)
	v_fma_f32 v48, v49, v60, -v56
	v_add_f32_e32 v47, 0, v47
	v_mul_f32_e32 v67, v53, v58
	v_mul_f32_e32 v58, v54, v58
	v_fmac_f32_e32 v65, v50, v60
	s_waitcnt vmcnt(3)
	v_fma_f32 v49, v51, v61, -v57
	v_add_f32_e32 v46, 0, v46
	v_add_f32_e32 v47, v47, v48
	v_fmac_f32_e32 v66, v52, v61
	s_waitcnt vmcnt(2)
	v_fma_f32 v50, v53, v62, -v58
	v_add_f32_e32 v46, v46, v65
	v_add_f32_e32 v47, v47, v49
	v_fmac_f32_e32 v67, v54, v62
	v_add_f32_e32 v46, v46, v66
	v_add_f32_e32 v47, v47, v50
	;; [unrolled: 1-line block ×3, first 2 shown]
	s_waitcnt vmcnt(1)
	v_sub_f32_e32 v47, v63, v47
	s_waitcnt vmcnt(0)
	v_sub_f32_e32 v46, v64, v46
	buffer_store_dword v47, off, s[0:3], 0 offset:136
	buffer_store_dword v46, off, s[0:3], 0 offset:140
	s_and_saveexec_b64 s[4:5], vcc
	s_cbranch_execz .LBB21_113
; %bb.112:
	buffer_load_dword v46, off, s[0:3], 0 offset:128
	buffer_load_dword v47, off, s[0:3], 0 offset:132
	v_mov_b32_e32 v48, 0
	buffer_store_dword v48, off, s[0:3], 0 offset:128
	buffer_store_dword v48, off, s[0:3], 0 offset:132
	s_waitcnt vmcnt(2)
	ds_write_b64 v45, v[46:47]
.LBB21_113:
	s_or_b64 exec, exec, s[4:5]
	s_waitcnt lgkmcnt(0)
	; wave barrier
	buffer_load_dword v57, off, s[0:3], 0 offset:140
	buffer_load_dword v58, off, s[0:3], 0 offset:148
	;; [unrolled: 1-line block ×12, first 2 shown]
	v_mov_b32_e32 v46, 0
	ds_read2_b64 v[47:50], v46 offset0:39 offset1:40
	ds_read2_b64 v[51:54], v46 offset0:41 offset1:42
	ds_read_b64 v[55:56], v46 offset:344
	v_cmp_lt_u32_e32 vcc, 15, v0
	s_waitcnt vmcnt(11) lgkmcnt(2)
	v_mul_f32_e32 v69, v47, v57
	v_mul_f32_e32 v57, v48, v57
	s_waitcnt vmcnt(10)
	v_mul_f32_e32 v70, v49, v58
	v_mul_f32_e32 v58, v50, v58
	s_waitcnt vmcnt(9) lgkmcnt(1)
	v_mul_f32_e32 v71, v51, v59
	s_waitcnt vmcnt(6)
	v_fma_f32 v47, v47, v62, -v57
	v_mul_f32_e32 v59, v52, v59
	v_fmac_f32_e32 v69, v48, v62
	s_waitcnt vmcnt(5)
	v_fma_f32 v48, v49, v63, -v58
	v_add_f32_e32 v47, 0, v47
	v_mul_f32_e32 v72, v53, v60
	v_mul_f32_e32 v60, v54, v60
	v_fmac_f32_e32 v70, v50, v63
	s_waitcnt vmcnt(4)
	v_fmac_f32_e32 v71, v52, v64
	v_fma_f32 v49, v51, v64, -v59
	v_add_f32_e32 v52, 0, v69
	v_add_f32_e32 v47, v47, v48
	s_waitcnt lgkmcnt(0)
	v_mul_f32_e32 v73, v55, v61
	v_mul_f32_e32 v61, v56, v61
	s_waitcnt vmcnt(3)
	v_fma_f32 v50, v53, v65, -v60
	v_add_f32_e32 v52, v52, v70
	v_add_f32_e32 v47, v47, v49
	v_fmac_f32_e32 v72, v54, v65
	s_waitcnt vmcnt(2)
	v_fma_f32 v51, v55, v66, -v61
	v_add_f32_e32 v48, v52, v71
	v_add_f32_e32 v47, v47, v50
	v_fmac_f32_e32 v73, v56, v66
	v_add_f32_e32 v48, v48, v72
	v_add_f32_e32 v47, v47, v51
	;; [unrolled: 1-line block ×3, first 2 shown]
	s_waitcnt vmcnt(1)
	v_sub_f32_e32 v47, v67, v47
	s_waitcnt vmcnt(0)
	v_sub_f32_e32 v48, v68, v48
	buffer_store_dword v47, off, s[0:3], 0 offset:128
	buffer_store_dword v48, off, s[0:3], 0 offset:132
	s_and_saveexec_b64 s[4:5], vcc
	s_cbranch_execz .LBB21_115
; %bb.114:
	buffer_load_dword v47, off, s[0:3], 0 offset:120
	buffer_load_dword v48, off, s[0:3], 0 offset:124
	s_waitcnt vmcnt(0)
	ds_write_b64 v45, v[47:48]
	buffer_store_dword v46, off, s[0:3], 0 offset:120
	buffer_store_dword v46, off, s[0:3], 0 offset:124
.LBB21_115:
	s_or_b64 exec, exec, s[4:5]
	s_waitcnt lgkmcnt(0)
	; wave barrier
	buffer_load_dword v59, off, s[0:3], 0 offset:132
	buffer_load_dword v60, off, s[0:3], 0 offset:140
	buffer_load_dword v61, off, s[0:3], 0 offset:148
	buffer_load_dword v62, off, s[0:3], 0 offset:156
	buffer_load_dword v63, off, s[0:3], 0 offset:164
	buffer_load_dword v64, off, s[0:3], 0 offset:172
	buffer_load_dword v65, off, s[0:3], 0 offset:128
	buffer_load_dword v66, off, s[0:3], 0 offset:136
	buffer_load_dword v67, off, s[0:3], 0 offset:144
	buffer_load_dword v68, off, s[0:3], 0 offset:152
	buffer_load_dword v69, off, s[0:3], 0 offset:160
	buffer_load_dword v70, off, s[0:3], 0 offset:168
	buffer_load_dword v71, off, s[0:3], 0 offset:120
	buffer_load_dword v72, off, s[0:3], 0 offset:124
	ds_read_b128 v[47:50], v46 offset:304
	ds_read_b128 v[51:54], v46 offset:320
	;; [unrolled: 1-line block ×3, first 2 shown]
	v_cmp_lt_u32_e32 vcc, 14, v0
	s_waitcnt vmcnt(13) lgkmcnt(2)
	v_mul_f32_e32 v46, v47, v59
	v_mul_f32_e32 v59, v48, v59
	s_waitcnt vmcnt(12)
	v_mul_f32_e32 v73, v49, v60
	v_mul_f32_e32 v60, v50, v60
	s_waitcnt vmcnt(11) lgkmcnt(1)
	v_mul_f32_e32 v74, v51, v61
	v_mul_f32_e32 v61, v52, v61
	s_waitcnt vmcnt(7)
	v_fma_f32 v47, v47, v65, -v59
	v_fmac_f32_e32 v46, v48, v65
	s_waitcnt vmcnt(6)
	v_fma_f32 v48, v49, v66, -v60
	v_add_f32_e32 v47, 0, v47
	v_mul_f32_e32 v75, v53, v62
	v_mul_f32_e32 v62, v54, v62
	v_fmac_f32_e32 v73, v50, v66
	s_waitcnt vmcnt(5)
	v_fma_f32 v49, v51, v67, -v61
	v_add_f32_e32 v46, 0, v46
	v_add_f32_e32 v47, v47, v48
	s_waitcnt lgkmcnt(0)
	v_mul_f32_e32 v76, v55, v63
	v_mul_f32_e32 v63, v56, v63
	v_fmac_f32_e32 v74, v52, v67
	s_waitcnt vmcnt(4)
	v_fma_f32 v50, v53, v68, -v62
	v_add_f32_e32 v46, v46, v73
	v_add_f32_e32 v47, v47, v49
	v_mul_f32_e32 v77, v57, v64
	v_mul_f32_e32 v64, v58, v64
	v_fmac_f32_e32 v75, v54, v68
	s_waitcnt vmcnt(3)
	v_fma_f32 v51, v55, v69, -v63
	v_add_f32_e32 v46, v46, v74
	v_add_f32_e32 v47, v47, v50
	v_fmac_f32_e32 v76, v56, v69
	s_waitcnt vmcnt(2)
	v_fma_f32 v52, v57, v70, -v64
	v_add_f32_e32 v46, v46, v75
	v_add_f32_e32 v47, v47, v51
	v_fmac_f32_e32 v77, v58, v70
	v_add_f32_e32 v46, v46, v76
	v_add_f32_e32 v47, v47, v52
	;; [unrolled: 1-line block ×3, first 2 shown]
	s_waitcnt vmcnt(1)
	v_sub_f32_e32 v47, v71, v47
	s_waitcnt vmcnt(0)
	v_sub_f32_e32 v46, v72, v46
	buffer_store_dword v47, off, s[0:3], 0 offset:120
	buffer_store_dword v46, off, s[0:3], 0 offset:124
	s_and_saveexec_b64 s[4:5], vcc
	s_cbranch_execz .LBB21_117
; %bb.116:
	buffer_load_dword v46, off, s[0:3], 0 offset:112
	buffer_load_dword v47, off, s[0:3], 0 offset:116
	v_mov_b32_e32 v48, 0
	buffer_store_dword v48, off, s[0:3], 0 offset:112
	buffer_store_dword v48, off, s[0:3], 0 offset:116
	s_waitcnt vmcnt(2)
	ds_write_b64 v45, v[46:47]
.LBB21_117:
	s_or_b64 exec, exec, s[4:5]
	v_mov_b32_e32 v46, 0
	s_waitcnt lgkmcnt(0)
	; wave barrier
	ds_read2_b64 v[47:50], v46 offset0:37 offset1:38
	buffer_load_dword v61, off, s[0:3], 0 offset:112
	buffer_load_dword v62, off, s[0:3], 0 offset:116
	;; [unrolled: 1-line block ×16, first 2 shown]
	v_cmp_lt_u32_e32 vcc, 13, v0
	s_waitcnt vmcnt(12) lgkmcnt(0)
	v_mul_f32_e32 v51, v47, v64
	v_fmac_f32_e32 v51, v48, v63
	s_waitcnt vmcnt(10)
	v_mul_f32_e32 v52, v49, v66
	v_add_f32_e32 v51, 0, v51
	v_fmac_f32_e32 v52, v50, v65
	v_add_f32_e32 v55, v51, v52
	ds_read2_b64 v[51:54], v46 offset0:39 offset1:40
	v_mul_f32_e32 v48, v48, v64
	v_fma_f32 v47, v47, v63, -v48
	v_mul_f32_e32 v48, v50, v66
	v_add_f32_e32 v47, 0, v47
	s_waitcnt vmcnt(8) lgkmcnt(0)
	v_mul_f32_e32 v56, v51, v68
	v_fmac_f32_e32 v56, v52, v67
	v_add_f32_e32 v55, v55, v56
	s_waitcnt vmcnt(6)
	v_mul_f32_e32 v56, v53, v70
	v_fmac_f32_e32 v56, v54, v69
	v_add_f32_e32 v59, v55, v56
	ds_read2_b64 v[55:58], v46 offset0:41 offset1:42
	v_fma_f32 v48, v49, v65, -v48
	v_add_f32_e32 v47, v47, v48
	v_mul_f32_e32 v48, v52, v68
	v_fma_f32 v48, v51, v67, -v48
	s_waitcnt vmcnt(4) lgkmcnt(0)
	v_mul_f32_e32 v60, v55, v72
	v_fmac_f32_e32 v60, v56, v71
	v_add_f32_e32 v59, v59, v60
	s_waitcnt vmcnt(2)
	v_mul_f32_e32 v60, v57, v74
	v_fmac_f32_e32 v60, v58, v73
	v_add_f32_e32 v47, v47, v48
	v_mul_f32_e32 v48, v54, v70
	v_add_f32_e32 v77, v59, v60
	ds_read_b64 v[59:60], v46 offset:344
	v_fma_f32 v48, v53, v69, -v48
	v_add_f32_e32 v47, v47, v48
	v_mul_f32_e32 v48, v56, v72
	v_fma_f32 v48, v55, v71, -v48
	v_add_f32_e32 v47, v47, v48
	v_mul_f32_e32 v48, v58, v74
	v_fma_f32 v48, v57, v73, -v48
	v_add_f32_e32 v47, v47, v48
	s_waitcnt vmcnt(0) lgkmcnt(0)
	v_mul_f32_e32 v48, v60, v76
	v_mul_f32_e32 v78, v59, v76
	v_fma_f32 v48, v59, v75, -v48
	v_fmac_f32_e32 v78, v60, v75
	v_add_f32_e32 v47, v47, v48
	v_add_f32_e32 v77, v77, v78
	v_sub_f32_e32 v47, v61, v47
	v_sub_f32_e32 v48, v62, v77
	buffer_store_dword v47, off, s[0:3], 0 offset:112
	buffer_store_dword v48, off, s[0:3], 0 offset:116
	s_and_saveexec_b64 s[4:5], vcc
	s_cbranch_execz .LBB21_119
; %bb.118:
	buffer_load_dword v47, off, s[0:3], 0 offset:104
	buffer_load_dword v48, off, s[0:3], 0 offset:108
	s_waitcnt vmcnt(0)
	ds_write_b64 v45, v[47:48]
	buffer_store_dword v46, off, s[0:3], 0 offset:104
	buffer_store_dword v46, off, s[0:3], 0 offset:108
.LBB21_119:
	s_or_b64 exec, exec, s[4:5]
	s_waitcnt lgkmcnt(0)
	; wave barrier
	ds_read_b128 v[47:50], v46 offset:288
	ds_read_b128 v[51:54], v46 offset:304
	ds_read_b128 v[55:58], v46 offset:320
	ds_read_b128 v[59:62], v46 offset:336
	buffer_load_dword v46, off, s[0:3], 0 offset:104
	buffer_load_dword v63, off, s[0:3], 0 offset:108
	;; [unrolled: 1-line block ×16, first 2 shown]
	v_cmp_lt_u32_e32 vcc, 12, v0
	s_waitcnt vmcnt(12) lgkmcnt(3)
	v_mul_f32_e32 v78, v47, v65
	v_fmac_f32_e32 v78, v48, v64
	s_waitcnt vmcnt(10)
	v_mul_f32_e32 v79, v49, v67
	v_add_f32_e32 v78, 0, v78
	v_fmac_f32_e32 v79, v50, v66
	v_add_f32_e32 v78, v78, v79
	s_waitcnt vmcnt(8) lgkmcnt(2)
	v_mul_f32_e32 v79, v51, v69
	v_fmac_f32_e32 v79, v52, v68
	v_add_f32_e32 v78, v78, v79
	s_waitcnt vmcnt(6)
	v_mul_f32_e32 v79, v53, v71
	v_fmac_f32_e32 v79, v54, v70
	v_add_f32_e32 v78, v78, v79
	s_waitcnt vmcnt(4) lgkmcnt(1)
	v_mul_f32_e32 v79, v55, v73
	v_fmac_f32_e32 v79, v56, v72
	v_add_f32_e32 v78, v78, v79
	s_waitcnt vmcnt(2)
	v_mul_f32_e32 v79, v57, v75
	v_fmac_f32_e32 v79, v58, v74
	v_add_f32_e32 v78, v78, v79
	s_waitcnt vmcnt(0) lgkmcnt(0)
	v_mul_f32_e32 v79, v59, v77
	v_fmac_f32_e32 v79, v60, v76
	v_add_f32_e32 v78, v78, v79
	buffer_load_dword v79, off, s[0:3], 0 offset:168
	buffer_load_dword v80, off, s[0:3], 0 offset:172
	v_mul_f32_e32 v48, v48, v65
	v_fma_f32 v47, v47, v64, -v48
	v_mul_f32_e32 v48, v50, v67
	v_add_f32_e32 v47, 0, v47
	v_fma_f32 v48, v49, v66, -v48
	v_add_f32_e32 v47, v47, v48
	v_mul_f32_e32 v48, v52, v69
	v_fma_f32 v48, v51, v68, -v48
	v_add_f32_e32 v47, v47, v48
	v_mul_f32_e32 v48, v54, v71
	;; [unrolled: 3-line block ×5, first 2 shown]
	v_fma_f32 v48, v59, v76, -v48
	v_add_f32_e32 v47, v47, v48
	s_waitcnt vmcnt(0)
	v_mul_f32_e32 v48, v62, v80
	v_mul_f32_e32 v81, v61, v80
	v_fma_f32 v48, v61, v79, -v48
	v_fmac_f32_e32 v81, v62, v79
	v_add_f32_e32 v47, v47, v48
	v_add_f32_e32 v78, v78, v81
	v_sub_f32_e32 v46, v46, v47
	v_sub_f32_e32 v47, v63, v78
	buffer_store_dword v46, off, s[0:3], 0 offset:104
	buffer_store_dword v47, off, s[0:3], 0 offset:108
	s_and_saveexec_b64 s[4:5], vcc
	s_cbranch_execz .LBB21_121
; %bb.120:
	buffer_load_dword v46, off, s[0:3], 0 offset:96
	buffer_load_dword v47, off, s[0:3], 0 offset:100
	v_mov_b32_e32 v48, 0
	buffer_store_dword v48, off, s[0:3], 0 offset:96
	buffer_store_dword v48, off, s[0:3], 0 offset:100
	s_waitcnt vmcnt(2)
	ds_write_b64 v45, v[46:47]
.LBB21_121:
	s_or_b64 exec, exec, s[4:5]
	s_waitcnt lgkmcnt(0)
	; wave barrier
	buffer_load_dword v65, off, s[0:3], 0 offset:108
	buffer_load_dword v66, off, s[0:3], 0 offset:116
	;; [unrolled: 1-line block ×20, first 2 shown]
	v_mov_b32_e32 v46, 0
	ds_read2_b64 v[47:50], v46 offset0:35 offset1:36
	ds_read2_b64 v[51:54], v46 offset0:37 offset1:38
	;; [unrolled: 1-line block ×4, first 2 shown]
	ds_read_b64 v[63:64], v46 offset:344
	v_cmp_lt_u32_e32 vcc, 11, v0
	s_waitcnt vmcnt(19) lgkmcnt(4)
	v_mul_f32_e32 v85, v47, v65
	v_mul_f32_e32 v65, v48, v65
	s_waitcnt vmcnt(18)
	v_mul_f32_e32 v86, v49, v66
	v_mul_f32_e32 v66, v50, v66
	s_waitcnt vmcnt(17) lgkmcnt(3)
	v_mul_f32_e32 v87, v51, v67
	s_waitcnt vmcnt(15) lgkmcnt(2)
	v_mul_f32_e32 v89, v55, v69
	v_mul_f32_e32 v67, v52, v67
	;; [unrolled: 1-line block ×4, first 2 shown]
	s_waitcnt vmcnt(10)
	v_fma_f32 v47, v47, v74, -v65
	v_fmac_f32_e32 v85, v48, v74
	s_waitcnt vmcnt(9)
	v_fma_f32 v48, v49, v75, -v66
	v_add_f32_e32 v47, 0, v47
	v_mul_f32_e32 v69, v56, v69
	v_fmac_f32_e32 v86, v50, v75
	s_waitcnt vmcnt(6)
	v_fmac_f32_e32 v89, v56, v78
	v_fma_f32 v49, v51, v76, -v67
	v_add_f32_e32 v56, 0, v85
	v_add_f32_e32 v47, v47, v48
	v_fmac_f32_e32 v87, v52, v76
	v_fma_f32 v50, v53, v77, -v68
	v_add_f32_e32 v56, v56, v86
	v_add_f32_e32 v47, v47, v49
	v_mul_f32_e32 v90, v57, v70
	v_mul_f32_e32 v70, v58, v70
	v_fmac_f32_e32 v88, v54, v77
	v_fma_f32 v51, v55, v78, -v69
	v_add_f32_e32 v48, v56, v87
	v_add_f32_e32 v47, v47, v50
	s_waitcnt lgkmcnt(1)
	v_mul_f32_e32 v91, v59, v71
	v_mul_f32_e32 v71, v60, v71
	s_waitcnt vmcnt(5)
	v_fma_f32 v52, v57, v79, -v70
	v_add_f32_e32 v48, v48, v88
	v_add_f32_e32 v47, v47, v51
	v_mul_f32_e32 v92, v61, v72
	v_mul_f32_e32 v72, v62, v72
	v_fmac_f32_e32 v90, v58, v79
	s_waitcnt vmcnt(4)
	v_fma_f32 v53, v59, v80, -v71
	v_add_f32_e32 v48, v48, v89
	v_add_f32_e32 v47, v47, v52
	s_waitcnt lgkmcnt(0)
	v_mul_f32_e32 v93, v63, v73
	v_mul_f32_e32 v73, v64, v73
	v_fmac_f32_e32 v91, v60, v80
	s_waitcnt vmcnt(3)
	v_fma_f32 v54, v61, v81, -v72
	v_add_f32_e32 v48, v48, v90
	v_add_f32_e32 v47, v47, v53
	v_fmac_f32_e32 v92, v62, v81
	s_waitcnt vmcnt(2)
	v_fma_f32 v55, v63, v82, -v73
	v_add_f32_e32 v48, v48, v91
	v_add_f32_e32 v47, v47, v54
	v_fmac_f32_e32 v93, v64, v82
	v_add_f32_e32 v48, v48, v92
	v_add_f32_e32 v47, v47, v55
	;; [unrolled: 1-line block ×3, first 2 shown]
	s_waitcnt vmcnt(1)
	v_sub_f32_e32 v47, v83, v47
	s_waitcnt vmcnt(0)
	v_sub_f32_e32 v48, v84, v48
	buffer_store_dword v47, off, s[0:3], 0 offset:96
	buffer_store_dword v48, off, s[0:3], 0 offset:100
	s_and_saveexec_b64 s[4:5], vcc
	s_cbranch_execz .LBB21_123
; %bb.122:
	buffer_load_dword v47, off, s[0:3], 0 offset:88
	buffer_load_dword v48, off, s[0:3], 0 offset:92
	s_waitcnt vmcnt(0)
	ds_write_b64 v45, v[47:48]
	buffer_store_dword v46, off, s[0:3], 0 offset:88
	buffer_store_dword v46, off, s[0:3], 0 offset:92
.LBB21_123:
	s_or_b64 exec, exec, s[4:5]
	s_waitcnt lgkmcnt(0)
	; wave barrier
	buffer_load_dword v67, off, s[0:3], 0 offset:100
	buffer_load_dword v68, off, s[0:3], 0 offset:108
	;; [unrolled: 1-line block ×22, first 2 shown]
	ds_read_b128 v[47:50], v46 offset:272
	ds_read_b128 v[51:54], v46 offset:288
	;; [unrolled: 1-line block ×5, first 2 shown]
	v_cmp_lt_u32_e32 vcc, 10, v0
	s_waitcnt vmcnt(21) lgkmcnt(4)
	v_mul_f32_e32 v46, v47, v67
	v_mul_f32_e32 v67, v48, v67
	s_waitcnt vmcnt(20)
	v_mul_f32_e32 v89, v49, v68
	v_mul_f32_e32 v68, v50, v68
	s_waitcnt vmcnt(19) lgkmcnt(3)
	v_mul_f32_e32 v90, v51, v69
	v_mul_f32_e32 v69, v52, v69
	s_waitcnt vmcnt(18)
	v_mul_f32_e32 v91, v53, v70
	v_mul_f32_e32 v70, v54, v70
	s_waitcnt vmcnt(17) lgkmcnt(2)
	v_mul_f32_e32 v92, v55, v71
	v_mul_f32_e32 v71, v56, v71
	s_waitcnt vmcnt(11)
	v_fma_f32 v47, v47, v77, -v67
	v_fmac_f32_e32 v46, v48, v77
	s_waitcnt vmcnt(10)
	v_fma_f32 v48, v49, v78, -v68
	v_add_f32_e32 v47, 0, v47
	v_fmac_f32_e32 v89, v50, v78
	s_waitcnt vmcnt(9)
	v_fma_f32 v49, v51, v79, -v69
	v_add_f32_e32 v46, 0, v46
	v_add_f32_e32 v47, v47, v48
	v_fmac_f32_e32 v90, v52, v79
	s_waitcnt vmcnt(8)
	v_fma_f32 v50, v53, v80, -v70
	v_add_f32_e32 v46, v46, v89
	v_add_f32_e32 v47, v47, v49
	v_mul_f32_e32 v93, v57, v72
	v_mul_f32_e32 v72, v58, v72
	v_fmac_f32_e32 v91, v54, v80
	s_waitcnt vmcnt(7)
	v_fma_f32 v51, v55, v81, -v71
	v_add_f32_e32 v46, v46, v90
	v_add_f32_e32 v47, v47, v50
	s_waitcnt lgkmcnt(1)
	v_mul_f32_e32 v94, v59, v73
	v_mul_f32_e32 v73, v60, v73
	v_fmac_f32_e32 v92, v56, v81
	s_waitcnt vmcnt(6)
	v_fma_f32 v52, v57, v82, -v72
	v_add_f32_e32 v46, v46, v91
	v_add_f32_e32 v47, v47, v51
	v_mul_f32_e32 v95, v61, v74
	v_mul_f32_e32 v74, v62, v74
	v_fmac_f32_e32 v93, v58, v82
	s_waitcnt vmcnt(5)
	v_fma_f32 v53, v59, v83, -v73
	v_add_f32_e32 v46, v46, v92
	v_add_f32_e32 v47, v47, v52
	s_waitcnt lgkmcnt(0)
	v_mul_f32_e32 v96, v63, v75
	v_mul_f32_e32 v75, v64, v75
	v_fmac_f32_e32 v94, v60, v83
	s_waitcnt vmcnt(4)
	v_fma_f32 v54, v61, v84, -v74
	v_add_f32_e32 v46, v46, v93
	v_add_f32_e32 v47, v47, v53
	v_mul_f32_e32 v97, v65, v76
	v_mul_f32_e32 v76, v66, v76
	v_fmac_f32_e32 v95, v62, v84
	s_waitcnt vmcnt(3)
	v_fma_f32 v55, v63, v85, -v75
	v_add_f32_e32 v46, v46, v94
	v_add_f32_e32 v47, v47, v54
	v_fmac_f32_e32 v96, v64, v85
	s_waitcnt vmcnt(2)
	v_fma_f32 v56, v65, v86, -v76
	v_add_f32_e32 v46, v46, v95
	v_add_f32_e32 v47, v47, v55
	v_fmac_f32_e32 v97, v66, v86
	v_add_f32_e32 v46, v46, v96
	v_add_f32_e32 v47, v47, v56
	;; [unrolled: 1-line block ×3, first 2 shown]
	s_waitcnt vmcnt(1)
	v_sub_f32_e32 v47, v87, v47
	s_waitcnt vmcnt(0)
	v_sub_f32_e32 v46, v88, v46
	buffer_store_dword v47, off, s[0:3], 0 offset:88
	buffer_store_dword v46, off, s[0:3], 0 offset:92
	s_and_saveexec_b64 s[4:5], vcc
	s_cbranch_execz .LBB21_125
; %bb.124:
	buffer_load_dword v46, off, s[0:3], 0 offset:80
	buffer_load_dword v47, off, s[0:3], 0 offset:84
	v_mov_b32_e32 v48, 0
	buffer_store_dword v48, off, s[0:3], 0 offset:80
	buffer_store_dword v48, off, s[0:3], 0 offset:84
	s_waitcnt vmcnt(2)
	ds_write_b64 v45, v[46:47]
.LBB21_125:
	s_or_b64 exec, exec, s[4:5]
	s_waitcnt lgkmcnt(0)
	; wave barrier
	buffer_load_dword v69, off, s[0:3], 0 offset:92
	buffer_load_dword v70, off, s[0:3], 0 offset:100
	;; [unrolled: 1-line block ×24, first 2 shown]
	v_mov_b32_e32 v46, 0
	ds_read2_b64 v[47:50], v46 offset0:33 offset1:34
	ds_read2_b64 v[51:54], v46 offset0:35 offset1:36
	;; [unrolled: 1-line block ×5, first 2 shown]
	ds_read_b64 v[67:68], v46 offset:344
	v_cmp_lt_u32_e32 vcc, 9, v0
	s_waitcnt vmcnt(23) lgkmcnt(5)
	v_mul_f32_e32 v93, v47, v69
	v_mul_f32_e32 v69, v48, v69
	s_waitcnt vmcnt(22)
	v_mul_f32_e32 v94, v49, v70
	v_mul_f32_e32 v70, v50, v70
	s_waitcnt vmcnt(21) lgkmcnt(4)
	v_mul_f32_e32 v95, v51, v71
	v_mul_f32_e32 v71, v52, v71
	s_waitcnt vmcnt(20)
	v_mul_f32_e32 v96, v53, v72
	s_waitcnt vmcnt(19) lgkmcnt(3)
	v_mul_f32_e32 v97, v55, v73
	v_mul_f32_e32 v72, v54, v72
	v_mul_f32_e32 v73, v56, v73
	s_waitcnt vmcnt(18)
	v_mul_f32_e32 v98, v57, v74
	s_waitcnt vmcnt(12)
	v_fma_f32 v47, v47, v80, -v69
	v_fmac_f32_e32 v93, v48, v80
	s_waitcnt vmcnt(11)
	v_fma_f32 v48, v49, v81, -v70
	v_add_f32_e32 v47, 0, v47
	s_waitcnt vmcnt(10)
	v_fma_f32 v49, v51, v82, -v71
	v_add_f32_e32 v47, v47, v48
	v_fmac_f32_e32 v94, v50, v81
	s_waitcnt vmcnt(8)
	v_fmac_f32_e32 v97, v56, v84
	v_fma_f32 v50, v53, v83, -v72
	v_add_f32_e32 v56, 0, v93
	v_add_f32_e32 v47, v47, v49
	v_mul_f32_e32 v74, v58, v74
	v_fmac_f32_e32 v95, v52, v82
	v_fma_f32 v51, v55, v84, -v73
	v_add_f32_e32 v56, v56, v94
	v_add_f32_e32 v47, v47, v50
	s_waitcnt lgkmcnt(2)
	v_mul_f32_e32 v99, v59, v75
	v_mul_f32_e32 v75, v60, v75
	v_fmac_f32_e32 v96, v54, v83
	s_waitcnt vmcnt(7)
	v_fma_f32 v52, v57, v85, -v74
	v_add_f32_e32 v48, v56, v95
	v_add_f32_e32 v47, v47, v51
	v_mul_f32_e32 v100, v61, v76
	v_mul_f32_e32 v76, v62, v76
	s_waitcnt vmcnt(6)
	v_fma_f32 v53, v59, v86, -v75
	v_add_f32_e32 v48, v48, v96
	v_add_f32_e32 v47, v47, v52
	s_waitcnt lgkmcnt(1)
	v_mul_f32_e32 v101, v63, v77
	v_mul_f32_e32 v77, v64, v77
	v_fmac_f32_e32 v98, v58, v85
	s_waitcnt vmcnt(5)
	v_fma_f32 v54, v61, v87, -v76
	v_add_f32_e32 v48, v48, v97
	v_add_f32_e32 v47, v47, v53
	v_fmac_f32_e32 v99, v60, v86
	s_waitcnt vmcnt(4)
	v_fma_f32 v55, v63, v88, -v77
	v_add_f32_e32 v48, v48, v98
	v_add_f32_e32 v47, v47, v54
	v_mul_f32_e32 v49, v66, v78
	v_fmac_f32_e32 v100, v62, v87
	v_add_f32_e32 v48, v48, v99
	v_add_f32_e32 v47, v47, v55
	s_waitcnt vmcnt(3)
	v_fma_f32 v49, v65, v89, -v49
	v_mul_f32_e32 v102, v65, v78
	v_fmac_f32_e32 v101, v64, v88
	v_add_f32_e32 v48, v48, v100
	v_add_f32_e32 v47, v47, v49
	s_waitcnt lgkmcnt(0)
	v_mul_f32_e32 v49, v68, v79
	v_mul_f32_e32 v103, v67, v79
	v_fmac_f32_e32 v102, v66, v89
	v_add_f32_e32 v48, v48, v101
	s_waitcnt vmcnt(2)
	v_fma_f32 v49, v67, v90, -v49
	v_fmac_f32_e32 v103, v68, v90
	v_add_f32_e32 v48, v48, v102
	v_add_f32_e32 v47, v47, v49
	;; [unrolled: 1-line block ×3, first 2 shown]
	s_waitcnt vmcnt(1)
	v_sub_f32_e32 v47, v91, v47
	s_waitcnt vmcnt(0)
	v_sub_f32_e32 v48, v92, v48
	buffer_store_dword v47, off, s[0:3], 0 offset:80
	buffer_store_dword v48, off, s[0:3], 0 offset:84
	s_and_saveexec_b64 s[4:5], vcc
	s_cbranch_execz .LBB21_127
; %bb.126:
	buffer_load_dword v47, off, s[0:3], 0 offset:72
	buffer_load_dword v48, off, s[0:3], 0 offset:76
	s_waitcnt vmcnt(0)
	ds_write_b64 v45, v[47:48]
	buffer_store_dword v46, off, s[0:3], 0 offset:72
	buffer_store_dword v46, off, s[0:3], 0 offset:76
.LBB21_127:
	s_or_b64 exec, exec, s[4:5]
	s_waitcnt lgkmcnt(0)
	; wave barrier
	buffer_load_dword v71, off, s[0:3], 0 offset:84
	buffer_load_dword v72, off, s[0:3], 0 offset:92
	;; [unrolled: 1-line block ×26, first 2 shown]
	ds_read_b128 v[47:50], v46 offset:256
	ds_read_b128 v[51:54], v46 offset:272
	;; [unrolled: 1-line block ×6, first 2 shown]
	v_cmp_lt_u32_e32 vcc, 8, v0
	s_waitcnt vmcnt(25) lgkmcnt(5)
	v_mul_f32_e32 v46, v47, v71
	v_mul_f32_e32 v71, v48, v71
	s_waitcnt vmcnt(24)
	v_mul_f32_e32 v97, v49, v72
	v_mul_f32_e32 v72, v50, v72
	s_waitcnt vmcnt(23) lgkmcnt(4)
	v_mul_f32_e32 v98, v51, v73
	v_mul_f32_e32 v73, v52, v73
	s_waitcnt vmcnt(22)
	v_mul_f32_e32 v99, v53, v74
	v_mul_f32_e32 v74, v54, v74
	s_waitcnt vmcnt(21) lgkmcnt(3)
	v_mul_f32_e32 v100, v55, v75
	v_mul_f32_e32 v75, v56, v75
	s_waitcnt vmcnt(20)
	v_mul_f32_e32 v101, v57, v76
	v_mul_f32_e32 v76, v58, v76
	s_waitcnt vmcnt(13)
	v_fma_f32 v47, v47, v83, -v71
	v_fmac_f32_e32 v46, v48, v83
	s_waitcnt vmcnt(12)
	v_fma_f32 v48, v49, v84, -v72
	v_add_f32_e32 v47, 0, v47
	s_waitcnt vmcnt(11)
	v_fma_f32 v49, v51, v85, -v73
	v_add_f32_e32 v47, v47, v48
	v_fmac_f32_e32 v97, v50, v84
	s_waitcnt vmcnt(10)
	v_fma_f32 v50, v53, v86, -v74
	v_add_f32_e32 v47, v47, v49
	s_waitcnt vmcnt(9)
	v_fma_f32 v51, v55, v87, -v75
	v_add_f32_e32 v47, v47, v50
	s_waitcnt lgkmcnt(2)
	v_mul_f32_e32 v102, v59, v77
	v_mul_f32_e32 v77, v60, v77
	v_fmac_f32_e32 v98, v52, v85
	s_waitcnt vmcnt(8)
	v_fma_f32 v52, v57, v88, -v76
	v_add_f32_e32 v46, 0, v46
	v_add_f32_e32 v47, v47, v51
	v_mul_f32_e32 v103, v61, v78
	v_mul_f32_e32 v78, v62, v78
	s_waitcnt vmcnt(7)
	v_fma_f32 v53, v59, v89, -v77
	v_add_f32_e32 v46, v46, v97
	v_add_f32_e32 v47, v47, v52
	v_fmac_f32_e32 v99, v54, v86
	s_waitcnt vmcnt(6)
	v_fma_f32 v54, v61, v90, -v78
	v_add_f32_e32 v46, v46, v98
	v_add_f32_e32 v47, v47, v53
	s_waitcnt lgkmcnt(1)
	v_mul_f32_e32 v48, v64, v79
	v_fmac_f32_e32 v100, v56, v87
	v_add_f32_e32 v46, v46, v99
	v_add_f32_e32 v47, v47, v54
	s_waitcnt vmcnt(5)
	v_fma_f32 v48, v63, v91, -v48
	v_fmac_f32_e32 v101, v58, v88
	v_add_f32_e32 v46, v46, v100
	v_add_f32_e32 v47, v47, v48
	v_mul_f32_e32 v48, v66, v80
	v_fmac_f32_e32 v102, v60, v89
	v_add_f32_e32 v46, v46, v101
	s_waitcnt vmcnt(4)
	v_fma_f32 v48, v65, v92, -v48
	v_mul_f32_e32 v104, v63, v79
	v_fmac_f32_e32 v103, v62, v90
	v_add_f32_e32 v46, v46, v102
	v_add_f32_e32 v47, v47, v48
	s_waitcnt lgkmcnt(0)
	v_mul_f32_e32 v48, v68, v81
	v_mul_f32_e32 v105, v65, v80
	v_fmac_f32_e32 v104, v64, v91
	v_add_f32_e32 v46, v46, v103
	s_waitcnt vmcnt(3)
	v_fma_f32 v48, v67, v93, -v48
	v_mul_f32_e32 v106, v67, v81
	v_fmac_f32_e32 v105, v66, v92
	v_add_f32_e32 v46, v46, v104
	v_add_f32_e32 v47, v47, v48
	v_mul_f32_e32 v48, v70, v82
	v_mul_f32_e32 v107, v69, v82
	v_fmac_f32_e32 v106, v68, v93
	v_add_f32_e32 v46, v46, v105
	s_waitcnt vmcnt(2)
	v_fma_f32 v48, v69, v94, -v48
	v_fmac_f32_e32 v107, v70, v94
	v_add_f32_e32 v46, v46, v106
	v_add_f32_e32 v47, v47, v48
	;; [unrolled: 1-line block ×3, first 2 shown]
	s_waitcnt vmcnt(1)
	v_sub_f32_e32 v47, v95, v47
	s_waitcnt vmcnt(0)
	v_sub_f32_e32 v46, v96, v46
	buffer_store_dword v47, off, s[0:3], 0 offset:72
	buffer_store_dword v46, off, s[0:3], 0 offset:76
	s_and_saveexec_b64 s[4:5], vcc
	s_cbranch_execz .LBB21_129
; %bb.128:
	buffer_load_dword v46, off, s[0:3], 0 offset:64
	buffer_load_dword v47, off, s[0:3], 0 offset:68
	v_mov_b32_e32 v48, 0
	buffer_store_dword v48, off, s[0:3], 0 offset:64
	buffer_store_dword v48, off, s[0:3], 0 offset:68
	s_waitcnt vmcnt(2)
	ds_write_b64 v45, v[46:47]
.LBB21_129:
	s_or_b64 exec, exec, s[4:5]
	s_waitcnt lgkmcnt(0)
	; wave barrier
	buffer_load_dword v73, off, s[0:3], 0 offset:76
	buffer_load_dword v74, off, s[0:3], 0 offset:84
	;; [unrolled: 1-line block ×28, first 2 shown]
	v_mov_b32_e32 v46, 0
	ds_read2_b64 v[47:50], v46 offset0:31 offset1:32
	ds_read2_b64 v[51:54], v46 offset0:33 offset1:34
	;; [unrolled: 1-line block ×6, first 2 shown]
	ds_read_b64 v[71:72], v46 offset:344
	v_cmp_lt_u32_e32 vcc, 7, v0
	s_waitcnt vmcnt(27) lgkmcnt(6)
	v_mul_f32_e32 v101, v47, v73
	v_mul_f32_e32 v73, v48, v73
	s_waitcnt vmcnt(26)
	v_mul_f32_e32 v102, v49, v74
	v_mul_f32_e32 v74, v50, v74
	s_waitcnt vmcnt(25) lgkmcnt(5)
	v_mul_f32_e32 v103, v51, v75
	v_mul_f32_e32 v75, v52, v75
	s_waitcnt vmcnt(24)
	v_mul_f32_e32 v104, v53, v76
	v_mul_f32_e32 v76, v54, v76
	;; [unrolled: 6-line block ×3, first 2 shown]
	s_waitcnt vmcnt(21) lgkmcnt(3)
	v_mul_f32_e32 v107, v59, v79
	s_waitcnt vmcnt(14)
	v_fma_f32 v47, v47, v86, -v73
	v_fmac_f32_e32 v101, v48, v86
	s_waitcnt vmcnt(13)
	v_fma_f32 v48, v49, v87, -v74
	v_add_f32_e32 v47, 0, v47
	s_waitcnt vmcnt(12)
	v_fma_f32 v49, v51, v88, -v75
	v_add_f32_e32 v47, v47, v48
	v_fmac_f32_e32 v102, v50, v87
	s_waitcnt vmcnt(11)
	v_fma_f32 v50, v53, v89, -v76
	v_add_f32_e32 v47, v47, v49
	s_waitcnt vmcnt(10)
	v_fma_f32 v51, v55, v90, -v77
	v_add_f32_e32 v47, v47, v50
	v_fmac_f32_e32 v103, v52, v88
	s_waitcnt vmcnt(9)
	v_fma_f32 v52, v57, v91, -v78
	v_add_f32_e32 v47, v47, v51
	v_mul_f32_e32 v49, v60, v79
	v_add_f32_e32 v47, v47, v52
	s_waitcnt vmcnt(8)
	v_fma_f32 v49, v59, v92, -v49
	v_add_f32_e32 v47, v47, v49
	v_mul_f32_e32 v49, v62, v80
	v_add_f32_e32 v53, 0, v101
	s_waitcnt vmcnt(7)
	v_fma_f32 v49, v61, v93, -v49
	v_add_f32_e32 v53, v53, v102
	v_add_f32_e32 v47, v47, v49
	s_waitcnt lgkmcnt(2)
	v_mul_f32_e32 v49, v64, v81
	v_fmac_f32_e32 v104, v54, v89
	v_add_f32_e32 v48, v53, v103
	s_waitcnt vmcnt(6)
	v_fma_f32 v49, v63, v94, -v49
	v_fmac_f32_e32 v105, v56, v90
	v_add_f32_e32 v48, v48, v104
	v_add_f32_e32 v47, v47, v49
	v_mul_f32_e32 v49, v66, v82
	v_fmac_f32_e32 v106, v58, v91
	v_add_f32_e32 v48, v48, v105
	s_waitcnt vmcnt(5)
	v_fma_f32 v49, v65, v95, -v49
	v_mul_f32_e32 v108, v61, v80
	v_fmac_f32_e32 v107, v60, v92
	v_add_f32_e32 v48, v48, v106
	v_add_f32_e32 v47, v47, v49
	s_waitcnt lgkmcnt(1)
	v_mul_f32_e32 v49, v68, v83
	v_mul_f32_e32 v109, v63, v81
	v_fmac_f32_e32 v108, v62, v93
	v_add_f32_e32 v48, v48, v107
	s_waitcnt vmcnt(4)
	v_fma_f32 v49, v67, v96, -v49
	v_mul_f32_e32 v110, v65, v82
	v_fmac_f32_e32 v109, v64, v94
	v_add_f32_e32 v48, v48, v108
	v_add_f32_e32 v47, v47, v49
	v_mul_f32_e32 v49, v70, v84
	v_mul_f32_e32 v111, v67, v83
	v_fmac_f32_e32 v110, v66, v95
	v_add_f32_e32 v48, v48, v109
	s_waitcnt vmcnt(3)
	v_fma_f32 v49, v69, v97, -v49
	v_mul_f32_e32 v112, v69, v84
	v_fmac_f32_e32 v111, v68, v96
	v_add_f32_e32 v48, v48, v110
	v_add_f32_e32 v47, v47, v49
	s_waitcnt lgkmcnt(0)
	v_mul_f32_e32 v49, v72, v85
	v_mul_f32_e32 v113, v71, v85
	v_fmac_f32_e32 v112, v70, v97
	v_add_f32_e32 v48, v48, v111
	s_waitcnt vmcnt(2)
	v_fma_f32 v49, v71, v98, -v49
	v_fmac_f32_e32 v113, v72, v98
	v_add_f32_e32 v48, v48, v112
	v_add_f32_e32 v47, v47, v49
	;; [unrolled: 1-line block ×3, first 2 shown]
	s_waitcnt vmcnt(1)
	v_sub_f32_e32 v47, v99, v47
	s_waitcnt vmcnt(0)
	v_sub_f32_e32 v48, v100, v48
	buffer_store_dword v47, off, s[0:3], 0 offset:64
	buffer_store_dword v48, off, s[0:3], 0 offset:68
	s_and_saveexec_b64 s[4:5], vcc
	s_cbranch_execz .LBB21_131
; %bb.130:
	buffer_load_dword v47, off, s[0:3], 0 offset:56
	buffer_load_dword v48, off, s[0:3], 0 offset:60
	s_waitcnt vmcnt(0)
	ds_write_b64 v45, v[47:48]
	buffer_store_dword v46, off, s[0:3], 0 offset:56
	buffer_store_dword v46, off, s[0:3], 0 offset:60
.LBB21_131:
	s_or_b64 exec, exec, s[4:5]
	s_waitcnt lgkmcnt(0)
	; wave barrier
	buffer_load_dword v75, off, s[0:3], 0 offset:68
	buffer_load_dword v76, off, s[0:3], 0 offset:76
	;; [unrolled: 1-line block ×30, first 2 shown]
	ds_read_b128 v[47:50], v46 offset:240
	ds_read_b128 v[51:54], v46 offset:256
	;; [unrolled: 1-line block ×7, first 2 shown]
	v_cmp_lt_u32_e32 vcc, 6, v0
	s_waitcnt vmcnt(29) lgkmcnt(6)
	v_mul_f32_e32 v46, v47, v75
	v_mul_f32_e32 v75, v48, v75
	s_waitcnt vmcnt(28)
	v_mul_f32_e32 v105, v49, v76
	v_mul_f32_e32 v76, v50, v76
	s_waitcnt vmcnt(27) lgkmcnt(5)
	v_mul_f32_e32 v106, v51, v77
	v_mul_f32_e32 v77, v52, v77
	s_waitcnt vmcnt(26)
	v_mul_f32_e32 v107, v53, v78
	v_mul_f32_e32 v78, v54, v78
	s_waitcnt vmcnt(25) lgkmcnt(4)
	v_mul_f32_e32 v108, v55, v79
	v_mul_f32_e32 v79, v56, v79
	s_waitcnt vmcnt(24)
	v_mul_f32_e32 v109, v57, v80
	s_waitcnt vmcnt(23) lgkmcnt(3)
	v_mul_f32_e32 v110, v59, v81
	s_waitcnt vmcnt(22)
	v_mul_f32_e32 v111, v61, v82
	s_waitcnt vmcnt(21) lgkmcnt(2)
	v_mul_f32_e32 v112, v63, v83
	s_waitcnt vmcnt(15)
	v_fma_f32 v47, v47, v89, -v75
	v_fmac_f32_e32 v46, v48, v89
	s_waitcnt vmcnt(14)
	v_fma_f32 v48, v49, v90, -v76
	v_add_f32_e32 v47, 0, v47
	s_waitcnt vmcnt(13)
	v_fma_f32 v49, v51, v91, -v77
	v_add_f32_e32 v47, v47, v48
	v_fmac_f32_e32 v105, v50, v90
	s_waitcnt vmcnt(12)
	v_fma_f32 v50, v53, v92, -v78
	v_add_f32_e32 v47, v47, v49
	s_waitcnt vmcnt(11)
	v_fma_f32 v51, v55, v93, -v79
	v_add_f32_e32 v47, v47, v50
	v_mul_f32_e32 v48, v58, v80
	v_add_f32_e32 v47, v47, v51
	s_waitcnt vmcnt(10)
	v_fma_f32 v48, v57, v94, -v48
	v_add_f32_e32 v47, v47, v48
	v_mul_f32_e32 v48, v60, v81
	s_waitcnt vmcnt(9)
	v_fma_f32 v48, v59, v95, -v48
	v_add_f32_e32 v47, v47, v48
	v_mul_f32_e32 v48, v62, v82
	s_waitcnt vmcnt(8)
	v_fma_f32 v48, v61, v96, -v48
	v_add_f32_e32 v46, 0, v46
	v_add_f32_e32 v47, v47, v48
	v_mul_f32_e32 v48, v64, v83
	v_fmac_f32_e32 v106, v52, v91
	v_add_f32_e32 v46, v46, v105
	s_waitcnt vmcnt(7)
	v_fma_f32 v48, v63, v97, -v48
	v_fmac_f32_e32 v107, v54, v92
	v_add_f32_e32 v46, v46, v106
	v_add_f32_e32 v47, v47, v48
	v_mul_f32_e32 v48, v66, v84
	v_fmac_f32_e32 v108, v56, v93
	v_add_f32_e32 v46, v46, v107
	s_waitcnt vmcnt(6)
	v_fma_f32 v48, v65, v98, -v48
	v_fmac_f32_e32 v109, v58, v94
	v_add_f32_e32 v46, v46, v108
	v_add_f32_e32 v47, v47, v48
	s_waitcnt lgkmcnt(1)
	v_mul_f32_e32 v48, v68, v85
	v_fmac_f32_e32 v110, v60, v95
	v_add_f32_e32 v46, v46, v109
	s_waitcnt vmcnt(5)
	v_fma_f32 v48, v67, v99, -v48
	v_fmac_f32_e32 v111, v62, v96
	v_add_f32_e32 v46, v46, v110
	v_add_f32_e32 v47, v47, v48
	v_mul_f32_e32 v48, v70, v86
	v_mul_f32_e32 v113, v65, v84
	v_fmac_f32_e32 v112, v64, v97
	v_add_f32_e32 v46, v46, v111
	s_waitcnt vmcnt(4)
	v_fma_f32 v48, v69, v100, -v48
	v_mul_f32_e32 v114, v67, v85
	v_fmac_f32_e32 v113, v66, v98
	v_add_f32_e32 v46, v46, v112
	v_add_f32_e32 v47, v47, v48
	s_waitcnt lgkmcnt(0)
	v_mul_f32_e32 v48, v72, v87
	v_mul_f32_e32 v115, v69, v86
	v_fmac_f32_e32 v114, v68, v99
	v_add_f32_e32 v46, v46, v113
	s_waitcnt vmcnt(3)
	v_fma_f32 v48, v71, v101, -v48
	v_mul_f32_e32 v116, v71, v87
	v_fmac_f32_e32 v115, v70, v100
	v_add_f32_e32 v46, v46, v114
	v_add_f32_e32 v47, v47, v48
	v_mul_f32_e32 v48, v74, v88
	v_mul_f32_e32 v117, v73, v88
	v_fmac_f32_e32 v116, v72, v101
	v_add_f32_e32 v46, v46, v115
	s_waitcnt vmcnt(2)
	v_fma_f32 v48, v73, v102, -v48
	v_fmac_f32_e32 v117, v74, v102
	v_add_f32_e32 v46, v46, v116
	v_add_f32_e32 v47, v47, v48
	;; [unrolled: 1-line block ×3, first 2 shown]
	s_waitcnt vmcnt(1)
	v_sub_f32_e32 v47, v103, v47
	s_waitcnt vmcnt(0)
	v_sub_f32_e32 v46, v104, v46
	buffer_store_dword v47, off, s[0:3], 0 offset:56
	buffer_store_dword v46, off, s[0:3], 0 offset:60
	s_and_saveexec_b64 s[4:5], vcc
	s_cbranch_execz .LBB21_133
; %bb.132:
	buffer_load_dword v46, off, s[0:3], 0 offset:48
	buffer_load_dword v47, off, s[0:3], 0 offset:52
	v_mov_b32_e32 v48, 0
	buffer_store_dword v48, off, s[0:3], 0 offset:48
	buffer_store_dword v48, off, s[0:3], 0 offset:52
	s_waitcnt vmcnt(2)
	ds_write_b64 v45, v[46:47]
.LBB21_133:
	s_or_b64 exec, exec, s[4:5]
	s_waitcnt lgkmcnt(0)
	; wave barrier
	buffer_load_dword v77, off, s[0:3], 0 offset:60
	buffer_load_dword v78, off, s[0:3], 0 offset:68
	;; [unrolled: 1-line block ×32, first 2 shown]
	v_mov_b32_e32 v46, 0
	ds_read2_b64 v[47:50], v46 offset0:29 offset1:30
	ds_read2_b64 v[51:54], v46 offset0:31 offset1:32
	;; [unrolled: 1-line block ×7, first 2 shown]
	ds_read_b64 v[75:76], v46 offset:344
	v_cmp_lt_u32_e32 vcc, 5, v0
	s_waitcnt vmcnt(31) lgkmcnt(7)
	v_mul_f32_e32 v109, v47, v77
	v_mul_f32_e32 v77, v48, v77
	s_waitcnt vmcnt(30)
	v_mul_f32_e32 v110, v49, v78
	v_mul_f32_e32 v78, v50, v78
	s_waitcnt vmcnt(29) lgkmcnt(6)
	v_mul_f32_e32 v111, v51, v79
	v_mul_f32_e32 v79, v52, v79
	s_waitcnt vmcnt(28)
	v_mul_f32_e32 v112, v53, v80
	s_waitcnt vmcnt(27) lgkmcnt(5)
	v_mul_f32_e32 v113, v55, v81
	s_waitcnt vmcnt(26)
	v_mul_f32_e32 v114, v57, v82
	s_waitcnt vmcnt(25) lgkmcnt(4)
	v_mul_f32_e32 v115, v59, v83
	s_waitcnt vmcnt(24)
	v_mul_f32_e32 v116, v61, v84
	s_waitcnt vmcnt(23) lgkmcnt(3)
	v_mul_f32_e32 v117, v63, v85
	s_waitcnt vmcnt(22)
	v_mul_f32_e32 v118, v65, v86
	s_waitcnt vmcnt(21) lgkmcnt(2)
	v_mul_f32_e32 v119, v67, v87
	s_waitcnt vmcnt(20)
	v_mul_f32_e32 v120, v69, v88
	s_waitcnt vmcnt(16)
	v_fma_f32 v47, v47, v92, -v77
	v_fmac_f32_e32 v109, v48, v92
	s_waitcnt vmcnt(15)
	v_fma_f32 v48, v49, v93, -v78
	v_add_f32_e32 v47, 0, v47
	s_waitcnt vmcnt(14)
	v_fma_f32 v49, v51, v94, -v79
	v_add_f32_e32 v47, v47, v48
	v_add_f32_e32 v47, v47, v49
	v_mul_f32_e32 v49, v54, v80
	s_waitcnt vmcnt(13)
	v_fma_f32 v49, v53, v95, -v49
	v_add_f32_e32 v47, v47, v49
	v_mul_f32_e32 v49, v56, v81
	s_waitcnt vmcnt(12)
	v_fma_f32 v49, v55, v96, -v49
	;; [unrolled: 4-line block ×5, first 2 shown]
	v_add_f32_e32 v47, v47, v49
	v_mul_f32_e32 v49, v64, v85
	v_fmac_f32_e32 v110, v50, v93
	v_add_f32_e32 v50, 0, v109
	s_waitcnt vmcnt(8)
	v_fma_f32 v49, v63, v100, -v49
	v_fmac_f32_e32 v111, v52, v94
	v_add_f32_e32 v50, v50, v110
	v_add_f32_e32 v47, v47, v49
	v_mul_f32_e32 v49, v66, v86
	v_fmac_f32_e32 v112, v54, v95
	v_add_f32_e32 v48, v50, v111
	s_waitcnt vmcnt(7)
	v_fma_f32 v49, v65, v101, -v49
	v_fmac_f32_e32 v113, v56, v96
	v_add_f32_e32 v48, v48, v112
	;; [unrolled: 8-line block ×4, first 2 shown]
	v_add_f32_e32 v47, v47, v49
	s_waitcnt lgkmcnt(1)
	v_mul_f32_e32 v49, v72, v89
	v_fmac_f32_e32 v118, v66, v101
	v_add_f32_e32 v48, v48, v117
	s_waitcnt vmcnt(4)
	v_fma_f32 v49, v71, v104, -v49
	v_fmac_f32_e32 v119, v68, v102
	v_add_f32_e32 v48, v48, v118
	v_add_f32_e32 v47, v47, v49
	v_mul_f32_e32 v49, v74, v90
	v_mul_f32_e32 v121, v71, v89
	v_fmac_f32_e32 v120, v70, v103
	v_add_f32_e32 v48, v48, v119
	s_waitcnt vmcnt(3)
	v_fma_f32 v49, v73, v105, -v49
	v_mul_f32_e32 v122, v73, v90
	v_fmac_f32_e32 v121, v72, v104
	v_add_f32_e32 v48, v48, v120
	v_add_f32_e32 v47, v47, v49
	s_waitcnt lgkmcnt(0)
	v_mul_f32_e32 v49, v76, v91
	v_mul_f32_e32 v123, v75, v91
	v_fmac_f32_e32 v122, v74, v105
	v_add_f32_e32 v48, v48, v121
	s_waitcnt vmcnt(2)
	v_fma_f32 v49, v75, v106, -v49
	v_fmac_f32_e32 v123, v76, v106
	v_add_f32_e32 v48, v48, v122
	v_add_f32_e32 v47, v47, v49
	;; [unrolled: 1-line block ×3, first 2 shown]
	s_waitcnt vmcnt(1)
	v_sub_f32_e32 v47, v107, v47
	s_waitcnt vmcnt(0)
	v_sub_f32_e32 v48, v108, v48
	buffer_store_dword v47, off, s[0:3], 0 offset:48
	buffer_store_dword v48, off, s[0:3], 0 offset:52
	s_and_saveexec_b64 s[4:5], vcc
	s_cbranch_execz .LBB21_135
; %bb.134:
	buffer_load_dword v47, off, s[0:3], 0 offset:40
	buffer_load_dword v48, off, s[0:3], 0 offset:44
	s_waitcnt vmcnt(0)
	ds_write_b64 v45, v[47:48]
	buffer_store_dword v46, off, s[0:3], 0 offset:40
	buffer_store_dword v46, off, s[0:3], 0 offset:44
.LBB21_135:
	s_or_b64 exec, exec, s[4:5]
	s_waitcnt lgkmcnt(0)
	; wave barrier
	ds_read_b128 v[47:50], v46 offset:224
	ds_read_b128 v[51:54], v46 offset:240
	;; [unrolled: 1-line block ×4, first 2 shown]
	buffer_load_dword v79, off, s[0:3], 0 offset:40
	buffer_load_dword v80, off, s[0:3], 0 offset:44
	;; [unrolled: 1-line block ×18, first 2 shown]
	v_cmp_lt_u32_e32 vcc, 4, v0
	s_waitcnt vmcnt(14) lgkmcnt(3)
	v_mul_f32_e32 v63, v47, v82
	v_fmac_f32_e32 v63, v48, v81
	s_waitcnt vmcnt(12)
	v_mul_f32_e32 v64, v49, v84
	v_add_f32_e32 v63, 0, v63
	v_fmac_f32_e32 v64, v50, v83
	v_add_f32_e32 v63, v63, v64
	s_waitcnt vmcnt(10) lgkmcnt(2)
	v_mul_f32_e32 v64, v51, v86
	v_fmac_f32_e32 v64, v52, v85
	v_add_f32_e32 v63, v63, v64
	s_waitcnt vmcnt(8)
	v_mul_f32_e32 v64, v53, v88
	v_fmac_f32_e32 v64, v54, v87
	v_add_f32_e32 v63, v63, v64
	s_waitcnt vmcnt(6) lgkmcnt(1)
	v_mul_f32_e32 v64, v55, v90
	v_fmac_f32_e32 v64, v56, v89
	v_add_f32_e32 v63, v63, v64
	s_waitcnt vmcnt(4)
	v_mul_f32_e32 v64, v57, v92
	;; [unrolled: 8-line block ×3, first 2 shown]
	v_fmac_f32_e32 v64, v62, v95
	v_add_f32_e32 v67, v63, v64
	ds_read_b128 v[63:66], v46 offset:288
	buffer_load_dword v97, off, s[0:3], 0 offset:112
	buffer_load_dword v98, off, s[0:3], 0 offset:116
	;; [unrolled: 1-line block ×4, first 2 shown]
	v_mul_f32_e32 v48, v48, v82
	v_fma_f32 v47, v47, v81, -v48
	v_mul_f32_e32 v48, v50, v84
	v_add_f32_e32 v47, 0, v47
	v_fma_f32 v48, v49, v83, -v48
	v_add_f32_e32 v47, v47, v48
	v_mul_f32_e32 v48, v52, v86
	v_fma_f32 v48, v51, v85, -v48
	v_add_f32_e32 v47, v47, v48
	v_mul_f32_e32 v48, v54, v88
	;; [unrolled: 3-line block ×6, first 2 shown]
	v_fma_f32 v48, v61, v95, -v48
	v_add_f32_e32 v47, v47, v48
	s_waitcnt vmcnt(2) lgkmcnt(0)
	v_mul_f32_e32 v68, v63, v98
	v_fmac_f32_e32 v68, v64, v97
	v_add_f32_e32 v67, v67, v68
	s_waitcnt vmcnt(0)
	v_mul_f32_e32 v68, v65, v100
	v_fmac_f32_e32 v68, v66, v99
	v_add_f32_e32 v71, v67, v68
	ds_read_b128 v[67:70], v46 offset:304
	buffer_load_dword v101, off, s[0:3], 0 offset:128
	buffer_load_dword v102, off, s[0:3], 0 offset:132
	;; [unrolled: 1-line block ×4, first 2 shown]
	v_mul_f32_e32 v48, v64, v98
	v_fma_f32 v48, v63, v97, -v48
	v_add_f32_e32 v47, v47, v48
	v_mul_f32_e32 v48, v66, v100
	v_fma_f32 v48, v65, v99, -v48
	v_add_f32_e32 v47, v47, v48
	s_waitcnt vmcnt(2) lgkmcnt(0)
	v_mul_f32_e32 v72, v67, v102
	v_fmac_f32_e32 v72, v68, v101
	v_add_f32_e32 v71, v71, v72
	s_waitcnt vmcnt(0)
	v_mul_f32_e32 v72, v69, v104
	v_fmac_f32_e32 v72, v70, v103
	v_add_f32_e32 v75, v71, v72
	ds_read_b128 v[71:74], v46 offset:320
	buffer_load_dword v105, off, s[0:3], 0 offset:144
	buffer_load_dword v106, off, s[0:3], 0 offset:148
	buffer_load_dword v107, off, s[0:3], 0 offset:152
	buffer_load_dword v108, off, s[0:3], 0 offset:156
	v_mul_f32_e32 v48, v68, v102
	v_fma_f32 v48, v67, v101, -v48
	v_add_f32_e32 v47, v47, v48
	v_mul_f32_e32 v48, v70, v104
	v_fma_f32 v48, v69, v103, -v48
	v_add_f32_e32 v47, v47, v48
	s_waitcnt vmcnt(2) lgkmcnt(0)
	v_mul_f32_e32 v76, v71, v106
	v_fmac_f32_e32 v76, v72, v105
	v_add_f32_e32 v75, v75, v76
	s_waitcnt vmcnt(0)
	v_mul_f32_e32 v76, v73, v108
	v_fmac_f32_e32 v76, v74, v107
	v_add_f32_e32 v109, v75, v76
	ds_read_b128 v[75:78], v46 offset:336
	buffer_load_dword v46, off, s[0:3], 0 offset:160
	buffer_load_dword v110, off, s[0:3], 0 offset:164
	v_mul_f32_e32 v48, v72, v106
	v_fma_f32 v48, v71, v105, -v48
	v_add_f32_e32 v47, v47, v48
	v_mul_f32_e32 v48, v74, v108
	v_fma_f32 v48, v73, v107, -v48
	v_add_f32_e32 v47, v47, v48
	s_waitcnt vmcnt(0) lgkmcnt(0)
	v_mul_f32_e32 v111, v75, v110
	v_fmac_f32_e32 v111, v76, v46
	v_add_f32_e32 v109, v109, v111
	buffer_load_dword v111, off, s[0:3], 0 offset:168
	buffer_load_dword v112, off, s[0:3], 0 offset:172
	v_mul_f32_e32 v48, v76, v110
	v_fma_f32 v46, v75, v46, -v48
	v_add_f32_e32 v46, v47, v46
	s_waitcnt vmcnt(0)
	v_mul_f32_e32 v47, v78, v112
	v_mul_f32_e32 v113, v77, v112
	v_fma_f32 v47, v77, v111, -v47
	v_fmac_f32_e32 v113, v78, v111
	v_add_f32_e32 v46, v46, v47
	v_add_f32_e32 v109, v109, v113
	v_sub_f32_e32 v46, v79, v46
	v_sub_f32_e32 v47, v80, v109
	buffer_store_dword v46, off, s[0:3], 0 offset:40
	buffer_store_dword v47, off, s[0:3], 0 offset:44
	s_and_saveexec_b64 s[4:5], vcc
	s_cbranch_execz .LBB21_137
; %bb.136:
	buffer_load_dword v46, off, s[0:3], 0 offset:32
	buffer_load_dword v47, off, s[0:3], 0 offset:36
	v_mov_b32_e32 v48, 0
	buffer_store_dword v48, off, s[0:3], 0 offset:32
	buffer_store_dword v48, off, s[0:3], 0 offset:36
	s_waitcnt vmcnt(2)
	ds_write_b64 v45, v[46:47]
.LBB21_137:
	s_or_b64 exec, exec, s[4:5]
	v_mov_b32_e32 v46, 0
	s_waitcnt lgkmcnt(0)
	; wave barrier
	ds_read2_b64 v[47:50], v46 offset0:27 offset1:28
	buffer_load_dword v81, off, s[0:3], 0 offset:32
	buffer_load_dword v82, off, s[0:3], 0 offset:36
	;; [unrolled: 1-line block ×16, first 2 shown]
	v_cmp_lt_u32_e32 vcc, 3, v0
	s_waitcnt vmcnt(12) lgkmcnt(0)
	v_mul_f32_e32 v51, v47, v84
	v_fmac_f32_e32 v51, v48, v83
	s_waitcnt vmcnt(10)
	v_mul_f32_e32 v52, v49, v86
	v_add_f32_e32 v51, 0, v51
	v_fmac_f32_e32 v52, v50, v85
	v_add_f32_e32 v55, v51, v52
	ds_read2_b64 v[51:54], v46 offset0:29 offset1:30
	v_mul_f32_e32 v48, v48, v84
	v_fma_f32 v47, v47, v83, -v48
	v_mul_f32_e32 v48, v50, v86
	v_add_f32_e32 v47, 0, v47
	s_waitcnt vmcnt(8) lgkmcnt(0)
	v_mul_f32_e32 v56, v51, v88
	v_fmac_f32_e32 v56, v52, v87
	v_add_f32_e32 v55, v55, v56
	s_waitcnt vmcnt(6)
	v_mul_f32_e32 v56, v53, v90
	v_fmac_f32_e32 v56, v54, v89
	v_add_f32_e32 v59, v55, v56
	ds_read2_b64 v[55:58], v46 offset0:31 offset1:32
	v_fma_f32 v48, v49, v85, -v48
	v_add_f32_e32 v47, v47, v48
	v_mul_f32_e32 v48, v52, v88
	v_fma_f32 v48, v51, v87, -v48
	s_waitcnt vmcnt(4) lgkmcnt(0)
	v_mul_f32_e32 v60, v55, v92
	v_fmac_f32_e32 v60, v56, v91
	v_add_f32_e32 v59, v59, v60
	s_waitcnt vmcnt(2)
	v_mul_f32_e32 v60, v57, v94
	v_fmac_f32_e32 v60, v58, v93
	v_add_f32_e32 v63, v59, v60
	ds_read2_b64 v[59:62], v46 offset0:33 offset1:34
	buffer_load_dword v97, off, s[0:3], 0 offset:96
	buffer_load_dword v98, off, s[0:3], 0 offset:100
	v_add_f32_e32 v47, v47, v48
	v_mul_f32_e32 v48, v54, v90
	v_fma_f32 v48, v53, v89, -v48
	s_waitcnt vmcnt(2) lgkmcnt(0)
	v_mul_f32_e32 v64, v59, v96
	v_fmac_f32_e32 v64, v60, v95
	v_add_f32_e32 v63, v63, v64
	v_add_f32_e32 v47, v47, v48
	v_mul_f32_e32 v48, v56, v92
	v_fma_f32 v48, v55, v91, -v48
	v_add_f32_e32 v47, v47, v48
	v_mul_f32_e32 v48, v58, v94
	v_fma_f32 v48, v57, v93, -v48
	;; [unrolled: 3-line block ×3, first 2 shown]
	v_add_f32_e32 v47, v47, v48
	s_waitcnt vmcnt(0)
	v_mul_f32_e32 v64, v61, v98
	v_fmac_f32_e32 v64, v62, v97
	v_add_f32_e32 v67, v63, v64
	ds_read2_b64 v[63:66], v46 offset0:35 offset1:36
	buffer_load_dword v99, off, s[0:3], 0 offset:104
	buffer_load_dword v100, off, s[0:3], 0 offset:108
	;; [unrolled: 1-line block ×4, first 2 shown]
	v_mul_f32_e32 v48, v62, v98
	v_fma_f32 v48, v61, v97, -v48
	v_add_f32_e32 v47, v47, v48
	s_waitcnt vmcnt(2) lgkmcnt(0)
	v_mul_f32_e32 v68, v63, v100
	v_fmac_f32_e32 v68, v64, v99
	v_add_f32_e32 v67, v67, v68
	s_waitcnt vmcnt(0)
	v_mul_f32_e32 v68, v65, v102
	v_fmac_f32_e32 v68, v66, v101
	v_add_f32_e32 v71, v67, v68
	ds_read2_b64 v[67:70], v46 offset0:37 offset1:38
	buffer_load_dword v103, off, s[0:3], 0 offset:120
	buffer_load_dword v104, off, s[0:3], 0 offset:124
	buffer_load_dword v105, off, s[0:3], 0 offset:128
	buffer_load_dword v106, off, s[0:3], 0 offset:132
	v_mul_f32_e32 v48, v64, v100
	v_fma_f32 v48, v63, v99, -v48
	v_add_f32_e32 v47, v47, v48
	v_mul_f32_e32 v48, v66, v102
	v_fma_f32 v48, v65, v101, -v48
	v_add_f32_e32 v47, v47, v48
	s_waitcnt vmcnt(2) lgkmcnt(0)
	v_mul_f32_e32 v72, v67, v104
	v_fmac_f32_e32 v72, v68, v103
	v_add_f32_e32 v71, v71, v72
	s_waitcnt vmcnt(0)
	v_mul_f32_e32 v72, v69, v106
	v_fmac_f32_e32 v72, v70, v105
	v_add_f32_e32 v75, v71, v72
	ds_read2_b64 v[71:74], v46 offset0:39 offset1:40
	buffer_load_dword v107, off, s[0:3], 0 offset:136
	buffer_load_dword v108, off, s[0:3], 0 offset:140
	buffer_load_dword v109, off, s[0:3], 0 offset:144
	buffer_load_dword v110, off, s[0:3], 0 offset:148
	v_mul_f32_e32 v48, v68, v104
	v_fma_f32 v48, v67, v103, -v48
	v_add_f32_e32 v47, v47, v48
	v_mul_f32_e32 v48, v70, v106
	v_fma_f32 v48, v69, v105, -v48
	v_add_f32_e32 v47, v47, v48
	s_waitcnt vmcnt(2) lgkmcnt(0)
	v_mul_f32_e32 v76, v71, v108
	v_fmac_f32_e32 v76, v72, v107
	v_add_f32_e32 v75, v75, v76
	s_waitcnt vmcnt(0)
	v_mul_f32_e32 v76, v73, v110
	v_fmac_f32_e32 v76, v74, v109
	v_add_f32_e32 v79, v75, v76
	ds_read2_b64 v[75:78], v46 offset0:41 offset1:42
	buffer_load_dword v111, off, s[0:3], 0 offset:152
	buffer_load_dword v112, off, s[0:3], 0 offset:156
	buffer_load_dword v113, off, s[0:3], 0 offset:160
	buffer_load_dword v114, off, s[0:3], 0 offset:164
	v_mul_f32_e32 v48, v72, v108
	v_fma_f32 v48, v71, v107, -v48
	v_add_f32_e32 v47, v47, v48
	v_mul_f32_e32 v48, v74, v110
	v_fma_f32 v48, v73, v109, -v48
	v_add_f32_e32 v47, v47, v48
	s_waitcnt vmcnt(2) lgkmcnt(0)
	v_mul_f32_e32 v80, v75, v112
	v_fmac_f32_e32 v80, v76, v111
	v_add_f32_e32 v79, v79, v80
	s_waitcnt vmcnt(0)
	v_mul_f32_e32 v80, v77, v114
	v_fmac_f32_e32 v80, v78, v113
	v_add_f32_e32 v115, v79, v80
	ds_read_b64 v[79:80], v46 offset:344
	buffer_load_dword v116, off, s[0:3], 0 offset:168
	buffer_load_dword v117, off, s[0:3], 0 offset:172
	v_mul_f32_e32 v48, v76, v112
	v_fma_f32 v48, v75, v111, -v48
	v_add_f32_e32 v47, v47, v48
	v_mul_f32_e32 v48, v78, v114
	v_fma_f32 v48, v77, v113, -v48
	v_add_f32_e32 v47, v47, v48
	s_waitcnt vmcnt(0) lgkmcnt(0)
	v_mul_f32_e32 v48, v80, v117
	v_mul_f32_e32 v118, v79, v117
	v_fma_f32 v48, v79, v116, -v48
	v_fmac_f32_e32 v118, v80, v116
	v_add_f32_e32 v47, v47, v48
	v_add_f32_e32 v115, v115, v118
	v_sub_f32_e32 v47, v81, v47
	v_sub_f32_e32 v48, v82, v115
	buffer_store_dword v47, off, s[0:3], 0 offset:32
	buffer_store_dword v48, off, s[0:3], 0 offset:36
	s_and_saveexec_b64 s[4:5], vcc
	s_cbranch_execz .LBB21_139
; %bb.138:
	buffer_load_dword v47, off, s[0:3], 0 offset:24
	buffer_load_dword v48, off, s[0:3], 0 offset:28
	s_waitcnt vmcnt(0)
	ds_write_b64 v45, v[47:48]
	buffer_store_dword v46, off, s[0:3], 0 offset:24
	buffer_store_dword v46, off, s[0:3], 0 offset:28
.LBB21_139:
	s_or_b64 exec, exec, s[4:5]
	s_waitcnt lgkmcnt(0)
	; wave barrier
	ds_read_b128 v[47:50], v46 offset:208
	ds_read_b128 v[51:54], v46 offset:224
	;; [unrolled: 1-line block ×4, first 2 shown]
	buffer_load_dword v83, off, s[0:3], 0 offset:24
	buffer_load_dword v84, off, s[0:3], 0 offset:28
	;; [unrolled: 1-line block ×18, first 2 shown]
	v_cmp_lt_u32_e32 vcc, 2, v0
	s_waitcnt vmcnt(14) lgkmcnt(3)
	v_mul_f32_e32 v63, v47, v86
	v_fmac_f32_e32 v63, v48, v85
	s_waitcnt vmcnt(12)
	v_mul_f32_e32 v64, v49, v88
	v_add_f32_e32 v63, 0, v63
	v_fmac_f32_e32 v64, v50, v87
	v_add_f32_e32 v63, v63, v64
	s_waitcnt vmcnt(10) lgkmcnt(2)
	v_mul_f32_e32 v64, v51, v90
	v_fmac_f32_e32 v64, v52, v89
	v_add_f32_e32 v63, v63, v64
	s_waitcnt vmcnt(8)
	v_mul_f32_e32 v64, v53, v92
	v_fmac_f32_e32 v64, v54, v91
	v_add_f32_e32 v63, v63, v64
	s_waitcnt vmcnt(6) lgkmcnt(1)
	v_mul_f32_e32 v64, v55, v94
	v_fmac_f32_e32 v64, v56, v93
	v_add_f32_e32 v63, v63, v64
	s_waitcnt vmcnt(4)
	v_mul_f32_e32 v64, v57, v96
	;; [unrolled: 8-line block ×3, first 2 shown]
	v_fmac_f32_e32 v64, v62, v99
	v_add_f32_e32 v67, v63, v64
	ds_read_b128 v[63:66], v46 offset:272
	buffer_load_dword v101, off, s[0:3], 0 offset:96
	buffer_load_dword v102, off, s[0:3], 0 offset:100
	;; [unrolled: 1-line block ×4, first 2 shown]
	v_mul_f32_e32 v48, v48, v86
	v_fma_f32 v47, v47, v85, -v48
	v_mul_f32_e32 v48, v50, v88
	v_add_f32_e32 v47, 0, v47
	v_fma_f32 v48, v49, v87, -v48
	v_add_f32_e32 v47, v47, v48
	v_mul_f32_e32 v48, v52, v90
	v_fma_f32 v48, v51, v89, -v48
	v_add_f32_e32 v47, v47, v48
	v_mul_f32_e32 v48, v54, v92
	;; [unrolled: 3-line block ×6, first 2 shown]
	v_fma_f32 v48, v61, v99, -v48
	v_add_f32_e32 v47, v47, v48
	s_waitcnt vmcnt(2) lgkmcnt(0)
	v_mul_f32_e32 v68, v63, v102
	v_fmac_f32_e32 v68, v64, v101
	v_add_f32_e32 v67, v67, v68
	s_waitcnt vmcnt(0)
	v_mul_f32_e32 v68, v65, v104
	v_fmac_f32_e32 v68, v66, v103
	v_add_f32_e32 v71, v67, v68
	ds_read_b128 v[67:70], v46 offset:288
	buffer_load_dword v105, off, s[0:3], 0 offset:112
	buffer_load_dword v106, off, s[0:3], 0 offset:116
	buffer_load_dword v107, off, s[0:3], 0 offset:120
	buffer_load_dword v108, off, s[0:3], 0 offset:124
	v_mul_f32_e32 v48, v64, v102
	v_fma_f32 v48, v63, v101, -v48
	v_add_f32_e32 v47, v47, v48
	v_mul_f32_e32 v48, v66, v104
	v_fma_f32 v48, v65, v103, -v48
	v_add_f32_e32 v47, v47, v48
	s_waitcnt vmcnt(2) lgkmcnt(0)
	v_mul_f32_e32 v72, v67, v106
	v_fmac_f32_e32 v72, v68, v105
	v_add_f32_e32 v71, v71, v72
	s_waitcnt vmcnt(0)
	v_mul_f32_e32 v72, v69, v108
	v_fmac_f32_e32 v72, v70, v107
	v_add_f32_e32 v75, v71, v72
	ds_read_b128 v[71:74], v46 offset:304
	buffer_load_dword v109, off, s[0:3], 0 offset:128
	buffer_load_dword v110, off, s[0:3], 0 offset:132
	buffer_load_dword v111, off, s[0:3], 0 offset:136
	buffer_load_dword v112, off, s[0:3], 0 offset:140
	v_mul_f32_e32 v48, v68, v106
	v_fma_f32 v48, v67, v105, -v48
	v_add_f32_e32 v47, v47, v48
	v_mul_f32_e32 v48, v70, v108
	;; [unrolled: 19-line block ×3, first 2 shown]
	v_fma_f32 v48, v73, v111, -v48
	v_add_f32_e32 v47, v47, v48
	s_waitcnt vmcnt(2) lgkmcnt(0)
	v_mul_f32_e32 v80, v75, v114
	v_fmac_f32_e32 v80, v76, v113
	v_add_f32_e32 v79, v79, v80
	s_waitcnt vmcnt(0)
	v_mul_f32_e32 v80, v77, v116
	v_fmac_f32_e32 v80, v78, v115
	v_add_f32_e32 v117, v79, v80
	ds_read_b128 v[79:82], v46 offset:336
	buffer_load_dword v46, off, s[0:3], 0 offset:160
	buffer_load_dword v118, off, s[0:3], 0 offset:164
	v_mul_f32_e32 v48, v76, v114
	v_fma_f32 v48, v75, v113, -v48
	v_add_f32_e32 v47, v47, v48
	v_mul_f32_e32 v48, v78, v116
	v_fma_f32 v48, v77, v115, -v48
	v_add_f32_e32 v47, v47, v48
	s_waitcnt vmcnt(0) lgkmcnt(0)
	v_mul_f32_e32 v119, v79, v118
	v_fmac_f32_e32 v119, v80, v46
	v_add_f32_e32 v117, v117, v119
	buffer_load_dword v119, off, s[0:3], 0 offset:168
	buffer_load_dword v120, off, s[0:3], 0 offset:172
	v_mul_f32_e32 v48, v80, v118
	v_fma_f32 v46, v79, v46, -v48
	v_add_f32_e32 v46, v47, v46
	s_waitcnt vmcnt(0)
	v_mul_f32_e32 v47, v82, v120
	v_mul_f32_e32 v121, v81, v120
	v_fma_f32 v47, v81, v119, -v47
	v_fmac_f32_e32 v121, v82, v119
	v_add_f32_e32 v46, v46, v47
	v_add_f32_e32 v117, v117, v121
	v_sub_f32_e32 v46, v83, v46
	v_sub_f32_e32 v47, v84, v117
	buffer_store_dword v46, off, s[0:3], 0 offset:24
	buffer_store_dword v47, off, s[0:3], 0 offset:28
	s_and_saveexec_b64 s[4:5], vcc
	s_cbranch_execz .LBB21_141
; %bb.140:
	buffer_load_dword v46, off, s[0:3], 0 offset:16
	buffer_load_dword v47, off, s[0:3], 0 offset:20
	v_mov_b32_e32 v48, 0
	buffer_store_dword v48, off, s[0:3], 0 offset:16
	buffer_store_dword v48, off, s[0:3], 0 offset:20
	s_waitcnt vmcnt(2)
	ds_write_b64 v45, v[46:47]
.LBB21_141:
	s_or_b64 exec, exec, s[4:5]
	v_mov_b32_e32 v46, 0
	s_waitcnt lgkmcnt(0)
	; wave barrier
	ds_read2_b64 v[47:50], v46 offset0:25 offset1:26
	buffer_load_dword v85, off, s[0:3], 0 offset:16
	buffer_load_dword v86, off, s[0:3], 0 offset:20
	buffer_load_dword v87, off, s[0:3], 0 offset:24
	buffer_load_dword v88, off, s[0:3], 0 offset:28
	buffer_load_dword v89, off, s[0:3], 0 offset:32
	buffer_load_dword v90, off, s[0:3], 0 offset:36
	buffer_load_dword v91, off, s[0:3], 0 offset:40
	buffer_load_dword v92, off, s[0:3], 0 offset:44
	buffer_load_dword v93, off, s[0:3], 0 offset:48
	buffer_load_dword v94, off, s[0:3], 0 offset:52
	buffer_load_dword v95, off, s[0:3], 0 offset:56
	buffer_load_dword v96, off, s[0:3], 0 offset:60
	buffer_load_dword v97, off, s[0:3], 0 offset:64
	buffer_load_dword v98, off, s[0:3], 0 offset:68
	buffer_load_dword v99, off, s[0:3], 0 offset:72
	buffer_load_dword v100, off, s[0:3], 0 offset:76
	v_cmp_lt_u32_e32 vcc, 1, v0
	s_waitcnt vmcnt(12) lgkmcnt(0)
	v_mul_f32_e32 v51, v47, v88
	v_fmac_f32_e32 v51, v48, v87
	s_waitcnt vmcnt(10)
	v_mul_f32_e32 v52, v49, v90
	v_add_f32_e32 v51, 0, v51
	v_fmac_f32_e32 v52, v50, v89
	v_add_f32_e32 v55, v51, v52
	ds_read2_b64 v[51:54], v46 offset0:27 offset1:28
	v_mul_f32_e32 v48, v48, v88
	v_fma_f32 v47, v47, v87, -v48
	v_mul_f32_e32 v48, v50, v90
	v_add_f32_e32 v47, 0, v47
	s_waitcnt vmcnt(8) lgkmcnt(0)
	v_mul_f32_e32 v56, v51, v92
	v_fmac_f32_e32 v56, v52, v91
	v_add_f32_e32 v55, v55, v56
	s_waitcnt vmcnt(6)
	v_mul_f32_e32 v56, v53, v94
	v_fmac_f32_e32 v56, v54, v93
	v_add_f32_e32 v59, v55, v56
	ds_read2_b64 v[55:58], v46 offset0:29 offset1:30
	v_fma_f32 v48, v49, v89, -v48
	v_add_f32_e32 v47, v47, v48
	v_mul_f32_e32 v48, v52, v92
	v_fma_f32 v48, v51, v91, -v48
	s_waitcnt vmcnt(4) lgkmcnt(0)
	v_mul_f32_e32 v60, v55, v96
	v_fmac_f32_e32 v60, v56, v95
	v_add_f32_e32 v59, v59, v60
	s_waitcnt vmcnt(2)
	v_mul_f32_e32 v60, v57, v98
	v_fmac_f32_e32 v60, v58, v97
	v_add_f32_e32 v63, v59, v60
	ds_read2_b64 v[59:62], v46 offset0:31 offset1:32
	buffer_load_dword v101, off, s[0:3], 0 offset:80
	buffer_load_dword v102, off, s[0:3], 0 offset:84
	v_add_f32_e32 v47, v47, v48
	v_mul_f32_e32 v48, v54, v94
	v_fma_f32 v48, v53, v93, -v48
	s_waitcnt vmcnt(2) lgkmcnt(0)
	v_mul_f32_e32 v64, v59, v100
	v_fmac_f32_e32 v64, v60, v99
	v_add_f32_e32 v63, v63, v64
	v_add_f32_e32 v47, v47, v48
	v_mul_f32_e32 v48, v56, v96
	v_fma_f32 v48, v55, v95, -v48
	v_add_f32_e32 v47, v47, v48
	v_mul_f32_e32 v48, v58, v98
	v_fma_f32 v48, v57, v97, -v48
	;; [unrolled: 3-line block ×3, first 2 shown]
	v_add_f32_e32 v47, v47, v48
	s_waitcnt vmcnt(0)
	v_mul_f32_e32 v64, v61, v102
	v_fmac_f32_e32 v64, v62, v101
	v_add_f32_e32 v67, v63, v64
	ds_read2_b64 v[63:66], v46 offset0:33 offset1:34
	buffer_load_dword v103, off, s[0:3], 0 offset:88
	buffer_load_dword v104, off, s[0:3], 0 offset:92
	buffer_load_dword v105, off, s[0:3], 0 offset:96
	buffer_load_dword v106, off, s[0:3], 0 offset:100
	v_mul_f32_e32 v48, v62, v102
	v_fma_f32 v48, v61, v101, -v48
	v_add_f32_e32 v47, v47, v48
	s_waitcnt vmcnt(2) lgkmcnt(0)
	v_mul_f32_e32 v68, v63, v104
	v_fmac_f32_e32 v68, v64, v103
	v_add_f32_e32 v67, v67, v68
	s_waitcnt vmcnt(0)
	v_mul_f32_e32 v68, v65, v106
	v_fmac_f32_e32 v68, v66, v105
	v_add_f32_e32 v71, v67, v68
	ds_read2_b64 v[67:70], v46 offset0:35 offset1:36
	buffer_load_dword v107, off, s[0:3], 0 offset:104
	buffer_load_dword v108, off, s[0:3], 0 offset:108
	buffer_load_dword v109, off, s[0:3], 0 offset:112
	buffer_load_dword v110, off, s[0:3], 0 offset:116
	v_mul_f32_e32 v48, v64, v104
	v_fma_f32 v48, v63, v103, -v48
	v_add_f32_e32 v47, v47, v48
	v_mul_f32_e32 v48, v66, v106
	v_fma_f32 v48, v65, v105, -v48
	v_add_f32_e32 v47, v47, v48
	s_waitcnt vmcnt(2) lgkmcnt(0)
	v_mul_f32_e32 v72, v67, v108
	v_fmac_f32_e32 v72, v68, v107
	v_add_f32_e32 v71, v71, v72
	s_waitcnt vmcnt(0)
	v_mul_f32_e32 v72, v69, v110
	v_fmac_f32_e32 v72, v70, v109
	v_add_f32_e32 v75, v71, v72
	ds_read2_b64 v[71:74], v46 offset0:37 offset1:38
	buffer_load_dword v111, off, s[0:3], 0 offset:120
	buffer_load_dword v112, off, s[0:3], 0 offset:124
	buffer_load_dword v113, off, s[0:3], 0 offset:128
	buffer_load_dword v114, off, s[0:3], 0 offset:132
	v_mul_f32_e32 v48, v68, v108
	v_fma_f32 v48, v67, v107, -v48
	v_add_f32_e32 v47, v47, v48
	;; [unrolled: 19-line block ×4, first 2 shown]
	v_mul_f32_e32 v48, v78, v118
	v_fma_f32 v48, v77, v117, -v48
	v_add_f32_e32 v47, v47, v48
	s_waitcnt vmcnt(2) lgkmcnt(0)
	v_mul_f32_e32 v84, v79, v120
	v_fmac_f32_e32 v84, v80, v119
	v_add_f32_e32 v83, v83, v84
	s_waitcnt vmcnt(0)
	v_mul_f32_e32 v84, v81, v122
	v_fmac_f32_e32 v84, v82, v121
	v_add_f32_e32 v123, v83, v84
	ds_read_b64 v[83:84], v46 offset:344
	buffer_load_dword v124, off, s[0:3], 0 offset:168
	buffer_load_dword v125, off, s[0:3], 0 offset:172
	v_mul_f32_e32 v48, v80, v120
	v_fma_f32 v48, v79, v119, -v48
	v_add_f32_e32 v47, v47, v48
	v_mul_f32_e32 v48, v82, v122
	v_fma_f32 v48, v81, v121, -v48
	v_add_f32_e32 v47, v47, v48
	s_waitcnt vmcnt(0) lgkmcnt(0)
	v_mul_f32_e32 v48, v84, v125
	v_mul_f32_e32 v126, v83, v125
	v_fma_f32 v48, v83, v124, -v48
	v_fmac_f32_e32 v126, v84, v124
	v_add_f32_e32 v47, v47, v48
	v_add_f32_e32 v123, v123, v126
	v_sub_f32_e32 v47, v85, v47
	v_sub_f32_e32 v48, v86, v123
	buffer_store_dword v47, off, s[0:3], 0 offset:16
	buffer_store_dword v48, off, s[0:3], 0 offset:20
	s_and_saveexec_b64 s[4:5], vcc
	s_cbranch_execz .LBB21_143
; %bb.142:
	buffer_load_dword v47, off, s[0:3], 0 offset:8
	buffer_load_dword v48, off, s[0:3], 0 offset:12
	s_waitcnt vmcnt(0)
	ds_write_b64 v45, v[47:48]
	buffer_store_dword v46, off, s[0:3], 0 offset:8
	buffer_store_dword v46, off, s[0:3], 0 offset:12
.LBB21_143:
	s_or_b64 exec, exec, s[4:5]
	s_waitcnt lgkmcnt(0)
	; wave barrier
	buffer_load_dword v87, off, s[0:3], 0 offset:20
	buffer_load_dword v88, off, s[0:3], 0 offset:28
	;; [unrolled: 1-line block ×42, first 2 shown]
	ds_read_b128 v[47:50], v46 offset:192
	ds_read_b128 v[51:54], v46 offset:208
	ds_read_b128 v[55:58], v46 offset:224
	ds_read_b128 v[59:62], v46 offset:240
	ds_read_b128 v[63:66], v46 offset:256
	ds_read_b128 v[67:70], v46 offset:272
	ds_read_b128 v[71:74], v46 offset:288
	ds_read_b128 v[75:78], v46 offset:304
	v_cmp_ne_u32_e32 vcc, 0, v0
	s_waitcnt vmcnt(41) lgkmcnt(7)
	v_mul_f32_e32 v79, v47, v87
	s_waitcnt vmcnt(40)
	v_mul_f32_e32 v80, v49, v88
	s_waitcnt vmcnt(39) lgkmcnt(6)
	v_mul_f32_e32 v81, v51, v89
	s_waitcnt vmcnt(38)
	v_mul_f32_e32 v82, v53, v90
	;; [unrolled: 4-line block ×7, first 2 shown]
	s_waitcnt vmcnt(27) lgkmcnt(0)
	v_mul_f32_e32 v135, v75, v101
	s_waitcnt vmcnt(26)
	v_fmac_f32_e32 v79, v48, v102
	v_mul_f32_e32 v48, v48, v87
	v_fma_f32 v47, v47, v102, -v48
	v_mul_f32_e32 v48, v50, v88
	v_add_f32_e32 v47, 0, v47
	s_waitcnt vmcnt(25)
	v_fma_f32 v48, v49, v103, -v48
	v_add_f32_e32 v47, v47, v48
	v_mul_f32_e32 v48, v52, v89
	s_waitcnt vmcnt(24)
	v_fma_f32 v48, v51, v104, -v48
	v_add_f32_e32 v47, v47, v48
	v_mul_f32_e32 v48, v54, v90
	;; [unrolled: 4-line block ×5, first 2 shown]
	v_fmac_f32_e32 v80, v50, v103
	v_add_f32_e32 v79, 0, v79
	s_waitcnt vmcnt(20)
	v_fma_f32 v48, v59, v108, -v48
	v_fmac_f32_e32 v81, v52, v104
	v_add_f32_e32 v79, v79, v80
	v_add_f32_e32 v47, v47, v48
	v_mul_f32_e32 v48, v62, v94
	v_fmac_f32_e32 v82, v54, v105
	v_add_f32_e32 v79, v79, v81
	s_waitcnt vmcnt(19)
	v_fma_f32 v48, v61, v109, -v48
	v_fmac_f32_e32 v83, v56, v106
	v_add_f32_e32 v79, v79, v82
	v_add_f32_e32 v47, v47, v48
	v_mul_f32_e32 v48, v64, v95
	;; [unrolled: 8-line block ×5, first 2 shown]
	s_waitcnt vmcnt(15)
	v_fmac_f32_e32 v132, v70, v113
	v_add_f32_e32 v79, v79, v131
	v_fma_f32 v48, v69, v113, -v48
	s_waitcnt vmcnt(14)
	v_fmac_f32_e32 v133, v72, v114
	v_add_f32_e32 v79, v79, v132
	v_add_f32_e32 v47, v47, v48
	v_mul_f32_e32 v48, v72, v99
	s_waitcnt vmcnt(13)
	v_fmac_f32_e32 v134, v74, v115
	v_add_f32_e32 v79, v79, v133
	v_fma_f32 v48, v71, v114, -v48
	s_waitcnt vmcnt(12)
	v_fmac_f32_e32 v135, v76, v116
	v_add_f32_e32 v79, v79, v134
	v_add_f32_e32 v47, v47, v48
	v_mul_f32_e32 v48, v74, v100
	v_add_f32_e32 v83, v79, v135
	ds_read_b128 v[79:82], v46 offset:320
	v_fma_f32 v48, v73, v115, -v48
	v_add_f32_e32 v47, v47, v48
	v_mul_f32_e32 v48, v76, v101
	s_waitcnt vmcnt(11)
	v_mul_f32_e32 v84, v77, v117
	v_fma_f32 v48, v75, v116, -v48
	s_waitcnt vmcnt(10)
	v_fmac_f32_e32 v84, v78, v118
	v_add_f32_e32 v47, v47, v48
	v_mul_f32_e32 v48, v78, v117
	v_add_f32_e32 v129, v83, v84
	ds_read_b128 v[83:86], v46 offset:336
	v_fma_f32 v48, v77, v118, -v48
	v_add_f32_e32 v47, v47, v48
	s_waitcnt vmcnt(9) lgkmcnt(1)
	v_mul_f32_e32 v48, v80, v119
	v_mul_f32_e32 v46, v79, v119
	s_waitcnt vmcnt(8)
	v_fma_f32 v48, v79, v120, -v48
	v_fmac_f32_e32 v46, v80, v120
	v_add_f32_e32 v47, v47, v48
	s_waitcnt vmcnt(7)
	v_mul_f32_e32 v48, v82, v121
	v_add_f32_e32 v46, v129, v46
	v_mul_f32_e32 v129, v81, v121
	s_waitcnt vmcnt(6)
	v_fma_f32 v48, v81, v122, -v48
	v_fmac_f32_e32 v129, v82, v122
	v_add_f32_e32 v47, v47, v48
	s_waitcnt vmcnt(5) lgkmcnt(0)
	v_mul_f32_e32 v48, v84, v123
	v_add_f32_e32 v46, v46, v129
	v_mul_f32_e32 v129, v83, v123
	s_waitcnt vmcnt(4)
	v_fma_f32 v48, v83, v124, -v48
	v_fmac_f32_e32 v129, v84, v124
	v_add_f32_e32 v47, v47, v48
	s_waitcnt vmcnt(3)
	v_mul_f32_e32 v48, v86, v125
	v_add_f32_e32 v46, v46, v129
	v_mul_f32_e32 v129, v85, v125
	s_waitcnt vmcnt(2)
	v_fma_f32 v48, v85, v126, -v48
	v_fmac_f32_e32 v129, v86, v126
	v_add_f32_e32 v47, v47, v48
	v_add_f32_e32 v46, v46, v129
	s_waitcnt vmcnt(1)
	v_sub_f32_e32 v47, v127, v47
	s_waitcnt vmcnt(0)
	v_sub_f32_e32 v46, v128, v46
	buffer_store_dword v47, off, s[0:3], 0 offset:8
	buffer_store_dword v46, off, s[0:3], 0 offset:12
	s_and_saveexec_b64 s[4:5], vcc
	s_cbranch_execz .LBB21_145
; %bb.144:
	buffer_load_dword v46, off, s[0:3], 0
	buffer_load_dword v47, off, s[0:3], 0 offset:4
	v_mov_b32_e32 v0, 0
	buffer_store_dword v0, off, s[0:3], 0
	buffer_store_dword v0, off, s[0:3], 0 offset:4
	s_waitcnt vmcnt(2)
	ds_write_b64 v45, v[46:47]
.LBB21_145:
	s_or_b64 exec, exec, s[4:5]
	s_waitcnt lgkmcnt(0)
	; wave barrier
	buffer_load_dword v87, off, s[0:3], 0 offset:12
	buffer_load_dword v88, off, s[0:3], 0 offset:20
	;; [unrolled: 1-line block ×42, first 2 shown]
	buffer_load_dword v129, off, s[0:3], 0
	buffer_load_dword v130, off, s[0:3], 0 offset:4
	v_mov_b32_e32 v0, 0
	ds_read2_b64 v[45:48], v0 offset0:23 offset1:24
	ds_read2_b64 v[49:52], v0 offset0:25 offset1:26
	;; [unrolled: 1-line block ×8, first 2 shown]
	s_and_b64 vcc, exec, s[22:23]
	s_waitcnt vmcnt(43) lgkmcnt(7)
	v_mul_f32_e32 v77, v45, v87
	s_waitcnt vmcnt(42)
	v_mul_f32_e32 v78, v47, v88
	s_waitcnt vmcnt(41) lgkmcnt(6)
	v_mul_f32_e32 v79, v49, v89
	s_waitcnt vmcnt(40)
	v_mul_f32_e32 v80, v51, v90
	;; [unrolled: 4-line block ×7, first 2 shown]
	s_waitcnt vmcnt(29)
	v_fmac_f32_e32 v77, v46, v101
	v_mul_f32_e32 v46, v46, v87
	v_fma_f32 v45, v45, v101, -v46
	v_mul_f32_e32 v46, v48, v88
	v_add_f32_e32 v45, 0, v45
	s_waitcnt vmcnt(28)
	v_fma_f32 v46, v47, v102, -v46
	v_add_f32_e32 v45, v45, v46
	v_mul_f32_e32 v46, v50, v89
	s_waitcnt vmcnt(27)
	v_fma_f32 v46, v49, v103, -v46
	v_add_f32_e32 v45, v45, v46
	v_mul_f32_e32 v46, v52, v90
	;; [unrolled: 4-line block ×4, first 2 shown]
	s_waitcnt vmcnt(24)
	v_fma_f32 v46, v55, v106, -v46
	v_fmac_f32_e32 v78, v48, v102
	v_add_f32_e32 v77, 0, v77
	v_add_f32_e32 v45, v45, v46
	v_mul_f32_e32 v46, v58, v93
	v_fmac_f32_e32 v79, v50, v103
	v_add_f32_e32 v77, v77, v78
	s_waitcnt vmcnt(23)
	v_fma_f32 v46, v57, v107, -v46
	v_fmac_f32_e32 v80, v52, v104
	v_add_f32_e32 v77, v77, v79
	v_add_f32_e32 v45, v45, v46
	v_mul_f32_e32 v46, v60, v94
	v_fmac_f32_e32 v81, v54, v105
	v_add_f32_e32 v77, v77, v80
	;; [unrolled: 8-line block ×4, first 2 shown]
	s_waitcnt vmcnt(20)
	v_fma_f32 v46, v63, v110, -v46
	v_fmac_f32_e32 v86, v64, v110
	v_add_f32_e32 v77, v77, v85
	v_add_f32_e32 v45, v45, v46
	v_mul_f32_e32 v46, v66, v97
	s_waitcnt vmcnt(19)
	v_fmac_f32_e32 v131, v66, v111
	v_add_f32_e32 v77, v77, v86
	v_fma_f32 v46, v65, v111, -v46
	s_waitcnt vmcnt(18)
	v_fmac_f32_e32 v132, v68, v112
	v_add_f32_e32 v77, v77, v131
	v_add_f32_e32 v45, v45, v46
	v_mul_f32_e32 v46, v68, v98
	s_waitcnt vmcnt(17)
	v_fmac_f32_e32 v133, v70, v113
	v_add_f32_e32 v77, v77, v132
	v_fma_f32 v46, v67, v112, -v46
	v_add_f32_e32 v77, v77, v133
	s_waitcnt vmcnt(16)
	v_fmac_f32_e32 v134, v72, v114
	s_waitcnt vmcnt(15) lgkmcnt(0)
	v_mul_f32_e32 v78, v73, v115
	v_add_f32_e32 v45, v45, v46
	v_mul_f32_e32 v46, v70, v99
	v_add_f32_e32 v77, v77, v134
	s_waitcnt vmcnt(14)
	v_fmac_f32_e32 v78, v74, v116
	v_fma_f32 v46, v69, v113, -v46
	v_add_f32_e32 v81, v77, v78
	ds_read2_b64 v[77:80], v0 offset0:39 offset1:40
	v_add_f32_e32 v45, v45, v46
	v_mul_f32_e32 v46, v72, v100
	v_fma_f32 v46, v71, v114, -v46
	v_add_f32_e32 v45, v45, v46
	v_mul_f32_e32 v46, v74, v115
	s_waitcnt vmcnt(13)
	v_mul_f32_e32 v82, v75, v117
	v_fma_f32 v46, v73, v116, -v46
	s_waitcnt vmcnt(12)
	v_fmac_f32_e32 v82, v76, v118
	v_add_f32_e32 v45, v45, v46
	v_mul_f32_e32 v46, v76, v117
	v_add_f32_e32 v85, v81, v82
	ds_read2_b64 v[81:84], v0 offset0:41 offset1:42
	s_waitcnt vmcnt(11) lgkmcnt(1)
	v_mul_f32_e32 v86, v77, v119
	v_fma_f32 v46, v75, v118, -v46
	s_waitcnt vmcnt(10)
	v_fmac_f32_e32 v86, v78, v120
	v_add_f32_e32 v45, v45, v46
	v_mul_f32_e32 v46, v78, v119
	v_add_f32_e32 v85, v85, v86
	s_waitcnt vmcnt(9)
	v_mul_f32_e32 v86, v79, v121
	v_fma_f32 v46, v77, v120, -v46
	s_waitcnt vmcnt(8)
	v_fmac_f32_e32 v86, v80, v122
	v_add_f32_e32 v45, v45, v46
	v_mul_f32_e32 v46, v80, v121
	v_add_f32_e32 v131, v85, v86
	ds_read_b64 v[85:86], v0 offset:344
	v_fma_f32 v46, v79, v122, -v46
	v_add_f32_e32 v45, v45, v46
	s_waitcnt vmcnt(7) lgkmcnt(1)
	v_mul_f32_e32 v46, v82, v123
	v_mul_f32_e32 v132, v81, v123
	s_waitcnt vmcnt(6)
	v_fma_f32 v46, v81, v124, -v46
	v_fmac_f32_e32 v132, v82, v124
	v_add_f32_e32 v45, v45, v46
	s_waitcnt vmcnt(5)
	v_mul_f32_e32 v46, v84, v125
	v_add_f32_e32 v131, v131, v132
	v_mul_f32_e32 v132, v83, v125
	s_waitcnt vmcnt(4)
	v_fma_f32 v46, v83, v126, -v46
	v_fmac_f32_e32 v132, v84, v126
	v_add_f32_e32 v45, v45, v46
	s_waitcnt vmcnt(3) lgkmcnt(0)
	v_mul_f32_e32 v46, v86, v127
	v_add_f32_e32 v131, v131, v132
	v_mul_f32_e32 v132, v85, v127
	s_waitcnt vmcnt(2)
	v_fma_f32 v46, v85, v128, -v46
	v_fmac_f32_e32 v132, v86, v128
	v_add_f32_e32 v45, v45, v46
	v_add_f32_e32 v131, v131, v132
	s_waitcnt vmcnt(1)
	v_sub_f32_e32 v45, v129, v45
	s_waitcnt vmcnt(0)
	v_sub_f32_e32 v46, v130, v131
	buffer_store_dword v45, off, s[0:3], 0
	buffer_store_dword v46, off, s[0:3], 0 offset:4
	s_cbranch_vccz .LBB21_188
; %bb.146:
	global_load_dword v0, v0, s[20:21] offset:80
	s_waitcnt vmcnt(0)
	v_add_u32_e32 v0, -1, v0
	v_cmp_ne_u32_e32 vcc, 20, v0
	s_cbranch_vccz .LBB21_148
; %bb.147:
	v_lshlrev_b32_e32 v0, 3, v0
	buffer_load_dword v45, v0, s[0:3], 0 offen
	buffer_load_dword v46, v0, s[0:3], 0 offen offset:4
	buffer_load_dword v47, off, s[0:3], 0 offset:164
	buffer_load_dword v48, off, s[0:3], 0 offset:160
	s_waitcnt vmcnt(3)
	buffer_store_dword v45, off, s[0:3], 0 offset:160
	s_waitcnt vmcnt(3)
	buffer_store_dword v46, off, s[0:3], 0 offset:164
	s_waitcnt vmcnt(3)
	buffer_store_dword v47, v0, s[0:3], 0 offen offset:4
	s_waitcnt vmcnt(3)
	buffer_store_dword v48, v0, s[0:3], 0 offen
.LBB21_148:
	v_mov_b32_e32 v0, 0
	global_load_dword v45, v0, s[20:21] offset:76
	s_waitcnt vmcnt(0)
	v_add_u32_e32 v45, -1, v45
	v_cmp_eq_u32_e32 vcc, 19, v45
	s_cbranch_vccnz .LBB21_150
; %bb.149:
	v_lshlrev_b32_e32 v45, 3, v45
	buffer_load_dword v46, v45, s[0:3], 0 offen
	buffer_load_dword v47, v45, s[0:3], 0 offen offset:4
	buffer_load_dword v48, off, s[0:3], 0 offset:152
	buffer_load_dword v49, off, s[0:3], 0 offset:156
	s_waitcnt vmcnt(3)
	buffer_store_dword v46, off, s[0:3], 0 offset:152
	s_waitcnt vmcnt(3)
	buffer_store_dword v47, off, s[0:3], 0 offset:156
	s_waitcnt vmcnt(3)
	buffer_store_dword v48, v45, s[0:3], 0 offen
	s_waitcnt vmcnt(3)
	buffer_store_dword v49, v45, s[0:3], 0 offen offset:4
.LBB21_150:
	global_load_dword v0, v0, s[20:21] offset:72
	s_waitcnt vmcnt(0)
	v_add_u32_e32 v0, -1, v0
	v_cmp_eq_u32_e32 vcc, 18, v0
	s_cbranch_vccnz .LBB21_152
; %bb.151:
	v_lshlrev_b32_e32 v0, 3, v0
	buffer_load_dword v45, v0, s[0:3], 0 offen
	buffer_load_dword v46, v0, s[0:3], 0 offen offset:4
	buffer_load_dword v47, off, s[0:3], 0 offset:148
	buffer_load_dword v48, off, s[0:3], 0 offset:144
	s_waitcnt vmcnt(3)
	buffer_store_dword v45, off, s[0:3], 0 offset:144
	s_waitcnt vmcnt(3)
	buffer_store_dword v46, off, s[0:3], 0 offset:148
	s_waitcnt vmcnt(3)
	buffer_store_dword v47, v0, s[0:3], 0 offen offset:4
	s_waitcnt vmcnt(3)
	buffer_store_dword v48, v0, s[0:3], 0 offen
.LBB21_152:
	v_mov_b32_e32 v0, 0
	global_load_dword v45, v0, s[20:21] offset:68
	s_waitcnt vmcnt(0)
	v_add_u32_e32 v45, -1, v45
	v_cmp_eq_u32_e32 vcc, 17, v45
	s_cbranch_vccnz .LBB21_154
; %bb.153:
	v_lshlrev_b32_e32 v45, 3, v45
	buffer_load_dword v46, v45, s[0:3], 0 offen
	buffer_load_dword v47, v45, s[0:3], 0 offen offset:4
	buffer_load_dword v48, off, s[0:3], 0 offset:136
	buffer_load_dword v49, off, s[0:3], 0 offset:140
	s_waitcnt vmcnt(3)
	buffer_store_dword v46, off, s[0:3], 0 offset:136
	s_waitcnt vmcnt(3)
	buffer_store_dword v47, off, s[0:3], 0 offset:140
	s_waitcnt vmcnt(3)
	buffer_store_dword v48, v45, s[0:3], 0 offen
	s_waitcnt vmcnt(3)
	buffer_store_dword v49, v45, s[0:3], 0 offen offset:4
.LBB21_154:
	global_load_dword v0, v0, s[20:21] offset:64
	s_waitcnt vmcnt(0)
	v_add_u32_e32 v0, -1, v0
	v_cmp_eq_u32_e32 vcc, 16, v0
	s_cbranch_vccnz .LBB21_156
; %bb.155:
	v_lshlrev_b32_e32 v0, 3, v0
	buffer_load_dword v45, v0, s[0:3], 0 offen
	buffer_load_dword v46, v0, s[0:3], 0 offen offset:4
	buffer_load_dword v47, off, s[0:3], 0 offset:132
	buffer_load_dword v48, off, s[0:3], 0 offset:128
	s_waitcnt vmcnt(3)
	buffer_store_dword v45, off, s[0:3], 0 offset:128
	s_waitcnt vmcnt(3)
	buffer_store_dword v46, off, s[0:3], 0 offset:132
	s_waitcnt vmcnt(3)
	buffer_store_dword v47, v0, s[0:3], 0 offen offset:4
	s_waitcnt vmcnt(3)
	buffer_store_dword v48, v0, s[0:3], 0 offen
.LBB21_156:
	;; [unrolled: 41-line block ×9, first 2 shown]
	v_mov_b32_e32 v0, 0
	global_load_dword v45, v0, s[20:21] offset:4
	s_waitcnt vmcnt(0)
	v_add_u32_e32 v45, -1, v45
	v_cmp_eq_u32_e32 vcc, 1, v45
	s_cbranch_vccnz .LBB21_186
; %bb.185:
	v_lshlrev_b32_e32 v45, 3, v45
	buffer_load_dword v46, v45, s[0:3], 0 offen
	buffer_load_dword v47, v45, s[0:3], 0 offen offset:4
	buffer_load_dword v48, off, s[0:3], 0 offset:8
	buffer_load_dword v49, off, s[0:3], 0 offset:12
	s_waitcnt vmcnt(3)
	buffer_store_dword v46, off, s[0:3], 0 offset:8
	s_waitcnt vmcnt(3)
	buffer_store_dword v47, off, s[0:3], 0 offset:12
	s_waitcnt vmcnt(3)
	buffer_store_dword v48, v45, s[0:3], 0 offen
	s_waitcnt vmcnt(3)
	buffer_store_dword v49, v45, s[0:3], 0 offen offset:4
.LBB21_186:
	global_load_dword v0, v0, s[20:21]
	s_waitcnt vmcnt(0)
	v_add_u32_e32 v0, -1, v0
	v_cmp_eq_u32_e32 vcc, 0, v0
	s_cbranch_vccnz .LBB21_188
; %bb.187:
	v_lshlrev_b32_e32 v0, 3, v0
	buffer_load_dword v45, v0, s[0:3], 0 offen
	buffer_load_dword v46, v0, s[0:3], 0 offen offset:4
	buffer_load_dword v47, off, s[0:3], 0 offset:4
	buffer_load_dword v48, off, s[0:3], 0
	s_waitcnt vmcnt(3)
	buffer_store_dword v45, off, s[0:3], 0
	s_waitcnt vmcnt(3)
	buffer_store_dword v46, off, s[0:3], 0 offset:4
	s_waitcnt vmcnt(3)
	buffer_store_dword v47, v0, s[0:3], 0 offen offset:4
	s_waitcnt vmcnt(3)
	buffer_store_dword v48, v0, s[0:3], 0 offen
.LBB21_188:
	buffer_load_dword v45, off, s[0:3], 0
	buffer_load_dword v46, off, s[0:3], 0 offset:4
	buffer_load_dword v47, off, s[0:3], 0 offset:8
	s_nop 0
	buffer_load_dword v48, off, s[0:3], 0 offset:12
	buffer_load_dword v49, off, s[0:3], 0 offset:16
	;; [unrolled: 1-line block ×41, first 2 shown]
	s_waitcnt vmcnt(42)
	global_store_dwordx2 v[37:38], v[45:46], off
	s_waitcnt vmcnt(41)
	global_store_dwordx2 v[39:40], v[47:48], off
	;; [unrolled: 2-line block ×9, first 2 shown]
	global_store_dwordx2 v[15:16], v[63:64], off
	global_store_dwordx2 v[17:18], v[65:66], off
	;; [unrolled: 1-line block ×3, first 2 shown]
	s_waitcnt vmcnt(30)
	global_store_dwordx2 v[21:22], v[69:70], off
	s_waitcnt vmcnt(29)
	global_store_dwordx2 v[23:24], v[71:72], off
	;; [unrolled: 2-line block ×10, first 2 shown]
	s_endpgm
	.section	.rodata,"a",@progbits
	.p2align	6, 0x0
	.amdhsa_kernel _ZN9rocsolver6v33100L18getri_kernel_smallILi22E19rocblas_complex_numIfEPS3_EEvT1_iilPiilS6_bb
		.amdhsa_group_segment_fixed_size 356
		.amdhsa_private_segment_fixed_size 192
		.amdhsa_kernarg_size 60
		.amdhsa_user_sgpr_count 6
		.amdhsa_user_sgpr_private_segment_buffer 1
		.amdhsa_user_sgpr_dispatch_ptr 0
		.amdhsa_user_sgpr_queue_ptr 0
		.amdhsa_user_sgpr_kernarg_segment_ptr 1
		.amdhsa_user_sgpr_dispatch_id 0
		.amdhsa_user_sgpr_flat_scratch_init 0
		.amdhsa_user_sgpr_private_segment_size 0
		.amdhsa_uses_dynamic_stack 0
		.amdhsa_system_sgpr_private_segment_wavefront_offset 1
		.amdhsa_system_sgpr_workgroup_id_x 1
		.amdhsa_system_sgpr_workgroup_id_y 0
		.amdhsa_system_sgpr_workgroup_id_z 0
		.amdhsa_system_sgpr_workgroup_info 0
		.amdhsa_system_vgpr_workitem_id 0
		.amdhsa_next_free_vgpr 136
		.amdhsa_next_free_sgpr 24
		.amdhsa_reserve_vcc 1
		.amdhsa_reserve_flat_scratch 0
		.amdhsa_float_round_mode_32 0
		.amdhsa_float_round_mode_16_64 0
		.amdhsa_float_denorm_mode_32 3
		.amdhsa_float_denorm_mode_16_64 3
		.amdhsa_dx10_clamp 1
		.amdhsa_ieee_mode 1
		.amdhsa_fp16_overflow 0
		.amdhsa_exception_fp_ieee_invalid_op 0
		.amdhsa_exception_fp_denorm_src 0
		.amdhsa_exception_fp_ieee_div_zero 0
		.amdhsa_exception_fp_ieee_overflow 0
		.amdhsa_exception_fp_ieee_underflow 0
		.amdhsa_exception_fp_ieee_inexact 0
		.amdhsa_exception_int_div_zero 0
	.end_amdhsa_kernel
	.section	.text._ZN9rocsolver6v33100L18getri_kernel_smallILi22E19rocblas_complex_numIfEPS3_EEvT1_iilPiilS6_bb,"axG",@progbits,_ZN9rocsolver6v33100L18getri_kernel_smallILi22E19rocblas_complex_numIfEPS3_EEvT1_iilPiilS6_bb,comdat
.Lfunc_end21:
	.size	_ZN9rocsolver6v33100L18getri_kernel_smallILi22E19rocblas_complex_numIfEPS3_EEvT1_iilPiilS6_bb, .Lfunc_end21-_ZN9rocsolver6v33100L18getri_kernel_smallILi22E19rocblas_complex_numIfEPS3_EEvT1_iilPiilS6_bb
                                        ; -- End function
	.set _ZN9rocsolver6v33100L18getri_kernel_smallILi22E19rocblas_complex_numIfEPS3_EEvT1_iilPiilS6_bb.num_vgpr, 136
	.set _ZN9rocsolver6v33100L18getri_kernel_smallILi22E19rocblas_complex_numIfEPS3_EEvT1_iilPiilS6_bb.num_agpr, 0
	.set _ZN9rocsolver6v33100L18getri_kernel_smallILi22E19rocblas_complex_numIfEPS3_EEvT1_iilPiilS6_bb.numbered_sgpr, 24
	.set _ZN9rocsolver6v33100L18getri_kernel_smallILi22E19rocblas_complex_numIfEPS3_EEvT1_iilPiilS6_bb.num_named_barrier, 0
	.set _ZN9rocsolver6v33100L18getri_kernel_smallILi22E19rocblas_complex_numIfEPS3_EEvT1_iilPiilS6_bb.private_seg_size, 192
	.set _ZN9rocsolver6v33100L18getri_kernel_smallILi22E19rocblas_complex_numIfEPS3_EEvT1_iilPiilS6_bb.uses_vcc, 1
	.set _ZN9rocsolver6v33100L18getri_kernel_smallILi22E19rocblas_complex_numIfEPS3_EEvT1_iilPiilS6_bb.uses_flat_scratch, 0
	.set _ZN9rocsolver6v33100L18getri_kernel_smallILi22E19rocblas_complex_numIfEPS3_EEvT1_iilPiilS6_bb.has_dyn_sized_stack, 0
	.set _ZN9rocsolver6v33100L18getri_kernel_smallILi22E19rocblas_complex_numIfEPS3_EEvT1_iilPiilS6_bb.has_recursion, 0
	.set _ZN9rocsolver6v33100L18getri_kernel_smallILi22E19rocblas_complex_numIfEPS3_EEvT1_iilPiilS6_bb.has_indirect_call, 0
	.section	.AMDGPU.csdata,"",@progbits
; Kernel info:
; codeLenInByte = 24604
; TotalNumSgprs: 28
; NumVgprs: 136
; ScratchSize: 192
; MemoryBound: 0
; FloatMode: 240
; IeeeMode: 1
; LDSByteSize: 356 bytes/workgroup (compile time only)
; SGPRBlocks: 3
; VGPRBlocks: 33
; NumSGPRsForWavesPerEU: 28
; NumVGPRsForWavesPerEU: 136
; Occupancy: 1
; WaveLimiterHint : 1
; COMPUTE_PGM_RSRC2:SCRATCH_EN: 1
; COMPUTE_PGM_RSRC2:USER_SGPR: 6
; COMPUTE_PGM_RSRC2:TRAP_HANDLER: 0
; COMPUTE_PGM_RSRC2:TGID_X_EN: 1
; COMPUTE_PGM_RSRC2:TGID_Y_EN: 0
; COMPUTE_PGM_RSRC2:TGID_Z_EN: 0
; COMPUTE_PGM_RSRC2:TIDIG_COMP_CNT: 0
	.section	.text._ZN9rocsolver6v33100L18getri_kernel_smallILi23E19rocblas_complex_numIfEPS3_EEvT1_iilPiilS6_bb,"axG",@progbits,_ZN9rocsolver6v33100L18getri_kernel_smallILi23E19rocblas_complex_numIfEPS3_EEvT1_iilPiilS6_bb,comdat
	.globl	_ZN9rocsolver6v33100L18getri_kernel_smallILi23E19rocblas_complex_numIfEPS3_EEvT1_iilPiilS6_bb ; -- Begin function _ZN9rocsolver6v33100L18getri_kernel_smallILi23E19rocblas_complex_numIfEPS3_EEvT1_iilPiilS6_bb
	.p2align	8
	.type	_ZN9rocsolver6v33100L18getri_kernel_smallILi23E19rocblas_complex_numIfEPS3_EEvT1_iilPiilS6_bb,@function
_ZN9rocsolver6v33100L18getri_kernel_smallILi23E19rocblas_complex_numIfEPS3_EEvT1_iilPiilS6_bb: ; @_ZN9rocsolver6v33100L18getri_kernel_smallILi23E19rocblas_complex_numIfEPS3_EEvT1_iilPiilS6_bb
; %bb.0:
	s_add_u32 s0, s0, s7
	s_addc_u32 s1, s1, 0
	v_cmp_gt_u32_e32 vcc, 23, v0
	s_and_saveexec_b64 s[8:9], vcc
	s_cbranch_execz .LBB22_106
; %bb.1:
	s_load_dword s12, s[4:5], 0x38
	s_load_dwordx4 s[16:19], s[4:5], 0x10
	s_load_dwordx4 s[8:11], s[4:5], 0x28
                                        ; implicit-def: $sgpr20_sgpr21
	s_waitcnt lgkmcnt(0)
	s_bitcmp1_b32 s12, 8
	s_cselect_b64 s[22:23], -1, 0
	s_ashr_i32 s7, s6, 31
	s_bfe_u32 s12, s12, 0x10008
	s_cmp_eq_u32 s12, 0
	s_cbranch_scc1 .LBB22_3
; %bb.2:
	s_load_dword s12, s[4:5], 0x20
	s_mul_i32 s13, s8, s7
	s_mul_hi_u32 s14, s8, s6
	s_mul_i32 s9, s9, s6
	s_add_i32 s14, s14, s13
	s_add_i32 s9, s14, s9
	s_mul_i32 s8, s8, s6
	s_waitcnt lgkmcnt(0)
	s_ashr_i32 s13, s12, 31
	s_lshl_b64 s[8:9], s[8:9], 2
	s_add_u32 s14, s18, s8
	s_addc_u32 s15, s19, s9
	s_lshl_b64 s[8:9], s[12:13], 2
	s_add_u32 s20, s14, s8
	s_addc_u32 s21, s15, s9
.LBB22_3:
	s_load_dwordx4 s[12:15], s[4:5], 0x0
	s_load_dword s8, s[4:5], 0x38
	s_mul_i32 s9, s16, s7
	s_mul_hi_u32 s18, s16, s6
	s_add_i32 s9, s18, s9
	s_waitcnt lgkmcnt(0)
	s_ashr_i32 s5, s14, 31
	s_mov_b32 s4, s14
	s_mul_i32 s14, s17, s6
	s_add_i32 s17, s9, s14
	s_mul_i32 s16, s16, s6
	s_lshl_b64 s[16:17], s[16:17], 3
	s_add_u32 s9, s12, s16
	s_addc_u32 s12, s13, s17
	s_lshl_b64 s[4:5], s[4:5], 3
	s_add_u32 s4, s9, s4
	s_addc_u32 s5, s12, s5
	s_add_i32 s9, s15, s15
	v_add_u32_e32 v3, s9, v0
	v_ashrrev_i32_e32 v4, 31, v3
	v_lshlrev_b64 v[1:2], 3, v[3:4]
	v_add_u32_e32 v5, s15, v3
	v_mov_b32_e32 v4, s5
	v_add_co_u32_e32 v1, vcc, s4, v1
	v_ashrrev_i32_e32 v6, 31, v5
	v_addc_co_u32_e32 v2, vcc, v4, v2, vcc
	v_lshlrev_b64 v[3:4], 3, v[5:6]
	v_add_u32_e32 v7, s15, v5
	v_mov_b32_e32 v6, s5
	v_add_co_u32_e32 v3, vcc, s4, v3
	v_ashrrev_i32_e32 v8, 31, v7
	v_addc_co_u32_e32 v4, vcc, v6, v4, vcc
	;; [unrolled: 6-line block ×8, first 2 shown]
	v_lshlrev_b64 v[17:18], 3, v[19:20]
	v_mov_b32_e32 v21, s5
	v_add_co_u32_e32 v17, vcc, s4, v17
	v_addc_co_u32_e32 v18, vcc, v21, v18, vcc
	v_add_u32_e32 v21, s15, v19
	v_ashrrev_i32_e32 v22, 31, v21
	v_lshlrev_b64 v[19:20], 3, v[21:22]
	v_mov_b32_e32 v23, s5
	v_add_co_u32_e32 v19, vcc, s4, v19
	v_addc_co_u32_e32 v20, vcc, v23, v20, vcc
	v_add_u32_e32 v23, s15, v21
	v_ashrrev_i32_e32 v24, 31, v23
	;; [unrolled: 6-line block ×9, first 2 shown]
	v_lshlrev_b64 v[35:36], 3, v[37:38]
	v_mov_b32_e32 v39, s5
	v_add_co_u32_e32 v35, vcc, s4, v35
	v_addc_co_u32_e32 v36, vcc, v39, v36, vcc
	v_lshlrev_b32_e32 v49, 3, v0
	v_add_u32_e32 v43, s15, v37
	v_mov_b32_e32 v38, s5
	v_add_co_u32_e32 v37, vcc, s4, v49
	s_ashr_i32 s13, s15, 31
	s_mov_b32 s12, s15
	v_addc_co_u32_e32 v38, vcc, 0, v38, vcc
	s_lshl_b64 s[12:13], s[12:13], 3
	v_ashrrev_i32_e32 v44, 31, v43
	v_mov_b32_e32 v39, s13
	v_add_co_u32_e32 v41, vcc, s12, v37
	v_addc_co_u32_e32 v42, vcc, v38, v39, vcc
	v_lshlrev_b64 v[39:40], 3, v[43:44]
	v_mov_b32_e32 v45, s5
	v_add_co_u32_e32 v39, vcc, s4, v39
	v_addc_co_u32_e32 v40, vcc, v45, v40, vcc
	v_add_u32_e32 v45, s15, v43
	v_ashrrev_i32_e32 v46, 31, v45
	v_lshlrev_b64 v[43:44], 3, v[45:46]
	v_mov_b32_e32 v76, s5
	v_add_co_u32_e32 v43, vcc, s4, v43
	global_load_dwordx2 v[47:48], v49, s[4:5]
	global_load_dwordx2 v[50:51], v[41:42], off
	global_load_dwordx2 v[52:53], v[1:2], off
	;; [unrolled: 1-line block ×13, first 2 shown]
	v_addc_co_u32_e32 v44, vcc, v76, v44, vcc
	global_load_dwordx2 v[76:77], v[25:26], off
	global_load_dwordx2 v[78:79], v[27:28], off
	;; [unrolled: 1-line block ×8, first 2 shown]
	v_add_u32_e32 v45, s15, v45
	v_ashrrev_i32_e32 v46, 31, v45
	v_lshlrev_b64 v[45:46], 3, v[45:46]
	v_mov_b32_e32 v92, s5
	v_add_co_u32_e32 v45, vcc, s4, v45
	v_addc_co_u32_e32 v46, vcc, v92, v46, vcc
	global_load_dwordx2 v[92:93], v[45:46], off
	s_bitcmp0_b32 s8, 0
	s_mov_b64 s[8:9], -1
	s_waitcnt vmcnt(22)
	buffer_store_dword v48, off, s[0:3], 0 offset:4
	buffer_store_dword v47, off, s[0:3], 0
	s_waitcnt vmcnt(23)
	buffer_store_dword v51, off, s[0:3], 0 offset:12
	buffer_store_dword v50, off, s[0:3], 0 offset:8
	s_waitcnt vmcnt(24)
	buffer_store_dword v53, off, s[0:3], 0 offset:20
	buffer_store_dword v52, off, s[0:3], 0 offset:16
	;; [unrolled: 3-line block ×22, first 2 shown]
	s_cbranch_scc1 .LBB22_104
; %bb.4:
	v_cmp_eq_u32_e64 s[4:5], 0, v0
	s_and_saveexec_b64 s[8:9], s[4:5]
; %bb.5:
	v_mov_b32_e32 v47, 0
	ds_write_b32 v47, v47 offset:184
; %bb.6:
	s_or_b64 exec, exec, s[8:9]
	v_mov_b32_e32 v47, 0
	v_lshl_add_u32 v51, v0, 3, v47
	s_waitcnt lgkmcnt(0)
	; wave barrier
	buffer_load_dword v47, v51, s[0:3], 0 offen
	buffer_load_dword v48, v51, s[0:3], 0 offen offset:4
	s_waitcnt vmcnt(1)
	v_cmp_eq_f32_e32 vcc, 0, v47
	s_waitcnt vmcnt(0)
	v_cmp_eq_f32_e64 s[8:9], 0, v48
	s_and_b64 s[8:9], vcc, s[8:9]
	s_and_saveexec_b64 s[12:13], s[8:9]
	s_cbranch_execz .LBB22_10
; %bb.7:
	v_mov_b32_e32 v47, 0
	ds_read_b32 v50, v47 offset:184
	v_add_u32_e32 v48, 1, v0
	s_waitcnt lgkmcnt(0)
	v_readfirstlane_b32 s8, v50
	s_cmp_eq_u32 s8, 0
	s_cselect_b64 s[14:15], -1, 0
	v_cmp_gt_i32_e32 vcc, s8, v48
	s_or_b64 s[14:15], s[14:15], vcc
	s_and_b64 exec, exec, s[14:15]
	s_cbranch_execz .LBB22_10
; %bb.8:
	s_mov_b64 s[14:15], 0
	v_mov_b32_e32 v50, s8
.LBB22_9:                               ; =>This Inner Loop Header: Depth=1
	ds_cmpst_rtn_b32 v50, v47, v50, v48 offset:184
	s_waitcnt lgkmcnt(0)
	v_cmp_ne_u32_e32 vcc, 0, v50
	v_cmp_le_i32_e64 s[8:9], v50, v48
	s_and_b64 s[8:9], vcc, s[8:9]
	s_and_b64 s[8:9], exec, s[8:9]
	s_or_b64 s[14:15], s[8:9], s[14:15]
	s_andn2_b64 exec, exec, s[14:15]
	s_cbranch_execnz .LBB22_9
.LBB22_10:
	s_or_b64 exec, exec, s[12:13]
	v_mov_b32_e32 v48, 0
	; wave barrier
	ds_read_b32 v47, v48 offset:184
	s_and_saveexec_b64 s[8:9], s[4:5]
	s_cbranch_execz .LBB22_12
; %bb.11:
	s_lshl_b64 s[12:13], s[6:7], 2
	s_add_u32 s12, s10, s12
	s_addc_u32 s13, s11, s13
	s_waitcnt lgkmcnt(0)
	global_store_dword v48, v47, s[12:13]
.LBB22_12:
	s_or_b64 exec, exec, s[8:9]
	s_waitcnt lgkmcnt(0)
	v_cmp_ne_u32_e32 vcc, 0, v47
	s_mov_b64 s[8:9], 0
	s_cbranch_vccnz .LBB22_104
; %bb.13:
	buffer_load_dword v48, v51, s[0:3], 0 offen
	buffer_load_dword v50, v51, s[0:3], 0 offen offset:4
                                        ; implicit-def: $vgpr53
                                        ; implicit-def: $vgpr52
                                        ; implicit-def: $vgpr47
	s_waitcnt vmcnt(0)
	v_cmp_ngt_f32_e64 s[8:9], |v48|, |v50|
	s_and_saveexec_b64 s[12:13], s[8:9]
	s_xor_b64 s[8:9], exec, s[12:13]
	s_cbranch_execz .LBB22_15
; %bb.14:
	v_div_scale_f32 v47, s[12:13], v50, v50, v48
	v_div_scale_f32 v52, vcc, v48, v50, v48
	v_rcp_f32_e32 v53, v47
	v_fma_f32 v54, -v47, v53, 1.0
	v_fmac_f32_e32 v53, v54, v53
	v_mul_f32_e32 v54, v52, v53
	v_fma_f32 v55, -v47, v54, v52
	v_fmac_f32_e32 v54, v55, v53
	v_fma_f32 v47, -v47, v54, v52
	v_div_fmas_f32 v47, v47, v53, v54
	v_div_fixup_f32 v47, v47, v50, v48
	v_fmac_f32_e32 v50, v48, v47
	v_div_scale_f32 v48, s[12:13], v50, v50, 1.0
	v_div_scale_f32 v52, vcc, 1.0, v50, 1.0
	v_rcp_f32_e32 v53, v48
	v_fma_f32 v54, -v48, v53, 1.0
	v_fmac_f32_e32 v53, v54, v53
	v_mul_f32_e32 v54, v52, v53
	v_fma_f32 v55, -v48, v54, v52
	v_fmac_f32_e32 v54, v55, v53
	v_fma_f32 v48, -v48, v54, v52
	v_div_fmas_f32 v48, v48, v53, v54
	v_div_fixup_f32 v48, v48, v50, 1.0
	v_mul_f32_e32 v53, v47, v48
	v_xor_b32_e32 v52, 0x80000000, v48
	v_xor_b32_e32 v47, 0x80000000, v53
                                        ; implicit-def: $vgpr48
                                        ; implicit-def: $vgpr50
.LBB22_15:
	s_andn2_saveexec_b64 s[8:9], s[8:9]
	s_cbranch_execz .LBB22_17
; %bb.16:
	v_div_scale_f32 v47, s[12:13], v48, v48, v50
	v_div_scale_f32 v52, vcc, v50, v48, v50
	v_rcp_f32_e32 v53, v47
	v_fma_f32 v54, -v47, v53, 1.0
	v_fmac_f32_e32 v53, v54, v53
	v_mul_f32_e32 v54, v52, v53
	v_fma_f32 v55, -v47, v54, v52
	v_fmac_f32_e32 v54, v55, v53
	v_fma_f32 v47, -v47, v54, v52
	v_div_fmas_f32 v47, v47, v53, v54
	v_div_fixup_f32 v52, v47, v48, v50
	v_fmac_f32_e32 v48, v50, v52
	v_div_scale_f32 v47, s[12:13], v48, v48, 1.0
	v_div_scale_f32 v50, vcc, 1.0, v48, 1.0
	v_rcp_f32_e32 v53, v47
	v_fma_f32 v54, -v47, v53, 1.0
	v_fmac_f32_e32 v53, v54, v53
	v_mul_f32_e32 v54, v50, v53
	v_fma_f32 v55, -v47, v54, v50
	v_fmac_f32_e32 v54, v55, v53
	v_fma_f32 v47, -v47, v54, v50
	v_div_fmas_f32 v47, v47, v53, v54
	v_div_fixup_f32 v53, v47, v48, 1.0
	v_xor_b32_e32 v47, 0x80000000, v53
	v_mul_f32_e64 v52, v52, -v53
.LBB22_17:
	s_or_b64 exec, exec, s[8:9]
	buffer_store_dword v53, v51, s[0:3], 0 offen
	buffer_store_dword v52, v51, s[0:3], 0 offen offset:4
	buffer_load_dword v54, off, s[0:3], 0 offset:12
	s_nop 0
	buffer_load_dword v53, off, s[0:3], 0 offset:8
	v_xor_b32_e32 v48, 0x80000000, v52
	v_add_u32_e32 v50, 0xc0, v49
	s_waitcnt vmcnt(0)
	ds_write2_b64 v49, v[47:48], v[53:54] offset1:24
	s_waitcnt lgkmcnt(0)
	; wave barrier
	s_and_saveexec_b64 s[8:9], s[4:5]
	s_cbranch_execz .LBB22_19
; %bb.18:
	buffer_load_dword v54, v51, s[0:3], 0 offen offset:4
	buffer_load_dword v55, v51, s[0:3], 0 offen
	ds_read_b64 v[47:48], v50
	v_mov_b32_e32 v52, 0
	ds_read_b64 v[52:53], v52 offset:8
	s_waitcnt vmcnt(1) lgkmcnt(1)
	v_mul_f32_e32 v56, v48, v54
	v_mul_f32_e32 v54, v47, v54
	s_waitcnt vmcnt(0)
	v_fmac_f32_e32 v54, v48, v55
	v_fma_f32 v47, v47, v55, -v56
	v_add_f32_e32 v48, 0, v54
	v_add_f32_e32 v47, 0, v47
	s_waitcnt lgkmcnt(0)
	v_mul_f32_e32 v54, v48, v53
	v_mul_f32_e32 v53, v47, v53
	v_fma_f32 v47, v47, v52, -v54
	v_fmac_f32_e32 v53, v48, v52
	buffer_store_dword v47, off, s[0:3], 0 offset:8
	buffer_store_dword v53, off, s[0:3], 0 offset:12
.LBB22_19:
	s_or_b64 exec, exec, s[8:9]
	; wave barrier
	buffer_load_dword v47, off, s[0:3], 0 offset:16
	buffer_load_dword v48, off, s[0:3], 0 offset:20
	v_cmp_gt_u32_e32 vcc, 2, v0
	s_waitcnt vmcnt(0)
	ds_write_b64 v50, v[47:48]
	s_waitcnt lgkmcnt(0)
	; wave barrier
	s_and_saveexec_b64 s[8:9], vcc
	s_cbranch_execz .LBB22_23
; %bb.20:
	buffer_load_dword v52, v51, s[0:3], 0 offen offset:4
	buffer_load_dword v53, v51, s[0:3], 0 offen
	ds_read_b64 v[47:48], v50
	s_waitcnt vmcnt(1) lgkmcnt(0)
	v_mul_f32_e32 v51, v48, v52
	v_mul_f32_e32 v52, v47, v52
	s_waitcnt vmcnt(0)
	v_fma_f32 v47, v47, v53, -v51
	v_fmac_f32_e32 v52, v48, v53
	v_add_f32_e32 v48, 0, v47
	v_add_f32_e32 v47, 0, v52
	s_and_saveexec_b64 s[12:13], s[4:5]
	s_cbranch_execz .LBB22_22
; %bb.21:
	buffer_load_dword v53, off, s[0:3], 0 offset:12
	buffer_load_dword v54, off, s[0:3], 0 offset:8
	v_mov_b32_e32 v51, 0
	ds_read_b64 v[51:52], v51 offset:200
	s_waitcnt vmcnt(1) lgkmcnt(0)
	v_mul_f32_e32 v55, v51, v53
	v_mul_f32_e32 v53, v52, v53
	s_waitcnt vmcnt(0)
	v_fmac_f32_e32 v55, v52, v54
	v_fma_f32 v51, v51, v54, -v53
	v_add_f32_e32 v47, v47, v55
	v_add_f32_e32 v48, v48, v51
.LBB22_22:
	s_or_b64 exec, exec, s[12:13]
	v_mov_b32_e32 v51, 0
	ds_read_b64 v[51:52], v51 offset:16
	s_waitcnt lgkmcnt(0)
	v_mul_f32_e32 v53, v47, v52
	v_mul_f32_e32 v52, v48, v52
	v_fma_f32 v48, v48, v51, -v53
	v_fmac_f32_e32 v52, v47, v51
	buffer_store_dword v48, off, s[0:3], 0 offset:16
	buffer_store_dword v52, off, s[0:3], 0 offset:20
.LBB22_23:
	s_or_b64 exec, exec, s[8:9]
	; wave barrier
	buffer_load_dword v47, off, s[0:3], 0 offset:24
	buffer_load_dword v48, off, s[0:3], 0 offset:28
	v_cmp_gt_u32_e32 vcc, 3, v0
	s_waitcnt vmcnt(0)
	ds_write_b64 v50, v[47:48]
	v_add_u32_e32 v47, -1, v0
	s_waitcnt lgkmcnt(0)
	; wave barrier
	s_and_saveexec_b64 s[4:5], vcc
	s_cbranch_execz .LBB22_27
; %bb.24:
	v_add_u32_e32 v51, -1, v0
	v_add_u32_e32 v52, 0xc0, v49
	v_mov_b32_e32 v53, v49
	v_mov_b32_e32 v48, 0
	s_mov_b64 s[8:9], 0
	v_mov_b32_e32 v54, 0
.LBB22_25:                              ; =>This Inner Loop Header: Depth=1
	buffer_load_dword v57, v53, s[0:3], 0 offen offset:4
	buffer_load_dword v58, v53, s[0:3], 0 offen
	ds_read_b64 v[55:56], v52
	v_add_u32_e32 v51, 1, v51
	v_cmp_lt_u32_e32 vcc, 1, v51
	v_add_u32_e32 v52, 8, v52
	v_add_u32_e32 v53, 8, v53
	s_or_b64 s[8:9], vcc, s[8:9]
	s_waitcnt vmcnt(1) lgkmcnt(0)
	v_mul_f32_e32 v59, v56, v57
	v_mul_f32_e32 v57, v55, v57
	s_waitcnt vmcnt(0)
	v_fma_f32 v55, v55, v58, -v59
	v_fmac_f32_e32 v57, v56, v58
	v_add_f32_e32 v54, v54, v55
	v_add_f32_e32 v48, v48, v57
	s_andn2_b64 exec, exec, s[8:9]
	s_cbranch_execnz .LBB22_25
; %bb.26:
	s_or_b64 exec, exec, s[8:9]
	v_mov_b32_e32 v51, 0
	ds_read_b64 v[51:52], v51 offset:24
	s_waitcnt lgkmcnt(0)
	v_mul_f32_e32 v53, v48, v52
	v_mul_f32_e32 v52, v54, v52
	v_fma_f32 v53, v54, v51, -v53
	v_fmac_f32_e32 v52, v48, v51
	buffer_store_dword v53, off, s[0:3], 0 offset:24
	buffer_store_dword v52, off, s[0:3], 0 offset:28
.LBB22_27:
	s_or_b64 exec, exec, s[4:5]
	; wave barrier
	buffer_load_dword v51, off, s[0:3], 0 offset:32
	buffer_load_dword v52, off, s[0:3], 0 offset:36
	v_cmp_gt_u32_e32 vcc, 4, v0
	s_waitcnt vmcnt(0)
	ds_write_b64 v50, v[51:52]
	s_waitcnt lgkmcnt(0)
	; wave barrier
	s_and_saveexec_b64 s[4:5], vcc
	s_cbranch_execz .LBB22_31
; %bb.28:
	v_add_u32_e32 v51, -1, v0
	v_add_u32_e32 v52, 0xc0, v49
	v_mov_b32_e32 v53, v49
	v_mov_b32_e32 v48, 0
	s_mov_b64 s[8:9], 0
	v_mov_b32_e32 v54, 0
.LBB22_29:                              ; =>This Inner Loop Header: Depth=1
	buffer_load_dword v57, v53, s[0:3], 0 offen offset:4
	buffer_load_dword v58, v53, s[0:3], 0 offen
	ds_read_b64 v[55:56], v52
	v_add_u32_e32 v51, 1, v51
	v_cmp_lt_u32_e32 vcc, 2, v51
	v_add_u32_e32 v52, 8, v52
	v_add_u32_e32 v53, 8, v53
	s_or_b64 s[8:9], vcc, s[8:9]
	s_waitcnt vmcnt(1) lgkmcnt(0)
	v_mul_f32_e32 v59, v56, v57
	v_mul_f32_e32 v57, v55, v57
	s_waitcnt vmcnt(0)
	v_fma_f32 v55, v55, v58, -v59
	v_fmac_f32_e32 v57, v56, v58
	v_add_f32_e32 v54, v54, v55
	v_add_f32_e32 v48, v48, v57
	s_andn2_b64 exec, exec, s[8:9]
	s_cbranch_execnz .LBB22_29
; %bb.30:
	s_or_b64 exec, exec, s[8:9]
	v_mov_b32_e32 v51, 0
	ds_read_b64 v[51:52], v51 offset:32
	s_waitcnt lgkmcnt(0)
	v_mul_f32_e32 v53, v48, v52
	v_mul_f32_e32 v52, v54, v52
	v_fma_f32 v53, v54, v51, -v53
	v_fmac_f32_e32 v52, v48, v51
	buffer_store_dword v53, off, s[0:3], 0 offset:32
	buffer_store_dword v52, off, s[0:3], 0 offset:36
.LBB22_31:
	s_or_b64 exec, exec, s[4:5]
	; wave barrier
	buffer_load_dword v51, off, s[0:3], 0 offset:40
	buffer_load_dword v52, off, s[0:3], 0 offset:44
	v_cmp_gt_u32_e32 vcc, 5, v0
	s_waitcnt vmcnt(0)
	ds_write_b64 v50, v[51:52]
	;; [unrolled: 49-line block ×18, first 2 shown]
	s_waitcnt lgkmcnt(0)
	; wave barrier
	s_and_saveexec_b64 s[4:5], vcc
	s_cbranch_execz .LBB22_99
; %bb.96:
	v_add_u32_e32 v51, -1, v0
	v_add_u32_e32 v52, 0xc0, v49
	v_mov_b32_e32 v53, v49
	v_mov_b32_e32 v48, 0
	s_mov_b64 s[8:9], 0
	v_mov_b32_e32 v54, 0
.LBB22_97:                              ; =>This Inner Loop Header: Depth=1
	buffer_load_dword v57, v53, s[0:3], 0 offen offset:4
	buffer_load_dword v58, v53, s[0:3], 0 offen
	ds_read_b64 v[55:56], v52
	v_add_u32_e32 v51, 1, v51
	v_cmp_lt_u32_e32 vcc, 19, v51
	v_add_u32_e32 v52, 8, v52
	v_add_u32_e32 v53, 8, v53
	s_or_b64 s[8:9], vcc, s[8:9]
	s_waitcnt vmcnt(1) lgkmcnt(0)
	v_mul_f32_e32 v59, v56, v57
	v_mul_f32_e32 v57, v55, v57
	s_waitcnt vmcnt(0)
	v_fma_f32 v55, v55, v58, -v59
	v_fmac_f32_e32 v57, v56, v58
	v_add_f32_e32 v54, v54, v55
	v_add_f32_e32 v48, v48, v57
	s_andn2_b64 exec, exec, s[8:9]
	s_cbranch_execnz .LBB22_97
; %bb.98:
	s_or_b64 exec, exec, s[8:9]
	v_mov_b32_e32 v51, 0
	ds_read_b64 v[51:52], v51 offset:168
	s_waitcnt lgkmcnt(0)
	v_mul_f32_e32 v53, v48, v52
	v_mul_f32_e32 v52, v54, v52
	v_fma_f32 v53, v54, v51, -v53
	v_fmac_f32_e32 v52, v48, v51
	buffer_store_dword v53, off, s[0:3], 0 offset:168
	buffer_store_dword v52, off, s[0:3], 0 offset:172
.LBB22_99:
	s_or_b64 exec, exec, s[4:5]
	; wave barrier
	buffer_load_dword v51, off, s[0:3], 0 offset:176
	buffer_load_dword v52, off, s[0:3], 0 offset:180
	v_cmp_ne_u32_e32 vcc, 22, v0
	s_waitcnt vmcnt(0)
	ds_write_b64 v50, v[51:52]
	s_waitcnt lgkmcnt(0)
	; wave barrier
	s_and_saveexec_b64 s[4:5], vcc
	s_cbranch_execz .LBB22_103
; %bb.100:
	v_add_u32_e32 v50, 0xc0, v49
	v_mov_b32_e32 v48, 0
	s_mov_b64 s[8:9], 0
	v_mov_b32_e32 v51, 0
.LBB22_101:                             ; =>This Inner Loop Header: Depth=1
	buffer_load_dword v54, v49, s[0:3], 0 offen offset:4
	buffer_load_dword v55, v49, s[0:3], 0 offen
	ds_read_b64 v[52:53], v50
	v_add_u32_e32 v47, 1, v47
	v_cmp_lt_u32_e32 vcc, 20, v47
	v_add_u32_e32 v50, 8, v50
	v_add_u32_e32 v49, 8, v49
	s_or_b64 s[8:9], vcc, s[8:9]
	s_waitcnt vmcnt(1) lgkmcnt(0)
	v_mul_f32_e32 v56, v53, v54
	v_mul_f32_e32 v54, v52, v54
	s_waitcnt vmcnt(0)
	v_fma_f32 v52, v52, v55, -v56
	v_fmac_f32_e32 v54, v53, v55
	v_add_f32_e32 v51, v51, v52
	v_add_f32_e32 v48, v48, v54
	s_andn2_b64 exec, exec, s[8:9]
	s_cbranch_execnz .LBB22_101
; %bb.102:
	s_or_b64 exec, exec, s[8:9]
	v_mov_b32_e32 v47, 0
	ds_read_b64 v[49:50], v47 offset:176
	s_waitcnt lgkmcnt(0)
	v_mul_f32_e32 v47, v48, v50
	v_mul_f32_e32 v50, v51, v50
	v_fma_f32 v47, v51, v49, -v47
	v_fmac_f32_e32 v50, v48, v49
	buffer_store_dword v47, off, s[0:3], 0 offset:176
	buffer_store_dword v50, off, s[0:3], 0 offset:180
.LBB22_103:
	s_or_b64 exec, exec, s[4:5]
	s_mov_b64 s[8:9], -1
	; wave barrier
.LBB22_104:
	s_and_b64 vcc, exec, s[8:9]
	s_cbranch_vccz .LBB22_106
; %bb.105:
	s_lshl_b64 s[4:5], s[6:7], 2
	s_add_u32 s4, s10, s4
	s_addc_u32 s5, s11, s5
	v_mov_b32_e32 v47, 0
	global_load_dword v47, v47, s[4:5]
	s_waitcnt vmcnt(0)
	v_cmp_ne_u32_e32 vcc, 0, v47
	s_cbranch_vccz .LBB22_107
.LBB22_106:
	s_endpgm
.LBB22_107:
	v_mov_b32_e32 v47, 0xc0
	v_lshl_add_u32 v47, v0, 3, v47
	v_cmp_eq_u32_e32 vcc, 22, v0
	s_and_saveexec_b64 s[4:5], vcc
	s_cbranch_execz .LBB22_109
; %bb.108:
	buffer_load_dword v48, off, s[0:3], 0 offset:168
	buffer_load_dword v49, off, s[0:3], 0 offset:172
	v_mov_b32_e32 v50, 0
	buffer_store_dword v50, off, s[0:3], 0 offset:168
	buffer_store_dword v50, off, s[0:3], 0 offset:172
	s_waitcnt vmcnt(2)
	ds_write_b64 v47, v[48:49]
.LBB22_109:
	s_or_b64 exec, exec, s[4:5]
	s_waitcnt lgkmcnt(0)
	; wave barrier
	buffer_load_dword v51, off, s[0:3], 0 offset:180
	buffer_load_dword v52, off, s[0:3], 0 offset:176
	;; [unrolled: 1-line block ×4, first 2 shown]
	v_mov_b32_e32 v48, 0
	ds_read_b64 v[49:50], v48 offset:368
	v_cmp_lt_u32_e32 vcc, 20, v0
	s_waitcnt vmcnt(3) lgkmcnt(0)
	v_mul_f32_e32 v55, v49, v51
	v_mul_f32_e32 v51, v50, v51
	s_waitcnt vmcnt(2)
	v_fma_f32 v49, v49, v52, -v51
	v_fmac_f32_e32 v55, v50, v52
	v_add_f32_e32 v49, 0, v49
	v_add_f32_e32 v50, 0, v55
	s_waitcnt vmcnt(1)
	v_sub_f32_e32 v49, v53, v49
	s_waitcnt vmcnt(0)
	v_sub_f32_e32 v50, v54, v50
	buffer_store_dword v49, off, s[0:3], 0 offset:168
	buffer_store_dword v50, off, s[0:3], 0 offset:172
	s_and_saveexec_b64 s[4:5], vcc
	s_cbranch_execz .LBB22_111
; %bb.110:
	buffer_load_dword v49, off, s[0:3], 0 offset:160
	buffer_load_dword v50, off, s[0:3], 0 offset:164
	s_waitcnt vmcnt(0)
	ds_write_b64 v47, v[49:50]
	buffer_store_dword v48, off, s[0:3], 0 offset:160
	buffer_store_dword v48, off, s[0:3], 0 offset:164
.LBB22_111:
	s_or_b64 exec, exec, s[4:5]
	s_waitcnt lgkmcnt(0)
	; wave barrier
	buffer_load_dword v52, off, s[0:3], 0 offset:172
	buffer_load_dword v53, off, s[0:3], 0 offset:180
	;; [unrolled: 1-line block ×6, first 2 shown]
	ds_read2_b64 v[48:51], v48 offset0:45 offset1:46
	v_cmp_lt_u32_e32 vcc, 19, v0
	s_waitcnt vmcnt(5) lgkmcnt(0)
	v_mul_f32_e32 v58, v48, v52
	v_mul_f32_e32 v52, v49, v52
	s_waitcnt vmcnt(4)
	v_mul_f32_e32 v59, v50, v53
	v_mul_f32_e32 v53, v51, v53
	s_waitcnt vmcnt(3)
	v_fma_f32 v48, v48, v54, -v52
	v_fmac_f32_e32 v58, v49, v54
	s_waitcnt vmcnt(2)
	v_fma_f32 v49, v50, v55, -v53
	v_add_f32_e32 v48, 0, v48
	v_fmac_f32_e32 v59, v51, v55
	v_add_f32_e32 v50, 0, v58
	v_add_f32_e32 v48, v48, v49
	;; [unrolled: 1-line block ×3, first 2 shown]
	s_waitcnt vmcnt(1)
	v_sub_f32_e32 v48, v56, v48
	s_waitcnt vmcnt(0)
	v_sub_f32_e32 v49, v57, v50
	buffer_store_dword v48, off, s[0:3], 0 offset:160
	buffer_store_dword v49, off, s[0:3], 0 offset:164
	s_and_saveexec_b64 s[4:5], vcc
	s_cbranch_execz .LBB22_113
; %bb.112:
	buffer_load_dword v48, off, s[0:3], 0 offset:152
	buffer_load_dword v49, off, s[0:3], 0 offset:156
	v_mov_b32_e32 v50, 0
	buffer_store_dword v50, off, s[0:3], 0 offset:152
	buffer_store_dword v50, off, s[0:3], 0 offset:156
	s_waitcnt vmcnt(2)
	ds_write_b64 v47, v[48:49]
.LBB22_113:
	s_or_b64 exec, exec, s[4:5]
	s_waitcnt lgkmcnt(0)
	; wave barrier
	buffer_load_dword v55, off, s[0:3], 0 offset:164
	buffer_load_dword v56, off, s[0:3], 0 offset:172
	;; [unrolled: 1-line block ×8, first 2 shown]
	v_mov_b32_e32 v48, 0
	ds_read_b128 v[49:52], v48 offset:352
	ds_read_b64 v[53:54], v48 offset:368
	v_cmp_lt_u32_e32 vcc, 18, v0
	s_waitcnt vmcnt(7) lgkmcnt(1)
	v_mul_f32_e32 v63, v49, v55
	v_mul_f32_e32 v55, v50, v55
	s_waitcnt vmcnt(6)
	v_mul_f32_e32 v64, v51, v56
	v_mul_f32_e32 v56, v52, v56
	s_waitcnt vmcnt(4)
	v_fma_f32 v49, v49, v58, -v55
	s_waitcnt lgkmcnt(0)
	v_mul_f32_e32 v65, v53, v57
	v_mul_f32_e32 v57, v54, v57
	v_fmac_f32_e32 v63, v50, v58
	s_waitcnt vmcnt(3)
	v_fma_f32 v50, v51, v59, -v56
	v_add_f32_e32 v49, 0, v49
	v_fmac_f32_e32 v64, v52, v59
	s_waitcnt vmcnt(2)
	v_fma_f32 v51, v53, v60, -v57
	v_add_f32_e32 v52, 0, v63
	v_add_f32_e32 v49, v49, v50
	v_fmac_f32_e32 v65, v54, v60
	v_add_f32_e32 v52, v52, v64
	v_add_f32_e32 v49, v49, v51
	;; [unrolled: 1-line block ×3, first 2 shown]
	s_waitcnt vmcnt(1)
	v_sub_f32_e32 v49, v61, v49
	s_waitcnt vmcnt(0)
	v_sub_f32_e32 v50, v62, v50
	buffer_store_dword v49, off, s[0:3], 0 offset:152
	buffer_store_dword v50, off, s[0:3], 0 offset:156
	s_and_saveexec_b64 s[4:5], vcc
	s_cbranch_execz .LBB22_115
; %bb.114:
	buffer_load_dword v49, off, s[0:3], 0 offset:144
	buffer_load_dword v50, off, s[0:3], 0 offset:148
	s_waitcnt vmcnt(0)
	ds_write_b64 v47, v[49:50]
	buffer_store_dword v48, off, s[0:3], 0 offset:144
	buffer_store_dword v48, off, s[0:3], 0 offset:148
.LBB22_115:
	s_or_b64 exec, exec, s[4:5]
	s_waitcnt lgkmcnt(0)
	; wave barrier
	buffer_load_dword v57, off, s[0:3], 0 offset:156
	buffer_load_dword v58, off, s[0:3], 0 offset:164
	;; [unrolled: 1-line block ×10, first 2 shown]
	ds_read2_b64 v[49:52], v48 offset0:43 offset1:44
	ds_read2_b64 v[53:56], v48 offset0:45 offset1:46
	v_cmp_lt_u32_e32 vcc, 17, v0
	s_waitcnt vmcnt(9) lgkmcnt(1)
	v_mul_f32_e32 v48, v49, v57
	v_mul_f32_e32 v57, v50, v57
	s_waitcnt vmcnt(8)
	v_mul_f32_e32 v67, v51, v58
	v_mul_f32_e32 v58, v52, v58
	s_waitcnt vmcnt(5)
	v_fma_f32 v49, v49, v61, -v57
	s_waitcnt lgkmcnt(0)
	v_mul_f32_e32 v68, v53, v59
	v_mul_f32_e32 v59, v54, v59
	v_fmac_f32_e32 v48, v50, v61
	s_waitcnt vmcnt(4)
	v_fma_f32 v50, v51, v62, -v58
	v_add_f32_e32 v49, 0, v49
	v_mul_f32_e32 v69, v55, v60
	v_mul_f32_e32 v60, v56, v60
	v_fmac_f32_e32 v67, v52, v62
	s_waitcnt vmcnt(3)
	v_fma_f32 v51, v53, v63, -v59
	v_add_f32_e32 v48, 0, v48
	v_add_f32_e32 v49, v49, v50
	v_fmac_f32_e32 v68, v54, v63
	s_waitcnt vmcnt(2)
	v_fma_f32 v52, v55, v64, -v60
	v_add_f32_e32 v48, v48, v67
	v_add_f32_e32 v49, v49, v51
	v_fmac_f32_e32 v69, v56, v64
	v_add_f32_e32 v48, v48, v68
	v_add_f32_e32 v49, v49, v52
	;; [unrolled: 1-line block ×3, first 2 shown]
	s_waitcnt vmcnt(1)
	v_sub_f32_e32 v49, v65, v49
	s_waitcnt vmcnt(0)
	v_sub_f32_e32 v48, v66, v48
	buffer_store_dword v49, off, s[0:3], 0 offset:144
	buffer_store_dword v48, off, s[0:3], 0 offset:148
	s_and_saveexec_b64 s[4:5], vcc
	s_cbranch_execz .LBB22_117
; %bb.116:
	buffer_load_dword v48, off, s[0:3], 0 offset:136
	buffer_load_dword v49, off, s[0:3], 0 offset:140
	v_mov_b32_e32 v50, 0
	buffer_store_dword v50, off, s[0:3], 0 offset:136
	buffer_store_dword v50, off, s[0:3], 0 offset:140
	s_waitcnt vmcnt(2)
	ds_write_b64 v47, v[48:49]
.LBB22_117:
	s_or_b64 exec, exec, s[4:5]
	s_waitcnt lgkmcnt(0)
	; wave barrier
	buffer_load_dword v59, off, s[0:3], 0 offset:148
	buffer_load_dword v60, off, s[0:3], 0 offset:156
	;; [unrolled: 1-line block ×12, first 2 shown]
	v_mov_b32_e32 v48, 0
	ds_read_b128 v[49:52], v48 offset:336
	ds_read_b128 v[53:56], v48 offset:352
	ds_read_b64 v[57:58], v48 offset:368
	v_cmp_lt_u32_e32 vcc, 16, v0
	s_waitcnt vmcnt(11) lgkmcnt(2)
	v_mul_f32_e32 v71, v49, v59
	v_mul_f32_e32 v59, v50, v59
	s_waitcnt vmcnt(10)
	v_mul_f32_e32 v72, v51, v60
	v_mul_f32_e32 v60, v52, v60
	s_waitcnt vmcnt(9) lgkmcnt(1)
	v_mul_f32_e32 v73, v53, v61
	s_waitcnt vmcnt(6)
	v_fma_f32 v49, v49, v64, -v59
	v_mul_f32_e32 v61, v54, v61
	v_fmac_f32_e32 v71, v50, v64
	s_waitcnt vmcnt(5)
	v_fma_f32 v50, v51, v65, -v60
	v_add_f32_e32 v49, 0, v49
	v_mul_f32_e32 v74, v55, v62
	v_mul_f32_e32 v62, v56, v62
	v_fmac_f32_e32 v72, v52, v65
	s_waitcnt vmcnt(4)
	v_fmac_f32_e32 v73, v54, v66
	v_fma_f32 v51, v53, v66, -v61
	v_add_f32_e32 v54, 0, v71
	v_add_f32_e32 v49, v49, v50
	s_waitcnt lgkmcnt(0)
	v_mul_f32_e32 v75, v57, v63
	v_mul_f32_e32 v63, v58, v63
	s_waitcnt vmcnt(3)
	v_fma_f32 v52, v55, v67, -v62
	v_add_f32_e32 v54, v54, v72
	v_add_f32_e32 v49, v49, v51
	v_fmac_f32_e32 v74, v56, v67
	s_waitcnt vmcnt(2)
	v_fma_f32 v53, v57, v68, -v63
	v_add_f32_e32 v50, v54, v73
	v_add_f32_e32 v49, v49, v52
	v_fmac_f32_e32 v75, v58, v68
	v_add_f32_e32 v50, v50, v74
	v_add_f32_e32 v49, v49, v53
	;; [unrolled: 1-line block ×3, first 2 shown]
	s_waitcnt vmcnt(1)
	v_sub_f32_e32 v49, v69, v49
	s_waitcnt vmcnt(0)
	v_sub_f32_e32 v50, v70, v50
	buffer_store_dword v49, off, s[0:3], 0 offset:136
	buffer_store_dword v50, off, s[0:3], 0 offset:140
	s_and_saveexec_b64 s[4:5], vcc
	s_cbranch_execz .LBB22_119
; %bb.118:
	buffer_load_dword v49, off, s[0:3], 0 offset:128
	buffer_load_dword v50, off, s[0:3], 0 offset:132
	s_waitcnt vmcnt(0)
	ds_write_b64 v47, v[49:50]
	buffer_store_dword v48, off, s[0:3], 0 offset:128
	buffer_store_dword v48, off, s[0:3], 0 offset:132
.LBB22_119:
	s_or_b64 exec, exec, s[4:5]
	s_waitcnt lgkmcnt(0)
	; wave barrier
	buffer_load_dword v61, off, s[0:3], 0 offset:140
	buffer_load_dword v62, off, s[0:3], 0 offset:148
	;; [unrolled: 1-line block ×14, first 2 shown]
	ds_read2_b64 v[49:52], v48 offset0:41 offset1:42
	ds_read2_b64 v[53:56], v48 offset0:43 offset1:44
	;; [unrolled: 1-line block ×3, first 2 shown]
	v_cmp_lt_u32_e32 vcc, 15, v0
	s_waitcnt vmcnt(13) lgkmcnt(2)
	v_mul_f32_e32 v48, v49, v61
	v_mul_f32_e32 v61, v50, v61
	s_waitcnt vmcnt(12)
	v_mul_f32_e32 v75, v51, v62
	v_mul_f32_e32 v62, v52, v62
	s_waitcnt vmcnt(11) lgkmcnt(1)
	v_mul_f32_e32 v76, v53, v63
	v_mul_f32_e32 v63, v54, v63
	s_waitcnt vmcnt(7)
	v_fma_f32 v49, v49, v67, -v61
	v_fmac_f32_e32 v48, v50, v67
	s_waitcnt vmcnt(6)
	v_fma_f32 v50, v51, v68, -v62
	v_add_f32_e32 v49, 0, v49
	v_mul_f32_e32 v77, v55, v64
	v_mul_f32_e32 v64, v56, v64
	v_fmac_f32_e32 v75, v52, v68
	s_waitcnt vmcnt(5)
	v_fma_f32 v51, v53, v69, -v63
	v_add_f32_e32 v48, 0, v48
	v_add_f32_e32 v49, v49, v50
	s_waitcnt lgkmcnt(0)
	v_mul_f32_e32 v78, v57, v65
	v_mul_f32_e32 v65, v58, v65
	v_fmac_f32_e32 v76, v54, v69
	s_waitcnt vmcnt(4)
	v_fma_f32 v52, v55, v70, -v64
	v_add_f32_e32 v48, v48, v75
	v_add_f32_e32 v49, v49, v51
	v_mul_f32_e32 v79, v59, v66
	v_mul_f32_e32 v66, v60, v66
	v_fmac_f32_e32 v77, v56, v70
	s_waitcnt vmcnt(3)
	v_fma_f32 v53, v57, v71, -v65
	v_add_f32_e32 v48, v48, v76
	v_add_f32_e32 v49, v49, v52
	v_fmac_f32_e32 v78, v58, v71
	s_waitcnt vmcnt(2)
	v_fma_f32 v54, v59, v72, -v66
	v_add_f32_e32 v48, v48, v77
	v_add_f32_e32 v49, v49, v53
	v_fmac_f32_e32 v79, v60, v72
	v_add_f32_e32 v48, v48, v78
	v_add_f32_e32 v49, v49, v54
	;; [unrolled: 1-line block ×3, first 2 shown]
	s_waitcnt vmcnt(1)
	v_sub_f32_e32 v49, v73, v49
	s_waitcnt vmcnt(0)
	v_sub_f32_e32 v48, v74, v48
	buffer_store_dword v49, off, s[0:3], 0 offset:128
	buffer_store_dword v48, off, s[0:3], 0 offset:132
	s_and_saveexec_b64 s[4:5], vcc
	s_cbranch_execz .LBB22_121
; %bb.120:
	buffer_load_dword v48, off, s[0:3], 0 offset:120
	buffer_load_dword v49, off, s[0:3], 0 offset:124
	v_mov_b32_e32 v50, 0
	buffer_store_dword v50, off, s[0:3], 0 offset:120
	buffer_store_dword v50, off, s[0:3], 0 offset:124
	s_waitcnt vmcnt(2)
	ds_write_b64 v47, v[48:49]
.LBB22_121:
	s_or_b64 exec, exec, s[4:5]
	v_mov_b32_e32 v48, 0
	s_waitcnt lgkmcnt(0)
	; wave barrier
	ds_read_b128 v[49:52], v48 offset:320
	ds_read_b128 v[53:56], v48 offset:336
	;; [unrolled: 1-line block ×3, first 2 shown]
	ds_read_b64 v[61:62], v48 offset:368
	buffer_load_dword v63, off, s[0:3], 0 offset:120
	buffer_load_dword v64, off, s[0:3], 0 offset:124
	;; [unrolled: 1-line block ×16, first 2 shown]
	v_cmp_lt_u32_e32 vcc, 14, v0
	s_waitcnt vmcnt(12) lgkmcnt(3)
	v_mul_f32_e32 v79, v49, v66
	v_fmac_f32_e32 v79, v50, v65
	v_mul_f32_e32 v50, v50, v66
	v_fma_f32 v49, v49, v65, -v50
	s_waitcnt vmcnt(10)
	v_mul_f32_e32 v50, v52, v68
	v_mul_f32_e32 v80, v51, v68
	v_add_f32_e32 v49, 0, v49
	v_fma_f32 v50, v51, v67, -v50
	v_add_f32_e32 v79, 0, v79
	v_fmac_f32_e32 v80, v52, v67
	v_add_f32_e32 v49, v49, v50
	s_waitcnt vmcnt(8) lgkmcnt(2)
	v_mul_f32_e32 v50, v54, v70
	v_add_f32_e32 v79, v79, v80
	v_mul_f32_e32 v80, v53, v70
	v_fma_f32 v50, v53, v69, -v50
	v_fmac_f32_e32 v80, v54, v69
	v_add_f32_e32 v49, v49, v50
	s_waitcnt vmcnt(6)
	v_mul_f32_e32 v50, v56, v72
	v_add_f32_e32 v79, v79, v80
	v_mul_f32_e32 v80, v55, v72
	v_fma_f32 v50, v55, v71, -v50
	v_fmac_f32_e32 v80, v56, v71
	v_add_f32_e32 v49, v49, v50
	s_waitcnt vmcnt(4) lgkmcnt(1)
	v_mul_f32_e32 v50, v58, v74
	v_add_f32_e32 v79, v79, v80
	v_mul_f32_e32 v80, v57, v74
	v_fma_f32 v50, v57, v73, -v50
	v_fmac_f32_e32 v80, v58, v73
	v_add_f32_e32 v49, v49, v50
	s_waitcnt vmcnt(2)
	v_mul_f32_e32 v50, v60, v76
	v_add_f32_e32 v79, v79, v80
	v_mul_f32_e32 v80, v59, v76
	v_fma_f32 v50, v59, v75, -v50
	v_fmac_f32_e32 v80, v60, v75
	v_add_f32_e32 v49, v49, v50
	s_waitcnt vmcnt(0) lgkmcnt(0)
	v_mul_f32_e32 v50, v62, v78
	v_add_f32_e32 v79, v79, v80
	v_mul_f32_e32 v80, v61, v78
	v_fma_f32 v50, v61, v77, -v50
	v_fmac_f32_e32 v80, v62, v77
	v_add_f32_e32 v49, v49, v50
	v_add_f32_e32 v79, v79, v80
	v_sub_f32_e32 v49, v63, v49
	v_sub_f32_e32 v50, v64, v79
	buffer_store_dword v49, off, s[0:3], 0 offset:120
	buffer_store_dword v50, off, s[0:3], 0 offset:124
	s_and_saveexec_b64 s[4:5], vcc
	s_cbranch_execz .LBB22_123
; %bb.122:
	buffer_load_dword v49, off, s[0:3], 0 offset:112
	buffer_load_dword v50, off, s[0:3], 0 offset:116
	s_waitcnt vmcnt(0)
	ds_write_b64 v47, v[49:50]
	buffer_store_dword v48, off, s[0:3], 0 offset:112
	buffer_store_dword v48, off, s[0:3], 0 offset:116
.LBB22_123:
	s_or_b64 exec, exec, s[4:5]
	s_waitcnt lgkmcnt(0)
	; wave barrier
	buffer_load_dword v65, off, s[0:3], 0 offset:124
	buffer_load_dword v66, off, s[0:3], 0 offset:132
	;; [unrolled: 1-line block ×18, first 2 shown]
	ds_read2_b64 v[49:52], v48 offset0:39 offset1:40
	ds_read2_b64 v[53:56], v48 offset0:41 offset1:42
	ds_read2_b64 v[57:60], v48 offset0:43 offset1:44
	ds_read2_b64 v[61:64], v48 offset0:45 offset1:46
	v_cmp_lt_u32_e32 vcc, 13, v0
	s_waitcnt vmcnt(17) lgkmcnt(3)
	v_mul_f32_e32 v48, v49, v65
	v_mul_f32_e32 v65, v50, v65
	s_waitcnt vmcnt(16)
	v_mul_f32_e32 v83, v51, v66
	v_mul_f32_e32 v66, v52, v66
	s_waitcnt vmcnt(15) lgkmcnt(2)
	v_mul_f32_e32 v84, v53, v67
	v_mul_f32_e32 v67, v54, v67
	s_waitcnt vmcnt(14)
	v_mul_f32_e32 v85, v55, v68
	v_mul_f32_e32 v68, v56, v68
	s_waitcnt vmcnt(9)
	v_fma_f32 v49, v49, v73, -v65
	v_fmac_f32_e32 v48, v50, v73
	s_waitcnt vmcnt(8)
	v_fma_f32 v50, v51, v74, -v66
	v_add_f32_e32 v49, 0, v49
	v_fmac_f32_e32 v83, v52, v74
	s_waitcnt vmcnt(7)
	v_fma_f32 v51, v53, v75, -v67
	v_add_f32_e32 v48, 0, v48
	v_add_f32_e32 v49, v49, v50
	s_waitcnt lgkmcnt(1)
	v_mul_f32_e32 v86, v57, v69
	v_mul_f32_e32 v69, v58, v69
	v_fmac_f32_e32 v84, v54, v75
	s_waitcnt vmcnt(6)
	v_fma_f32 v52, v55, v76, -v68
	v_add_f32_e32 v48, v48, v83
	v_add_f32_e32 v49, v49, v51
	v_mul_f32_e32 v87, v59, v70
	v_mul_f32_e32 v70, v60, v70
	v_fmac_f32_e32 v85, v56, v76
	s_waitcnt vmcnt(5)
	v_fma_f32 v53, v57, v77, -v69
	v_add_f32_e32 v48, v48, v84
	v_add_f32_e32 v49, v49, v52
	s_waitcnt lgkmcnt(0)
	v_mul_f32_e32 v88, v61, v71
	v_mul_f32_e32 v71, v62, v71
	v_fmac_f32_e32 v86, v58, v77
	s_waitcnt vmcnt(4)
	v_fma_f32 v54, v59, v78, -v70
	v_add_f32_e32 v48, v48, v85
	v_add_f32_e32 v49, v49, v53
	v_mul_f32_e32 v89, v63, v72
	v_mul_f32_e32 v72, v64, v72
	v_fmac_f32_e32 v87, v60, v78
	s_waitcnt vmcnt(3)
	v_fma_f32 v55, v61, v79, -v71
	v_add_f32_e32 v48, v48, v86
	v_add_f32_e32 v49, v49, v54
	v_fmac_f32_e32 v88, v62, v79
	s_waitcnt vmcnt(2)
	v_fma_f32 v56, v63, v80, -v72
	v_add_f32_e32 v48, v48, v87
	v_add_f32_e32 v49, v49, v55
	v_fmac_f32_e32 v89, v64, v80
	v_add_f32_e32 v48, v48, v88
	v_add_f32_e32 v49, v49, v56
	;; [unrolled: 1-line block ×3, first 2 shown]
	s_waitcnt vmcnt(1)
	v_sub_f32_e32 v49, v81, v49
	s_waitcnt vmcnt(0)
	v_sub_f32_e32 v48, v82, v48
	buffer_store_dword v49, off, s[0:3], 0 offset:112
	buffer_store_dword v48, off, s[0:3], 0 offset:116
	s_and_saveexec_b64 s[4:5], vcc
	s_cbranch_execz .LBB22_125
; %bb.124:
	buffer_load_dword v48, off, s[0:3], 0 offset:104
	buffer_load_dword v49, off, s[0:3], 0 offset:108
	v_mov_b32_e32 v50, 0
	buffer_store_dword v50, off, s[0:3], 0 offset:104
	buffer_store_dword v50, off, s[0:3], 0 offset:108
	s_waitcnt vmcnt(2)
	ds_write_b64 v47, v[48:49]
.LBB22_125:
	s_or_b64 exec, exec, s[4:5]
	s_waitcnt lgkmcnt(0)
	; wave barrier
	buffer_load_dword v67, off, s[0:3], 0 offset:116
	buffer_load_dword v68, off, s[0:3], 0 offset:124
	;; [unrolled: 1-line block ×20, first 2 shown]
	v_mov_b32_e32 v48, 0
	ds_read_b128 v[49:52], v48 offset:304
	ds_read_b128 v[53:56], v48 offset:320
	;; [unrolled: 1-line block ×4, first 2 shown]
	ds_read_b64 v[65:66], v48 offset:368
	v_cmp_lt_u32_e32 vcc, 12, v0
	s_waitcnt vmcnt(19) lgkmcnt(4)
	v_mul_f32_e32 v87, v49, v67
	v_mul_f32_e32 v67, v50, v67
	s_waitcnt vmcnt(18)
	v_mul_f32_e32 v88, v51, v68
	v_mul_f32_e32 v68, v52, v68
	s_waitcnt vmcnt(17) lgkmcnt(3)
	v_mul_f32_e32 v89, v53, v69
	s_waitcnt vmcnt(15) lgkmcnt(2)
	v_mul_f32_e32 v91, v57, v71
	v_mul_f32_e32 v69, v54, v69
	;; [unrolled: 1-line block ×4, first 2 shown]
	s_waitcnt vmcnt(10)
	v_fma_f32 v49, v49, v76, -v67
	v_fmac_f32_e32 v87, v50, v76
	s_waitcnt vmcnt(9)
	v_fma_f32 v50, v51, v77, -v68
	v_add_f32_e32 v49, 0, v49
	v_mul_f32_e32 v71, v58, v71
	v_fmac_f32_e32 v88, v52, v77
	s_waitcnt vmcnt(6)
	v_fmac_f32_e32 v91, v58, v80
	v_fma_f32 v51, v53, v78, -v69
	v_add_f32_e32 v58, 0, v87
	v_add_f32_e32 v49, v49, v50
	v_fmac_f32_e32 v89, v54, v78
	v_fma_f32 v52, v55, v79, -v70
	v_add_f32_e32 v58, v58, v88
	v_add_f32_e32 v49, v49, v51
	v_mul_f32_e32 v92, v59, v72
	v_mul_f32_e32 v72, v60, v72
	v_fmac_f32_e32 v90, v56, v79
	v_fma_f32 v53, v57, v80, -v71
	v_add_f32_e32 v50, v58, v89
	v_add_f32_e32 v49, v49, v52
	s_waitcnt lgkmcnt(1)
	v_mul_f32_e32 v93, v61, v73
	v_mul_f32_e32 v73, v62, v73
	s_waitcnt vmcnt(5)
	v_fma_f32 v54, v59, v81, -v72
	v_add_f32_e32 v50, v50, v90
	v_add_f32_e32 v49, v49, v53
	v_mul_f32_e32 v94, v63, v74
	v_mul_f32_e32 v74, v64, v74
	v_fmac_f32_e32 v92, v60, v81
	s_waitcnt vmcnt(4)
	v_fma_f32 v55, v61, v82, -v73
	v_add_f32_e32 v50, v50, v91
	v_add_f32_e32 v49, v49, v54
	s_waitcnt lgkmcnt(0)
	v_mul_f32_e32 v95, v65, v75
	v_mul_f32_e32 v75, v66, v75
	v_fmac_f32_e32 v93, v62, v82
	s_waitcnt vmcnt(3)
	v_fma_f32 v56, v63, v83, -v74
	v_add_f32_e32 v50, v50, v92
	v_add_f32_e32 v49, v49, v55
	v_fmac_f32_e32 v94, v64, v83
	s_waitcnt vmcnt(2)
	v_fma_f32 v57, v65, v84, -v75
	v_add_f32_e32 v50, v50, v93
	v_add_f32_e32 v49, v49, v56
	v_fmac_f32_e32 v95, v66, v84
	v_add_f32_e32 v50, v50, v94
	v_add_f32_e32 v49, v49, v57
	;; [unrolled: 1-line block ×3, first 2 shown]
	s_waitcnt vmcnt(1)
	v_sub_f32_e32 v49, v85, v49
	s_waitcnt vmcnt(0)
	v_sub_f32_e32 v50, v86, v50
	buffer_store_dword v49, off, s[0:3], 0 offset:104
	buffer_store_dword v50, off, s[0:3], 0 offset:108
	s_and_saveexec_b64 s[4:5], vcc
	s_cbranch_execz .LBB22_127
; %bb.126:
	buffer_load_dword v49, off, s[0:3], 0 offset:96
	buffer_load_dword v50, off, s[0:3], 0 offset:100
	s_waitcnt vmcnt(0)
	ds_write_b64 v47, v[49:50]
	buffer_store_dword v48, off, s[0:3], 0 offset:96
	buffer_store_dword v48, off, s[0:3], 0 offset:100
.LBB22_127:
	s_or_b64 exec, exec, s[4:5]
	s_waitcnt lgkmcnt(0)
	; wave barrier
	buffer_load_dword v69, off, s[0:3], 0 offset:108
	buffer_load_dword v70, off, s[0:3], 0 offset:116
	;; [unrolled: 1-line block ×22, first 2 shown]
	ds_read2_b64 v[49:52], v48 offset0:37 offset1:38
	ds_read2_b64 v[53:56], v48 offset0:39 offset1:40
	;; [unrolled: 1-line block ×5, first 2 shown]
	v_cmp_lt_u32_e32 vcc, 11, v0
	s_waitcnt vmcnt(21) lgkmcnt(4)
	v_mul_f32_e32 v48, v49, v69
	v_mul_f32_e32 v69, v50, v69
	s_waitcnt vmcnt(20)
	v_mul_f32_e32 v91, v51, v70
	v_mul_f32_e32 v70, v52, v70
	s_waitcnt vmcnt(19) lgkmcnt(3)
	v_mul_f32_e32 v92, v53, v71
	v_mul_f32_e32 v71, v54, v71
	s_waitcnt vmcnt(18)
	v_mul_f32_e32 v93, v55, v72
	v_mul_f32_e32 v72, v56, v72
	s_waitcnt vmcnt(17) lgkmcnt(2)
	v_mul_f32_e32 v94, v57, v73
	v_mul_f32_e32 v73, v58, v73
	s_waitcnt vmcnt(11)
	v_fma_f32 v49, v49, v79, -v69
	v_fmac_f32_e32 v48, v50, v79
	s_waitcnt vmcnt(10)
	v_fma_f32 v50, v51, v80, -v70
	v_add_f32_e32 v49, 0, v49
	v_fmac_f32_e32 v91, v52, v80
	s_waitcnt vmcnt(9)
	v_fma_f32 v51, v53, v81, -v71
	v_add_f32_e32 v48, 0, v48
	v_add_f32_e32 v49, v49, v50
	v_fmac_f32_e32 v92, v54, v81
	s_waitcnt vmcnt(8)
	v_fma_f32 v52, v55, v82, -v72
	v_add_f32_e32 v48, v48, v91
	v_add_f32_e32 v49, v49, v51
	v_mul_f32_e32 v95, v59, v74
	v_mul_f32_e32 v74, v60, v74
	v_fmac_f32_e32 v93, v56, v82
	s_waitcnt vmcnt(7)
	v_fma_f32 v53, v57, v83, -v73
	v_add_f32_e32 v48, v48, v92
	v_add_f32_e32 v49, v49, v52
	s_waitcnt lgkmcnt(1)
	v_mul_f32_e32 v96, v61, v75
	v_mul_f32_e32 v75, v62, v75
	v_fmac_f32_e32 v94, v58, v83
	s_waitcnt vmcnt(6)
	v_fma_f32 v54, v59, v84, -v74
	v_add_f32_e32 v48, v48, v93
	v_add_f32_e32 v49, v49, v53
	v_mul_f32_e32 v97, v63, v76
	v_mul_f32_e32 v76, v64, v76
	v_fmac_f32_e32 v95, v60, v84
	s_waitcnt vmcnt(5)
	v_fma_f32 v55, v61, v85, -v75
	v_add_f32_e32 v48, v48, v94
	v_add_f32_e32 v49, v49, v54
	s_waitcnt lgkmcnt(0)
	v_mul_f32_e32 v98, v65, v77
	v_mul_f32_e32 v77, v66, v77
	v_fmac_f32_e32 v96, v62, v85
	s_waitcnt vmcnt(4)
	v_fma_f32 v56, v63, v86, -v76
	v_add_f32_e32 v48, v48, v95
	v_add_f32_e32 v49, v49, v55
	v_mul_f32_e32 v99, v67, v78
	v_mul_f32_e32 v78, v68, v78
	v_fmac_f32_e32 v97, v64, v86
	s_waitcnt vmcnt(3)
	v_fma_f32 v57, v65, v87, -v77
	v_add_f32_e32 v48, v48, v96
	v_add_f32_e32 v49, v49, v56
	v_fmac_f32_e32 v98, v66, v87
	s_waitcnt vmcnt(2)
	v_fma_f32 v58, v67, v88, -v78
	v_add_f32_e32 v48, v48, v97
	v_add_f32_e32 v49, v49, v57
	v_fmac_f32_e32 v99, v68, v88
	v_add_f32_e32 v48, v48, v98
	v_add_f32_e32 v49, v49, v58
	;; [unrolled: 1-line block ×3, first 2 shown]
	s_waitcnt vmcnt(1)
	v_sub_f32_e32 v49, v89, v49
	s_waitcnt vmcnt(0)
	v_sub_f32_e32 v48, v90, v48
	buffer_store_dword v49, off, s[0:3], 0 offset:96
	buffer_store_dword v48, off, s[0:3], 0 offset:100
	s_and_saveexec_b64 s[4:5], vcc
	s_cbranch_execz .LBB22_129
; %bb.128:
	buffer_load_dword v48, off, s[0:3], 0 offset:88
	buffer_load_dword v49, off, s[0:3], 0 offset:92
	v_mov_b32_e32 v50, 0
	buffer_store_dword v50, off, s[0:3], 0 offset:88
	buffer_store_dword v50, off, s[0:3], 0 offset:92
	s_waitcnt vmcnt(2)
	ds_write_b64 v47, v[48:49]
.LBB22_129:
	s_or_b64 exec, exec, s[4:5]
	s_waitcnt lgkmcnt(0)
	; wave barrier
	buffer_load_dword v71, off, s[0:3], 0 offset:100
	buffer_load_dword v72, off, s[0:3], 0 offset:108
	;; [unrolled: 1-line block ×24, first 2 shown]
	v_mov_b32_e32 v48, 0
	ds_read_b128 v[49:52], v48 offset:288
	ds_read_b128 v[53:56], v48 offset:304
	;; [unrolled: 1-line block ×5, first 2 shown]
	ds_read_b64 v[69:70], v48 offset:368
	v_cmp_lt_u32_e32 vcc, 10, v0
	s_waitcnt vmcnt(23) lgkmcnt(5)
	v_mul_f32_e32 v95, v49, v71
	v_mul_f32_e32 v71, v50, v71
	s_waitcnt vmcnt(22)
	v_mul_f32_e32 v96, v51, v72
	v_mul_f32_e32 v72, v52, v72
	s_waitcnt vmcnt(21) lgkmcnt(4)
	v_mul_f32_e32 v97, v53, v73
	v_mul_f32_e32 v73, v54, v73
	s_waitcnt vmcnt(20)
	v_mul_f32_e32 v98, v55, v74
	s_waitcnt vmcnt(19) lgkmcnt(3)
	v_mul_f32_e32 v99, v57, v75
	v_mul_f32_e32 v74, v56, v74
	;; [unrolled: 1-line block ×3, first 2 shown]
	s_waitcnt vmcnt(18)
	v_mul_f32_e32 v100, v59, v76
	s_waitcnt vmcnt(12)
	v_fma_f32 v49, v49, v82, -v71
	v_fmac_f32_e32 v95, v50, v82
	s_waitcnt vmcnt(11)
	v_fma_f32 v50, v51, v83, -v72
	v_add_f32_e32 v49, 0, v49
	s_waitcnt vmcnt(10)
	v_fma_f32 v51, v53, v84, -v73
	v_add_f32_e32 v49, v49, v50
	v_fmac_f32_e32 v96, v52, v83
	s_waitcnt vmcnt(8)
	v_fmac_f32_e32 v99, v58, v86
	v_fma_f32 v52, v55, v85, -v74
	v_add_f32_e32 v58, 0, v95
	v_add_f32_e32 v49, v49, v51
	v_mul_f32_e32 v76, v60, v76
	v_fmac_f32_e32 v97, v54, v84
	v_fma_f32 v53, v57, v86, -v75
	v_add_f32_e32 v58, v58, v96
	v_add_f32_e32 v49, v49, v52
	s_waitcnt lgkmcnt(2)
	v_mul_f32_e32 v101, v61, v77
	v_mul_f32_e32 v77, v62, v77
	v_fmac_f32_e32 v98, v56, v85
	s_waitcnt vmcnt(7)
	v_fma_f32 v54, v59, v87, -v76
	v_add_f32_e32 v50, v58, v97
	v_add_f32_e32 v49, v49, v53
	v_mul_f32_e32 v102, v63, v78
	v_mul_f32_e32 v78, v64, v78
	s_waitcnt vmcnt(6)
	v_fma_f32 v55, v61, v88, -v77
	v_add_f32_e32 v50, v50, v98
	v_add_f32_e32 v49, v49, v54
	s_waitcnt lgkmcnt(1)
	v_mul_f32_e32 v103, v65, v79
	v_mul_f32_e32 v79, v66, v79
	v_fmac_f32_e32 v100, v60, v87
	s_waitcnt vmcnt(5)
	v_fma_f32 v56, v63, v89, -v78
	v_add_f32_e32 v50, v50, v99
	v_add_f32_e32 v49, v49, v55
	v_fmac_f32_e32 v101, v62, v88
	s_waitcnt vmcnt(4)
	v_fma_f32 v57, v65, v90, -v79
	v_add_f32_e32 v50, v50, v100
	v_add_f32_e32 v49, v49, v56
	v_mul_f32_e32 v51, v68, v80
	v_fmac_f32_e32 v102, v64, v89
	v_add_f32_e32 v50, v50, v101
	v_add_f32_e32 v49, v49, v57
	s_waitcnt vmcnt(3)
	v_fma_f32 v51, v67, v91, -v51
	v_mul_f32_e32 v104, v67, v80
	v_fmac_f32_e32 v103, v66, v90
	v_add_f32_e32 v50, v50, v102
	v_add_f32_e32 v49, v49, v51
	s_waitcnt lgkmcnt(0)
	v_mul_f32_e32 v51, v70, v81
	v_mul_f32_e32 v105, v69, v81
	v_fmac_f32_e32 v104, v68, v91
	v_add_f32_e32 v50, v50, v103
	s_waitcnt vmcnt(2)
	v_fma_f32 v51, v69, v92, -v51
	v_fmac_f32_e32 v105, v70, v92
	v_add_f32_e32 v50, v50, v104
	v_add_f32_e32 v49, v49, v51
	;; [unrolled: 1-line block ×3, first 2 shown]
	s_waitcnt vmcnt(1)
	v_sub_f32_e32 v49, v93, v49
	s_waitcnt vmcnt(0)
	v_sub_f32_e32 v50, v94, v50
	buffer_store_dword v49, off, s[0:3], 0 offset:88
	buffer_store_dword v50, off, s[0:3], 0 offset:92
	s_and_saveexec_b64 s[4:5], vcc
	s_cbranch_execz .LBB22_131
; %bb.130:
	buffer_load_dword v49, off, s[0:3], 0 offset:80
	buffer_load_dword v50, off, s[0:3], 0 offset:84
	s_waitcnt vmcnt(0)
	ds_write_b64 v47, v[49:50]
	buffer_store_dword v48, off, s[0:3], 0 offset:80
	buffer_store_dword v48, off, s[0:3], 0 offset:84
.LBB22_131:
	s_or_b64 exec, exec, s[4:5]
	s_waitcnt lgkmcnt(0)
	; wave barrier
	buffer_load_dword v73, off, s[0:3], 0 offset:92
	buffer_load_dword v74, off, s[0:3], 0 offset:100
	buffer_load_dword v75, off, s[0:3], 0 offset:108
	buffer_load_dword v76, off, s[0:3], 0 offset:116
	buffer_load_dword v77, off, s[0:3], 0 offset:124
	buffer_load_dword v78, off, s[0:3], 0 offset:132
	buffer_load_dword v79, off, s[0:3], 0 offset:140
	buffer_load_dword v80, off, s[0:3], 0 offset:148
	buffer_load_dword v81, off, s[0:3], 0 offset:156
	buffer_load_dword v82, off, s[0:3], 0 offset:164
	buffer_load_dword v83, off, s[0:3], 0 offset:172
	buffer_load_dword v84, off, s[0:3], 0 offset:180
	buffer_load_dword v85, off, s[0:3], 0 offset:88
	buffer_load_dword v86, off, s[0:3], 0 offset:96
	buffer_load_dword v87, off, s[0:3], 0 offset:104
	buffer_load_dword v88, off, s[0:3], 0 offset:112
	buffer_load_dword v89, off, s[0:3], 0 offset:120
	buffer_load_dword v90, off, s[0:3], 0 offset:128
	buffer_load_dword v91, off, s[0:3], 0 offset:136
	buffer_load_dword v92, off, s[0:3], 0 offset:144
	buffer_load_dword v93, off, s[0:3], 0 offset:152
	buffer_load_dword v94, off, s[0:3], 0 offset:160
	buffer_load_dword v95, off, s[0:3], 0 offset:168
	buffer_load_dword v96, off, s[0:3], 0 offset:176
	buffer_load_dword v97, off, s[0:3], 0 offset:80
	buffer_load_dword v98, off, s[0:3], 0 offset:84
	ds_read2_b64 v[49:52], v48 offset0:35 offset1:36
	ds_read2_b64 v[53:56], v48 offset0:37 offset1:38
	;; [unrolled: 1-line block ×6, first 2 shown]
	v_cmp_lt_u32_e32 vcc, 9, v0
	s_waitcnt vmcnt(25) lgkmcnt(5)
	v_mul_f32_e32 v48, v49, v73
	v_mul_f32_e32 v73, v50, v73
	s_waitcnt vmcnt(24)
	v_mul_f32_e32 v99, v51, v74
	v_mul_f32_e32 v74, v52, v74
	s_waitcnt vmcnt(23) lgkmcnt(4)
	v_mul_f32_e32 v100, v53, v75
	v_mul_f32_e32 v75, v54, v75
	s_waitcnt vmcnt(22)
	v_mul_f32_e32 v101, v55, v76
	v_mul_f32_e32 v76, v56, v76
	;; [unrolled: 6-line block ×3, first 2 shown]
	s_waitcnt vmcnt(13)
	v_fma_f32 v49, v49, v85, -v73
	v_fmac_f32_e32 v48, v50, v85
	s_waitcnt vmcnt(12)
	v_fma_f32 v50, v51, v86, -v74
	v_add_f32_e32 v49, 0, v49
	s_waitcnt vmcnt(11)
	v_fma_f32 v51, v53, v87, -v75
	v_add_f32_e32 v49, v49, v50
	v_fmac_f32_e32 v99, v52, v86
	s_waitcnt vmcnt(10)
	v_fma_f32 v52, v55, v88, -v76
	v_add_f32_e32 v49, v49, v51
	s_waitcnt vmcnt(9)
	v_fma_f32 v53, v57, v89, -v77
	v_add_f32_e32 v49, v49, v52
	s_waitcnt lgkmcnt(2)
	v_mul_f32_e32 v104, v61, v79
	v_mul_f32_e32 v79, v62, v79
	v_fmac_f32_e32 v100, v54, v87
	s_waitcnt vmcnt(8)
	v_fma_f32 v54, v59, v90, -v78
	v_add_f32_e32 v48, 0, v48
	v_add_f32_e32 v49, v49, v53
	v_mul_f32_e32 v105, v63, v80
	v_mul_f32_e32 v80, v64, v80
	s_waitcnt vmcnt(7)
	v_fma_f32 v55, v61, v91, -v79
	v_add_f32_e32 v48, v48, v99
	v_add_f32_e32 v49, v49, v54
	v_fmac_f32_e32 v101, v56, v88
	s_waitcnt vmcnt(6)
	v_fma_f32 v56, v63, v92, -v80
	v_add_f32_e32 v48, v48, v100
	v_add_f32_e32 v49, v49, v55
	s_waitcnt lgkmcnt(1)
	v_mul_f32_e32 v50, v66, v81
	v_fmac_f32_e32 v102, v58, v89
	v_add_f32_e32 v48, v48, v101
	v_add_f32_e32 v49, v49, v56
	s_waitcnt vmcnt(5)
	v_fma_f32 v50, v65, v93, -v50
	v_fmac_f32_e32 v103, v60, v90
	v_add_f32_e32 v48, v48, v102
	v_add_f32_e32 v49, v49, v50
	v_mul_f32_e32 v50, v68, v82
	v_fmac_f32_e32 v104, v62, v91
	v_add_f32_e32 v48, v48, v103
	s_waitcnt vmcnt(4)
	v_fma_f32 v50, v67, v94, -v50
	v_mul_f32_e32 v106, v65, v81
	v_fmac_f32_e32 v105, v64, v92
	v_add_f32_e32 v48, v48, v104
	v_add_f32_e32 v49, v49, v50
	s_waitcnt lgkmcnt(0)
	v_mul_f32_e32 v50, v70, v83
	v_mul_f32_e32 v107, v67, v82
	v_fmac_f32_e32 v106, v66, v93
	v_add_f32_e32 v48, v48, v105
	s_waitcnt vmcnt(3)
	v_fma_f32 v50, v69, v95, -v50
	v_mul_f32_e32 v108, v69, v83
	v_fmac_f32_e32 v107, v68, v94
	v_add_f32_e32 v48, v48, v106
	v_add_f32_e32 v49, v49, v50
	v_mul_f32_e32 v50, v72, v84
	v_mul_f32_e32 v109, v71, v84
	v_fmac_f32_e32 v108, v70, v95
	v_add_f32_e32 v48, v48, v107
	s_waitcnt vmcnt(2)
	v_fma_f32 v50, v71, v96, -v50
	v_fmac_f32_e32 v109, v72, v96
	v_add_f32_e32 v48, v48, v108
	v_add_f32_e32 v49, v49, v50
	;; [unrolled: 1-line block ×3, first 2 shown]
	s_waitcnt vmcnt(1)
	v_sub_f32_e32 v49, v97, v49
	s_waitcnt vmcnt(0)
	v_sub_f32_e32 v48, v98, v48
	buffer_store_dword v49, off, s[0:3], 0 offset:80
	buffer_store_dword v48, off, s[0:3], 0 offset:84
	s_and_saveexec_b64 s[4:5], vcc
	s_cbranch_execz .LBB22_133
; %bb.132:
	buffer_load_dword v48, off, s[0:3], 0 offset:72
	buffer_load_dword v49, off, s[0:3], 0 offset:76
	v_mov_b32_e32 v50, 0
	buffer_store_dword v50, off, s[0:3], 0 offset:72
	buffer_store_dword v50, off, s[0:3], 0 offset:76
	s_waitcnt vmcnt(2)
	ds_write_b64 v47, v[48:49]
.LBB22_133:
	s_or_b64 exec, exec, s[4:5]
	s_waitcnt lgkmcnt(0)
	; wave barrier
	buffer_load_dword v75, off, s[0:3], 0 offset:84
	buffer_load_dword v76, off, s[0:3], 0 offset:92
	;; [unrolled: 1-line block ×28, first 2 shown]
	v_mov_b32_e32 v48, 0
	ds_read_b128 v[49:52], v48 offset:272
	ds_read_b128 v[53:56], v48 offset:288
	;; [unrolled: 1-line block ×6, first 2 shown]
	ds_read_b64 v[73:74], v48 offset:368
	v_cmp_lt_u32_e32 vcc, 8, v0
	s_waitcnt vmcnt(27) lgkmcnt(6)
	v_mul_f32_e32 v103, v49, v75
	v_mul_f32_e32 v75, v50, v75
	s_waitcnt vmcnt(26)
	v_mul_f32_e32 v104, v51, v76
	v_mul_f32_e32 v76, v52, v76
	s_waitcnt vmcnt(25) lgkmcnt(5)
	v_mul_f32_e32 v105, v53, v77
	v_mul_f32_e32 v77, v54, v77
	s_waitcnt vmcnt(24)
	v_mul_f32_e32 v106, v55, v78
	v_mul_f32_e32 v78, v56, v78
	s_waitcnt vmcnt(23) lgkmcnt(4)
	v_mul_f32_e32 v107, v57, v79
	v_mul_f32_e32 v79, v58, v79
	s_waitcnt vmcnt(22)
	v_mul_f32_e32 v108, v59, v80
	v_mul_f32_e32 v80, v60, v80
	s_waitcnt vmcnt(21) lgkmcnt(3)
	v_mul_f32_e32 v109, v61, v81
	s_waitcnt vmcnt(14)
	v_fma_f32 v49, v49, v88, -v75
	v_fmac_f32_e32 v103, v50, v88
	s_waitcnt vmcnt(13)
	v_fma_f32 v50, v51, v89, -v76
	v_add_f32_e32 v49, 0, v49
	s_waitcnt vmcnt(12)
	v_fma_f32 v51, v53, v90, -v77
	v_add_f32_e32 v49, v49, v50
	v_fmac_f32_e32 v104, v52, v89
	s_waitcnt vmcnt(11)
	v_fma_f32 v52, v55, v91, -v78
	v_add_f32_e32 v49, v49, v51
	s_waitcnt vmcnt(10)
	v_fma_f32 v53, v57, v92, -v79
	v_add_f32_e32 v49, v49, v52
	v_fmac_f32_e32 v105, v54, v90
	s_waitcnt vmcnt(9)
	v_fma_f32 v54, v59, v93, -v80
	v_add_f32_e32 v49, v49, v53
	v_mul_f32_e32 v51, v62, v81
	v_add_f32_e32 v49, v49, v54
	s_waitcnt vmcnt(8)
	v_fma_f32 v51, v61, v94, -v51
	v_add_f32_e32 v49, v49, v51
	v_mul_f32_e32 v51, v64, v82
	v_add_f32_e32 v55, 0, v103
	s_waitcnt vmcnt(7)
	v_fma_f32 v51, v63, v95, -v51
	v_add_f32_e32 v55, v55, v104
	v_add_f32_e32 v49, v49, v51
	s_waitcnt lgkmcnt(2)
	v_mul_f32_e32 v51, v66, v83
	v_fmac_f32_e32 v106, v56, v91
	v_add_f32_e32 v50, v55, v105
	s_waitcnt vmcnt(6)
	v_fma_f32 v51, v65, v96, -v51
	v_fmac_f32_e32 v107, v58, v92
	v_add_f32_e32 v50, v50, v106
	v_add_f32_e32 v49, v49, v51
	v_mul_f32_e32 v51, v68, v84
	v_fmac_f32_e32 v108, v60, v93
	v_add_f32_e32 v50, v50, v107
	s_waitcnt vmcnt(5)
	v_fma_f32 v51, v67, v97, -v51
	v_mul_f32_e32 v110, v63, v82
	v_fmac_f32_e32 v109, v62, v94
	v_add_f32_e32 v50, v50, v108
	v_add_f32_e32 v49, v49, v51
	s_waitcnt lgkmcnt(1)
	v_mul_f32_e32 v51, v70, v85
	v_mul_f32_e32 v111, v65, v83
	v_fmac_f32_e32 v110, v64, v95
	v_add_f32_e32 v50, v50, v109
	s_waitcnt vmcnt(4)
	v_fma_f32 v51, v69, v98, -v51
	v_mul_f32_e32 v112, v67, v84
	v_fmac_f32_e32 v111, v66, v96
	v_add_f32_e32 v50, v50, v110
	v_add_f32_e32 v49, v49, v51
	v_mul_f32_e32 v51, v72, v86
	v_mul_f32_e32 v113, v69, v85
	v_fmac_f32_e32 v112, v68, v97
	v_add_f32_e32 v50, v50, v111
	s_waitcnt vmcnt(3)
	v_fma_f32 v51, v71, v99, -v51
	v_mul_f32_e32 v114, v71, v86
	v_fmac_f32_e32 v113, v70, v98
	v_add_f32_e32 v50, v50, v112
	v_add_f32_e32 v49, v49, v51
	s_waitcnt lgkmcnt(0)
	v_mul_f32_e32 v51, v74, v87
	v_mul_f32_e32 v115, v73, v87
	v_fmac_f32_e32 v114, v72, v99
	v_add_f32_e32 v50, v50, v113
	s_waitcnt vmcnt(2)
	v_fma_f32 v51, v73, v100, -v51
	v_fmac_f32_e32 v115, v74, v100
	v_add_f32_e32 v50, v50, v114
	v_add_f32_e32 v49, v49, v51
	;; [unrolled: 1-line block ×3, first 2 shown]
	s_waitcnt vmcnt(1)
	v_sub_f32_e32 v49, v101, v49
	s_waitcnt vmcnt(0)
	v_sub_f32_e32 v50, v102, v50
	buffer_store_dword v49, off, s[0:3], 0 offset:72
	buffer_store_dword v50, off, s[0:3], 0 offset:76
	s_and_saveexec_b64 s[4:5], vcc
	s_cbranch_execz .LBB22_135
; %bb.134:
	buffer_load_dword v49, off, s[0:3], 0 offset:64
	buffer_load_dword v50, off, s[0:3], 0 offset:68
	s_waitcnt vmcnt(0)
	ds_write_b64 v47, v[49:50]
	buffer_store_dword v48, off, s[0:3], 0 offset:64
	buffer_store_dword v48, off, s[0:3], 0 offset:68
.LBB22_135:
	s_or_b64 exec, exec, s[4:5]
	s_waitcnt lgkmcnt(0)
	; wave barrier
	buffer_load_dword v77, off, s[0:3], 0 offset:76
	buffer_load_dword v78, off, s[0:3], 0 offset:84
	;; [unrolled: 1-line block ×30, first 2 shown]
	ds_read2_b64 v[49:52], v48 offset0:33 offset1:34
	ds_read2_b64 v[53:56], v48 offset0:35 offset1:36
	;; [unrolled: 1-line block ×7, first 2 shown]
	v_cmp_lt_u32_e32 vcc, 7, v0
	s_waitcnt vmcnt(29) lgkmcnt(6)
	v_mul_f32_e32 v48, v49, v77
	v_mul_f32_e32 v77, v50, v77
	s_waitcnt vmcnt(28)
	v_mul_f32_e32 v107, v51, v78
	v_mul_f32_e32 v78, v52, v78
	s_waitcnt vmcnt(27) lgkmcnt(5)
	v_mul_f32_e32 v108, v53, v79
	v_mul_f32_e32 v79, v54, v79
	s_waitcnt vmcnt(26)
	v_mul_f32_e32 v109, v55, v80
	v_mul_f32_e32 v80, v56, v80
	s_waitcnt vmcnt(25) lgkmcnt(4)
	v_mul_f32_e32 v110, v57, v81
	v_mul_f32_e32 v81, v58, v81
	s_waitcnt vmcnt(24)
	v_mul_f32_e32 v111, v59, v82
	s_waitcnt vmcnt(23) lgkmcnt(3)
	v_mul_f32_e32 v112, v61, v83
	s_waitcnt vmcnt(22)
	v_mul_f32_e32 v113, v63, v84
	s_waitcnt vmcnt(21) lgkmcnt(2)
	v_mul_f32_e32 v114, v65, v85
	s_waitcnt vmcnt(15)
	v_fma_f32 v49, v49, v91, -v77
	v_fmac_f32_e32 v48, v50, v91
	s_waitcnt vmcnt(14)
	v_fma_f32 v50, v51, v92, -v78
	v_add_f32_e32 v49, 0, v49
	s_waitcnt vmcnt(13)
	v_fma_f32 v51, v53, v93, -v79
	v_add_f32_e32 v49, v49, v50
	v_fmac_f32_e32 v107, v52, v92
	s_waitcnt vmcnt(12)
	v_fma_f32 v52, v55, v94, -v80
	v_add_f32_e32 v49, v49, v51
	s_waitcnt vmcnt(11)
	v_fma_f32 v53, v57, v95, -v81
	v_add_f32_e32 v49, v49, v52
	v_mul_f32_e32 v50, v60, v82
	v_add_f32_e32 v49, v49, v53
	s_waitcnt vmcnt(10)
	v_fma_f32 v50, v59, v96, -v50
	v_add_f32_e32 v49, v49, v50
	v_mul_f32_e32 v50, v62, v83
	s_waitcnt vmcnt(9)
	v_fma_f32 v50, v61, v97, -v50
	v_add_f32_e32 v49, v49, v50
	v_mul_f32_e32 v50, v64, v84
	s_waitcnt vmcnt(8)
	v_fma_f32 v50, v63, v98, -v50
	v_add_f32_e32 v48, 0, v48
	v_add_f32_e32 v49, v49, v50
	v_mul_f32_e32 v50, v66, v85
	v_fmac_f32_e32 v108, v54, v93
	v_add_f32_e32 v48, v48, v107
	s_waitcnt vmcnt(7)
	v_fma_f32 v50, v65, v99, -v50
	v_fmac_f32_e32 v109, v56, v94
	v_add_f32_e32 v48, v48, v108
	v_add_f32_e32 v49, v49, v50
	v_mul_f32_e32 v50, v68, v86
	v_fmac_f32_e32 v110, v58, v95
	v_add_f32_e32 v48, v48, v109
	s_waitcnt vmcnt(6)
	v_fma_f32 v50, v67, v100, -v50
	v_fmac_f32_e32 v111, v60, v96
	v_add_f32_e32 v48, v48, v110
	v_add_f32_e32 v49, v49, v50
	s_waitcnt lgkmcnt(1)
	v_mul_f32_e32 v50, v70, v87
	v_fmac_f32_e32 v112, v62, v97
	v_add_f32_e32 v48, v48, v111
	s_waitcnt vmcnt(5)
	v_fma_f32 v50, v69, v101, -v50
	v_fmac_f32_e32 v113, v64, v98
	v_add_f32_e32 v48, v48, v112
	v_add_f32_e32 v49, v49, v50
	v_mul_f32_e32 v50, v72, v88
	v_mul_f32_e32 v115, v67, v86
	v_fmac_f32_e32 v114, v66, v99
	v_add_f32_e32 v48, v48, v113
	s_waitcnt vmcnt(4)
	v_fma_f32 v50, v71, v102, -v50
	v_mul_f32_e32 v116, v69, v87
	v_fmac_f32_e32 v115, v68, v100
	v_add_f32_e32 v48, v48, v114
	v_add_f32_e32 v49, v49, v50
	s_waitcnt lgkmcnt(0)
	v_mul_f32_e32 v50, v74, v89
	v_mul_f32_e32 v117, v71, v88
	v_fmac_f32_e32 v116, v70, v101
	v_add_f32_e32 v48, v48, v115
	s_waitcnt vmcnt(3)
	v_fma_f32 v50, v73, v103, -v50
	v_mul_f32_e32 v118, v73, v89
	v_fmac_f32_e32 v117, v72, v102
	v_add_f32_e32 v48, v48, v116
	v_add_f32_e32 v49, v49, v50
	v_mul_f32_e32 v50, v76, v90
	v_mul_f32_e32 v119, v75, v90
	v_fmac_f32_e32 v118, v74, v103
	v_add_f32_e32 v48, v48, v117
	s_waitcnt vmcnt(2)
	v_fma_f32 v50, v75, v104, -v50
	v_fmac_f32_e32 v119, v76, v104
	v_add_f32_e32 v48, v48, v118
	v_add_f32_e32 v49, v49, v50
	;; [unrolled: 1-line block ×3, first 2 shown]
	s_waitcnt vmcnt(1)
	v_sub_f32_e32 v49, v105, v49
	s_waitcnt vmcnt(0)
	v_sub_f32_e32 v48, v106, v48
	buffer_store_dword v49, off, s[0:3], 0 offset:64
	buffer_store_dword v48, off, s[0:3], 0 offset:68
	s_and_saveexec_b64 s[4:5], vcc
	s_cbranch_execz .LBB22_137
; %bb.136:
	buffer_load_dword v48, off, s[0:3], 0 offset:56
	buffer_load_dword v49, off, s[0:3], 0 offset:60
	v_mov_b32_e32 v50, 0
	buffer_store_dword v50, off, s[0:3], 0 offset:56
	buffer_store_dword v50, off, s[0:3], 0 offset:60
	s_waitcnt vmcnt(2)
	ds_write_b64 v47, v[48:49]
.LBB22_137:
	s_or_b64 exec, exec, s[4:5]
	s_waitcnt lgkmcnt(0)
	; wave barrier
	buffer_load_dword v79, off, s[0:3], 0 offset:68
	buffer_load_dword v80, off, s[0:3], 0 offset:76
	;; [unrolled: 1-line block ×32, first 2 shown]
	v_mov_b32_e32 v48, 0
	ds_read_b128 v[49:52], v48 offset:256
	ds_read_b128 v[53:56], v48 offset:272
	;; [unrolled: 1-line block ×7, first 2 shown]
	ds_read_b64 v[77:78], v48 offset:368
	v_cmp_lt_u32_e32 vcc, 6, v0
	s_waitcnt vmcnt(31) lgkmcnt(7)
	v_mul_f32_e32 v111, v49, v79
	v_mul_f32_e32 v79, v50, v79
	s_waitcnt vmcnt(30)
	v_mul_f32_e32 v112, v51, v80
	v_mul_f32_e32 v80, v52, v80
	s_waitcnt vmcnt(29) lgkmcnt(6)
	v_mul_f32_e32 v113, v53, v81
	v_mul_f32_e32 v81, v54, v81
	s_waitcnt vmcnt(28)
	v_mul_f32_e32 v114, v55, v82
	s_waitcnt vmcnt(27) lgkmcnt(5)
	v_mul_f32_e32 v115, v57, v83
	s_waitcnt vmcnt(26)
	v_mul_f32_e32 v116, v59, v84
	s_waitcnt vmcnt(25) lgkmcnt(4)
	;; [unrolled: 4-line block ×4, first 2 shown]
	v_mul_f32_e32 v121, v69, v89
	s_waitcnt vmcnt(20)
	v_mul_f32_e32 v122, v71, v90
	s_waitcnt vmcnt(16)
	v_fma_f32 v49, v49, v94, -v79
	v_fmac_f32_e32 v111, v50, v94
	s_waitcnt vmcnt(15)
	v_fma_f32 v50, v51, v95, -v80
	v_add_f32_e32 v49, 0, v49
	s_waitcnt vmcnt(14)
	v_fma_f32 v51, v53, v96, -v81
	v_add_f32_e32 v49, v49, v50
	v_add_f32_e32 v49, v49, v51
	v_mul_f32_e32 v51, v56, v82
	s_waitcnt vmcnt(13)
	v_fma_f32 v51, v55, v97, -v51
	v_add_f32_e32 v49, v49, v51
	v_mul_f32_e32 v51, v58, v83
	s_waitcnt vmcnt(12)
	v_fma_f32 v51, v57, v98, -v51
	v_add_f32_e32 v49, v49, v51
	v_mul_f32_e32 v51, v60, v84
	s_waitcnt vmcnt(11)
	v_fma_f32 v51, v59, v99, -v51
	v_add_f32_e32 v49, v49, v51
	v_mul_f32_e32 v51, v62, v85
	s_waitcnt vmcnt(10)
	v_fma_f32 v51, v61, v100, -v51
	v_add_f32_e32 v49, v49, v51
	v_mul_f32_e32 v51, v64, v86
	s_waitcnt vmcnt(9)
	v_fma_f32 v51, v63, v101, -v51
	v_add_f32_e32 v49, v49, v51
	v_mul_f32_e32 v51, v66, v87
	v_fmac_f32_e32 v112, v52, v95
	v_add_f32_e32 v52, 0, v111
	s_waitcnt vmcnt(8)
	v_fma_f32 v51, v65, v102, -v51
	v_fmac_f32_e32 v113, v54, v96
	v_add_f32_e32 v52, v52, v112
	v_add_f32_e32 v49, v49, v51
	v_mul_f32_e32 v51, v68, v88
	v_fmac_f32_e32 v114, v56, v97
	v_add_f32_e32 v50, v52, v113
	s_waitcnt vmcnt(7)
	v_fma_f32 v51, v67, v103, -v51
	v_fmac_f32_e32 v115, v58, v98
	v_add_f32_e32 v50, v50, v114
	;; [unrolled: 8-line block ×4, first 2 shown]
	v_add_f32_e32 v49, v49, v51
	s_waitcnt lgkmcnt(1)
	v_mul_f32_e32 v51, v74, v91
	v_fmac_f32_e32 v120, v68, v103
	v_add_f32_e32 v50, v50, v119
	s_waitcnt vmcnt(4)
	v_fma_f32 v51, v73, v106, -v51
	v_fmac_f32_e32 v121, v70, v104
	v_add_f32_e32 v50, v50, v120
	v_add_f32_e32 v49, v49, v51
	v_mul_f32_e32 v51, v76, v92
	v_mul_f32_e32 v123, v73, v91
	v_fmac_f32_e32 v122, v72, v105
	v_add_f32_e32 v50, v50, v121
	s_waitcnt vmcnt(3)
	v_fma_f32 v51, v75, v107, -v51
	v_mul_f32_e32 v124, v75, v92
	v_fmac_f32_e32 v123, v74, v106
	v_add_f32_e32 v50, v50, v122
	v_add_f32_e32 v49, v49, v51
	s_waitcnt lgkmcnt(0)
	v_mul_f32_e32 v51, v78, v93
	v_mul_f32_e32 v125, v77, v93
	v_fmac_f32_e32 v124, v76, v107
	v_add_f32_e32 v50, v50, v123
	s_waitcnt vmcnt(2)
	v_fma_f32 v51, v77, v108, -v51
	v_fmac_f32_e32 v125, v78, v108
	v_add_f32_e32 v50, v50, v124
	v_add_f32_e32 v49, v49, v51
	;; [unrolled: 1-line block ×3, first 2 shown]
	s_waitcnt vmcnt(1)
	v_sub_f32_e32 v49, v109, v49
	s_waitcnt vmcnt(0)
	v_sub_f32_e32 v50, v110, v50
	buffer_store_dword v49, off, s[0:3], 0 offset:56
	buffer_store_dword v50, off, s[0:3], 0 offset:60
	s_and_saveexec_b64 s[4:5], vcc
	s_cbranch_execz .LBB22_139
; %bb.138:
	buffer_load_dword v49, off, s[0:3], 0 offset:48
	buffer_load_dword v50, off, s[0:3], 0 offset:52
	s_waitcnt vmcnt(0)
	ds_write_b64 v47, v[49:50]
	buffer_store_dword v48, off, s[0:3], 0 offset:48
	buffer_store_dword v48, off, s[0:3], 0 offset:52
.LBB22_139:
	s_or_b64 exec, exec, s[4:5]
	s_waitcnt lgkmcnt(0)
	; wave barrier
	ds_read2_b64 v[49:52], v48 offset0:31 offset1:32
	buffer_load_dword v81, off, s[0:3], 0 offset:48
	buffer_load_dword v82, off, s[0:3], 0 offset:52
	;; [unrolled: 1-line block ×16, first 2 shown]
	v_cmp_lt_u32_e32 vcc, 5, v0
	s_waitcnt vmcnt(12) lgkmcnt(0)
	v_mul_f32_e32 v53, v49, v84
	v_fmac_f32_e32 v53, v50, v83
	s_waitcnt vmcnt(10)
	v_mul_f32_e32 v54, v51, v86
	v_add_f32_e32 v53, 0, v53
	v_fmac_f32_e32 v54, v52, v85
	v_add_f32_e32 v57, v53, v54
	ds_read2_b64 v[53:56], v48 offset0:33 offset1:34
	v_mul_f32_e32 v50, v50, v84
	v_fma_f32 v49, v49, v83, -v50
	v_mul_f32_e32 v50, v52, v86
	v_add_f32_e32 v49, 0, v49
	s_waitcnt vmcnt(8) lgkmcnt(0)
	v_mul_f32_e32 v58, v53, v88
	v_fmac_f32_e32 v58, v54, v87
	v_add_f32_e32 v57, v57, v58
	s_waitcnt vmcnt(6)
	v_mul_f32_e32 v58, v55, v90
	v_fmac_f32_e32 v58, v56, v89
	v_add_f32_e32 v61, v57, v58
	ds_read2_b64 v[57:60], v48 offset0:35 offset1:36
	v_fma_f32 v50, v51, v85, -v50
	v_add_f32_e32 v49, v49, v50
	v_mul_f32_e32 v50, v54, v88
	v_fma_f32 v50, v53, v87, -v50
	s_waitcnt vmcnt(4) lgkmcnt(0)
	v_mul_f32_e32 v62, v57, v92
	v_fmac_f32_e32 v62, v58, v91
	v_add_f32_e32 v61, v61, v62
	s_waitcnt vmcnt(2)
	v_mul_f32_e32 v62, v59, v94
	v_fmac_f32_e32 v62, v60, v93
	v_add_f32_e32 v65, v61, v62
	ds_read2_b64 v[61:64], v48 offset0:37 offset1:38
	buffer_load_dword v97, off, s[0:3], 0 offset:112
	buffer_load_dword v98, off, s[0:3], 0 offset:116
	v_add_f32_e32 v49, v49, v50
	v_mul_f32_e32 v50, v56, v90
	v_fma_f32 v50, v55, v89, -v50
	s_waitcnt vmcnt(2) lgkmcnt(0)
	v_mul_f32_e32 v66, v61, v96
	v_fmac_f32_e32 v66, v62, v95
	v_add_f32_e32 v65, v65, v66
	v_add_f32_e32 v49, v49, v50
	v_mul_f32_e32 v50, v58, v92
	v_fma_f32 v50, v57, v91, -v50
	v_add_f32_e32 v49, v49, v50
	v_mul_f32_e32 v50, v60, v94
	v_fma_f32 v50, v59, v93, -v50
	;; [unrolled: 3-line block ×3, first 2 shown]
	v_add_f32_e32 v49, v49, v50
	s_waitcnt vmcnt(0)
	v_mul_f32_e32 v66, v63, v98
	v_fmac_f32_e32 v66, v64, v97
	v_add_f32_e32 v69, v65, v66
	ds_read2_b64 v[65:68], v48 offset0:39 offset1:40
	buffer_load_dword v99, off, s[0:3], 0 offset:120
	buffer_load_dword v100, off, s[0:3], 0 offset:124
	;; [unrolled: 1-line block ×4, first 2 shown]
	v_mul_f32_e32 v50, v64, v98
	v_fma_f32 v50, v63, v97, -v50
	v_add_f32_e32 v49, v49, v50
	s_waitcnt vmcnt(2) lgkmcnt(0)
	v_mul_f32_e32 v70, v65, v100
	v_fmac_f32_e32 v70, v66, v99
	v_add_f32_e32 v69, v69, v70
	s_waitcnt vmcnt(0)
	v_mul_f32_e32 v70, v67, v102
	v_fmac_f32_e32 v70, v68, v101
	v_add_f32_e32 v73, v69, v70
	ds_read2_b64 v[69:72], v48 offset0:41 offset1:42
	buffer_load_dword v103, off, s[0:3], 0 offset:136
	buffer_load_dword v104, off, s[0:3], 0 offset:140
	;; [unrolled: 1-line block ×4, first 2 shown]
	v_mul_f32_e32 v50, v66, v100
	v_fma_f32 v50, v65, v99, -v50
	v_add_f32_e32 v49, v49, v50
	v_mul_f32_e32 v50, v68, v102
	v_fma_f32 v50, v67, v101, -v50
	v_add_f32_e32 v49, v49, v50
	s_waitcnt vmcnt(2) lgkmcnt(0)
	v_mul_f32_e32 v74, v69, v104
	v_fmac_f32_e32 v74, v70, v103
	v_add_f32_e32 v73, v73, v74
	s_waitcnt vmcnt(0)
	v_mul_f32_e32 v74, v71, v106
	v_fmac_f32_e32 v74, v72, v105
	v_add_f32_e32 v77, v73, v74
	ds_read2_b64 v[73:76], v48 offset0:43 offset1:44
	buffer_load_dword v107, off, s[0:3], 0 offset:152
	buffer_load_dword v108, off, s[0:3], 0 offset:156
	;; [unrolled: 1-line block ×4, first 2 shown]
	v_mul_f32_e32 v50, v70, v104
	v_fma_f32 v50, v69, v103, -v50
	v_add_f32_e32 v49, v49, v50
	v_mul_f32_e32 v50, v72, v106
	v_fma_f32 v50, v71, v105, -v50
	v_add_f32_e32 v49, v49, v50
	s_waitcnt vmcnt(2) lgkmcnt(0)
	v_mul_f32_e32 v78, v73, v108
	v_fmac_f32_e32 v78, v74, v107
	v_add_f32_e32 v77, v77, v78
	s_waitcnt vmcnt(0)
	v_mul_f32_e32 v78, v75, v110
	v_fmac_f32_e32 v78, v76, v109
	v_add_f32_e32 v111, v77, v78
	ds_read2_b64 v[77:80], v48 offset0:45 offset1:46
	buffer_load_dword v48, off, s[0:3], 0 offset:168
	buffer_load_dword v112, off, s[0:3], 0 offset:172
	v_mul_f32_e32 v50, v74, v108
	v_fma_f32 v50, v73, v107, -v50
	v_add_f32_e32 v49, v49, v50
	v_mul_f32_e32 v50, v76, v110
	v_fma_f32 v50, v75, v109, -v50
	v_add_f32_e32 v49, v49, v50
	s_waitcnt vmcnt(0) lgkmcnt(0)
	v_mul_f32_e32 v113, v77, v112
	v_fmac_f32_e32 v113, v78, v48
	v_add_f32_e32 v111, v111, v113
	buffer_load_dword v113, off, s[0:3], 0 offset:176
	buffer_load_dword v114, off, s[0:3], 0 offset:180
	v_mul_f32_e32 v50, v78, v112
	v_fma_f32 v48, v77, v48, -v50
	v_add_f32_e32 v48, v49, v48
	s_waitcnt vmcnt(0)
	v_mul_f32_e32 v49, v80, v114
	v_mul_f32_e32 v115, v79, v114
	v_fma_f32 v49, v79, v113, -v49
	v_fmac_f32_e32 v115, v80, v113
	v_add_f32_e32 v48, v48, v49
	v_add_f32_e32 v111, v111, v115
	v_sub_f32_e32 v48, v81, v48
	v_sub_f32_e32 v49, v82, v111
	buffer_store_dword v48, off, s[0:3], 0 offset:48
	buffer_store_dword v49, off, s[0:3], 0 offset:52
	s_and_saveexec_b64 s[4:5], vcc
	s_cbranch_execz .LBB22_141
; %bb.140:
	buffer_load_dword v48, off, s[0:3], 0 offset:40
	buffer_load_dword v49, off, s[0:3], 0 offset:44
	v_mov_b32_e32 v50, 0
	buffer_store_dword v50, off, s[0:3], 0 offset:40
	buffer_store_dword v50, off, s[0:3], 0 offset:44
	s_waitcnt vmcnt(2)
	ds_write_b64 v47, v[48:49]
.LBB22_141:
	s_or_b64 exec, exec, s[4:5]
	v_mov_b32_e32 v48, 0
	s_waitcnt lgkmcnt(0)
	; wave barrier
	ds_read_b128 v[49:52], v48 offset:240
	ds_read_b128 v[53:56], v48 offset:256
	;; [unrolled: 1-line block ×4, first 2 shown]
	buffer_load_dword v83, off, s[0:3], 0 offset:40
	buffer_load_dword v84, off, s[0:3], 0 offset:44
	;; [unrolled: 1-line block ×18, first 2 shown]
	v_cmp_lt_u32_e32 vcc, 4, v0
	s_waitcnt vmcnt(14) lgkmcnt(3)
	v_mul_f32_e32 v65, v49, v86
	v_fmac_f32_e32 v65, v50, v85
	s_waitcnt vmcnt(12)
	v_mul_f32_e32 v66, v51, v88
	v_add_f32_e32 v65, 0, v65
	v_fmac_f32_e32 v66, v52, v87
	v_add_f32_e32 v65, v65, v66
	s_waitcnt vmcnt(10) lgkmcnt(2)
	v_mul_f32_e32 v66, v53, v90
	v_fmac_f32_e32 v66, v54, v89
	v_add_f32_e32 v65, v65, v66
	s_waitcnt vmcnt(8)
	v_mul_f32_e32 v66, v55, v92
	v_fmac_f32_e32 v66, v56, v91
	v_add_f32_e32 v65, v65, v66
	s_waitcnt vmcnt(6) lgkmcnt(1)
	v_mul_f32_e32 v66, v57, v94
	v_fmac_f32_e32 v66, v58, v93
	v_add_f32_e32 v65, v65, v66
	s_waitcnt vmcnt(4)
	v_mul_f32_e32 v66, v59, v96
	;; [unrolled: 8-line block ×3, first 2 shown]
	v_fmac_f32_e32 v66, v64, v99
	v_add_f32_e32 v69, v65, v66
	ds_read_b128 v[65:68], v48 offset:304
	buffer_load_dword v101, off, s[0:3], 0 offset:112
	buffer_load_dword v102, off, s[0:3], 0 offset:116
	;; [unrolled: 1-line block ×4, first 2 shown]
	v_mul_f32_e32 v50, v50, v86
	v_fma_f32 v49, v49, v85, -v50
	v_mul_f32_e32 v50, v52, v88
	v_add_f32_e32 v49, 0, v49
	v_fma_f32 v50, v51, v87, -v50
	v_add_f32_e32 v49, v49, v50
	v_mul_f32_e32 v50, v54, v90
	v_fma_f32 v50, v53, v89, -v50
	v_add_f32_e32 v49, v49, v50
	v_mul_f32_e32 v50, v56, v92
	;; [unrolled: 3-line block ×6, first 2 shown]
	v_fma_f32 v50, v63, v99, -v50
	v_add_f32_e32 v49, v49, v50
	s_waitcnt vmcnt(2) lgkmcnt(0)
	v_mul_f32_e32 v70, v65, v102
	v_fmac_f32_e32 v70, v66, v101
	v_add_f32_e32 v69, v69, v70
	s_waitcnt vmcnt(0)
	v_mul_f32_e32 v70, v67, v104
	v_fmac_f32_e32 v70, v68, v103
	v_add_f32_e32 v73, v69, v70
	ds_read_b128 v[69:72], v48 offset:320
	buffer_load_dword v105, off, s[0:3], 0 offset:128
	buffer_load_dword v106, off, s[0:3], 0 offset:132
	buffer_load_dword v107, off, s[0:3], 0 offset:136
	buffer_load_dword v108, off, s[0:3], 0 offset:140
	v_mul_f32_e32 v50, v66, v102
	v_fma_f32 v50, v65, v101, -v50
	v_add_f32_e32 v49, v49, v50
	v_mul_f32_e32 v50, v68, v104
	v_fma_f32 v50, v67, v103, -v50
	v_add_f32_e32 v49, v49, v50
	s_waitcnt vmcnt(2) lgkmcnt(0)
	v_mul_f32_e32 v74, v69, v106
	v_fmac_f32_e32 v74, v70, v105
	v_add_f32_e32 v73, v73, v74
	s_waitcnt vmcnt(0)
	v_mul_f32_e32 v74, v71, v108
	v_fmac_f32_e32 v74, v72, v107
	v_add_f32_e32 v77, v73, v74
	ds_read_b128 v[73:76], v48 offset:336
	buffer_load_dword v109, off, s[0:3], 0 offset:144
	buffer_load_dword v110, off, s[0:3], 0 offset:148
	buffer_load_dword v111, off, s[0:3], 0 offset:152
	buffer_load_dword v112, off, s[0:3], 0 offset:156
	v_mul_f32_e32 v50, v70, v106
	v_fma_f32 v50, v69, v105, -v50
	v_add_f32_e32 v49, v49, v50
	v_mul_f32_e32 v50, v72, v108
	;; [unrolled: 19-line block ×3, first 2 shown]
	v_fma_f32 v50, v75, v111, -v50
	v_add_f32_e32 v49, v49, v50
	s_waitcnt vmcnt(2) lgkmcnt(0)
	v_mul_f32_e32 v82, v77, v114
	v_fmac_f32_e32 v82, v78, v113
	v_add_f32_e32 v81, v81, v82
	s_waitcnt vmcnt(0)
	v_mul_f32_e32 v82, v79, v116
	v_fmac_f32_e32 v82, v80, v115
	v_add_f32_e32 v117, v81, v82
	ds_read_b64 v[81:82], v48 offset:368
	buffer_load_dword v118, off, s[0:3], 0 offset:176
	buffer_load_dword v119, off, s[0:3], 0 offset:180
	v_mul_f32_e32 v50, v78, v114
	v_fma_f32 v50, v77, v113, -v50
	v_add_f32_e32 v49, v49, v50
	v_mul_f32_e32 v50, v80, v116
	v_fma_f32 v50, v79, v115, -v50
	v_add_f32_e32 v49, v49, v50
	s_waitcnt vmcnt(0) lgkmcnt(0)
	v_mul_f32_e32 v50, v82, v119
	v_mul_f32_e32 v120, v81, v119
	v_fma_f32 v50, v81, v118, -v50
	v_fmac_f32_e32 v120, v82, v118
	v_add_f32_e32 v49, v49, v50
	v_add_f32_e32 v117, v117, v120
	v_sub_f32_e32 v49, v83, v49
	v_sub_f32_e32 v50, v84, v117
	buffer_store_dword v49, off, s[0:3], 0 offset:40
	buffer_store_dword v50, off, s[0:3], 0 offset:44
	s_and_saveexec_b64 s[4:5], vcc
	s_cbranch_execz .LBB22_143
; %bb.142:
	buffer_load_dword v49, off, s[0:3], 0 offset:32
	buffer_load_dword v50, off, s[0:3], 0 offset:36
	s_waitcnt vmcnt(0)
	ds_write_b64 v47, v[49:50]
	buffer_store_dword v48, off, s[0:3], 0 offset:32
	buffer_store_dword v48, off, s[0:3], 0 offset:36
.LBB22_143:
	s_or_b64 exec, exec, s[4:5]
	s_waitcnt lgkmcnt(0)
	; wave barrier
	ds_read2_b64 v[49:52], v48 offset0:29 offset1:30
	buffer_load_dword v85, off, s[0:3], 0 offset:32
	buffer_load_dword v86, off, s[0:3], 0 offset:36
	;; [unrolled: 1-line block ×16, first 2 shown]
	v_cmp_lt_u32_e32 vcc, 3, v0
	s_waitcnt vmcnt(12) lgkmcnt(0)
	v_mul_f32_e32 v53, v49, v88
	v_fmac_f32_e32 v53, v50, v87
	s_waitcnt vmcnt(10)
	v_mul_f32_e32 v54, v51, v90
	v_add_f32_e32 v53, 0, v53
	v_fmac_f32_e32 v54, v52, v89
	v_add_f32_e32 v57, v53, v54
	ds_read2_b64 v[53:56], v48 offset0:31 offset1:32
	v_mul_f32_e32 v50, v50, v88
	v_fma_f32 v49, v49, v87, -v50
	v_mul_f32_e32 v50, v52, v90
	v_add_f32_e32 v49, 0, v49
	s_waitcnt vmcnt(8) lgkmcnt(0)
	v_mul_f32_e32 v58, v53, v92
	v_fmac_f32_e32 v58, v54, v91
	v_add_f32_e32 v57, v57, v58
	s_waitcnt vmcnt(6)
	v_mul_f32_e32 v58, v55, v94
	v_fmac_f32_e32 v58, v56, v93
	v_add_f32_e32 v61, v57, v58
	ds_read2_b64 v[57:60], v48 offset0:33 offset1:34
	v_fma_f32 v50, v51, v89, -v50
	v_add_f32_e32 v49, v49, v50
	v_mul_f32_e32 v50, v54, v92
	v_fma_f32 v50, v53, v91, -v50
	s_waitcnt vmcnt(4) lgkmcnt(0)
	v_mul_f32_e32 v62, v57, v96
	v_fmac_f32_e32 v62, v58, v95
	v_add_f32_e32 v61, v61, v62
	s_waitcnt vmcnt(2)
	v_mul_f32_e32 v62, v59, v98
	v_fmac_f32_e32 v62, v60, v97
	v_add_f32_e32 v65, v61, v62
	ds_read2_b64 v[61:64], v48 offset0:35 offset1:36
	buffer_load_dword v101, off, s[0:3], 0 offset:96
	buffer_load_dword v102, off, s[0:3], 0 offset:100
	v_add_f32_e32 v49, v49, v50
	v_mul_f32_e32 v50, v56, v94
	v_fma_f32 v50, v55, v93, -v50
	s_waitcnt vmcnt(2) lgkmcnt(0)
	v_mul_f32_e32 v66, v61, v100
	v_fmac_f32_e32 v66, v62, v99
	v_add_f32_e32 v65, v65, v66
	v_add_f32_e32 v49, v49, v50
	v_mul_f32_e32 v50, v58, v96
	v_fma_f32 v50, v57, v95, -v50
	v_add_f32_e32 v49, v49, v50
	v_mul_f32_e32 v50, v60, v98
	v_fma_f32 v50, v59, v97, -v50
	v_add_f32_e32 v49, v49, v50
	v_mul_f32_e32 v50, v62, v100
	v_fma_f32 v50, v61, v99, -v50
	v_add_f32_e32 v49, v49, v50
	s_waitcnt vmcnt(0)
	v_mul_f32_e32 v66, v63, v102
	v_fmac_f32_e32 v66, v64, v101
	v_add_f32_e32 v69, v65, v66
	ds_read2_b64 v[65:68], v48 offset0:37 offset1:38
	buffer_load_dword v103, off, s[0:3], 0 offset:104
	buffer_load_dword v104, off, s[0:3], 0 offset:108
	;; [unrolled: 1-line block ×4, first 2 shown]
	v_mul_f32_e32 v50, v64, v102
	v_fma_f32 v50, v63, v101, -v50
	v_add_f32_e32 v49, v49, v50
	s_waitcnt vmcnt(2) lgkmcnt(0)
	v_mul_f32_e32 v70, v65, v104
	v_fmac_f32_e32 v70, v66, v103
	v_add_f32_e32 v69, v69, v70
	s_waitcnt vmcnt(0)
	v_mul_f32_e32 v70, v67, v106
	v_fmac_f32_e32 v70, v68, v105
	v_add_f32_e32 v73, v69, v70
	ds_read2_b64 v[69:72], v48 offset0:39 offset1:40
	buffer_load_dword v107, off, s[0:3], 0 offset:120
	buffer_load_dword v108, off, s[0:3], 0 offset:124
	buffer_load_dword v109, off, s[0:3], 0 offset:128
	buffer_load_dword v110, off, s[0:3], 0 offset:132
	v_mul_f32_e32 v50, v66, v104
	v_fma_f32 v50, v65, v103, -v50
	v_add_f32_e32 v49, v49, v50
	v_mul_f32_e32 v50, v68, v106
	v_fma_f32 v50, v67, v105, -v50
	v_add_f32_e32 v49, v49, v50
	s_waitcnt vmcnt(2) lgkmcnt(0)
	v_mul_f32_e32 v74, v69, v108
	v_fmac_f32_e32 v74, v70, v107
	v_add_f32_e32 v73, v73, v74
	s_waitcnt vmcnt(0)
	v_mul_f32_e32 v74, v71, v110
	v_fmac_f32_e32 v74, v72, v109
	v_add_f32_e32 v77, v73, v74
	ds_read2_b64 v[73:76], v48 offset0:41 offset1:42
	buffer_load_dword v111, off, s[0:3], 0 offset:136
	buffer_load_dword v112, off, s[0:3], 0 offset:140
	buffer_load_dword v113, off, s[0:3], 0 offset:144
	buffer_load_dword v114, off, s[0:3], 0 offset:148
	v_mul_f32_e32 v50, v70, v108
	v_fma_f32 v50, v69, v107, -v50
	v_add_f32_e32 v49, v49, v50
	;; [unrolled: 19-line block ×3, first 2 shown]
	v_mul_f32_e32 v50, v76, v114
	v_fma_f32 v50, v75, v113, -v50
	v_add_f32_e32 v49, v49, v50
	s_waitcnt vmcnt(2) lgkmcnt(0)
	v_mul_f32_e32 v82, v77, v116
	v_fmac_f32_e32 v82, v78, v115
	v_add_f32_e32 v81, v81, v82
	s_waitcnt vmcnt(0)
	v_mul_f32_e32 v82, v79, v118
	v_fmac_f32_e32 v82, v80, v117
	v_add_f32_e32 v119, v81, v82
	ds_read2_b64 v[81:84], v48 offset0:45 offset1:46
	buffer_load_dword v48, off, s[0:3], 0 offset:168
	buffer_load_dword v120, off, s[0:3], 0 offset:172
	v_mul_f32_e32 v50, v78, v116
	v_fma_f32 v50, v77, v115, -v50
	v_add_f32_e32 v49, v49, v50
	v_mul_f32_e32 v50, v80, v118
	v_fma_f32 v50, v79, v117, -v50
	v_add_f32_e32 v49, v49, v50
	s_waitcnt vmcnt(0) lgkmcnt(0)
	v_mul_f32_e32 v121, v81, v120
	v_fmac_f32_e32 v121, v82, v48
	v_add_f32_e32 v119, v119, v121
	buffer_load_dword v121, off, s[0:3], 0 offset:176
	buffer_load_dword v122, off, s[0:3], 0 offset:180
	v_mul_f32_e32 v50, v82, v120
	v_fma_f32 v48, v81, v48, -v50
	v_add_f32_e32 v48, v49, v48
	s_waitcnt vmcnt(0)
	v_mul_f32_e32 v49, v84, v122
	v_mul_f32_e32 v123, v83, v122
	v_fma_f32 v49, v83, v121, -v49
	v_fmac_f32_e32 v123, v84, v121
	v_add_f32_e32 v48, v48, v49
	v_add_f32_e32 v119, v119, v123
	v_sub_f32_e32 v48, v85, v48
	v_sub_f32_e32 v49, v86, v119
	buffer_store_dword v48, off, s[0:3], 0 offset:32
	buffer_store_dword v49, off, s[0:3], 0 offset:36
	s_and_saveexec_b64 s[4:5], vcc
	s_cbranch_execz .LBB22_145
; %bb.144:
	buffer_load_dword v48, off, s[0:3], 0 offset:24
	buffer_load_dword v49, off, s[0:3], 0 offset:28
	v_mov_b32_e32 v50, 0
	buffer_store_dword v50, off, s[0:3], 0 offset:24
	buffer_store_dword v50, off, s[0:3], 0 offset:28
	s_waitcnt vmcnt(2)
	ds_write_b64 v47, v[48:49]
.LBB22_145:
	s_or_b64 exec, exec, s[4:5]
	s_waitcnt lgkmcnt(0)
	; wave barrier
	buffer_load_dword v87, off, s[0:3], 0 offset:36
	buffer_load_dword v88, off, s[0:3], 0 offset:44
	;; [unrolled: 1-line block ×40, first 2 shown]
	v_mov_b32_e32 v48, 0
	ds_read_b128 v[49:52], v48 offset:224
	ds_read_b128 v[53:56], v48 offset:240
	;; [unrolled: 1-line block ×9, first 2 shown]
	v_cmp_lt_u32_e32 vcc, 2, v0
	s_waitcnt vmcnt(39) lgkmcnt(8)
	v_mul_f32_e32 v85, v49, v87
	s_waitcnt vmcnt(38)
	v_mul_f32_e32 v86, v51, v88
	s_waitcnt vmcnt(37) lgkmcnt(7)
	v_mul_f32_e32 v127, v53, v89
	s_waitcnt vmcnt(36)
	v_mul_f32_e32 v128, v55, v90
	;; [unrolled: 4-line block ×7, first 2 shown]
	s_waitcnt vmcnt(25) lgkmcnt(1)
	v_mul_f32_e32 v139, v77, v101
	s_waitcnt vmcnt(24)
	v_fmac_f32_e32 v85, v50, v102
	v_mul_f32_e32 v50, v50, v87
	v_fma_f32 v49, v49, v102, -v50
	v_mul_f32_e32 v50, v52, v88
	v_add_f32_e32 v49, 0, v49
	s_waitcnt vmcnt(23)
	v_fma_f32 v50, v51, v103, -v50
	v_add_f32_e32 v49, v49, v50
	v_mul_f32_e32 v50, v54, v89
	s_waitcnt vmcnt(22)
	v_fma_f32 v50, v53, v104, -v50
	v_add_f32_e32 v49, v49, v50
	v_mul_f32_e32 v50, v56, v90
	s_waitcnt vmcnt(21)
	v_fma_f32 v50, v55, v105, -v50
	v_add_f32_e32 v49, v49, v50
	v_mul_f32_e32 v50, v58, v91
	s_waitcnt vmcnt(20)
	v_fma_f32 v50, v57, v106, -v50
	v_add_f32_e32 v49, v49, v50
	v_mul_f32_e32 v50, v60, v92
	s_waitcnt vmcnt(19)
	v_fma_f32 v50, v59, v107, -v50
	v_add_f32_e32 v49, v49, v50
	v_mul_f32_e32 v50, v62, v93
	s_waitcnt vmcnt(18)
	v_fma_f32 v50, v61, v108, -v50
	v_add_f32_e32 v49, v49, v50
	v_mul_f32_e32 v50, v64, v94
	s_waitcnt vmcnt(17)
	v_fma_f32 v50, v63, v109, -v50
	v_fmac_f32_e32 v86, v52, v103
	v_add_f32_e32 v85, 0, v85
	v_add_f32_e32 v49, v49, v50
	v_mul_f32_e32 v50, v66, v95
	v_fmac_f32_e32 v127, v54, v104
	v_add_f32_e32 v85, v85, v86
	s_waitcnt vmcnt(16)
	v_fma_f32 v50, v65, v110, -v50
	v_fmac_f32_e32 v128, v56, v105
	v_add_f32_e32 v85, v85, v127
	v_add_f32_e32 v49, v49, v50
	v_mul_f32_e32 v50, v68, v96
	v_fmac_f32_e32 v129, v58, v106
	v_add_f32_e32 v85, v85, v128
	s_waitcnt vmcnt(15)
	v_fma_f32 v50, v67, v111, -v50
	v_fmac_f32_e32 v130, v60, v107
	v_add_f32_e32 v85, v85, v129
	v_add_f32_e32 v49, v49, v50
	v_mul_f32_e32 v50, v70, v97
	v_fmac_f32_e32 v131, v62, v108
	v_add_f32_e32 v85, v85, v130
	s_waitcnt vmcnt(14)
	v_fma_f32 v50, v69, v112, -v50
	v_fmac_f32_e32 v132, v64, v109
	v_add_f32_e32 v85, v85, v131
	v_add_f32_e32 v49, v49, v50
	v_mul_f32_e32 v50, v72, v98
	v_fmac_f32_e32 v133, v66, v110
	v_add_f32_e32 v85, v85, v132
	s_waitcnt vmcnt(13)
	v_fma_f32 v50, v71, v113, -v50
	v_fmac_f32_e32 v134, v68, v111
	v_add_f32_e32 v85, v85, v133
	v_add_f32_e32 v49, v49, v50
	v_mul_f32_e32 v50, v74, v99
	v_fmac_f32_e32 v135, v70, v112
	v_add_f32_e32 v85, v85, v134
	s_waitcnt vmcnt(12)
	v_fma_f32 v50, v73, v114, -v50
	v_fmac_f32_e32 v136, v72, v113
	v_add_f32_e32 v85, v85, v135
	v_add_f32_e32 v49, v49, v50
	v_mul_f32_e32 v50, v76, v100
	v_fmac_f32_e32 v137, v74, v114
	v_add_f32_e32 v85, v85, v136
	s_waitcnt vmcnt(11)
	v_fma_f32 v50, v75, v115, -v50
	v_fmac_f32_e32 v138, v76, v115
	v_add_f32_e32 v85, v85, v137
	v_add_f32_e32 v49, v49, v50
	v_mul_f32_e32 v50, v78, v101
	s_waitcnt vmcnt(10)
	v_fmac_f32_e32 v139, v78, v116
	v_add_f32_e32 v85, v85, v138
	s_waitcnt vmcnt(9)
	v_mul_f32_e32 v86, v79, v117
	v_fma_f32 v50, v77, v116, -v50
	v_add_f32_e32 v85, v85, v139
	s_waitcnt vmcnt(8)
	v_fmac_f32_e32 v86, v80, v118
	v_add_f32_e32 v49, v49, v50
	v_mul_f32_e32 v50, v80, v117
	v_add_f32_e32 v127, v85, v86
	ds_read_b64 v[85:86], v48 offset:368
	v_fma_f32 v50, v79, v118, -v50
	v_add_f32_e32 v49, v49, v50
	s_waitcnt vmcnt(7) lgkmcnt(1)
	v_mul_f32_e32 v50, v82, v119
	v_mul_f32_e32 v128, v81, v119
	s_waitcnt vmcnt(6)
	v_fma_f32 v50, v81, v120, -v50
	v_fmac_f32_e32 v128, v82, v120
	v_add_f32_e32 v49, v49, v50
	s_waitcnt vmcnt(5)
	v_mul_f32_e32 v50, v84, v121
	v_add_f32_e32 v127, v127, v128
	v_mul_f32_e32 v128, v83, v121
	s_waitcnt vmcnt(4)
	v_fma_f32 v50, v83, v122, -v50
	v_fmac_f32_e32 v128, v84, v122
	v_add_f32_e32 v49, v49, v50
	s_waitcnt vmcnt(3) lgkmcnt(0)
	v_mul_f32_e32 v50, v86, v123
	v_add_f32_e32 v127, v127, v128
	v_mul_f32_e32 v128, v85, v123
	s_waitcnt vmcnt(2)
	v_fma_f32 v50, v85, v124, -v50
	v_fmac_f32_e32 v128, v86, v124
	v_add_f32_e32 v49, v49, v50
	v_add_f32_e32 v127, v127, v128
	s_waitcnt vmcnt(1)
	v_sub_f32_e32 v49, v125, v49
	s_waitcnt vmcnt(0)
	v_sub_f32_e32 v50, v126, v127
	buffer_store_dword v49, off, s[0:3], 0 offset:24
	buffer_store_dword v50, off, s[0:3], 0 offset:28
	s_and_saveexec_b64 s[4:5], vcc
	s_cbranch_execz .LBB22_147
; %bb.146:
	buffer_load_dword v49, off, s[0:3], 0 offset:16
	buffer_load_dword v50, off, s[0:3], 0 offset:20
	s_waitcnt vmcnt(0)
	ds_write_b64 v47, v[49:50]
	buffer_store_dword v48, off, s[0:3], 0 offset:16
	buffer_store_dword v48, off, s[0:3], 0 offset:20
.LBB22_147:
	s_or_b64 exec, exec, s[4:5]
	s_waitcnt lgkmcnt(0)
	; wave barrier
	buffer_load_dword v89, off, s[0:3], 0 offset:28
	buffer_load_dword v90, off, s[0:3], 0 offset:36
	;; [unrolled: 1-line block ×42, first 2 shown]
	ds_read2_b64 v[49:52], v48 offset0:27 offset1:28
	ds_read2_b64 v[53:56], v48 offset0:29 offset1:30
	;; [unrolled: 1-line block ×8, first 2 shown]
	v_cmp_lt_u32_e32 vcc, 1, v0
	s_waitcnt vmcnt(41) lgkmcnt(7)
	v_mul_f32_e32 v81, v49, v89
	s_waitcnt vmcnt(40)
	v_mul_f32_e32 v82, v51, v90
	s_waitcnt vmcnt(39) lgkmcnt(6)
	v_mul_f32_e32 v83, v53, v91
	s_waitcnt vmcnt(38)
	v_mul_f32_e32 v84, v55, v92
	;; [unrolled: 4-line block ×7, first 2 shown]
	s_waitcnt vmcnt(27) lgkmcnt(0)
	v_mul_f32_e32 v137, v77, v103
	s_waitcnt vmcnt(26)
	v_fmac_f32_e32 v81, v50, v104
	v_mul_f32_e32 v50, v50, v89
	v_fma_f32 v49, v49, v104, -v50
	v_mul_f32_e32 v50, v52, v90
	v_add_f32_e32 v49, 0, v49
	s_waitcnt vmcnt(25)
	v_fma_f32 v50, v51, v105, -v50
	v_add_f32_e32 v49, v49, v50
	v_mul_f32_e32 v50, v54, v91
	s_waitcnt vmcnt(24)
	v_fma_f32 v50, v53, v106, -v50
	v_add_f32_e32 v49, v49, v50
	v_mul_f32_e32 v50, v56, v92
	;; [unrolled: 4-line block ×5, first 2 shown]
	v_fmac_f32_e32 v82, v52, v105
	v_add_f32_e32 v81, 0, v81
	s_waitcnt vmcnt(20)
	v_fma_f32 v50, v61, v110, -v50
	v_fmac_f32_e32 v83, v54, v106
	v_add_f32_e32 v81, v81, v82
	v_add_f32_e32 v49, v49, v50
	v_mul_f32_e32 v50, v64, v96
	v_fmac_f32_e32 v84, v56, v107
	v_add_f32_e32 v81, v81, v83
	s_waitcnt vmcnt(19)
	v_fma_f32 v50, v63, v111, -v50
	v_fmac_f32_e32 v85, v58, v108
	v_add_f32_e32 v81, v81, v84
	v_add_f32_e32 v49, v49, v50
	v_mul_f32_e32 v50, v66, v97
	;; [unrolled: 8-line block ×5, first 2 shown]
	s_waitcnt vmcnt(15)
	v_fmac_f32_e32 v134, v72, v115
	v_add_f32_e32 v81, v81, v133
	v_fma_f32 v50, v71, v115, -v50
	s_waitcnt vmcnt(14)
	v_fmac_f32_e32 v135, v74, v116
	v_add_f32_e32 v81, v81, v134
	v_add_f32_e32 v49, v49, v50
	v_mul_f32_e32 v50, v74, v101
	s_waitcnt vmcnt(13)
	v_fmac_f32_e32 v136, v76, v117
	v_add_f32_e32 v81, v81, v135
	v_fma_f32 v50, v73, v116, -v50
	s_waitcnt vmcnt(12)
	v_fmac_f32_e32 v137, v78, v118
	v_add_f32_e32 v81, v81, v136
	v_add_f32_e32 v49, v49, v50
	v_mul_f32_e32 v50, v76, v102
	v_add_f32_e32 v85, v81, v137
	ds_read2_b64 v[81:84], v48 offset0:43 offset1:44
	v_fma_f32 v50, v75, v117, -v50
	v_add_f32_e32 v49, v49, v50
	v_mul_f32_e32 v50, v78, v103
	s_waitcnt vmcnt(11)
	v_mul_f32_e32 v86, v79, v119
	v_fma_f32 v50, v77, v118, -v50
	s_waitcnt vmcnt(10)
	v_fmac_f32_e32 v86, v80, v120
	v_add_f32_e32 v49, v49, v50
	v_mul_f32_e32 v50, v80, v119
	v_add_f32_e32 v131, v85, v86
	ds_read2_b64 v[85:88], v48 offset0:45 offset1:46
	v_fma_f32 v50, v79, v120, -v50
	v_add_f32_e32 v49, v49, v50
	s_waitcnt vmcnt(9) lgkmcnt(1)
	v_mul_f32_e32 v50, v82, v121
	v_mul_f32_e32 v48, v81, v121
	s_waitcnt vmcnt(8)
	v_fma_f32 v50, v81, v122, -v50
	v_fmac_f32_e32 v48, v82, v122
	v_add_f32_e32 v49, v49, v50
	s_waitcnt vmcnt(7)
	v_mul_f32_e32 v50, v84, v123
	v_add_f32_e32 v48, v131, v48
	v_mul_f32_e32 v131, v83, v123
	s_waitcnt vmcnt(6)
	v_fma_f32 v50, v83, v124, -v50
	v_fmac_f32_e32 v131, v84, v124
	v_add_f32_e32 v49, v49, v50
	s_waitcnt vmcnt(5) lgkmcnt(0)
	v_mul_f32_e32 v50, v86, v125
	v_add_f32_e32 v48, v48, v131
	v_mul_f32_e32 v131, v85, v125
	s_waitcnt vmcnt(4)
	v_fma_f32 v50, v85, v126, -v50
	v_fmac_f32_e32 v131, v86, v126
	v_add_f32_e32 v49, v49, v50
	s_waitcnt vmcnt(3)
	v_mul_f32_e32 v50, v88, v127
	v_add_f32_e32 v48, v48, v131
	v_mul_f32_e32 v131, v87, v127
	s_waitcnt vmcnt(2)
	v_fma_f32 v50, v87, v128, -v50
	v_fmac_f32_e32 v131, v88, v128
	v_add_f32_e32 v49, v49, v50
	v_add_f32_e32 v48, v48, v131
	s_waitcnt vmcnt(1)
	v_sub_f32_e32 v49, v129, v49
	s_waitcnt vmcnt(0)
	v_sub_f32_e32 v48, v130, v48
	buffer_store_dword v49, off, s[0:3], 0 offset:16
	buffer_store_dword v48, off, s[0:3], 0 offset:20
	s_and_saveexec_b64 s[4:5], vcc
	s_cbranch_execz .LBB22_149
; %bb.148:
	buffer_load_dword v48, off, s[0:3], 0 offset:8
	buffer_load_dword v49, off, s[0:3], 0 offset:12
	v_mov_b32_e32 v50, 0
	buffer_store_dword v50, off, s[0:3], 0 offset:8
	buffer_store_dword v50, off, s[0:3], 0 offset:12
	s_waitcnt vmcnt(2)
	ds_write_b64 v47, v[48:49]
.LBB22_149:
	s_or_b64 exec, exec, s[4:5]
	s_waitcnt lgkmcnt(0)
	; wave barrier
	buffer_load_dword v91, off, s[0:3], 0 offset:20
	buffer_load_dword v92, off, s[0:3], 0 offset:28
	;; [unrolled: 1-line block ×44, first 2 shown]
	v_mov_b32_e32 v48, 0
	ds_read_b128 v[49:52], v48 offset:208
	ds_read_b128 v[53:56], v48 offset:224
	;; [unrolled: 1-line block ×8, first 2 shown]
	v_cmp_ne_u32_e32 vcc, 0, v0
	s_waitcnt vmcnt(43) lgkmcnt(7)
	v_mul_f32_e32 v81, v49, v91
	s_waitcnt vmcnt(42)
	v_mul_f32_e32 v82, v51, v92
	s_waitcnt vmcnt(41) lgkmcnt(6)
	v_mul_f32_e32 v83, v53, v93
	s_waitcnt vmcnt(40)
	v_mul_f32_e32 v84, v55, v94
	;; [unrolled: 4-line block ×7, first 2 shown]
	s_waitcnt vmcnt(29)
	v_fmac_f32_e32 v81, v50, v105
	v_mul_f32_e32 v50, v50, v91
	v_fma_f32 v49, v49, v105, -v50
	v_mul_f32_e32 v50, v52, v92
	v_add_f32_e32 v49, 0, v49
	s_waitcnt vmcnt(28)
	v_fma_f32 v50, v51, v106, -v50
	v_add_f32_e32 v49, v49, v50
	v_mul_f32_e32 v50, v54, v93
	s_waitcnt vmcnt(27)
	v_fma_f32 v50, v53, v107, -v50
	v_add_f32_e32 v49, v49, v50
	v_mul_f32_e32 v50, v56, v94
	;; [unrolled: 4-line block ×4, first 2 shown]
	s_waitcnt vmcnt(24)
	v_fma_f32 v50, v59, v110, -v50
	v_fmac_f32_e32 v82, v52, v106
	v_add_f32_e32 v81, 0, v81
	v_add_f32_e32 v49, v49, v50
	v_mul_f32_e32 v50, v62, v97
	v_fmac_f32_e32 v83, v54, v107
	v_add_f32_e32 v81, v81, v82
	s_waitcnt vmcnt(23)
	v_fma_f32 v50, v61, v111, -v50
	v_fmac_f32_e32 v84, v56, v108
	v_add_f32_e32 v81, v81, v83
	v_add_f32_e32 v49, v49, v50
	v_mul_f32_e32 v50, v64, v98
	v_fmac_f32_e32 v85, v58, v109
	v_add_f32_e32 v81, v81, v84
	;; [unrolled: 8-line block ×4, first 2 shown]
	s_waitcnt vmcnt(20)
	v_fma_f32 v50, v67, v114, -v50
	v_fmac_f32_e32 v90, v68, v114
	v_add_f32_e32 v81, v81, v89
	v_add_f32_e32 v49, v49, v50
	v_mul_f32_e32 v50, v70, v101
	s_waitcnt vmcnt(19)
	v_fmac_f32_e32 v135, v70, v115
	v_add_f32_e32 v81, v81, v90
	v_fma_f32 v50, v69, v115, -v50
	s_waitcnt vmcnt(18)
	v_fmac_f32_e32 v136, v72, v116
	v_add_f32_e32 v81, v81, v135
	v_add_f32_e32 v49, v49, v50
	v_mul_f32_e32 v50, v72, v102
	s_waitcnt vmcnt(17)
	v_fmac_f32_e32 v137, v74, v117
	v_add_f32_e32 v81, v81, v136
	v_fma_f32 v50, v71, v116, -v50
	v_add_f32_e32 v81, v81, v137
	s_waitcnt vmcnt(16)
	v_fmac_f32_e32 v138, v76, v118
	s_waitcnt vmcnt(15) lgkmcnt(0)
	v_mul_f32_e32 v82, v77, v119
	v_add_f32_e32 v49, v49, v50
	v_mul_f32_e32 v50, v74, v103
	v_add_f32_e32 v81, v81, v138
	s_waitcnt vmcnt(14)
	v_fmac_f32_e32 v82, v78, v120
	v_fma_f32 v50, v73, v117, -v50
	v_add_f32_e32 v85, v81, v82
	ds_read_b128 v[81:84], v48 offset:336
	v_add_f32_e32 v49, v49, v50
	v_mul_f32_e32 v50, v76, v104
	v_fma_f32 v50, v75, v118, -v50
	v_add_f32_e32 v49, v49, v50
	v_mul_f32_e32 v50, v78, v119
	s_waitcnt vmcnt(13)
	v_mul_f32_e32 v86, v79, v121
	v_fma_f32 v50, v77, v120, -v50
	s_waitcnt vmcnt(12)
	v_fmac_f32_e32 v86, v80, v122
	v_add_f32_e32 v49, v49, v50
	v_mul_f32_e32 v50, v80, v121
	v_add_f32_e32 v89, v85, v86
	ds_read_b128 v[85:88], v48 offset:352
	s_waitcnt vmcnt(11) lgkmcnt(1)
	v_mul_f32_e32 v90, v81, v123
	v_fma_f32 v50, v79, v122, -v50
	s_waitcnt vmcnt(10)
	v_fmac_f32_e32 v90, v82, v124
	v_add_f32_e32 v49, v49, v50
	v_mul_f32_e32 v50, v82, v123
	v_add_f32_e32 v89, v89, v90
	s_waitcnt vmcnt(9)
	v_mul_f32_e32 v90, v83, v125
	v_fma_f32 v50, v81, v124, -v50
	s_waitcnt vmcnt(8)
	v_fmac_f32_e32 v90, v84, v126
	v_add_f32_e32 v49, v49, v50
	v_mul_f32_e32 v50, v84, v125
	v_add_f32_e32 v135, v89, v90
	ds_read_b64 v[89:90], v48 offset:368
	v_fma_f32 v50, v83, v126, -v50
	v_add_f32_e32 v49, v49, v50
	s_waitcnt vmcnt(7) lgkmcnt(1)
	v_mul_f32_e32 v50, v86, v127
	v_mul_f32_e32 v136, v85, v127
	s_waitcnt vmcnt(6)
	v_fma_f32 v50, v85, v128, -v50
	v_fmac_f32_e32 v136, v86, v128
	v_add_f32_e32 v49, v49, v50
	s_waitcnt vmcnt(5)
	v_mul_f32_e32 v50, v88, v129
	v_add_f32_e32 v135, v135, v136
	v_mul_f32_e32 v136, v87, v129
	s_waitcnt vmcnt(4)
	v_fma_f32 v50, v87, v130, -v50
	v_fmac_f32_e32 v136, v88, v130
	v_add_f32_e32 v49, v49, v50
	s_waitcnt vmcnt(3) lgkmcnt(0)
	v_mul_f32_e32 v50, v90, v131
	v_add_f32_e32 v135, v135, v136
	v_mul_f32_e32 v136, v89, v131
	s_waitcnt vmcnt(2)
	v_fma_f32 v50, v89, v132, -v50
	v_fmac_f32_e32 v136, v90, v132
	v_add_f32_e32 v49, v49, v50
	v_add_f32_e32 v135, v135, v136
	s_waitcnt vmcnt(1)
	v_sub_f32_e32 v49, v133, v49
	s_waitcnt vmcnt(0)
	v_sub_f32_e32 v50, v134, v135
	buffer_store_dword v49, off, s[0:3], 0 offset:8
	buffer_store_dword v50, off, s[0:3], 0 offset:12
	s_and_saveexec_b64 s[4:5], vcc
	s_cbranch_execz .LBB22_151
; %bb.150:
	buffer_load_dword v49, off, s[0:3], 0
	buffer_load_dword v50, off, s[0:3], 0 offset:4
	s_waitcnt vmcnt(0)
	ds_write_b64 v47, v[49:50]
	buffer_store_dword v48, off, s[0:3], 0
	buffer_store_dword v48, off, s[0:3], 0 offset:4
.LBB22_151:
	s_or_b64 exec, exec, s[4:5]
	s_waitcnt lgkmcnt(0)
	; wave barrier
	buffer_load_dword v0, off, s[0:3], 0 offset:12
	buffer_load_dword v47, off, s[0:3], 0 offset:20
	;; [unrolled: 1-line block ×44, first 2 shown]
	buffer_load_dword v135, off, s[0:3], 0
	buffer_load_dword v136, off, s[0:3], 0 offset:4
	ds_read2_b64 v[49:52], v48 offset0:25 offset1:26
	ds_read2_b64 v[53:56], v48 offset0:27 offset1:28
	;; [unrolled: 1-line block ×8, first 2 shown]
	s_and_b64 vcc, exec, s[22:23]
	s_waitcnt vmcnt(45) lgkmcnt(7)
	v_mul_f32_e32 v81, v49, v0
	v_mul_f32_e32 v0, v50, v0
	s_waitcnt vmcnt(44)
	v_mul_f32_e32 v82, v51, v47
	v_mul_f32_e32 v47, v52, v47
	s_waitcnt vmcnt(43) lgkmcnt(6)
	v_mul_f32_e32 v83, v53, v93
	s_waitcnt vmcnt(42)
	v_mul_f32_e32 v84, v55, v94
	s_waitcnt vmcnt(41) lgkmcnt(5)
	v_mul_f32_e32 v85, v57, v95
	s_waitcnt vmcnt(40)
	v_mul_f32_e32 v86, v59, v96
	s_waitcnt vmcnt(39) lgkmcnt(4)
	v_mul_f32_e32 v87, v61, v97
	s_waitcnt vmcnt(38)
	v_mul_f32_e32 v88, v63, v98
	s_waitcnt vmcnt(37) lgkmcnt(3)
	v_mul_f32_e32 v89, v65, v99
	s_waitcnt vmcnt(36)
	v_mul_f32_e32 v90, v67, v100
	s_waitcnt vmcnt(35) lgkmcnt(2)
	v_mul_f32_e32 v91, v69, v101
	s_waitcnt vmcnt(32)
	v_fma_f32 v0, v49, v104, -v0
	v_add_f32_e32 v0, 0, v0
	s_waitcnt vmcnt(31)
	v_fma_f32 v47, v51, v105, -v47
	v_add_f32_e32 v0, v0, v47
	v_mul_f32_e32 v47, v54, v93
	s_waitcnt vmcnt(30)
	v_fma_f32 v47, v53, v106, -v47
	v_add_f32_e32 v0, v0, v47
	v_mul_f32_e32 v47, v56, v94
	;; [unrolled: 4-line block ×3, first 2 shown]
	s_waitcnt vmcnt(28)
	v_fma_f32 v47, v57, v108, -v47
	v_fmac_f32_e32 v81, v50, v104
	v_add_f32_e32 v0, v0, v47
	v_mul_f32_e32 v47, v60, v96
	v_fmac_f32_e32 v82, v52, v105
	v_add_f32_e32 v81, 0, v81
	s_waitcnt vmcnt(27)
	v_fma_f32 v47, v59, v109, -v47
	v_fmac_f32_e32 v83, v54, v106
	v_add_f32_e32 v81, v81, v82
	v_add_f32_e32 v0, v0, v47
	v_mul_f32_e32 v47, v62, v97
	v_fmac_f32_e32 v84, v56, v107
	v_add_f32_e32 v81, v81, v83
	s_waitcnt vmcnt(26)
	v_fma_f32 v47, v61, v110, -v47
	v_fmac_f32_e32 v85, v58, v108
	v_add_f32_e32 v81, v81, v84
	;; [unrolled: 8-line block ×4, first 2 shown]
	v_add_f32_e32 v0, v0, v47
	v_mul_f32_e32 v47, v68, v100
	s_waitcnt vmcnt(23)
	v_fmac_f32_e32 v90, v68, v113
	v_add_f32_e32 v81, v81, v89
	v_fma_f32 v47, v67, v113, -v47
	v_mul_f32_e32 v92, v71, v102
	s_waitcnt vmcnt(22)
	v_fmac_f32_e32 v91, v70, v114
	v_add_f32_e32 v81, v81, v90
	v_add_f32_e32 v0, v0, v47
	v_mul_f32_e32 v47, v70, v101
	s_waitcnt lgkmcnt(1)
	v_mul_f32_e32 v137, v73, v103
	s_waitcnt vmcnt(21)
	v_fmac_f32_e32 v92, v72, v115
	v_add_f32_e32 v81, v81, v91
	v_fma_f32 v47, v69, v114, -v47
	s_waitcnt vmcnt(20)
	v_fmac_f32_e32 v137, v74, v116
	v_add_f32_e32 v81, v81, v92
	s_waitcnt vmcnt(19)
	v_mul_f32_e32 v82, v75, v117
	v_add_f32_e32 v0, v0, v47
	v_mul_f32_e32 v47, v72, v102
	v_add_f32_e32 v81, v81, v137
	s_waitcnt vmcnt(18)
	v_fmac_f32_e32 v82, v76, v118
	v_fma_f32 v47, v71, v115, -v47
	v_add_f32_e32 v81, v81, v82
	s_waitcnt vmcnt(17) lgkmcnt(0)
	v_mul_f32_e32 v82, v77, v119
	v_add_f32_e32 v0, v0, v47
	v_mul_f32_e32 v47, v74, v103
	s_waitcnt vmcnt(16)
	v_fmac_f32_e32 v82, v78, v120
	v_fma_f32 v47, v73, v116, -v47
	v_add_f32_e32 v85, v81, v82
	ds_read2_b64 v[81:84], v48 offset0:41 offset1:42
	v_add_f32_e32 v0, v0, v47
	v_mul_f32_e32 v47, v76, v117
	v_fma_f32 v47, v75, v118, -v47
	v_add_f32_e32 v0, v0, v47
	v_mul_f32_e32 v47, v78, v119
	s_waitcnt vmcnt(15)
	v_mul_f32_e32 v86, v79, v121
	v_fma_f32 v47, v77, v120, -v47
	s_waitcnt vmcnt(14)
	v_fmac_f32_e32 v86, v80, v122
	v_add_f32_e32 v0, v0, v47
	v_mul_f32_e32 v47, v80, v121
	v_add_f32_e32 v89, v85, v86
	ds_read2_b64 v[85:88], v48 offset0:43 offset1:44
	s_waitcnt vmcnt(13) lgkmcnt(1)
	v_mul_f32_e32 v90, v81, v123
	v_fma_f32 v47, v79, v122, -v47
	s_waitcnt vmcnt(12)
	v_fmac_f32_e32 v90, v82, v124
	v_add_f32_e32 v0, v0, v47
	v_mul_f32_e32 v47, v82, v123
	v_add_f32_e32 v89, v89, v90
	s_waitcnt vmcnt(11)
	v_mul_f32_e32 v90, v83, v125
	v_fma_f32 v47, v81, v124, -v47
	s_waitcnt vmcnt(10)
	v_fmac_f32_e32 v90, v84, v126
	v_add_f32_e32 v0, v0, v47
	v_mul_f32_e32 v47, v84, v125
	v_add_f32_e32 v137, v89, v90
	ds_read2_b64 v[89:92], v48 offset0:45 offset1:46
	v_fma_f32 v47, v83, v126, -v47
	v_add_f32_e32 v0, v0, v47
	s_waitcnt vmcnt(9) lgkmcnt(1)
	v_mul_f32_e32 v47, v86, v127
	v_mul_f32_e32 v138, v85, v127
	s_waitcnt vmcnt(8)
	v_fma_f32 v47, v85, v128, -v47
	v_fmac_f32_e32 v138, v86, v128
	v_add_f32_e32 v0, v0, v47
	s_waitcnt vmcnt(7)
	v_mul_f32_e32 v47, v88, v129
	v_add_f32_e32 v48, v137, v138
	v_mul_f32_e32 v137, v87, v129
	s_waitcnt vmcnt(6)
	v_fma_f32 v47, v87, v130, -v47
	v_fmac_f32_e32 v137, v88, v130
	v_add_f32_e32 v0, v0, v47
	s_waitcnt vmcnt(5) lgkmcnt(0)
	v_mul_f32_e32 v47, v90, v131
	v_add_f32_e32 v48, v48, v137
	v_mul_f32_e32 v137, v89, v131
	s_waitcnt vmcnt(4)
	v_fma_f32 v47, v89, v132, -v47
	v_fmac_f32_e32 v137, v90, v132
	v_add_f32_e32 v0, v0, v47
	s_waitcnt vmcnt(3)
	v_mul_f32_e32 v47, v92, v133
	v_add_f32_e32 v48, v48, v137
	v_mul_f32_e32 v137, v91, v133
	s_waitcnt vmcnt(2)
	v_fma_f32 v47, v91, v134, -v47
	v_fmac_f32_e32 v137, v92, v134
	v_add_f32_e32 v0, v0, v47
	v_add_f32_e32 v48, v48, v137
	s_waitcnt vmcnt(1)
	v_sub_f32_e32 v0, v135, v0
	s_waitcnt vmcnt(0)
	v_sub_f32_e32 v47, v136, v48
	buffer_store_dword v0, off, s[0:3], 0
	buffer_store_dword v47, off, s[0:3], 0 offset:4
	s_cbranch_vccz .LBB22_196
; %bb.152:
	v_mov_b32_e32 v0, 0
	global_load_dword v47, v0, s[20:21] offset:84
	s_waitcnt vmcnt(0)
	v_add_u32_e32 v47, -1, v47
	v_cmp_ne_u32_e32 vcc, 21, v47
	s_cbranch_vccz .LBB22_154
; %bb.153:
	v_lshlrev_b32_e32 v47, 3, v47
	buffer_load_dword v48, v47, s[0:3], 0 offen
	buffer_load_dword v49, v47, s[0:3], 0 offen offset:4
	buffer_load_dword v50, off, s[0:3], 0 offset:168
	buffer_load_dword v51, off, s[0:3], 0 offset:172
	s_waitcnt vmcnt(3)
	buffer_store_dword v48, off, s[0:3], 0 offset:168
	s_waitcnt vmcnt(3)
	buffer_store_dword v49, off, s[0:3], 0 offset:172
	s_waitcnt vmcnt(3)
	buffer_store_dword v50, v47, s[0:3], 0 offen
	s_waitcnt vmcnt(3)
	buffer_store_dword v51, v47, s[0:3], 0 offen offset:4
.LBB22_154:
	global_load_dword v0, v0, s[20:21] offset:80
	s_waitcnt vmcnt(0)
	v_add_u32_e32 v0, -1, v0
	v_cmp_eq_u32_e32 vcc, 20, v0
	s_cbranch_vccnz .LBB22_156
; %bb.155:
	v_lshlrev_b32_e32 v0, 3, v0
	buffer_load_dword v47, v0, s[0:3], 0 offen
	buffer_load_dword v48, v0, s[0:3], 0 offen offset:4
	buffer_load_dword v49, off, s[0:3], 0 offset:164
	buffer_load_dword v50, off, s[0:3], 0 offset:160
	s_waitcnt vmcnt(3)
	buffer_store_dword v47, off, s[0:3], 0 offset:160
	s_waitcnt vmcnt(3)
	buffer_store_dword v48, off, s[0:3], 0 offset:164
	s_waitcnt vmcnt(3)
	buffer_store_dword v49, v0, s[0:3], 0 offen offset:4
	s_waitcnt vmcnt(3)
	buffer_store_dword v50, v0, s[0:3], 0 offen
.LBB22_156:
	v_mov_b32_e32 v0, 0
	global_load_dword v47, v0, s[20:21] offset:76
	s_waitcnt vmcnt(0)
	v_add_u32_e32 v47, -1, v47
	v_cmp_eq_u32_e32 vcc, 19, v47
	s_cbranch_vccnz .LBB22_158
; %bb.157:
	v_lshlrev_b32_e32 v47, 3, v47
	buffer_load_dword v48, v47, s[0:3], 0 offen
	buffer_load_dword v49, v47, s[0:3], 0 offen offset:4
	buffer_load_dword v50, off, s[0:3], 0 offset:152
	buffer_load_dword v51, off, s[0:3], 0 offset:156
	s_waitcnt vmcnt(3)
	buffer_store_dword v48, off, s[0:3], 0 offset:152
	s_waitcnt vmcnt(3)
	buffer_store_dword v49, off, s[0:3], 0 offset:156
	s_waitcnt vmcnt(3)
	buffer_store_dword v50, v47, s[0:3], 0 offen
	s_waitcnt vmcnt(3)
	buffer_store_dword v51, v47, s[0:3], 0 offen offset:4
.LBB22_158:
	global_load_dword v0, v0, s[20:21] offset:72
	s_waitcnt vmcnt(0)
	v_add_u32_e32 v0, -1, v0
	v_cmp_eq_u32_e32 vcc, 18, v0
	s_cbranch_vccnz .LBB22_160
; %bb.159:
	v_lshlrev_b32_e32 v0, 3, v0
	buffer_load_dword v47, v0, s[0:3], 0 offen
	buffer_load_dword v48, v0, s[0:3], 0 offen offset:4
	buffer_load_dword v49, off, s[0:3], 0 offset:148
	buffer_load_dword v50, off, s[0:3], 0 offset:144
	s_waitcnt vmcnt(3)
	buffer_store_dword v47, off, s[0:3], 0 offset:144
	s_waitcnt vmcnt(3)
	buffer_store_dword v48, off, s[0:3], 0 offset:148
	s_waitcnt vmcnt(3)
	buffer_store_dword v49, v0, s[0:3], 0 offen offset:4
	s_waitcnt vmcnt(3)
	buffer_store_dword v50, v0, s[0:3], 0 offen
.LBB22_160:
	v_mov_b32_e32 v0, 0
	global_load_dword v47, v0, s[20:21] offset:68
	s_waitcnt vmcnt(0)
	v_add_u32_e32 v47, -1, v47
	v_cmp_eq_u32_e32 vcc, 17, v47
	s_cbranch_vccnz .LBB22_162
; %bb.161:
	v_lshlrev_b32_e32 v47, 3, v47
	buffer_load_dword v48, v47, s[0:3], 0 offen
	buffer_load_dword v49, v47, s[0:3], 0 offen offset:4
	buffer_load_dword v50, off, s[0:3], 0 offset:136
	buffer_load_dword v51, off, s[0:3], 0 offset:140
	s_waitcnt vmcnt(3)
	buffer_store_dword v48, off, s[0:3], 0 offset:136
	s_waitcnt vmcnt(3)
	buffer_store_dword v49, off, s[0:3], 0 offset:140
	s_waitcnt vmcnt(3)
	buffer_store_dword v50, v47, s[0:3], 0 offen
	s_waitcnt vmcnt(3)
	buffer_store_dword v51, v47, s[0:3], 0 offen offset:4
.LBB22_162:
	;; [unrolled: 41-line block ×10, first 2 shown]
	global_load_dword v0, v0, s[20:21]
	s_waitcnt vmcnt(0)
	v_add_u32_e32 v0, -1, v0
	v_cmp_eq_u32_e32 vcc, 0, v0
	s_cbranch_vccnz .LBB22_196
; %bb.195:
	v_lshlrev_b32_e32 v0, 3, v0
	buffer_load_dword v47, v0, s[0:3], 0 offen
	buffer_load_dword v48, v0, s[0:3], 0 offen offset:4
	buffer_load_dword v49, off, s[0:3], 0 offset:4
	buffer_load_dword v50, off, s[0:3], 0
	s_waitcnt vmcnt(3)
	buffer_store_dword v47, off, s[0:3], 0
	s_waitcnt vmcnt(3)
	buffer_store_dword v48, off, s[0:3], 0 offset:4
	s_waitcnt vmcnt(3)
	buffer_store_dword v49, v0, s[0:3], 0 offen offset:4
	s_waitcnt vmcnt(3)
	buffer_store_dword v50, v0, s[0:3], 0 offen
.LBB22_196:
	buffer_load_dword v47, off, s[0:3], 0
	buffer_load_dword v48, off, s[0:3], 0 offset:4
	buffer_load_dword v49, off, s[0:3], 0 offset:8
	s_nop 0
	buffer_load_dword v50, off, s[0:3], 0 offset:12
	buffer_load_dword v51, off, s[0:3], 0 offset:16
	buffer_load_dword v52, off, s[0:3], 0 offset:20
	buffer_load_dword v53, off, s[0:3], 0 offset:24
	buffer_load_dword v54, off, s[0:3], 0 offset:28
	buffer_load_dword v55, off, s[0:3], 0 offset:32
	buffer_load_dword v56, off, s[0:3], 0 offset:36
	buffer_load_dword v57, off, s[0:3], 0 offset:40
	buffer_load_dword v58, off, s[0:3], 0 offset:44
	buffer_load_dword v59, off, s[0:3], 0 offset:48
	buffer_load_dword v60, off, s[0:3], 0 offset:52
	buffer_load_dword v61, off, s[0:3], 0 offset:56
	buffer_load_dword v62, off, s[0:3], 0 offset:60
	buffer_load_dword v64, off, s[0:3], 0 offset:68
	buffer_load_dword v65, off, s[0:3], 0 offset:72
	buffer_load_dword v66, off, s[0:3], 0 offset:76
	buffer_load_dword v67, off, s[0:3], 0 offset:80
	buffer_load_dword v68, off, s[0:3], 0 offset:84
	buffer_load_dword v69, off, s[0:3], 0 offset:88
	buffer_load_dword v70, off, s[0:3], 0 offset:92
	buffer_load_dword v63, off, s[0:3], 0 offset:64
	buffer_load_dword v71, off, s[0:3], 0 offset:96
	buffer_load_dword v72, off, s[0:3], 0 offset:100
	buffer_load_dword v73, off, s[0:3], 0 offset:104
	buffer_load_dword v74, off, s[0:3], 0 offset:108
	buffer_load_dword v75, off, s[0:3], 0 offset:112
	buffer_load_dword v76, off, s[0:3], 0 offset:116
	buffer_load_dword v77, off, s[0:3], 0 offset:120
	buffer_load_dword v78, off, s[0:3], 0 offset:124
	buffer_load_dword v79, off, s[0:3], 0 offset:128
	buffer_load_dword v80, off, s[0:3], 0 offset:132
	buffer_load_dword v81, off, s[0:3], 0 offset:136
	buffer_load_dword v82, off, s[0:3], 0 offset:140
	buffer_load_dword v83, off, s[0:3], 0 offset:144
	buffer_load_dword v84, off, s[0:3], 0 offset:148
	buffer_load_dword v85, off, s[0:3], 0 offset:152
	buffer_load_dword v86, off, s[0:3], 0 offset:156
	buffer_load_dword v87, off, s[0:3], 0 offset:160
	buffer_load_dword v88, off, s[0:3], 0 offset:164
	buffer_load_dword v89, off, s[0:3], 0 offset:168
	buffer_load_dword v90, off, s[0:3], 0 offset:172
	buffer_load_dword v91, off, s[0:3], 0 offset:176
	buffer_load_dword v92, off, s[0:3], 0 offset:180
	s_waitcnt vmcnt(44)
	global_store_dwordx2 v[37:38], v[47:48], off
	s_waitcnt vmcnt(43)
	global_store_dwordx2 v[41:42], v[49:50], off
	;; [unrolled: 2-line block ×9, first 2 shown]
	global_store_dwordx2 v[15:16], v[65:66], off
	global_store_dwordx2 v[17:18], v[67:68], off
	;; [unrolled: 1-line block ×3, first 2 shown]
	s_waitcnt vmcnt(32)
	global_store_dwordx2 v[21:22], v[71:72], off
	s_waitcnt vmcnt(31)
	global_store_dwordx2 v[23:24], v[73:74], off
	;; [unrolled: 2-line block ×11, first 2 shown]
	s_endpgm
	.section	.rodata,"a",@progbits
	.p2align	6, 0x0
	.amdhsa_kernel _ZN9rocsolver6v33100L18getri_kernel_smallILi23E19rocblas_complex_numIfEPS3_EEvT1_iilPiilS6_bb
		.amdhsa_group_segment_fixed_size 376
		.amdhsa_private_segment_fixed_size 192
		.amdhsa_kernarg_size 60
		.amdhsa_user_sgpr_count 6
		.amdhsa_user_sgpr_private_segment_buffer 1
		.amdhsa_user_sgpr_dispatch_ptr 0
		.amdhsa_user_sgpr_queue_ptr 0
		.amdhsa_user_sgpr_kernarg_segment_ptr 1
		.amdhsa_user_sgpr_dispatch_id 0
		.amdhsa_user_sgpr_flat_scratch_init 0
		.amdhsa_user_sgpr_private_segment_size 0
		.amdhsa_uses_dynamic_stack 0
		.amdhsa_system_sgpr_private_segment_wavefront_offset 1
		.amdhsa_system_sgpr_workgroup_id_x 1
		.amdhsa_system_sgpr_workgroup_id_y 0
		.amdhsa_system_sgpr_workgroup_id_z 0
		.amdhsa_system_sgpr_workgroup_info 0
		.amdhsa_system_vgpr_workitem_id 0
		.amdhsa_next_free_vgpr 140
		.amdhsa_next_free_sgpr 24
		.amdhsa_reserve_vcc 1
		.amdhsa_reserve_flat_scratch 0
		.amdhsa_float_round_mode_32 0
		.amdhsa_float_round_mode_16_64 0
		.amdhsa_float_denorm_mode_32 3
		.amdhsa_float_denorm_mode_16_64 3
		.amdhsa_dx10_clamp 1
		.amdhsa_ieee_mode 1
		.amdhsa_fp16_overflow 0
		.amdhsa_exception_fp_ieee_invalid_op 0
		.amdhsa_exception_fp_denorm_src 0
		.amdhsa_exception_fp_ieee_div_zero 0
		.amdhsa_exception_fp_ieee_overflow 0
		.amdhsa_exception_fp_ieee_underflow 0
		.amdhsa_exception_fp_ieee_inexact 0
		.amdhsa_exception_int_div_zero 0
	.end_amdhsa_kernel
	.section	.text._ZN9rocsolver6v33100L18getri_kernel_smallILi23E19rocblas_complex_numIfEPS3_EEvT1_iilPiilS6_bb,"axG",@progbits,_ZN9rocsolver6v33100L18getri_kernel_smallILi23E19rocblas_complex_numIfEPS3_EEvT1_iilPiilS6_bb,comdat
.Lfunc_end22:
	.size	_ZN9rocsolver6v33100L18getri_kernel_smallILi23E19rocblas_complex_numIfEPS3_EEvT1_iilPiilS6_bb, .Lfunc_end22-_ZN9rocsolver6v33100L18getri_kernel_smallILi23E19rocblas_complex_numIfEPS3_EEvT1_iilPiilS6_bb
                                        ; -- End function
	.set _ZN9rocsolver6v33100L18getri_kernel_smallILi23E19rocblas_complex_numIfEPS3_EEvT1_iilPiilS6_bb.num_vgpr, 140
	.set _ZN9rocsolver6v33100L18getri_kernel_smallILi23E19rocblas_complex_numIfEPS3_EEvT1_iilPiilS6_bb.num_agpr, 0
	.set _ZN9rocsolver6v33100L18getri_kernel_smallILi23E19rocblas_complex_numIfEPS3_EEvT1_iilPiilS6_bb.numbered_sgpr, 24
	.set _ZN9rocsolver6v33100L18getri_kernel_smallILi23E19rocblas_complex_numIfEPS3_EEvT1_iilPiilS6_bb.num_named_barrier, 0
	.set _ZN9rocsolver6v33100L18getri_kernel_smallILi23E19rocblas_complex_numIfEPS3_EEvT1_iilPiilS6_bb.private_seg_size, 192
	.set _ZN9rocsolver6v33100L18getri_kernel_smallILi23E19rocblas_complex_numIfEPS3_EEvT1_iilPiilS6_bb.uses_vcc, 1
	.set _ZN9rocsolver6v33100L18getri_kernel_smallILi23E19rocblas_complex_numIfEPS3_EEvT1_iilPiilS6_bb.uses_flat_scratch, 0
	.set _ZN9rocsolver6v33100L18getri_kernel_smallILi23E19rocblas_complex_numIfEPS3_EEvT1_iilPiilS6_bb.has_dyn_sized_stack, 0
	.set _ZN9rocsolver6v33100L18getri_kernel_smallILi23E19rocblas_complex_numIfEPS3_EEvT1_iilPiilS6_bb.has_recursion, 0
	.set _ZN9rocsolver6v33100L18getri_kernel_smallILi23E19rocblas_complex_numIfEPS3_EEvT1_iilPiilS6_bb.has_indirect_call, 0
	.section	.AMDGPU.csdata,"",@progbits
; Kernel info:
; codeLenInByte = 26496
; TotalNumSgprs: 28
; NumVgprs: 140
; ScratchSize: 192
; MemoryBound: 0
; FloatMode: 240
; IeeeMode: 1
; LDSByteSize: 376 bytes/workgroup (compile time only)
; SGPRBlocks: 3
; VGPRBlocks: 34
; NumSGPRsForWavesPerEU: 28
; NumVGPRsForWavesPerEU: 140
; Occupancy: 1
; WaveLimiterHint : 1
; COMPUTE_PGM_RSRC2:SCRATCH_EN: 1
; COMPUTE_PGM_RSRC2:USER_SGPR: 6
; COMPUTE_PGM_RSRC2:TRAP_HANDLER: 0
; COMPUTE_PGM_RSRC2:TGID_X_EN: 1
; COMPUTE_PGM_RSRC2:TGID_Y_EN: 0
; COMPUTE_PGM_RSRC2:TGID_Z_EN: 0
; COMPUTE_PGM_RSRC2:TIDIG_COMP_CNT: 0
	.section	.text._ZN9rocsolver6v33100L18getri_kernel_smallILi24E19rocblas_complex_numIfEPS3_EEvT1_iilPiilS6_bb,"axG",@progbits,_ZN9rocsolver6v33100L18getri_kernel_smallILi24E19rocblas_complex_numIfEPS3_EEvT1_iilPiilS6_bb,comdat
	.globl	_ZN9rocsolver6v33100L18getri_kernel_smallILi24E19rocblas_complex_numIfEPS3_EEvT1_iilPiilS6_bb ; -- Begin function _ZN9rocsolver6v33100L18getri_kernel_smallILi24E19rocblas_complex_numIfEPS3_EEvT1_iilPiilS6_bb
	.p2align	8
	.type	_ZN9rocsolver6v33100L18getri_kernel_smallILi24E19rocblas_complex_numIfEPS3_EEvT1_iilPiilS6_bb,@function
_ZN9rocsolver6v33100L18getri_kernel_smallILi24E19rocblas_complex_numIfEPS3_EEvT1_iilPiilS6_bb: ; @_ZN9rocsolver6v33100L18getri_kernel_smallILi24E19rocblas_complex_numIfEPS3_EEvT1_iilPiilS6_bb
; %bb.0:
	s_add_u32 s0, s0, s7
	s_addc_u32 s1, s1, 0
	v_cmp_gt_u32_e32 vcc, 24, v0
	s_and_saveexec_b64 s[8:9], vcc
	s_cbranch_execz .LBB23_110
; %bb.1:
	s_load_dword s12, s[4:5], 0x38
	s_load_dwordx4 s[16:19], s[4:5], 0x10
	s_load_dwordx4 s[8:11], s[4:5], 0x28
                                        ; implicit-def: $sgpr20_sgpr21
	s_waitcnt lgkmcnt(0)
	s_bitcmp1_b32 s12, 8
	s_cselect_b64 s[22:23], -1, 0
	s_ashr_i32 s7, s6, 31
	s_bfe_u32 s12, s12, 0x10008
	s_cmp_eq_u32 s12, 0
	s_cbranch_scc1 .LBB23_3
; %bb.2:
	s_load_dword s12, s[4:5], 0x20
	s_mul_i32 s13, s8, s7
	s_mul_hi_u32 s14, s8, s6
	s_mul_i32 s9, s9, s6
	s_add_i32 s14, s14, s13
	s_add_i32 s9, s14, s9
	s_mul_i32 s8, s8, s6
	s_waitcnt lgkmcnt(0)
	s_ashr_i32 s13, s12, 31
	s_lshl_b64 s[8:9], s[8:9], 2
	s_add_u32 s14, s18, s8
	s_addc_u32 s15, s19, s9
	s_lshl_b64 s[8:9], s[12:13], 2
	s_add_u32 s20, s14, s8
	s_addc_u32 s21, s15, s9
.LBB23_3:
	s_load_dwordx4 s[12:15], s[4:5], 0x0
	s_load_dword s8, s[4:5], 0x38
	s_mul_i32 s9, s16, s7
	s_mul_hi_u32 s18, s16, s6
	s_add_i32 s9, s18, s9
	s_waitcnt lgkmcnt(0)
	s_ashr_i32 s5, s14, 31
	s_mov_b32 s4, s14
	s_mul_i32 s14, s17, s6
	s_add_i32 s17, s9, s14
	s_mul_i32 s16, s16, s6
	s_lshl_b64 s[16:17], s[16:17], 3
	s_add_u32 s9, s12, s16
	s_addc_u32 s12, s13, s17
	s_lshl_b64 s[4:5], s[4:5], 3
	s_add_u32 s4, s9, s4
	s_addc_u32 s5, s12, s5
	s_add_i32 s9, s15, s15
	v_add_u32_e32 v3, s9, v0
	v_ashrrev_i32_e32 v4, 31, v3
	v_lshlrev_b64 v[1:2], 3, v[3:4]
	v_add_u32_e32 v5, s15, v3
	v_mov_b32_e32 v4, s5
	v_add_co_u32_e32 v1, vcc, s4, v1
	v_ashrrev_i32_e32 v6, 31, v5
	v_addc_co_u32_e32 v2, vcc, v4, v2, vcc
	v_lshlrev_b64 v[3:4], 3, v[5:6]
	v_add_u32_e32 v7, s15, v5
	v_mov_b32_e32 v6, s5
	v_add_co_u32_e32 v3, vcc, s4, v3
	v_ashrrev_i32_e32 v8, 31, v7
	v_addc_co_u32_e32 v4, vcc, v6, v4, vcc
	;; [unrolled: 6-line block ×8, first 2 shown]
	v_lshlrev_b64 v[17:18], 3, v[19:20]
	v_mov_b32_e32 v21, s5
	v_add_co_u32_e32 v17, vcc, s4, v17
	v_addc_co_u32_e32 v18, vcc, v21, v18, vcc
	v_add_u32_e32 v21, s15, v19
	v_ashrrev_i32_e32 v22, 31, v21
	v_lshlrev_b64 v[19:20], 3, v[21:22]
	v_mov_b32_e32 v23, s5
	v_add_co_u32_e32 v19, vcc, s4, v19
	v_addc_co_u32_e32 v20, vcc, v23, v20, vcc
	v_add_u32_e32 v23, s15, v21
	v_ashrrev_i32_e32 v24, 31, v23
	v_lshlrev_b64 v[21:22], 3, v[23:24]
	v_mov_b32_e32 v25, s5
	v_add_co_u32_e32 v21, vcc, s4, v21
	v_addc_co_u32_e32 v22, vcc, v25, v22, vcc
	v_add_u32_e32 v25, s15, v23
	v_ashrrev_i32_e32 v26, 31, v25
	v_lshlrev_b64 v[23:24], 3, v[25:26]
	v_mov_b32_e32 v27, s5
	v_add_co_u32_e32 v23, vcc, s4, v23
	v_addc_co_u32_e32 v24, vcc, v27, v24, vcc
	v_add_u32_e32 v27, s15, v25
	v_ashrrev_i32_e32 v28, 31, v27
	v_lshlrev_b64 v[25:26], 3, v[27:28]
	v_mov_b32_e32 v29, s5
	v_add_co_u32_e32 v25, vcc, s4, v25
	v_addc_co_u32_e32 v26, vcc, v29, v26, vcc
	v_add_u32_e32 v29, s15, v27
	v_ashrrev_i32_e32 v30, 31, v29
	v_lshlrev_b64 v[27:28], 3, v[29:30]
	v_mov_b32_e32 v31, s5
	v_add_co_u32_e32 v27, vcc, s4, v27
	v_addc_co_u32_e32 v28, vcc, v31, v28, vcc
	v_add_u32_e32 v31, s15, v29
	v_ashrrev_i32_e32 v32, 31, v31
	v_lshlrev_b64 v[29:30], 3, v[31:32]
	v_mov_b32_e32 v33, s5
	v_add_co_u32_e32 v29, vcc, s4, v29
	v_addc_co_u32_e32 v30, vcc, v33, v30, vcc
	v_add_u32_e32 v33, s15, v31
	v_ashrrev_i32_e32 v34, 31, v33
	v_lshlrev_b64 v[31:32], 3, v[33:34]
	v_mov_b32_e32 v35, s5
	v_add_co_u32_e32 v31, vcc, s4, v31
	v_addc_co_u32_e32 v32, vcc, v35, v32, vcc
	v_add_u32_e32 v35, s15, v33
	v_ashrrev_i32_e32 v36, 31, v35
	v_lshlrev_b64 v[33:34], 3, v[35:36]
	v_mov_b32_e32 v37, s5
	v_add_co_u32_e32 v33, vcc, s4, v33
	v_addc_co_u32_e32 v34, vcc, v37, v34, vcc
	v_add_u32_e32 v37, s15, v35
	v_ashrrev_i32_e32 v38, 31, v37
	v_lshlrev_b64 v[35:36], 3, v[37:38]
	v_mov_b32_e32 v39, s5
	v_add_co_u32_e32 v35, vcc, s4, v35
	v_addc_co_u32_e32 v36, vcc, v39, v36, vcc
	v_add_u32_e32 v39, s15, v37
	v_ashrrev_i32_e32 v40, 31, v39
	v_lshlrev_b64 v[37:38], 3, v[39:40]
	v_mov_b32_e32 v41, s5
	v_add_co_u32_e32 v37, vcc, s4, v37
	v_addc_co_u32_e32 v38, vcc, v41, v38, vcc
	v_lshlrev_b32_e32 v51, 3, v0
	v_add_u32_e32 v45, s15, v39
	v_mov_b32_e32 v40, s5
	v_add_co_u32_e32 v39, vcc, s4, v51
	s_ashr_i32 s13, s15, 31
	s_mov_b32 s12, s15
	v_addc_co_u32_e32 v40, vcc, 0, v40, vcc
	s_lshl_b64 s[12:13], s[12:13], 3
	v_ashrrev_i32_e32 v46, 31, v45
	v_mov_b32_e32 v41, s13
	v_add_co_u32_e32 v43, vcc, s12, v39
	v_addc_co_u32_e32 v44, vcc, v40, v41, vcc
	v_lshlrev_b64 v[41:42], 3, v[45:46]
	v_mov_b32_e32 v47, s5
	v_add_co_u32_e32 v41, vcc, s4, v41
	v_addc_co_u32_e32 v42, vcc, v47, v42, vcc
	v_add_u32_e32 v47, s15, v45
	v_ashrrev_i32_e32 v48, 31, v47
	v_lshlrev_b64 v[45:46], 3, v[47:48]
	v_mov_b32_e32 v80, s5
	v_add_co_u32_e32 v45, vcc, s4, v45
	global_load_dwordx2 v[49:50], v51, s[4:5]
	global_load_dwordx2 v[52:53], v[43:44], off
	global_load_dwordx2 v[54:55], v[1:2], off
	;; [unrolled: 1-line block ×14, first 2 shown]
	v_addc_co_u32_e32 v46, vcc, v80, v46, vcc
	global_load_dwordx2 v[80:81], v[27:28], off
	global_load_dwordx2 v[82:83], v[29:30], off
	;; [unrolled: 1-line block ×8, first 2 shown]
	v_add_u32_e32 v47, s15, v47
	v_ashrrev_i32_e32 v48, 31, v47
	v_lshlrev_b64 v[47:48], 3, v[47:48]
	v_mov_b32_e32 v96, s5
	v_add_co_u32_e32 v47, vcc, s4, v47
	v_addc_co_u32_e32 v48, vcc, v96, v48, vcc
	global_load_dwordx2 v[96:97], v[47:48], off
	s_bitcmp0_b32 s8, 0
	s_mov_b64 s[8:9], -1
	s_waitcnt vmcnt(23)
	buffer_store_dword v50, off, s[0:3], 0 offset:4
	buffer_store_dword v49, off, s[0:3], 0
	s_waitcnt vmcnt(24)
	buffer_store_dword v53, off, s[0:3], 0 offset:12
	buffer_store_dword v52, off, s[0:3], 0 offset:8
	s_waitcnt vmcnt(25)
	buffer_store_dword v55, off, s[0:3], 0 offset:20
	buffer_store_dword v54, off, s[0:3], 0 offset:16
	;; [unrolled: 3-line block ×23, first 2 shown]
	s_cbranch_scc1 .LBB23_108
; %bb.4:
	v_cmp_eq_u32_e64 s[4:5], 0, v0
	s_and_saveexec_b64 s[8:9], s[4:5]
; %bb.5:
	v_mov_b32_e32 v49, 0
	ds_write_b32 v49, v49 offset:384
; %bb.6:
	s_or_b64 exec, exec, s[8:9]
	v_mov_b32_e32 v49, 0
	v_lshl_add_u32 v53, v0, 3, v49
	s_waitcnt lgkmcnt(0)
	; wave barrier
	buffer_load_dword v49, v53, s[0:3], 0 offen
	buffer_load_dword v50, v53, s[0:3], 0 offen offset:4
	s_waitcnt vmcnt(1)
	v_cmp_eq_f32_e32 vcc, 0, v49
	s_waitcnt vmcnt(0)
	v_cmp_eq_f32_e64 s[8:9], 0, v50
	s_and_b64 s[8:9], vcc, s[8:9]
	s_and_saveexec_b64 s[12:13], s[8:9]
	s_cbranch_execz .LBB23_10
; %bb.7:
	v_mov_b32_e32 v49, 0
	ds_read_b32 v52, v49 offset:384
	v_add_u32_e32 v50, 1, v0
	s_waitcnt lgkmcnt(0)
	v_readfirstlane_b32 s8, v52
	s_cmp_eq_u32 s8, 0
	s_cselect_b64 s[14:15], -1, 0
	v_cmp_gt_i32_e32 vcc, s8, v50
	s_or_b64 s[14:15], s[14:15], vcc
	s_and_b64 exec, exec, s[14:15]
	s_cbranch_execz .LBB23_10
; %bb.8:
	s_mov_b64 s[14:15], 0
	v_mov_b32_e32 v52, s8
.LBB23_9:                               ; =>This Inner Loop Header: Depth=1
	ds_cmpst_rtn_b32 v52, v49, v52, v50 offset:384
	s_waitcnt lgkmcnt(0)
	v_cmp_ne_u32_e32 vcc, 0, v52
	v_cmp_le_i32_e64 s[8:9], v52, v50
	s_and_b64 s[8:9], vcc, s[8:9]
	s_and_b64 s[8:9], exec, s[8:9]
	s_or_b64 s[14:15], s[8:9], s[14:15]
	s_andn2_b64 exec, exec, s[14:15]
	s_cbranch_execnz .LBB23_9
.LBB23_10:
	s_or_b64 exec, exec, s[12:13]
	v_mov_b32_e32 v50, 0
	; wave barrier
	ds_read_b32 v49, v50 offset:384
	s_and_saveexec_b64 s[8:9], s[4:5]
	s_cbranch_execz .LBB23_12
; %bb.11:
	s_lshl_b64 s[12:13], s[6:7], 2
	s_add_u32 s12, s10, s12
	s_addc_u32 s13, s11, s13
	s_waitcnt lgkmcnt(0)
	global_store_dword v50, v49, s[12:13]
.LBB23_12:
	s_or_b64 exec, exec, s[8:9]
	s_waitcnt lgkmcnt(0)
	v_cmp_ne_u32_e32 vcc, 0, v49
	s_mov_b64 s[8:9], 0
	s_cbranch_vccnz .LBB23_108
; %bb.13:
	buffer_load_dword v50, v53, s[0:3], 0 offen
	buffer_load_dword v52, v53, s[0:3], 0 offen offset:4
                                        ; implicit-def: $vgpr55
                                        ; implicit-def: $vgpr54
                                        ; implicit-def: $vgpr49
	s_waitcnt vmcnt(0)
	v_cmp_ngt_f32_e64 s[8:9], |v50|, |v52|
	s_and_saveexec_b64 s[12:13], s[8:9]
	s_xor_b64 s[8:9], exec, s[12:13]
	s_cbranch_execz .LBB23_15
; %bb.14:
	v_div_scale_f32 v49, s[12:13], v52, v52, v50
	v_div_scale_f32 v54, vcc, v50, v52, v50
	v_rcp_f32_e32 v55, v49
	v_fma_f32 v56, -v49, v55, 1.0
	v_fmac_f32_e32 v55, v56, v55
	v_mul_f32_e32 v56, v54, v55
	v_fma_f32 v57, -v49, v56, v54
	v_fmac_f32_e32 v56, v57, v55
	v_fma_f32 v49, -v49, v56, v54
	v_div_fmas_f32 v49, v49, v55, v56
	v_div_fixup_f32 v49, v49, v52, v50
	v_fmac_f32_e32 v52, v50, v49
	v_div_scale_f32 v50, s[12:13], v52, v52, 1.0
	v_div_scale_f32 v54, vcc, 1.0, v52, 1.0
	v_rcp_f32_e32 v55, v50
	v_fma_f32 v56, -v50, v55, 1.0
	v_fmac_f32_e32 v55, v56, v55
	v_mul_f32_e32 v56, v54, v55
	v_fma_f32 v57, -v50, v56, v54
	v_fmac_f32_e32 v56, v57, v55
	v_fma_f32 v50, -v50, v56, v54
	v_div_fmas_f32 v50, v50, v55, v56
	v_div_fixup_f32 v50, v50, v52, 1.0
	v_mul_f32_e32 v55, v49, v50
	v_xor_b32_e32 v54, 0x80000000, v50
	v_xor_b32_e32 v49, 0x80000000, v55
                                        ; implicit-def: $vgpr50
                                        ; implicit-def: $vgpr52
.LBB23_15:
	s_andn2_saveexec_b64 s[8:9], s[8:9]
	s_cbranch_execz .LBB23_17
; %bb.16:
	v_div_scale_f32 v49, s[12:13], v50, v50, v52
	v_div_scale_f32 v54, vcc, v52, v50, v52
	v_rcp_f32_e32 v55, v49
	v_fma_f32 v56, -v49, v55, 1.0
	v_fmac_f32_e32 v55, v56, v55
	v_mul_f32_e32 v56, v54, v55
	v_fma_f32 v57, -v49, v56, v54
	v_fmac_f32_e32 v56, v57, v55
	v_fma_f32 v49, -v49, v56, v54
	v_div_fmas_f32 v49, v49, v55, v56
	v_div_fixup_f32 v54, v49, v50, v52
	v_fmac_f32_e32 v50, v52, v54
	v_div_scale_f32 v49, s[12:13], v50, v50, 1.0
	v_div_scale_f32 v52, vcc, 1.0, v50, 1.0
	v_rcp_f32_e32 v55, v49
	v_fma_f32 v56, -v49, v55, 1.0
	v_fmac_f32_e32 v55, v56, v55
	v_mul_f32_e32 v56, v52, v55
	v_fma_f32 v57, -v49, v56, v52
	v_fmac_f32_e32 v56, v57, v55
	v_fma_f32 v49, -v49, v56, v52
	v_div_fmas_f32 v49, v49, v55, v56
	v_div_fixup_f32 v55, v49, v50, 1.0
	v_xor_b32_e32 v49, 0x80000000, v55
	v_mul_f32_e64 v54, v54, -v55
.LBB23_17:
	s_or_b64 exec, exec, s[8:9]
	buffer_store_dword v55, v53, s[0:3], 0 offen
	buffer_store_dword v54, v53, s[0:3], 0 offen offset:4
	buffer_load_dword v56, off, s[0:3], 0 offset:12
	s_nop 0
	buffer_load_dword v55, off, s[0:3], 0 offset:8
	v_xor_b32_e32 v50, 0x80000000, v54
	v_add_u32_e32 v52, 0xc0, v51
	s_waitcnt vmcnt(0)
	ds_write2_b64 v51, v[49:50], v[55:56] offset1:24
	s_waitcnt lgkmcnt(0)
	; wave barrier
	s_and_saveexec_b64 s[8:9], s[4:5]
	s_cbranch_execz .LBB23_19
; %bb.18:
	buffer_load_dword v56, v53, s[0:3], 0 offen offset:4
	buffer_load_dword v57, v53, s[0:3], 0 offen
	ds_read_b64 v[49:50], v52
	v_mov_b32_e32 v54, 0
	ds_read_b64 v[54:55], v54 offset:8
	s_waitcnt vmcnt(1) lgkmcnt(1)
	v_mul_f32_e32 v58, v50, v56
	v_mul_f32_e32 v56, v49, v56
	s_waitcnt vmcnt(0)
	v_fmac_f32_e32 v56, v50, v57
	v_fma_f32 v49, v49, v57, -v58
	v_add_f32_e32 v50, 0, v56
	v_add_f32_e32 v49, 0, v49
	s_waitcnt lgkmcnt(0)
	v_mul_f32_e32 v56, v50, v55
	v_mul_f32_e32 v55, v49, v55
	v_fma_f32 v49, v49, v54, -v56
	v_fmac_f32_e32 v55, v50, v54
	buffer_store_dword v49, off, s[0:3], 0 offset:8
	buffer_store_dword v55, off, s[0:3], 0 offset:12
.LBB23_19:
	s_or_b64 exec, exec, s[8:9]
	; wave barrier
	buffer_load_dword v49, off, s[0:3], 0 offset:16
	buffer_load_dword v50, off, s[0:3], 0 offset:20
	v_cmp_gt_u32_e32 vcc, 2, v0
	s_waitcnt vmcnt(0)
	ds_write_b64 v52, v[49:50]
	s_waitcnt lgkmcnt(0)
	; wave barrier
	s_and_saveexec_b64 s[8:9], vcc
	s_cbranch_execz .LBB23_23
; %bb.20:
	buffer_load_dword v54, v53, s[0:3], 0 offen offset:4
	buffer_load_dword v55, v53, s[0:3], 0 offen
	ds_read_b64 v[49:50], v52
	s_waitcnt vmcnt(1) lgkmcnt(0)
	v_mul_f32_e32 v53, v50, v54
	v_mul_f32_e32 v54, v49, v54
	s_waitcnt vmcnt(0)
	v_fma_f32 v49, v49, v55, -v53
	v_fmac_f32_e32 v54, v50, v55
	v_add_f32_e32 v50, 0, v49
	v_add_f32_e32 v49, 0, v54
	s_and_saveexec_b64 s[12:13], s[4:5]
	s_cbranch_execz .LBB23_22
; %bb.21:
	buffer_load_dword v55, off, s[0:3], 0 offset:12
	buffer_load_dword v56, off, s[0:3], 0 offset:8
	v_mov_b32_e32 v53, 0
	ds_read_b64 v[53:54], v53 offset:200
	s_waitcnt vmcnt(1) lgkmcnt(0)
	v_mul_f32_e32 v57, v53, v55
	v_mul_f32_e32 v55, v54, v55
	s_waitcnt vmcnt(0)
	v_fmac_f32_e32 v57, v54, v56
	v_fma_f32 v53, v53, v56, -v55
	v_add_f32_e32 v49, v49, v57
	v_add_f32_e32 v50, v50, v53
.LBB23_22:
	s_or_b64 exec, exec, s[12:13]
	v_mov_b32_e32 v53, 0
	ds_read_b64 v[53:54], v53 offset:16
	s_waitcnt lgkmcnt(0)
	v_mul_f32_e32 v55, v49, v54
	v_mul_f32_e32 v54, v50, v54
	v_fma_f32 v50, v50, v53, -v55
	v_fmac_f32_e32 v54, v49, v53
	buffer_store_dword v50, off, s[0:3], 0 offset:16
	buffer_store_dword v54, off, s[0:3], 0 offset:20
.LBB23_23:
	s_or_b64 exec, exec, s[8:9]
	; wave barrier
	buffer_load_dword v49, off, s[0:3], 0 offset:24
	buffer_load_dword v50, off, s[0:3], 0 offset:28
	v_cmp_gt_u32_e32 vcc, 3, v0
	s_waitcnt vmcnt(0)
	ds_write_b64 v52, v[49:50]
	v_add_u32_e32 v49, -1, v0
	s_waitcnt lgkmcnt(0)
	; wave barrier
	s_and_saveexec_b64 s[4:5], vcc
	s_cbranch_execz .LBB23_27
; %bb.24:
	v_add_u32_e32 v53, -1, v0
	v_add_u32_e32 v54, 0xc0, v51
	v_mov_b32_e32 v55, v51
	v_mov_b32_e32 v50, 0
	s_mov_b64 s[8:9], 0
	v_mov_b32_e32 v56, 0
.LBB23_25:                              ; =>This Inner Loop Header: Depth=1
	buffer_load_dword v59, v55, s[0:3], 0 offen offset:4
	buffer_load_dword v60, v55, s[0:3], 0 offen
	ds_read_b64 v[57:58], v54
	v_add_u32_e32 v53, 1, v53
	v_cmp_lt_u32_e32 vcc, 1, v53
	v_add_u32_e32 v54, 8, v54
	v_add_u32_e32 v55, 8, v55
	s_or_b64 s[8:9], vcc, s[8:9]
	s_waitcnt vmcnt(1) lgkmcnt(0)
	v_mul_f32_e32 v61, v58, v59
	v_mul_f32_e32 v59, v57, v59
	s_waitcnt vmcnt(0)
	v_fma_f32 v57, v57, v60, -v61
	v_fmac_f32_e32 v59, v58, v60
	v_add_f32_e32 v56, v56, v57
	v_add_f32_e32 v50, v50, v59
	s_andn2_b64 exec, exec, s[8:9]
	s_cbranch_execnz .LBB23_25
; %bb.26:
	s_or_b64 exec, exec, s[8:9]
	v_mov_b32_e32 v53, 0
	ds_read_b64 v[53:54], v53 offset:24
	s_waitcnt lgkmcnt(0)
	v_mul_f32_e32 v55, v50, v54
	v_mul_f32_e32 v54, v56, v54
	v_fma_f32 v55, v56, v53, -v55
	v_fmac_f32_e32 v54, v50, v53
	buffer_store_dword v55, off, s[0:3], 0 offset:24
	buffer_store_dword v54, off, s[0:3], 0 offset:28
.LBB23_27:
	s_or_b64 exec, exec, s[4:5]
	; wave barrier
	buffer_load_dword v53, off, s[0:3], 0 offset:32
	buffer_load_dword v54, off, s[0:3], 0 offset:36
	v_cmp_gt_u32_e32 vcc, 4, v0
	s_waitcnt vmcnt(0)
	ds_write_b64 v52, v[53:54]
	s_waitcnt lgkmcnt(0)
	; wave barrier
	s_and_saveexec_b64 s[4:5], vcc
	s_cbranch_execz .LBB23_31
; %bb.28:
	v_add_u32_e32 v53, -1, v0
	v_add_u32_e32 v54, 0xc0, v51
	v_mov_b32_e32 v55, v51
	v_mov_b32_e32 v50, 0
	s_mov_b64 s[8:9], 0
	v_mov_b32_e32 v56, 0
.LBB23_29:                              ; =>This Inner Loop Header: Depth=1
	buffer_load_dword v59, v55, s[0:3], 0 offen offset:4
	buffer_load_dword v60, v55, s[0:3], 0 offen
	ds_read_b64 v[57:58], v54
	v_add_u32_e32 v53, 1, v53
	v_cmp_lt_u32_e32 vcc, 2, v53
	v_add_u32_e32 v54, 8, v54
	v_add_u32_e32 v55, 8, v55
	s_or_b64 s[8:9], vcc, s[8:9]
	s_waitcnt vmcnt(1) lgkmcnt(0)
	v_mul_f32_e32 v61, v58, v59
	v_mul_f32_e32 v59, v57, v59
	s_waitcnt vmcnt(0)
	v_fma_f32 v57, v57, v60, -v61
	v_fmac_f32_e32 v59, v58, v60
	v_add_f32_e32 v56, v56, v57
	v_add_f32_e32 v50, v50, v59
	s_andn2_b64 exec, exec, s[8:9]
	s_cbranch_execnz .LBB23_29
; %bb.30:
	s_or_b64 exec, exec, s[8:9]
	v_mov_b32_e32 v53, 0
	ds_read_b64 v[53:54], v53 offset:32
	s_waitcnt lgkmcnt(0)
	v_mul_f32_e32 v55, v50, v54
	v_mul_f32_e32 v54, v56, v54
	v_fma_f32 v55, v56, v53, -v55
	v_fmac_f32_e32 v54, v50, v53
	buffer_store_dword v55, off, s[0:3], 0 offset:32
	buffer_store_dword v54, off, s[0:3], 0 offset:36
.LBB23_31:
	s_or_b64 exec, exec, s[4:5]
	; wave barrier
	buffer_load_dword v53, off, s[0:3], 0 offset:40
	buffer_load_dword v54, off, s[0:3], 0 offset:44
	v_cmp_gt_u32_e32 vcc, 5, v0
	s_waitcnt vmcnt(0)
	ds_write_b64 v52, v[53:54]
	;; [unrolled: 49-line block ×19, first 2 shown]
	s_waitcnt lgkmcnt(0)
	; wave barrier
	s_and_saveexec_b64 s[4:5], vcc
	s_cbranch_execz .LBB23_103
; %bb.100:
	v_add_u32_e32 v53, -1, v0
	v_add_u32_e32 v54, 0xc0, v51
	v_mov_b32_e32 v55, v51
	v_mov_b32_e32 v50, 0
	s_mov_b64 s[8:9], 0
	v_mov_b32_e32 v56, 0
.LBB23_101:                             ; =>This Inner Loop Header: Depth=1
	buffer_load_dword v59, v55, s[0:3], 0 offen offset:4
	buffer_load_dword v60, v55, s[0:3], 0 offen
	ds_read_b64 v[57:58], v54
	v_add_u32_e32 v53, 1, v53
	v_cmp_lt_u32_e32 vcc, 20, v53
	v_add_u32_e32 v54, 8, v54
	v_add_u32_e32 v55, 8, v55
	s_or_b64 s[8:9], vcc, s[8:9]
	s_waitcnt vmcnt(1) lgkmcnt(0)
	v_mul_f32_e32 v61, v58, v59
	v_mul_f32_e32 v59, v57, v59
	s_waitcnt vmcnt(0)
	v_fma_f32 v57, v57, v60, -v61
	v_fmac_f32_e32 v59, v58, v60
	v_add_f32_e32 v56, v56, v57
	v_add_f32_e32 v50, v50, v59
	s_andn2_b64 exec, exec, s[8:9]
	s_cbranch_execnz .LBB23_101
; %bb.102:
	s_or_b64 exec, exec, s[8:9]
	v_mov_b32_e32 v53, 0
	ds_read_b64 v[53:54], v53 offset:176
	s_waitcnt lgkmcnt(0)
	v_mul_f32_e32 v55, v50, v54
	v_mul_f32_e32 v54, v56, v54
	v_fma_f32 v55, v56, v53, -v55
	v_fmac_f32_e32 v54, v50, v53
	buffer_store_dword v55, off, s[0:3], 0 offset:176
	buffer_store_dword v54, off, s[0:3], 0 offset:180
.LBB23_103:
	s_or_b64 exec, exec, s[4:5]
	; wave barrier
	buffer_load_dword v53, off, s[0:3], 0 offset:184
	buffer_load_dword v54, off, s[0:3], 0 offset:188
	v_cmp_ne_u32_e32 vcc, 23, v0
	s_waitcnt vmcnt(0)
	ds_write_b64 v52, v[53:54]
	s_waitcnt lgkmcnt(0)
	; wave barrier
	s_and_saveexec_b64 s[4:5], vcc
	s_cbranch_execz .LBB23_107
; %bb.104:
	v_add_u32_e32 v52, 0xc0, v51
	v_mov_b32_e32 v50, 0
	s_mov_b64 s[8:9], 0
	v_mov_b32_e32 v53, 0
.LBB23_105:                             ; =>This Inner Loop Header: Depth=1
	buffer_load_dword v56, v51, s[0:3], 0 offen offset:4
	buffer_load_dword v57, v51, s[0:3], 0 offen
	ds_read_b64 v[54:55], v52
	v_add_u32_e32 v49, 1, v49
	v_cmp_lt_u32_e32 vcc, 21, v49
	v_add_u32_e32 v52, 8, v52
	v_add_u32_e32 v51, 8, v51
	s_or_b64 s[8:9], vcc, s[8:9]
	s_waitcnt vmcnt(1) lgkmcnt(0)
	v_mul_f32_e32 v58, v55, v56
	v_mul_f32_e32 v56, v54, v56
	s_waitcnt vmcnt(0)
	v_fma_f32 v54, v54, v57, -v58
	v_fmac_f32_e32 v56, v55, v57
	v_add_f32_e32 v53, v53, v54
	v_add_f32_e32 v50, v50, v56
	s_andn2_b64 exec, exec, s[8:9]
	s_cbranch_execnz .LBB23_105
; %bb.106:
	s_or_b64 exec, exec, s[8:9]
	v_mov_b32_e32 v49, 0
	ds_read_b64 v[51:52], v49 offset:184
	s_waitcnt lgkmcnt(0)
	v_mul_f32_e32 v49, v50, v52
	v_mul_f32_e32 v52, v53, v52
	v_fma_f32 v49, v53, v51, -v49
	v_fmac_f32_e32 v52, v50, v51
	buffer_store_dword v49, off, s[0:3], 0 offset:184
	buffer_store_dword v52, off, s[0:3], 0 offset:188
.LBB23_107:
	s_or_b64 exec, exec, s[4:5]
	s_mov_b64 s[8:9], -1
	; wave barrier
.LBB23_108:
	s_and_b64 vcc, exec, s[8:9]
	s_cbranch_vccz .LBB23_110
; %bb.109:
	s_lshl_b64 s[4:5], s[6:7], 2
	s_add_u32 s4, s10, s4
	s_addc_u32 s5, s11, s5
	v_mov_b32_e32 v49, 0
	global_load_dword v49, v49, s[4:5]
	s_waitcnt vmcnt(0)
	v_cmp_ne_u32_e32 vcc, 0, v49
	s_cbranch_vccz .LBB23_111
.LBB23_110:
	s_endpgm
.LBB23_111:
	v_mov_b32_e32 v49, 0xc0
	v_lshl_add_u32 v49, v0, 3, v49
	v_cmp_eq_u32_e32 vcc, 23, v0
	s_and_saveexec_b64 s[4:5], vcc
	s_cbranch_execz .LBB23_113
; %bb.112:
	buffer_load_dword v50, off, s[0:3], 0 offset:176
	buffer_load_dword v51, off, s[0:3], 0 offset:180
	v_mov_b32_e32 v52, 0
	buffer_store_dword v52, off, s[0:3], 0 offset:176
	buffer_store_dword v52, off, s[0:3], 0 offset:180
	s_waitcnt vmcnt(2)
	ds_write_b64 v49, v[50:51]
.LBB23_113:
	s_or_b64 exec, exec, s[4:5]
	s_waitcnt lgkmcnt(0)
	; wave barrier
	buffer_load_dword v53, off, s[0:3], 0 offset:188
	buffer_load_dword v54, off, s[0:3], 0 offset:184
	;; [unrolled: 1-line block ×4, first 2 shown]
	v_mov_b32_e32 v50, 0
	ds_read_b64 v[51:52], v50 offset:376
	v_cmp_lt_u32_e32 vcc, 21, v0
	s_waitcnt vmcnt(3) lgkmcnt(0)
	v_mul_f32_e32 v57, v51, v53
	v_mul_f32_e32 v53, v52, v53
	s_waitcnt vmcnt(2)
	v_fma_f32 v51, v51, v54, -v53
	v_fmac_f32_e32 v57, v52, v54
	v_add_f32_e32 v51, 0, v51
	v_add_f32_e32 v52, 0, v57
	s_waitcnt vmcnt(1)
	v_sub_f32_e32 v51, v55, v51
	s_waitcnt vmcnt(0)
	v_sub_f32_e32 v52, v56, v52
	buffer_store_dword v51, off, s[0:3], 0 offset:176
	buffer_store_dword v52, off, s[0:3], 0 offset:180
	s_and_saveexec_b64 s[4:5], vcc
	s_cbranch_execz .LBB23_115
; %bb.114:
	buffer_load_dword v51, off, s[0:3], 0 offset:168
	buffer_load_dword v52, off, s[0:3], 0 offset:172
	s_waitcnt vmcnt(0)
	ds_write_b64 v49, v[51:52]
	buffer_store_dword v50, off, s[0:3], 0 offset:168
	buffer_store_dword v50, off, s[0:3], 0 offset:172
.LBB23_115:
	s_or_b64 exec, exec, s[4:5]
	s_waitcnt lgkmcnt(0)
	; wave barrier
	buffer_load_dword v54, off, s[0:3], 0 offset:180
	buffer_load_dword v55, off, s[0:3], 0 offset:188
	;; [unrolled: 1-line block ×6, first 2 shown]
	ds_read_b128 v[50:53], v50 offset:368
	v_cmp_lt_u32_e32 vcc, 20, v0
	s_waitcnt vmcnt(5) lgkmcnt(0)
	v_mul_f32_e32 v60, v50, v54
	v_mul_f32_e32 v54, v51, v54
	s_waitcnt vmcnt(4)
	v_mul_f32_e32 v61, v52, v55
	v_mul_f32_e32 v55, v53, v55
	s_waitcnt vmcnt(3)
	v_fma_f32 v50, v50, v56, -v54
	v_fmac_f32_e32 v60, v51, v56
	s_waitcnt vmcnt(2)
	v_fma_f32 v51, v52, v57, -v55
	v_add_f32_e32 v50, 0, v50
	v_fmac_f32_e32 v61, v53, v57
	v_add_f32_e32 v52, 0, v60
	v_add_f32_e32 v50, v50, v51
	;; [unrolled: 1-line block ×3, first 2 shown]
	s_waitcnt vmcnt(1)
	v_sub_f32_e32 v50, v58, v50
	s_waitcnt vmcnt(0)
	v_sub_f32_e32 v51, v59, v52
	buffer_store_dword v50, off, s[0:3], 0 offset:168
	buffer_store_dword v51, off, s[0:3], 0 offset:172
	s_and_saveexec_b64 s[4:5], vcc
	s_cbranch_execz .LBB23_117
; %bb.116:
	buffer_load_dword v50, off, s[0:3], 0 offset:160
	buffer_load_dword v51, off, s[0:3], 0 offset:164
	v_mov_b32_e32 v52, 0
	buffer_store_dword v52, off, s[0:3], 0 offset:160
	buffer_store_dword v52, off, s[0:3], 0 offset:164
	s_waitcnt vmcnt(2)
	ds_write_b64 v49, v[50:51]
.LBB23_117:
	s_or_b64 exec, exec, s[4:5]
	s_waitcnt lgkmcnt(0)
	; wave barrier
	buffer_load_dword v57, off, s[0:3], 0 offset:172
	buffer_load_dword v58, off, s[0:3], 0 offset:180
	;; [unrolled: 1-line block ×8, first 2 shown]
	v_mov_b32_e32 v50, 0
	ds_read2_b64 v[51:54], v50 offset0:45 offset1:46
	ds_read_b64 v[55:56], v50 offset:376
	v_cmp_lt_u32_e32 vcc, 19, v0
	s_waitcnt vmcnt(7) lgkmcnt(1)
	v_mul_f32_e32 v65, v51, v57
	v_mul_f32_e32 v57, v52, v57
	s_waitcnt vmcnt(6)
	v_mul_f32_e32 v66, v53, v58
	v_mul_f32_e32 v58, v54, v58
	s_waitcnt vmcnt(4)
	v_fma_f32 v51, v51, v60, -v57
	s_waitcnt lgkmcnt(0)
	v_mul_f32_e32 v67, v55, v59
	v_mul_f32_e32 v59, v56, v59
	v_fmac_f32_e32 v65, v52, v60
	s_waitcnt vmcnt(3)
	v_fma_f32 v52, v53, v61, -v58
	v_add_f32_e32 v51, 0, v51
	v_fmac_f32_e32 v66, v54, v61
	s_waitcnt vmcnt(2)
	v_fma_f32 v53, v55, v62, -v59
	v_add_f32_e32 v54, 0, v65
	v_add_f32_e32 v51, v51, v52
	v_fmac_f32_e32 v67, v56, v62
	v_add_f32_e32 v54, v54, v66
	v_add_f32_e32 v51, v51, v53
	;; [unrolled: 1-line block ×3, first 2 shown]
	s_waitcnt vmcnt(1)
	v_sub_f32_e32 v51, v63, v51
	s_waitcnt vmcnt(0)
	v_sub_f32_e32 v52, v64, v52
	buffer_store_dword v51, off, s[0:3], 0 offset:160
	buffer_store_dword v52, off, s[0:3], 0 offset:164
	s_and_saveexec_b64 s[4:5], vcc
	s_cbranch_execz .LBB23_119
; %bb.118:
	buffer_load_dword v51, off, s[0:3], 0 offset:152
	buffer_load_dword v52, off, s[0:3], 0 offset:156
	s_waitcnt vmcnt(0)
	ds_write_b64 v49, v[51:52]
	buffer_store_dword v50, off, s[0:3], 0 offset:152
	buffer_store_dword v50, off, s[0:3], 0 offset:156
.LBB23_119:
	s_or_b64 exec, exec, s[4:5]
	s_waitcnt lgkmcnt(0)
	; wave barrier
	buffer_load_dword v59, off, s[0:3], 0 offset:164
	buffer_load_dword v60, off, s[0:3], 0 offset:172
	;; [unrolled: 1-line block ×10, first 2 shown]
	ds_read_b128 v[51:54], v50 offset:352
	ds_read_b128 v[55:58], v50 offset:368
	v_cmp_lt_u32_e32 vcc, 18, v0
	s_waitcnt vmcnt(9) lgkmcnt(1)
	v_mul_f32_e32 v50, v51, v59
	v_mul_f32_e32 v59, v52, v59
	s_waitcnt vmcnt(8)
	v_mul_f32_e32 v69, v53, v60
	v_mul_f32_e32 v60, v54, v60
	s_waitcnt vmcnt(5)
	v_fma_f32 v51, v51, v63, -v59
	s_waitcnt lgkmcnt(0)
	v_mul_f32_e32 v70, v55, v61
	v_mul_f32_e32 v61, v56, v61
	v_fmac_f32_e32 v50, v52, v63
	s_waitcnt vmcnt(4)
	v_fma_f32 v52, v53, v64, -v60
	v_add_f32_e32 v51, 0, v51
	v_mul_f32_e32 v71, v57, v62
	v_mul_f32_e32 v62, v58, v62
	v_fmac_f32_e32 v69, v54, v64
	s_waitcnt vmcnt(3)
	v_fma_f32 v53, v55, v65, -v61
	v_add_f32_e32 v50, 0, v50
	v_add_f32_e32 v51, v51, v52
	v_fmac_f32_e32 v70, v56, v65
	s_waitcnt vmcnt(2)
	v_fma_f32 v54, v57, v66, -v62
	v_add_f32_e32 v50, v50, v69
	v_add_f32_e32 v51, v51, v53
	v_fmac_f32_e32 v71, v58, v66
	v_add_f32_e32 v50, v50, v70
	v_add_f32_e32 v51, v51, v54
	v_add_f32_e32 v50, v50, v71
	s_waitcnt vmcnt(1)
	v_sub_f32_e32 v51, v67, v51
	s_waitcnt vmcnt(0)
	v_sub_f32_e32 v50, v68, v50
	buffer_store_dword v51, off, s[0:3], 0 offset:152
	buffer_store_dword v50, off, s[0:3], 0 offset:156
	s_and_saveexec_b64 s[4:5], vcc
	s_cbranch_execz .LBB23_121
; %bb.120:
	buffer_load_dword v50, off, s[0:3], 0 offset:144
	buffer_load_dword v51, off, s[0:3], 0 offset:148
	v_mov_b32_e32 v52, 0
	buffer_store_dword v52, off, s[0:3], 0 offset:144
	buffer_store_dword v52, off, s[0:3], 0 offset:148
	s_waitcnt vmcnt(2)
	ds_write_b64 v49, v[50:51]
.LBB23_121:
	s_or_b64 exec, exec, s[4:5]
	s_waitcnt lgkmcnt(0)
	; wave barrier
	buffer_load_dword v61, off, s[0:3], 0 offset:156
	buffer_load_dword v62, off, s[0:3], 0 offset:164
	;; [unrolled: 1-line block ×12, first 2 shown]
	v_mov_b32_e32 v50, 0
	ds_read2_b64 v[51:54], v50 offset0:43 offset1:44
	ds_read2_b64 v[55:58], v50 offset0:45 offset1:46
	ds_read_b64 v[59:60], v50 offset:376
	v_cmp_lt_u32_e32 vcc, 17, v0
	s_waitcnt vmcnt(11) lgkmcnt(2)
	v_mul_f32_e32 v73, v51, v61
	v_mul_f32_e32 v61, v52, v61
	s_waitcnt vmcnt(10)
	v_mul_f32_e32 v74, v53, v62
	v_mul_f32_e32 v62, v54, v62
	s_waitcnt vmcnt(9) lgkmcnt(1)
	v_mul_f32_e32 v75, v55, v63
	s_waitcnt vmcnt(6)
	v_fma_f32 v51, v51, v66, -v61
	v_mul_f32_e32 v63, v56, v63
	v_fmac_f32_e32 v73, v52, v66
	s_waitcnt vmcnt(5)
	v_fma_f32 v52, v53, v67, -v62
	v_add_f32_e32 v51, 0, v51
	v_mul_f32_e32 v76, v57, v64
	v_mul_f32_e32 v64, v58, v64
	v_fmac_f32_e32 v74, v54, v67
	s_waitcnt vmcnt(4)
	v_fmac_f32_e32 v75, v56, v68
	v_fma_f32 v53, v55, v68, -v63
	v_add_f32_e32 v56, 0, v73
	v_add_f32_e32 v51, v51, v52
	s_waitcnt lgkmcnt(0)
	v_mul_f32_e32 v77, v59, v65
	v_mul_f32_e32 v65, v60, v65
	s_waitcnt vmcnt(3)
	v_fma_f32 v54, v57, v69, -v64
	v_add_f32_e32 v56, v56, v74
	v_add_f32_e32 v51, v51, v53
	v_fmac_f32_e32 v76, v58, v69
	s_waitcnt vmcnt(2)
	v_fma_f32 v55, v59, v70, -v65
	v_add_f32_e32 v52, v56, v75
	v_add_f32_e32 v51, v51, v54
	v_fmac_f32_e32 v77, v60, v70
	v_add_f32_e32 v52, v52, v76
	v_add_f32_e32 v51, v51, v55
	;; [unrolled: 1-line block ×3, first 2 shown]
	s_waitcnt vmcnt(1)
	v_sub_f32_e32 v51, v71, v51
	s_waitcnt vmcnt(0)
	v_sub_f32_e32 v52, v72, v52
	buffer_store_dword v51, off, s[0:3], 0 offset:144
	buffer_store_dword v52, off, s[0:3], 0 offset:148
	s_and_saveexec_b64 s[4:5], vcc
	s_cbranch_execz .LBB23_123
; %bb.122:
	buffer_load_dword v51, off, s[0:3], 0 offset:136
	buffer_load_dword v52, off, s[0:3], 0 offset:140
	s_waitcnt vmcnt(0)
	ds_write_b64 v49, v[51:52]
	buffer_store_dword v50, off, s[0:3], 0 offset:136
	buffer_store_dword v50, off, s[0:3], 0 offset:140
.LBB23_123:
	s_or_b64 exec, exec, s[4:5]
	s_waitcnt lgkmcnt(0)
	; wave barrier
	buffer_load_dword v63, off, s[0:3], 0 offset:148
	buffer_load_dword v64, off, s[0:3], 0 offset:156
	;; [unrolled: 1-line block ×14, first 2 shown]
	ds_read_b128 v[51:54], v50 offset:336
	ds_read_b128 v[55:58], v50 offset:352
	;; [unrolled: 1-line block ×3, first 2 shown]
	v_cmp_lt_u32_e32 vcc, 16, v0
	s_waitcnt vmcnt(13) lgkmcnt(2)
	v_mul_f32_e32 v50, v51, v63
	v_mul_f32_e32 v63, v52, v63
	s_waitcnt vmcnt(12)
	v_mul_f32_e32 v77, v53, v64
	v_mul_f32_e32 v64, v54, v64
	s_waitcnt vmcnt(11) lgkmcnt(1)
	v_mul_f32_e32 v78, v55, v65
	v_mul_f32_e32 v65, v56, v65
	s_waitcnt vmcnt(7)
	v_fma_f32 v51, v51, v69, -v63
	v_fmac_f32_e32 v50, v52, v69
	s_waitcnt vmcnt(6)
	v_fma_f32 v52, v53, v70, -v64
	v_add_f32_e32 v51, 0, v51
	v_mul_f32_e32 v79, v57, v66
	v_mul_f32_e32 v66, v58, v66
	v_fmac_f32_e32 v77, v54, v70
	s_waitcnt vmcnt(5)
	v_fma_f32 v53, v55, v71, -v65
	v_add_f32_e32 v50, 0, v50
	v_add_f32_e32 v51, v51, v52
	s_waitcnt lgkmcnt(0)
	v_mul_f32_e32 v80, v59, v67
	v_mul_f32_e32 v67, v60, v67
	v_fmac_f32_e32 v78, v56, v71
	s_waitcnt vmcnt(4)
	v_fma_f32 v54, v57, v72, -v66
	v_add_f32_e32 v50, v50, v77
	v_add_f32_e32 v51, v51, v53
	v_mul_f32_e32 v81, v61, v68
	v_mul_f32_e32 v68, v62, v68
	v_fmac_f32_e32 v79, v58, v72
	s_waitcnt vmcnt(3)
	v_fma_f32 v55, v59, v73, -v67
	v_add_f32_e32 v50, v50, v78
	v_add_f32_e32 v51, v51, v54
	v_fmac_f32_e32 v80, v60, v73
	s_waitcnt vmcnt(2)
	v_fma_f32 v56, v61, v74, -v68
	v_add_f32_e32 v50, v50, v79
	v_add_f32_e32 v51, v51, v55
	v_fmac_f32_e32 v81, v62, v74
	v_add_f32_e32 v50, v50, v80
	v_add_f32_e32 v51, v51, v56
	;; [unrolled: 1-line block ×3, first 2 shown]
	s_waitcnt vmcnt(1)
	v_sub_f32_e32 v51, v75, v51
	s_waitcnt vmcnt(0)
	v_sub_f32_e32 v50, v76, v50
	buffer_store_dword v51, off, s[0:3], 0 offset:136
	buffer_store_dword v50, off, s[0:3], 0 offset:140
	s_and_saveexec_b64 s[4:5], vcc
	s_cbranch_execz .LBB23_125
; %bb.124:
	buffer_load_dword v50, off, s[0:3], 0 offset:128
	buffer_load_dword v51, off, s[0:3], 0 offset:132
	v_mov_b32_e32 v52, 0
	buffer_store_dword v52, off, s[0:3], 0 offset:128
	buffer_store_dword v52, off, s[0:3], 0 offset:132
	s_waitcnt vmcnt(2)
	ds_write_b64 v49, v[50:51]
.LBB23_125:
	s_or_b64 exec, exec, s[4:5]
	v_mov_b32_e32 v50, 0
	s_waitcnt lgkmcnt(0)
	; wave barrier
	ds_read2_b64 v[51:54], v50 offset0:41 offset1:42
	buffer_load_dword v65, off, s[0:3], 0 offset:128
	buffer_load_dword v66, off, s[0:3], 0 offset:132
	;; [unrolled: 1-line block ×16, first 2 shown]
	v_cmp_lt_u32_e32 vcc, 15, v0
	s_waitcnt vmcnt(12) lgkmcnt(0)
	v_mul_f32_e32 v55, v51, v68
	v_fmac_f32_e32 v55, v52, v67
	s_waitcnt vmcnt(10)
	v_mul_f32_e32 v56, v53, v70
	v_add_f32_e32 v55, 0, v55
	v_fmac_f32_e32 v56, v54, v69
	v_add_f32_e32 v59, v55, v56
	ds_read2_b64 v[55:58], v50 offset0:43 offset1:44
	v_mul_f32_e32 v52, v52, v68
	v_fma_f32 v51, v51, v67, -v52
	v_mul_f32_e32 v52, v54, v70
	v_add_f32_e32 v51, 0, v51
	s_waitcnt vmcnt(8) lgkmcnt(0)
	v_mul_f32_e32 v60, v55, v72
	v_fmac_f32_e32 v60, v56, v71
	v_add_f32_e32 v59, v59, v60
	s_waitcnt vmcnt(6)
	v_mul_f32_e32 v60, v57, v74
	v_fmac_f32_e32 v60, v58, v73
	v_add_f32_e32 v63, v59, v60
	ds_read2_b64 v[59:62], v50 offset0:45 offset1:46
	v_fma_f32 v52, v53, v69, -v52
	v_add_f32_e32 v51, v51, v52
	v_mul_f32_e32 v52, v56, v72
	v_fma_f32 v52, v55, v71, -v52
	s_waitcnt vmcnt(4) lgkmcnt(0)
	v_mul_f32_e32 v64, v59, v76
	v_fmac_f32_e32 v64, v60, v75
	v_add_f32_e32 v63, v63, v64
	s_waitcnt vmcnt(2)
	v_mul_f32_e32 v64, v61, v78
	v_fmac_f32_e32 v64, v62, v77
	v_add_f32_e32 v51, v51, v52
	v_mul_f32_e32 v52, v58, v74
	v_add_f32_e32 v81, v63, v64
	ds_read_b64 v[63:64], v50 offset:376
	v_fma_f32 v52, v57, v73, -v52
	v_add_f32_e32 v51, v51, v52
	v_mul_f32_e32 v52, v60, v76
	v_fma_f32 v52, v59, v75, -v52
	v_add_f32_e32 v51, v51, v52
	v_mul_f32_e32 v52, v62, v78
	v_fma_f32 v52, v61, v77, -v52
	v_add_f32_e32 v51, v51, v52
	s_waitcnt vmcnt(0) lgkmcnt(0)
	v_mul_f32_e32 v52, v64, v80
	v_mul_f32_e32 v82, v63, v80
	v_fma_f32 v52, v63, v79, -v52
	v_fmac_f32_e32 v82, v64, v79
	v_add_f32_e32 v51, v51, v52
	v_add_f32_e32 v81, v81, v82
	v_sub_f32_e32 v51, v65, v51
	v_sub_f32_e32 v52, v66, v81
	buffer_store_dword v51, off, s[0:3], 0 offset:128
	buffer_store_dword v52, off, s[0:3], 0 offset:132
	s_and_saveexec_b64 s[4:5], vcc
	s_cbranch_execz .LBB23_127
; %bb.126:
	buffer_load_dword v51, off, s[0:3], 0 offset:120
	buffer_load_dword v52, off, s[0:3], 0 offset:124
	s_waitcnt vmcnt(0)
	ds_write_b64 v49, v[51:52]
	buffer_store_dword v50, off, s[0:3], 0 offset:120
	buffer_store_dword v50, off, s[0:3], 0 offset:124
.LBB23_127:
	s_or_b64 exec, exec, s[4:5]
	s_waitcnt lgkmcnt(0)
	; wave barrier
	buffer_load_dword v67, off, s[0:3], 0 offset:132
	buffer_load_dword v68, off, s[0:3], 0 offset:140
	;; [unrolled: 1-line block ×18, first 2 shown]
	ds_read_b128 v[51:54], v50 offset:320
	ds_read_b128 v[55:58], v50 offset:336
	;; [unrolled: 1-line block ×4, first 2 shown]
	v_cmp_lt_u32_e32 vcc, 14, v0
	s_waitcnt vmcnt(17) lgkmcnt(3)
	v_mul_f32_e32 v50, v51, v67
	v_mul_f32_e32 v67, v52, v67
	s_waitcnt vmcnt(16)
	v_mul_f32_e32 v85, v53, v68
	v_mul_f32_e32 v68, v54, v68
	s_waitcnt vmcnt(15) lgkmcnt(2)
	v_mul_f32_e32 v86, v55, v69
	v_mul_f32_e32 v69, v56, v69
	s_waitcnt vmcnt(14)
	v_mul_f32_e32 v87, v57, v70
	v_mul_f32_e32 v70, v58, v70
	s_waitcnt vmcnt(9)
	v_fma_f32 v51, v51, v75, -v67
	v_fmac_f32_e32 v50, v52, v75
	s_waitcnt vmcnt(8)
	v_fma_f32 v52, v53, v76, -v68
	v_add_f32_e32 v51, 0, v51
	v_fmac_f32_e32 v85, v54, v76
	s_waitcnt vmcnt(7)
	v_fma_f32 v53, v55, v77, -v69
	v_add_f32_e32 v50, 0, v50
	v_add_f32_e32 v51, v51, v52
	s_waitcnt lgkmcnt(1)
	v_mul_f32_e32 v88, v59, v71
	v_mul_f32_e32 v71, v60, v71
	v_fmac_f32_e32 v86, v56, v77
	s_waitcnt vmcnt(6)
	v_fma_f32 v54, v57, v78, -v70
	v_add_f32_e32 v50, v50, v85
	v_add_f32_e32 v51, v51, v53
	v_mul_f32_e32 v89, v61, v72
	v_mul_f32_e32 v72, v62, v72
	v_fmac_f32_e32 v87, v58, v78
	s_waitcnt vmcnt(5)
	v_fma_f32 v55, v59, v79, -v71
	v_add_f32_e32 v50, v50, v86
	v_add_f32_e32 v51, v51, v54
	s_waitcnt lgkmcnt(0)
	v_mul_f32_e32 v90, v63, v73
	v_mul_f32_e32 v73, v64, v73
	v_fmac_f32_e32 v88, v60, v79
	s_waitcnt vmcnt(4)
	v_fma_f32 v56, v61, v80, -v72
	v_add_f32_e32 v50, v50, v87
	v_add_f32_e32 v51, v51, v55
	v_mul_f32_e32 v91, v65, v74
	v_mul_f32_e32 v74, v66, v74
	v_fmac_f32_e32 v89, v62, v80
	s_waitcnt vmcnt(3)
	v_fma_f32 v57, v63, v81, -v73
	v_add_f32_e32 v50, v50, v88
	v_add_f32_e32 v51, v51, v56
	v_fmac_f32_e32 v90, v64, v81
	s_waitcnt vmcnt(2)
	v_fma_f32 v58, v65, v82, -v74
	v_add_f32_e32 v50, v50, v89
	v_add_f32_e32 v51, v51, v57
	v_fmac_f32_e32 v91, v66, v82
	v_add_f32_e32 v50, v50, v90
	v_add_f32_e32 v51, v51, v58
	;; [unrolled: 1-line block ×3, first 2 shown]
	s_waitcnt vmcnt(1)
	v_sub_f32_e32 v51, v83, v51
	s_waitcnt vmcnt(0)
	v_sub_f32_e32 v50, v84, v50
	buffer_store_dword v51, off, s[0:3], 0 offset:120
	buffer_store_dword v50, off, s[0:3], 0 offset:124
	s_and_saveexec_b64 s[4:5], vcc
	s_cbranch_execz .LBB23_129
; %bb.128:
	buffer_load_dword v50, off, s[0:3], 0 offset:112
	buffer_load_dword v51, off, s[0:3], 0 offset:116
	v_mov_b32_e32 v52, 0
	buffer_store_dword v52, off, s[0:3], 0 offset:112
	buffer_store_dword v52, off, s[0:3], 0 offset:116
	s_waitcnt vmcnt(2)
	ds_write_b64 v49, v[50:51]
.LBB23_129:
	s_or_b64 exec, exec, s[4:5]
	s_waitcnt lgkmcnt(0)
	; wave barrier
	buffer_load_dword v69, off, s[0:3], 0 offset:124
	buffer_load_dword v70, off, s[0:3], 0 offset:132
	;; [unrolled: 1-line block ×20, first 2 shown]
	v_mov_b32_e32 v50, 0
	ds_read2_b64 v[51:54], v50 offset0:39 offset1:40
	ds_read2_b64 v[55:58], v50 offset0:41 offset1:42
	;; [unrolled: 1-line block ×4, first 2 shown]
	ds_read_b64 v[67:68], v50 offset:376
	v_cmp_lt_u32_e32 vcc, 13, v0
	s_waitcnt vmcnt(19) lgkmcnt(4)
	v_mul_f32_e32 v89, v51, v69
	v_mul_f32_e32 v69, v52, v69
	s_waitcnt vmcnt(18)
	v_mul_f32_e32 v90, v53, v70
	v_mul_f32_e32 v70, v54, v70
	s_waitcnt vmcnt(17) lgkmcnt(3)
	v_mul_f32_e32 v91, v55, v71
	s_waitcnt vmcnt(15) lgkmcnt(2)
	v_mul_f32_e32 v93, v59, v73
	v_mul_f32_e32 v71, v56, v71
	v_mul_f32_e32 v92, v57, v72
	v_mul_f32_e32 v72, v58, v72
	s_waitcnt vmcnt(10)
	v_fma_f32 v51, v51, v78, -v69
	v_fmac_f32_e32 v89, v52, v78
	s_waitcnt vmcnt(9)
	v_fma_f32 v52, v53, v79, -v70
	v_add_f32_e32 v51, 0, v51
	v_mul_f32_e32 v73, v60, v73
	v_fmac_f32_e32 v90, v54, v79
	s_waitcnt vmcnt(6)
	v_fmac_f32_e32 v93, v60, v82
	v_fma_f32 v53, v55, v80, -v71
	v_add_f32_e32 v60, 0, v89
	v_add_f32_e32 v51, v51, v52
	v_fmac_f32_e32 v91, v56, v80
	v_fma_f32 v54, v57, v81, -v72
	v_add_f32_e32 v60, v60, v90
	v_add_f32_e32 v51, v51, v53
	v_mul_f32_e32 v94, v61, v74
	v_mul_f32_e32 v74, v62, v74
	v_fmac_f32_e32 v92, v58, v81
	v_fma_f32 v55, v59, v82, -v73
	v_add_f32_e32 v52, v60, v91
	v_add_f32_e32 v51, v51, v54
	s_waitcnt lgkmcnt(1)
	v_mul_f32_e32 v95, v63, v75
	v_mul_f32_e32 v75, v64, v75
	s_waitcnt vmcnt(5)
	v_fma_f32 v56, v61, v83, -v74
	v_add_f32_e32 v52, v52, v92
	v_add_f32_e32 v51, v51, v55
	v_mul_f32_e32 v96, v65, v76
	v_mul_f32_e32 v76, v66, v76
	v_fmac_f32_e32 v94, v62, v83
	s_waitcnt vmcnt(4)
	v_fma_f32 v57, v63, v84, -v75
	v_add_f32_e32 v52, v52, v93
	v_add_f32_e32 v51, v51, v56
	s_waitcnt lgkmcnt(0)
	v_mul_f32_e32 v97, v67, v77
	v_mul_f32_e32 v77, v68, v77
	v_fmac_f32_e32 v95, v64, v84
	s_waitcnt vmcnt(3)
	v_fma_f32 v58, v65, v85, -v76
	v_add_f32_e32 v52, v52, v94
	v_add_f32_e32 v51, v51, v57
	v_fmac_f32_e32 v96, v66, v85
	s_waitcnt vmcnt(2)
	v_fma_f32 v59, v67, v86, -v77
	v_add_f32_e32 v52, v52, v95
	v_add_f32_e32 v51, v51, v58
	v_fmac_f32_e32 v97, v68, v86
	v_add_f32_e32 v52, v52, v96
	v_add_f32_e32 v51, v51, v59
	;; [unrolled: 1-line block ×3, first 2 shown]
	s_waitcnt vmcnt(1)
	v_sub_f32_e32 v51, v87, v51
	s_waitcnt vmcnt(0)
	v_sub_f32_e32 v52, v88, v52
	buffer_store_dword v51, off, s[0:3], 0 offset:112
	buffer_store_dword v52, off, s[0:3], 0 offset:116
	s_and_saveexec_b64 s[4:5], vcc
	s_cbranch_execz .LBB23_131
; %bb.130:
	buffer_load_dword v51, off, s[0:3], 0 offset:104
	buffer_load_dword v52, off, s[0:3], 0 offset:108
	s_waitcnt vmcnt(0)
	ds_write_b64 v49, v[51:52]
	buffer_store_dword v50, off, s[0:3], 0 offset:104
	buffer_store_dword v50, off, s[0:3], 0 offset:108
.LBB23_131:
	s_or_b64 exec, exec, s[4:5]
	s_waitcnt lgkmcnt(0)
	; wave barrier
	buffer_load_dword v71, off, s[0:3], 0 offset:116
	buffer_load_dword v72, off, s[0:3], 0 offset:124
	;; [unrolled: 1-line block ×22, first 2 shown]
	ds_read_b128 v[51:54], v50 offset:304
	ds_read_b128 v[55:58], v50 offset:320
	ds_read_b128 v[59:62], v50 offset:336
	ds_read_b128 v[63:66], v50 offset:352
	ds_read_b128 v[67:70], v50 offset:368
	v_cmp_lt_u32_e32 vcc, 12, v0
	s_waitcnt vmcnt(21) lgkmcnt(4)
	v_mul_f32_e32 v50, v51, v71
	v_mul_f32_e32 v71, v52, v71
	s_waitcnt vmcnt(20)
	v_mul_f32_e32 v93, v53, v72
	v_mul_f32_e32 v72, v54, v72
	s_waitcnt vmcnt(19) lgkmcnt(3)
	v_mul_f32_e32 v94, v55, v73
	v_mul_f32_e32 v73, v56, v73
	s_waitcnt vmcnt(18)
	v_mul_f32_e32 v95, v57, v74
	v_mul_f32_e32 v74, v58, v74
	s_waitcnt vmcnt(17) lgkmcnt(2)
	v_mul_f32_e32 v96, v59, v75
	v_mul_f32_e32 v75, v60, v75
	s_waitcnt vmcnt(11)
	v_fma_f32 v51, v51, v81, -v71
	v_fmac_f32_e32 v50, v52, v81
	s_waitcnt vmcnt(10)
	v_fma_f32 v52, v53, v82, -v72
	v_add_f32_e32 v51, 0, v51
	v_fmac_f32_e32 v93, v54, v82
	s_waitcnt vmcnt(9)
	v_fma_f32 v53, v55, v83, -v73
	v_add_f32_e32 v50, 0, v50
	v_add_f32_e32 v51, v51, v52
	v_fmac_f32_e32 v94, v56, v83
	s_waitcnt vmcnt(8)
	v_fma_f32 v54, v57, v84, -v74
	v_add_f32_e32 v50, v50, v93
	v_add_f32_e32 v51, v51, v53
	v_mul_f32_e32 v97, v61, v76
	v_mul_f32_e32 v76, v62, v76
	v_fmac_f32_e32 v95, v58, v84
	s_waitcnt vmcnt(7)
	v_fma_f32 v55, v59, v85, -v75
	v_add_f32_e32 v50, v50, v94
	v_add_f32_e32 v51, v51, v54
	s_waitcnt lgkmcnt(1)
	v_mul_f32_e32 v98, v63, v77
	v_mul_f32_e32 v77, v64, v77
	v_fmac_f32_e32 v96, v60, v85
	s_waitcnt vmcnt(6)
	v_fma_f32 v56, v61, v86, -v76
	v_add_f32_e32 v50, v50, v95
	v_add_f32_e32 v51, v51, v55
	v_mul_f32_e32 v99, v65, v78
	v_mul_f32_e32 v78, v66, v78
	v_fmac_f32_e32 v97, v62, v86
	s_waitcnt vmcnt(5)
	v_fma_f32 v57, v63, v87, -v77
	v_add_f32_e32 v50, v50, v96
	v_add_f32_e32 v51, v51, v56
	s_waitcnt lgkmcnt(0)
	v_mul_f32_e32 v100, v67, v79
	v_mul_f32_e32 v79, v68, v79
	v_fmac_f32_e32 v98, v64, v87
	s_waitcnt vmcnt(4)
	v_fma_f32 v58, v65, v88, -v78
	v_add_f32_e32 v50, v50, v97
	v_add_f32_e32 v51, v51, v57
	v_mul_f32_e32 v101, v69, v80
	v_mul_f32_e32 v80, v70, v80
	v_fmac_f32_e32 v99, v66, v88
	s_waitcnt vmcnt(3)
	v_fma_f32 v59, v67, v89, -v79
	v_add_f32_e32 v50, v50, v98
	v_add_f32_e32 v51, v51, v58
	v_fmac_f32_e32 v100, v68, v89
	s_waitcnt vmcnt(2)
	v_fma_f32 v60, v69, v90, -v80
	v_add_f32_e32 v50, v50, v99
	v_add_f32_e32 v51, v51, v59
	v_fmac_f32_e32 v101, v70, v90
	v_add_f32_e32 v50, v50, v100
	v_add_f32_e32 v51, v51, v60
	v_add_f32_e32 v50, v50, v101
	s_waitcnt vmcnt(1)
	v_sub_f32_e32 v51, v91, v51
	s_waitcnt vmcnt(0)
	v_sub_f32_e32 v50, v92, v50
	buffer_store_dword v51, off, s[0:3], 0 offset:104
	buffer_store_dword v50, off, s[0:3], 0 offset:108
	s_and_saveexec_b64 s[4:5], vcc
	s_cbranch_execz .LBB23_133
; %bb.132:
	buffer_load_dword v50, off, s[0:3], 0 offset:96
	buffer_load_dword v51, off, s[0:3], 0 offset:100
	v_mov_b32_e32 v52, 0
	buffer_store_dword v52, off, s[0:3], 0 offset:96
	buffer_store_dword v52, off, s[0:3], 0 offset:100
	s_waitcnt vmcnt(2)
	ds_write_b64 v49, v[50:51]
.LBB23_133:
	s_or_b64 exec, exec, s[4:5]
	s_waitcnt lgkmcnt(0)
	; wave barrier
	buffer_load_dword v73, off, s[0:3], 0 offset:108
	buffer_load_dword v74, off, s[0:3], 0 offset:116
	;; [unrolled: 1-line block ×24, first 2 shown]
	v_mov_b32_e32 v50, 0
	ds_read2_b64 v[51:54], v50 offset0:37 offset1:38
	ds_read2_b64 v[55:58], v50 offset0:39 offset1:40
	;; [unrolled: 1-line block ×5, first 2 shown]
	ds_read_b64 v[71:72], v50 offset:376
	v_cmp_lt_u32_e32 vcc, 11, v0
	s_waitcnt vmcnt(23) lgkmcnt(5)
	v_mul_f32_e32 v97, v51, v73
	v_mul_f32_e32 v73, v52, v73
	s_waitcnt vmcnt(22)
	v_mul_f32_e32 v98, v53, v74
	v_mul_f32_e32 v74, v54, v74
	s_waitcnt vmcnt(21) lgkmcnt(4)
	v_mul_f32_e32 v99, v55, v75
	v_mul_f32_e32 v75, v56, v75
	s_waitcnt vmcnt(20)
	v_mul_f32_e32 v100, v57, v76
	s_waitcnt vmcnt(19) lgkmcnt(3)
	v_mul_f32_e32 v101, v59, v77
	v_mul_f32_e32 v76, v58, v76
	;; [unrolled: 1-line block ×3, first 2 shown]
	s_waitcnt vmcnt(18)
	v_mul_f32_e32 v102, v61, v78
	s_waitcnt vmcnt(12)
	v_fma_f32 v51, v51, v84, -v73
	v_fmac_f32_e32 v97, v52, v84
	s_waitcnt vmcnt(11)
	v_fma_f32 v52, v53, v85, -v74
	v_add_f32_e32 v51, 0, v51
	s_waitcnt vmcnt(10)
	v_fma_f32 v53, v55, v86, -v75
	v_add_f32_e32 v51, v51, v52
	v_fmac_f32_e32 v98, v54, v85
	s_waitcnt vmcnt(8)
	v_fmac_f32_e32 v101, v60, v88
	v_fma_f32 v54, v57, v87, -v76
	v_add_f32_e32 v60, 0, v97
	v_add_f32_e32 v51, v51, v53
	v_mul_f32_e32 v78, v62, v78
	v_fmac_f32_e32 v99, v56, v86
	v_fma_f32 v55, v59, v88, -v77
	v_add_f32_e32 v60, v60, v98
	v_add_f32_e32 v51, v51, v54
	s_waitcnt lgkmcnt(2)
	v_mul_f32_e32 v103, v63, v79
	v_mul_f32_e32 v79, v64, v79
	v_fmac_f32_e32 v100, v58, v87
	s_waitcnt vmcnt(7)
	v_fma_f32 v56, v61, v89, -v78
	v_add_f32_e32 v52, v60, v99
	v_add_f32_e32 v51, v51, v55
	v_mul_f32_e32 v104, v65, v80
	v_mul_f32_e32 v80, v66, v80
	s_waitcnt vmcnt(6)
	v_fma_f32 v57, v63, v90, -v79
	v_add_f32_e32 v52, v52, v100
	v_add_f32_e32 v51, v51, v56
	s_waitcnt lgkmcnt(1)
	v_mul_f32_e32 v105, v67, v81
	v_mul_f32_e32 v81, v68, v81
	v_fmac_f32_e32 v102, v62, v89
	s_waitcnt vmcnt(5)
	v_fma_f32 v58, v65, v91, -v80
	v_add_f32_e32 v52, v52, v101
	v_add_f32_e32 v51, v51, v57
	v_fmac_f32_e32 v103, v64, v90
	s_waitcnt vmcnt(4)
	v_fma_f32 v59, v67, v92, -v81
	v_add_f32_e32 v52, v52, v102
	v_add_f32_e32 v51, v51, v58
	v_mul_f32_e32 v53, v70, v82
	v_fmac_f32_e32 v104, v66, v91
	v_add_f32_e32 v52, v52, v103
	v_add_f32_e32 v51, v51, v59
	s_waitcnt vmcnt(3)
	v_fma_f32 v53, v69, v93, -v53
	v_mul_f32_e32 v106, v69, v82
	v_fmac_f32_e32 v105, v68, v92
	v_add_f32_e32 v52, v52, v104
	v_add_f32_e32 v51, v51, v53
	s_waitcnt lgkmcnt(0)
	v_mul_f32_e32 v53, v72, v83
	v_mul_f32_e32 v107, v71, v83
	v_fmac_f32_e32 v106, v70, v93
	v_add_f32_e32 v52, v52, v105
	s_waitcnt vmcnt(2)
	v_fma_f32 v53, v71, v94, -v53
	v_fmac_f32_e32 v107, v72, v94
	v_add_f32_e32 v52, v52, v106
	v_add_f32_e32 v51, v51, v53
	;; [unrolled: 1-line block ×3, first 2 shown]
	s_waitcnt vmcnt(1)
	v_sub_f32_e32 v51, v95, v51
	s_waitcnt vmcnt(0)
	v_sub_f32_e32 v52, v96, v52
	buffer_store_dword v51, off, s[0:3], 0 offset:96
	buffer_store_dword v52, off, s[0:3], 0 offset:100
	s_and_saveexec_b64 s[4:5], vcc
	s_cbranch_execz .LBB23_135
; %bb.134:
	buffer_load_dword v51, off, s[0:3], 0 offset:88
	buffer_load_dword v52, off, s[0:3], 0 offset:92
	s_waitcnt vmcnt(0)
	ds_write_b64 v49, v[51:52]
	buffer_store_dword v50, off, s[0:3], 0 offset:88
	buffer_store_dword v50, off, s[0:3], 0 offset:92
.LBB23_135:
	s_or_b64 exec, exec, s[4:5]
	s_waitcnt lgkmcnt(0)
	; wave barrier
	buffer_load_dword v75, off, s[0:3], 0 offset:100
	buffer_load_dword v76, off, s[0:3], 0 offset:108
	;; [unrolled: 1-line block ×26, first 2 shown]
	ds_read_b128 v[51:54], v50 offset:288
	ds_read_b128 v[55:58], v50 offset:304
	;; [unrolled: 1-line block ×6, first 2 shown]
	v_cmp_lt_u32_e32 vcc, 10, v0
	s_waitcnt vmcnt(25) lgkmcnt(5)
	v_mul_f32_e32 v50, v51, v75
	v_mul_f32_e32 v75, v52, v75
	s_waitcnt vmcnt(24)
	v_mul_f32_e32 v101, v53, v76
	v_mul_f32_e32 v76, v54, v76
	s_waitcnt vmcnt(23) lgkmcnt(4)
	v_mul_f32_e32 v102, v55, v77
	v_mul_f32_e32 v77, v56, v77
	s_waitcnt vmcnt(22)
	v_mul_f32_e32 v103, v57, v78
	v_mul_f32_e32 v78, v58, v78
	;; [unrolled: 6-line block ×3, first 2 shown]
	s_waitcnt vmcnt(13)
	v_fma_f32 v51, v51, v87, -v75
	v_fmac_f32_e32 v50, v52, v87
	s_waitcnt vmcnt(12)
	v_fma_f32 v52, v53, v88, -v76
	v_add_f32_e32 v51, 0, v51
	s_waitcnt vmcnt(11)
	v_fma_f32 v53, v55, v89, -v77
	v_add_f32_e32 v51, v51, v52
	v_fmac_f32_e32 v101, v54, v88
	s_waitcnt vmcnt(10)
	v_fma_f32 v54, v57, v90, -v78
	v_add_f32_e32 v51, v51, v53
	s_waitcnt vmcnt(9)
	v_fma_f32 v55, v59, v91, -v79
	v_add_f32_e32 v51, v51, v54
	s_waitcnt lgkmcnt(2)
	v_mul_f32_e32 v106, v63, v81
	v_mul_f32_e32 v81, v64, v81
	v_fmac_f32_e32 v102, v56, v89
	s_waitcnt vmcnt(8)
	v_fma_f32 v56, v61, v92, -v80
	v_add_f32_e32 v50, 0, v50
	v_add_f32_e32 v51, v51, v55
	v_mul_f32_e32 v107, v65, v82
	v_mul_f32_e32 v82, v66, v82
	s_waitcnt vmcnt(7)
	v_fma_f32 v57, v63, v93, -v81
	v_add_f32_e32 v50, v50, v101
	v_add_f32_e32 v51, v51, v56
	v_fmac_f32_e32 v103, v58, v90
	s_waitcnt vmcnt(6)
	v_fma_f32 v58, v65, v94, -v82
	v_add_f32_e32 v50, v50, v102
	v_add_f32_e32 v51, v51, v57
	s_waitcnt lgkmcnt(1)
	v_mul_f32_e32 v52, v68, v83
	v_fmac_f32_e32 v104, v60, v91
	v_add_f32_e32 v50, v50, v103
	v_add_f32_e32 v51, v51, v58
	s_waitcnt vmcnt(5)
	v_fma_f32 v52, v67, v95, -v52
	v_fmac_f32_e32 v105, v62, v92
	v_add_f32_e32 v50, v50, v104
	v_add_f32_e32 v51, v51, v52
	v_mul_f32_e32 v52, v70, v84
	v_fmac_f32_e32 v106, v64, v93
	v_add_f32_e32 v50, v50, v105
	s_waitcnt vmcnt(4)
	v_fma_f32 v52, v69, v96, -v52
	v_mul_f32_e32 v108, v67, v83
	v_fmac_f32_e32 v107, v66, v94
	v_add_f32_e32 v50, v50, v106
	v_add_f32_e32 v51, v51, v52
	s_waitcnt lgkmcnt(0)
	v_mul_f32_e32 v52, v72, v85
	v_mul_f32_e32 v109, v69, v84
	v_fmac_f32_e32 v108, v68, v95
	v_add_f32_e32 v50, v50, v107
	s_waitcnt vmcnt(3)
	v_fma_f32 v52, v71, v97, -v52
	v_mul_f32_e32 v110, v71, v85
	v_fmac_f32_e32 v109, v70, v96
	v_add_f32_e32 v50, v50, v108
	v_add_f32_e32 v51, v51, v52
	v_mul_f32_e32 v52, v74, v86
	v_mul_f32_e32 v111, v73, v86
	v_fmac_f32_e32 v110, v72, v97
	v_add_f32_e32 v50, v50, v109
	s_waitcnt vmcnt(2)
	v_fma_f32 v52, v73, v98, -v52
	v_fmac_f32_e32 v111, v74, v98
	v_add_f32_e32 v50, v50, v110
	v_add_f32_e32 v51, v51, v52
	;; [unrolled: 1-line block ×3, first 2 shown]
	s_waitcnt vmcnt(1)
	v_sub_f32_e32 v51, v99, v51
	s_waitcnt vmcnt(0)
	v_sub_f32_e32 v50, v100, v50
	buffer_store_dword v51, off, s[0:3], 0 offset:88
	buffer_store_dword v50, off, s[0:3], 0 offset:92
	s_and_saveexec_b64 s[4:5], vcc
	s_cbranch_execz .LBB23_137
; %bb.136:
	buffer_load_dword v50, off, s[0:3], 0 offset:80
	buffer_load_dword v51, off, s[0:3], 0 offset:84
	v_mov_b32_e32 v52, 0
	buffer_store_dword v52, off, s[0:3], 0 offset:80
	buffer_store_dword v52, off, s[0:3], 0 offset:84
	s_waitcnt vmcnt(2)
	ds_write_b64 v49, v[50:51]
.LBB23_137:
	s_or_b64 exec, exec, s[4:5]
	s_waitcnt lgkmcnt(0)
	; wave barrier
	buffer_load_dword v77, off, s[0:3], 0 offset:92
	buffer_load_dword v78, off, s[0:3], 0 offset:100
	;; [unrolled: 1-line block ×28, first 2 shown]
	v_mov_b32_e32 v50, 0
	ds_read2_b64 v[51:54], v50 offset0:35 offset1:36
	ds_read2_b64 v[55:58], v50 offset0:37 offset1:38
	;; [unrolled: 1-line block ×6, first 2 shown]
	ds_read_b64 v[75:76], v50 offset:376
	v_cmp_lt_u32_e32 vcc, 9, v0
	s_waitcnt vmcnt(27) lgkmcnt(6)
	v_mul_f32_e32 v105, v51, v77
	v_mul_f32_e32 v77, v52, v77
	s_waitcnt vmcnt(26)
	v_mul_f32_e32 v106, v53, v78
	v_mul_f32_e32 v78, v54, v78
	s_waitcnt vmcnt(25) lgkmcnt(5)
	v_mul_f32_e32 v107, v55, v79
	v_mul_f32_e32 v79, v56, v79
	s_waitcnt vmcnt(24)
	v_mul_f32_e32 v108, v57, v80
	v_mul_f32_e32 v80, v58, v80
	;; [unrolled: 6-line block ×3, first 2 shown]
	s_waitcnt vmcnt(21) lgkmcnt(3)
	v_mul_f32_e32 v111, v63, v83
	s_waitcnt vmcnt(14)
	v_fma_f32 v51, v51, v90, -v77
	v_fmac_f32_e32 v105, v52, v90
	s_waitcnt vmcnt(13)
	v_fma_f32 v52, v53, v91, -v78
	v_add_f32_e32 v51, 0, v51
	s_waitcnt vmcnt(12)
	v_fma_f32 v53, v55, v92, -v79
	v_add_f32_e32 v51, v51, v52
	v_fmac_f32_e32 v106, v54, v91
	s_waitcnt vmcnt(11)
	v_fma_f32 v54, v57, v93, -v80
	v_add_f32_e32 v51, v51, v53
	s_waitcnt vmcnt(10)
	v_fma_f32 v55, v59, v94, -v81
	v_add_f32_e32 v51, v51, v54
	v_fmac_f32_e32 v107, v56, v92
	s_waitcnt vmcnt(9)
	v_fma_f32 v56, v61, v95, -v82
	v_add_f32_e32 v51, v51, v55
	v_mul_f32_e32 v53, v64, v83
	v_add_f32_e32 v51, v51, v56
	s_waitcnt vmcnt(8)
	v_fma_f32 v53, v63, v96, -v53
	v_add_f32_e32 v51, v51, v53
	v_mul_f32_e32 v53, v66, v84
	v_add_f32_e32 v57, 0, v105
	s_waitcnt vmcnt(7)
	v_fma_f32 v53, v65, v97, -v53
	v_add_f32_e32 v57, v57, v106
	v_add_f32_e32 v51, v51, v53
	s_waitcnt lgkmcnt(2)
	v_mul_f32_e32 v53, v68, v85
	v_fmac_f32_e32 v108, v58, v93
	v_add_f32_e32 v52, v57, v107
	s_waitcnt vmcnt(6)
	v_fma_f32 v53, v67, v98, -v53
	v_fmac_f32_e32 v109, v60, v94
	v_add_f32_e32 v52, v52, v108
	v_add_f32_e32 v51, v51, v53
	v_mul_f32_e32 v53, v70, v86
	v_fmac_f32_e32 v110, v62, v95
	v_add_f32_e32 v52, v52, v109
	s_waitcnt vmcnt(5)
	v_fma_f32 v53, v69, v99, -v53
	v_mul_f32_e32 v112, v65, v84
	v_fmac_f32_e32 v111, v64, v96
	v_add_f32_e32 v52, v52, v110
	v_add_f32_e32 v51, v51, v53
	s_waitcnt lgkmcnt(1)
	v_mul_f32_e32 v53, v72, v87
	v_mul_f32_e32 v113, v67, v85
	v_fmac_f32_e32 v112, v66, v97
	v_add_f32_e32 v52, v52, v111
	s_waitcnt vmcnt(4)
	v_fma_f32 v53, v71, v100, -v53
	v_mul_f32_e32 v114, v69, v86
	v_fmac_f32_e32 v113, v68, v98
	v_add_f32_e32 v52, v52, v112
	v_add_f32_e32 v51, v51, v53
	v_mul_f32_e32 v53, v74, v88
	v_mul_f32_e32 v115, v71, v87
	v_fmac_f32_e32 v114, v70, v99
	v_add_f32_e32 v52, v52, v113
	s_waitcnt vmcnt(3)
	v_fma_f32 v53, v73, v101, -v53
	v_mul_f32_e32 v116, v73, v88
	v_fmac_f32_e32 v115, v72, v100
	v_add_f32_e32 v52, v52, v114
	v_add_f32_e32 v51, v51, v53
	s_waitcnt lgkmcnt(0)
	v_mul_f32_e32 v53, v76, v89
	v_mul_f32_e32 v117, v75, v89
	v_fmac_f32_e32 v116, v74, v101
	v_add_f32_e32 v52, v52, v115
	s_waitcnt vmcnt(2)
	v_fma_f32 v53, v75, v102, -v53
	v_fmac_f32_e32 v117, v76, v102
	v_add_f32_e32 v52, v52, v116
	v_add_f32_e32 v51, v51, v53
	v_add_f32_e32 v52, v52, v117
	s_waitcnt vmcnt(1)
	v_sub_f32_e32 v51, v103, v51
	s_waitcnt vmcnt(0)
	v_sub_f32_e32 v52, v104, v52
	buffer_store_dword v51, off, s[0:3], 0 offset:80
	buffer_store_dword v52, off, s[0:3], 0 offset:84
	s_and_saveexec_b64 s[4:5], vcc
	s_cbranch_execz .LBB23_139
; %bb.138:
	buffer_load_dword v51, off, s[0:3], 0 offset:72
	buffer_load_dword v52, off, s[0:3], 0 offset:76
	s_waitcnt vmcnt(0)
	ds_write_b64 v49, v[51:52]
	buffer_store_dword v50, off, s[0:3], 0 offset:72
	buffer_store_dword v50, off, s[0:3], 0 offset:76
.LBB23_139:
	s_or_b64 exec, exec, s[4:5]
	s_waitcnt lgkmcnt(0)
	; wave barrier
	buffer_load_dword v79, off, s[0:3], 0 offset:84
	buffer_load_dword v80, off, s[0:3], 0 offset:92
	;; [unrolled: 1-line block ×30, first 2 shown]
	ds_read_b128 v[51:54], v50 offset:272
	ds_read_b128 v[55:58], v50 offset:288
	;; [unrolled: 1-line block ×7, first 2 shown]
	v_cmp_lt_u32_e32 vcc, 8, v0
	s_waitcnt vmcnt(29) lgkmcnt(6)
	v_mul_f32_e32 v50, v51, v79
	v_mul_f32_e32 v79, v52, v79
	s_waitcnt vmcnt(28)
	v_mul_f32_e32 v109, v53, v80
	v_mul_f32_e32 v80, v54, v80
	s_waitcnt vmcnt(27) lgkmcnt(5)
	v_mul_f32_e32 v110, v55, v81
	v_mul_f32_e32 v81, v56, v81
	s_waitcnt vmcnt(26)
	v_mul_f32_e32 v111, v57, v82
	v_mul_f32_e32 v82, v58, v82
	s_waitcnt vmcnt(25) lgkmcnt(4)
	v_mul_f32_e32 v112, v59, v83
	v_mul_f32_e32 v83, v60, v83
	s_waitcnt vmcnt(24)
	v_mul_f32_e32 v113, v61, v84
	s_waitcnt vmcnt(23) lgkmcnt(3)
	v_mul_f32_e32 v114, v63, v85
	s_waitcnt vmcnt(22)
	v_mul_f32_e32 v115, v65, v86
	s_waitcnt vmcnt(21) lgkmcnt(2)
	v_mul_f32_e32 v116, v67, v87
	s_waitcnt vmcnt(15)
	v_fma_f32 v51, v51, v93, -v79
	v_fmac_f32_e32 v50, v52, v93
	s_waitcnt vmcnt(14)
	v_fma_f32 v52, v53, v94, -v80
	v_add_f32_e32 v51, 0, v51
	s_waitcnt vmcnt(13)
	v_fma_f32 v53, v55, v95, -v81
	v_add_f32_e32 v51, v51, v52
	v_fmac_f32_e32 v109, v54, v94
	s_waitcnt vmcnt(12)
	v_fma_f32 v54, v57, v96, -v82
	v_add_f32_e32 v51, v51, v53
	s_waitcnt vmcnt(11)
	v_fma_f32 v55, v59, v97, -v83
	v_add_f32_e32 v51, v51, v54
	v_mul_f32_e32 v52, v62, v84
	v_add_f32_e32 v51, v51, v55
	s_waitcnt vmcnt(10)
	v_fma_f32 v52, v61, v98, -v52
	v_add_f32_e32 v51, v51, v52
	v_mul_f32_e32 v52, v64, v85
	s_waitcnt vmcnt(9)
	v_fma_f32 v52, v63, v99, -v52
	v_add_f32_e32 v51, v51, v52
	v_mul_f32_e32 v52, v66, v86
	s_waitcnt vmcnt(8)
	v_fma_f32 v52, v65, v100, -v52
	v_add_f32_e32 v50, 0, v50
	v_add_f32_e32 v51, v51, v52
	v_mul_f32_e32 v52, v68, v87
	v_fmac_f32_e32 v110, v56, v95
	v_add_f32_e32 v50, v50, v109
	s_waitcnt vmcnt(7)
	v_fma_f32 v52, v67, v101, -v52
	v_fmac_f32_e32 v111, v58, v96
	v_add_f32_e32 v50, v50, v110
	v_add_f32_e32 v51, v51, v52
	v_mul_f32_e32 v52, v70, v88
	v_fmac_f32_e32 v112, v60, v97
	v_add_f32_e32 v50, v50, v111
	s_waitcnt vmcnt(6)
	v_fma_f32 v52, v69, v102, -v52
	v_fmac_f32_e32 v113, v62, v98
	v_add_f32_e32 v50, v50, v112
	v_add_f32_e32 v51, v51, v52
	s_waitcnt lgkmcnt(1)
	v_mul_f32_e32 v52, v72, v89
	v_fmac_f32_e32 v114, v64, v99
	v_add_f32_e32 v50, v50, v113
	s_waitcnt vmcnt(5)
	v_fma_f32 v52, v71, v103, -v52
	v_fmac_f32_e32 v115, v66, v100
	v_add_f32_e32 v50, v50, v114
	v_add_f32_e32 v51, v51, v52
	v_mul_f32_e32 v52, v74, v90
	v_mul_f32_e32 v117, v69, v88
	v_fmac_f32_e32 v116, v68, v101
	v_add_f32_e32 v50, v50, v115
	s_waitcnt vmcnt(4)
	v_fma_f32 v52, v73, v104, -v52
	v_mul_f32_e32 v118, v71, v89
	v_fmac_f32_e32 v117, v70, v102
	v_add_f32_e32 v50, v50, v116
	v_add_f32_e32 v51, v51, v52
	s_waitcnt lgkmcnt(0)
	v_mul_f32_e32 v52, v76, v91
	v_mul_f32_e32 v119, v73, v90
	v_fmac_f32_e32 v118, v72, v103
	v_add_f32_e32 v50, v50, v117
	s_waitcnt vmcnt(3)
	v_fma_f32 v52, v75, v105, -v52
	v_mul_f32_e32 v120, v75, v91
	v_fmac_f32_e32 v119, v74, v104
	v_add_f32_e32 v50, v50, v118
	v_add_f32_e32 v51, v51, v52
	v_mul_f32_e32 v52, v78, v92
	v_mul_f32_e32 v121, v77, v92
	v_fmac_f32_e32 v120, v76, v105
	v_add_f32_e32 v50, v50, v119
	s_waitcnt vmcnt(2)
	v_fma_f32 v52, v77, v106, -v52
	v_fmac_f32_e32 v121, v78, v106
	v_add_f32_e32 v50, v50, v120
	v_add_f32_e32 v51, v51, v52
	;; [unrolled: 1-line block ×3, first 2 shown]
	s_waitcnt vmcnt(1)
	v_sub_f32_e32 v51, v107, v51
	s_waitcnt vmcnt(0)
	v_sub_f32_e32 v50, v108, v50
	buffer_store_dword v51, off, s[0:3], 0 offset:72
	buffer_store_dword v50, off, s[0:3], 0 offset:76
	s_and_saveexec_b64 s[4:5], vcc
	s_cbranch_execz .LBB23_141
; %bb.140:
	buffer_load_dword v50, off, s[0:3], 0 offset:64
	buffer_load_dword v51, off, s[0:3], 0 offset:68
	v_mov_b32_e32 v52, 0
	buffer_store_dword v52, off, s[0:3], 0 offset:64
	buffer_store_dword v52, off, s[0:3], 0 offset:68
	s_waitcnt vmcnt(2)
	ds_write_b64 v49, v[50:51]
.LBB23_141:
	s_or_b64 exec, exec, s[4:5]
	v_mov_b32_e32 v50, 0
	s_waitcnt lgkmcnt(0)
	; wave barrier
	ds_read2_b64 v[51:54], v50 offset0:33 offset1:34
	buffer_load_dword v81, off, s[0:3], 0 offset:64
	buffer_load_dword v82, off, s[0:3], 0 offset:68
	;; [unrolled: 1-line block ×16, first 2 shown]
	v_cmp_lt_u32_e32 vcc, 7, v0
	s_waitcnt vmcnt(12) lgkmcnt(0)
	v_mul_f32_e32 v55, v51, v84
	v_fmac_f32_e32 v55, v52, v83
	s_waitcnt vmcnt(10)
	v_mul_f32_e32 v56, v53, v86
	v_add_f32_e32 v55, 0, v55
	v_fmac_f32_e32 v56, v54, v85
	v_add_f32_e32 v59, v55, v56
	ds_read2_b64 v[55:58], v50 offset0:35 offset1:36
	v_mul_f32_e32 v52, v52, v84
	v_fma_f32 v51, v51, v83, -v52
	v_mul_f32_e32 v52, v54, v86
	v_add_f32_e32 v51, 0, v51
	s_waitcnt vmcnt(8) lgkmcnt(0)
	v_mul_f32_e32 v60, v55, v88
	v_fmac_f32_e32 v60, v56, v87
	v_add_f32_e32 v59, v59, v60
	s_waitcnt vmcnt(6)
	v_mul_f32_e32 v60, v57, v90
	v_fmac_f32_e32 v60, v58, v89
	v_add_f32_e32 v63, v59, v60
	ds_read2_b64 v[59:62], v50 offset0:37 offset1:38
	v_fma_f32 v52, v53, v85, -v52
	v_add_f32_e32 v51, v51, v52
	v_mul_f32_e32 v52, v56, v88
	v_fma_f32 v52, v55, v87, -v52
	s_waitcnt vmcnt(4) lgkmcnt(0)
	v_mul_f32_e32 v64, v59, v92
	v_fmac_f32_e32 v64, v60, v91
	v_add_f32_e32 v63, v63, v64
	s_waitcnt vmcnt(2)
	v_mul_f32_e32 v64, v61, v94
	v_fmac_f32_e32 v64, v62, v93
	v_add_f32_e32 v67, v63, v64
	ds_read2_b64 v[63:66], v50 offset0:39 offset1:40
	buffer_load_dword v97, off, s[0:3], 0 offset:128
	buffer_load_dword v98, off, s[0:3], 0 offset:132
	v_add_f32_e32 v51, v51, v52
	v_mul_f32_e32 v52, v58, v90
	v_fma_f32 v52, v57, v89, -v52
	s_waitcnt vmcnt(2) lgkmcnt(0)
	v_mul_f32_e32 v68, v63, v96
	v_fmac_f32_e32 v68, v64, v95
	v_add_f32_e32 v67, v67, v68
	v_add_f32_e32 v51, v51, v52
	v_mul_f32_e32 v52, v60, v92
	v_fma_f32 v52, v59, v91, -v52
	v_add_f32_e32 v51, v51, v52
	v_mul_f32_e32 v52, v62, v94
	v_fma_f32 v52, v61, v93, -v52
	;; [unrolled: 3-line block ×3, first 2 shown]
	v_add_f32_e32 v51, v51, v52
	s_waitcnt vmcnt(0)
	v_mul_f32_e32 v68, v65, v98
	v_fmac_f32_e32 v68, v66, v97
	v_add_f32_e32 v71, v67, v68
	ds_read2_b64 v[67:70], v50 offset0:41 offset1:42
	buffer_load_dword v99, off, s[0:3], 0 offset:136
	buffer_load_dword v100, off, s[0:3], 0 offset:140
	;; [unrolled: 1-line block ×4, first 2 shown]
	v_mul_f32_e32 v52, v66, v98
	v_fma_f32 v52, v65, v97, -v52
	v_add_f32_e32 v51, v51, v52
	s_waitcnt vmcnt(2) lgkmcnt(0)
	v_mul_f32_e32 v72, v67, v100
	v_fmac_f32_e32 v72, v68, v99
	v_add_f32_e32 v71, v71, v72
	s_waitcnt vmcnt(0)
	v_mul_f32_e32 v72, v69, v102
	v_fmac_f32_e32 v72, v70, v101
	v_add_f32_e32 v75, v71, v72
	ds_read2_b64 v[71:74], v50 offset0:43 offset1:44
	buffer_load_dword v103, off, s[0:3], 0 offset:152
	buffer_load_dword v104, off, s[0:3], 0 offset:156
	;; [unrolled: 1-line block ×4, first 2 shown]
	v_mul_f32_e32 v52, v68, v100
	v_fma_f32 v52, v67, v99, -v52
	v_add_f32_e32 v51, v51, v52
	v_mul_f32_e32 v52, v70, v102
	v_fma_f32 v52, v69, v101, -v52
	v_add_f32_e32 v51, v51, v52
	s_waitcnt vmcnt(2) lgkmcnt(0)
	v_mul_f32_e32 v76, v71, v104
	v_fmac_f32_e32 v76, v72, v103
	v_add_f32_e32 v75, v75, v76
	s_waitcnt vmcnt(0)
	v_mul_f32_e32 v76, v73, v106
	v_fmac_f32_e32 v76, v74, v105
	v_add_f32_e32 v79, v75, v76
	ds_read2_b64 v[75:78], v50 offset0:45 offset1:46
	buffer_load_dword v107, off, s[0:3], 0 offset:168
	buffer_load_dword v108, off, s[0:3], 0 offset:172
	;; [unrolled: 1-line block ×4, first 2 shown]
	v_mul_f32_e32 v52, v72, v104
	v_fma_f32 v52, v71, v103, -v52
	v_add_f32_e32 v51, v51, v52
	v_mul_f32_e32 v52, v74, v106
	v_fma_f32 v52, v73, v105, -v52
	v_add_f32_e32 v51, v51, v52
	s_waitcnt vmcnt(2) lgkmcnt(0)
	v_mul_f32_e32 v80, v75, v108
	v_fmac_f32_e32 v80, v76, v107
	v_add_f32_e32 v79, v79, v80
	s_waitcnt vmcnt(0)
	v_mul_f32_e32 v80, v77, v110
	v_fmac_f32_e32 v80, v78, v109
	v_add_f32_e32 v111, v79, v80
	ds_read_b64 v[79:80], v50 offset:376
	buffer_load_dword v112, off, s[0:3], 0 offset:184
	buffer_load_dword v113, off, s[0:3], 0 offset:188
	v_mul_f32_e32 v52, v76, v108
	v_fma_f32 v52, v75, v107, -v52
	v_add_f32_e32 v51, v51, v52
	v_mul_f32_e32 v52, v78, v110
	v_fma_f32 v52, v77, v109, -v52
	v_add_f32_e32 v51, v51, v52
	s_waitcnt vmcnt(0) lgkmcnt(0)
	v_mul_f32_e32 v52, v80, v113
	v_mul_f32_e32 v114, v79, v113
	v_fma_f32 v52, v79, v112, -v52
	v_fmac_f32_e32 v114, v80, v112
	v_add_f32_e32 v51, v51, v52
	v_add_f32_e32 v111, v111, v114
	v_sub_f32_e32 v51, v81, v51
	v_sub_f32_e32 v52, v82, v111
	buffer_store_dword v51, off, s[0:3], 0 offset:64
	buffer_store_dword v52, off, s[0:3], 0 offset:68
	s_and_saveexec_b64 s[4:5], vcc
	s_cbranch_execz .LBB23_143
; %bb.142:
	buffer_load_dword v51, off, s[0:3], 0 offset:56
	buffer_load_dword v52, off, s[0:3], 0 offset:60
	s_waitcnt vmcnt(0)
	ds_write_b64 v49, v[51:52]
	buffer_store_dword v50, off, s[0:3], 0 offset:56
	buffer_store_dword v50, off, s[0:3], 0 offset:60
.LBB23_143:
	s_or_b64 exec, exec, s[4:5]
	s_waitcnt lgkmcnt(0)
	; wave barrier
	ds_read_b128 v[51:54], v50 offset:256
	ds_read_b128 v[55:58], v50 offset:272
	;; [unrolled: 1-line block ×4, first 2 shown]
	buffer_load_dword v83, off, s[0:3], 0 offset:56
	buffer_load_dword v84, off, s[0:3], 0 offset:60
	;; [unrolled: 1-line block ×18, first 2 shown]
	v_cmp_lt_u32_e32 vcc, 6, v0
	s_waitcnt vmcnt(14) lgkmcnt(3)
	v_mul_f32_e32 v67, v51, v86
	v_fmac_f32_e32 v67, v52, v85
	s_waitcnt vmcnt(12)
	v_mul_f32_e32 v68, v53, v88
	v_add_f32_e32 v67, 0, v67
	v_fmac_f32_e32 v68, v54, v87
	v_add_f32_e32 v67, v67, v68
	s_waitcnt vmcnt(10) lgkmcnt(2)
	v_mul_f32_e32 v68, v55, v90
	v_fmac_f32_e32 v68, v56, v89
	v_add_f32_e32 v67, v67, v68
	s_waitcnt vmcnt(8)
	v_mul_f32_e32 v68, v57, v92
	v_fmac_f32_e32 v68, v58, v91
	v_add_f32_e32 v67, v67, v68
	s_waitcnt vmcnt(6) lgkmcnt(1)
	v_mul_f32_e32 v68, v59, v94
	v_fmac_f32_e32 v68, v60, v93
	v_add_f32_e32 v67, v67, v68
	s_waitcnt vmcnt(4)
	v_mul_f32_e32 v68, v61, v96
	;; [unrolled: 8-line block ×3, first 2 shown]
	v_fmac_f32_e32 v68, v66, v99
	v_add_f32_e32 v71, v67, v68
	ds_read_b128 v[67:70], v50 offset:320
	buffer_load_dword v101, off, s[0:3], 0 offset:128
	buffer_load_dword v102, off, s[0:3], 0 offset:132
	;; [unrolled: 1-line block ×4, first 2 shown]
	v_mul_f32_e32 v52, v52, v86
	v_fma_f32 v51, v51, v85, -v52
	v_mul_f32_e32 v52, v54, v88
	v_add_f32_e32 v51, 0, v51
	v_fma_f32 v52, v53, v87, -v52
	v_add_f32_e32 v51, v51, v52
	v_mul_f32_e32 v52, v56, v90
	v_fma_f32 v52, v55, v89, -v52
	v_add_f32_e32 v51, v51, v52
	v_mul_f32_e32 v52, v58, v92
	;; [unrolled: 3-line block ×6, first 2 shown]
	v_fma_f32 v52, v65, v99, -v52
	v_add_f32_e32 v51, v51, v52
	s_waitcnt vmcnt(2) lgkmcnt(0)
	v_mul_f32_e32 v72, v67, v102
	v_fmac_f32_e32 v72, v68, v101
	v_add_f32_e32 v71, v71, v72
	s_waitcnt vmcnt(0)
	v_mul_f32_e32 v72, v69, v104
	v_fmac_f32_e32 v72, v70, v103
	v_add_f32_e32 v75, v71, v72
	ds_read_b128 v[71:74], v50 offset:336
	buffer_load_dword v105, off, s[0:3], 0 offset:144
	buffer_load_dword v106, off, s[0:3], 0 offset:148
	;; [unrolled: 1-line block ×4, first 2 shown]
	v_mul_f32_e32 v52, v68, v102
	v_fma_f32 v52, v67, v101, -v52
	v_add_f32_e32 v51, v51, v52
	v_mul_f32_e32 v52, v70, v104
	v_fma_f32 v52, v69, v103, -v52
	v_add_f32_e32 v51, v51, v52
	s_waitcnt vmcnt(2) lgkmcnt(0)
	v_mul_f32_e32 v76, v71, v106
	v_fmac_f32_e32 v76, v72, v105
	v_add_f32_e32 v75, v75, v76
	s_waitcnt vmcnt(0)
	v_mul_f32_e32 v76, v73, v108
	v_fmac_f32_e32 v76, v74, v107
	v_add_f32_e32 v79, v75, v76
	ds_read_b128 v[75:78], v50 offset:352
	buffer_load_dword v109, off, s[0:3], 0 offset:160
	buffer_load_dword v110, off, s[0:3], 0 offset:164
	;; [unrolled: 1-line block ×4, first 2 shown]
	v_mul_f32_e32 v52, v72, v106
	v_fma_f32 v52, v71, v105, -v52
	v_add_f32_e32 v51, v51, v52
	v_mul_f32_e32 v52, v74, v108
	v_fma_f32 v52, v73, v107, -v52
	v_add_f32_e32 v51, v51, v52
	s_waitcnt vmcnt(2) lgkmcnt(0)
	v_mul_f32_e32 v80, v75, v110
	v_fmac_f32_e32 v80, v76, v109
	v_add_f32_e32 v79, v79, v80
	s_waitcnt vmcnt(0)
	v_mul_f32_e32 v80, v77, v112
	v_fmac_f32_e32 v80, v78, v111
	v_add_f32_e32 v113, v79, v80
	ds_read_b128 v[79:82], v50 offset:368
	buffer_load_dword v50, off, s[0:3], 0 offset:176
	buffer_load_dword v114, off, s[0:3], 0 offset:180
	v_mul_f32_e32 v52, v76, v110
	v_fma_f32 v52, v75, v109, -v52
	v_add_f32_e32 v51, v51, v52
	v_mul_f32_e32 v52, v78, v112
	v_fma_f32 v52, v77, v111, -v52
	v_add_f32_e32 v51, v51, v52
	s_waitcnt vmcnt(0) lgkmcnt(0)
	v_mul_f32_e32 v115, v79, v114
	v_fmac_f32_e32 v115, v80, v50
	v_add_f32_e32 v113, v113, v115
	buffer_load_dword v115, off, s[0:3], 0 offset:184
	buffer_load_dword v116, off, s[0:3], 0 offset:188
	v_mul_f32_e32 v52, v80, v114
	v_fma_f32 v50, v79, v50, -v52
	v_add_f32_e32 v50, v51, v50
	s_waitcnt vmcnt(0)
	v_mul_f32_e32 v51, v82, v116
	v_mul_f32_e32 v117, v81, v116
	v_fma_f32 v51, v81, v115, -v51
	v_fmac_f32_e32 v117, v82, v115
	v_add_f32_e32 v50, v50, v51
	v_add_f32_e32 v113, v113, v117
	v_sub_f32_e32 v50, v83, v50
	v_sub_f32_e32 v51, v84, v113
	buffer_store_dword v50, off, s[0:3], 0 offset:56
	buffer_store_dword v51, off, s[0:3], 0 offset:60
	s_and_saveexec_b64 s[4:5], vcc
	s_cbranch_execz .LBB23_145
; %bb.144:
	buffer_load_dword v50, off, s[0:3], 0 offset:48
	buffer_load_dword v51, off, s[0:3], 0 offset:52
	v_mov_b32_e32 v52, 0
	buffer_store_dword v52, off, s[0:3], 0 offset:48
	buffer_store_dword v52, off, s[0:3], 0 offset:52
	s_waitcnt vmcnt(2)
	ds_write_b64 v49, v[50:51]
.LBB23_145:
	s_or_b64 exec, exec, s[4:5]
	v_mov_b32_e32 v50, 0
	s_waitcnt lgkmcnt(0)
	; wave barrier
	ds_read2_b64 v[51:54], v50 offset0:31 offset1:32
	buffer_load_dword v85, off, s[0:3], 0 offset:48
	buffer_load_dword v86, off, s[0:3], 0 offset:52
	;; [unrolled: 1-line block ×16, first 2 shown]
	v_cmp_lt_u32_e32 vcc, 5, v0
	s_waitcnt vmcnt(12) lgkmcnt(0)
	v_mul_f32_e32 v55, v51, v88
	v_fmac_f32_e32 v55, v52, v87
	s_waitcnt vmcnt(10)
	v_mul_f32_e32 v56, v53, v90
	v_add_f32_e32 v55, 0, v55
	v_fmac_f32_e32 v56, v54, v89
	v_add_f32_e32 v59, v55, v56
	ds_read2_b64 v[55:58], v50 offset0:33 offset1:34
	v_mul_f32_e32 v52, v52, v88
	v_fma_f32 v51, v51, v87, -v52
	v_mul_f32_e32 v52, v54, v90
	v_add_f32_e32 v51, 0, v51
	s_waitcnt vmcnt(8) lgkmcnt(0)
	v_mul_f32_e32 v60, v55, v92
	v_fmac_f32_e32 v60, v56, v91
	v_add_f32_e32 v59, v59, v60
	s_waitcnt vmcnt(6)
	v_mul_f32_e32 v60, v57, v94
	v_fmac_f32_e32 v60, v58, v93
	v_add_f32_e32 v63, v59, v60
	ds_read2_b64 v[59:62], v50 offset0:35 offset1:36
	v_fma_f32 v52, v53, v89, -v52
	v_add_f32_e32 v51, v51, v52
	v_mul_f32_e32 v52, v56, v92
	v_fma_f32 v52, v55, v91, -v52
	s_waitcnt vmcnt(4) lgkmcnt(0)
	v_mul_f32_e32 v64, v59, v96
	v_fmac_f32_e32 v64, v60, v95
	v_add_f32_e32 v63, v63, v64
	s_waitcnt vmcnt(2)
	v_mul_f32_e32 v64, v61, v98
	v_fmac_f32_e32 v64, v62, v97
	v_add_f32_e32 v67, v63, v64
	ds_read2_b64 v[63:66], v50 offset0:37 offset1:38
	buffer_load_dword v101, off, s[0:3], 0 offset:112
	buffer_load_dword v102, off, s[0:3], 0 offset:116
	v_add_f32_e32 v51, v51, v52
	v_mul_f32_e32 v52, v58, v94
	v_fma_f32 v52, v57, v93, -v52
	s_waitcnt vmcnt(2) lgkmcnt(0)
	v_mul_f32_e32 v68, v63, v100
	v_fmac_f32_e32 v68, v64, v99
	v_add_f32_e32 v67, v67, v68
	v_add_f32_e32 v51, v51, v52
	v_mul_f32_e32 v52, v60, v96
	v_fma_f32 v52, v59, v95, -v52
	v_add_f32_e32 v51, v51, v52
	v_mul_f32_e32 v52, v62, v98
	v_fma_f32 v52, v61, v97, -v52
	;; [unrolled: 3-line block ×3, first 2 shown]
	v_add_f32_e32 v51, v51, v52
	s_waitcnt vmcnt(0)
	v_mul_f32_e32 v68, v65, v102
	v_fmac_f32_e32 v68, v66, v101
	v_add_f32_e32 v71, v67, v68
	ds_read2_b64 v[67:70], v50 offset0:39 offset1:40
	buffer_load_dword v103, off, s[0:3], 0 offset:120
	buffer_load_dword v104, off, s[0:3], 0 offset:124
	buffer_load_dword v105, off, s[0:3], 0 offset:128
	buffer_load_dword v106, off, s[0:3], 0 offset:132
	v_mul_f32_e32 v52, v66, v102
	v_fma_f32 v52, v65, v101, -v52
	v_add_f32_e32 v51, v51, v52
	s_waitcnt vmcnt(2) lgkmcnt(0)
	v_mul_f32_e32 v72, v67, v104
	v_fmac_f32_e32 v72, v68, v103
	v_add_f32_e32 v71, v71, v72
	s_waitcnt vmcnt(0)
	v_mul_f32_e32 v72, v69, v106
	v_fmac_f32_e32 v72, v70, v105
	v_add_f32_e32 v75, v71, v72
	ds_read2_b64 v[71:74], v50 offset0:41 offset1:42
	buffer_load_dword v107, off, s[0:3], 0 offset:136
	buffer_load_dword v108, off, s[0:3], 0 offset:140
	buffer_load_dword v109, off, s[0:3], 0 offset:144
	buffer_load_dword v110, off, s[0:3], 0 offset:148
	v_mul_f32_e32 v52, v68, v104
	v_fma_f32 v52, v67, v103, -v52
	v_add_f32_e32 v51, v51, v52
	v_mul_f32_e32 v52, v70, v106
	v_fma_f32 v52, v69, v105, -v52
	v_add_f32_e32 v51, v51, v52
	s_waitcnt vmcnt(2) lgkmcnt(0)
	v_mul_f32_e32 v76, v71, v108
	v_fmac_f32_e32 v76, v72, v107
	v_add_f32_e32 v75, v75, v76
	s_waitcnt vmcnt(0)
	v_mul_f32_e32 v76, v73, v110
	v_fmac_f32_e32 v76, v74, v109
	v_add_f32_e32 v79, v75, v76
	ds_read2_b64 v[75:78], v50 offset0:43 offset1:44
	buffer_load_dword v111, off, s[0:3], 0 offset:152
	buffer_load_dword v112, off, s[0:3], 0 offset:156
	buffer_load_dword v113, off, s[0:3], 0 offset:160
	buffer_load_dword v114, off, s[0:3], 0 offset:164
	v_mul_f32_e32 v52, v72, v108
	v_fma_f32 v52, v71, v107, -v52
	v_add_f32_e32 v51, v51, v52
	;; [unrolled: 19-line block ×3, first 2 shown]
	v_mul_f32_e32 v52, v78, v114
	v_fma_f32 v52, v77, v113, -v52
	v_add_f32_e32 v51, v51, v52
	s_waitcnt vmcnt(2) lgkmcnt(0)
	v_mul_f32_e32 v84, v79, v116
	v_fmac_f32_e32 v84, v80, v115
	v_add_f32_e32 v83, v83, v84
	s_waitcnt vmcnt(0)
	v_mul_f32_e32 v84, v81, v118
	v_fmac_f32_e32 v84, v82, v117
	v_add_f32_e32 v119, v83, v84
	ds_read_b64 v[83:84], v50 offset:376
	buffer_load_dword v120, off, s[0:3], 0 offset:184
	buffer_load_dword v121, off, s[0:3], 0 offset:188
	v_mul_f32_e32 v52, v80, v116
	v_fma_f32 v52, v79, v115, -v52
	v_add_f32_e32 v51, v51, v52
	v_mul_f32_e32 v52, v82, v118
	v_fma_f32 v52, v81, v117, -v52
	v_add_f32_e32 v51, v51, v52
	s_waitcnt vmcnt(0) lgkmcnt(0)
	v_mul_f32_e32 v52, v84, v121
	v_mul_f32_e32 v122, v83, v121
	v_fma_f32 v52, v83, v120, -v52
	v_fmac_f32_e32 v122, v84, v120
	v_add_f32_e32 v51, v51, v52
	v_add_f32_e32 v119, v119, v122
	v_sub_f32_e32 v51, v85, v51
	v_sub_f32_e32 v52, v86, v119
	buffer_store_dword v51, off, s[0:3], 0 offset:48
	buffer_store_dword v52, off, s[0:3], 0 offset:52
	s_and_saveexec_b64 s[4:5], vcc
	s_cbranch_execz .LBB23_147
; %bb.146:
	buffer_load_dword v51, off, s[0:3], 0 offset:40
	buffer_load_dword v52, off, s[0:3], 0 offset:44
	s_waitcnt vmcnt(0)
	ds_write_b64 v49, v[51:52]
	buffer_store_dword v50, off, s[0:3], 0 offset:40
	buffer_store_dword v50, off, s[0:3], 0 offset:44
.LBB23_147:
	s_or_b64 exec, exec, s[4:5]
	s_waitcnt lgkmcnt(0)
	; wave barrier
	ds_read_b128 v[51:54], v50 offset:240
	ds_read_b128 v[55:58], v50 offset:256
	;; [unrolled: 1-line block ×4, first 2 shown]
	buffer_load_dword v87, off, s[0:3], 0 offset:40
	buffer_load_dword v88, off, s[0:3], 0 offset:44
	;; [unrolled: 1-line block ×18, first 2 shown]
	v_cmp_lt_u32_e32 vcc, 4, v0
	s_waitcnt vmcnt(14) lgkmcnt(3)
	v_mul_f32_e32 v67, v51, v90
	v_fmac_f32_e32 v67, v52, v89
	s_waitcnt vmcnt(12)
	v_mul_f32_e32 v68, v53, v92
	v_add_f32_e32 v67, 0, v67
	v_fmac_f32_e32 v68, v54, v91
	v_add_f32_e32 v67, v67, v68
	s_waitcnt vmcnt(10) lgkmcnt(2)
	v_mul_f32_e32 v68, v55, v94
	v_fmac_f32_e32 v68, v56, v93
	v_add_f32_e32 v67, v67, v68
	s_waitcnt vmcnt(8)
	v_mul_f32_e32 v68, v57, v96
	v_fmac_f32_e32 v68, v58, v95
	v_add_f32_e32 v67, v67, v68
	s_waitcnt vmcnt(6) lgkmcnt(1)
	v_mul_f32_e32 v68, v59, v98
	v_fmac_f32_e32 v68, v60, v97
	v_add_f32_e32 v67, v67, v68
	s_waitcnt vmcnt(4)
	v_mul_f32_e32 v68, v61, v100
	;; [unrolled: 8-line block ×3, first 2 shown]
	v_fmac_f32_e32 v68, v66, v103
	v_add_f32_e32 v71, v67, v68
	ds_read_b128 v[67:70], v50 offset:304
	buffer_load_dword v105, off, s[0:3], 0 offset:112
	buffer_load_dword v106, off, s[0:3], 0 offset:116
	;; [unrolled: 1-line block ×4, first 2 shown]
	v_mul_f32_e32 v52, v52, v90
	v_fma_f32 v51, v51, v89, -v52
	v_mul_f32_e32 v52, v54, v92
	v_add_f32_e32 v51, 0, v51
	v_fma_f32 v52, v53, v91, -v52
	v_add_f32_e32 v51, v51, v52
	v_mul_f32_e32 v52, v56, v94
	v_fma_f32 v52, v55, v93, -v52
	v_add_f32_e32 v51, v51, v52
	v_mul_f32_e32 v52, v58, v96
	;; [unrolled: 3-line block ×6, first 2 shown]
	v_fma_f32 v52, v65, v103, -v52
	v_add_f32_e32 v51, v51, v52
	s_waitcnt vmcnt(2) lgkmcnt(0)
	v_mul_f32_e32 v72, v67, v106
	v_fmac_f32_e32 v72, v68, v105
	v_add_f32_e32 v71, v71, v72
	s_waitcnt vmcnt(0)
	v_mul_f32_e32 v72, v69, v108
	v_fmac_f32_e32 v72, v70, v107
	v_add_f32_e32 v75, v71, v72
	ds_read_b128 v[71:74], v50 offset:320
	buffer_load_dword v109, off, s[0:3], 0 offset:128
	buffer_load_dword v110, off, s[0:3], 0 offset:132
	buffer_load_dword v111, off, s[0:3], 0 offset:136
	buffer_load_dword v112, off, s[0:3], 0 offset:140
	v_mul_f32_e32 v52, v68, v106
	v_fma_f32 v52, v67, v105, -v52
	v_add_f32_e32 v51, v51, v52
	v_mul_f32_e32 v52, v70, v108
	v_fma_f32 v52, v69, v107, -v52
	v_add_f32_e32 v51, v51, v52
	s_waitcnt vmcnt(2) lgkmcnt(0)
	v_mul_f32_e32 v76, v71, v110
	v_fmac_f32_e32 v76, v72, v109
	v_add_f32_e32 v75, v75, v76
	s_waitcnt vmcnt(0)
	v_mul_f32_e32 v76, v73, v112
	v_fmac_f32_e32 v76, v74, v111
	v_add_f32_e32 v79, v75, v76
	ds_read_b128 v[75:78], v50 offset:336
	buffer_load_dword v113, off, s[0:3], 0 offset:144
	buffer_load_dword v114, off, s[0:3], 0 offset:148
	buffer_load_dword v115, off, s[0:3], 0 offset:152
	buffer_load_dword v116, off, s[0:3], 0 offset:156
	v_mul_f32_e32 v52, v72, v110
	v_fma_f32 v52, v71, v109, -v52
	v_add_f32_e32 v51, v51, v52
	v_mul_f32_e32 v52, v74, v112
	;; [unrolled: 19-line block ×3, first 2 shown]
	v_fma_f32 v52, v77, v115, -v52
	v_add_f32_e32 v51, v51, v52
	s_waitcnt vmcnt(2) lgkmcnt(0)
	v_mul_f32_e32 v84, v79, v118
	v_fmac_f32_e32 v84, v80, v117
	v_add_f32_e32 v83, v83, v84
	s_waitcnt vmcnt(0)
	v_mul_f32_e32 v84, v81, v120
	v_fmac_f32_e32 v84, v82, v119
	v_add_f32_e32 v121, v83, v84
	ds_read_b128 v[83:86], v50 offset:368
	buffer_load_dword v50, off, s[0:3], 0 offset:176
	buffer_load_dword v122, off, s[0:3], 0 offset:180
	v_mul_f32_e32 v52, v80, v118
	v_fma_f32 v52, v79, v117, -v52
	v_add_f32_e32 v51, v51, v52
	v_mul_f32_e32 v52, v82, v120
	v_fma_f32 v52, v81, v119, -v52
	v_add_f32_e32 v51, v51, v52
	s_waitcnt vmcnt(0) lgkmcnt(0)
	v_mul_f32_e32 v123, v83, v122
	v_fmac_f32_e32 v123, v84, v50
	v_add_f32_e32 v121, v121, v123
	buffer_load_dword v123, off, s[0:3], 0 offset:184
	buffer_load_dword v124, off, s[0:3], 0 offset:188
	v_mul_f32_e32 v52, v84, v122
	v_fma_f32 v50, v83, v50, -v52
	v_add_f32_e32 v50, v51, v50
	s_waitcnt vmcnt(0)
	v_mul_f32_e32 v51, v86, v124
	v_mul_f32_e32 v125, v85, v124
	v_fma_f32 v51, v85, v123, -v51
	v_fmac_f32_e32 v125, v86, v123
	v_add_f32_e32 v50, v50, v51
	v_add_f32_e32 v121, v121, v125
	v_sub_f32_e32 v50, v87, v50
	v_sub_f32_e32 v51, v88, v121
	buffer_store_dword v50, off, s[0:3], 0 offset:40
	buffer_store_dword v51, off, s[0:3], 0 offset:44
	s_and_saveexec_b64 s[4:5], vcc
	s_cbranch_execz .LBB23_149
; %bb.148:
	buffer_load_dword v50, off, s[0:3], 0 offset:32
	buffer_load_dword v51, off, s[0:3], 0 offset:36
	v_mov_b32_e32 v52, 0
	buffer_store_dword v52, off, s[0:3], 0 offset:32
	buffer_store_dword v52, off, s[0:3], 0 offset:36
	s_waitcnt vmcnt(2)
	ds_write_b64 v49, v[50:51]
.LBB23_149:
	s_or_b64 exec, exec, s[4:5]
	s_waitcnt lgkmcnt(0)
	; wave barrier
	buffer_load_dword v89, off, s[0:3], 0 offset:44
	buffer_load_dword v90, off, s[0:3], 0 offset:52
	;; [unrolled: 1-line block ×40, first 2 shown]
	v_mov_b32_e32 v50, 0
	ds_read2_b64 v[51:54], v50 offset0:29 offset1:30
	ds_read2_b64 v[55:58], v50 offset0:31 offset1:32
	;; [unrolled: 1-line block ×9, first 2 shown]
	v_cmp_lt_u32_e32 vcc, 3, v0
	s_waitcnt vmcnt(39) lgkmcnt(8)
	v_mul_f32_e32 v87, v51, v89
	s_waitcnt vmcnt(38)
	v_mul_f32_e32 v88, v53, v90
	s_waitcnt vmcnt(37) lgkmcnt(7)
	v_mul_f32_e32 v129, v55, v91
	s_waitcnt vmcnt(36)
	v_mul_f32_e32 v130, v57, v92
	;; [unrolled: 4-line block ×7, first 2 shown]
	s_waitcnt vmcnt(25) lgkmcnt(1)
	v_mul_f32_e32 v141, v79, v103
	s_waitcnt vmcnt(24)
	v_fmac_f32_e32 v87, v52, v104
	v_mul_f32_e32 v52, v52, v89
	v_fma_f32 v51, v51, v104, -v52
	v_mul_f32_e32 v52, v54, v90
	v_add_f32_e32 v51, 0, v51
	s_waitcnt vmcnt(23)
	v_fma_f32 v52, v53, v105, -v52
	v_add_f32_e32 v51, v51, v52
	v_mul_f32_e32 v52, v56, v91
	s_waitcnt vmcnt(22)
	v_fma_f32 v52, v55, v106, -v52
	v_add_f32_e32 v51, v51, v52
	v_mul_f32_e32 v52, v58, v92
	;; [unrolled: 4-line block ×6, first 2 shown]
	s_waitcnt vmcnt(17)
	v_fma_f32 v52, v65, v111, -v52
	v_fmac_f32_e32 v88, v54, v105
	v_add_f32_e32 v87, 0, v87
	v_add_f32_e32 v51, v51, v52
	v_mul_f32_e32 v52, v68, v97
	v_fmac_f32_e32 v129, v56, v106
	v_add_f32_e32 v87, v87, v88
	s_waitcnt vmcnt(16)
	v_fma_f32 v52, v67, v112, -v52
	v_fmac_f32_e32 v130, v58, v107
	v_add_f32_e32 v87, v87, v129
	v_add_f32_e32 v51, v51, v52
	v_mul_f32_e32 v52, v70, v98
	v_fmac_f32_e32 v131, v60, v108
	v_add_f32_e32 v87, v87, v130
	;; [unrolled: 8-line block ×6, first 2 shown]
	s_waitcnt vmcnt(11)
	v_fma_f32 v52, v77, v117, -v52
	v_fmac_f32_e32 v140, v78, v117
	v_add_f32_e32 v87, v87, v139
	v_add_f32_e32 v51, v51, v52
	v_mul_f32_e32 v52, v80, v103
	s_waitcnt vmcnt(10)
	v_fmac_f32_e32 v141, v80, v118
	v_add_f32_e32 v87, v87, v140
	s_waitcnt vmcnt(9)
	v_mul_f32_e32 v88, v81, v119
	v_fma_f32 v52, v79, v118, -v52
	v_add_f32_e32 v87, v87, v141
	s_waitcnt vmcnt(8)
	v_fmac_f32_e32 v88, v82, v120
	v_add_f32_e32 v51, v51, v52
	v_mul_f32_e32 v52, v82, v119
	v_add_f32_e32 v129, v87, v88
	ds_read_b64 v[87:88], v50 offset:376
	v_fma_f32 v52, v81, v120, -v52
	v_add_f32_e32 v51, v51, v52
	s_waitcnt vmcnt(7) lgkmcnt(1)
	v_mul_f32_e32 v52, v84, v121
	v_mul_f32_e32 v130, v83, v121
	s_waitcnt vmcnt(6)
	v_fma_f32 v52, v83, v122, -v52
	v_fmac_f32_e32 v130, v84, v122
	v_add_f32_e32 v51, v51, v52
	s_waitcnt vmcnt(5)
	v_mul_f32_e32 v52, v86, v123
	v_add_f32_e32 v129, v129, v130
	v_mul_f32_e32 v130, v85, v123
	s_waitcnt vmcnt(4)
	v_fma_f32 v52, v85, v124, -v52
	v_fmac_f32_e32 v130, v86, v124
	v_add_f32_e32 v51, v51, v52
	s_waitcnt vmcnt(3) lgkmcnt(0)
	v_mul_f32_e32 v52, v88, v125
	v_add_f32_e32 v129, v129, v130
	v_mul_f32_e32 v130, v87, v125
	s_waitcnt vmcnt(2)
	v_fma_f32 v52, v87, v126, -v52
	v_fmac_f32_e32 v130, v88, v126
	v_add_f32_e32 v51, v51, v52
	v_add_f32_e32 v129, v129, v130
	s_waitcnt vmcnt(1)
	v_sub_f32_e32 v51, v127, v51
	s_waitcnt vmcnt(0)
	v_sub_f32_e32 v52, v128, v129
	buffer_store_dword v51, off, s[0:3], 0 offset:32
	buffer_store_dword v52, off, s[0:3], 0 offset:36
	s_and_saveexec_b64 s[4:5], vcc
	s_cbranch_execz .LBB23_151
; %bb.150:
	buffer_load_dword v51, off, s[0:3], 0 offset:24
	buffer_load_dword v52, off, s[0:3], 0 offset:28
	s_waitcnt vmcnt(0)
	ds_write_b64 v49, v[51:52]
	buffer_store_dword v50, off, s[0:3], 0 offset:24
	buffer_store_dword v50, off, s[0:3], 0 offset:28
.LBB23_151:
	s_or_b64 exec, exec, s[4:5]
	s_waitcnt lgkmcnt(0)
	; wave barrier
	buffer_load_dword v91, off, s[0:3], 0 offset:36
	buffer_load_dword v92, off, s[0:3], 0 offset:44
	;; [unrolled: 1-line block ×42, first 2 shown]
	ds_read_b128 v[51:54], v50 offset:224
	ds_read_b128 v[55:58], v50 offset:240
	;; [unrolled: 1-line block ×8, first 2 shown]
	v_cmp_lt_u32_e32 vcc, 2, v0
	s_waitcnt vmcnt(41) lgkmcnt(7)
	v_mul_f32_e32 v83, v51, v91
	s_waitcnt vmcnt(40)
	v_mul_f32_e32 v84, v53, v92
	s_waitcnt vmcnt(39) lgkmcnt(6)
	v_mul_f32_e32 v85, v55, v93
	s_waitcnt vmcnt(38)
	v_mul_f32_e32 v86, v57, v94
	;; [unrolled: 4-line block ×7, first 2 shown]
	s_waitcnt vmcnt(27) lgkmcnt(0)
	v_mul_f32_e32 v139, v79, v105
	s_waitcnt vmcnt(26)
	v_fmac_f32_e32 v83, v52, v106
	v_mul_f32_e32 v52, v52, v91
	v_fma_f32 v51, v51, v106, -v52
	v_mul_f32_e32 v52, v54, v92
	v_add_f32_e32 v51, 0, v51
	s_waitcnt vmcnt(25)
	v_fma_f32 v52, v53, v107, -v52
	v_add_f32_e32 v51, v51, v52
	v_mul_f32_e32 v52, v56, v93
	s_waitcnt vmcnt(24)
	v_fma_f32 v52, v55, v108, -v52
	v_add_f32_e32 v51, v51, v52
	v_mul_f32_e32 v52, v58, v94
	;; [unrolled: 4-line block ×5, first 2 shown]
	v_fmac_f32_e32 v84, v54, v107
	v_add_f32_e32 v83, 0, v83
	s_waitcnt vmcnt(20)
	v_fma_f32 v52, v63, v112, -v52
	v_fmac_f32_e32 v85, v56, v108
	v_add_f32_e32 v83, v83, v84
	v_add_f32_e32 v51, v51, v52
	v_mul_f32_e32 v52, v66, v98
	v_fmac_f32_e32 v86, v58, v109
	v_add_f32_e32 v83, v83, v85
	s_waitcnt vmcnt(19)
	v_fma_f32 v52, v65, v113, -v52
	v_fmac_f32_e32 v87, v60, v110
	v_add_f32_e32 v83, v83, v86
	v_add_f32_e32 v51, v51, v52
	v_mul_f32_e32 v52, v68, v99
	;; [unrolled: 8-line block ×5, first 2 shown]
	s_waitcnt vmcnt(15)
	v_fmac_f32_e32 v136, v74, v117
	v_add_f32_e32 v83, v83, v135
	v_fma_f32 v52, v73, v117, -v52
	s_waitcnt vmcnt(14)
	v_fmac_f32_e32 v137, v76, v118
	v_add_f32_e32 v83, v83, v136
	v_add_f32_e32 v51, v51, v52
	v_mul_f32_e32 v52, v76, v103
	s_waitcnt vmcnt(13)
	v_fmac_f32_e32 v138, v78, v119
	v_add_f32_e32 v83, v83, v137
	v_fma_f32 v52, v75, v118, -v52
	s_waitcnt vmcnt(12)
	v_fmac_f32_e32 v139, v80, v120
	v_add_f32_e32 v83, v83, v138
	v_add_f32_e32 v51, v51, v52
	v_mul_f32_e32 v52, v78, v104
	v_add_f32_e32 v87, v83, v139
	ds_read_b128 v[83:86], v50 offset:352
	v_fma_f32 v52, v77, v119, -v52
	v_add_f32_e32 v51, v51, v52
	v_mul_f32_e32 v52, v80, v105
	s_waitcnt vmcnt(11)
	v_mul_f32_e32 v88, v81, v121
	v_fma_f32 v52, v79, v120, -v52
	s_waitcnt vmcnt(10)
	v_fmac_f32_e32 v88, v82, v122
	v_add_f32_e32 v51, v51, v52
	v_mul_f32_e32 v52, v82, v121
	v_add_f32_e32 v133, v87, v88
	ds_read_b128 v[87:90], v50 offset:368
	v_fma_f32 v52, v81, v122, -v52
	v_add_f32_e32 v51, v51, v52
	s_waitcnt vmcnt(9) lgkmcnt(1)
	v_mul_f32_e32 v52, v84, v123
	v_mul_f32_e32 v50, v83, v123
	s_waitcnt vmcnt(8)
	v_fma_f32 v52, v83, v124, -v52
	v_fmac_f32_e32 v50, v84, v124
	v_add_f32_e32 v51, v51, v52
	s_waitcnt vmcnt(7)
	v_mul_f32_e32 v52, v86, v125
	v_add_f32_e32 v50, v133, v50
	v_mul_f32_e32 v133, v85, v125
	s_waitcnt vmcnt(6)
	v_fma_f32 v52, v85, v126, -v52
	v_fmac_f32_e32 v133, v86, v126
	v_add_f32_e32 v51, v51, v52
	s_waitcnt vmcnt(5) lgkmcnt(0)
	v_mul_f32_e32 v52, v88, v127
	v_add_f32_e32 v50, v50, v133
	v_mul_f32_e32 v133, v87, v127
	s_waitcnt vmcnt(4)
	v_fma_f32 v52, v87, v128, -v52
	v_fmac_f32_e32 v133, v88, v128
	v_add_f32_e32 v51, v51, v52
	s_waitcnt vmcnt(3)
	v_mul_f32_e32 v52, v90, v129
	v_add_f32_e32 v50, v50, v133
	v_mul_f32_e32 v133, v89, v129
	s_waitcnt vmcnt(2)
	v_fma_f32 v52, v89, v130, -v52
	v_fmac_f32_e32 v133, v90, v130
	v_add_f32_e32 v51, v51, v52
	v_add_f32_e32 v50, v50, v133
	s_waitcnt vmcnt(1)
	v_sub_f32_e32 v51, v131, v51
	s_waitcnt vmcnt(0)
	v_sub_f32_e32 v50, v132, v50
	buffer_store_dword v51, off, s[0:3], 0 offset:24
	buffer_store_dword v50, off, s[0:3], 0 offset:28
	s_and_saveexec_b64 s[4:5], vcc
	s_cbranch_execz .LBB23_153
; %bb.152:
	buffer_load_dword v50, off, s[0:3], 0 offset:16
	buffer_load_dword v51, off, s[0:3], 0 offset:20
	v_mov_b32_e32 v52, 0
	buffer_store_dword v52, off, s[0:3], 0 offset:16
	buffer_store_dword v52, off, s[0:3], 0 offset:20
	s_waitcnt vmcnt(2)
	ds_write_b64 v49, v[50:51]
.LBB23_153:
	s_or_b64 exec, exec, s[4:5]
	s_waitcnt lgkmcnt(0)
	; wave barrier
	buffer_load_dword v93, off, s[0:3], 0 offset:28
	buffer_load_dword v94, off, s[0:3], 0 offset:36
	;; [unrolled: 1-line block ×44, first 2 shown]
	v_mov_b32_e32 v50, 0
	ds_read2_b64 v[51:54], v50 offset0:27 offset1:28
	ds_read2_b64 v[55:58], v50 offset0:29 offset1:30
	;; [unrolled: 1-line block ×8, first 2 shown]
	v_cmp_lt_u32_e32 vcc, 1, v0
	s_waitcnt vmcnt(43) lgkmcnt(7)
	v_mul_f32_e32 v83, v51, v93
	s_waitcnt vmcnt(42)
	v_mul_f32_e32 v84, v53, v94
	s_waitcnt vmcnt(41) lgkmcnt(6)
	v_mul_f32_e32 v85, v55, v95
	s_waitcnt vmcnt(40)
	v_mul_f32_e32 v86, v57, v96
	;; [unrolled: 4-line block ×7, first 2 shown]
	s_waitcnt vmcnt(29)
	v_fmac_f32_e32 v83, v52, v107
	v_mul_f32_e32 v52, v52, v93
	v_fma_f32 v51, v51, v107, -v52
	v_mul_f32_e32 v52, v54, v94
	v_add_f32_e32 v51, 0, v51
	s_waitcnt vmcnt(28)
	v_fma_f32 v52, v53, v108, -v52
	v_add_f32_e32 v51, v51, v52
	v_mul_f32_e32 v52, v56, v95
	s_waitcnt vmcnt(27)
	v_fma_f32 v52, v55, v109, -v52
	v_add_f32_e32 v51, v51, v52
	v_mul_f32_e32 v52, v58, v96
	;; [unrolled: 4-line block ×4, first 2 shown]
	s_waitcnt vmcnt(24)
	v_fma_f32 v52, v61, v112, -v52
	v_fmac_f32_e32 v84, v54, v108
	v_add_f32_e32 v83, 0, v83
	v_add_f32_e32 v51, v51, v52
	v_mul_f32_e32 v52, v64, v99
	v_fmac_f32_e32 v85, v56, v109
	v_add_f32_e32 v83, v83, v84
	s_waitcnt vmcnt(23)
	v_fma_f32 v52, v63, v113, -v52
	v_fmac_f32_e32 v86, v58, v110
	v_add_f32_e32 v83, v83, v85
	v_add_f32_e32 v51, v51, v52
	v_mul_f32_e32 v52, v66, v100
	v_fmac_f32_e32 v87, v60, v111
	v_add_f32_e32 v83, v83, v86
	;; [unrolled: 8-line block ×4, first 2 shown]
	s_waitcnt vmcnt(20)
	v_fma_f32 v52, v69, v116, -v52
	v_fmac_f32_e32 v92, v70, v116
	v_add_f32_e32 v83, v83, v91
	v_add_f32_e32 v51, v51, v52
	v_mul_f32_e32 v52, v72, v103
	s_waitcnt vmcnt(19)
	v_fmac_f32_e32 v137, v72, v117
	v_add_f32_e32 v83, v83, v92
	v_fma_f32 v52, v71, v117, -v52
	s_waitcnt vmcnt(18)
	v_fmac_f32_e32 v138, v74, v118
	v_add_f32_e32 v83, v83, v137
	v_add_f32_e32 v51, v51, v52
	v_mul_f32_e32 v52, v74, v104
	s_waitcnt vmcnt(17)
	v_fmac_f32_e32 v139, v76, v119
	v_add_f32_e32 v83, v83, v138
	v_fma_f32 v52, v73, v118, -v52
	v_add_f32_e32 v83, v83, v139
	s_waitcnt vmcnt(16)
	v_fmac_f32_e32 v140, v78, v120
	s_waitcnt vmcnt(15) lgkmcnt(0)
	v_mul_f32_e32 v84, v79, v121
	v_add_f32_e32 v51, v51, v52
	v_mul_f32_e32 v52, v76, v105
	v_add_f32_e32 v83, v83, v140
	s_waitcnt vmcnt(14)
	v_fmac_f32_e32 v84, v80, v122
	v_fma_f32 v52, v75, v119, -v52
	v_add_f32_e32 v87, v83, v84
	ds_read2_b64 v[83:86], v50 offset0:43 offset1:44
	v_add_f32_e32 v51, v51, v52
	v_mul_f32_e32 v52, v78, v106
	v_fma_f32 v52, v77, v120, -v52
	v_add_f32_e32 v51, v51, v52
	v_mul_f32_e32 v52, v80, v121
	s_waitcnt vmcnt(13)
	v_mul_f32_e32 v88, v81, v123
	v_fma_f32 v52, v79, v122, -v52
	s_waitcnt vmcnt(12)
	v_fmac_f32_e32 v88, v82, v124
	v_add_f32_e32 v51, v51, v52
	v_mul_f32_e32 v52, v82, v123
	v_add_f32_e32 v91, v87, v88
	ds_read2_b64 v[87:90], v50 offset0:45 offset1:46
	s_waitcnt vmcnt(11) lgkmcnt(1)
	v_mul_f32_e32 v92, v83, v125
	v_fma_f32 v52, v81, v124, -v52
	s_waitcnt vmcnt(10)
	v_fmac_f32_e32 v92, v84, v126
	v_add_f32_e32 v51, v51, v52
	v_mul_f32_e32 v52, v84, v125
	v_add_f32_e32 v91, v91, v92
	s_waitcnt vmcnt(9)
	v_mul_f32_e32 v92, v85, v127
	v_fma_f32 v52, v83, v126, -v52
	s_waitcnt vmcnt(8)
	v_fmac_f32_e32 v92, v86, v128
	v_add_f32_e32 v51, v51, v52
	v_mul_f32_e32 v52, v86, v127
	v_add_f32_e32 v137, v91, v92
	ds_read_b64 v[91:92], v50 offset:376
	v_fma_f32 v52, v85, v128, -v52
	v_add_f32_e32 v51, v51, v52
	s_waitcnt vmcnt(7) lgkmcnt(1)
	v_mul_f32_e32 v52, v88, v129
	v_mul_f32_e32 v138, v87, v129
	s_waitcnt vmcnt(6)
	v_fma_f32 v52, v87, v130, -v52
	v_fmac_f32_e32 v138, v88, v130
	v_add_f32_e32 v51, v51, v52
	s_waitcnt vmcnt(5)
	v_mul_f32_e32 v52, v90, v131
	v_add_f32_e32 v137, v137, v138
	v_mul_f32_e32 v138, v89, v131
	s_waitcnt vmcnt(4)
	v_fma_f32 v52, v89, v132, -v52
	v_fmac_f32_e32 v138, v90, v132
	v_add_f32_e32 v51, v51, v52
	s_waitcnt vmcnt(3) lgkmcnt(0)
	v_mul_f32_e32 v52, v92, v133
	v_add_f32_e32 v137, v137, v138
	v_mul_f32_e32 v138, v91, v133
	s_waitcnt vmcnt(2)
	v_fma_f32 v52, v91, v134, -v52
	v_fmac_f32_e32 v138, v92, v134
	v_add_f32_e32 v51, v51, v52
	v_add_f32_e32 v137, v137, v138
	s_waitcnt vmcnt(1)
	v_sub_f32_e32 v51, v135, v51
	s_waitcnt vmcnt(0)
	v_sub_f32_e32 v52, v136, v137
	buffer_store_dword v51, off, s[0:3], 0 offset:16
	buffer_store_dword v52, off, s[0:3], 0 offset:20
	s_and_saveexec_b64 s[4:5], vcc
	s_cbranch_execz .LBB23_155
; %bb.154:
	buffer_load_dword v51, off, s[0:3], 0 offset:8
	buffer_load_dword v52, off, s[0:3], 0 offset:12
	s_waitcnt vmcnt(0)
	ds_write_b64 v49, v[51:52]
	buffer_store_dword v50, off, s[0:3], 0 offset:8
	buffer_store_dword v50, off, s[0:3], 0 offset:12
.LBB23_155:
	s_or_b64 exec, exec, s[4:5]
	s_waitcnt lgkmcnt(0)
	; wave barrier
	buffer_load_dword v95, off, s[0:3], 0 offset:20
	buffer_load_dword v96, off, s[0:3], 0 offset:28
	buffer_load_dword v97, off, s[0:3], 0 offset:36
	buffer_load_dword v98, off, s[0:3], 0 offset:44
	buffer_load_dword v99, off, s[0:3], 0 offset:52
	buffer_load_dword v100, off, s[0:3], 0 offset:60
	buffer_load_dword v101, off, s[0:3], 0 offset:68
	buffer_load_dword v102, off, s[0:3], 0 offset:76
	buffer_load_dword v103, off, s[0:3], 0 offset:84
	buffer_load_dword v104, off, s[0:3], 0 offset:92
	buffer_load_dword v105, off, s[0:3], 0 offset:100
	buffer_load_dword v106, off, s[0:3], 0 offset:108
	buffer_load_dword v107, off, s[0:3], 0 offset:116
	buffer_load_dword v108, off, s[0:3], 0 offset:16
	buffer_load_dword v109, off, s[0:3], 0 offset:24
	buffer_load_dword v110, off, s[0:3], 0 offset:32
	buffer_load_dword v111, off, s[0:3], 0 offset:40
	buffer_load_dword v112, off, s[0:3], 0 offset:48
	buffer_load_dword v113, off, s[0:3], 0 offset:56
	buffer_load_dword v114, off, s[0:3], 0 offset:64
	buffer_load_dword v115, off, s[0:3], 0 offset:72
	buffer_load_dword v116, off, s[0:3], 0 offset:80
	buffer_load_dword v117, off, s[0:3], 0 offset:88
	buffer_load_dword v118, off, s[0:3], 0 offset:96
	buffer_load_dword v119, off, s[0:3], 0 offset:104
	buffer_load_dword v120, off, s[0:3], 0 offset:112
	buffer_load_dword v121, off, s[0:3], 0 offset:124
	buffer_load_dword v122, off, s[0:3], 0 offset:120
	buffer_load_dword v123, off, s[0:3], 0 offset:132
	buffer_load_dword v124, off, s[0:3], 0 offset:128
	buffer_load_dword v125, off, s[0:3], 0 offset:140
	buffer_load_dword v126, off, s[0:3], 0 offset:136
	buffer_load_dword v127, off, s[0:3], 0 offset:148
	buffer_load_dword v128, off, s[0:3], 0 offset:144
	buffer_load_dword v129, off, s[0:3], 0 offset:156
	buffer_load_dword v130, off, s[0:3], 0 offset:152
	buffer_load_dword v131, off, s[0:3], 0 offset:164
	buffer_load_dword v132, off, s[0:3], 0 offset:160
	buffer_load_dword v133, off, s[0:3], 0 offset:172
	buffer_load_dword v134, off, s[0:3], 0 offset:168
	buffer_load_dword v135, off, s[0:3], 0 offset:180
	buffer_load_dword v136, off, s[0:3], 0 offset:176
	buffer_load_dword v137, off, s[0:3], 0 offset:188
	buffer_load_dword v138, off, s[0:3], 0 offset:184
	buffer_load_dword v139, off, s[0:3], 0 offset:8
	buffer_load_dword v140, off, s[0:3], 0 offset:12
	ds_read_b128 v[51:54], v50 offset:208
	ds_read_b128 v[55:58], v50 offset:224
	;; [unrolled: 1-line block ×8, first 2 shown]
	v_cmp_ne_u32_e32 vcc, 0, v0
	s_waitcnt vmcnt(45) lgkmcnt(7)
	v_mul_f32_e32 v83, v51, v95
	s_waitcnt vmcnt(44)
	v_mul_f32_e32 v84, v53, v96
	s_waitcnt vmcnt(43) lgkmcnt(6)
	v_mul_f32_e32 v85, v55, v97
	s_waitcnt vmcnt(42)
	v_mul_f32_e32 v86, v57, v98
	;; [unrolled: 4-line block ×6, first 2 shown]
	s_waitcnt vmcnt(33) lgkmcnt(1)
	v_mul_f32_e32 v141, v75, v107
	s_waitcnt vmcnt(32)
	v_fmac_f32_e32 v83, v52, v108
	v_mul_f32_e32 v52, v52, v95
	v_fma_f32 v51, v51, v108, -v52
	v_mul_f32_e32 v52, v54, v96
	v_add_f32_e32 v51, 0, v51
	s_waitcnt vmcnt(31)
	v_fma_f32 v52, v53, v109, -v52
	v_add_f32_e32 v51, v51, v52
	v_mul_f32_e32 v52, v56, v97
	s_waitcnt vmcnt(30)
	v_fma_f32 v52, v55, v110, -v52
	v_add_f32_e32 v51, v51, v52
	v_mul_f32_e32 v52, v58, v98
	s_waitcnt vmcnt(29)
	v_fma_f32 v52, v57, v111, -v52
	v_add_f32_e32 v51, v51, v52
	v_mul_f32_e32 v52, v60, v99
	s_waitcnt vmcnt(28)
	v_fma_f32 v52, v59, v112, -v52
	v_add_f32_e32 v51, v51, v52
	v_mul_f32_e32 v52, v62, v100
	v_fmac_f32_e32 v84, v54, v109
	v_add_f32_e32 v83, 0, v83
	s_waitcnt vmcnt(27)
	v_fma_f32 v52, v61, v113, -v52
	v_fmac_f32_e32 v85, v56, v110
	v_add_f32_e32 v83, v83, v84
	v_add_f32_e32 v51, v51, v52
	v_mul_f32_e32 v52, v64, v101
	v_fmac_f32_e32 v86, v58, v111
	v_add_f32_e32 v83, v83, v85
	s_waitcnt vmcnt(26)
	v_fma_f32 v52, v63, v114, -v52
	v_fmac_f32_e32 v87, v60, v112
	v_add_f32_e32 v83, v83, v86
	v_add_f32_e32 v51, v51, v52
	v_mul_f32_e32 v52, v66, v102
	;; [unrolled: 8-line block ×4, first 2 shown]
	s_waitcnt vmcnt(23)
	v_fmac_f32_e32 v92, v70, v117
	v_add_f32_e32 v83, v83, v91
	v_fma_f32 v52, v69, v117, -v52
	s_waitcnt vmcnt(22)
	v_fmac_f32_e32 v93, v72, v118
	v_add_f32_e32 v83, v83, v92
	v_add_f32_e32 v51, v51, v52
	v_mul_f32_e32 v52, v72, v105
	s_waitcnt vmcnt(21)
	v_fmac_f32_e32 v94, v74, v119
	v_add_f32_e32 v83, v83, v93
	v_fma_f32 v52, v71, v118, -v52
	s_waitcnt vmcnt(20)
	v_fmac_f32_e32 v141, v76, v120
	v_add_f32_e32 v83, v83, v94
	s_waitcnt vmcnt(19)
	v_mul_f32_e32 v84, v77, v121
	v_add_f32_e32 v51, v51, v52
	v_mul_f32_e32 v52, v74, v106
	v_add_f32_e32 v83, v83, v141
	s_waitcnt vmcnt(18)
	v_fmac_f32_e32 v84, v78, v122
	v_fma_f32 v52, v73, v119, -v52
	v_add_f32_e32 v83, v83, v84
	s_waitcnt vmcnt(17) lgkmcnt(0)
	v_mul_f32_e32 v84, v79, v123
	v_add_f32_e32 v51, v51, v52
	v_mul_f32_e32 v52, v76, v107
	s_waitcnt vmcnt(16)
	v_fmac_f32_e32 v84, v80, v124
	v_fma_f32 v52, v75, v120, -v52
	v_add_f32_e32 v87, v83, v84
	ds_read_b128 v[83:86], v50 offset:336
	v_add_f32_e32 v51, v51, v52
	v_mul_f32_e32 v52, v78, v121
	v_fma_f32 v52, v77, v122, -v52
	v_add_f32_e32 v51, v51, v52
	v_mul_f32_e32 v52, v80, v123
	s_waitcnt vmcnt(15)
	v_mul_f32_e32 v88, v81, v125
	v_fma_f32 v52, v79, v124, -v52
	s_waitcnt vmcnt(14)
	v_fmac_f32_e32 v88, v82, v126
	v_add_f32_e32 v51, v51, v52
	v_mul_f32_e32 v52, v82, v125
	v_add_f32_e32 v91, v87, v88
	ds_read_b128 v[87:90], v50 offset:352
	s_waitcnt vmcnt(13) lgkmcnt(1)
	v_mul_f32_e32 v92, v83, v127
	v_fma_f32 v52, v81, v126, -v52
	s_waitcnt vmcnt(12)
	v_fmac_f32_e32 v92, v84, v128
	v_add_f32_e32 v51, v51, v52
	v_mul_f32_e32 v52, v84, v127
	v_add_f32_e32 v91, v91, v92
	s_waitcnt vmcnt(11)
	v_mul_f32_e32 v92, v85, v129
	v_fma_f32 v52, v83, v128, -v52
	s_waitcnt vmcnt(10)
	v_fmac_f32_e32 v92, v86, v130
	v_add_f32_e32 v51, v51, v52
	v_mul_f32_e32 v52, v86, v129
	v_add_f32_e32 v141, v91, v92
	ds_read_b128 v[91:94], v50 offset:368
	v_fma_f32 v52, v85, v130, -v52
	v_add_f32_e32 v51, v51, v52
	s_waitcnt vmcnt(9) lgkmcnt(1)
	v_mul_f32_e32 v52, v88, v131
	v_mul_f32_e32 v142, v87, v131
	s_waitcnt vmcnt(8)
	v_fma_f32 v52, v87, v132, -v52
	v_fmac_f32_e32 v142, v88, v132
	v_add_f32_e32 v51, v51, v52
	s_waitcnt vmcnt(7)
	v_mul_f32_e32 v52, v90, v133
	v_add_f32_e32 v50, v141, v142
	v_mul_f32_e32 v141, v89, v133
	s_waitcnt vmcnt(6)
	v_fma_f32 v52, v89, v134, -v52
	v_fmac_f32_e32 v141, v90, v134
	v_add_f32_e32 v51, v51, v52
	s_waitcnt vmcnt(5) lgkmcnt(0)
	v_mul_f32_e32 v52, v92, v135
	v_add_f32_e32 v50, v50, v141
	v_mul_f32_e32 v141, v91, v135
	s_waitcnt vmcnt(4)
	v_fma_f32 v52, v91, v136, -v52
	v_fmac_f32_e32 v141, v92, v136
	v_add_f32_e32 v51, v51, v52
	s_waitcnt vmcnt(3)
	v_mul_f32_e32 v52, v94, v137
	v_add_f32_e32 v50, v50, v141
	v_mul_f32_e32 v141, v93, v137
	s_waitcnt vmcnt(2)
	v_fma_f32 v52, v93, v138, -v52
	v_fmac_f32_e32 v141, v94, v138
	v_add_f32_e32 v51, v51, v52
	v_add_f32_e32 v50, v50, v141
	s_waitcnt vmcnt(1)
	v_sub_f32_e32 v51, v139, v51
	s_waitcnt vmcnt(0)
	v_sub_f32_e32 v50, v140, v50
	buffer_store_dword v51, off, s[0:3], 0 offset:8
	buffer_store_dword v50, off, s[0:3], 0 offset:12
	s_and_saveexec_b64 s[4:5], vcc
	s_cbranch_execz .LBB23_157
; %bb.156:
	buffer_load_dword v50, off, s[0:3], 0
	buffer_load_dword v51, off, s[0:3], 0 offset:4
	v_mov_b32_e32 v0, 0
	buffer_store_dword v0, off, s[0:3], 0
	buffer_store_dword v0, off, s[0:3], 0 offset:4
	s_waitcnt vmcnt(2)
	ds_write_b64 v49, v[50:51]
.LBB23_157:
	s_or_b64 exec, exec, s[4:5]
	s_waitcnt lgkmcnt(0)
	; wave barrier
	buffer_load_dword v95, off, s[0:3], 0 offset:12
	buffer_load_dword v96, off, s[0:3], 0 offset:20
	;; [unrolled: 1-line block ×42, first 2 shown]
	buffer_load_dword v137, off, s[0:3], 0
	buffer_load_dword v138, off, s[0:3], 0 offset:4
	buffer_load_dword v139, off, s[0:3], 0 offset:180
	;; [unrolled: 1-line block ×5, first 2 shown]
	v_mov_b32_e32 v0, 0
	ds_read2_b64 v[49:52], v0 offset0:25 offset1:26
	ds_read2_b64 v[53:56], v0 offset0:27 offset1:28
	;; [unrolled: 1-line block ×7, first 2 shown]
	s_and_b64 vcc, exec, s[22:23]
	s_waitcnt vmcnt(47) lgkmcnt(6)
	v_mul_f32_e32 v77, v49, v95
	s_waitcnt vmcnt(46)
	v_mul_f32_e32 v78, v51, v96
	s_waitcnt vmcnt(45) lgkmcnt(5)
	v_mul_f32_e32 v79, v53, v97
	s_waitcnt vmcnt(44)
	v_mul_f32_e32 v80, v55, v98
	;; [unrolled: 4-line block ×6, first 2 shown]
	s_waitcnt vmcnt(35)
	v_fmac_f32_e32 v77, v50, v107
	v_mul_f32_e32 v50, v50, v95
	v_fma_f32 v49, v49, v107, -v50
	v_mul_f32_e32 v50, v52, v96
	v_add_f32_e32 v49, 0, v49
	s_waitcnt vmcnt(34)
	v_fma_f32 v50, v51, v108, -v50
	v_add_f32_e32 v49, v49, v50
	v_mul_f32_e32 v50, v54, v97
	s_waitcnt vmcnt(33)
	v_fma_f32 v50, v53, v109, -v50
	v_fmac_f32_e32 v78, v52, v108
	v_add_f32_e32 v77, 0, v77
	v_add_f32_e32 v49, v49, v50
	v_mul_f32_e32 v50, v56, v98
	v_fmac_f32_e32 v79, v54, v109
	v_add_f32_e32 v77, v77, v78
	s_waitcnt vmcnt(32)
	v_fma_f32 v50, v55, v110, -v50
	v_fmac_f32_e32 v80, v56, v110
	v_add_f32_e32 v77, v77, v79
	v_add_f32_e32 v49, v49, v50
	v_mul_f32_e32 v50, v58, v99
	s_waitcnt vmcnt(31)
	v_fmac_f32_e32 v81, v58, v111
	v_add_f32_e32 v77, v77, v80
	v_fma_f32 v50, v57, v111, -v50
	s_waitcnt vmcnt(30)
	v_fmac_f32_e32 v82, v60, v112
	v_add_f32_e32 v77, v77, v81
	v_add_f32_e32 v49, v49, v50
	v_mul_f32_e32 v50, v60, v100
	s_waitcnt vmcnt(29)
	v_fmac_f32_e32 v83, v62, v113
	v_add_f32_e32 v77, v77, v82
	v_fma_f32 v50, v59, v112, -v50
	s_waitcnt vmcnt(28)
	v_fmac_f32_e32 v84, v64, v114
	v_add_f32_e32 v77, v77, v83
	v_add_f32_e32 v49, v49, v50
	v_mul_f32_e32 v50, v62, v101
	s_waitcnt vmcnt(27)
	v_fmac_f32_e32 v85, v66, v115
	v_add_f32_e32 v77, v77, v84
	v_fma_f32 v50, v61, v113, -v50
	s_waitcnt vmcnt(26)
	v_fmac_f32_e32 v86, v68, v116
	v_add_f32_e32 v77, v77, v85
	v_add_f32_e32 v49, v49, v50
	v_mul_f32_e32 v50, v64, v102
	s_waitcnt vmcnt(25)
	v_fmac_f32_e32 v87, v70, v117
	v_add_f32_e32 v77, v77, v86
	v_fma_f32 v50, v63, v114, -v50
	s_waitcnt vmcnt(24)
	v_fmac_f32_e32 v88, v72, v118
	v_add_f32_e32 v77, v77, v87
	v_add_f32_e32 v49, v49, v50
	v_mul_f32_e32 v50, v66, v103
	v_add_f32_e32 v81, v77, v88
	ds_read2_b64 v[77:80], v0 offset0:39 offset1:40
	v_fma_f32 v50, v65, v115, -v50
	s_waitcnt vmcnt(23) lgkmcnt(1)
	v_mul_f32_e32 v82, v73, v119
	v_add_f32_e32 v49, v49, v50
	v_mul_f32_e32 v50, v68, v104
	s_waitcnt vmcnt(22)
	v_fmac_f32_e32 v82, v74, v120
	v_fma_f32 v50, v67, v116, -v50
	v_add_f32_e32 v81, v81, v82
	s_waitcnt vmcnt(21)
	v_mul_f32_e32 v82, v75, v121
	v_add_f32_e32 v49, v49, v50
	v_mul_f32_e32 v50, v70, v105
	s_waitcnt vmcnt(20)
	v_fmac_f32_e32 v82, v76, v122
	v_fma_f32 v50, v69, v117, -v50
	v_add_f32_e32 v81, v81, v82
	s_waitcnt vmcnt(19) lgkmcnt(0)
	v_mul_f32_e32 v82, v77, v123
	v_add_f32_e32 v49, v49, v50
	v_mul_f32_e32 v50, v72, v106
	s_waitcnt vmcnt(18)
	v_fmac_f32_e32 v82, v78, v124
	v_fma_f32 v50, v71, v118, -v50
	v_add_f32_e32 v85, v81, v82
	ds_read2_b64 v[81:84], v0 offset0:41 offset1:42
	v_add_f32_e32 v49, v49, v50
	v_mul_f32_e32 v50, v74, v119
	v_fma_f32 v50, v73, v120, -v50
	s_waitcnt vmcnt(17)
	v_mul_f32_e32 v86, v79, v125
	v_add_f32_e32 v49, v49, v50
	v_mul_f32_e32 v50, v76, v121
	s_waitcnt vmcnt(16)
	v_fmac_f32_e32 v86, v80, v126
	v_fma_f32 v50, v75, v122, -v50
	v_add_f32_e32 v89, v85, v86
	ds_read2_b64 v[85:88], v0 offset0:43 offset1:44
	v_add_f32_e32 v49, v49, v50
	v_mul_f32_e32 v50, v78, v123
	s_waitcnt vmcnt(15) lgkmcnt(1)
	v_mul_f32_e32 v90, v81, v127
	v_fma_f32 v50, v77, v124, -v50
	s_waitcnt vmcnt(14)
	v_fmac_f32_e32 v90, v82, v128
	v_add_f32_e32 v49, v49, v50
	v_mul_f32_e32 v50, v80, v125
	v_add_f32_e32 v89, v89, v90
	s_waitcnt vmcnt(13)
	v_mul_f32_e32 v90, v83, v129
	v_fma_f32 v50, v79, v126, -v50
	s_waitcnt vmcnt(12)
	v_fmac_f32_e32 v90, v84, v130
	v_add_f32_e32 v49, v49, v50
	v_mul_f32_e32 v50, v82, v127
	v_add_f32_e32 v89, v89, v90
	s_waitcnt vmcnt(11) lgkmcnt(0)
	v_mul_f32_e32 v90, v85, v131
	v_fma_f32 v50, v81, v128, -v50
	s_waitcnt vmcnt(10)
	v_fmac_f32_e32 v90, v86, v132
	v_add_f32_e32 v49, v49, v50
	v_mul_f32_e32 v50, v84, v129
	v_add_f32_e32 v93, v89, v90
	ds_read2_b64 v[89:92], v0 offset0:45 offset1:46
	v_fma_f32 v50, v83, v130, -v50
	v_add_f32_e32 v49, v49, v50
	v_mul_f32_e32 v50, v86, v131
	s_waitcnt vmcnt(9)
	v_mul_f32_e32 v94, v87, v133
	v_fma_f32 v50, v85, v132, -v50
	s_waitcnt vmcnt(8)
	v_fmac_f32_e32 v94, v88, v134
	v_add_f32_e32 v49, v49, v50
	v_mul_f32_e32 v50, v88, v133
	v_add_f32_e32 v143, v93, v94
	ds_read_b64 v[93:94], v0 offset:376
	v_fma_f32 v50, v87, v134, -v50
	v_add_f32_e32 v49, v49, v50
	s_waitcnt vmcnt(6) lgkmcnt(1)
	v_mul_f32_e32 v50, v90, v136
	v_mul_f32_e32 v144, v89, v136
	v_fma_f32 v50, v89, v135, -v50
	v_fmac_f32_e32 v144, v90, v135
	v_add_f32_e32 v49, v49, v50
	s_waitcnt vmcnt(3)
	v_mul_f32_e32 v50, v92, v139
	v_add_f32_e32 v143, v143, v144
	v_mul_f32_e32 v144, v91, v139
	s_waitcnt vmcnt(2)
	v_fma_f32 v50, v91, v140, -v50
	v_fmac_f32_e32 v144, v92, v140
	v_add_f32_e32 v49, v49, v50
	s_waitcnt vmcnt(0) lgkmcnt(0)
	v_mul_f32_e32 v50, v94, v142
	v_add_f32_e32 v143, v143, v144
	v_mul_f32_e32 v144, v93, v142
	v_fma_f32 v50, v93, v141, -v50
	v_fmac_f32_e32 v144, v94, v141
	v_add_f32_e32 v49, v49, v50
	v_add_f32_e32 v143, v143, v144
	v_sub_f32_e32 v49, v137, v49
	v_sub_f32_e32 v50, v138, v143
	buffer_store_dword v49, off, s[0:3], 0
	buffer_store_dword v50, off, s[0:3], 0 offset:4
	s_cbranch_vccz .LBB23_204
; %bb.158:
	global_load_dword v0, v0, s[20:21] offset:88
	s_waitcnt vmcnt(0)
	v_add_u32_e32 v0, -1, v0
	v_cmp_ne_u32_e32 vcc, 22, v0
	s_cbranch_vccz .LBB23_160
; %bb.159:
	v_lshlrev_b32_e32 v0, 3, v0
	buffer_load_dword v49, v0, s[0:3], 0 offen
	buffer_load_dword v50, v0, s[0:3], 0 offen offset:4
	buffer_load_dword v51, off, s[0:3], 0 offset:180
	buffer_load_dword v52, off, s[0:3], 0 offset:176
	s_waitcnt vmcnt(3)
	buffer_store_dword v49, off, s[0:3], 0 offset:176
	s_waitcnt vmcnt(3)
	buffer_store_dword v50, off, s[0:3], 0 offset:180
	s_waitcnt vmcnt(3)
	buffer_store_dword v51, v0, s[0:3], 0 offen offset:4
	s_waitcnt vmcnt(3)
	buffer_store_dword v52, v0, s[0:3], 0 offen
.LBB23_160:
	v_mov_b32_e32 v0, 0
	global_load_dword v49, v0, s[20:21] offset:84
	s_waitcnt vmcnt(0)
	v_add_u32_e32 v49, -1, v49
	v_cmp_eq_u32_e32 vcc, 21, v49
	s_cbranch_vccnz .LBB23_162
; %bb.161:
	v_lshlrev_b32_e32 v49, 3, v49
	buffer_load_dword v50, v49, s[0:3], 0 offen
	buffer_load_dword v51, v49, s[0:3], 0 offen offset:4
	buffer_load_dword v52, off, s[0:3], 0 offset:168
	buffer_load_dword v53, off, s[0:3], 0 offset:172
	s_waitcnt vmcnt(3)
	buffer_store_dword v50, off, s[0:3], 0 offset:168
	s_waitcnt vmcnt(3)
	buffer_store_dword v51, off, s[0:3], 0 offset:172
	s_waitcnt vmcnt(3)
	buffer_store_dword v52, v49, s[0:3], 0 offen
	s_waitcnt vmcnt(3)
	buffer_store_dword v53, v49, s[0:3], 0 offen offset:4
.LBB23_162:
	global_load_dword v0, v0, s[20:21] offset:80
	s_waitcnt vmcnt(0)
	v_add_u32_e32 v0, -1, v0
	v_cmp_eq_u32_e32 vcc, 20, v0
	s_cbranch_vccnz .LBB23_164
; %bb.163:
	v_lshlrev_b32_e32 v0, 3, v0
	buffer_load_dword v49, v0, s[0:3], 0 offen
	buffer_load_dword v50, v0, s[0:3], 0 offen offset:4
	buffer_load_dword v51, off, s[0:3], 0 offset:164
	buffer_load_dword v52, off, s[0:3], 0 offset:160
	s_waitcnt vmcnt(3)
	buffer_store_dword v49, off, s[0:3], 0 offset:160
	s_waitcnt vmcnt(3)
	buffer_store_dword v50, off, s[0:3], 0 offset:164
	s_waitcnt vmcnt(3)
	buffer_store_dword v51, v0, s[0:3], 0 offen offset:4
	s_waitcnt vmcnt(3)
	buffer_store_dword v52, v0, s[0:3], 0 offen
.LBB23_164:
	v_mov_b32_e32 v0, 0
	global_load_dword v49, v0, s[20:21] offset:76
	s_waitcnt vmcnt(0)
	v_add_u32_e32 v49, -1, v49
	v_cmp_eq_u32_e32 vcc, 19, v49
	s_cbranch_vccnz .LBB23_166
; %bb.165:
	v_lshlrev_b32_e32 v49, 3, v49
	buffer_load_dword v50, v49, s[0:3], 0 offen
	buffer_load_dword v51, v49, s[0:3], 0 offen offset:4
	buffer_load_dword v52, off, s[0:3], 0 offset:152
	buffer_load_dword v53, off, s[0:3], 0 offset:156
	s_waitcnt vmcnt(3)
	buffer_store_dword v50, off, s[0:3], 0 offset:152
	s_waitcnt vmcnt(3)
	buffer_store_dword v51, off, s[0:3], 0 offset:156
	s_waitcnt vmcnt(3)
	buffer_store_dword v52, v49, s[0:3], 0 offen
	s_waitcnt vmcnt(3)
	buffer_store_dword v53, v49, s[0:3], 0 offen offset:4
.LBB23_166:
	global_load_dword v0, v0, s[20:21] offset:72
	s_waitcnt vmcnt(0)
	v_add_u32_e32 v0, -1, v0
	v_cmp_eq_u32_e32 vcc, 18, v0
	s_cbranch_vccnz .LBB23_168
; %bb.167:
	v_lshlrev_b32_e32 v0, 3, v0
	buffer_load_dword v49, v0, s[0:3], 0 offen
	buffer_load_dword v50, v0, s[0:3], 0 offen offset:4
	buffer_load_dword v51, off, s[0:3], 0 offset:148
	buffer_load_dword v52, off, s[0:3], 0 offset:144
	s_waitcnt vmcnt(3)
	buffer_store_dword v49, off, s[0:3], 0 offset:144
	s_waitcnt vmcnt(3)
	buffer_store_dword v50, off, s[0:3], 0 offset:148
	s_waitcnt vmcnt(3)
	buffer_store_dword v51, v0, s[0:3], 0 offen offset:4
	s_waitcnt vmcnt(3)
	buffer_store_dword v52, v0, s[0:3], 0 offen
.LBB23_168:
	;; [unrolled: 41-line block ×10, first 2 shown]
	v_mov_b32_e32 v0, 0
	global_load_dword v49, v0, s[20:21] offset:4
	s_waitcnt vmcnt(0)
	v_add_u32_e32 v49, -1, v49
	v_cmp_eq_u32_e32 vcc, 1, v49
	s_cbranch_vccnz .LBB23_202
; %bb.201:
	v_lshlrev_b32_e32 v49, 3, v49
	buffer_load_dword v50, v49, s[0:3], 0 offen
	buffer_load_dword v51, v49, s[0:3], 0 offen offset:4
	buffer_load_dword v52, off, s[0:3], 0 offset:8
	buffer_load_dword v53, off, s[0:3], 0 offset:12
	s_waitcnt vmcnt(3)
	buffer_store_dword v50, off, s[0:3], 0 offset:8
	s_waitcnt vmcnt(3)
	buffer_store_dword v51, off, s[0:3], 0 offset:12
	s_waitcnt vmcnt(3)
	buffer_store_dword v52, v49, s[0:3], 0 offen
	s_waitcnt vmcnt(3)
	buffer_store_dword v53, v49, s[0:3], 0 offen offset:4
.LBB23_202:
	global_load_dword v0, v0, s[20:21]
	s_waitcnt vmcnt(0)
	v_add_u32_e32 v0, -1, v0
	v_cmp_eq_u32_e32 vcc, 0, v0
	s_cbranch_vccnz .LBB23_204
; %bb.203:
	v_lshlrev_b32_e32 v0, 3, v0
	buffer_load_dword v49, v0, s[0:3], 0 offen
	buffer_load_dword v50, v0, s[0:3], 0 offen offset:4
	buffer_load_dword v51, off, s[0:3], 0 offset:4
	buffer_load_dword v52, off, s[0:3], 0
	s_waitcnt vmcnt(3)
	buffer_store_dword v49, off, s[0:3], 0
	s_waitcnt vmcnt(3)
	buffer_store_dword v50, off, s[0:3], 0 offset:4
	s_waitcnt vmcnt(3)
	buffer_store_dword v51, v0, s[0:3], 0 offen offset:4
	s_waitcnt vmcnt(3)
	buffer_store_dword v52, v0, s[0:3], 0 offen
.LBB23_204:
	buffer_load_dword v49, off, s[0:3], 0
	buffer_load_dword v50, off, s[0:3], 0 offset:4
	buffer_load_dword v51, off, s[0:3], 0 offset:8
	s_nop 0
	buffer_load_dword v52, off, s[0:3], 0 offset:12
	buffer_load_dword v53, off, s[0:3], 0 offset:16
	;; [unrolled: 1-line block ×45, first 2 shown]
	s_waitcnt vmcnt(46)
	global_store_dwordx2 v[39:40], v[49:50], off
	s_waitcnt vmcnt(45)
	global_store_dwordx2 v[43:44], v[51:52], off
	;; [unrolled: 2-line block ×9, first 2 shown]
	global_store_dwordx2 v[15:16], v[67:68], off
	global_store_dwordx2 v[17:18], v[69:70], off
	;; [unrolled: 1-line block ×3, first 2 shown]
	s_waitcnt vmcnt(34)
	global_store_dwordx2 v[21:22], v[73:74], off
	s_waitcnt vmcnt(33)
	global_store_dwordx2 v[23:24], v[75:76], off
	;; [unrolled: 2-line block ×12, first 2 shown]
	s_endpgm
	.section	.rodata,"a",@progbits
	.p2align	6, 0x0
	.amdhsa_kernel _ZN9rocsolver6v33100L18getri_kernel_smallILi24E19rocblas_complex_numIfEPS3_EEvT1_iilPiilS6_bb
		.amdhsa_group_segment_fixed_size 388
		.amdhsa_private_segment_fixed_size 208
		.amdhsa_kernarg_size 60
		.amdhsa_user_sgpr_count 6
		.amdhsa_user_sgpr_private_segment_buffer 1
		.amdhsa_user_sgpr_dispatch_ptr 0
		.amdhsa_user_sgpr_queue_ptr 0
		.amdhsa_user_sgpr_kernarg_segment_ptr 1
		.amdhsa_user_sgpr_dispatch_id 0
		.amdhsa_user_sgpr_flat_scratch_init 0
		.amdhsa_user_sgpr_private_segment_size 0
		.amdhsa_uses_dynamic_stack 0
		.amdhsa_system_sgpr_private_segment_wavefront_offset 1
		.amdhsa_system_sgpr_workgroup_id_x 1
		.amdhsa_system_sgpr_workgroup_id_y 0
		.amdhsa_system_sgpr_workgroup_id_z 0
		.amdhsa_system_sgpr_workgroup_info 0
		.amdhsa_system_vgpr_workitem_id 0
		.amdhsa_next_free_vgpr 145
		.amdhsa_next_free_sgpr 24
		.amdhsa_reserve_vcc 1
		.amdhsa_reserve_flat_scratch 0
		.amdhsa_float_round_mode_32 0
		.amdhsa_float_round_mode_16_64 0
		.amdhsa_float_denorm_mode_32 3
		.amdhsa_float_denorm_mode_16_64 3
		.amdhsa_dx10_clamp 1
		.amdhsa_ieee_mode 1
		.amdhsa_fp16_overflow 0
		.amdhsa_exception_fp_ieee_invalid_op 0
		.amdhsa_exception_fp_denorm_src 0
		.amdhsa_exception_fp_ieee_div_zero 0
		.amdhsa_exception_fp_ieee_overflow 0
		.amdhsa_exception_fp_ieee_underflow 0
		.amdhsa_exception_fp_ieee_inexact 0
		.amdhsa_exception_int_div_zero 0
	.end_amdhsa_kernel
	.section	.text._ZN9rocsolver6v33100L18getri_kernel_smallILi24E19rocblas_complex_numIfEPS3_EEvT1_iilPiilS6_bb,"axG",@progbits,_ZN9rocsolver6v33100L18getri_kernel_smallILi24E19rocblas_complex_numIfEPS3_EEvT1_iilPiilS6_bb,comdat
.Lfunc_end23:
	.size	_ZN9rocsolver6v33100L18getri_kernel_smallILi24E19rocblas_complex_numIfEPS3_EEvT1_iilPiilS6_bb, .Lfunc_end23-_ZN9rocsolver6v33100L18getri_kernel_smallILi24E19rocblas_complex_numIfEPS3_EEvT1_iilPiilS6_bb
                                        ; -- End function
	.set _ZN9rocsolver6v33100L18getri_kernel_smallILi24E19rocblas_complex_numIfEPS3_EEvT1_iilPiilS6_bb.num_vgpr, 145
	.set _ZN9rocsolver6v33100L18getri_kernel_smallILi24E19rocblas_complex_numIfEPS3_EEvT1_iilPiilS6_bb.num_agpr, 0
	.set _ZN9rocsolver6v33100L18getri_kernel_smallILi24E19rocblas_complex_numIfEPS3_EEvT1_iilPiilS6_bb.numbered_sgpr, 24
	.set _ZN9rocsolver6v33100L18getri_kernel_smallILi24E19rocblas_complex_numIfEPS3_EEvT1_iilPiilS6_bb.num_named_barrier, 0
	.set _ZN9rocsolver6v33100L18getri_kernel_smallILi24E19rocblas_complex_numIfEPS3_EEvT1_iilPiilS6_bb.private_seg_size, 208
	.set _ZN9rocsolver6v33100L18getri_kernel_smallILi24E19rocblas_complex_numIfEPS3_EEvT1_iilPiilS6_bb.uses_vcc, 1
	.set _ZN9rocsolver6v33100L18getri_kernel_smallILi24E19rocblas_complex_numIfEPS3_EEvT1_iilPiilS6_bb.uses_flat_scratch, 0
	.set _ZN9rocsolver6v33100L18getri_kernel_smallILi24E19rocblas_complex_numIfEPS3_EEvT1_iilPiilS6_bb.has_dyn_sized_stack, 0
	.set _ZN9rocsolver6v33100L18getri_kernel_smallILi24E19rocblas_complex_numIfEPS3_EEvT1_iilPiilS6_bb.has_recursion, 0
	.set _ZN9rocsolver6v33100L18getri_kernel_smallILi24E19rocblas_complex_numIfEPS3_EEvT1_iilPiilS6_bb.has_indirect_call, 0
	.section	.AMDGPU.csdata,"",@progbits
; Kernel info:
; codeLenInByte = 28244
; TotalNumSgprs: 28
; NumVgprs: 145
; ScratchSize: 208
; MemoryBound: 0
; FloatMode: 240
; IeeeMode: 1
; LDSByteSize: 388 bytes/workgroup (compile time only)
; SGPRBlocks: 3
; VGPRBlocks: 36
; NumSGPRsForWavesPerEU: 28
; NumVGPRsForWavesPerEU: 145
; Occupancy: 1
; WaveLimiterHint : 1
; COMPUTE_PGM_RSRC2:SCRATCH_EN: 1
; COMPUTE_PGM_RSRC2:USER_SGPR: 6
; COMPUTE_PGM_RSRC2:TRAP_HANDLER: 0
; COMPUTE_PGM_RSRC2:TGID_X_EN: 1
; COMPUTE_PGM_RSRC2:TGID_Y_EN: 0
; COMPUTE_PGM_RSRC2:TGID_Z_EN: 0
; COMPUTE_PGM_RSRC2:TIDIG_COMP_CNT: 0
	.section	.text._ZN9rocsolver6v33100L18getri_kernel_smallILi25E19rocblas_complex_numIfEPS3_EEvT1_iilPiilS6_bb,"axG",@progbits,_ZN9rocsolver6v33100L18getri_kernel_smallILi25E19rocblas_complex_numIfEPS3_EEvT1_iilPiilS6_bb,comdat
	.globl	_ZN9rocsolver6v33100L18getri_kernel_smallILi25E19rocblas_complex_numIfEPS3_EEvT1_iilPiilS6_bb ; -- Begin function _ZN9rocsolver6v33100L18getri_kernel_smallILi25E19rocblas_complex_numIfEPS3_EEvT1_iilPiilS6_bb
	.p2align	8
	.type	_ZN9rocsolver6v33100L18getri_kernel_smallILi25E19rocblas_complex_numIfEPS3_EEvT1_iilPiilS6_bb,@function
_ZN9rocsolver6v33100L18getri_kernel_smallILi25E19rocblas_complex_numIfEPS3_EEvT1_iilPiilS6_bb: ; @_ZN9rocsolver6v33100L18getri_kernel_smallILi25E19rocblas_complex_numIfEPS3_EEvT1_iilPiilS6_bb
; %bb.0:
	s_add_u32 s0, s0, s7
	s_addc_u32 s1, s1, 0
	v_cmp_gt_u32_e32 vcc, 25, v0
	s_and_saveexec_b64 s[8:9], vcc
	s_cbranch_execz .LBB24_114
; %bb.1:
	s_load_dword s12, s[4:5], 0x38
	s_load_dwordx4 s[16:19], s[4:5], 0x10
	s_load_dwordx4 s[8:11], s[4:5], 0x28
                                        ; implicit-def: $sgpr20_sgpr21
	s_waitcnt lgkmcnt(0)
	s_bitcmp1_b32 s12, 8
	s_cselect_b64 s[22:23], -1, 0
	s_ashr_i32 s7, s6, 31
	s_bfe_u32 s12, s12, 0x10008
	s_cmp_eq_u32 s12, 0
	s_cbranch_scc1 .LBB24_3
; %bb.2:
	s_load_dword s12, s[4:5], 0x20
	s_mul_i32 s13, s8, s7
	s_mul_hi_u32 s14, s8, s6
	s_mul_i32 s9, s9, s6
	s_add_i32 s14, s14, s13
	s_add_i32 s9, s14, s9
	s_mul_i32 s8, s8, s6
	s_waitcnt lgkmcnt(0)
	s_ashr_i32 s13, s12, 31
	s_lshl_b64 s[8:9], s[8:9], 2
	s_add_u32 s14, s18, s8
	s_addc_u32 s15, s19, s9
	s_lshl_b64 s[8:9], s[12:13], 2
	s_add_u32 s20, s14, s8
	s_addc_u32 s21, s15, s9
.LBB24_3:
	s_load_dwordx4 s[12:15], s[4:5], 0x0
	s_load_dword s8, s[4:5], 0x38
	s_mul_i32 s9, s16, s7
	s_mul_hi_u32 s18, s16, s6
	s_add_i32 s9, s18, s9
	s_waitcnt lgkmcnt(0)
	s_ashr_i32 s5, s14, 31
	s_mov_b32 s4, s14
	s_mul_i32 s14, s17, s6
	s_add_i32 s17, s9, s14
	s_mul_i32 s16, s16, s6
	s_lshl_b64 s[16:17], s[16:17], 3
	s_add_u32 s9, s12, s16
	s_addc_u32 s12, s13, s17
	s_lshl_b64 s[4:5], s[4:5], 3
	s_add_u32 s4, s9, s4
	s_addc_u32 s5, s12, s5
	s_add_i32 s9, s15, s15
	v_add_u32_e32 v3, s9, v0
	v_ashrrev_i32_e32 v4, 31, v3
	v_lshlrev_b64 v[1:2], 3, v[3:4]
	v_add_u32_e32 v5, s15, v3
	v_mov_b32_e32 v4, s5
	v_add_co_u32_e32 v1, vcc, s4, v1
	v_ashrrev_i32_e32 v6, 31, v5
	v_addc_co_u32_e32 v2, vcc, v4, v2, vcc
	v_lshlrev_b64 v[3:4], 3, v[5:6]
	v_add_u32_e32 v7, s15, v5
	v_mov_b32_e32 v6, s5
	v_add_co_u32_e32 v3, vcc, s4, v3
	v_ashrrev_i32_e32 v8, 31, v7
	v_addc_co_u32_e32 v4, vcc, v6, v4, vcc
	;; [unrolled: 6-line block ×8, first 2 shown]
	v_lshlrev_b64 v[17:18], 3, v[19:20]
	v_mov_b32_e32 v21, s5
	v_add_co_u32_e32 v17, vcc, s4, v17
	v_addc_co_u32_e32 v18, vcc, v21, v18, vcc
	v_add_u32_e32 v21, s15, v19
	v_ashrrev_i32_e32 v22, 31, v21
	v_lshlrev_b64 v[19:20], 3, v[21:22]
	v_mov_b32_e32 v23, s5
	v_add_co_u32_e32 v19, vcc, s4, v19
	v_addc_co_u32_e32 v20, vcc, v23, v20, vcc
	v_add_u32_e32 v23, s15, v21
	v_ashrrev_i32_e32 v24, 31, v23
	;; [unrolled: 6-line block ×11, first 2 shown]
	v_lshlrev_b64 v[39:40], 3, v[41:42]
	v_mov_b32_e32 v43, s5
	v_add_co_u32_e32 v39, vcc, s4, v39
	v_addc_co_u32_e32 v40, vcc, v43, v40, vcc
	v_lshlrev_b32_e32 v53, 3, v0
	v_add_u32_e32 v47, s15, v41
	v_mov_b32_e32 v42, s5
	v_add_co_u32_e32 v41, vcc, s4, v53
	s_ashr_i32 s13, s15, 31
	s_mov_b32 s12, s15
	v_addc_co_u32_e32 v42, vcc, 0, v42, vcc
	s_lshl_b64 s[12:13], s[12:13], 3
	v_mov_b32_e32 v43, s13
	v_add_co_u32_e32 v45, vcc, s12, v41
	v_ashrrev_i32_e32 v48, 31, v47
	v_addc_co_u32_e32 v46, vcc, v42, v43, vcc
	v_lshlrev_b64 v[43:44], 3, v[47:48]
	v_mov_b32_e32 v49, s5
	v_add_co_u32_e32 v43, vcc, s4, v43
	v_addc_co_u32_e32 v44, vcc, v49, v44, vcc
	v_add_u32_e32 v49, s15, v47
	v_ashrrev_i32_e32 v50, 31, v49
	v_lshlrev_b64 v[47:48], 3, v[49:50]
	v_mov_b32_e32 v84, s5
	v_add_co_u32_e32 v47, vcc, s4, v47
	global_load_dwordx2 v[51:52], v53, s[4:5]
	global_load_dwordx2 v[54:55], v[45:46], off
	global_load_dwordx2 v[56:57], v[1:2], off
	;; [unrolled: 1-line block ×15, first 2 shown]
	v_addc_co_u32_e32 v48, vcc, v84, v48, vcc
	global_load_dwordx2 v[84:85], v[29:30], off
	global_load_dwordx2 v[86:87], v[31:32], off
	;; [unrolled: 1-line block ×8, first 2 shown]
	v_add_u32_e32 v49, s15, v49
	v_ashrrev_i32_e32 v50, 31, v49
	v_lshlrev_b64 v[49:50], 3, v[49:50]
	v_mov_b32_e32 v100, s5
	v_add_co_u32_e32 v49, vcc, s4, v49
	v_addc_co_u32_e32 v50, vcc, v100, v50, vcc
	global_load_dwordx2 v[100:101], v[49:50], off
	s_bitcmp0_b32 s8, 0
	s_mov_b64 s[8:9], -1
	s_waitcnt vmcnt(24)
	buffer_store_dword v52, off, s[0:3], 0 offset:4
	buffer_store_dword v51, off, s[0:3], 0
	s_waitcnt vmcnt(25)
	buffer_store_dword v55, off, s[0:3], 0 offset:12
	buffer_store_dword v54, off, s[0:3], 0 offset:8
	s_waitcnt vmcnt(26)
	buffer_store_dword v57, off, s[0:3], 0 offset:20
	buffer_store_dword v56, off, s[0:3], 0 offset:16
	;; [unrolled: 3-line block ×24, first 2 shown]
	s_cbranch_scc1 .LBB24_112
; %bb.4:
	v_cmp_eq_u32_e64 s[4:5], 0, v0
	s_and_saveexec_b64 s[8:9], s[4:5]
; %bb.5:
	v_mov_b32_e32 v51, 0
	ds_write_b32 v51, v51 offset:200
; %bb.6:
	s_or_b64 exec, exec, s[8:9]
	v_mov_b32_e32 v51, 0
	v_lshl_add_u32 v55, v0, 3, v51
	s_waitcnt lgkmcnt(0)
	; wave barrier
	buffer_load_dword v51, v55, s[0:3], 0 offen
	buffer_load_dword v52, v55, s[0:3], 0 offen offset:4
	s_waitcnt vmcnt(1)
	v_cmp_eq_f32_e32 vcc, 0, v51
	s_waitcnt vmcnt(0)
	v_cmp_eq_f32_e64 s[8:9], 0, v52
	s_and_b64 s[8:9], vcc, s[8:9]
	s_and_saveexec_b64 s[12:13], s[8:9]
	s_cbranch_execz .LBB24_10
; %bb.7:
	v_mov_b32_e32 v51, 0
	ds_read_b32 v54, v51 offset:200
	v_add_u32_e32 v52, 1, v0
	s_waitcnt lgkmcnt(0)
	v_readfirstlane_b32 s8, v54
	s_cmp_eq_u32 s8, 0
	s_cselect_b64 s[14:15], -1, 0
	v_cmp_gt_i32_e32 vcc, s8, v52
	s_or_b64 s[14:15], s[14:15], vcc
	s_and_b64 exec, exec, s[14:15]
	s_cbranch_execz .LBB24_10
; %bb.8:
	s_mov_b64 s[14:15], 0
	v_mov_b32_e32 v54, s8
.LBB24_9:                               ; =>This Inner Loop Header: Depth=1
	ds_cmpst_rtn_b32 v54, v51, v54, v52 offset:200
	s_waitcnt lgkmcnt(0)
	v_cmp_ne_u32_e32 vcc, 0, v54
	v_cmp_le_i32_e64 s[8:9], v54, v52
	s_and_b64 s[8:9], vcc, s[8:9]
	s_and_b64 s[8:9], exec, s[8:9]
	s_or_b64 s[14:15], s[8:9], s[14:15]
	s_andn2_b64 exec, exec, s[14:15]
	s_cbranch_execnz .LBB24_9
.LBB24_10:
	s_or_b64 exec, exec, s[12:13]
	v_mov_b32_e32 v52, 0
	; wave barrier
	ds_read_b32 v51, v52 offset:200
	s_and_saveexec_b64 s[8:9], s[4:5]
	s_cbranch_execz .LBB24_12
; %bb.11:
	s_lshl_b64 s[12:13], s[6:7], 2
	s_add_u32 s12, s10, s12
	s_addc_u32 s13, s11, s13
	s_waitcnt lgkmcnt(0)
	global_store_dword v52, v51, s[12:13]
.LBB24_12:
	s_or_b64 exec, exec, s[8:9]
	s_waitcnt lgkmcnt(0)
	v_cmp_ne_u32_e32 vcc, 0, v51
	s_mov_b64 s[8:9], 0
	s_cbranch_vccnz .LBB24_112
; %bb.13:
	buffer_load_dword v52, v55, s[0:3], 0 offen
	buffer_load_dword v54, v55, s[0:3], 0 offen offset:4
                                        ; implicit-def: $vgpr57
                                        ; implicit-def: $vgpr56
                                        ; implicit-def: $vgpr51
	s_waitcnt vmcnt(0)
	v_cmp_ngt_f32_e64 s[8:9], |v52|, |v54|
	s_and_saveexec_b64 s[12:13], s[8:9]
	s_xor_b64 s[8:9], exec, s[12:13]
	s_cbranch_execz .LBB24_15
; %bb.14:
	v_div_scale_f32 v51, s[12:13], v54, v54, v52
	v_div_scale_f32 v56, vcc, v52, v54, v52
	v_rcp_f32_e32 v57, v51
	v_fma_f32 v58, -v51, v57, 1.0
	v_fmac_f32_e32 v57, v58, v57
	v_mul_f32_e32 v58, v56, v57
	v_fma_f32 v59, -v51, v58, v56
	v_fmac_f32_e32 v58, v59, v57
	v_fma_f32 v51, -v51, v58, v56
	v_div_fmas_f32 v51, v51, v57, v58
	v_div_fixup_f32 v51, v51, v54, v52
	v_fmac_f32_e32 v54, v52, v51
	v_div_scale_f32 v52, s[12:13], v54, v54, 1.0
	v_div_scale_f32 v56, vcc, 1.0, v54, 1.0
	v_rcp_f32_e32 v57, v52
	v_fma_f32 v58, -v52, v57, 1.0
	v_fmac_f32_e32 v57, v58, v57
	v_mul_f32_e32 v58, v56, v57
	v_fma_f32 v59, -v52, v58, v56
	v_fmac_f32_e32 v58, v59, v57
	v_fma_f32 v52, -v52, v58, v56
	v_div_fmas_f32 v52, v52, v57, v58
	v_div_fixup_f32 v52, v52, v54, 1.0
	v_mul_f32_e32 v57, v51, v52
	v_xor_b32_e32 v56, 0x80000000, v52
	v_xor_b32_e32 v51, 0x80000000, v57
                                        ; implicit-def: $vgpr52
                                        ; implicit-def: $vgpr54
.LBB24_15:
	s_andn2_saveexec_b64 s[8:9], s[8:9]
	s_cbranch_execz .LBB24_17
; %bb.16:
	v_div_scale_f32 v51, s[12:13], v52, v52, v54
	v_div_scale_f32 v56, vcc, v54, v52, v54
	v_rcp_f32_e32 v57, v51
	v_fma_f32 v58, -v51, v57, 1.0
	v_fmac_f32_e32 v57, v58, v57
	v_mul_f32_e32 v58, v56, v57
	v_fma_f32 v59, -v51, v58, v56
	v_fmac_f32_e32 v58, v59, v57
	v_fma_f32 v51, -v51, v58, v56
	v_div_fmas_f32 v51, v51, v57, v58
	v_div_fixup_f32 v56, v51, v52, v54
	v_fmac_f32_e32 v52, v54, v56
	v_div_scale_f32 v51, s[12:13], v52, v52, 1.0
	v_div_scale_f32 v54, vcc, 1.0, v52, 1.0
	v_rcp_f32_e32 v57, v51
	v_fma_f32 v58, -v51, v57, 1.0
	v_fmac_f32_e32 v57, v58, v57
	v_mul_f32_e32 v58, v54, v57
	v_fma_f32 v59, -v51, v58, v54
	v_fmac_f32_e32 v58, v59, v57
	v_fma_f32 v51, -v51, v58, v54
	v_div_fmas_f32 v51, v51, v57, v58
	v_div_fixup_f32 v57, v51, v52, 1.0
	v_xor_b32_e32 v51, 0x80000000, v57
	v_mul_f32_e64 v56, v56, -v57
.LBB24_17:
	s_or_b64 exec, exec, s[8:9]
	buffer_store_dword v57, v55, s[0:3], 0 offen
	buffer_store_dword v56, v55, s[0:3], 0 offen offset:4
	buffer_load_dword v58, off, s[0:3], 0 offset:12
	s_nop 0
	buffer_load_dword v57, off, s[0:3], 0 offset:8
	v_xor_b32_e32 v52, 0x80000000, v56
	v_add_u32_e32 v54, 0xd0, v53
	s_waitcnt vmcnt(0)
	ds_write2_b64 v53, v[51:52], v[57:58] offset1:26
	s_waitcnt lgkmcnt(0)
	; wave barrier
	s_and_saveexec_b64 s[8:9], s[4:5]
	s_cbranch_execz .LBB24_19
; %bb.18:
	buffer_load_dword v58, v55, s[0:3], 0 offen offset:4
	buffer_load_dword v59, v55, s[0:3], 0 offen
	ds_read_b64 v[51:52], v54
	v_mov_b32_e32 v56, 0
	ds_read_b64 v[56:57], v56 offset:8
	s_waitcnt vmcnt(1) lgkmcnt(1)
	v_mul_f32_e32 v60, v52, v58
	v_mul_f32_e32 v58, v51, v58
	s_waitcnt vmcnt(0)
	v_fmac_f32_e32 v58, v52, v59
	v_fma_f32 v51, v51, v59, -v60
	v_add_f32_e32 v52, 0, v58
	v_add_f32_e32 v51, 0, v51
	s_waitcnt lgkmcnt(0)
	v_mul_f32_e32 v58, v52, v57
	v_mul_f32_e32 v57, v51, v57
	v_fma_f32 v51, v51, v56, -v58
	v_fmac_f32_e32 v57, v52, v56
	buffer_store_dword v51, off, s[0:3], 0 offset:8
	buffer_store_dword v57, off, s[0:3], 0 offset:12
.LBB24_19:
	s_or_b64 exec, exec, s[8:9]
	; wave barrier
	buffer_load_dword v51, off, s[0:3], 0 offset:16
	buffer_load_dword v52, off, s[0:3], 0 offset:20
	v_cmp_gt_u32_e32 vcc, 2, v0
	s_waitcnt vmcnt(0)
	ds_write_b64 v54, v[51:52]
	s_waitcnt lgkmcnt(0)
	; wave barrier
	s_and_saveexec_b64 s[8:9], vcc
	s_cbranch_execz .LBB24_23
; %bb.20:
	buffer_load_dword v56, v55, s[0:3], 0 offen offset:4
	buffer_load_dword v57, v55, s[0:3], 0 offen
	ds_read_b64 v[51:52], v54
	s_waitcnt vmcnt(1) lgkmcnt(0)
	v_mul_f32_e32 v55, v52, v56
	v_mul_f32_e32 v56, v51, v56
	s_waitcnt vmcnt(0)
	v_fma_f32 v51, v51, v57, -v55
	v_fmac_f32_e32 v56, v52, v57
	v_add_f32_e32 v52, 0, v51
	v_add_f32_e32 v51, 0, v56
	s_and_saveexec_b64 s[12:13], s[4:5]
	s_cbranch_execz .LBB24_22
; %bb.21:
	buffer_load_dword v57, off, s[0:3], 0 offset:12
	buffer_load_dword v58, off, s[0:3], 0 offset:8
	v_mov_b32_e32 v55, 0
	ds_read_b64 v[55:56], v55 offset:216
	s_waitcnt vmcnt(1) lgkmcnt(0)
	v_mul_f32_e32 v59, v55, v57
	v_mul_f32_e32 v57, v56, v57
	s_waitcnt vmcnt(0)
	v_fmac_f32_e32 v59, v56, v58
	v_fma_f32 v55, v55, v58, -v57
	v_add_f32_e32 v51, v51, v59
	v_add_f32_e32 v52, v52, v55
.LBB24_22:
	s_or_b64 exec, exec, s[12:13]
	v_mov_b32_e32 v55, 0
	ds_read_b64 v[55:56], v55 offset:16
	s_waitcnt lgkmcnt(0)
	v_mul_f32_e32 v57, v51, v56
	v_mul_f32_e32 v56, v52, v56
	v_fma_f32 v52, v52, v55, -v57
	v_fmac_f32_e32 v56, v51, v55
	buffer_store_dword v52, off, s[0:3], 0 offset:16
	buffer_store_dword v56, off, s[0:3], 0 offset:20
.LBB24_23:
	s_or_b64 exec, exec, s[8:9]
	; wave barrier
	buffer_load_dword v51, off, s[0:3], 0 offset:24
	buffer_load_dword v52, off, s[0:3], 0 offset:28
	v_cmp_gt_u32_e32 vcc, 3, v0
	s_waitcnt vmcnt(0)
	ds_write_b64 v54, v[51:52]
	v_add_u32_e32 v51, -1, v0
	s_waitcnt lgkmcnt(0)
	; wave barrier
	s_and_saveexec_b64 s[4:5], vcc
	s_cbranch_execz .LBB24_27
; %bb.24:
	v_add_u32_e32 v55, -1, v0
	v_add_u32_e32 v56, 0xd0, v53
	v_mov_b32_e32 v57, v53
	v_mov_b32_e32 v52, 0
	s_mov_b64 s[8:9], 0
	v_mov_b32_e32 v58, 0
.LBB24_25:                              ; =>This Inner Loop Header: Depth=1
	buffer_load_dword v61, v57, s[0:3], 0 offen offset:4
	buffer_load_dword v62, v57, s[0:3], 0 offen
	ds_read_b64 v[59:60], v56
	v_add_u32_e32 v55, 1, v55
	v_cmp_lt_u32_e32 vcc, 1, v55
	v_add_u32_e32 v56, 8, v56
	v_add_u32_e32 v57, 8, v57
	s_or_b64 s[8:9], vcc, s[8:9]
	s_waitcnt vmcnt(1) lgkmcnt(0)
	v_mul_f32_e32 v63, v60, v61
	v_mul_f32_e32 v61, v59, v61
	s_waitcnt vmcnt(0)
	v_fma_f32 v59, v59, v62, -v63
	v_fmac_f32_e32 v61, v60, v62
	v_add_f32_e32 v58, v58, v59
	v_add_f32_e32 v52, v52, v61
	s_andn2_b64 exec, exec, s[8:9]
	s_cbranch_execnz .LBB24_25
; %bb.26:
	s_or_b64 exec, exec, s[8:9]
	v_mov_b32_e32 v55, 0
	ds_read_b64 v[55:56], v55 offset:24
	s_waitcnt lgkmcnt(0)
	v_mul_f32_e32 v57, v52, v56
	v_mul_f32_e32 v56, v58, v56
	v_fma_f32 v57, v58, v55, -v57
	v_fmac_f32_e32 v56, v52, v55
	buffer_store_dword v57, off, s[0:3], 0 offset:24
	buffer_store_dword v56, off, s[0:3], 0 offset:28
.LBB24_27:
	s_or_b64 exec, exec, s[4:5]
	; wave barrier
	buffer_load_dword v55, off, s[0:3], 0 offset:32
	buffer_load_dword v56, off, s[0:3], 0 offset:36
	v_cmp_gt_u32_e32 vcc, 4, v0
	s_waitcnt vmcnt(0)
	ds_write_b64 v54, v[55:56]
	s_waitcnt lgkmcnt(0)
	; wave barrier
	s_and_saveexec_b64 s[4:5], vcc
	s_cbranch_execz .LBB24_31
; %bb.28:
	v_add_u32_e32 v55, -1, v0
	v_add_u32_e32 v56, 0xd0, v53
	v_mov_b32_e32 v57, v53
	v_mov_b32_e32 v52, 0
	s_mov_b64 s[8:9], 0
	v_mov_b32_e32 v58, 0
.LBB24_29:                              ; =>This Inner Loop Header: Depth=1
	buffer_load_dword v61, v57, s[0:3], 0 offen offset:4
	buffer_load_dword v62, v57, s[0:3], 0 offen
	ds_read_b64 v[59:60], v56
	v_add_u32_e32 v55, 1, v55
	v_cmp_lt_u32_e32 vcc, 2, v55
	v_add_u32_e32 v56, 8, v56
	v_add_u32_e32 v57, 8, v57
	s_or_b64 s[8:9], vcc, s[8:9]
	s_waitcnt vmcnt(1) lgkmcnt(0)
	v_mul_f32_e32 v63, v60, v61
	v_mul_f32_e32 v61, v59, v61
	s_waitcnt vmcnt(0)
	v_fma_f32 v59, v59, v62, -v63
	v_fmac_f32_e32 v61, v60, v62
	v_add_f32_e32 v58, v58, v59
	v_add_f32_e32 v52, v52, v61
	s_andn2_b64 exec, exec, s[8:9]
	s_cbranch_execnz .LBB24_29
; %bb.30:
	s_or_b64 exec, exec, s[8:9]
	v_mov_b32_e32 v55, 0
	ds_read_b64 v[55:56], v55 offset:32
	s_waitcnt lgkmcnt(0)
	v_mul_f32_e32 v57, v52, v56
	v_mul_f32_e32 v56, v58, v56
	v_fma_f32 v57, v58, v55, -v57
	v_fmac_f32_e32 v56, v52, v55
	buffer_store_dword v57, off, s[0:3], 0 offset:32
	buffer_store_dword v56, off, s[0:3], 0 offset:36
.LBB24_31:
	s_or_b64 exec, exec, s[4:5]
	; wave barrier
	buffer_load_dword v55, off, s[0:3], 0 offset:40
	buffer_load_dword v56, off, s[0:3], 0 offset:44
	v_cmp_gt_u32_e32 vcc, 5, v0
	s_waitcnt vmcnt(0)
	ds_write_b64 v54, v[55:56]
	;; [unrolled: 49-line block ×19, first 2 shown]
	s_waitcnt lgkmcnt(0)
	; wave barrier
	s_and_saveexec_b64 s[4:5], vcc
	s_cbranch_execz .LBB24_103
; %bb.100:
	v_add_u32_e32 v55, -1, v0
	v_add_u32_e32 v56, 0xd0, v53
	v_mov_b32_e32 v57, v53
	v_mov_b32_e32 v52, 0
	s_mov_b64 s[8:9], 0
	v_mov_b32_e32 v58, 0
.LBB24_101:                             ; =>This Inner Loop Header: Depth=1
	buffer_load_dword v61, v57, s[0:3], 0 offen offset:4
	buffer_load_dword v62, v57, s[0:3], 0 offen
	ds_read_b64 v[59:60], v56
	v_add_u32_e32 v55, 1, v55
	v_cmp_lt_u32_e32 vcc, 20, v55
	v_add_u32_e32 v56, 8, v56
	v_add_u32_e32 v57, 8, v57
	s_or_b64 s[8:9], vcc, s[8:9]
	s_waitcnt vmcnt(1) lgkmcnt(0)
	v_mul_f32_e32 v63, v60, v61
	v_mul_f32_e32 v61, v59, v61
	s_waitcnt vmcnt(0)
	v_fma_f32 v59, v59, v62, -v63
	v_fmac_f32_e32 v61, v60, v62
	v_add_f32_e32 v58, v58, v59
	v_add_f32_e32 v52, v52, v61
	s_andn2_b64 exec, exec, s[8:9]
	s_cbranch_execnz .LBB24_101
; %bb.102:
	s_or_b64 exec, exec, s[8:9]
	v_mov_b32_e32 v55, 0
	ds_read_b64 v[55:56], v55 offset:176
	s_waitcnt lgkmcnt(0)
	v_mul_f32_e32 v57, v52, v56
	v_mul_f32_e32 v56, v58, v56
	v_fma_f32 v57, v58, v55, -v57
	v_fmac_f32_e32 v56, v52, v55
	buffer_store_dword v57, off, s[0:3], 0 offset:176
	buffer_store_dword v56, off, s[0:3], 0 offset:180
.LBB24_103:
	s_or_b64 exec, exec, s[4:5]
	; wave barrier
	buffer_load_dword v55, off, s[0:3], 0 offset:184
	buffer_load_dword v56, off, s[0:3], 0 offset:188
	v_cmp_gt_u32_e32 vcc, 23, v0
	s_waitcnt vmcnt(0)
	ds_write_b64 v54, v[55:56]
	s_waitcnt lgkmcnt(0)
	; wave barrier
	s_and_saveexec_b64 s[4:5], vcc
	s_cbranch_execz .LBB24_107
; %bb.104:
	v_add_u32_e32 v55, -1, v0
	v_add_u32_e32 v56, 0xd0, v53
	v_mov_b32_e32 v57, v53
	v_mov_b32_e32 v52, 0
	s_mov_b64 s[8:9], 0
	v_mov_b32_e32 v58, 0
.LBB24_105:                             ; =>This Inner Loop Header: Depth=1
	buffer_load_dword v61, v57, s[0:3], 0 offen offset:4
	buffer_load_dword v62, v57, s[0:3], 0 offen
	ds_read_b64 v[59:60], v56
	v_add_u32_e32 v55, 1, v55
	v_cmp_lt_u32_e32 vcc, 21, v55
	v_add_u32_e32 v56, 8, v56
	v_add_u32_e32 v57, 8, v57
	s_or_b64 s[8:9], vcc, s[8:9]
	s_waitcnt vmcnt(1) lgkmcnt(0)
	v_mul_f32_e32 v63, v60, v61
	v_mul_f32_e32 v61, v59, v61
	s_waitcnt vmcnt(0)
	v_fma_f32 v59, v59, v62, -v63
	v_fmac_f32_e32 v61, v60, v62
	v_add_f32_e32 v58, v58, v59
	v_add_f32_e32 v52, v52, v61
	s_andn2_b64 exec, exec, s[8:9]
	s_cbranch_execnz .LBB24_105
; %bb.106:
	s_or_b64 exec, exec, s[8:9]
	v_mov_b32_e32 v55, 0
	ds_read_b64 v[55:56], v55 offset:184
	s_waitcnt lgkmcnt(0)
	v_mul_f32_e32 v57, v52, v56
	v_mul_f32_e32 v56, v58, v56
	v_fma_f32 v57, v58, v55, -v57
	v_fmac_f32_e32 v56, v52, v55
	buffer_store_dword v57, off, s[0:3], 0 offset:184
	buffer_store_dword v56, off, s[0:3], 0 offset:188
.LBB24_107:
	s_or_b64 exec, exec, s[4:5]
	; wave barrier
	buffer_load_dword v55, off, s[0:3], 0 offset:192
	buffer_load_dword v56, off, s[0:3], 0 offset:196
	v_cmp_ne_u32_e32 vcc, 24, v0
	s_waitcnt vmcnt(0)
	ds_write_b64 v54, v[55:56]
	s_waitcnt lgkmcnt(0)
	; wave barrier
	s_and_saveexec_b64 s[4:5], vcc
	s_cbranch_execz .LBB24_111
; %bb.108:
	v_add_u32_e32 v54, 0xd0, v53
	v_mov_b32_e32 v52, 0
	s_mov_b64 s[8:9], 0
	v_mov_b32_e32 v55, 0
.LBB24_109:                             ; =>This Inner Loop Header: Depth=1
	buffer_load_dword v58, v53, s[0:3], 0 offen offset:4
	buffer_load_dword v59, v53, s[0:3], 0 offen
	ds_read_b64 v[56:57], v54
	v_add_u32_e32 v51, 1, v51
	v_cmp_lt_u32_e32 vcc, 22, v51
	v_add_u32_e32 v54, 8, v54
	v_add_u32_e32 v53, 8, v53
	s_or_b64 s[8:9], vcc, s[8:9]
	s_waitcnt vmcnt(1) lgkmcnt(0)
	v_mul_f32_e32 v60, v57, v58
	v_mul_f32_e32 v58, v56, v58
	s_waitcnt vmcnt(0)
	v_fma_f32 v56, v56, v59, -v60
	v_fmac_f32_e32 v58, v57, v59
	v_add_f32_e32 v55, v55, v56
	v_add_f32_e32 v52, v52, v58
	s_andn2_b64 exec, exec, s[8:9]
	s_cbranch_execnz .LBB24_109
; %bb.110:
	s_or_b64 exec, exec, s[8:9]
	v_mov_b32_e32 v51, 0
	ds_read_b64 v[53:54], v51 offset:192
	s_waitcnt lgkmcnt(0)
	v_mul_f32_e32 v51, v52, v54
	v_mul_f32_e32 v54, v55, v54
	v_fma_f32 v51, v55, v53, -v51
	v_fmac_f32_e32 v54, v52, v53
	buffer_store_dword v51, off, s[0:3], 0 offset:192
	buffer_store_dword v54, off, s[0:3], 0 offset:196
.LBB24_111:
	s_or_b64 exec, exec, s[4:5]
	s_mov_b64 s[8:9], -1
	; wave barrier
.LBB24_112:
	s_and_b64 vcc, exec, s[8:9]
	s_cbranch_vccz .LBB24_114
; %bb.113:
	s_lshl_b64 s[4:5], s[6:7], 2
	s_add_u32 s4, s10, s4
	s_addc_u32 s5, s11, s5
	v_mov_b32_e32 v51, 0
	global_load_dword v51, v51, s[4:5]
	s_waitcnt vmcnt(0)
	v_cmp_ne_u32_e32 vcc, 0, v51
	s_cbranch_vccz .LBB24_115
.LBB24_114:
	s_endpgm
.LBB24_115:
	v_mov_b32_e32 v51, 0xd0
	v_lshl_add_u32 v51, v0, 3, v51
	v_cmp_eq_u32_e32 vcc, 24, v0
	s_and_saveexec_b64 s[4:5], vcc
	s_cbranch_execz .LBB24_117
; %bb.116:
	buffer_load_dword v52, off, s[0:3], 0 offset:184
	buffer_load_dword v53, off, s[0:3], 0 offset:188
	v_mov_b32_e32 v54, 0
	buffer_store_dword v54, off, s[0:3], 0 offset:184
	buffer_store_dword v54, off, s[0:3], 0 offset:188
	s_waitcnt vmcnt(2)
	ds_write_b64 v51, v[52:53]
.LBB24_117:
	s_or_b64 exec, exec, s[4:5]
	s_waitcnt lgkmcnt(0)
	; wave barrier
	buffer_load_dword v55, off, s[0:3], 0 offset:196
	buffer_load_dword v56, off, s[0:3], 0 offset:192
	;; [unrolled: 1-line block ×4, first 2 shown]
	v_mov_b32_e32 v52, 0
	ds_read_b64 v[53:54], v52 offset:400
	v_cmp_lt_u32_e32 vcc, 22, v0
	s_waitcnt vmcnt(3) lgkmcnt(0)
	v_mul_f32_e32 v59, v53, v55
	v_mul_f32_e32 v55, v54, v55
	s_waitcnt vmcnt(2)
	v_fma_f32 v53, v53, v56, -v55
	v_fmac_f32_e32 v59, v54, v56
	v_add_f32_e32 v53, 0, v53
	v_add_f32_e32 v54, 0, v59
	s_waitcnt vmcnt(1)
	v_sub_f32_e32 v53, v57, v53
	s_waitcnt vmcnt(0)
	v_sub_f32_e32 v54, v58, v54
	buffer_store_dword v53, off, s[0:3], 0 offset:184
	buffer_store_dword v54, off, s[0:3], 0 offset:188
	s_and_saveexec_b64 s[4:5], vcc
	s_cbranch_execz .LBB24_119
; %bb.118:
	buffer_load_dword v53, off, s[0:3], 0 offset:176
	buffer_load_dword v54, off, s[0:3], 0 offset:180
	s_waitcnt vmcnt(0)
	ds_write_b64 v51, v[53:54]
	buffer_store_dword v52, off, s[0:3], 0 offset:176
	buffer_store_dword v52, off, s[0:3], 0 offset:180
.LBB24_119:
	s_or_b64 exec, exec, s[4:5]
	s_waitcnt lgkmcnt(0)
	; wave barrier
	buffer_load_dword v56, off, s[0:3], 0 offset:188
	buffer_load_dword v57, off, s[0:3], 0 offset:196
	;; [unrolled: 1-line block ×6, first 2 shown]
	ds_read2_b64 v[52:55], v52 offset0:49 offset1:50
	v_cmp_lt_u32_e32 vcc, 21, v0
	s_waitcnt vmcnt(5) lgkmcnt(0)
	v_mul_f32_e32 v62, v52, v56
	v_mul_f32_e32 v56, v53, v56
	s_waitcnt vmcnt(4)
	v_mul_f32_e32 v63, v54, v57
	v_mul_f32_e32 v57, v55, v57
	s_waitcnt vmcnt(3)
	v_fma_f32 v52, v52, v58, -v56
	v_fmac_f32_e32 v62, v53, v58
	s_waitcnt vmcnt(2)
	v_fma_f32 v53, v54, v59, -v57
	v_add_f32_e32 v52, 0, v52
	v_fmac_f32_e32 v63, v55, v59
	v_add_f32_e32 v54, 0, v62
	v_add_f32_e32 v52, v52, v53
	;; [unrolled: 1-line block ×3, first 2 shown]
	s_waitcnt vmcnt(1)
	v_sub_f32_e32 v52, v60, v52
	s_waitcnt vmcnt(0)
	v_sub_f32_e32 v53, v61, v54
	buffer_store_dword v52, off, s[0:3], 0 offset:176
	buffer_store_dword v53, off, s[0:3], 0 offset:180
	s_and_saveexec_b64 s[4:5], vcc
	s_cbranch_execz .LBB24_121
; %bb.120:
	buffer_load_dword v52, off, s[0:3], 0 offset:168
	buffer_load_dword v53, off, s[0:3], 0 offset:172
	v_mov_b32_e32 v54, 0
	buffer_store_dword v54, off, s[0:3], 0 offset:168
	buffer_store_dword v54, off, s[0:3], 0 offset:172
	s_waitcnt vmcnt(2)
	ds_write_b64 v51, v[52:53]
.LBB24_121:
	s_or_b64 exec, exec, s[4:5]
	s_waitcnt lgkmcnt(0)
	; wave barrier
	buffer_load_dword v59, off, s[0:3], 0 offset:180
	buffer_load_dword v60, off, s[0:3], 0 offset:188
	;; [unrolled: 1-line block ×8, first 2 shown]
	v_mov_b32_e32 v52, 0
	ds_read_b128 v[53:56], v52 offset:384
	ds_read_b64 v[57:58], v52 offset:400
	v_cmp_lt_u32_e32 vcc, 20, v0
	s_waitcnt vmcnt(7) lgkmcnt(1)
	v_mul_f32_e32 v67, v53, v59
	v_mul_f32_e32 v59, v54, v59
	s_waitcnt vmcnt(6)
	v_mul_f32_e32 v68, v55, v60
	v_mul_f32_e32 v60, v56, v60
	s_waitcnt vmcnt(4)
	v_fma_f32 v53, v53, v62, -v59
	s_waitcnt lgkmcnt(0)
	v_mul_f32_e32 v69, v57, v61
	v_mul_f32_e32 v61, v58, v61
	v_fmac_f32_e32 v67, v54, v62
	s_waitcnt vmcnt(3)
	v_fma_f32 v54, v55, v63, -v60
	v_add_f32_e32 v53, 0, v53
	v_fmac_f32_e32 v68, v56, v63
	s_waitcnt vmcnt(2)
	v_fma_f32 v55, v57, v64, -v61
	v_add_f32_e32 v56, 0, v67
	v_add_f32_e32 v53, v53, v54
	v_fmac_f32_e32 v69, v58, v64
	v_add_f32_e32 v56, v56, v68
	v_add_f32_e32 v53, v53, v55
	;; [unrolled: 1-line block ×3, first 2 shown]
	s_waitcnt vmcnt(1)
	v_sub_f32_e32 v53, v65, v53
	s_waitcnt vmcnt(0)
	v_sub_f32_e32 v54, v66, v54
	buffer_store_dword v53, off, s[0:3], 0 offset:168
	buffer_store_dword v54, off, s[0:3], 0 offset:172
	s_and_saveexec_b64 s[4:5], vcc
	s_cbranch_execz .LBB24_123
; %bb.122:
	buffer_load_dword v53, off, s[0:3], 0 offset:160
	buffer_load_dword v54, off, s[0:3], 0 offset:164
	s_waitcnt vmcnt(0)
	ds_write_b64 v51, v[53:54]
	buffer_store_dword v52, off, s[0:3], 0 offset:160
	buffer_store_dword v52, off, s[0:3], 0 offset:164
.LBB24_123:
	s_or_b64 exec, exec, s[4:5]
	s_waitcnt lgkmcnt(0)
	; wave barrier
	buffer_load_dword v61, off, s[0:3], 0 offset:172
	buffer_load_dword v62, off, s[0:3], 0 offset:180
	;; [unrolled: 1-line block ×10, first 2 shown]
	ds_read2_b64 v[53:56], v52 offset0:47 offset1:48
	ds_read2_b64 v[57:60], v52 offset0:49 offset1:50
	v_cmp_lt_u32_e32 vcc, 19, v0
	s_waitcnt vmcnt(9) lgkmcnt(1)
	v_mul_f32_e32 v52, v53, v61
	v_mul_f32_e32 v61, v54, v61
	s_waitcnt vmcnt(8)
	v_mul_f32_e32 v71, v55, v62
	v_mul_f32_e32 v62, v56, v62
	s_waitcnt vmcnt(5)
	v_fma_f32 v53, v53, v65, -v61
	s_waitcnt lgkmcnt(0)
	v_mul_f32_e32 v72, v57, v63
	v_mul_f32_e32 v63, v58, v63
	v_fmac_f32_e32 v52, v54, v65
	s_waitcnt vmcnt(4)
	v_fma_f32 v54, v55, v66, -v62
	v_add_f32_e32 v53, 0, v53
	v_mul_f32_e32 v73, v59, v64
	v_mul_f32_e32 v64, v60, v64
	v_fmac_f32_e32 v71, v56, v66
	s_waitcnt vmcnt(3)
	v_fma_f32 v55, v57, v67, -v63
	v_add_f32_e32 v52, 0, v52
	v_add_f32_e32 v53, v53, v54
	v_fmac_f32_e32 v72, v58, v67
	s_waitcnt vmcnt(2)
	v_fma_f32 v56, v59, v68, -v64
	v_add_f32_e32 v52, v52, v71
	v_add_f32_e32 v53, v53, v55
	v_fmac_f32_e32 v73, v60, v68
	v_add_f32_e32 v52, v52, v72
	v_add_f32_e32 v53, v53, v56
	;; [unrolled: 1-line block ×3, first 2 shown]
	s_waitcnt vmcnt(1)
	v_sub_f32_e32 v53, v69, v53
	s_waitcnt vmcnt(0)
	v_sub_f32_e32 v52, v70, v52
	buffer_store_dword v53, off, s[0:3], 0 offset:160
	buffer_store_dword v52, off, s[0:3], 0 offset:164
	s_and_saveexec_b64 s[4:5], vcc
	s_cbranch_execz .LBB24_125
; %bb.124:
	buffer_load_dword v52, off, s[0:3], 0 offset:152
	buffer_load_dword v53, off, s[0:3], 0 offset:156
	v_mov_b32_e32 v54, 0
	buffer_store_dword v54, off, s[0:3], 0 offset:152
	buffer_store_dword v54, off, s[0:3], 0 offset:156
	s_waitcnt vmcnt(2)
	ds_write_b64 v51, v[52:53]
.LBB24_125:
	s_or_b64 exec, exec, s[4:5]
	s_waitcnt lgkmcnt(0)
	; wave barrier
	buffer_load_dword v63, off, s[0:3], 0 offset:164
	buffer_load_dword v64, off, s[0:3], 0 offset:172
	;; [unrolled: 1-line block ×12, first 2 shown]
	v_mov_b32_e32 v52, 0
	ds_read_b128 v[53:56], v52 offset:368
	ds_read_b128 v[57:60], v52 offset:384
	ds_read_b64 v[61:62], v52 offset:400
	v_cmp_lt_u32_e32 vcc, 18, v0
	s_waitcnt vmcnt(11) lgkmcnt(2)
	v_mul_f32_e32 v75, v53, v63
	v_mul_f32_e32 v63, v54, v63
	s_waitcnt vmcnt(10)
	v_mul_f32_e32 v76, v55, v64
	v_mul_f32_e32 v64, v56, v64
	s_waitcnt vmcnt(9) lgkmcnt(1)
	v_mul_f32_e32 v77, v57, v65
	s_waitcnt vmcnt(6)
	v_fma_f32 v53, v53, v68, -v63
	v_mul_f32_e32 v65, v58, v65
	v_fmac_f32_e32 v75, v54, v68
	s_waitcnt vmcnt(5)
	v_fma_f32 v54, v55, v69, -v64
	v_add_f32_e32 v53, 0, v53
	v_mul_f32_e32 v78, v59, v66
	v_mul_f32_e32 v66, v60, v66
	v_fmac_f32_e32 v76, v56, v69
	s_waitcnt vmcnt(4)
	v_fmac_f32_e32 v77, v58, v70
	v_fma_f32 v55, v57, v70, -v65
	v_add_f32_e32 v58, 0, v75
	v_add_f32_e32 v53, v53, v54
	s_waitcnt lgkmcnt(0)
	v_mul_f32_e32 v79, v61, v67
	v_mul_f32_e32 v67, v62, v67
	s_waitcnt vmcnt(3)
	v_fma_f32 v56, v59, v71, -v66
	v_add_f32_e32 v58, v58, v76
	v_add_f32_e32 v53, v53, v55
	v_fmac_f32_e32 v78, v60, v71
	s_waitcnt vmcnt(2)
	v_fma_f32 v57, v61, v72, -v67
	v_add_f32_e32 v54, v58, v77
	v_add_f32_e32 v53, v53, v56
	v_fmac_f32_e32 v79, v62, v72
	v_add_f32_e32 v54, v54, v78
	v_add_f32_e32 v53, v53, v57
	;; [unrolled: 1-line block ×3, first 2 shown]
	s_waitcnt vmcnt(1)
	v_sub_f32_e32 v53, v73, v53
	s_waitcnt vmcnt(0)
	v_sub_f32_e32 v54, v74, v54
	buffer_store_dword v53, off, s[0:3], 0 offset:152
	buffer_store_dword v54, off, s[0:3], 0 offset:156
	s_and_saveexec_b64 s[4:5], vcc
	s_cbranch_execz .LBB24_127
; %bb.126:
	buffer_load_dword v53, off, s[0:3], 0 offset:144
	buffer_load_dword v54, off, s[0:3], 0 offset:148
	s_waitcnt vmcnt(0)
	ds_write_b64 v51, v[53:54]
	buffer_store_dword v52, off, s[0:3], 0 offset:144
	buffer_store_dword v52, off, s[0:3], 0 offset:148
.LBB24_127:
	s_or_b64 exec, exec, s[4:5]
	s_waitcnt lgkmcnt(0)
	; wave barrier
	ds_read2_b64 v[53:56], v52 offset0:45 offset1:46
	buffer_load_dword v65, off, s[0:3], 0 offset:144
	buffer_load_dword v66, off, s[0:3], 0 offset:148
	;; [unrolled: 1-line block ×14, first 2 shown]
	v_cmp_lt_u32_e32 vcc, 17, v0
	s_waitcnt vmcnt(10) lgkmcnt(0)
	v_mul_f32_e32 v57, v53, v68
	v_fmac_f32_e32 v57, v54, v67
	s_waitcnt vmcnt(8)
	v_mul_f32_e32 v58, v55, v70
	v_add_f32_e32 v57, 0, v57
	v_fmac_f32_e32 v58, v56, v69
	v_add_f32_e32 v61, v57, v58
	ds_read2_b64 v[57:60], v52 offset0:47 offset1:48
	v_mul_f32_e32 v54, v54, v68
	v_fma_f32 v53, v53, v67, -v54
	v_mul_f32_e32 v54, v56, v70
	v_add_f32_e32 v53, 0, v53
	s_waitcnt vmcnt(6) lgkmcnt(0)
	v_mul_f32_e32 v62, v57, v72
	v_fmac_f32_e32 v62, v58, v71
	v_add_f32_e32 v61, v61, v62
	s_waitcnt vmcnt(4)
	v_mul_f32_e32 v62, v59, v74
	v_fmac_f32_e32 v62, v60, v73
	v_add_f32_e32 v79, v61, v62
	ds_read2_b64 v[61:64], v52 offset0:49 offset1:50
	v_fma_f32 v54, v55, v69, -v54
	v_add_f32_e32 v53, v53, v54
	v_mul_f32_e32 v54, v58, v72
	v_fma_f32 v54, v57, v71, -v54
	v_add_f32_e32 v53, v53, v54
	v_mul_f32_e32 v54, v60, v74
	v_fma_f32 v54, v59, v73, -v54
	v_add_f32_e32 v53, v53, v54
	s_waitcnt vmcnt(2) lgkmcnt(0)
	v_mul_f32_e32 v54, v62, v76
	v_mul_f32_e32 v52, v61, v76
	v_fma_f32 v54, v61, v75, -v54
	v_fmac_f32_e32 v52, v62, v75
	v_add_f32_e32 v53, v53, v54
	s_waitcnt vmcnt(0)
	v_mul_f32_e32 v54, v64, v78
	v_add_f32_e32 v52, v79, v52
	v_mul_f32_e32 v79, v63, v78
	v_fma_f32 v54, v63, v77, -v54
	v_fmac_f32_e32 v79, v64, v77
	v_add_f32_e32 v53, v53, v54
	v_add_f32_e32 v52, v52, v79
	v_sub_f32_e32 v53, v65, v53
	v_sub_f32_e32 v52, v66, v52
	buffer_store_dword v53, off, s[0:3], 0 offset:144
	buffer_store_dword v52, off, s[0:3], 0 offset:148
	s_and_saveexec_b64 s[4:5], vcc
	s_cbranch_execz .LBB24_129
; %bb.128:
	buffer_load_dword v52, off, s[0:3], 0 offset:136
	buffer_load_dword v53, off, s[0:3], 0 offset:140
	v_mov_b32_e32 v54, 0
	buffer_store_dword v54, off, s[0:3], 0 offset:136
	buffer_store_dword v54, off, s[0:3], 0 offset:140
	s_waitcnt vmcnt(2)
	ds_write_b64 v51, v[52:53]
.LBB24_129:
	s_or_b64 exec, exec, s[4:5]
	s_waitcnt lgkmcnt(0)
	; wave barrier
	buffer_load_dword v67, off, s[0:3], 0 offset:148
	buffer_load_dword v68, off, s[0:3], 0 offset:156
	;; [unrolled: 1-line block ×16, first 2 shown]
	v_mov_b32_e32 v52, 0
	ds_read_b128 v[53:56], v52 offset:352
	ds_read_b128 v[57:60], v52 offset:368
	;; [unrolled: 1-line block ×3, first 2 shown]
	ds_read_b64 v[65:66], v52 offset:400
	v_cmp_lt_u32_e32 vcc, 16, v0
	s_waitcnt vmcnt(15) lgkmcnt(3)
	v_mul_f32_e32 v83, v53, v67
	v_mul_f32_e32 v67, v54, v67
	s_waitcnt vmcnt(14)
	v_mul_f32_e32 v84, v55, v68
	v_mul_f32_e32 v68, v56, v68
	s_waitcnt vmcnt(13) lgkmcnt(2)
	v_mul_f32_e32 v85, v57, v69
	s_waitcnt vmcnt(12)
	v_mul_f32_e32 v86, v59, v70
	v_mul_f32_e32 v69, v58, v69
	s_waitcnt vmcnt(8)
	v_fma_f32 v53, v53, v74, -v67
	v_fmac_f32_e32 v83, v54, v74
	s_waitcnt vmcnt(7)
	v_fma_f32 v54, v55, v75, -v68
	v_add_f32_e32 v53, 0, v53
	v_mul_f32_e32 v70, v60, v70
	v_fmac_f32_e32 v84, v56, v75
	s_waitcnt vmcnt(5)
	v_fmac_f32_e32 v86, v60, v77
	v_fma_f32 v55, v57, v76, -v69
	v_add_f32_e32 v60, 0, v83
	v_add_f32_e32 v53, v53, v54
	s_waitcnt lgkmcnt(1)
	v_mul_f32_e32 v87, v61, v71
	v_mul_f32_e32 v71, v62, v71
	v_fmac_f32_e32 v85, v58, v76
	v_fma_f32 v56, v59, v77, -v70
	v_add_f32_e32 v60, v60, v84
	v_add_f32_e32 v53, v53, v55
	v_mul_f32_e32 v88, v63, v72
	v_mul_f32_e32 v72, v64, v72
	s_waitcnt vmcnt(4)
	v_fma_f32 v57, v61, v78, -v71
	v_add_f32_e32 v54, v60, v85
	v_add_f32_e32 v53, v53, v56
	s_waitcnt lgkmcnt(0)
	v_mul_f32_e32 v89, v65, v73
	v_mul_f32_e32 v73, v66, v73
	v_fmac_f32_e32 v87, v62, v78
	s_waitcnt vmcnt(3)
	v_fma_f32 v58, v63, v79, -v72
	v_add_f32_e32 v54, v54, v86
	v_add_f32_e32 v53, v53, v57
	v_fmac_f32_e32 v88, v64, v79
	s_waitcnt vmcnt(2)
	v_fma_f32 v59, v65, v80, -v73
	v_add_f32_e32 v54, v54, v87
	v_add_f32_e32 v53, v53, v58
	v_fmac_f32_e32 v89, v66, v80
	v_add_f32_e32 v54, v54, v88
	v_add_f32_e32 v53, v53, v59
	;; [unrolled: 1-line block ×3, first 2 shown]
	s_waitcnt vmcnt(1)
	v_sub_f32_e32 v53, v81, v53
	s_waitcnt vmcnt(0)
	v_sub_f32_e32 v54, v82, v54
	buffer_store_dword v53, off, s[0:3], 0 offset:136
	buffer_store_dword v54, off, s[0:3], 0 offset:140
	s_and_saveexec_b64 s[4:5], vcc
	s_cbranch_execz .LBB24_131
; %bb.130:
	buffer_load_dword v53, off, s[0:3], 0 offset:128
	buffer_load_dword v54, off, s[0:3], 0 offset:132
	s_waitcnt vmcnt(0)
	ds_write_b64 v51, v[53:54]
	buffer_store_dword v52, off, s[0:3], 0 offset:128
	buffer_store_dword v52, off, s[0:3], 0 offset:132
.LBB24_131:
	s_or_b64 exec, exec, s[4:5]
	s_waitcnt lgkmcnt(0)
	; wave barrier
	buffer_load_dword v69, off, s[0:3], 0 offset:140
	buffer_load_dword v70, off, s[0:3], 0 offset:148
	;; [unrolled: 1-line block ×18, first 2 shown]
	ds_read2_b64 v[53:56], v52 offset0:43 offset1:44
	ds_read2_b64 v[57:60], v52 offset0:45 offset1:46
	;; [unrolled: 1-line block ×4, first 2 shown]
	v_cmp_lt_u32_e32 vcc, 15, v0
	s_waitcnt vmcnt(17) lgkmcnt(3)
	v_mul_f32_e32 v52, v53, v69
	v_mul_f32_e32 v69, v54, v69
	s_waitcnt vmcnt(16)
	v_mul_f32_e32 v87, v55, v70
	v_mul_f32_e32 v70, v56, v70
	s_waitcnt vmcnt(15) lgkmcnt(2)
	v_mul_f32_e32 v88, v57, v71
	v_mul_f32_e32 v71, v58, v71
	s_waitcnt vmcnt(14)
	v_mul_f32_e32 v89, v59, v72
	v_mul_f32_e32 v72, v60, v72
	s_waitcnt vmcnt(9)
	v_fma_f32 v53, v53, v77, -v69
	v_fmac_f32_e32 v52, v54, v77
	s_waitcnt vmcnt(8)
	v_fma_f32 v54, v55, v78, -v70
	v_add_f32_e32 v53, 0, v53
	v_fmac_f32_e32 v87, v56, v78
	s_waitcnt vmcnt(7)
	v_fma_f32 v55, v57, v79, -v71
	v_add_f32_e32 v52, 0, v52
	v_add_f32_e32 v53, v53, v54
	s_waitcnt lgkmcnt(1)
	v_mul_f32_e32 v90, v61, v73
	v_mul_f32_e32 v73, v62, v73
	v_fmac_f32_e32 v88, v58, v79
	s_waitcnt vmcnt(6)
	v_fma_f32 v56, v59, v80, -v72
	v_add_f32_e32 v52, v52, v87
	v_add_f32_e32 v53, v53, v55
	v_mul_f32_e32 v91, v63, v74
	v_mul_f32_e32 v74, v64, v74
	v_fmac_f32_e32 v89, v60, v80
	s_waitcnt vmcnt(5)
	v_fma_f32 v57, v61, v81, -v73
	v_add_f32_e32 v52, v52, v88
	v_add_f32_e32 v53, v53, v56
	s_waitcnt lgkmcnt(0)
	v_mul_f32_e32 v92, v65, v75
	v_mul_f32_e32 v75, v66, v75
	v_fmac_f32_e32 v90, v62, v81
	s_waitcnt vmcnt(4)
	v_fma_f32 v58, v63, v82, -v74
	v_add_f32_e32 v52, v52, v89
	v_add_f32_e32 v53, v53, v57
	v_mul_f32_e32 v93, v67, v76
	v_mul_f32_e32 v76, v68, v76
	v_fmac_f32_e32 v91, v64, v82
	s_waitcnt vmcnt(3)
	v_fma_f32 v59, v65, v83, -v75
	v_add_f32_e32 v52, v52, v90
	v_add_f32_e32 v53, v53, v58
	v_fmac_f32_e32 v92, v66, v83
	s_waitcnt vmcnt(2)
	v_fma_f32 v60, v67, v84, -v76
	v_add_f32_e32 v52, v52, v91
	v_add_f32_e32 v53, v53, v59
	v_fmac_f32_e32 v93, v68, v84
	v_add_f32_e32 v52, v52, v92
	v_add_f32_e32 v53, v53, v60
	;; [unrolled: 1-line block ×3, first 2 shown]
	s_waitcnt vmcnt(1)
	v_sub_f32_e32 v53, v85, v53
	s_waitcnt vmcnt(0)
	v_sub_f32_e32 v52, v86, v52
	buffer_store_dword v53, off, s[0:3], 0 offset:128
	buffer_store_dword v52, off, s[0:3], 0 offset:132
	s_and_saveexec_b64 s[4:5], vcc
	s_cbranch_execz .LBB24_133
; %bb.132:
	buffer_load_dword v52, off, s[0:3], 0 offset:120
	buffer_load_dword v53, off, s[0:3], 0 offset:124
	v_mov_b32_e32 v54, 0
	buffer_store_dword v54, off, s[0:3], 0 offset:120
	buffer_store_dword v54, off, s[0:3], 0 offset:124
	s_waitcnt vmcnt(2)
	ds_write_b64 v51, v[52:53]
.LBB24_133:
	s_or_b64 exec, exec, s[4:5]
	s_waitcnt lgkmcnt(0)
	; wave barrier
	buffer_load_dword v71, off, s[0:3], 0 offset:132
	buffer_load_dword v72, off, s[0:3], 0 offset:140
	;; [unrolled: 1-line block ×20, first 2 shown]
	v_mov_b32_e32 v52, 0
	ds_read_b128 v[53:56], v52 offset:336
	ds_read_b128 v[57:60], v52 offset:352
	;; [unrolled: 1-line block ×4, first 2 shown]
	ds_read_b64 v[69:70], v52 offset:400
	v_cmp_lt_u32_e32 vcc, 14, v0
	s_waitcnt vmcnt(19) lgkmcnt(4)
	v_mul_f32_e32 v91, v53, v71
	v_mul_f32_e32 v71, v54, v71
	s_waitcnt vmcnt(18)
	v_mul_f32_e32 v92, v55, v72
	v_mul_f32_e32 v72, v56, v72
	s_waitcnt vmcnt(17) lgkmcnt(3)
	v_mul_f32_e32 v93, v57, v73
	s_waitcnt vmcnt(15) lgkmcnt(2)
	v_mul_f32_e32 v95, v61, v75
	v_mul_f32_e32 v73, v58, v73
	;; [unrolled: 1-line block ×4, first 2 shown]
	s_waitcnt vmcnt(10)
	v_fma_f32 v53, v53, v80, -v71
	v_fmac_f32_e32 v91, v54, v80
	s_waitcnt vmcnt(9)
	v_fma_f32 v54, v55, v81, -v72
	v_add_f32_e32 v53, 0, v53
	v_mul_f32_e32 v75, v62, v75
	v_fmac_f32_e32 v92, v56, v81
	s_waitcnt vmcnt(6)
	v_fmac_f32_e32 v95, v62, v84
	v_fma_f32 v55, v57, v82, -v73
	v_add_f32_e32 v62, 0, v91
	v_add_f32_e32 v53, v53, v54
	v_fmac_f32_e32 v93, v58, v82
	v_fma_f32 v56, v59, v83, -v74
	v_add_f32_e32 v62, v62, v92
	v_add_f32_e32 v53, v53, v55
	v_mul_f32_e32 v96, v63, v76
	v_mul_f32_e32 v76, v64, v76
	v_fmac_f32_e32 v94, v60, v83
	v_fma_f32 v57, v61, v84, -v75
	v_add_f32_e32 v54, v62, v93
	v_add_f32_e32 v53, v53, v56
	s_waitcnt lgkmcnt(1)
	v_mul_f32_e32 v97, v65, v77
	v_mul_f32_e32 v77, v66, v77
	s_waitcnt vmcnt(5)
	v_fma_f32 v58, v63, v85, -v76
	v_add_f32_e32 v54, v54, v94
	v_add_f32_e32 v53, v53, v57
	v_mul_f32_e32 v98, v67, v78
	v_mul_f32_e32 v78, v68, v78
	v_fmac_f32_e32 v96, v64, v85
	s_waitcnt vmcnt(4)
	v_fma_f32 v59, v65, v86, -v77
	v_add_f32_e32 v54, v54, v95
	v_add_f32_e32 v53, v53, v58
	s_waitcnt lgkmcnt(0)
	v_mul_f32_e32 v99, v69, v79
	v_mul_f32_e32 v79, v70, v79
	v_fmac_f32_e32 v97, v66, v86
	s_waitcnt vmcnt(3)
	v_fma_f32 v60, v67, v87, -v78
	v_add_f32_e32 v54, v54, v96
	v_add_f32_e32 v53, v53, v59
	v_fmac_f32_e32 v98, v68, v87
	s_waitcnt vmcnt(2)
	v_fma_f32 v61, v69, v88, -v79
	v_add_f32_e32 v54, v54, v97
	v_add_f32_e32 v53, v53, v60
	v_fmac_f32_e32 v99, v70, v88
	v_add_f32_e32 v54, v54, v98
	v_add_f32_e32 v53, v53, v61
	;; [unrolled: 1-line block ×3, first 2 shown]
	s_waitcnt vmcnt(1)
	v_sub_f32_e32 v53, v89, v53
	s_waitcnt vmcnt(0)
	v_sub_f32_e32 v54, v90, v54
	buffer_store_dword v53, off, s[0:3], 0 offset:120
	buffer_store_dword v54, off, s[0:3], 0 offset:124
	s_and_saveexec_b64 s[4:5], vcc
	s_cbranch_execz .LBB24_135
; %bb.134:
	buffer_load_dword v53, off, s[0:3], 0 offset:112
	buffer_load_dword v54, off, s[0:3], 0 offset:116
	s_waitcnt vmcnt(0)
	ds_write_b64 v51, v[53:54]
	buffer_store_dword v52, off, s[0:3], 0 offset:112
	buffer_store_dword v52, off, s[0:3], 0 offset:116
.LBB24_135:
	s_or_b64 exec, exec, s[4:5]
	s_waitcnt lgkmcnt(0)
	; wave barrier
	buffer_load_dword v73, off, s[0:3], 0 offset:124
	buffer_load_dword v74, off, s[0:3], 0 offset:132
	;; [unrolled: 1-line block ×22, first 2 shown]
	ds_read2_b64 v[53:56], v52 offset0:41 offset1:42
	ds_read2_b64 v[57:60], v52 offset0:43 offset1:44
	;; [unrolled: 1-line block ×5, first 2 shown]
	v_cmp_lt_u32_e32 vcc, 13, v0
	s_waitcnt vmcnt(21) lgkmcnt(4)
	v_mul_f32_e32 v52, v53, v73
	v_mul_f32_e32 v73, v54, v73
	s_waitcnt vmcnt(20)
	v_mul_f32_e32 v95, v55, v74
	v_mul_f32_e32 v74, v56, v74
	s_waitcnt vmcnt(19) lgkmcnt(3)
	v_mul_f32_e32 v96, v57, v75
	v_mul_f32_e32 v75, v58, v75
	s_waitcnt vmcnt(18)
	v_mul_f32_e32 v97, v59, v76
	v_mul_f32_e32 v76, v60, v76
	s_waitcnt vmcnt(17) lgkmcnt(2)
	v_mul_f32_e32 v98, v61, v77
	v_mul_f32_e32 v77, v62, v77
	s_waitcnt vmcnt(11)
	v_fma_f32 v53, v53, v83, -v73
	v_fmac_f32_e32 v52, v54, v83
	s_waitcnt vmcnt(10)
	v_fma_f32 v54, v55, v84, -v74
	v_add_f32_e32 v53, 0, v53
	v_fmac_f32_e32 v95, v56, v84
	s_waitcnt vmcnt(9)
	v_fma_f32 v55, v57, v85, -v75
	v_add_f32_e32 v52, 0, v52
	v_add_f32_e32 v53, v53, v54
	v_fmac_f32_e32 v96, v58, v85
	s_waitcnt vmcnt(8)
	v_fma_f32 v56, v59, v86, -v76
	v_add_f32_e32 v52, v52, v95
	v_add_f32_e32 v53, v53, v55
	v_mul_f32_e32 v99, v63, v78
	v_mul_f32_e32 v78, v64, v78
	v_fmac_f32_e32 v97, v60, v86
	s_waitcnt vmcnt(7)
	v_fma_f32 v57, v61, v87, -v77
	v_add_f32_e32 v52, v52, v96
	v_add_f32_e32 v53, v53, v56
	s_waitcnt lgkmcnt(1)
	v_mul_f32_e32 v100, v65, v79
	v_mul_f32_e32 v79, v66, v79
	v_fmac_f32_e32 v98, v62, v87
	s_waitcnt vmcnt(6)
	v_fma_f32 v58, v63, v88, -v78
	v_add_f32_e32 v52, v52, v97
	v_add_f32_e32 v53, v53, v57
	v_mul_f32_e32 v101, v67, v80
	v_mul_f32_e32 v80, v68, v80
	v_fmac_f32_e32 v99, v64, v88
	s_waitcnt vmcnt(5)
	v_fma_f32 v59, v65, v89, -v79
	v_add_f32_e32 v52, v52, v98
	v_add_f32_e32 v53, v53, v58
	s_waitcnt lgkmcnt(0)
	v_mul_f32_e32 v102, v69, v81
	v_mul_f32_e32 v81, v70, v81
	v_fmac_f32_e32 v100, v66, v89
	s_waitcnt vmcnt(4)
	v_fma_f32 v60, v67, v90, -v80
	v_add_f32_e32 v52, v52, v99
	v_add_f32_e32 v53, v53, v59
	v_mul_f32_e32 v103, v71, v82
	v_mul_f32_e32 v82, v72, v82
	v_fmac_f32_e32 v101, v68, v90
	s_waitcnt vmcnt(3)
	v_fma_f32 v61, v69, v91, -v81
	v_add_f32_e32 v52, v52, v100
	v_add_f32_e32 v53, v53, v60
	v_fmac_f32_e32 v102, v70, v91
	s_waitcnt vmcnt(2)
	v_fma_f32 v62, v71, v92, -v82
	v_add_f32_e32 v52, v52, v101
	v_add_f32_e32 v53, v53, v61
	v_fmac_f32_e32 v103, v72, v92
	v_add_f32_e32 v52, v52, v102
	v_add_f32_e32 v53, v53, v62
	;; [unrolled: 1-line block ×3, first 2 shown]
	s_waitcnt vmcnt(1)
	v_sub_f32_e32 v53, v93, v53
	s_waitcnt vmcnt(0)
	v_sub_f32_e32 v52, v94, v52
	buffer_store_dword v53, off, s[0:3], 0 offset:112
	buffer_store_dword v52, off, s[0:3], 0 offset:116
	s_and_saveexec_b64 s[4:5], vcc
	s_cbranch_execz .LBB24_137
; %bb.136:
	buffer_load_dword v52, off, s[0:3], 0 offset:104
	buffer_load_dword v53, off, s[0:3], 0 offset:108
	v_mov_b32_e32 v54, 0
	buffer_store_dword v54, off, s[0:3], 0 offset:104
	buffer_store_dword v54, off, s[0:3], 0 offset:108
	s_waitcnt vmcnt(2)
	ds_write_b64 v51, v[52:53]
.LBB24_137:
	s_or_b64 exec, exec, s[4:5]
	s_waitcnt lgkmcnt(0)
	; wave barrier
	buffer_load_dword v75, off, s[0:3], 0 offset:116
	buffer_load_dword v76, off, s[0:3], 0 offset:124
	;; [unrolled: 1-line block ×24, first 2 shown]
	v_mov_b32_e32 v52, 0
	ds_read_b128 v[53:56], v52 offset:320
	ds_read_b128 v[57:60], v52 offset:336
	;; [unrolled: 1-line block ×5, first 2 shown]
	ds_read_b64 v[73:74], v52 offset:400
	v_cmp_lt_u32_e32 vcc, 12, v0
	s_waitcnt vmcnt(23) lgkmcnt(5)
	v_mul_f32_e32 v99, v53, v75
	v_mul_f32_e32 v75, v54, v75
	s_waitcnt vmcnt(22)
	v_mul_f32_e32 v100, v55, v76
	v_mul_f32_e32 v76, v56, v76
	s_waitcnt vmcnt(21) lgkmcnt(4)
	v_mul_f32_e32 v101, v57, v77
	v_mul_f32_e32 v77, v58, v77
	s_waitcnt vmcnt(20)
	v_mul_f32_e32 v102, v59, v78
	s_waitcnt vmcnt(19) lgkmcnt(3)
	v_mul_f32_e32 v103, v61, v79
	v_mul_f32_e32 v78, v60, v78
	;; [unrolled: 1-line block ×3, first 2 shown]
	s_waitcnt vmcnt(18)
	v_mul_f32_e32 v104, v63, v80
	s_waitcnt vmcnt(12)
	v_fma_f32 v53, v53, v86, -v75
	v_fmac_f32_e32 v99, v54, v86
	s_waitcnt vmcnt(11)
	v_fma_f32 v54, v55, v87, -v76
	v_add_f32_e32 v53, 0, v53
	s_waitcnt vmcnt(10)
	v_fma_f32 v55, v57, v88, -v77
	v_add_f32_e32 v53, v53, v54
	v_fmac_f32_e32 v100, v56, v87
	s_waitcnt vmcnt(8)
	v_fmac_f32_e32 v103, v62, v90
	v_fma_f32 v56, v59, v89, -v78
	v_add_f32_e32 v62, 0, v99
	v_add_f32_e32 v53, v53, v55
	v_mul_f32_e32 v80, v64, v80
	v_fmac_f32_e32 v101, v58, v88
	v_fma_f32 v57, v61, v90, -v79
	v_add_f32_e32 v62, v62, v100
	v_add_f32_e32 v53, v53, v56
	s_waitcnt lgkmcnt(2)
	v_mul_f32_e32 v105, v65, v81
	v_mul_f32_e32 v81, v66, v81
	v_fmac_f32_e32 v102, v60, v89
	s_waitcnt vmcnt(7)
	v_fma_f32 v58, v63, v91, -v80
	v_add_f32_e32 v54, v62, v101
	v_add_f32_e32 v53, v53, v57
	v_mul_f32_e32 v106, v67, v82
	v_mul_f32_e32 v82, v68, v82
	s_waitcnt vmcnt(6)
	v_fma_f32 v59, v65, v92, -v81
	v_add_f32_e32 v54, v54, v102
	v_add_f32_e32 v53, v53, v58
	s_waitcnt lgkmcnt(1)
	v_mul_f32_e32 v107, v69, v83
	v_mul_f32_e32 v83, v70, v83
	v_fmac_f32_e32 v104, v64, v91
	s_waitcnt vmcnt(5)
	v_fma_f32 v60, v67, v93, -v82
	v_add_f32_e32 v54, v54, v103
	v_add_f32_e32 v53, v53, v59
	v_fmac_f32_e32 v105, v66, v92
	s_waitcnt vmcnt(4)
	v_fma_f32 v61, v69, v94, -v83
	v_add_f32_e32 v54, v54, v104
	v_add_f32_e32 v53, v53, v60
	v_mul_f32_e32 v55, v72, v84
	v_fmac_f32_e32 v106, v68, v93
	v_add_f32_e32 v54, v54, v105
	v_add_f32_e32 v53, v53, v61
	s_waitcnt vmcnt(3)
	v_fma_f32 v55, v71, v95, -v55
	v_mul_f32_e32 v108, v71, v84
	v_fmac_f32_e32 v107, v70, v94
	v_add_f32_e32 v54, v54, v106
	v_add_f32_e32 v53, v53, v55
	s_waitcnt lgkmcnt(0)
	v_mul_f32_e32 v55, v74, v85
	v_mul_f32_e32 v109, v73, v85
	v_fmac_f32_e32 v108, v72, v95
	v_add_f32_e32 v54, v54, v107
	s_waitcnt vmcnt(2)
	v_fma_f32 v55, v73, v96, -v55
	v_fmac_f32_e32 v109, v74, v96
	v_add_f32_e32 v54, v54, v108
	v_add_f32_e32 v53, v53, v55
	;; [unrolled: 1-line block ×3, first 2 shown]
	s_waitcnt vmcnt(1)
	v_sub_f32_e32 v53, v97, v53
	s_waitcnt vmcnt(0)
	v_sub_f32_e32 v54, v98, v54
	buffer_store_dword v53, off, s[0:3], 0 offset:104
	buffer_store_dword v54, off, s[0:3], 0 offset:108
	s_and_saveexec_b64 s[4:5], vcc
	s_cbranch_execz .LBB24_139
; %bb.138:
	buffer_load_dword v53, off, s[0:3], 0 offset:96
	buffer_load_dword v54, off, s[0:3], 0 offset:100
	s_waitcnt vmcnt(0)
	ds_write_b64 v51, v[53:54]
	buffer_store_dword v52, off, s[0:3], 0 offset:96
	buffer_store_dword v52, off, s[0:3], 0 offset:100
.LBB24_139:
	s_or_b64 exec, exec, s[4:5]
	s_waitcnt lgkmcnt(0)
	; wave barrier
	buffer_load_dword v77, off, s[0:3], 0 offset:108
	buffer_load_dword v78, off, s[0:3], 0 offset:116
	;; [unrolled: 1-line block ×26, first 2 shown]
	ds_read2_b64 v[53:56], v52 offset0:39 offset1:40
	ds_read2_b64 v[57:60], v52 offset0:41 offset1:42
	;; [unrolled: 1-line block ×6, first 2 shown]
	v_cmp_lt_u32_e32 vcc, 11, v0
	s_waitcnt vmcnt(25) lgkmcnt(5)
	v_mul_f32_e32 v52, v53, v77
	v_mul_f32_e32 v77, v54, v77
	s_waitcnt vmcnt(24)
	v_mul_f32_e32 v103, v55, v78
	v_mul_f32_e32 v78, v56, v78
	s_waitcnt vmcnt(23) lgkmcnt(4)
	v_mul_f32_e32 v104, v57, v79
	v_mul_f32_e32 v79, v58, v79
	s_waitcnt vmcnt(22)
	v_mul_f32_e32 v105, v59, v80
	v_mul_f32_e32 v80, v60, v80
	;; [unrolled: 6-line block ×3, first 2 shown]
	s_waitcnt vmcnt(13)
	v_fma_f32 v53, v53, v89, -v77
	v_fmac_f32_e32 v52, v54, v89
	s_waitcnt vmcnt(12)
	v_fma_f32 v54, v55, v90, -v78
	v_add_f32_e32 v53, 0, v53
	s_waitcnt vmcnt(11)
	v_fma_f32 v55, v57, v91, -v79
	v_add_f32_e32 v53, v53, v54
	v_fmac_f32_e32 v103, v56, v90
	s_waitcnt vmcnt(10)
	v_fma_f32 v56, v59, v92, -v80
	v_add_f32_e32 v53, v53, v55
	s_waitcnt vmcnt(9)
	v_fma_f32 v57, v61, v93, -v81
	v_add_f32_e32 v53, v53, v56
	s_waitcnt lgkmcnt(2)
	v_mul_f32_e32 v108, v65, v83
	v_mul_f32_e32 v83, v66, v83
	v_fmac_f32_e32 v104, v58, v91
	s_waitcnt vmcnt(8)
	v_fma_f32 v58, v63, v94, -v82
	v_add_f32_e32 v52, 0, v52
	v_add_f32_e32 v53, v53, v57
	v_mul_f32_e32 v109, v67, v84
	v_mul_f32_e32 v84, v68, v84
	s_waitcnt vmcnt(7)
	v_fma_f32 v59, v65, v95, -v83
	v_add_f32_e32 v52, v52, v103
	v_add_f32_e32 v53, v53, v58
	v_fmac_f32_e32 v105, v60, v92
	s_waitcnt vmcnt(6)
	v_fma_f32 v60, v67, v96, -v84
	v_add_f32_e32 v52, v52, v104
	v_add_f32_e32 v53, v53, v59
	s_waitcnt lgkmcnt(1)
	v_mul_f32_e32 v54, v70, v85
	v_fmac_f32_e32 v106, v62, v93
	v_add_f32_e32 v52, v52, v105
	v_add_f32_e32 v53, v53, v60
	s_waitcnt vmcnt(5)
	v_fma_f32 v54, v69, v97, -v54
	v_fmac_f32_e32 v107, v64, v94
	v_add_f32_e32 v52, v52, v106
	v_add_f32_e32 v53, v53, v54
	v_mul_f32_e32 v54, v72, v86
	v_fmac_f32_e32 v108, v66, v95
	v_add_f32_e32 v52, v52, v107
	s_waitcnt vmcnt(4)
	v_fma_f32 v54, v71, v98, -v54
	v_mul_f32_e32 v110, v69, v85
	v_fmac_f32_e32 v109, v68, v96
	v_add_f32_e32 v52, v52, v108
	v_add_f32_e32 v53, v53, v54
	s_waitcnt lgkmcnt(0)
	v_mul_f32_e32 v54, v74, v87
	v_mul_f32_e32 v111, v71, v86
	v_fmac_f32_e32 v110, v70, v97
	v_add_f32_e32 v52, v52, v109
	s_waitcnt vmcnt(3)
	v_fma_f32 v54, v73, v99, -v54
	v_mul_f32_e32 v112, v73, v87
	v_fmac_f32_e32 v111, v72, v98
	v_add_f32_e32 v52, v52, v110
	v_add_f32_e32 v53, v53, v54
	v_mul_f32_e32 v54, v76, v88
	v_mul_f32_e32 v113, v75, v88
	v_fmac_f32_e32 v112, v74, v99
	v_add_f32_e32 v52, v52, v111
	s_waitcnt vmcnt(2)
	v_fma_f32 v54, v75, v100, -v54
	v_fmac_f32_e32 v113, v76, v100
	v_add_f32_e32 v52, v52, v112
	v_add_f32_e32 v53, v53, v54
	;; [unrolled: 1-line block ×3, first 2 shown]
	s_waitcnt vmcnt(1)
	v_sub_f32_e32 v53, v101, v53
	s_waitcnt vmcnt(0)
	v_sub_f32_e32 v52, v102, v52
	buffer_store_dword v53, off, s[0:3], 0 offset:96
	buffer_store_dword v52, off, s[0:3], 0 offset:100
	s_and_saveexec_b64 s[4:5], vcc
	s_cbranch_execz .LBB24_141
; %bb.140:
	buffer_load_dword v52, off, s[0:3], 0 offset:88
	buffer_load_dword v53, off, s[0:3], 0 offset:92
	v_mov_b32_e32 v54, 0
	buffer_store_dword v54, off, s[0:3], 0 offset:88
	buffer_store_dword v54, off, s[0:3], 0 offset:92
	s_waitcnt vmcnt(2)
	ds_write_b64 v51, v[52:53]
.LBB24_141:
	s_or_b64 exec, exec, s[4:5]
	s_waitcnt lgkmcnt(0)
	; wave barrier
	buffer_load_dword v79, off, s[0:3], 0 offset:100
	buffer_load_dword v80, off, s[0:3], 0 offset:108
	;; [unrolled: 1-line block ×28, first 2 shown]
	v_mov_b32_e32 v52, 0
	ds_read_b128 v[53:56], v52 offset:304
	ds_read_b128 v[57:60], v52 offset:320
	;; [unrolled: 1-line block ×6, first 2 shown]
	ds_read_b64 v[77:78], v52 offset:400
	v_cmp_lt_u32_e32 vcc, 10, v0
	s_waitcnt vmcnt(27) lgkmcnt(6)
	v_mul_f32_e32 v107, v53, v79
	v_mul_f32_e32 v79, v54, v79
	s_waitcnt vmcnt(26)
	v_mul_f32_e32 v108, v55, v80
	v_mul_f32_e32 v80, v56, v80
	s_waitcnt vmcnt(25) lgkmcnt(5)
	v_mul_f32_e32 v109, v57, v81
	v_mul_f32_e32 v81, v58, v81
	s_waitcnt vmcnt(24)
	v_mul_f32_e32 v110, v59, v82
	v_mul_f32_e32 v82, v60, v82
	s_waitcnt vmcnt(23) lgkmcnt(4)
	v_mul_f32_e32 v111, v61, v83
	v_mul_f32_e32 v83, v62, v83
	s_waitcnt vmcnt(22)
	v_mul_f32_e32 v112, v63, v84
	v_mul_f32_e32 v84, v64, v84
	s_waitcnt vmcnt(21) lgkmcnt(3)
	v_mul_f32_e32 v113, v65, v85
	s_waitcnt vmcnt(14)
	v_fma_f32 v53, v53, v92, -v79
	v_fmac_f32_e32 v107, v54, v92
	s_waitcnt vmcnt(13)
	v_fma_f32 v54, v55, v93, -v80
	v_add_f32_e32 v53, 0, v53
	s_waitcnt vmcnt(12)
	v_fma_f32 v55, v57, v94, -v81
	v_add_f32_e32 v53, v53, v54
	v_fmac_f32_e32 v108, v56, v93
	s_waitcnt vmcnt(11)
	v_fma_f32 v56, v59, v95, -v82
	v_add_f32_e32 v53, v53, v55
	s_waitcnt vmcnt(10)
	v_fma_f32 v57, v61, v96, -v83
	v_add_f32_e32 v53, v53, v56
	v_fmac_f32_e32 v109, v58, v94
	s_waitcnt vmcnt(9)
	v_fma_f32 v58, v63, v97, -v84
	v_add_f32_e32 v53, v53, v57
	v_mul_f32_e32 v55, v66, v85
	v_add_f32_e32 v53, v53, v58
	s_waitcnt vmcnt(8)
	v_fma_f32 v55, v65, v98, -v55
	v_add_f32_e32 v53, v53, v55
	v_mul_f32_e32 v55, v68, v86
	v_add_f32_e32 v59, 0, v107
	s_waitcnt vmcnt(7)
	v_fma_f32 v55, v67, v99, -v55
	v_add_f32_e32 v59, v59, v108
	v_add_f32_e32 v53, v53, v55
	s_waitcnt lgkmcnt(2)
	v_mul_f32_e32 v55, v70, v87
	v_fmac_f32_e32 v110, v60, v95
	v_add_f32_e32 v54, v59, v109
	s_waitcnt vmcnt(6)
	v_fma_f32 v55, v69, v100, -v55
	v_fmac_f32_e32 v111, v62, v96
	v_add_f32_e32 v54, v54, v110
	v_add_f32_e32 v53, v53, v55
	v_mul_f32_e32 v55, v72, v88
	v_fmac_f32_e32 v112, v64, v97
	v_add_f32_e32 v54, v54, v111
	s_waitcnt vmcnt(5)
	v_fma_f32 v55, v71, v101, -v55
	v_mul_f32_e32 v114, v67, v86
	v_fmac_f32_e32 v113, v66, v98
	v_add_f32_e32 v54, v54, v112
	v_add_f32_e32 v53, v53, v55
	s_waitcnt lgkmcnt(1)
	v_mul_f32_e32 v55, v74, v89
	v_mul_f32_e32 v115, v69, v87
	v_fmac_f32_e32 v114, v68, v99
	v_add_f32_e32 v54, v54, v113
	s_waitcnt vmcnt(4)
	v_fma_f32 v55, v73, v102, -v55
	v_mul_f32_e32 v116, v71, v88
	v_fmac_f32_e32 v115, v70, v100
	v_add_f32_e32 v54, v54, v114
	v_add_f32_e32 v53, v53, v55
	v_mul_f32_e32 v55, v76, v90
	v_mul_f32_e32 v117, v73, v89
	v_fmac_f32_e32 v116, v72, v101
	v_add_f32_e32 v54, v54, v115
	s_waitcnt vmcnt(3)
	v_fma_f32 v55, v75, v103, -v55
	v_mul_f32_e32 v118, v75, v90
	v_fmac_f32_e32 v117, v74, v102
	v_add_f32_e32 v54, v54, v116
	v_add_f32_e32 v53, v53, v55
	s_waitcnt lgkmcnt(0)
	v_mul_f32_e32 v55, v78, v91
	v_mul_f32_e32 v119, v77, v91
	v_fmac_f32_e32 v118, v76, v103
	v_add_f32_e32 v54, v54, v117
	s_waitcnt vmcnt(2)
	v_fma_f32 v55, v77, v104, -v55
	v_fmac_f32_e32 v119, v78, v104
	v_add_f32_e32 v54, v54, v118
	v_add_f32_e32 v53, v53, v55
	;; [unrolled: 1-line block ×3, first 2 shown]
	s_waitcnt vmcnt(1)
	v_sub_f32_e32 v53, v105, v53
	s_waitcnt vmcnt(0)
	v_sub_f32_e32 v54, v106, v54
	buffer_store_dword v53, off, s[0:3], 0 offset:88
	buffer_store_dword v54, off, s[0:3], 0 offset:92
	s_and_saveexec_b64 s[4:5], vcc
	s_cbranch_execz .LBB24_143
; %bb.142:
	buffer_load_dword v53, off, s[0:3], 0 offset:80
	buffer_load_dword v54, off, s[0:3], 0 offset:84
	s_waitcnt vmcnt(0)
	ds_write_b64 v51, v[53:54]
	buffer_store_dword v52, off, s[0:3], 0 offset:80
	buffer_store_dword v52, off, s[0:3], 0 offset:84
.LBB24_143:
	s_or_b64 exec, exec, s[4:5]
	s_waitcnt lgkmcnt(0)
	; wave barrier
	buffer_load_dword v81, off, s[0:3], 0 offset:92
	buffer_load_dword v82, off, s[0:3], 0 offset:100
	;; [unrolled: 1-line block ×30, first 2 shown]
	ds_read2_b64 v[53:56], v52 offset0:37 offset1:38
	ds_read2_b64 v[57:60], v52 offset0:39 offset1:40
	ds_read2_b64 v[61:64], v52 offset0:41 offset1:42
	ds_read2_b64 v[65:68], v52 offset0:43 offset1:44
	ds_read2_b64 v[69:72], v52 offset0:45 offset1:46
	ds_read2_b64 v[73:76], v52 offset0:47 offset1:48
	ds_read2_b64 v[77:80], v52 offset0:49 offset1:50
	v_cmp_lt_u32_e32 vcc, 9, v0
	s_waitcnt vmcnt(29) lgkmcnt(6)
	v_mul_f32_e32 v52, v53, v81
	v_mul_f32_e32 v81, v54, v81
	s_waitcnt vmcnt(28)
	v_mul_f32_e32 v111, v55, v82
	v_mul_f32_e32 v82, v56, v82
	s_waitcnt vmcnt(27) lgkmcnt(5)
	v_mul_f32_e32 v112, v57, v83
	v_mul_f32_e32 v83, v58, v83
	s_waitcnt vmcnt(26)
	v_mul_f32_e32 v113, v59, v84
	v_mul_f32_e32 v84, v60, v84
	s_waitcnt vmcnt(25) lgkmcnt(4)
	v_mul_f32_e32 v114, v61, v85
	v_mul_f32_e32 v85, v62, v85
	s_waitcnt vmcnt(24)
	v_mul_f32_e32 v115, v63, v86
	s_waitcnt vmcnt(23) lgkmcnt(3)
	v_mul_f32_e32 v116, v65, v87
	s_waitcnt vmcnt(22)
	v_mul_f32_e32 v117, v67, v88
	s_waitcnt vmcnt(21) lgkmcnt(2)
	v_mul_f32_e32 v118, v69, v89
	s_waitcnt vmcnt(15)
	v_fma_f32 v53, v53, v95, -v81
	v_fmac_f32_e32 v52, v54, v95
	s_waitcnt vmcnt(14)
	v_fma_f32 v54, v55, v96, -v82
	v_add_f32_e32 v53, 0, v53
	s_waitcnt vmcnt(13)
	v_fma_f32 v55, v57, v97, -v83
	v_add_f32_e32 v53, v53, v54
	v_fmac_f32_e32 v111, v56, v96
	s_waitcnt vmcnt(12)
	v_fma_f32 v56, v59, v98, -v84
	v_add_f32_e32 v53, v53, v55
	s_waitcnt vmcnt(11)
	v_fma_f32 v57, v61, v99, -v85
	v_add_f32_e32 v53, v53, v56
	v_mul_f32_e32 v54, v64, v86
	v_add_f32_e32 v53, v53, v57
	s_waitcnt vmcnt(10)
	v_fma_f32 v54, v63, v100, -v54
	v_add_f32_e32 v53, v53, v54
	v_mul_f32_e32 v54, v66, v87
	s_waitcnt vmcnt(9)
	v_fma_f32 v54, v65, v101, -v54
	v_add_f32_e32 v53, v53, v54
	v_mul_f32_e32 v54, v68, v88
	s_waitcnt vmcnt(8)
	v_fma_f32 v54, v67, v102, -v54
	v_add_f32_e32 v52, 0, v52
	v_add_f32_e32 v53, v53, v54
	v_mul_f32_e32 v54, v70, v89
	v_fmac_f32_e32 v112, v58, v97
	v_add_f32_e32 v52, v52, v111
	s_waitcnt vmcnt(7)
	v_fma_f32 v54, v69, v103, -v54
	v_fmac_f32_e32 v113, v60, v98
	v_add_f32_e32 v52, v52, v112
	v_add_f32_e32 v53, v53, v54
	v_mul_f32_e32 v54, v72, v90
	v_fmac_f32_e32 v114, v62, v99
	v_add_f32_e32 v52, v52, v113
	s_waitcnt vmcnt(6)
	v_fma_f32 v54, v71, v104, -v54
	v_fmac_f32_e32 v115, v64, v100
	v_add_f32_e32 v52, v52, v114
	v_add_f32_e32 v53, v53, v54
	s_waitcnt lgkmcnt(1)
	v_mul_f32_e32 v54, v74, v91
	v_fmac_f32_e32 v116, v66, v101
	v_add_f32_e32 v52, v52, v115
	s_waitcnt vmcnt(5)
	v_fma_f32 v54, v73, v105, -v54
	v_fmac_f32_e32 v117, v68, v102
	v_add_f32_e32 v52, v52, v116
	v_add_f32_e32 v53, v53, v54
	v_mul_f32_e32 v54, v76, v92
	v_mul_f32_e32 v119, v71, v90
	v_fmac_f32_e32 v118, v70, v103
	v_add_f32_e32 v52, v52, v117
	s_waitcnt vmcnt(4)
	v_fma_f32 v54, v75, v106, -v54
	v_mul_f32_e32 v120, v73, v91
	v_fmac_f32_e32 v119, v72, v104
	v_add_f32_e32 v52, v52, v118
	v_add_f32_e32 v53, v53, v54
	s_waitcnt lgkmcnt(0)
	v_mul_f32_e32 v54, v78, v93
	v_mul_f32_e32 v121, v75, v92
	v_fmac_f32_e32 v120, v74, v105
	v_add_f32_e32 v52, v52, v119
	s_waitcnt vmcnt(3)
	v_fma_f32 v54, v77, v107, -v54
	v_mul_f32_e32 v122, v77, v93
	v_fmac_f32_e32 v121, v76, v106
	v_add_f32_e32 v52, v52, v120
	v_add_f32_e32 v53, v53, v54
	v_mul_f32_e32 v54, v80, v94
	v_mul_f32_e32 v123, v79, v94
	v_fmac_f32_e32 v122, v78, v107
	v_add_f32_e32 v52, v52, v121
	s_waitcnt vmcnt(2)
	v_fma_f32 v54, v79, v108, -v54
	v_fmac_f32_e32 v123, v80, v108
	v_add_f32_e32 v52, v52, v122
	v_add_f32_e32 v53, v53, v54
	;; [unrolled: 1-line block ×3, first 2 shown]
	s_waitcnt vmcnt(1)
	v_sub_f32_e32 v53, v109, v53
	s_waitcnt vmcnt(0)
	v_sub_f32_e32 v52, v110, v52
	buffer_store_dword v53, off, s[0:3], 0 offset:80
	buffer_store_dword v52, off, s[0:3], 0 offset:84
	s_and_saveexec_b64 s[4:5], vcc
	s_cbranch_execz .LBB24_145
; %bb.144:
	buffer_load_dword v52, off, s[0:3], 0 offset:72
	buffer_load_dword v53, off, s[0:3], 0 offset:76
	v_mov_b32_e32 v54, 0
	buffer_store_dword v54, off, s[0:3], 0 offset:72
	buffer_store_dword v54, off, s[0:3], 0 offset:76
	s_waitcnt vmcnt(2)
	ds_write_b64 v51, v[52:53]
.LBB24_145:
	s_or_b64 exec, exec, s[4:5]
	v_mov_b32_e32 v52, 0
	s_waitcnt lgkmcnt(0)
	; wave barrier
	ds_read_b128 v[53:56], v52 offset:288
	ds_read_b128 v[57:60], v52 offset:304
	;; [unrolled: 1-line block ×4, first 2 shown]
	buffer_load_dword v83, off, s[0:3], 0 offset:72
	buffer_load_dword v84, off, s[0:3], 0 offset:76
	buffer_load_dword v85, off, s[0:3], 0 offset:80
	buffer_load_dword v86, off, s[0:3], 0 offset:84
	buffer_load_dword v87, off, s[0:3], 0 offset:88
	buffer_load_dword v88, off, s[0:3], 0 offset:92
	buffer_load_dword v89, off, s[0:3], 0 offset:96
	buffer_load_dword v90, off, s[0:3], 0 offset:100
	buffer_load_dword v91, off, s[0:3], 0 offset:104
	buffer_load_dword v92, off, s[0:3], 0 offset:108
	buffer_load_dword v93, off, s[0:3], 0 offset:112
	buffer_load_dword v94, off, s[0:3], 0 offset:116
	buffer_load_dword v95, off, s[0:3], 0 offset:120
	buffer_load_dword v96, off, s[0:3], 0 offset:124
	buffer_load_dword v97, off, s[0:3], 0 offset:128
	buffer_load_dword v98, off, s[0:3], 0 offset:132
	buffer_load_dword v99, off, s[0:3], 0 offset:136
	buffer_load_dword v100, off, s[0:3], 0 offset:140
	v_cmp_lt_u32_e32 vcc, 8, v0
	s_waitcnt vmcnt(14) lgkmcnt(3)
	v_mul_f32_e32 v69, v53, v86
	v_fmac_f32_e32 v69, v54, v85
	s_waitcnt vmcnt(12)
	v_mul_f32_e32 v70, v55, v88
	v_add_f32_e32 v69, 0, v69
	v_fmac_f32_e32 v70, v56, v87
	v_add_f32_e32 v69, v69, v70
	s_waitcnt vmcnt(10) lgkmcnt(2)
	v_mul_f32_e32 v70, v57, v90
	v_fmac_f32_e32 v70, v58, v89
	v_add_f32_e32 v69, v69, v70
	s_waitcnt vmcnt(8)
	v_mul_f32_e32 v70, v59, v92
	v_fmac_f32_e32 v70, v60, v91
	v_add_f32_e32 v69, v69, v70
	s_waitcnt vmcnt(6) lgkmcnt(1)
	v_mul_f32_e32 v70, v61, v94
	v_fmac_f32_e32 v70, v62, v93
	v_add_f32_e32 v69, v69, v70
	s_waitcnt vmcnt(4)
	v_mul_f32_e32 v70, v63, v96
	;; [unrolled: 8-line block ×3, first 2 shown]
	v_fmac_f32_e32 v70, v68, v99
	v_add_f32_e32 v73, v69, v70
	ds_read_b128 v[69:72], v52 offset:352
	buffer_load_dword v101, off, s[0:3], 0 offset:144
	buffer_load_dword v102, off, s[0:3], 0 offset:148
	;; [unrolled: 1-line block ×4, first 2 shown]
	v_mul_f32_e32 v54, v54, v86
	v_fma_f32 v53, v53, v85, -v54
	v_mul_f32_e32 v54, v56, v88
	v_add_f32_e32 v53, 0, v53
	v_fma_f32 v54, v55, v87, -v54
	v_add_f32_e32 v53, v53, v54
	v_mul_f32_e32 v54, v58, v90
	v_fma_f32 v54, v57, v89, -v54
	v_add_f32_e32 v53, v53, v54
	v_mul_f32_e32 v54, v60, v92
	;; [unrolled: 3-line block ×6, first 2 shown]
	v_fma_f32 v54, v67, v99, -v54
	v_add_f32_e32 v53, v53, v54
	s_waitcnt vmcnt(2) lgkmcnt(0)
	v_mul_f32_e32 v74, v69, v102
	v_fmac_f32_e32 v74, v70, v101
	v_add_f32_e32 v73, v73, v74
	s_waitcnt vmcnt(0)
	v_mul_f32_e32 v74, v71, v104
	v_fmac_f32_e32 v74, v72, v103
	v_add_f32_e32 v77, v73, v74
	ds_read_b128 v[73:76], v52 offset:368
	buffer_load_dword v105, off, s[0:3], 0 offset:160
	buffer_load_dword v106, off, s[0:3], 0 offset:164
	buffer_load_dword v107, off, s[0:3], 0 offset:168
	buffer_load_dword v108, off, s[0:3], 0 offset:172
	v_mul_f32_e32 v54, v70, v102
	v_fma_f32 v54, v69, v101, -v54
	v_add_f32_e32 v53, v53, v54
	v_mul_f32_e32 v54, v72, v104
	v_fma_f32 v54, v71, v103, -v54
	v_add_f32_e32 v53, v53, v54
	s_waitcnt vmcnt(2) lgkmcnt(0)
	v_mul_f32_e32 v78, v73, v106
	v_fmac_f32_e32 v78, v74, v105
	v_add_f32_e32 v77, v77, v78
	s_waitcnt vmcnt(0)
	v_mul_f32_e32 v78, v75, v108
	v_fmac_f32_e32 v78, v76, v107
	v_add_f32_e32 v81, v77, v78
	ds_read_b128 v[77:80], v52 offset:384
	buffer_load_dword v109, off, s[0:3], 0 offset:176
	buffer_load_dword v110, off, s[0:3], 0 offset:180
	;; [unrolled: 1-line block ×4, first 2 shown]
	v_mul_f32_e32 v54, v74, v106
	v_fma_f32 v54, v73, v105, -v54
	v_add_f32_e32 v53, v53, v54
	v_mul_f32_e32 v54, v76, v108
	v_fma_f32 v54, v75, v107, -v54
	v_add_f32_e32 v53, v53, v54
	s_waitcnt vmcnt(2) lgkmcnt(0)
	v_mul_f32_e32 v82, v77, v110
	v_fmac_f32_e32 v82, v78, v109
	v_add_f32_e32 v81, v81, v82
	s_waitcnt vmcnt(0)
	v_mul_f32_e32 v82, v79, v112
	v_fmac_f32_e32 v82, v80, v111
	v_add_f32_e32 v113, v81, v82
	ds_read_b64 v[81:82], v52 offset:400
	buffer_load_dword v114, off, s[0:3], 0 offset:192
	buffer_load_dword v115, off, s[0:3], 0 offset:196
	v_mul_f32_e32 v54, v78, v110
	v_fma_f32 v54, v77, v109, -v54
	v_add_f32_e32 v53, v53, v54
	v_mul_f32_e32 v54, v80, v112
	v_fma_f32 v54, v79, v111, -v54
	v_add_f32_e32 v53, v53, v54
	s_waitcnt vmcnt(0) lgkmcnt(0)
	v_mul_f32_e32 v54, v82, v115
	v_mul_f32_e32 v116, v81, v115
	v_fma_f32 v54, v81, v114, -v54
	v_fmac_f32_e32 v116, v82, v114
	v_add_f32_e32 v53, v53, v54
	v_add_f32_e32 v113, v113, v116
	v_sub_f32_e32 v53, v83, v53
	v_sub_f32_e32 v54, v84, v113
	buffer_store_dword v53, off, s[0:3], 0 offset:72
	buffer_store_dword v54, off, s[0:3], 0 offset:76
	s_and_saveexec_b64 s[4:5], vcc
	s_cbranch_execz .LBB24_147
; %bb.146:
	buffer_load_dword v53, off, s[0:3], 0 offset:64
	buffer_load_dword v54, off, s[0:3], 0 offset:68
	s_waitcnt vmcnt(0)
	ds_write_b64 v51, v[53:54]
	buffer_store_dword v52, off, s[0:3], 0 offset:64
	buffer_store_dword v52, off, s[0:3], 0 offset:68
.LBB24_147:
	s_or_b64 exec, exec, s[4:5]
	s_waitcnt lgkmcnt(0)
	; wave barrier
	ds_read2_b64 v[53:56], v52 offset0:35 offset1:36
	buffer_load_dword v85, off, s[0:3], 0 offset:64
	buffer_load_dword v86, off, s[0:3], 0 offset:68
	buffer_load_dword v87, off, s[0:3], 0 offset:72
	buffer_load_dword v88, off, s[0:3], 0 offset:76
	buffer_load_dword v89, off, s[0:3], 0 offset:80
	buffer_load_dword v90, off, s[0:3], 0 offset:84
	buffer_load_dword v91, off, s[0:3], 0 offset:88
	buffer_load_dword v92, off, s[0:3], 0 offset:92
	buffer_load_dword v93, off, s[0:3], 0 offset:96
	buffer_load_dword v94, off, s[0:3], 0 offset:100
	buffer_load_dword v95, off, s[0:3], 0 offset:104
	buffer_load_dword v96, off, s[0:3], 0 offset:108
	buffer_load_dword v97, off, s[0:3], 0 offset:112
	buffer_load_dword v98, off, s[0:3], 0 offset:116
	buffer_load_dword v99, off, s[0:3], 0 offset:120
	buffer_load_dword v100, off, s[0:3], 0 offset:124
	v_cmp_lt_u32_e32 vcc, 7, v0
	s_waitcnt vmcnt(12) lgkmcnt(0)
	v_mul_f32_e32 v57, v53, v88
	v_fmac_f32_e32 v57, v54, v87
	s_waitcnt vmcnt(10)
	v_mul_f32_e32 v58, v55, v90
	v_add_f32_e32 v57, 0, v57
	v_fmac_f32_e32 v58, v56, v89
	v_add_f32_e32 v61, v57, v58
	ds_read2_b64 v[57:60], v52 offset0:37 offset1:38
	v_mul_f32_e32 v54, v54, v88
	v_fma_f32 v53, v53, v87, -v54
	v_mul_f32_e32 v54, v56, v90
	v_add_f32_e32 v53, 0, v53
	s_waitcnt vmcnt(8) lgkmcnt(0)
	v_mul_f32_e32 v62, v57, v92
	v_fmac_f32_e32 v62, v58, v91
	v_add_f32_e32 v61, v61, v62
	s_waitcnt vmcnt(6)
	v_mul_f32_e32 v62, v59, v94
	v_fmac_f32_e32 v62, v60, v93
	v_add_f32_e32 v65, v61, v62
	ds_read2_b64 v[61:64], v52 offset0:39 offset1:40
	v_fma_f32 v54, v55, v89, -v54
	v_add_f32_e32 v53, v53, v54
	v_mul_f32_e32 v54, v58, v92
	v_fma_f32 v54, v57, v91, -v54
	s_waitcnt vmcnt(4) lgkmcnt(0)
	v_mul_f32_e32 v66, v61, v96
	v_fmac_f32_e32 v66, v62, v95
	v_add_f32_e32 v65, v65, v66
	s_waitcnt vmcnt(2)
	v_mul_f32_e32 v66, v63, v98
	v_fmac_f32_e32 v66, v64, v97
	v_add_f32_e32 v69, v65, v66
	ds_read2_b64 v[65:68], v52 offset0:41 offset1:42
	buffer_load_dword v101, off, s[0:3], 0 offset:128
	buffer_load_dword v102, off, s[0:3], 0 offset:132
	v_add_f32_e32 v53, v53, v54
	v_mul_f32_e32 v54, v60, v94
	v_fma_f32 v54, v59, v93, -v54
	s_waitcnt vmcnt(2) lgkmcnt(0)
	v_mul_f32_e32 v70, v65, v100
	v_fmac_f32_e32 v70, v66, v99
	v_add_f32_e32 v69, v69, v70
	v_add_f32_e32 v53, v53, v54
	v_mul_f32_e32 v54, v62, v96
	v_fma_f32 v54, v61, v95, -v54
	v_add_f32_e32 v53, v53, v54
	v_mul_f32_e32 v54, v64, v98
	v_fma_f32 v54, v63, v97, -v54
	;; [unrolled: 3-line block ×3, first 2 shown]
	v_add_f32_e32 v53, v53, v54
	s_waitcnt vmcnt(0)
	v_mul_f32_e32 v70, v67, v102
	v_fmac_f32_e32 v70, v68, v101
	v_add_f32_e32 v73, v69, v70
	ds_read2_b64 v[69:72], v52 offset0:43 offset1:44
	buffer_load_dword v103, off, s[0:3], 0 offset:136
	buffer_load_dword v104, off, s[0:3], 0 offset:140
	;; [unrolled: 1-line block ×4, first 2 shown]
	v_mul_f32_e32 v54, v68, v102
	v_fma_f32 v54, v67, v101, -v54
	v_add_f32_e32 v53, v53, v54
	s_waitcnt vmcnt(2) lgkmcnt(0)
	v_mul_f32_e32 v74, v69, v104
	v_fmac_f32_e32 v74, v70, v103
	v_add_f32_e32 v73, v73, v74
	s_waitcnt vmcnt(0)
	v_mul_f32_e32 v74, v71, v106
	v_fmac_f32_e32 v74, v72, v105
	v_add_f32_e32 v77, v73, v74
	ds_read2_b64 v[73:76], v52 offset0:45 offset1:46
	buffer_load_dword v107, off, s[0:3], 0 offset:152
	buffer_load_dword v108, off, s[0:3], 0 offset:156
	buffer_load_dword v109, off, s[0:3], 0 offset:160
	buffer_load_dword v110, off, s[0:3], 0 offset:164
	v_mul_f32_e32 v54, v70, v104
	v_fma_f32 v54, v69, v103, -v54
	v_add_f32_e32 v53, v53, v54
	v_mul_f32_e32 v54, v72, v106
	v_fma_f32 v54, v71, v105, -v54
	v_add_f32_e32 v53, v53, v54
	s_waitcnt vmcnt(2) lgkmcnt(0)
	v_mul_f32_e32 v78, v73, v108
	v_fmac_f32_e32 v78, v74, v107
	v_add_f32_e32 v77, v77, v78
	s_waitcnt vmcnt(0)
	v_mul_f32_e32 v78, v75, v110
	v_fmac_f32_e32 v78, v76, v109
	v_add_f32_e32 v81, v77, v78
	ds_read2_b64 v[77:80], v52 offset0:47 offset1:48
	buffer_load_dword v111, off, s[0:3], 0 offset:168
	buffer_load_dword v112, off, s[0:3], 0 offset:172
	;; [unrolled: 1-line block ×4, first 2 shown]
	v_mul_f32_e32 v54, v74, v108
	v_fma_f32 v54, v73, v107, -v54
	v_add_f32_e32 v53, v53, v54
	v_mul_f32_e32 v54, v76, v110
	v_fma_f32 v54, v75, v109, -v54
	v_add_f32_e32 v53, v53, v54
	s_waitcnt vmcnt(2) lgkmcnt(0)
	v_mul_f32_e32 v82, v77, v112
	v_fmac_f32_e32 v82, v78, v111
	v_add_f32_e32 v81, v81, v82
	s_waitcnt vmcnt(0)
	v_mul_f32_e32 v82, v79, v114
	v_fmac_f32_e32 v82, v80, v113
	v_add_f32_e32 v115, v81, v82
	ds_read2_b64 v[81:84], v52 offset0:49 offset1:50
	buffer_load_dword v52, off, s[0:3], 0 offset:184
	buffer_load_dword v116, off, s[0:3], 0 offset:188
	v_mul_f32_e32 v54, v78, v112
	v_fma_f32 v54, v77, v111, -v54
	v_add_f32_e32 v53, v53, v54
	v_mul_f32_e32 v54, v80, v114
	v_fma_f32 v54, v79, v113, -v54
	v_add_f32_e32 v53, v53, v54
	s_waitcnt vmcnt(0) lgkmcnt(0)
	v_mul_f32_e32 v117, v81, v116
	v_fmac_f32_e32 v117, v82, v52
	v_add_f32_e32 v115, v115, v117
	buffer_load_dword v117, off, s[0:3], 0 offset:192
	buffer_load_dword v118, off, s[0:3], 0 offset:196
	v_mul_f32_e32 v54, v82, v116
	v_fma_f32 v52, v81, v52, -v54
	v_add_f32_e32 v52, v53, v52
	s_waitcnt vmcnt(0)
	v_mul_f32_e32 v53, v84, v118
	v_mul_f32_e32 v119, v83, v118
	v_fma_f32 v53, v83, v117, -v53
	v_fmac_f32_e32 v119, v84, v117
	v_add_f32_e32 v52, v52, v53
	v_add_f32_e32 v115, v115, v119
	v_sub_f32_e32 v52, v85, v52
	v_sub_f32_e32 v53, v86, v115
	buffer_store_dword v52, off, s[0:3], 0 offset:64
	buffer_store_dword v53, off, s[0:3], 0 offset:68
	s_and_saveexec_b64 s[4:5], vcc
	s_cbranch_execz .LBB24_149
; %bb.148:
	buffer_load_dword v52, off, s[0:3], 0 offset:56
	buffer_load_dword v53, off, s[0:3], 0 offset:60
	v_mov_b32_e32 v54, 0
	buffer_store_dword v54, off, s[0:3], 0 offset:56
	buffer_store_dword v54, off, s[0:3], 0 offset:60
	s_waitcnt vmcnt(2)
	ds_write_b64 v51, v[52:53]
.LBB24_149:
	s_or_b64 exec, exec, s[4:5]
	v_mov_b32_e32 v52, 0
	s_waitcnt lgkmcnt(0)
	; wave barrier
	ds_read_b128 v[53:56], v52 offset:272
	ds_read_b128 v[57:60], v52 offset:288
	;; [unrolled: 1-line block ×4, first 2 shown]
	buffer_load_dword v87, off, s[0:3], 0 offset:56
	buffer_load_dword v88, off, s[0:3], 0 offset:60
	;; [unrolled: 1-line block ×18, first 2 shown]
	v_cmp_lt_u32_e32 vcc, 6, v0
	s_waitcnt vmcnt(14) lgkmcnt(3)
	v_mul_f32_e32 v69, v53, v90
	v_fmac_f32_e32 v69, v54, v89
	s_waitcnt vmcnt(12)
	v_mul_f32_e32 v70, v55, v92
	v_add_f32_e32 v69, 0, v69
	v_fmac_f32_e32 v70, v56, v91
	v_add_f32_e32 v69, v69, v70
	s_waitcnt vmcnt(10) lgkmcnt(2)
	v_mul_f32_e32 v70, v57, v94
	v_fmac_f32_e32 v70, v58, v93
	v_add_f32_e32 v69, v69, v70
	s_waitcnt vmcnt(8)
	v_mul_f32_e32 v70, v59, v96
	v_fmac_f32_e32 v70, v60, v95
	v_add_f32_e32 v69, v69, v70
	s_waitcnt vmcnt(6) lgkmcnt(1)
	v_mul_f32_e32 v70, v61, v98
	v_fmac_f32_e32 v70, v62, v97
	v_add_f32_e32 v69, v69, v70
	s_waitcnt vmcnt(4)
	v_mul_f32_e32 v70, v63, v100
	v_fmac_f32_e32 v70, v64, v99
	v_add_f32_e32 v69, v69, v70
	s_waitcnt vmcnt(2) lgkmcnt(0)
	v_mul_f32_e32 v70, v65, v102
	v_fmac_f32_e32 v70, v66, v101
	v_add_f32_e32 v69, v69, v70
	s_waitcnt vmcnt(0)
	v_mul_f32_e32 v70, v67, v104
	v_fmac_f32_e32 v70, v68, v103
	v_add_f32_e32 v73, v69, v70
	ds_read_b128 v[69:72], v52 offset:336
	buffer_load_dword v105, off, s[0:3], 0 offset:128
	buffer_load_dword v106, off, s[0:3], 0 offset:132
	;; [unrolled: 1-line block ×4, first 2 shown]
	v_mul_f32_e32 v54, v54, v90
	v_fma_f32 v53, v53, v89, -v54
	v_mul_f32_e32 v54, v56, v92
	v_add_f32_e32 v53, 0, v53
	v_fma_f32 v54, v55, v91, -v54
	v_add_f32_e32 v53, v53, v54
	v_mul_f32_e32 v54, v58, v94
	v_fma_f32 v54, v57, v93, -v54
	v_add_f32_e32 v53, v53, v54
	v_mul_f32_e32 v54, v60, v96
	;; [unrolled: 3-line block ×6, first 2 shown]
	v_fma_f32 v54, v67, v103, -v54
	v_add_f32_e32 v53, v53, v54
	s_waitcnt vmcnt(2) lgkmcnt(0)
	v_mul_f32_e32 v74, v69, v106
	v_fmac_f32_e32 v74, v70, v105
	v_add_f32_e32 v73, v73, v74
	s_waitcnt vmcnt(0)
	v_mul_f32_e32 v74, v71, v108
	v_fmac_f32_e32 v74, v72, v107
	v_add_f32_e32 v77, v73, v74
	ds_read_b128 v[73:76], v52 offset:352
	buffer_load_dword v109, off, s[0:3], 0 offset:144
	buffer_load_dword v110, off, s[0:3], 0 offset:148
	buffer_load_dword v111, off, s[0:3], 0 offset:152
	buffer_load_dword v112, off, s[0:3], 0 offset:156
	v_mul_f32_e32 v54, v70, v106
	v_fma_f32 v54, v69, v105, -v54
	v_add_f32_e32 v53, v53, v54
	v_mul_f32_e32 v54, v72, v108
	v_fma_f32 v54, v71, v107, -v54
	v_add_f32_e32 v53, v53, v54
	s_waitcnt vmcnt(2) lgkmcnt(0)
	v_mul_f32_e32 v78, v73, v110
	v_fmac_f32_e32 v78, v74, v109
	v_add_f32_e32 v77, v77, v78
	s_waitcnt vmcnt(0)
	v_mul_f32_e32 v78, v75, v112
	v_fmac_f32_e32 v78, v76, v111
	v_add_f32_e32 v81, v77, v78
	ds_read_b128 v[77:80], v52 offset:368
	buffer_load_dword v113, off, s[0:3], 0 offset:160
	buffer_load_dword v114, off, s[0:3], 0 offset:164
	buffer_load_dword v115, off, s[0:3], 0 offset:168
	buffer_load_dword v116, off, s[0:3], 0 offset:172
	v_mul_f32_e32 v54, v74, v110
	v_fma_f32 v54, v73, v109, -v54
	v_add_f32_e32 v53, v53, v54
	v_mul_f32_e32 v54, v76, v112
	;; [unrolled: 19-line block ×3, first 2 shown]
	v_fma_f32 v54, v79, v115, -v54
	v_add_f32_e32 v53, v53, v54
	s_waitcnt vmcnt(2) lgkmcnt(0)
	v_mul_f32_e32 v86, v81, v118
	v_fmac_f32_e32 v86, v82, v117
	v_add_f32_e32 v85, v85, v86
	s_waitcnt vmcnt(0)
	v_mul_f32_e32 v86, v83, v120
	v_fmac_f32_e32 v86, v84, v119
	v_add_f32_e32 v121, v85, v86
	ds_read_b64 v[85:86], v52 offset:400
	buffer_load_dword v122, off, s[0:3], 0 offset:192
	buffer_load_dword v123, off, s[0:3], 0 offset:196
	v_mul_f32_e32 v54, v82, v118
	v_fma_f32 v54, v81, v117, -v54
	v_add_f32_e32 v53, v53, v54
	v_mul_f32_e32 v54, v84, v120
	v_fma_f32 v54, v83, v119, -v54
	v_add_f32_e32 v53, v53, v54
	s_waitcnt vmcnt(0) lgkmcnt(0)
	v_mul_f32_e32 v54, v86, v123
	v_mul_f32_e32 v124, v85, v123
	v_fma_f32 v54, v85, v122, -v54
	v_fmac_f32_e32 v124, v86, v122
	v_add_f32_e32 v53, v53, v54
	v_add_f32_e32 v121, v121, v124
	v_sub_f32_e32 v53, v87, v53
	v_sub_f32_e32 v54, v88, v121
	buffer_store_dword v53, off, s[0:3], 0 offset:56
	buffer_store_dword v54, off, s[0:3], 0 offset:60
	s_and_saveexec_b64 s[4:5], vcc
	s_cbranch_execz .LBB24_151
; %bb.150:
	buffer_load_dword v53, off, s[0:3], 0 offset:48
	buffer_load_dword v54, off, s[0:3], 0 offset:52
	s_waitcnt vmcnt(0)
	ds_write_b64 v51, v[53:54]
	buffer_store_dword v52, off, s[0:3], 0 offset:48
	buffer_store_dword v52, off, s[0:3], 0 offset:52
.LBB24_151:
	s_or_b64 exec, exec, s[4:5]
	s_waitcnt lgkmcnt(0)
	; wave barrier
	buffer_load_dword v89, off, s[0:3], 0 offset:60
	buffer_load_dword v90, off, s[0:3], 0 offset:68
	;; [unrolled: 1-line block ×38, first 2 shown]
	ds_read2_b64 v[53:56], v52 offset0:33 offset1:34
	ds_read2_b64 v[57:60], v52 offset0:35 offset1:36
	;; [unrolled: 1-line block ×9, first 2 shown]
	v_cmp_lt_u32_e32 vcc, 5, v0
	s_waitcnt vmcnt(37) lgkmcnt(8)
	v_mul_f32_e32 v52, v53, v89
	s_waitcnt vmcnt(36)
	v_mul_f32_e32 v127, v55, v90
	s_waitcnt vmcnt(35) lgkmcnt(7)
	v_mul_f32_e32 v128, v57, v91
	s_waitcnt vmcnt(34)
	v_mul_f32_e32 v129, v59, v92
	s_waitcnt vmcnt(33) lgkmcnt(6)
	v_mul_f32_e32 v130, v61, v93
	s_waitcnt vmcnt(32)
	v_mul_f32_e32 v131, v63, v94
	s_waitcnt vmcnt(31) lgkmcnt(5)
	v_mul_f32_e32 v132, v65, v95
	s_waitcnt vmcnt(30)
	v_mul_f32_e32 v133, v67, v96
	s_waitcnt vmcnt(29) lgkmcnt(4)
	v_mul_f32_e32 v134, v69, v97
	s_waitcnt vmcnt(28)
	v_mul_f32_e32 v135, v71, v98
	s_waitcnt vmcnt(27) lgkmcnt(3)
	v_mul_f32_e32 v136, v73, v99
	s_waitcnt vmcnt(26)
	v_mul_f32_e32 v137, v75, v100
	s_waitcnt vmcnt(25) lgkmcnt(2)
	v_mul_f32_e32 v138, v77, v101
	s_waitcnt vmcnt(24)
	v_mul_f32_e32 v139, v79, v102
	s_waitcnt vmcnt(23) lgkmcnt(1)
	v_mul_f32_e32 v140, v81, v103
	s_waitcnt vmcnt(22)
	v_mul_f32_e32 v141, v83, v104
	s_waitcnt vmcnt(21) lgkmcnt(0)
	v_mul_f32_e32 v142, v85, v105
	s_waitcnt vmcnt(20)
	v_fmac_f32_e32 v52, v54, v106
	v_mul_f32_e32 v54, v54, v89
	v_fma_f32 v53, v53, v106, -v54
	v_mul_f32_e32 v54, v56, v90
	v_add_f32_e32 v53, 0, v53
	s_waitcnt vmcnt(19)
	v_fma_f32 v54, v55, v107, -v54
	v_add_f32_e32 v53, v53, v54
	v_mul_f32_e32 v54, v58, v91
	s_waitcnt vmcnt(18)
	v_fma_f32 v54, v57, v108, -v54
	v_add_f32_e32 v53, v53, v54
	v_mul_f32_e32 v54, v60, v92
	;; [unrolled: 4-line block ×8, first 2 shown]
	s_waitcnt vmcnt(11)
	v_fma_f32 v54, v71, v115, -v54
	v_fmac_f32_e32 v127, v56, v107
	v_add_f32_e32 v52, 0, v52
	v_add_f32_e32 v53, v53, v54
	v_mul_f32_e32 v54, v74, v99
	v_fmac_f32_e32 v128, v58, v108
	v_add_f32_e32 v52, v52, v127
	s_waitcnt vmcnt(10)
	v_fma_f32 v54, v73, v116, -v54
	v_fmac_f32_e32 v129, v60, v109
	v_add_f32_e32 v52, v52, v128
	v_add_f32_e32 v53, v53, v54
	v_mul_f32_e32 v54, v76, v100
	v_fmac_f32_e32 v130, v62, v110
	v_add_f32_e32 v52, v52, v129
	;; [unrolled: 8-line block ×7, first 2 shown]
	s_waitcnt vmcnt(4)
	v_fma_f32 v54, v85, v122, -v54
	v_fmac_f32_e32 v141, v84, v121
	v_add_f32_e32 v52, v52, v140
	v_add_f32_e32 v53, v53, v54
	s_waitcnt vmcnt(3)
	v_mul_f32_e32 v54, v88, v123
	v_add_f32_e32 v52, v52, v141
	v_fmac_f32_e32 v142, v86, v122
	v_mul_f32_e32 v127, v87, v123
	s_waitcnt vmcnt(2)
	v_fma_f32 v54, v87, v124, -v54
	v_add_f32_e32 v52, v52, v142
	v_fmac_f32_e32 v127, v88, v124
	v_add_f32_e32 v53, v53, v54
	v_add_f32_e32 v52, v52, v127
	s_waitcnt vmcnt(1)
	v_sub_f32_e32 v53, v125, v53
	s_waitcnt vmcnt(0)
	v_sub_f32_e32 v52, v126, v52
	buffer_store_dword v53, off, s[0:3], 0 offset:48
	buffer_store_dword v52, off, s[0:3], 0 offset:52
	s_and_saveexec_b64 s[4:5], vcc
	s_cbranch_execz .LBB24_153
; %bb.152:
	buffer_load_dword v52, off, s[0:3], 0 offset:40
	buffer_load_dword v53, off, s[0:3], 0 offset:44
	v_mov_b32_e32 v54, 0
	buffer_store_dword v54, off, s[0:3], 0 offset:40
	buffer_store_dword v54, off, s[0:3], 0 offset:44
	s_waitcnt vmcnt(2)
	ds_write_b64 v51, v[52:53]
.LBB24_153:
	s_or_b64 exec, exec, s[4:5]
	s_waitcnt lgkmcnt(0)
	; wave barrier
	buffer_load_dword v91, off, s[0:3], 0 offset:52
	buffer_load_dword v92, off, s[0:3], 0 offset:60
	;; [unrolled: 1-line block ×40, first 2 shown]
	v_mov_b32_e32 v52, 0
	ds_read_b128 v[53:56], v52 offset:256
	ds_read_b128 v[57:60], v52 offset:272
	;; [unrolled: 1-line block ×9, first 2 shown]
	v_cmp_lt_u32_e32 vcc, 4, v0
	s_waitcnt vmcnt(39) lgkmcnt(8)
	v_mul_f32_e32 v89, v53, v91
	s_waitcnt vmcnt(38)
	v_mul_f32_e32 v90, v55, v92
	s_waitcnt vmcnt(37) lgkmcnt(7)
	v_mul_f32_e32 v131, v57, v93
	s_waitcnt vmcnt(36)
	v_mul_f32_e32 v132, v59, v94
	;; [unrolled: 4-line block ×7, first 2 shown]
	s_waitcnt vmcnt(25) lgkmcnt(1)
	v_mul_f32_e32 v143, v81, v105
	s_waitcnt vmcnt(24)
	v_fmac_f32_e32 v89, v54, v106
	v_mul_f32_e32 v54, v54, v91
	v_fma_f32 v53, v53, v106, -v54
	v_mul_f32_e32 v54, v56, v92
	v_add_f32_e32 v53, 0, v53
	s_waitcnt vmcnt(23)
	v_fma_f32 v54, v55, v107, -v54
	v_add_f32_e32 v53, v53, v54
	v_mul_f32_e32 v54, v58, v93
	s_waitcnt vmcnt(22)
	v_fma_f32 v54, v57, v108, -v54
	v_add_f32_e32 v53, v53, v54
	v_mul_f32_e32 v54, v60, v94
	s_waitcnt vmcnt(21)
	v_fma_f32 v54, v59, v109, -v54
	v_add_f32_e32 v53, v53, v54
	v_mul_f32_e32 v54, v62, v95
	s_waitcnt vmcnt(20)
	v_fma_f32 v54, v61, v110, -v54
	v_add_f32_e32 v53, v53, v54
	v_mul_f32_e32 v54, v64, v96
	s_waitcnt vmcnt(19)
	v_fma_f32 v54, v63, v111, -v54
	v_add_f32_e32 v53, v53, v54
	v_mul_f32_e32 v54, v66, v97
	s_waitcnt vmcnt(18)
	v_fma_f32 v54, v65, v112, -v54
	v_add_f32_e32 v53, v53, v54
	v_mul_f32_e32 v54, v68, v98
	s_waitcnt vmcnt(17)
	v_fma_f32 v54, v67, v113, -v54
	v_fmac_f32_e32 v90, v56, v107
	v_add_f32_e32 v89, 0, v89
	v_add_f32_e32 v53, v53, v54
	v_mul_f32_e32 v54, v70, v99
	v_fmac_f32_e32 v131, v58, v108
	v_add_f32_e32 v89, v89, v90
	s_waitcnt vmcnt(16)
	v_fma_f32 v54, v69, v114, -v54
	v_fmac_f32_e32 v132, v60, v109
	v_add_f32_e32 v89, v89, v131
	v_add_f32_e32 v53, v53, v54
	v_mul_f32_e32 v54, v72, v100
	v_fmac_f32_e32 v133, v62, v110
	v_add_f32_e32 v89, v89, v132
	;; [unrolled: 8-line block ×6, first 2 shown]
	s_waitcnt vmcnt(11)
	v_fma_f32 v54, v79, v119, -v54
	v_fmac_f32_e32 v142, v80, v119
	v_add_f32_e32 v89, v89, v141
	v_add_f32_e32 v53, v53, v54
	v_mul_f32_e32 v54, v82, v105
	s_waitcnt vmcnt(10)
	v_fmac_f32_e32 v143, v82, v120
	v_add_f32_e32 v89, v89, v142
	s_waitcnt vmcnt(9)
	v_mul_f32_e32 v90, v83, v121
	v_fma_f32 v54, v81, v120, -v54
	v_add_f32_e32 v89, v89, v143
	s_waitcnt vmcnt(8)
	v_fmac_f32_e32 v90, v84, v122
	v_add_f32_e32 v53, v53, v54
	v_mul_f32_e32 v54, v84, v121
	v_add_f32_e32 v131, v89, v90
	ds_read_b64 v[89:90], v52 offset:400
	v_fma_f32 v54, v83, v122, -v54
	v_add_f32_e32 v53, v53, v54
	s_waitcnt vmcnt(7) lgkmcnt(1)
	v_mul_f32_e32 v54, v86, v123
	v_mul_f32_e32 v132, v85, v123
	s_waitcnt vmcnt(6)
	v_fma_f32 v54, v85, v124, -v54
	v_fmac_f32_e32 v132, v86, v124
	v_add_f32_e32 v53, v53, v54
	s_waitcnt vmcnt(5)
	v_mul_f32_e32 v54, v88, v125
	v_add_f32_e32 v131, v131, v132
	v_mul_f32_e32 v132, v87, v125
	s_waitcnt vmcnt(4)
	v_fma_f32 v54, v87, v126, -v54
	v_fmac_f32_e32 v132, v88, v126
	v_add_f32_e32 v53, v53, v54
	s_waitcnt vmcnt(3) lgkmcnt(0)
	v_mul_f32_e32 v54, v90, v127
	v_add_f32_e32 v131, v131, v132
	v_mul_f32_e32 v132, v89, v127
	s_waitcnt vmcnt(2)
	v_fma_f32 v54, v89, v128, -v54
	v_fmac_f32_e32 v132, v90, v128
	v_add_f32_e32 v53, v53, v54
	v_add_f32_e32 v131, v131, v132
	s_waitcnt vmcnt(1)
	v_sub_f32_e32 v53, v129, v53
	s_waitcnt vmcnt(0)
	v_sub_f32_e32 v54, v130, v131
	buffer_store_dword v53, off, s[0:3], 0 offset:40
	buffer_store_dword v54, off, s[0:3], 0 offset:44
	s_and_saveexec_b64 s[4:5], vcc
	s_cbranch_execz .LBB24_155
; %bb.154:
	buffer_load_dword v53, off, s[0:3], 0 offset:32
	buffer_load_dword v54, off, s[0:3], 0 offset:36
	s_waitcnt vmcnt(0)
	ds_write_b64 v51, v[53:54]
	buffer_store_dword v52, off, s[0:3], 0 offset:32
	buffer_store_dword v52, off, s[0:3], 0 offset:36
.LBB24_155:
	s_or_b64 exec, exec, s[4:5]
	s_waitcnt lgkmcnt(0)
	; wave barrier
	buffer_load_dword v93, off, s[0:3], 0 offset:44
	buffer_load_dword v94, off, s[0:3], 0 offset:52
	;; [unrolled: 1-line block ×42, first 2 shown]
	ds_read2_b64 v[53:56], v52 offset0:31 offset1:32
	ds_read2_b64 v[57:60], v52 offset0:33 offset1:34
	;; [unrolled: 1-line block ×8, first 2 shown]
	v_cmp_lt_u32_e32 vcc, 3, v0
	s_waitcnt vmcnt(41) lgkmcnt(7)
	v_mul_f32_e32 v85, v53, v93
	s_waitcnt vmcnt(40)
	v_mul_f32_e32 v86, v55, v94
	s_waitcnt vmcnt(39) lgkmcnt(6)
	v_mul_f32_e32 v87, v57, v95
	s_waitcnt vmcnt(38)
	v_mul_f32_e32 v88, v59, v96
	;; [unrolled: 4-line block ×7, first 2 shown]
	s_waitcnt vmcnt(27) lgkmcnt(0)
	v_mul_f32_e32 v141, v81, v107
	s_waitcnt vmcnt(26)
	v_fmac_f32_e32 v85, v54, v108
	v_mul_f32_e32 v54, v54, v93
	v_fma_f32 v53, v53, v108, -v54
	v_mul_f32_e32 v54, v56, v94
	v_add_f32_e32 v53, 0, v53
	s_waitcnt vmcnt(25)
	v_fma_f32 v54, v55, v109, -v54
	v_add_f32_e32 v53, v53, v54
	v_mul_f32_e32 v54, v58, v95
	s_waitcnt vmcnt(24)
	v_fma_f32 v54, v57, v110, -v54
	v_add_f32_e32 v53, v53, v54
	v_mul_f32_e32 v54, v60, v96
	;; [unrolled: 4-line block ×5, first 2 shown]
	v_fmac_f32_e32 v86, v56, v109
	v_add_f32_e32 v85, 0, v85
	s_waitcnt vmcnt(20)
	v_fma_f32 v54, v65, v114, -v54
	v_fmac_f32_e32 v87, v58, v110
	v_add_f32_e32 v85, v85, v86
	v_add_f32_e32 v53, v53, v54
	v_mul_f32_e32 v54, v68, v100
	v_fmac_f32_e32 v88, v60, v111
	v_add_f32_e32 v85, v85, v87
	s_waitcnt vmcnt(19)
	v_fma_f32 v54, v67, v115, -v54
	v_fmac_f32_e32 v89, v62, v112
	v_add_f32_e32 v85, v85, v88
	v_add_f32_e32 v53, v53, v54
	v_mul_f32_e32 v54, v70, v101
	;; [unrolled: 8-line block ×5, first 2 shown]
	s_waitcnt vmcnt(15)
	v_fmac_f32_e32 v138, v76, v119
	v_add_f32_e32 v85, v85, v137
	v_fma_f32 v54, v75, v119, -v54
	s_waitcnt vmcnt(14)
	v_fmac_f32_e32 v139, v78, v120
	v_add_f32_e32 v85, v85, v138
	v_add_f32_e32 v53, v53, v54
	v_mul_f32_e32 v54, v78, v105
	s_waitcnt vmcnt(13)
	v_fmac_f32_e32 v140, v80, v121
	v_add_f32_e32 v85, v85, v139
	v_fma_f32 v54, v77, v120, -v54
	s_waitcnt vmcnt(12)
	v_fmac_f32_e32 v141, v82, v122
	v_add_f32_e32 v85, v85, v140
	v_add_f32_e32 v53, v53, v54
	v_mul_f32_e32 v54, v80, v106
	v_add_f32_e32 v89, v85, v141
	ds_read2_b64 v[85:88], v52 offset0:47 offset1:48
	v_fma_f32 v54, v79, v121, -v54
	v_add_f32_e32 v53, v53, v54
	v_mul_f32_e32 v54, v82, v107
	s_waitcnt vmcnt(11)
	v_mul_f32_e32 v90, v83, v123
	v_fma_f32 v54, v81, v122, -v54
	s_waitcnt vmcnt(10)
	v_fmac_f32_e32 v90, v84, v124
	v_add_f32_e32 v53, v53, v54
	v_mul_f32_e32 v54, v84, v123
	v_add_f32_e32 v135, v89, v90
	ds_read2_b64 v[89:92], v52 offset0:49 offset1:50
	v_fma_f32 v54, v83, v124, -v54
	v_add_f32_e32 v53, v53, v54
	s_waitcnt vmcnt(9) lgkmcnt(1)
	v_mul_f32_e32 v54, v86, v125
	v_mul_f32_e32 v52, v85, v125
	s_waitcnt vmcnt(8)
	v_fma_f32 v54, v85, v126, -v54
	v_fmac_f32_e32 v52, v86, v126
	v_add_f32_e32 v53, v53, v54
	s_waitcnt vmcnt(7)
	v_mul_f32_e32 v54, v88, v127
	v_add_f32_e32 v52, v135, v52
	v_mul_f32_e32 v135, v87, v127
	s_waitcnt vmcnt(6)
	v_fma_f32 v54, v87, v128, -v54
	v_fmac_f32_e32 v135, v88, v128
	v_add_f32_e32 v53, v53, v54
	s_waitcnt vmcnt(5) lgkmcnt(0)
	v_mul_f32_e32 v54, v90, v129
	v_add_f32_e32 v52, v52, v135
	v_mul_f32_e32 v135, v89, v129
	s_waitcnt vmcnt(4)
	v_fma_f32 v54, v89, v130, -v54
	v_fmac_f32_e32 v135, v90, v130
	v_add_f32_e32 v53, v53, v54
	s_waitcnt vmcnt(3)
	v_mul_f32_e32 v54, v92, v131
	v_add_f32_e32 v52, v52, v135
	v_mul_f32_e32 v135, v91, v131
	s_waitcnt vmcnt(2)
	v_fma_f32 v54, v91, v132, -v54
	v_fmac_f32_e32 v135, v92, v132
	v_add_f32_e32 v53, v53, v54
	v_add_f32_e32 v52, v52, v135
	s_waitcnt vmcnt(1)
	v_sub_f32_e32 v53, v133, v53
	s_waitcnt vmcnt(0)
	v_sub_f32_e32 v52, v134, v52
	buffer_store_dword v53, off, s[0:3], 0 offset:32
	buffer_store_dword v52, off, s[0:3], 0 offset:36
	s_and_saveexec_b64 s[4:5], vcc
	s_cbranch_execz .LBB24_157
; %bb.156:
	buffer_load_dword v52, off, s[0:3], 0 offset:24
	buffer_load_dword v53, off, s[0:3], 0 offset:28
	v_mov_b32_e32 v54, 0
	buffer_store_dword v54, off, s[0:3], 0 offset:24
	buffer_store_dword v54, off, s[0:3], 0 offset:28
	s_waitcnt vmcnt(2)
	ds_write_b64 v51, v[52:53]
.LBB24_157:
	s_or_b64 exec, exec, s[4:5]
	s_waitcnt lgkmcnt(0)
	; wave barrier
	buffer_load_dword v95, off, s[0:3], 0 offset:36
	buffer_load_dword v96, off, s[0:3], 0 offset:44
	;; [unrolled: 1-line block ×44, first 2 shown]
	v_mov_b32_e32 v52, 0
	ds_read_b128 v[53:56], v52 offset:240
	ds_read_b128 v[57:60], v52 offset:256
	;; [unrolled: 1-line block ×8, first 2 shown]
	v_cmp_lt_u32_e32 vcc, 2, v0
	s_waitcnt vmcnt(43) lgkmcnt(7)
	v_mul_f32_e32 v85, v53, v95
	s_waitcnt vmcnt(42)
	v_mul_f32_e32 v86, v55, v96
	s_waitcnt vmcnt(41) lgkmcnt(6)
	v_mul_f32_e32 v87, v57, v97
	s_waitcnt vmcnt(40)
	v_mul_f32_e32 v88, v59, v98
	;; [unrolled: 4-line block ×7, first 2 shown]
	s_waitcnt vmcnt(29)
	v_fmac_f32_e32 v85, v54, v109
	v_mul_f32_e32 v54, v54, v95
	v_fma_f32 v53, v53, v109, -v54
	v_mul_f32_e32 v54, v56, v96
	v_add_f32_e32 v53, 0, v53
	s_waitcnt vmcnt(28)
	v_fma_f32 v54, v55, v110, -v54
	v_add_f32_e32 v53, v53, v54
	v_mul_f32_e32 v54, v58, v97
	s_waitcnt vmcnt(27)
	v_fma_f32 v54, v57, v111, -v54
	v_add_f32_e32 v53, v53, v54
	v_mul_f32_e32 v54, v60, v98
	;; [unrolled: 4-line block ×4, first 2 shown]
	s_waitcnt vmcnt(24)
	v_fma_f32 v54, v63, v114, -v54
	v_fmac_f32_e32 v86, v56, v110
	v_add_f32_e32 v85, 0, v85
	v_add_f32_e32 v53, v53, v54
	v_mul_f32_e32 v54, v66, v101
	v_fmac_f32_e32 v87, v58, v111
	v_add_f32_e32 v85, v85, v86
	s_waitcnt vmcnt(23)
	v_fma_f32 v54, v65, v115, -v54
	v_fmac_f32_e32 v88, v60, v112
	v_add_f32_e32 v85, v85, v87
	v_add_f32_e32 v53, v53, v54
	v_mul_f32_e32 v54, v68, v102
	v_fmac_f32_e32 v89, v62, v113
	v_add_f32_e32 v85, v85, v88
	;; [unrolled: 8-line block ×4, first 2 shown]
	s_waitcnt vmcnt(20)
	v_fma_f32 v54, v71, v118, -v54
	v_fmac_f32_e32 v94, v72, v118
	v_add_f32_e32 v85, v85, v93
	v_add_f32_e32 v53, v53, v54
	v_mul_f32_e32 v54, v74, v105
	s_waitcnt vmcnt(19)
	v_fmac_f32_e32 v139, v74, v119
	v_add_f32_e32 v85, v85, v94
	v_fma_f32 v54, v73, v119, -v54
	s_waitcnt vmcnt(18)
	v_fmac_f32_e32 v140, v76, v120
	v_add_f32_e32 v85, v85, v139
	v_add_f32_e32 v53, v53, v54
	v_mul_f32_e32 v54, v76, v106
	s_waitcnt vmcnt(17)
	v_fmac_f32_e32 v141, v78, v121
	v_add_f32_e32 v85, v85, v140
	v_fma_f32 v54, v75, v120, -v54
	v_add_f32_e32 v85, v85, v141
	s_waitcnt vmcnt(16)
	v_fmac_f32_e32 v142, v80, v122
	s_waitcnt vmcnt(15) lgkmcnt(0)
	v_mul_f32_e32 v86, v81, v123
	v_add_f32_e32 v53, v53, v54
	v_mul_f32_e32 v54, v78, v107
	v_add_f32_e32 v85, v85, v142
	s_waitcnt vmcnt(14)
	v_fmac_f32_e32 v86, v82, v124
	v_fma_f32 v54, v77, v121, -v54
	v_add_f32_e32 v89, v85, v86
	ds_read_b128 v[85:88], v52 offset:368
	v_add_f32_e32 v53, v53, v54
	v_mul_f32_e32 v54, v80, v108
	v_fma_f32 v54, v79, v122, -v54
	v_add_f32_e32 v53, v53, v54
	v_mul_f32_e32 v54, v82, v123
	s_waitcnt vmcnt(13)
	v_mul_f32_e32 v90, v83, v125
	v_fma_f32 v54, v81, v124, -v54
	s_waitcnt vmcnt(12)
	v_fmac_f32_e32 v90, v84, v126
	v_add_f32_e32 v53, v53, v54
	v_mul_f32_e32 v54, v84, v125
	v_add_f32_e32 v93, v89, v90
	ds_read_b128 v[89:92], v52 offset:384
	s_waitcnt vmcnt(11) lgkmcnt(1)
	v_mul_f32_e32 v94, v85, v127
	v_fma_f32 v54, v83, v126, -v54
	s_waitcnt vmcnt(10)
	v_fmac_f32_e32 v94, v86, v128
	v_add_f32_e32 v53, v53, v54
	v_mul_f32_e32 v54, v86, v127
	v_add_f32_e32 v93, v93, v94
	s_waitcnt vmcnt(9)
	v_mul_f32_e32 v94, v87, v129
	v_fma_f32 v54, v85, v128, -v54
	s_waitcnt vmcnt(8)
	v_fmac_f32_e32 v94, v88, v130
	v_add_f32_e32 v53, v53, v54
	v_mul_f32_e32 v54, v88, v129
	v_add_f32_e32 v139, v93, v94
	ds_read_b64 v[93:94], v52 offset:400
	v_fma_f32 v54, v87, v130, -v54
	v_add_f32_e32 v53, v53, v54
	s_waitcnt vmcnt(7) lgkmcnt(1)
	v_mul_f32_e32 v54, v90, v131
	v_mul_f32_e32 v140, v89, v131
	s_waitcnt vmcnt(6)
	v_fma_f32 v54, v89, v132, -v54
	v_fmac_f32_e32 v140, v90, v132
	v_add_f32_e32 v53, v53, v54
	s_waitcnt vmcnt(5)
	v_mul_f32_e32 v54, v92, v133
	v_add_f32_e32 v139, v139, v140
	v_mul_f32_e32 v140, v91, v133
	s_waitcnt vmcnt(4)
	v_fma_f32 v54, v91, v134, -v54
	v_fmac_f32_e32 v140, v92, v134
	v_add_f32_e32 v53, v53, v54
	s_waitcnt vmcnt(3) lgkmcnt(0)
	v_mul_f32_e32 v54, v94, v135
	v_add_f32_e32 v139, v139, v140
	v_mul_f32_e32 v140, v93, v135
	s_waitcnt vmcnt(2)
	v_fma_f32 v54, v93, v136, -v54
	v_fmac_f32_e32 v140, v94, v136
	v_add_f32_e32 v53, v53, v54
	v_add_f32_e32 v139, v139, v140
	s_waitcnt vmcnt(1)
	v_sub_f32_e32 v53, v137, v53
	s_waitcnt vmcnt(0)
	v_sub_f32_e32 v54, v138, v139
	buffer_store_dword v53, off, s[0:3], 0 offset:24
	buffer_store_dword v54, off, s[0:3], 0 offset:28
	s_and_saveexec_b64 s[4:5], vcc
	s_cbranch_execz .LBB24_159
; %bb.158:
	buffer_load_dword v53, off, s[0:3], 0 offset:16
	buffer_load_dword v54, off, s[0:3], 0 offset:20
	s_waitcnt vmcnt(0)
	ds_write_b64 v51, v[53:54]
	buffer_store_dword v52, off, s[0:3], 0 offset:16
	buffer_store_dword v52, off, s[0:3], 0 offset:20
.LBB24_159:
	s_or_b64 exec, exec, s[4:5]
	s_waitcnt lgkmcnt(0)
	; wave barrier
	buffer_load_dword v97, off, s[0:3], 0 offset:28
	buffer_load_dword v98, off, s[0:3], 0 offset:36
	;; [unrolled: 1-line block ×46, first 2 shown]
	ds_read2_b64 v[53:56], v52 offset0:29 offset1:30
	ds_read2_b64 v[57:60], v52 offset0:31 offset1:32
	;; [unrolled: 1-line block ×8, first 2 shown]
	v_cmp_lt_u32_e32 vcc, 1, v0
	s_waitcnt vmcnt(45) lgkmcnt(7)
	v_mul_f32_e32 v85, v53, v97
	s_waitcnt vmcnt(44)
	v_mul_f32_e32 v86, v55, v98
	s_waitcnt vmcnt(43) lgkmcnt(6)
	v_mul_f32_e32 v87, v57, v99
	s_waitcnt vmcnt(42)
	v_mul_f32_e32 v88, v59, v100
	;; [unrolled: 4-line block ×6, first 2 shown]
	s_waitcnt vmcnt(33) lgkmcnt(1)
	v_mul_f32_e32 v143, v77, v109
	s_waitcnt vmcnt(32)
	v_fmac_f32_e32 v85, v54, v110
	v_mul_f32_e32 v54, v54, v97
	v_fma_f32 v53, v53, v110, -v54
	v_mul_f32_e32 v54, v56, v98
	v_add_f32_e32 v53, 0, v53
	s_waitcnt vmcnt(31)
	v_fma_f32 v54, v55, v111, -v54
	v_add_f32_e32 v53, v53, v54
	v_mul_f32_e32 v54, v58, v99
	s_waitcnt vmcnt(30)
	v_fma_f32 v54, v57, v112, -v54
	v_add_f32_e32 v53, v53, v54
	v_mul_f32_e32 v54, v60, v100
	;; [unrolled: 4-line block ×4, first 2 shown]
	v_fmac_f32_e32 v86, v56, v111
	v_add_f32_e32 v85, 0, v85
	s_waitcnt vmcnt(27)
	v_fma_f32 v54, v63, v115, -v54
	v_fmac_f32_e32 v87, v58, v112
	v_add_f32_e32 v85, v85, v86
	v_add_f32_e32 v53, v53, v54
	v_mul_f32_e32 v54, v66, v103
	v_fmac_f32_e32 v88, v60, v113
	v_add_f32_e32 v85, v85, v87
	s_waitcnt vmcnt(26)
	v_fma_f32 v54, v65, v116, -v54
	v_fmac_f32_e32 v89, v62, v114
	v_add_f32_e32 v85, v85, v88
	v_add_f32_e32 v53, v53, v54
	v_mul_f32_e32 v54, v68, v104
	v_fmac_f32_e32 v90, v64, v115
	v_add_f32_e32 v85, v85, v89
	s_waitcnt vmcnt(25)
	v_fma_f32 v54, v67, v117, -v54
	v_fmac_f32_e32 v91, v66, v116
	v_add_f32_e32 v85, v85, v90
	v_add_f32_e32 v53, v53, v54
	v_mul_f32_e32 v54, v70, v105
	v_fmac_f32_e32 v92, v68, v117
	v_add_f32_e32 v85, v85, v91
	s_waitcnt vmcnt(24)
	v_fma_f32 v54, v69, v118, -v54
	v_fmac_f32_e32 v93, v70, v118
	v_add_f32_e32 v85, v85, v92
	v_add_f32_e32 v53, v53, v54
	v_mul_f32_e32 v54, v72, v106
	s_waitcnt vmcnt(23)
	v_fmac_f32_e32 v94, v72, v119
	v_add_f32_e32 v85, v85, v93
	v_fma_f32 v54, v71, v119, -v54
	s_waitcnt vmcnt(22)
	v_fmac_f32_e32 v95, v74, v120
	v_add_f32_e32 v85, v85, v94
	v_add_f32_e32 v53, v53, v54
	v_mul_f32_e32 v54, v74, v107
	s_waitcnt vmcnt(21)
	v_fmac_f32_e32 v96, v76, v121
	v_add_f32_e32 v85, v85, v95
	v_fma_f32 v54, v73, v120, -v54
	s_waitcnt vmcnt(20)
	v_fmac_f32_e32 v143, v78, v122
	v_add_f32_e32 v85, v85, v96
	s_waitcnt vmcnt(19)
	v_mul_f32_e32 v86, v79, v123
	v_add_f32_e32 v53, v53, v54
	v_mul_f32_e32 v54, v76, v108
	v_add_f32_e32 v85, v85, v143
	s_waitcnt vmcnt(18)
	v_fmac_f32_e32 v86, v80, v124
	v_fma_f32 v54, v75, v121, -v54
	v_add_f32_e32 v85, v85, v86
	s_waitcnt vmcnt(17) lgkmcnt(0)
	v_mul_f32_e32 v86, v81, v125
	v_add_f32_e32 v53, v53, v54
	v_mul_f32_e32 v54, v78, v109
	s_waitcnt vmcnt(16)
	v_fmac_f32_e32 v86, v82, v126
	v_fma_f32 v54, v77, v122, -v54
	v_add_f32_e32 v89, v85, v86
	ds_read2_b64 v[85:88], v52 offset0:45 offset1:46
	v_add_f32_e32 v53, v53, v54
	v_mul_f32_e32 v54, v80, v123
	v_fma_f32 v54, v79, v124, -v54
	v_add_f32_e32 v53, v53, v54
	v_mul_f32_e32 v54, v82, v125
	s_waitcnt vmcnt(15)
	v_mul_f32_e32 v90, v83, v127
	v_fma_f32 v54, v81, v126, -v54
	s_waitcnt vmcnt(14)
	v_fmac_f32_e32 v90, v84, v128
	v_add_f32_e32 v53, v53, v54
	v_mul_f32_e32 v54, v84, v127
	v_add_f32_e32 v93, v89, v90
	ds_read2_b64 v[89:92], v52 offset0:47 offset1:48
	s_waitcnt vmcnt(13) lgkmcnt(1)
	v_mul_f32_e32 v94, v85, v129
	v_fma_f32 v54, v83, v128, -v54
	s_waitcnt vmcnt(12)
	v_fmac_f32_e32 v94, v86, v130
	v_add_f32_e32 v53, v53, v54
	v_mul_f32_e32 v54, v86, v129
	v_add_f32_e32 v93, v93, v94
	s_waitcnt vmcnt(11)
	v_mul_f32_e32 v94, v87, v131
	v_fma_f32 v54, v85, v130, -v54
	s_waitcnt vmcnt(10)
	v_fmac_f32_e32 v94, v88, v132
	v_add_f32_e32 v53, v53, v54
	v_mul_f32_e32 v54, v88, v131
	v_add_f32_e32 v143, v93, v94
	ds_read2_b64 v[93:96], v52 offset0:49 offset1:50
	v_fma_f32 v54, v87, v132, -v54
	v_add_f32_e32 v53, v53, v54
	s_waitcnt vmcnt(9) lgkmcnt(1)
	v_mul_f32_e32 v54, v90, v133
	v_mul_f32_e32 v144, v89, v133
	s_waitcnt vmcnt(8)
	v_fma_f32 v54, v89, v134, -v54
	v_fmac_f32_e32 v144, v90, v134
	v_add_f32_e32 v53, v53, v54
	s_waitcnt vmcnt(7)
	v_mul_f32_e32 v54, v92, v135
	v_add_f32_e32 v52, v143, v144
	v_mul_f32_e32 v143, v91, v135
	s_waitcnt vmcnt(6)
	v_fma_f32 v54, v91, v136, -v54
	v_fmac_f32_e32 v143, v92, v136
	v_add_f32_e32 v53, v53, v54
	s_waitcnt vmcnt(5) lgkmcnt(0)
	v_mul_f32_e32 v54, v94, v137
	v_add_f32_e32 v52, v52, v143
	v_mul_f32_e32 v143, v93, v137
	s_waitcnt vmcnt(4)
	v_fma_f32 v54, v93, v138, -v54
	v_fmac_f32_e32 v143, v94, v138
	v_add_f32_e32 v53, v53, v54
	s_waitcnt vmcnt(3)
	v_mul_f32_e32 v54, v96, v139
	v_add_f32_e32 v52, v52, v143
	v_mul_f32_e32 v143, v95, v139
	s_waitcnt vmcnt(2)
	v_fma_f32 v54, v95, v140, -v54
	v_fmac_f32_e32 v143, v96, v140
	v_add_f32_e32 v53, v53, v54
	v_add_f32_e32 v52, v52, v143
	s_waitcnt vmcnt(1)
	v_sub_f32_e32 v53, v141, v53
	s_waitcnt vmcnt(0)
	v_sub_f32_e32 v52, v142, v52
	buffer_store_dword v53, off, s[0:3], 0 offset:16
	buffer_store_dword v52, off, s[0:3], 0 offset:20
	s_and_saveexec_b64 s[4:5], vcc
	s_cbranch_execz .LBB24_161
; %bb.160:
	buffer_load_dword v52, off, s[0:3], 0 offset:8
	buffer_load_dword v53, off, s[0:3], 0 offset:12
	v_mov_b32_e32 v54, 0
	buffer_store_dword v54, off, s[0:3], 0 offset:8
	buffer_store_dword v54, off, s[0:3], 0 offset:12
	s_waitcnt vmcnt(2)
	ds_write_b64 v51, v[52:53]
.LBB24_161:
	s_or_b64 exec, exec, s[4:5]
	s_waitcnt lgkmcnt(0)
	; wave barrier
	buffer_load_dword v99, off, s[0:3], 0 offset:20
	buffer_load_dword v100, off, s[0:3], 0 offset:28
	;; [unrolled: 1-line block ×48, first 2 shown]
	v_mov_b32_e32 v52, 0
	ds_read_b128 v[53:56], v52 offset:224
	ds_read_b128 v[57:60], v52 offset:240
	;; [unrolled: 1-line block ×7, first 2 shown]
	v_cmp_ne_u32_e32 vcc, 0, v0
	s_waitcnt vmcnt(47) lgkmcnt(6)
	v_mul_f32_e32 v81, v53, v99
	s_waitcnt vmcnt(46)
	v_mul_f32_e32 v82, v55, v100
	s_waitcnt vmcnt(45) lgkmcnt(5)
	v_mul_f32_e32 v83, v57, v101
	s_waitcnt vmcnt(44)
	v_mul_f32_e32 v84, v59, v102
	;; [unrolled: 4-line block ×6, first 2 shown]
	s_waitcnt vmcnt(35)
	v_fmac_f32_e32 v81, v54, v111
	v_mul_f32_e32 v54, v54, v99
	v_fma_f32 v53, v53, v111, -v54
	v_mul_f32_e32 v54, v56, v100
	v_add_f32_e32 v53, 0, v53
	s_waitcnt vmcnt(34)
	v_fma_f32 v54, v55, v112, -v54
	v_add_f32_e32 v53, v53, v54
	v_mul_f32_e32 v54, v58, v101
	s_waitcnt vmcnt(33)
	v_fma_f32 v54, v57, v113, -v54
	v_fmac_f32_e32 v82, v56, v112
	v_add_f32_e32 v81, 0, v81
	v_add_f32_e32 v53, v53, v54
	v_mul_f32_e32 v54, v60, v102
	v_fmac_f32_e32 v83, v58, v113
	v_add_f32_e32 v81, v81, v82
	s_waitcnt vmcnt(32)
	v_fma_f32 v54, v59, v114, -v54
	v_fmac_f32_e32 v84, v60, v114
	v_add_f32_e32 v81, v81, v83
	v_add_f32_e32 v53, v53, v54
	v_mul_f32_e32 v54, v62, v103
	s_waitcnt vmcnt(31)
	v_fmac_f32_e32 v85, v62, v115
	v_add_f32_e32 v81, v81, v84
	v_fma_f32 v54, v61, v115, -v54
	s_waitcnt vmcnt(30)
	v_fmac_f32_e32 v86, v64, v116
	v_add_f32_e32 v81, v81, v85
	v_add_f32_e32 v53, v53, v54
	v_mul_f32_e32 v54, v64, v104
	s_waitcnt vmcnt(29)
	v_fmac_f32_e32 v87, v66, v117
	v_add_f32_e32 v81, v81, v86
	v_fma_f32 v54, v63, v116, -v54
	s_waitcnt vmcnt(28)
	;; [unrolled: 9-line block ×4, first 2 shown]
	v_fmac_f32_e32 v92, v76, v122
	v_add_f32_e32 v81, v81, v91
	v_add_f32_e32 v53, v53, v54
	v_mul_f32_e32 v54, v70, v107
	v_add_f32_e32 v85, v81, v92
	ds_read_b128 v[81:84], v52 offset:336
	v_fma_f32 v54, v69, v119, -v54
	s_waitcnt vmcnt(23) lgkmcnt(1)
	v_mul_f32_e32 v86, v77, v123
	v_add_f32_e32 v53, v53, v54
	v_mul_f32_e32 v54, v72, v108
	s_waitcnt vmcnt(22)
	v_fmac_f32_e32 v86, v78, v124
	v_fma_f32 v54, v71, v120, -v54
	v_add_f32_e32 v85, v85, v86
	s_waitcnt vmcnt(21)
	v_mul_f32_e32 v86, v79, v125
	v_add_f32_e32 v53, v53, v54
	v_mul_f32_e32 v54, v74, v109
	s_waitcnt vmcnt(20)
	v_fmac_f32_e32 v86, v80, v126
	v_fma_f32 v54, v73, v121, -v54
	v_add_f32_e32 v85, v85, v86
	s_waitcnt vmcnt(19) lgkmcnt(0)
	v_mul_f32_e32 v86, v81, v127
	v_add_f32_e32 v53, v53, v54
	v_mul_f32_e32 v54, v76, v110
	s_waitcnt vmcnt(18)
	v_fmac_f32_e32 v86, v82, v128
	v_fma_f32 v54, v75, v122, -v54
	v_add_f32_e32 v89, v85, v86
	ds_read_b128 v[85:88], v52 offset:352
	v_add_f32_e32 v53, v53, v54
	v_mul_f32_e32 v54, v78, v123
	v_fma_f32 v54, v77, v124, -v54
	s_waitcnt vmcnt(17)
	v_mul_f32_e32 v90, v83, v129
	v_add_f32_e32 v53, v53, v54
	v_mul_f32_e32 v54, v80, v125
	s_waitcnt vmcnt(16)
	v_fmac_f32_e32 v90, v84, v130
	v_fma_f32 v54, v79, v126, -v54
	v_add_f32_e32 v93, v89, v90
	ds_read_b128 v[89:92], v52 offset:368
	v_add_f32_e32 v53, v53, v54
	v_mul_f32_e32 v54, v82, v127
	s_waitcnt vmcnt(15) lgkmcnt(1)
	v_mul_f32_e32 v94, v85, v131
	v_fma_f32 v54, v81, v128, -v54
	s_waitcnt vmcnt(14)
	v_fmac_f32_e32 v94, v86, v132
	v_add_f32_e32 v53, v53, v54
	v_mul_f32_e32 v54, v84, v129
	v_add_f32_e32 v93, v93, v94
	s_waitcnt vmcnt(13)
	v_mul_f32_e32 v94, v87, v133
	v_fma_f32 v54, v83, v130, -v54
	s_waitcnt vmcnt(12)
	v_fmac_f32_e32 v94, v88, v134
	v_add_f32_e32 v53, v53, v54
	v_mul_f32_e32 v54, v86, v131
	v_add_f32_e32 v93, v93, v94
	s_waitcnt vmcnt(11) lgkmcnt(0)
	v_mul_f32_e32 v94, v89, v135
	v_fma_f32 v54, v85, v132, -v54
	s_waitcnt vmcnt(10)
	v_fmac_f32_e32 v94, v90, v136
	v_add_f32_e32 v53, v53, v54
	v_mul_f32_e32 v54, v88, v133
	v_add_f32_e32 v97, v93, v94
	ds_read_b128 v[93:96], v52 offset:384
	v_fma_f32 v54, v87, v134, -v54
	v_add_f32_e32 v53, v53, v54
	v_mul_f32_e32 v54, v90, v135
	s_waitcnt vmcnt(9)
	v_mul_f32_e32 v98, v91, v137
	v_fma_f32 v54, v89, v136, -v54
	s_waitcnt vmcnt(8)
	v_fmac_f32_e32 v98, v92, v138
	v_add_f32_e32 v53, v53, v54
	v_mul_f32_e32 v54, v92, v137
	v_add_f32_e32 v147, v97, v98
	ds_read_b64 v[97:98], v52 offset:400
	v_fma_f32 v54, v91, v138, -v54
	v_add_f32_e32 v53, v53, v54
	s_waitcnt vmcnt(6) lgkmcnt(1)
	v_mul_f32_e32 v54, v94, v140
	v_mul_f32_e32 v148, v93, v140
	v_fma_f32 v54, v93, v139, -v54
	v_fmac_f32_e32 v148, v94, v139
	v_add_f32_e32 v53, v53, v54
	s_waitcnt vmcnt(3)
	v_mul_f32_e32 v54, v96, v143
	v_add_f32_e32 v147, v147, v148
	v_mul_f32_e32 v148, v95, v143
	s_waitcnt vmcnt(2)
	v_fma_f32 v54, v95, v144, -v54
	v_fmac_f32_e32 v148, v96, v144
	v_add_f32_e32 v53, v53, v54
	s_waitcnt vmcnt(0) lgkmcnt(0)
	v_mul_f32_e32 v54, v98, v146
	v_add_f32_e32 v147, v147, v148
	v_mul_f32_e32 v148, v97, v146
	v_fma_f32 v54, v97, v145, -v54
	v_fmac_f32_e32 v148, v98, v145
	v_add_f32_e32 v53, v53, v54
	v_add_f32_e32 v147, v147, v148
	v_sub_f32_e32 v53, v141, v53
	v_sub_f32_e32 v54, v142, v147
	buffer_store_dword v53, off, s[0:3], 0 offset:8
	buffer_store_dword v54, off, s[0:3], 0 offset:12
	s_and_saveexec_b64 s[4:5], vcc
	s_cbranch_execz .LBB24_163
; %bb.162:
	buffer_load_dword v53, off, s[0:3], 0
	buffer_load_dword v54, off, s[0:3], 0 offset:4
	s_waitcnt vmcnt(0)
	ds_write_b64 v51, v[53:54]
	buffer_store_dword v52, off, s[0:3], 0
	buffer_store_dword v52, off, s[0:3], 0 offset:4
.LBB24_163:
	s_or_b64 exec, exec, s[4:5]
	s_waitcnt lgkmcnt(0)
	; wave barrier
	buffer_load_dword v0, off, s[0:3], 0 offset:12
	buffer_load_dword v51, off, s[0:3], 0 offset:20
	;; [unrolled: 1-line block ×40, first 2 shown]
	buffer_load_dword v139, off, s[0:3], 0
	buffer_load_dword v140, off, s[0:3], 0 offset:4
	buffer_load_dword v141, off, s[0:3], 0 offset:172
	buffer_load_dword v142, off, s[0:3], 0 offset:168
	buffer_load_dword v143, off, s[0:3], 0 offset:176
	buffer_load_dword v144, off, s[0:3], 0 offset:180
	buffer_load_dword v145, off, s[0:3], 0 offset:184
	buffer_load_dword v146, off, s[0:3], 0 offset:188
	ds_read2_b64 v[53:56], v52 offset0:27 offset1:28
	ds_read2_b64 v[57:60], v52 offset0:29 offset1:30
	buffer_load_dword v147, off, s[0:3], 0 offset:192
	buffer_load_dword v148, off, s[0:3], 0 offset:196
	ds_read2_b64 v[61:64], v52 offset0:31 offset1:32
	ds_read2_b64 v[65:68], v52 offset0:33 offset1:34
	;; [unrolled: 1-line block ×5, first 2 shown]
	s_and_b64 vcc, exec, s[22:23]
	s_waitcnt vmcnt(49) lgkmcnt(6)
	v_mul_f32_e32 v81, v53, v0
	v_mul_f32_e32 v0, v54, v0
	s_waitcnt vmcnt(48)
	v_mul_f32_e32 v82, v55, v51
	v_mul_f32_e32 v51, v56, v51
	s_waitcnt vmcnt(47) lgkmcnt(5)
	v_mul_f32_e32 v83, v57, v101
	s_waitcnt vmcnt(46)
	v_mul_f32_e32 v84, v59, v102
	s_waitcnt vmcnt(45) lgkmcnt(4)
	v_mul_f32_e32 v85, v61, v103
	s_waitcnt vmcnt(44)
	;; [unrolled: 4-line block ×4, first 2 shown]
	v_mul_f32_e32 v90, v71, v108
	s_waitcnt vmcnt(37)
	v_fma_f32 v0, v53, v111, -v0
	v_add_f32_e32 v0, 0, v0
	s_waitcnt vmcnt(36)
	v_fma_f32 v51, v55, v112, -v51
	v_add_f32_e32 v0, v0, v51
	v_mul_f32_e32 v51, v58, v101
	v_fmac_f32_e32 v81, v54, v111
	s_waitcnt vmcnt(35)
	v_fma_f32 v51, v57, v113, -v51
	v_fmac_f32_e32 v82, v56, v112
	v_add_f32_e32 v81, 0, v81
	v_add_f32_e32 v0, v0, v51
	v_mul_f32_e32 v51, v60, v102
	v_fmac_f32_e32 v83, v58, v113
	v_add_f32_e32 v81, v81, v82
	s_waitcnt vmcnt(34)
	v_fma_f32 v51, v59, v114, -v51
	v_fmac_f32_e32 v84, v60, v114
	v_add_f32_e32 v81, v81, v83
	v_add_f32_e32 v0, v0, v51
	v_mul_f32_e32 v51, v62, v103
	s_waitcnt vmcnt(33)
	v_fmac_f32_e32 v85, v62, v115
	v_add_f32_e32 v81, v81, v84
	v_fma_f32 v51, v61, v115, -v51
	s_waitcnt vmcnt(32)
	v_fmac_f32_e32 v86, v64, v116
	v_add_f32_e32 v81, v81, v85
	v_add_f32_e32 v0, v0, v51
	v_mul_f32_e32 v51, v64, v104
	s_waitcnt vmcnt(31)
	v_fmac_f32_e32 v87, v66, v117
	v_add_f32_e32 v81, v81, v86
	v_fma_f32 v51, v63, v116, -v51
	s_waitcnt vmcnt(30)
	v_fmac_f32_e32 v88, v68, v118
	v_add_f32_e32 v81, v81, v87
	v_add_f32_e32 v0, v0, v51
	v_mul_f32_e32 v51, v66, v105
	s_waitcnt vmcnt(29)
	v_fmac_f32_e32 v89, v70, v119
	v_add_f32_e32 v81, v81, v88
	v_fma_f32 v51, v65, v117, -v51
	s_waitcnt lgkmcnt(1)
	v_mul_f32_e32 v91, v73, v109
	s_waitcnt vmcnt(28)
	v_fmac_f32_e32 v90, v72, v120
	v_add_f32_e32 v81, v81, v89
	v_add_f32_e32 v0, v0, v51
	v_mul_f32_e32 v51, v68, v106
	v_mul_f32_e32 v92, v75, v110
	s_waitcnt vmcnt(27)
	v_fmac_f32_e32 v91, v74, v121
	v_add_f32_e32 v81, v81, v90
	v_fma_f32 v51, v67, v118, -v51
	v_add_f32_e32 v81, v81, v91
	s_waitcnt vmcnt(26)
	v_fmac_f32_e32 v92, v76, v122
	v_add_f32_e32 v0, v0, v51
	v_mul_f32_e32 v51, v70, v107
	v_add_f32_e32 v85, v81, v92
	ds_read2_b64 v[81:84], v52 offset0:41 offset1:42
	v_fma_f32 v51, v69, v119, -v51
	s_waitcnt vmcnt(25) lgkmcnt(1)
	v_mul_f32_e32 v86, v77, v123
	v_add_f32_e32 v0, v0, v51
	v_mul_f32_e32 v51, v72, v108
	s_waitcnt vmcnt(24)
	v_fmac_f32_e32 v86, v78, v124
	v_fma_f32 v51, v71, v120, -v51
	v_add_f32_e32 v85, v85, v86
	s_waitcnt vmcnt(23)
	v_mul_f32_e32 v86, v79, v125
	v_add_f32_e32 v0, v0, v51
	v_mul_f32_e32 v51, v74, v109
	s_waitcnt vmcnt(22)
	v_fmac_f32_e32 v86, v80, v126
	v_fma_f32 v51, v73, v121, -v51
	v_add_f32_e32 v85, v85, v86
	s_waitcnt vmcnt(21) lgkmcnt(0)
	v_mul_f32_e32 v86, v81, v127
	v_add_f32_e32 v0, v0, v51
	v_mul_f32_e32 v51, v76, v110
	s_waitcnt vmcnt(20)
	v_fmac_f32_e32 v86, v82, v128
	v_fma_f32 v51, v75, v122, -v51
	v_add_f32_e32 v89, v85, v86
	ds_read2_b64 v[85:88], v52 offset0:43 offset1:44
	v_add_f32_e32 v0, v0, v51
	v_mul_f32_e32 v51, v78, v123
	v_fma_f32 v51, v77, v124, -v51
	s_waitcnt vmcnt(19)
	v_mul_f32_e32 v90, v83, v129
	v_add_f32_e32 v0, v0, v51
	v_mul_f32_e32 v51, v80, v125
	s_waitcnt vmcnt(18)
	v_fmac_f32_e32 v90, v84, v130
	v_fma_f32 v51, v79, v126, -v51
	v_add_f32_e32 v93, v89, v90
	ds_read2_b64 v[89:92], v52 offset0:45 offset1:46
	v_add_f32_e32 v0, v0, v51
	v_mul_f32_e32 v51, v82, v127
	s_waitcnt vmcnt(17) lgkmcnt(1)
	v_mul_f32_e32 v94, v85, v131
	v_fma_f32 v51, v81, v128, -v51
	s_waitcnt vmcnt(16)
	v_fmac_f32_e32 v94, v86, v132
	v_add_f32_e32 v0, v0, v51
	v_mul_f32_e32 v51, v84, v129
	v_add_f32_e32 v93, v93, v94
	s_waitcnt vmcnt(15)
	v_mul_f32_e32 v94, v87, v133
	v_fma_f32 v51, v83, v130, -v51
	s_waitcnt vmcnt(14)
	v_fmac_f32_e32 v94, v88, v134
	v_add_f32_e32 v0, v0, v51
	v_mul_f32_e32 v51, v86, v131
	v_add_f32_e32 v93, v93, v94
	s_waitcnt vmcnt(13) lgkmcnt(0)
	v_mul_f32_e32 v94, v89, v135
	v_fma_f32 v51, v85, v132, -v51
	s_waitcnt vmcnt(12)
	v_fmac_f32_e32 v94, v90, v136
	v_add_f32_e32 v0, v0, v51
	v_mul_f32_e32 v51, v88, v133
	v_add_f32_e32 v97, v93, v94
	ds_read2_b64 v[93:96], v52 offset0:47 offset1:48
	v_fma_f32 v51, v87, v134, -v51
	v_add_f32_e32 v0, v0, v51
	v_mul_f32_e32 v51, v90, v135
	s_waitcnt vmcnt(11)
	v_mul_f32_e32 v98, v91, v137
	v_fma_f32 v51, v89, v136, -v51
	s_waitcnt vmcnt(10)
	v_fmac_f32_e32 v98, v92, v138
	v_add_f32_e32 v0, v0, v51
	v_mul_f32_e32 v51, v92, v137
	v_add_f32_e32 v149, v97, v98
	ds_read2_b64 v[97:100], v52 offset0:49 offset1:50
	v_fma_f32 v51, v91, v138, -v51
	v_add_f32_e32 v0, v0, v51
	s_waitcnt vmcnt(7) lgkmcnt(1)
	v_mul_f32_e32 v51, v94, v141
	v_mul_f32_e32 v52, v93, v141
	s_waitcnt vmcnt(6)
	v_fma_f32 v51, v93, v142, -v51
	v_fmac_f32_e32 v52, v94, v142
	v_add_f32_e32 v0, v0, v51
	s_waitcnt vmcnt(4)
	v_mul_f32_e32 v51, v96, v144
	v_add_f32_e32 v52, v149, v52
	v_mul_f32_e32 v149, v95, v144
	v_fma_f32 v51, v95, v143, -v51
	v_fmac_f32_e32 v149, v96, v143
	v_add_f32_e32 v0, v0, v51
	s_waitcnt vmcnt(2) lgkmcnt(0)
	v_mul_f32_e32 v51, v98, v146
	v_add_f32_e32 v52, v52, v149
	v_mul_f32_e32 v149, v97, v146
	v_fma_f32 v51, v97, v145, -v51
	v_fmac_f32_e32 v149, v98, v145
	v_add_f32_e32 v0, v0, v51
	s_waitcnt vmcnt(0)
	v_mul_f32_e32 v51, v100, v148
	v_add_f32_e32 v52, v52, v149
	v_mul_f32_e32 v149, v99, v148
	v_fma_f32 v51, v99, v147, -v51
	v_fmac_f32_e32 v149, v100, v147
	v_add_f32_e32 v0, v0, v51
	v_add_f32_e32 v52, v52, v149
	v_sub_f32_e32 v0, v139, v0
	v_sub_f32_e32 v51, v140, v52
	buffer_store_dword v0, off, s[0:3], 0
	buffer_store_dword v51, off, s[0:3], 0 offset:4
	s_cbranch_vccz .LBB24_212
; %bb.164:
	v_mov_b32_e32 v0, 0
	global_load_dword v51, v0, s[20:21] offset:92
	s_waitcnt vmcnt(0)
	v_add_u32_e32 v51, -1, v51
	v_cmp_ne_u32_e32 vcc, 23, v51
	s_cbranch_vccz .LBB24_166
; %bb.165:
	v_lshlrev_b32_e32 v51, 3, v51
	buffer_load_dword v52, v51, s[0:3], 0 offen
	buffer_load_dword v53, v51, s[0:3], 0 offen offset:4
	buffer_load_dword v54, off, s[0:3], 0 offset:184
	buffer_load_dword v55, off, s[0:3], 0 offset:188
	s_waitcnt vmcnt(3)
	buffer_store_dword v52, off, s[0:3], 0 offset:184
	s_waitcnt vmcnt(3)
	buffer_store_dword v53, off, s[0:3], 0 offset:188
	s_waitcnt vmcnt(3)
	buffer_store_dword v54, v51, s[0:3], 0 offen
	s_waitcnt vmcnt(3)
	buffer_store_dword v55, v51, s[0:3], 0 offen offset:4
.LBB24_166:
	global_load_dword v0, v0, s[20:21] offset:88
	s_waitcnt vmcnt(0)
	v_add_u32_e32 v0, -1, v0
	v_cmp_eq_u32_e32 vcc, 22, v0
	s_cbranch_vccnz .LBB24_168
; %bb.167:
	v_lshlrev_b32_e32 v0, 3, v0
	buffer_load_dword v51, v0, s[0:3], 0 offen
	buffer_load_dword v52, v0, s[0:3], 0 offen offset:4
	buffer_load_dword v53, off, s[0:3], 0 offset:180
	buffer_load_dword v54, off, s[0:3], 0 offset:176
	s_waitcnt vmcnt(3)
	buffer_store_dword v51, off, s[0:3], 0 offset:176
	s_waitcnt vmcnt(3)
	buffer_store_dword v52, off, s[0:3], 0 offset:180
	s_waitcnt vmcnt(3)
	buffer_store_dword v53, v0, s[0:3], 0 offen offset:4
	s_waitcnt vmcnt(3)
	buffer_store_dword v54, v0, s[0:3], 0 offen
.LBB24_168:
	v_mov_b32_e32 v0, 0
	global_load_dword v51, v0, s[20:21] offset:84
	s_waitcnt vmcnt(0)
	v_add_u32_e32 v51, -1, v51
	v_cmp_eq_u32_e32 vcc, 21, v51
	s_cbranch_vccnz .LBB24_170
; %bb.169:
	v_lshlrev_b32_e32 v51, 3, v51
	buffer_load_dword v52, v51, s[0:3], 0 offen
	buffer_load_dword v53, v51, s[0:3], 0 offen offset:4
	buffer_load_dword v54, off, s[0:3], 0 offset:168
	buffer_load_dword v55, off, s[0:3], 0 offset:172
	s_waitcnt vmcnt(3)
	buffer_store_dword v52, off, s[0:3], 0 offset:168
	s_waitcnt vmcnt(3)
	buffer_store_dword v53, off, s[0:3], 0 offset:172
	s_waitcnt vmcnt(3)
	buffer_store_dword v54, v51, s[0:3], 0 offen
	s_waitcnt vmcnt(3)
	buffer_store_dword v55, v51, s[0:3], 0 offen offset:4
.LBB24_170:
	global_load_dword v0, v0, s[20:21] offset:80
	s_waitcnt vmcnt(0)
	v_add_u32_e32 v0, -1, v0
	v_cmp_eq_u32_e32 vcc, 20, v0
	s_cbranch_vccnz .LBB24_172
; %bb.171:
	v_lshlrev_b32_e32 v0, 3, v0
	buffer_load_dword v51, v0, s[0:3], 0 offen
	buffer_load_dword v52, v0, s[0:3], 0 offen offset:4
	buffer_load_dword v53, off, s[0:3], 0 offset:164
	buffer_load_dword v54, off, s[0:3], 0 offset:160
	s_waitcnt vmcnt(3)
	buffer_store_dword v51, off, s[0:3], 0 offset:160
	s_waitcnt vmcnt(3)
	buffer_store_dword v52, off, s[0:3], 0 offset:164
	s_waitcnt vmcnt(3)
	buffer_store_dword v53, v0, s[0:3], 0 offen offset:4
	s_waitcnt vmcnt(3)
	buffer_store_dword v54, v0, s[0:3], 0 offen
.LBB24_172:
	v_mov_b32_e32 v0, 0
	global_load_dword v51, v0, s[20:21] offset:76
	s_waitcnt vmcnt(0)
	v_add_u32_e32 v51, -1, v51
	v_cmp_eq_u32_e32 vcc, 19, v51
	s_cbranch_vccnz .LBB24_174
; %bb.173:
	v_lshlrev_b32_e32 v51, 3, v51
	buffer_load_dword v52, v51, s[0:3], 0 offen
	buffer_load_dword v53, v51, s[0:3], 0 offen offset:4
	buffer_load_dword v54, off, s[0:3], 0 offset:152
	buffer_load_dword v55, off, s[0:3], 0 offset:156
	s_waitcnt vmcnt(3)
	buffer_store_dword v52, off, s[0:3], 0 offset:152
	s_waitcnt vmcnt(3)
	buffer_store_dword v53, off, s[0:3], 0 offset:156
	s_waitcnt vmcnt(3)
	buffer_store_dword v54, v51, s[0:3], 0 offen
	s_waitcnt vmcnt(3)
	buffer_store_dword v55, v51, s[0:3], 0 offen offset:4
.LBB24_174:
	;; [unrolled: 41-line block ×11, first 2 shown]
	global_load_dword v0, v0, s[20:21]
	s_waitcnt vmcnt(0)
	v_add_u32_e32 v0, -1, v0
	v_cmp_eq_u32_e32 vcc, 0, v0
	s_cbranch_vccnz .LBB24_212
; %bb.211:
	v_lshlrev_b32_e32 v0, 3, v0
	buffer_load_dword v51, v0, s[0:3], 0 offen
	buffer_load_dword v52, v0, s[0:3], 0 offen offset:4
	buffer_load_dword v53, off, s[0:3], 0 offset:4
	buffer_load_dword v54, off, s[0:3], 0
	s_waitcnt vmcnt(3)
	buffer_store_dword v51, off, s[0:3], 0
	s_waitcnt vmcnt(3)
	buffer_store_dword v52, off, s[0:3], 0 offset:4
	s_waitcnt vmcnt(3)
	buffer_store_dword v53, v0, s[0:3], 0 offen offset:4
	s_waitcnt vmcnt(3)
	buffer_store_dword v54, v0, s[0:3], 0 offen
.LBB24_212:
	buffer_load_dword v51, off, s[0:3], 0
	buffer_load_dword v52, off, s[0:3], 0 offset:4
	buffer_load_dword v53, off, s[0:3], 0 offset:8
	s_nop 0
	buffer_load_dword v54, off, s[0:3], 0 offset:12
	buffer_load_dword v55, off, s[0:3], 0 offset:16
	;; [unrolled: 1-line block ×47, first 2 shown]
	s_waitcnt vmcnt(48)
	global_store_dwordx2 v[41:42], v[51:52], off
	s_waitcnt vmcnt(47)
	global_store_dwordx2 v[45:46], v[53:54], off
	;; [unrolled: 2-line block ×9, first 2 shown]
	global_store_dwordx2 v[15:16], v[69:70], off
	global_store_dwordx2 v[17:18], v[71:72], off
	global_store_dwordx2 v[19:20], v[73:74], off
	s_waitcnt vmcnt(36)
	global_store_dwordx2 v[21:22], v[75:76], off
	s_waitcnt vmcnt(35)
	global_store_dwordx2 v[23:24], v[77:78], off
	;; [unrolled: 2-line block ×13, first 2 shown]
	s_endpgm
	.section	.rodata,"a",@progbits
	.p2align	6, 0x0
	.amdhsa_kernel _ZN9rocsolver6v33100L18getri_kernel_smallILi25E19rocblas_complex_numIfEPS3_EEvT1_iilPiilS6_bb
		.amdhsa_group_segment_fixed_size 408
		.amdhsa_private_segment_fixed_size 208
		.amdhsa_kernarg_size 60
		.amdhsa_user_sgpr_count 6
		.amdhsa_user_sgpr_private_segment_buffer 1
		.amdhsa_user_sgpr_dispatch_ptr 0
		.amdhsa_user_sgpr_queue_ptr 0
		.amdhsa_user_sgpr_kernarg_segment_ptr 1
		.amdhsa_user_sgpr_dispatch_id 0
		.amdhsa_user_sgpr_flat_scratch_init 0
		.amdhsa_user_sgpr_private_segment_size 0
		.amdhsa_uses_dynamic_stack 0
		.amdhsa_system_sgpr_private_segment_wavefront_offset 1
		.amdhsa_system_sgpr_workgroup_id_x 1
		.amdhsa_system_sgpr_workgroup_id_y 0
		.amdhsa_system_sgpr_workgroup_id_z 0
		.amdhsa_system_sgpr_workgroup_info 0
		.amdhsa_system_vgpr_workitem_id 0
		.amdhsa_next_free_vgpr 150
		.amdhsa_next_free_sgpr 24
		.amdhsa_reserve_vcc 1
		.amdhsa_reserve_flat_scratch 0
		.amdhsa_float_round_mode_32 0
		.amdhsa_float_round_mode_16_64 0
		.amdhsa_float_denorm_mode_32 3
		.amdhsa_float_denorm_mode_16_64 3
		.amdhsa_dx10_clamp 1
		.amdhsa_ieee_mode 1
		.amdhsa_fp16_overflow 0
		.amdhsa_exception_fp_ieee_invalid_op 0
		.amdhsa_exception_fp_denorm_src 0
		.amdhsa_exception_fp_ieee_div_zero 0
		.amdhsa_exception_fp_ieee_overflow 0
		.amdhsa_exception_fp_ieee_underflow 0
		.amdhsa_exception_fp_ieee_inexact 0
		.amdhsa_exception_int_div_zero 0
	.end_amdhsa_kernel
	.section	.text._ZN9rocsolver6v33100L18getri_kernel_smallILi25E19rocblas_complex_numIfEPS3_EEvT1_iilPiilS6_bb,"axG",@progbits,_ZN9rocsolver6v33100L18getri_kernel_smallILi25E19rocblas_complex_numIfEPS3_EEvT1_iilPiilS6_bb,comdat
.Lfunc_end24:
	.size	_ZN9rocsolver6v33100L18getri_kernel_smallILi25E19rocblas_complex_numIfEPS3_EEvT1_iilPiilS6_bb, .Lfunc_end24-_ZN9rocsolver6v33100L18getri_kernel_smallILi25E19rocblas_complex_numIfEPS3_EEvT1_iilPiilS6_bb
                                        ; -- End function
	.set _ZN9rocsolver6v33100L18getri_kernel_smallILi25E19rocblas_complex_numIfEPS3_EEvT1_iilPiilS6_bb.num_vgpr, 150
	.set _ZN9rocsolver6v33100L18getri_kernel_smallILi25E19rocblas_complex_numIfEPS3_EEvT1_iilPiilS6_bb.num_agpr, 0
	.set _ZN9rocsolver6v33100L18getri_kernel_smallILi25E19rocblas_complex_numIfEPS3_EEvT1_iilPiilS6_bb.numbered_sgpr, 24
	.set _ZN9rocsolver6v33100L18getri_kernel_smallILi25E19rocblas_complex_numIfEPS3_EEvT1_iilPiilS6_bb.num_named_barrier, 0
	.set _ZN9rocsolver6v33100L18getri_kernel_smallILi25E19rocblas_complex_numIfEPS3_EEvT1_iilPiilS6_bb.private_seg_size, 208
	.set _ZN9rocsolver6v33100L18getri_kernel_smallILi25E19rocblas_complex_numIfEPS3_EEvT1_iilPiilS6_bb.uses_vcc, 1
	.set _ZN9rocsolver6v33100L18getri_kernel_smallILi25E19rocblas_complex_numIfEPS3_EEvT1_iilPiilS6_bb.uses_flat_scratch, 0
	.set _ZN9rocsolver6v33100L18getri_kernel_smallILi25E19rocblas_complex_numIfEPS3_EEvT1_iilPiilS6_bb.has_dyn_sized_stack, 0
	.set _ZN9rocsolver6v33100L18getri_kernel_smallILi25E19rocblas_complex_numIfEPS3_EEvT1_iilPiilS6_bb.has_recursion, 0
	.set _ZN9rocsolver6v33100L18getri_kernel_smallILi25E19rocblas_complex_numIfEPS3_EEvT1_iilPiilS6_bb.has_indirect_call, 0
	.section	.AMDGPU.csdata,"",@progbits
; Kernel info:
; codeLenInByte = 30176
; TotalNumSgprs: 28
; NumVgprs: 150
; ScratchSize: 208
; MemoryBound: 0
; FloatMode: 240
; IeeeMode: 1
; LDSByteSize: 408 bytes/workgroup (compile time only)
; SGPRBlocks: 3
; VGPRBlocks: 37
; NumSGPRsForWavesPerEU: 28
; NumVGPRsForWavesPerEU: 150
; Occupancy: 1
; WaveLimiterHint : 1
; COMPUTE_PGM_RSRC2:SCRATCH_EN: 1
; COMPUTE_PGM_RSRC2:USER_SGPR: 6
; COMPUTE_PGM_RSRC2:TRAP_HANDLER: 0
; COMPUTE_PGM_RSRC2:TGID_X_EN: 1
; COMPUTE_PGM_RSRC2:TGID_Y_EN: 0
; COMPUTE_PGM_RSRC2:TGID_Z_EN: 0
; COMPUTE_PGM_RSRC2:TIDIG_COMP_CNT: 0
	.section	.text._ZN9rocsolver6v33100L18getri_kernel_smallILi26E19rocblas_complex_numIfEPS3_EEvT1_iilPiilS6_bb,"axG",@progbits,_ZN9rocsolver6v33100L18getri_kernel_smallILi26E19rocblas_complex_numIfEPS3_EEvT1_iilPiilS6_bb,comdat
	.globl	_ZN9rocsolver6v33100L18getri_kernel_smallILi26E19rocblas_complex_numIfEPS3_EEvT1_iilPiilS6_bb ; -- Begin function _ZN9rocsolver6v33100L18getri_kernel_smallILi26E19rocblas_complex_numIfEPS3_EEvT1_iilPiilS6_bb
	.p2align	8
	.type	_ZN9rocsolver6v33100L18getri_kernel_smallILi26E19rocblas_complex_numIfEPS3_EEvT1_iilPiilS6_bb,@function
_ZN9rocsolver6v33100L18getri_kernel_smallILi26E19rocblas_complex_numIfEPS3_EEvT1_iilPiilS6_bb: ; @_ZN9rocsolver6v33100L18getri_kernel_smallILi26E19rocblas_complex_numIfEPS3_EEvT1_iilPiilS6_bb
; %bb.0:
	s_add_u32 s0, s0, s7
	s_addc_u32 s1, s1, 0
	v_cmp_gt_u32_e32 vcc, 26, v0
	s_and_saveexec_b64 s[8:9], vcc
	s_cbranch_execz .LBB25_118
; %bb.1:
	s_load_dword s12, s[4:5], 0x38
	s_load_dwordx4 s[16:19], s[4:5], 0x10
	s_load_dwordx4 s[8:11], s[4:5], 0x28
                                        ; implicit-def: $sgpr20_sgpr21
	s_waitcnt lgkmcnt(0)
	s_bitcmp1_b32 s12, 8
	s_cselect_b64 s[22:23], -1, 0
	s_ashr_i32 s7, s6, 31
	s_bfe_u32 s12, s12, 0x10008
	s_cmp_eq_u32 s12, 0
	s_cbranch_scc1 .LBB25_3
; %bb.2:
	s_load_dword s12, s[4:5], 0x20
	s_mul_i32 s13, s8, s7
	s_mul_hi_u32 s14, s8, s6
	s_mul_i32 s9, s9, s6
	s_add_i32 s14, s14, s13
	s_add_i32 s9, s14, s9
	s_mul_i32 s8, s8, s6
	s_waitcnt lgkmcnt(0)
	s_ashr_i32 s13, s12, 31
	s_lshl_b64 s[8:9], s[8:9], 2
	s_add_u32 s14, s18, s8
	s_addc_u32 s15, s19, s9
	s_lshl_b64 s[8:9], s[12:13], 2
	s_add_u32 s20, s14, s8
	s_addc_u32 s21, s15, s9
.LBB25_3:
	s_load_dwordx4 s[12:15], s[4:5], 0x0
	s_load_dword s8, s[4:5], 0x38
	s_mul_i32 s9, s16, s7
	s_mul_hi_u32 s18, s16, s6
	s_add_i32 s9, s18, s9
	s_waitcnt lgkmcnt(0)
	s_ashr_i32 s5, s14, 31
	s_mov_b32 s4, s14
	s_mul_i32 s14, s17, s6
	s_add_i32 s17, s9, s14
	s_mul_i32 s16, s16, s6
	s_lshl_b64 s[16:17], s[16:17], 3
	s_add_u32 s9, s12, s16
	s_addc_u32 s12, s13, s17
	s_lshl_b64 s[4:5], s[4:5], 3
	s_add_u32 s4, s9, s4
	s_addc_u32 s5, s12, s5
	s_add_i32 s9, s15, s15
	v_add_u32_e32 v3, s9, v0
	v_ashrrev_i32_e32 v4, 31, v3
	v_lshlrev_b64 v[1:2], 3, v[3:4]
	v_add_u32_e32 v5, s15, v3
	v_mov_b32_e32 v4, s5
	v_add_co_u32_e32 v1, vcc, s4, v1
	v_ashrrev_i32_e32 v6, 31, v5
	v_addc_co_u32_e32 v2, vcc, v4, v2, vcc
	v_lshlrev_b64 v[3:4], 3, v[5:6]
	v_add_u32_e32 v7, s15, v5
	v_mov_b32_e32 v6, s5
	v_add_co_u32_e32 v3, vcc, s4, v3
	v_ashrrev_i32_e32 v8, 31, v7
	v_addc_co_u32_e32 v4, vcc, v6, v4, vcc
	;; [unrolled: 6-line block ×8, first 2 shown]
	v_lshlrev_b64 v[17:18], 3, v[19:20]
	v_mov_b32_e32 v21, s5
	v_add_co_u32_e32 v17, vcc, s4, v17
	v_addc_co_u32_e32 v18, vcc, v21, v18, vcc
	v_add_u32_e32 v21, s15, v19
	v_ashrrev_i32_e32 v22, 31, v21
	v_lshlrev_b64 v[19:20], 3, v[21:22]
	v_mov_b32_e32 v23, s5
	v_add_co_u32_e32 v19, vcc, s4, v19
	v_addc_co_u32_e32 v20, vcc, v23, v20, vcc
	v_add_u32_e32 v23, s15, v21
	v_ashrrev_i32_e32 v24, 31, v23
	;; [unrolled: 6-line block ×11, first 2 shown]
	v_lshlrev_b64 v[39:40], 3, v[41:42]
	v_add_u32_e32 v47, s15, v41
	v_ashrrev_i32_e32 v48, 31, v47
	v_mov_b32_e32 v43, s5
	v_add_co_u32_e32 v39, vcc, s4, v39
	v_lshlrev_b64 v[41:42], 3, v[47:48]
	v_addc_co_u32_e32 v40, vcc, v43, v40, vcc
	v_add_co_u32_e32 v41, vcc, s4, v41
	v_addc_co_u32_e32 v42, vcc, v43, v42, vcc
	v_lshlrev_b32_e32 v55, 3, v0
	v_mov_b32_e32 v44, s5
	v_add_co_u32_e32 v43, vcc, s4, v55
	s_ashr_i32 s13, s15, 31
	s_mov_b32 s12, s15
	v_add_u32_e32 v49, s15, v47
	v_addc_co_u32_e32 v44, vcc, 0, v44, vcc
	s_lshl_b64 s[12:13], s[12:13], 3
	v_ashrrev_i32_e32 v50, 31, v49
	v_mov_b32_e32 v46, s13
	v_add_co_u32_e32 v45, vcc, s12, v43
	v_lshlrev_b64 v[47:48], 3, v[49:50]
	v_addc_co_u32_e32 v46, vcc, v44, v46, vcc
	v_mov_b32_e32 v51, s5
	v_add_co_u32_e32 v47, vcc, s4, v47
	v_addc_co_u32_e32 v48, vcc, v51, v48, vcc
	v_add_u32_e32 v51, s15, v49
	v_ashrrev_i32_e32 v52, 31, v51
	v_lshlrev_b64 v[49:50], 3, v[51:52]
	v_mov_b32_e32 v88, s5
	v_add_co_u32_e32 v49, vcc, s4, v49
	global_load_dwordx2 v[53:54], v55, s[4:5]
	global_load_dwordx2 v[58:59], v[1:2], off
	global_load_dwordx2 v[60:61], v[3:4], off
	;; [unrolled: 1-line block ×16, first 2 shown]
	v_addc_co_u32_e32 v50, vcc, v88, v50, vcc
	global_load_dwordx2 v[88:89], v[31:32], off
	global_load_dwordx2 v[90:91], v[33:34], off
	global_load_dwordx2 v[92:93], v[35:36], off
	global_load_dwordx2 v[94:95], v[37:38], off
	global_load_dwordx2 v[96:97], v[39:40], off
	global_load_dwordx2 v[98:99], v[41:42], off
	global_load_dwordx2 v[100:101], v[47:48], off
	global_load_dwordx2 v[102:103], v[49:50], off
	v_add_u32_e32 v51, s15, v51
	v_ashrrev_i32_e32 v52, 31, v51
	v_lshlrev_b64 v[51:52], 3, v[51:52]
	v_mov_b32_e32 v104, s5
	v_add_co_u32_e32 v51, vcc, s4, v51
	v_addc_co_u32_e32 v52, vcc, v104, v52, vcc
	global_load_dwordx2 v[104:105], v[51:52], off
	s_bitcmp0_b32 s8, 0
	s_mov_b64 s[8:9], -1
	s_waitcnt vmcnt(25)
	buffer_store_dword v54, off, s[0:3], 0 offset:4
	buffer_store_dword v53, off, s[0:3], 0
	s_waitcnt vmcnt(23)
	buffer_store_dword v57, off, s[0:3], 0 offset:12
	buffer_store_dword v56, off, s[0:3], 0 offset:8
	;; [unrolled: 1-line block ×8, first 2 shown]
	s_waitcnt vmcnt(30)
	buffer_store_dword v65, off, s[0:3], 0 offset:44
	buffer_store_dword v64, off, s[0:3], 0 offset:40
	s_waitcnt vmcnt(31)
	buffer_store_dword v67, off, s[0:3], 0 offset:52
	buffer_store_dword v66, off, s[0:3], 0 offset:48
	;; [unrolled: 3-line block ×21, first 2 shown]
	s_cbranch_scc1 .LBB25_116
; %bb.4:
	v_cmp_eq_u32_e64 s[4:5], 0, v0
	s_and_saveexec_b64 s[8:9], s[4:5]
; %bb.5:
	v_mov_b32_e32 v53, 0
	ds_write_b32 v53, v53 offset:416
; %bb.6:
	s_or_b64 exec, exec, s[8:9]
	v_mov_b32_e32 v53, 0
	v_lshl_add_u32 v57, v0, 3, v53
	s_waitcnt lgkmcnt(0)
	; wave barrier
	buffer_load_dword v53, v57, s[0:3], 0 offen
	buffer_load_dword v54, v57, s[0:3], 0 offen offset:4
	s_waitcnt vmcnt(1)
	v_cmp_eq_f32_e32 vcc, 0, v53
	s_waitcnt vmcnt(0)
	v_cmp_eq_f32_e64 s[8:9], 0, v54
	s_and_b64 s[8:9], vcc, s[8:9]
	s_and_saveexec_b64 s[12:13], s[8:9]
	s_cbranch_execz .LBB25_10
; %bb.7:
	v_mov_b32_e32 v53, 0
	ds_read_b32 v56, v53 offset:416
	v_add_u32_e32 v54, 1, v0
	s_waitcnt lgkmcnt(0)
	v_readfirstlane_b32 s8, v56
	s_cmp_eq_u32 s8, 0
	s_cselect_b64 s[14:15], -1, 0
	v_cmp_gt_i32_e32 vcc, s8, v54
	s_or_b64 s[14:15], s[14:15], vcc
	s_and_b64 exec, exec, s[14:15]
	s_cbranch_execz .LBB25_10
; %bb.8:
	s_mov_b64 s[14:15], 0
	v_mov_b32_e32 v56, s8
.LBB25_9:                               ; =>This Inner Loop Header: Depth=1
	ds_cmpst_rtn_b32 v56, v53, v56, v54 offset:416
	s_waitcnt lgkmcnt(0)
	v_cmp_ne_u32_e32 vcc, 0, v56
	v_cmp_le_i32_e64 s[8:9], v56, v54
	s_and_b64 s[8:9], vcc, s[8:9]
	s_and_b64 s[8:9], exec, s[8:9]
	s_or_b64 s[14:15], s[8:9], s[14:15]
	s_andn2_b64 exec, exec, s[14:15]
	s_cbranch_execnz .LBB25_9
.LBB25_10:
	s_or_b64 exec, exec, s[12:13]
	v_mov_b32_e32 v54, 0
	; wave barrier
	ds_read_b32 v53, v54 offset:416
	s_and_saveexec_b64 s[8:9], s[4:5]
	s_cbranch_execz .LBB25_12
; %bb.11:
	s_lshl_b64 s[12:13], s[6:7], 2
	s_add_u32 s12, s10, s12
	s_addc_u32 s13, s11, s13
	s_waitcnt lgkmcnt(0)
	global_store_dword v54, v53, s[12:13]
.LBB25_12:
	s_or_b64 exec, exec, s[8:9]
	s_waitcnt lgkmcnt(0)
	v_cmp_ne_u32_e32 vcc, 0, v53
	s_mov_b64 s[8:9], 0
	s_cbranch_vccnz .LBB25_116
; %bb.13:
	buffer_load_dword v54, v57, s[0:3], 0 offen
	buffer_load_dword v56, v57, s[0:3], 0 offen offset:4
                                        ; implicit-def: $vgpr59
                                        ; implicit-def: $vgpr58
                                        ; implicit-def: $vgpr53
	s_waitcnt vmcnt(0)
	v_cmp_ngt_f32_e64 s[8:9], |v54|, |v56|
	s_and_saveexec_b64 s[12:13], s[8:9]
	s_xor_b64 s[8:9], exec, s[12:13]
	s_cbranch_execz .LBB25_15
; %bb.14:
	v_div_scale_f32 v53, s[12:13], v56, v56, v54
	v_div_scale_f32 v58, vcc, v54, v56, v54
	v_rcp_f32_e32 v59, v53
	v_fma_f32 v60, -v53, v59, 1.0
	v_fmac_f32_e32 v59, v60, v59
	v_mul_f32_e32 v60, v58, v59
	v_fma_f32 v61, -v53, v60, v58
	v_fmac_f32_e32 v60, v61, v59
	v_fma_f32 v53, -v53, v60, v58
	v_div_fmas_f32 v53, v53, v59, v60
	v_div_fixup_f32 v53, v53, v56, v54
	v_fmac_f32_e32 v56, v54, v53
	v_div_scale_f32 v54, s[12:13], v56, v56, 1.0
	v_div_scale_f32 v58, vcc, 1.0, v56, 1.0
	v_rcp_f32_e32 v59, v54
	v_fma_f32 v60, -v54, v59, 1.0
	v_fmac_f32_e32 v59, v60, v59
	v_mul_f32_e32 v60, v58, v59
	v_fma_f32 v61, -v54, v60, v58
	v_fmac_f32_e32 v60, v61, v59
	v_fma_f32 v54, -v54, v60, v58
	v_div_fmas_f32 v54, v54, v59, v60
	v_div_fixup_f32 v54, v54, v56, 1.0
	v_mul_f32_e32 v59, v53, v54
	v_xor_b32_e32 v58, 0x80000000, v54
	v_xor_b32_e32 v53, 0x80000000, v59
                                        ; implicit-def: $vgpr54
                                        ; implicit-def: $vgpr56
.LBB25_15:
	s_andn2_saveexec_b64 s[8:9], s[8:9]
	s_cbranch_execz .LBB25_17
; %bb.16:
	v_div_scale_f32 v53, s[12:13], v54, v54, v56
	v_div_scale_f32 v58, vcc, v56, v54, v56
	v_rcp_f32_e32 v59, v53
	v_fma_f32 v60, -v53, v59, 1.0
	v_fmac_f32_e32 v59, v60, v59
	v_mul_f32_e32 v60, v58, v59
	v_fma_f32 v61, -v53, v60, v58
	v_fmac_f32_e32 v60, v61, v59
	v_fma_f32 v53, -v53, v60, v58
	v_div_fmas_f32 v53, v53, v59, v60
	v_div_fixup_f32 v58, v53, v54, v56
	v_fmac_f32_e32 v54, v56, v58
	v_div_scale_f32 v53, s[12:13], v54, v54, 1.0
	v_div_scale_f32 v56, vcc, 1.0, v54, 1.0
	v_rcp_f32_e32 v59, v53
	v_fma_f32 v60, -v53, v59, 1.0
	v_fmac_f32_e32 v59, v60, v59
	v_mul_f32_e32 v60, v56, v59
	v_fma_f32 v61, -v53, v60, v56
	v_fmac_f32_e32 v60, v61, v59
	v_fma_f32 v53, -v53, v60, v56
	v_div_fmas_f32 v53, v53, v59, v60
	v_div_fixup_f32 v59, v53, v54, 1.0
	v_xor_b32_e32 v53, 0x80000000, v59
	v_mul_f32_e64 v58, v58, -v59
.LBB25_17:
	s_or_b64 exec, exec, s[8:9]
	buffer_store_dword v59, v57, s[0:3], 0 offen
	buffer_store_dword v58, v57, s[0:3], 0 offen offset:4
	buffer_load_dword v60, off, s[0:3], 0 offset:12
	s_nop 0
	buffer_load_dword v59, off, s[0:3], 0 offset:8
	v_xor_b32_e32 v54, 0x80000000, v58
	v_add_u32_e32 v56, 0xd0, v55
	s_waitcnt vmcnt(0)
	ds_write2_b64 v55, v[53:54], v[59:60] offset1:26
	s_waitcnt lgkmcnt(0)
	; wave barrier
	s_and_saveexec_b64 s[8:9], s[4:5]
	s_cbranch_execz .LBB25_19
; %bb.18:
	buffer_load_dword v60, v57, s[0:3], 0 offen offset:4
	buffer_load_dword v61, v57, s[0:3], 0 offen
	ds_read_b64 v[53:54], v56
	v_mov_b32_e32 v58, 0
	ds_read_b64 v[58:59], v58 offset:8
	s_waitcnt vmcnt(1) lgkmcnt(1)
	v_mul_f32_e32 v62, v54, v60
	v_mul_f32_e32 v60, v53, v60
	s_waitcnt vmcnt(0)
	v_fmac_f32_e32 v60, v54, v61
	v_fma_f32 v53, v53, v61, -v62
	v_add_f32_e32 v54, 0, v60
	v_add_f32_e32 v53, 0, v53
	s_waitcnt lgkmcnt(0)
	v_mul_f32_e32 v60, v54, v59
	v_mul_f32_e32 v59, v53, v59
	v_fma_f32 v53, v53, v58, -v60
	v_fmac_f32_e32 v59, v54, v58
	buffer_store_dword v53, off, s[0:3], 0 offset:8
	buffer_store_dword v59, off, s[0:3], 0 offset:12
.LBB25_19:
	s_or_b64 exec, exec, s[8:9]
	; wave barrier
	buffer_load_dword v53, off, s[0:3], 0 offset:16
	buffer_load_dword v54, off, s[0:3], 0 offset:20
	v_cmp_gt_u32_e32 vcc, 2, v0
	s_waitcnt vmcnt(0)
	ds_write_b64 v56, v[53:54]
	s_waitcnt lgkmcnt(0)
	; wave barrier
	s_and_saveexec_b64 s[8:9], vcc
	s_cbranch_execz .LBB25_23
; %bb.20:
	buffer_load_dword v58, v57, s[0:3], 0 offen offset:4
	buffer_load_dword v59, v57, s[0:3], 0 offen
	ds_read_b64 v[53:54], v56
	s_waitcnt vmcnt(1) lgkmcnt(0)
	v_mul_f32_e32 v57, v54, v58
	v_mul_f32_e32 v58, v53, v58
	s_waitcnt vmcnt(0)
	v_fma_f32 v53, v53, v59, -v57
	v_fmac_f32_e32 v58, v54, v59
	v_add_f32_e32 v54, 0, v53
	v_add_f32_e32 v53, 0, v58
	s_and_saveexec_b64 s[12:13], s[4:5]
	s_cbranch_execz .LBB25_22
; %bb.21:
	buffer_load_dword v59, off, s[0:3], 0 offset:12
	buffer_load_dword v60, off, s[0:3], 0 offset:8
	v_mov_b32_e32 v57, 0
	ds_read_b64 v[57:58], v57 offset:216
	s_waitcnt vmcnt(1) lgkmcnt(0)
	v_mul_f32_e32 v61, v57, v59
	v_mul_f32_e32 v59, v58, v59
	s_waitcnt vmcnt(0)
	v_fmac_f32_e32 v61, v58, v60
	v_fma_f32 v57, v57, v60, -v59
	v_add_f32_e32 v53, v53, v61
	v_add_f32_e32 v54, v54, v57
.LBB25_22:
	s_or_b64 exec, exec, s[12:13]
	v_mov_b32_e32 v57, 0
	ds_read_b64 v[57:58], v57 offset:16
	s_waitcnt lgkmcnt(0)
	v_mul_f32_e32 v59, v53, v58
	v_mul_f32_e32 v58, v54, v58
	v_fma_f32 v54, v54, v57, -v59
	v_fmac_f32_e32 v58, v53, v57
	buffer_store_dword v54, off, s[0:3], 0 offset:16
	buffer_store_dword v58, off, s[0:3], 0 offset:20
.LBB25_23:
	s_or_b64 exec, exec, s[8:9]
	; wave barrier
	buffer_load_dword v53, off, s[0:3], 0 offset:24
	buffer_load_dword v54, off, s[0:3], 0 offset:28
	v_cmp_gt_u32_e32 vcc, 3, v0
	s_waitcnt vmcnt(0)
	ds_write_b64 v56, v[53:54]
	v_add_u32_e32 v53, -1, v0
	s_waitcnt lgkmcnt(0)
	; wave barrier
	s_and_saveexec_b64 s[4:5], vcc
	s_cbranch_execz .LBB25_27
; %bb.24:
	v_add_u32_e32 v57, -1, v0
	v_add_u32_e32 v58, 0xd0, v55
	v_mov_b32_e32 v59, v55
	v_mov_b32_e32 v54, 0
	s_mov_b64 s[8:9], 0
	v_mov_b32_e32 v60, 0
.LBB25_25:                              ; =>This Inner Loop Header: Depth=1
	buffer_load_dword v63, v59, s[0:3], 0 offen offset:4
	buffer_load_dword v64, v59, s[0:3], 0 offen
	ds_read_b64 v[61:62], v58
	v_add_u32_e32 v57, 1, v57
	v_cmp_lt_u32_e32 vcc, 1, v57
	v_add_u32_e32 v58, 8, v58
	v_add_u32_e32 v59, 8, v59
	s_or_b64 s[8:9], vcc, s[8:9]
	s_waitcnt vmcnt(1) lgkmcnt(0)
	v_mul_f32_e32 v65, v62, v63
	v_mul_f32_e32 v63, v61, v63
	s_waitcnt vmcnt(0)
	v_fma_f32 v61, v61, v64, -v65
	v_fmac_f32_e32 v63, v62, v64
	v_add_f32_e32 v60, v60, v61
	v_add_f32_e32 v54, v54, v63
	s_andn2_b64 exec, exec, s[8:9]
	s_cbranch_execnz .LBB25_25
; %bb.26:
	s_or_b64 exec, exec, s[8:9]
	v_mov_b32_e32 v57, 0
	ds_read_b64 v[57:58], v57 offset:24
	s_waitcnt lgkmcnt(0)
	v_mul_f32_e32 v59, v54, v58
	v_mul_f32_e32 v58, v60, v58
	v_fma_f32 v59, v60, v57, -v59
	v_fmac_f32_e32 v58, v54, v57
	buffer_store_dword v59, off, s[0:3], 0 offset:24
	buffer_store_dword v58, off, s[0:3], 0 offset:28
.LBB25_27:
	s_or_b64 exec, exec, s[4:5]
	; wave barrier
	buffer_load_dword v57, off, s[0:3], 0 offset:32
	buffer_load_dword v58, off, s[0:3], 0 offset:36
	v_cmp_gt_u32_e32 vcc, 4, v0
	s_waitcnt vmcnt(0)
	ds_write_b64 v56, v[57:58]
	s_waitcnt lgkmcnt(0)
	; wave barrier
	s_and_saveexec_b64 s[4:5], vcc
	s_cbranch_execz .LBB25_31
; %bb.28:
	v_add_u32_e32 v57, -1, v0
	v_add_u32_e32 v58, 0xd0, v55
	v_mov_b32_e32 v59, v55
	v_mov_b32_e32 v54, 0
	s_mov_b64 s[8:9], 0
	v_mov_b32_e32 v60, 0
.LBB25_29:                              ; =>This Inner Loop Header: Depth=1
	buffer_load_dword v63, v59, s[0:3], 0 offen offset:4
	buffer_load_dword v64, v59, s[0:3], 0 offen
	ds_read_b64 v[61:62], v58
	v_add_u32_e32 v57, 1, v57
	v_cmp_lt_u32_e32 vcc, 2, v57
	v_add_u32_e32 v58, 8, v58
	v_add_u32_e32 v59, 8, v59
	s_or_b64 s[8:9], vcc, s[8:9]
	s_waitcnt vmcnt(1) lgkmcnt(0)
	v_mul_f32_e32 v65, v62, v63
	v_mul_f32_e32 v63, v61, v63
	s_waitcnt vmcnt(0)
	v_fma_f32 v61, v61, v64, -v65
	v_fmac_f32_e32 v63, v62, v64
	v_add_f32_e32 v60, v60, v61
	v_add_f32_e32 v54, v54, v63
	s_andn2_b64 exec, exec, s[8:9]
	s_cbranch_execnz .LBB25_29
; %bb.30:
	s_or_b64 exec, exec, s[8:9]
	v_mov_b32_e32 v57, 0
	ds_read_b64 v[57:58], v57 offset:32
	s_waitcnt lgkmcnt(0)
	v_mul_f32_e32 v59, v54, v58
	v_mul_f32_e32 v58, v60, v58
	v_fma_f32 v59, v60, v57, -v59
	v_fmac_f32_e32 v58, v54, v57
	buffer_store_dword v59, off, s[0:3], 0 offset:32
	buffer_store_dword v58, off, s[0:3], 0 offset:36
.LBB25_31:
	s_or_b64 exec, exec, s[4:5]
	; wave barrier
	buffer_load_dword v57, off, s[0:3], 0 offset:40
	buffer_load_dword v58, off, s[0:3], 0 offset:44
	v_cmp_gt_u32_e32 vcc, 5, v0
	s_waitcnt vmcnt(0)
	ds_write_b64 v56, v[57:58]
	;; [unrolled: 49-line block ×19, first 2 shown]
	s_waitcnt lgkmcnt(0)
	; wave barrier
	s_and_saveexec_b64 s[4:5], vcc
	s_cbranch_execz .LBB25_103
; %bb.100:
	v_add_u32_e32 v57, -1, v0
	v_add_u32_e32 v58, 0xd0, v55
	v_mov_b32_e32 v59, v55
	v_mov_b32_e32 v54, 0
	s_mov_b64 s[8:9], 0
	v_mov_b32_e32 v60, 0
.LBB25_101:                             ; =>This Inner Loop Header: Depth=1
	buffer_load_dword v63, v59, s[0:3], 0 offen offset:4
	buffer_load_dword v64, v59, s[0:3], 0 offen
	ds_read_b64 v[61:62], v58
	v_add_u32_e32 v57, 1, v57
	v_cmp_lt_u32_e32 vcc, 20, v57
	v_add_u32_e32 v58, 8, v58
	v_add_u32_e32 v59, 8, v59
	s_or_b64 s[8:9], vcc, s[8:9]
	s_waitcnt vmcnt(1) lgkmcnt(0)
	v_mul_f32_e32 v65, v62, v63
	v_mul_f32_e32 v63, v61, v63
	s_waitcnt vmcnt(0)
	v_fma_f32 v61, v61, v64, -v65
	v_fmac_f32_e32 v63, v62, v64
	v_add_f32_e32 v60, v60, v61
	v_add_f32_e32 v54, v54, v63
	s_andn2_b64 exec, exec, s[8:9]
	s_cbranch_execnz .LBB25_101
; %bb.102:
	s_or_b64 exec, exec, s[8:9]
	v_mov_b32_e32 v57, 0
	ds_read_b64 v[57:58], v57 offset:176
	s_waitcnt lgkmcnt(0)
	v_mul_f32_e32 v59, v54, v58
	v_mul_f32_e32 v58, v60, v58
	v_fma_f32 v59, v60, v57, -v59
	v_fmac_f32_e32 v58, v54, v57
	buffer_store_dword v59, off, s[0:3], 0 offset:176
	buffer_store_dword v58, off, s[0:3], 0 offset:180
.LBB25_103:
	s_or_b64 exec, exec, s[4:5]
	; wave barrier
	buffer_load_dword v57, off, s[0:3], 0 offset:184
	buffer_load_dword v58, off, s[0:3], 0 offset:188
	v_cmp_gt_u32_e32 vcc, 23, v0
	s_waitcnt vmcnt(0)
	ds_write_b64 v56, v[57:58]
	s_waitcnt lgkmcnt(0)
	; wave barrier
	s_and_saveexec_b64 s[4:5], vcc
	s_cbranch_execz .LBB25_107
; %bb.104:
	v_add_u32_e32 v57, -1, v0
	v_add_u32_e32 v58, 0xd0, v55
	v_mov_b32_e32 v59, v55
	v_mov_b32_e32 v54, 0
	s_mov_b64 s[8:9], 0
	v_mov_b32_e32 v60, 0
.LBB25_105:                             ; =>This Inner Loop Header: Depth=1
	buffer_load_dword v63, v59, s[0:3], 0 offen offset:4
	buffer_load_dword v64, v59, s[0:3], 0 offen
	ds_read_b64 v[61:62], v58
	v_add_u32_e32 v57, 1, v57
	v_cmp_lt_u32_e32 vcc, 21, v57
	v_add_u32_e32 v58, 8, v58
	v_add_u32_e32 v59, 8, v59
	s_or_b64 s[8:9], vcc, s[8:9]
	s_waitcnt vmcnt(1) lgkmcnt(0)
	v_mul_f32_e32 v65, v62, v63
	v_mul_f32_e32 v63, v61, v63
	s_waitcnt vmcnt(0)
	v_fma_f32 v61, v61, v64, -v65
	v_fmac_f32_e32 v63, v62, v64
	v_add_f32_e32 v60, v60, v61
	v_add_f32_e32 v54, v54, v63
	s_andn2_b64 exec, exec, s[8:9]
	s_cbranch_execnz .LBB25_105
; %bb.106:
	s_or_b64 exec, exec, s[8:9]
	v_mov_b32_e32 v57, 0
	ds_read_b64 v[57:58], v57 offset:184
	s_waitcnt lgkmcnt(0)
	v_mul_f32_e32 v59, v54, v58
	v_mul_f32_e32 v58, v60, v58
	v_fma_f32 v59, v60, v57, -v59
	v_fmac_f32_e32 v58, v54, v57
	buffer_store_dword v59, off, s[0:3], 0 offset:184
	buffer_store_dword v58, off, s[0:3], 0 offset:188
.LBB25_107:
	s_or_b64 exec, exec, s[4:5]
	; wave barrier
	buffer_load_dword v57, off, s[0:3], 0 offset:192
	buffer_load_dword v58, off, s[0:3], 0 offset:196
	v_cmp_gt_u32_e32 vcc, 24, v0
	s_waitcnt vmcnt(0)
	ds_write_b64 v56, v[57:58]
	s_waitcnt lgkmcnt(0)
	; wave barrier
	s_and_saveexec_b64 s[4:5], vcc
	s_cbranch_execz .LBB25_111
; %bb.108:
	v_add_u32_e32 v57, -1, v0
	v_add_u32_e32 v58, 0xd0, v55
	v_mov_b32_e32 v59, v55
	v_mov_b32_e32 v54, 0
	s_mov_b64 s[8:9], 0
	v_mov_b32_e32 v60, 0
.LBB25_109:                             ; =>This Inner Loop Header: Depth=1
	buffer_load_dword v63, v59, s[0:3], 0 offen offset:4
	buffer_load_dword v64, v59, s[0:3], 0 offen
	ds_read_b64 v[61:62], v58
	v_add_u32_e32 v57, 1, v57
	v_cmp_lt_u32_e32 vcc, 22, v57
	v_add_u32_e32 v58, 8, v58
	v_add_u32_e32 v59, 8, v59
	s_or_b64 s[8:9], vcc, s[8:9]
	s_waitcnt vmcnt(1) lgkmcnt(0)
	v_mul_f32_e32 v65, v62, v63
	v_mul_f32_e32 v63, v61, v63
	s_waitcnt vmcnt(0)
	v_fma_f32 v61, v61, v64, -v65
	v_fmac_f32_e32 v63, v62, v64
	v_add_f32_e32 v60, v60, v61
	v_add_f32_e32 v54, v54, v63
	s_andn2_b64 exec, exec, s[8:9]
	s_cbranch_execnz .LBB25_109
; %bb.110:
	s_or_b64 exec, exec, s[8:9]
	v_mov_b32_e32 v57, 0
	ds_read_b64 v[57:58], v57 offset:192
	s_waitcnt lgkmcnt(0)
	v_mul_f32_e32 v59, v54, v58
	v_mul_f32_e32 v58, v60, v58
	v_fma_f32 v59, v60, v57, -v59
	v_fmac_f32_e32 v58, v54, v57
	buffer_store_dword v59, off, s[0:3], 0 offset:192
	buffer_store_dword v58, off, s[0:3], 0 offset:196
.LBB25_111:
	s_or_b64 exec, exec, s[4:5]
	; wave barrier
	buffer_load_dword v57, off, s[0:3], 0 offset:200
	buffer_load_dword v58, off, s[0:3], 0 offset:204
	v_cmp_ne_u32_e32 vcc, 25, v0
	s_waitcnt vmcnt(0)
	ds_write_b64 v56, v[57:58]
	s_waitcnt lgkmcnt(0)
	; wave barrier
	s_and_saveexec_b64 s[4:5], vcc
	s_cbranch_execz .LBB25_115
; %bb.112:
	v_add_u32_e32 v56, 0xd0, v55
	v_mov_b32_e32 v54, 0
	s_mov_b64 s[8:9], 0
	v_mov_b32_e32 v57, 0
.LBB25_113:                             ; =>This Inner Loop Header: Depth=1
	buffer_load_dword v60, v55, s[0:3], 0 offen offset:4
	buffer_load_dword v61, v55, s[0:3], 0 offen
	ds_read_b64 v[58:59], v56
	v_add_u32_e32 v53, 1, v53
	v_cmp_lt_u32_e32 vcc, 23, v53
	v_add_u32_e32 v56, 8, v56
	v_add_u32_e32 v55, 8, v55
	s_or_b64 s[8:9], vcc, s[8:9]
	s_waitcnt vmcnt(1) lgkmcnt(0)
	v_mul_f32_e32 v62, v59, v60
	v_mul_f32_e32 v60, v58, v60
	s_waitcnt vmcnt(0)
	v_fma_f32 v58, v58, v61, -v62
	v_fmac_f32_e32 v60, v59, v61
	v_add_f32_e32 v57, v57, v58
	v_add_f32_e32 v54, v54, v60
	s_andn2_b64 exec, exec, s[8:9]
	s_cbranch_execnz .LBB25_113
; %bb.114:
	s_or_b64 exec, exec, s[8:9]
	v_mov_b32_e32 v53, 0
	ds_read_b64 v[55:56], v53 offset:200
	s_waitcnt lgkmcnt(0)
	v_mul_f32_e32 v53, v54, v56
	v_mul_f32_e32 v56, v57, v56
	v_fma_f32 v53, v57, v55, -v53
	v_fmac_f32_e32 v56, v54, v55
	buffer_store_dword v53, off, s[0:3], 0 offset:200
	buffer_store_dword v56, off, s[0:3], 0 offset:204
.LBB25_115:
	s_or_b64 exec, exec, s[4:5]
	s_mov_b64 s[8:9], -1
	; wave barrier
.LBB25_116:
	s_and_b64 vcc, exec, s[8:9]
	s_cbranch_vccz .LBB25_118
; %bb.117:
	s_lshl_b64 s[4:5], s[6:7], 2
	s_add_u32 s4, s10, s4
	s_addc_u32 s5, s11, s5
	v_mov_b32_e32 v53, 0
	global_load_dword v53, v53, s[4:5]
	s_waitcnt vmcnt(0)
	v_cmp_ne_u32_e32 vcc, 0, v53
	s_cbranch_vccz .LBB25_119
.LBB25_118:
	s_endpgm
.LBB25_119:
	v_mov_b32_e32 v53, 0xd0
	v_lshl_add_u32 v53, v0, 3, v53
	v_cmp_eq_u32_e32 vcc, 25, v0
	s_and_saveexec_b64 s[4:5], vcc
	s_cbranch_execz .LBB25_121
; %bb.120:
	buffer_load_dword v54, off, s[0:3], 0 offset:192
	buffer_load_dword v55, off, s[0:3], 0 offset:196
	v_mov_b32_e32 v56, 0
	buffer_store_dword v56, off, s[0:3], 0 offset:192
	buffer_store_dword v56, off, s[0:3], 0 offset:196
	s_waitcnt vmcnt(2)
	ds_write_b64 v53, v[54:55]
.LBB25_121:
	s_or_b64 exec, exec, s[4:5]
	s_waitcnt lgkmcnt(0)
	; wave barrier
	buffer_load_dword v57, off, s[0:3], 0 offset:204
	buffer_load_dword v58, off, s[0:3], 0 offset:200
	;; [unrolled: 1-line block ×4, first 2 shown]
	v_mov_b32_e32 v54, 0
	ds_read_b64 v[55:56], v54 offset:408
	v_cmp_lt_u32_e32 vcc, 23, v0
	s_waitcnt vmcnt(3) lgkmcnt(0)
	v_mul_f32_e32 v61, v55, v57
	v_mul_f32_e32 v57, v56, v57
	s_waitcnt vmcnt(2)
	v_fma_f32 v55, v55, v58, -v57
	v_fmac_f32_e32 v61, v56, v58
	v_add_f32_e32 v55, 0, v55
	v_add_f32_e32 v56, 0, v61
	s_waitcnt vmcnt(1)
	v_sub_f32_e32 v55, v59, v55
	s_waitcnt vmcnt(0)
	v_sub_f32_e32 v56, v60, v56
	buffer_store_dword v55, off, s[0:3], 0 offset:192
	buffer_store_dword v56, off, s[0:3], 0 offset:196
	s_and_saveexec_b64 s[4:5], vcc
	s_cbranch_execz .LBB25_123
; %bb.122:
	buffer_load_dword v55, off, s[0:3], 0 offset:184
	buffer_load_dword v56, off, s[0:3], 0 offset:188
	s_waitcnt vmcnt(0)
	ds_write_b64 v53, v[55:56]
	buffer_store_dword v54, off, s[0:3], 0 offset:184
	buffer_store_dword v54, off, s[0:3], 0 offset:188
.LBB25_123:
	s_or_b64 exec, exec, s[4:5]
	s_waitcnt lgkmcnt(0)
	; wave barrier
	buffer_load_dword v58, off, s[0:3], 0 offset:196
	buffer_load_dword v59, off, s[0:3], 0 offset:204
	;; [unrolled: 1-line block ×6, first 2 shown]
	ds_read_b128 v[54:57], v54 offset:400
	v_cmp_lt_u32_e32 vcc, 22, v0
	s_waitcnt vmcnt(5) lgkmcnt(0)
	v_mul_f32_e32 v64, v54, v58
	v_mul_f32_e32 v58, v55, v58
	s_waitcnt vmcnt(4)
	v_mul_f32_e32 v65, v56, v59
	v_mul_f32_e32 v59, v57, v59
	s_waitcnt vmcnt(3)
	v_fma_f32 v54, v54, v60, -v58
	v_fmac_f32_e32 v64, v55, v60
	s_waitcnt vmcnt(2)
	v_fma_f32 v55, v56, v61, -v59
	v_add_f32_e32 v54, 0, v54
	v_fmac_f32_e32 v65, v57, v61
	v_add_f32_e32 v56, 0, v64
	v_add_f32_e32 v54, v54, v55
	;; [unrolled: 1-line block ×3, first 2 shown]
	s_waitcnt vmcnt(1)
	v_sub_f32_e32 v54, v62, v54
	s_waitcnt vmcnt(0)
	v_sub_f32_e32 v55, v63, v56
	buffer_store_dword v54, off, s[0:3], 0 offset:184
	buffer_store_dword v55, off, s[0:3], 0 offset:188
	s_and_saveexec_b64 s[4:5], vcc
	s_cbranch_execz .LBB25_125
; %bb.124:
	buffer_load_dword v54, off, s[0:3], 0 offset:176
	buffer_load_dword v55, off, s[0:3], 0 offset:180
	v_mov_b32_e32 v56, 0
	buffer_store_dword v56, off, s[0:3], 0 offset:176
	buffer_store_dword v56, off, s[0:3], 0 offset:180
	s_waitcnt vmcnt(2)
	ds_write_b64 v53, v[54:55]
.LBB25_125:
	s_or_b64 exec, exec, s[4:5]
	s_waitcnt lgkmcnt(0)
	; wave barrier
	buffer_load_dword v61, off, s[0:3], 0 offset:188
	buffer_load_dword v62, off, s[0:3], 0 offset:196
	;; [unrolled: 1-line block ×8, first 2 shown]
	v_mov_b32_e32 v54, 0
	ds_read2_b64 v[55:58], v54 offset0:49 offset1:50
	ds_read_b64 v[59:60], v54 offset:408
	v_cmp_lt_u32_e32 vcc, 21, v0
	s_waitcnt vmcnt(7) lgkmcnt(1)
	v_mul_f32_e32 v69, v55, v61
	v_mul_f32_e32 v61, v56, v61
	s_waitcnt vmcnt(6)
	v_mul_f32_e32 v70, v57, v62
	v_mul_f32_e32 v62, v58, v62
	s_waitcnt vmcnt(4)
	v_fma_f32 v55, v55, v64, -v61
	s_waitcnt lgkmcnt(0)
	v_mul_f32_e32 v71, v59, v63
	v_mul_f32_e32 v63, v60, v63
	v_fmac_f32_e32 v69, v56, v64
	s_waitcnt vmcnt(3)
	v_fma_f32 v56, v57, v65, -v62
	v_add_f32_e32 v55, 0, v55
	v_fmac_f32_e32 v70, v58, v65
	s_waitcnt vmcnt(2)
	v_fma_f32 v57, v59, v66, -v63
	v_add_f32_e32 v58, 0, v69
	v_add_f32_e32 v55, v55, v56
	v_fmac_f32_e32 v71, v60, v66
	v_add_f32_e32 v58, v58, v70
	v_add_f32_e32 v55, v55, v57
	;; [unrolled: 1-line block ×3, first 2 shown]
	s_waitcnt vmcnt(1)
	v_sub_f32_e32 v55, v67, v55
	s_waitcnt vmcnt(0)
	v_sub_f32_e32 v56, v68, v56
	buffer_store_dword v55, off, s[0:3], 0 offset:176
	buffer_store_dword v56, off, s[0:3], 0 offset:180
	s_and_saveexec_b64 s[4:5], vcc
	s_cbranch_execz .LBB25_127
; %bb.126:
	buffer_load_dword v55, off, s[0:3], 0 offset:168
	buffer_load_dword v56, off, s[0:3], 0 offset:172
	s_waitcnt vmcnt(0)
	ds_write_b64 v53, v[55:56]
	buffer_store_dword v54, off, s[0:3], 0 offset:168
	buffer_store_dword v54, off, s[0:3], 0 offset:172
.LBB25_127:
	s_or_b64 exec, exec, s[4:5]
	s_waitcnt lgkmcnt(0)
	; wave barrier
	buffer_load_dword v63, off, s[0:3], 0 offset:180
	buffer_load_dword v64, off, s[0:3], 0 offset:188
	;; [unrolled: 1-line block ×10, first 2 shown]
	ds_read_b128 v[55:58], v54 offset:384
	ds_read_b128 v[59:62], v54 offset:400
	v_cmp_lt_u32_e32 vcc, 20, v0
	s_waitcnt vmcnt(9) lgkmcnt(1)
	v_mul_f32_e32 v54, v55, v63
	v_mul_f32_e32 v63, v56, v63
	s_waitcnt vmcnt(8)
	v_mul_f32_e32 v73, v57, v64
	v_mul_f32_e32 v64, v58, v64
	s_waitcnt vmcnt(5)
	v_fma_f32 v55, v55, v67, -v63
	s_waitcnt lgkmcnt(0)
	v_mul_f32_e32 v74, v59, v65
	v_mul_f32_e32 v65, v60, v65
	v_fmac_f32_e32 v54, v56, v67
	s_waitcnt vmcnt(4)
	v_fma_f32 v56, v57, v68, -v64
	v_add_f32_e32 v55, 0, v55
	v_mul_f32_e32 v75, v61, v66
	v_mul_f32_e32 v66, v62, v66
	v_fmac_f32_e32 v73, v58, v68
	s_waitcnt vmcnt(3)
	v_fma_f32 v57, v59, v69, -v65
	v_add_f32_e32 v54, 0, v54
	v_add_f32_e32 v55, v55, v56
	v_fmac_f32_e32 v74, v60, v69
	s_waitcnt vmcnt(2)
	v_fma_f32 v58, v61, v70, -v66
	v_add_f32_e32 v54, v54, v73
	v_add_f32_e32 v55, v55, v57
	v_fmac_f32_e32 v75, v62, v70
	v_add_f32_e32 v54, v54, v74
	v_add_f32_e32 v55, v55, v58
	;; [unrolled: 1-line block ×3, first 2 shown]
	s_waitcnt vmcnt(1)
	v_sub_f32_e32 v55, v71, v55
	s_waitcnt vmcnt(0)
	v_sub_f32_e32 v54, v72, v54
	buffer_store_dword v55, off, s[0:3], 0 offset:168
	buffer_store_dword v54, off, s[0:3], 0 offset:172
	s_and_saveexec_b64 s[4:5], vcc
	s_cbranch_execz .LBB25_129
; %bb.128:
	buffer_load_dword v54, off, s[0:3], 0 offset:160
	buffer_load_dword v55, off, s[0:3], 0 offset:164
	v_mov_b32_e32 v56, 0
	buffer_store_dword v56, off, s[0:3], 0 offset:160
	buffer_store_dword v56, off, s[0:3], 0 offset:164
	s_waitcnt vmcnt(2)
	ds_write_b64 v53, v[54:55]
.LBB25_129:
	s_or_b64 exec, exec, s[4:5]
	s_waitcnt lgkmcnt(0)
	; wave barrier
	buffer_load_dword v65, off, s[0:3], 0 offset:172
	buffer_load_dword v66, off, s[0:3], 0 offset:180
	;; [unrolled: 1-line block ×12, first 2 shown]
	v_mov_b32_e32 v54, 0
	ds_read2_b64 v[55:58], v54 offset0:47 offset1:48
	ds_read2_b64 v[59:62], v54 offset0:49 offset1:50
	ds_read_b64 v[63:64], v54 offset:408
	v_cmp_lt_u32_e32 vcc, 19, v0
	s_waitcnt vmcnt(11) lgkmcnt(2)
	v_mul_f32_e32 v77, v55, v65
	v_mul_f32_e32 v65, v56, v65
	s_waitcnt vmcnt(10)
	v_mul_f32_e32 v78, v57, v66
	v_mul_f32_e32 v66, v58, v66
	s_waitcnt vmcnt(9) lgkmcnt(1)
	v_mul_f32_e32 v79, v59, v67
	s_waitcnt vmcnt(6)
	v_fma_f32 v55, v55, v70, -v65
	v_mul_f32_e32 v67, v60, v67
	v_fmac_f32_e32 v77, v56, v70
	s_waitcnt vmcnt(5)
	v_fma_f32 v56, v57, v71, -v66
	v_add_f32_e32 v55, 0, v55
	v_mul_f32_e32 v80, v61, v68
	v_mul_f32_e32 v68, v62, v68
	v_fmac_f32_e32 v78, v58, v71
	s_waitcnt vmcnt(4)
	v_fmac_f32_e32 v79, v60, v72
	v_fma_f32 v57, v59, v72, -v67
	v_add_f32_e32 v60, 0, v77
	v_add_f32_e32 v55, v55, v56
	s_waitcnt lgkmcnt(0)
	v_mul_f32_e32 v81, v63, v69
	v_mul_f32_e32 v69, v64, v69
	s_waitcnt vmcnt(3)
	v_fma_f32 v58, v61, v73, -v68
	v_add_f32_e32 v60, v60, v78
	v_add_f32_e32 v55, v55, v57
	v_fmac_f32_e32 v80, v62, v73
	s_waitcnt vmcnt(2)
	v_fma_f32 v59, v63, v74, -v69
	v_add_f32_e32 v56, v60, v79
	v_add_f32_e32 v55, v55, v58
	v_fmac_f32_e32 v81, v64, v74
	v_add_f32_e32 v56, v56, v80
	v_add_f32_e32 v55, v55, v59
	;; [unrolled: 1-line block ×3, first 2 shown]
	s_waitcnt vmcnt(1)
	v_sub_f32_e32 v55, v75, v55
	s_waitcnt vmcnt(0)
	v_sub_f32_e32 v56, v76, v56
	buffer_store_dword v55, off, s[0:3], 0 offset:160
	buffer_store_dword v56, off, s[0:3], 0 offset:164
	s_and_saveexec_b64 s[4:5], vcc
	s_cbranch_execz .LBB25_131
; %bb.130:
	buffer_load_dword v55, off, s[0:3], 0 offset:152
	buffer_load_dword v56, off, s[0:3], 0 offset:156
	s_waitcnt vmcnt(0)
	ds_write_b64 v53, v[55:56]
	buffer_store_dword v54, off, s[0:3], 0 offset:152
	buffer_store_dword v54, off, s[0:3], 0 offset:156
.LBB25_131:
	s_or_b64 exec, exec, s[4:5]
	s_waitcnt lgkmcnt(0)
	; wave barrier
	ds_read_b128 v[55:58], v54 offset:368
	ds_read_b128 v[59:62], v54 offset:384
	;; [unrolled: 1-line block ×3, first 2 shown]
	buffer_load_dword v54, off, s[0:3], 0 offset:152
	buffer_load_dword v67, off, s[0:3], 0 offset:156
	;; [unrolled: 1-line block ×14, first 2 shown]
	v_cmp_lt_u32_e32 vcc, 18, v0
	s_waitcnt vmcnt(10) lgkmcnt(2)
	v_mul_f32_e32 v80, v55, v69
	v_fmac_f32_e32 v80, v56, v68
	v_mul_f32_e32 v56, v56, v69
	v_fma_f32 v55, v55, v68, -v56
	s_waitcnt vmcnt(8)
	v_mul_f32_e32 v56, v58, v71
	v_mul_f32_e32 v81, v57, v71
	v_add_f32_e32 v55, 0, v55
	v_fma_f32 v56, v57, v70, -v56
	v_add_f32_e32 v80, 0, v80
	v_fmac_f32_e32 v81, v58, v70
	v_add_f32_e32 v55, v55, v56
	s_waitcnt vmcnt(6) lgkmcnt(1)
	v_mul_f32_e32 v56, v60, v73
	v_add_f32_e32 v80, v80, v81
	v_mul_f32_e32 v81, v59, v73
	v_fma_f32 v56, v59, v72, -v56
	v_fmac_f32_e32 v81, v60, v72
	v_add_f32_e32 v55, v55, v56
	s_waitcnt vmcnt(4)
	v_mul_f32_e32 v56, v62, v75
	v_add_f32_e32 v80, v80, v81
	v_mul_f32_e32 v81, v61, v75
	v_fma_f32 v56, v61, v74, -v56
	v_fmac_f32_e32 v81, v62, v74
	v_add_f32_e32 v55, v55, v56
	s_waitcnt vmcnt(2) lgkmcnt(0)
	v_mul_f32_e32 v56, v64, v77
	v_add_f32_e32 v80, v80, v81
	v_mul_f32_e32 v81, v63, v77
	v_fma_f32 v56, v63, v76, -v56
	v_fmac_f32_e32 v81, v64, v76
	v_add_f32_e32 v55, v55, v56
	s_waitcnt vmcnt(0)
	v_mul_f32_e32 v56, v66, v79
	v_add_f32_e32 v80, v80, v81
	v_mul_f32_e32 v81, v65, v79
	v_fma_f32 v56, v65, v78, -v56
	v_fmac_f32_e32 v81, v66, v78
	v_add_f32_e32 v55, v55, v56
	v_add_f32_e32 v80, v80, v81
	v_sub_f32_e32 v54, v54, v55
	v_sub_f32_e32 v55, v67, v80
	buffer_store_dword v54, off, s[0:3], 0 offset:152
	buffer_store_dword v55, off, s[0:3], 0 offset:156
	s_and_saveexec_b64 s[4:5], vcc
	s_cbranch_execz .LBB25_133
; %bb.132:
	buffer_load_dword v54, off, s[0:3], 0 offset:144
	buffer_load_dword v55, off, s[0:3], 0 offset:148
	v_mov_b32_e32 v56, 0
	buffer_store_dword v56, off, s[0:3], 0 offset:144
	buffer_store_dword v56, off, s[0:3], 0 offset:148
	s_waitcnt vmcnt(2)
	ds_write_b64 v53, v[54:55]
.LBB25_133:
	s_or_b64 exec, exec, s[4:5]
	s_waitcnt lgkmcnt(0)
	; wave barrier
	buffer_load_dword v69, off, s[0:3], 0 offset:156
	buffer_load_dword v70, off, s[0:3], 0 offset:164
	;; [unrolled: 1-line block ×16, first 2 shown]
	v_mov_b32_e32 v54, 0
	ds_read2_b64 v[55:58], v54 offset0:45 offset1:46
	ds_read2_b64 v[59:62], v54 offset0:47 offset1:48
	;; [unrolled: 1-line block ×3, first 2 shown]
	ds_read_b64 v[67:68], v54 offset:408
	v_cmp_lt_u32_e32 vcc, 17, v0
	s_waitcnt vmcnt(15) lgkmcnt(3)
	v_mul_f32_e32 v85, v55, v69
	v_mul_f32_e32 v69, v56, v69
	s_waitcnt vmcnt(14)
	v_mul_f32_e32 v86, v57, v70
	v_mul_f32_e32 v70, v58, v70
	s_waitcnt vmcnt(13) lgkmcnt(2)
	v_mul_f32_e32 v87, v59, v71
	s_waitcnt vmcnt(12)
	v_mul_f32_e32 v88, v61, v72
	v_mul_f32_e32 v71, v60, v71
	s_waitcnt vmcnt(8)
	v_fma_f32 v55, v55, v76, -v69
	v_fmac_f32_e32 v85, v56, v76
	s_waitcnt vmcnt(7)
	v_fma_f32 v56, v57, v77, -v70
	v_add_f32_e32 v55, 0, v55
	v_mul_f32_e32 v72, v62, v72
	v_fmac_f32_e32 v86, v58, v77
	s_waitcnt vmcnt(5)
	v_fmac_f32_e32 v88, v62, v79
	v_fma_f32 v57, v59, v78, -v71
	v_add_f32_e32 v62, 0, v85
	v_add_f32_e32 v55, v55, v56
	s_waitcnt lgkmcnt(1)
	v_mul_f32_e32 v89, v63, v73
	v_mul_f32_e32 v73, v64, v73
	v_fmac_f32_e32 v87, v60, v78
	v_fma_f32 v58, v61, v79, -v72
	v_add_f32_e32 v62, v62, v86
	v_add_f32_e32 v55, v55, v57
	v_mul_f32_e32 v90, v65, v74
	v_mul_f32_e32 v74, v66, v74
	s_waitcnt vmcnt(4)
	v_fma_f32 v59, v63, v80, -v73
	v_add_f32_e32 v56, v62, v87
	v_add_f32_e32 v55, v55, v58
	s_waitcnt lgkmcnt(0)
	v_mul_f32_e32 v91, v67, v75
	v_mul_f32_e32 v75, v68, v75
	v_fmac_f32_e32 v89, v64, v80
	s_waitcnt vmcnt(3)
	v_fma_f32 v60, v65, v81, -v74
	v_add_f32_e32 v56, v56, v88
	v_add_f32_e32 v55, v55, v59
	v_fmac_f32_e32 v90, v66, v81
	s_waitcnt vmcnt(2)
	v_fma_f32 v61, v67, v82, -v75
	v_add_f32_e32 v56, v56, v89
	v_add_f32_e32 v55, v55, v60
	v_fmac_f32_e32 v91, v68, v82
	v_add_f32_e32 v56, v56, v90
	v_add_f32_e32 v55, v55, v61
	v_add_f32_e32 v56, v56, v91
	s_waitcnt vmcnt(1)
	v_sub_f32_e32 v55, v83, v55
	s_waitcnt vmcnt(0)
	v_sub_f32_e32 v56, v84, v56
	buffer_store_dword v55, off, s[0:3], 0 offset:144
	buffer_store_dword v56, off, s[0:3], 0 offset:148
	s_and_saveexec_b64 s[4:5], vcc
	s_cbranch_execz .LBB25_135
; %bb.134:
	buffer_load_dword v55, off, s[0:3], 0 offset:136
	buffer_load_dword v56, off, s[0:3], 0 offset:140
	s_waitcnt vmcnt(0)
	ds_write_b64 v53, v[55:56]
	buffer_store_dword v54, off, s[0:3], 0 offset:136
	buffer_store_dword v54, off, s[0:3], 0 offset:140
.LBB25_135:
	s_or_b64 exec, exec, s[4:5]
	s_waitcnt lgkmcnt(0)
	; wave barrier
	buffer_load_dword v71, off, s[0:3], 0 offset:148
	buffer_load_dword v72, off, s[0:3], 0 offset:156
	;; [unrolled: 1-line block ×18, first 2 shown]
	ds_read_b128 v[55:58], v54 offset:352
	ds_read_b128 v[59:62], v54 offset:368
	;; [unrolled: 1-line block ×4, first 2 shown]
	v_cmp_lt_u32_e32 vcc, 16, v0
	s_waitcnt vmcnt(17) lgkmcnt(3)
	v_mul_f32_e32 v54, v55, v71
	v_mul_f32_e32 v71, v56, v71
	s_waitcnt vmcnt(16)
	v_mul_f32_e32 v89, v57, v72
	v_mul_f32_e32 v72, v58, v72
	s_waitcnt vmcnt(15) lgkmcnt(2)
	v_mul_f32_e32 v90, v59, v73
	v_mul_f32_e32 v73, v60, v73
	s_waitcnt vmcnt(14)
	v_mul_f32_e32 v91, v61, v74
	v_mul_f32_e32 v74, v62, v74
	s_waitcnt vmcnt(9)
	v_fma_f32 v55, v55, v79, -v71
	v_fmac_f32_e32 v54, v56, v79
	s_waitcnt vmcnt(8)
	v_fma_f32 v56, v57, v80, -v72
	v_add_f32_e32 v55, 0, v55
	v_fmac_f32_e32 v89, v58, v80
	s_waitcnt vmcnt(7)
	v_fma_f32 v57, v59, v81, -v73
	v_add_f32_e32 v54, 0, v54
	v_add_f32_e32 v55, v55, v56
	s_waitcnt lgkmcnt(1)
	v_mul_f32_e32 v92, v63, v75
	v_mul_f32_e32 v75, v64, v75
	v_fmac_f32_e32 v90, v60, v81
	s_waitcnt vmcnt(6)
	v_fma_f32 v58, v61, v82, -v74
	v_add_f32_e32 v54, v54, v89
	v_add_f32_e32 v55, v55, v57
	v_mul_f32_e32 v93, v65, v76
	v_mul_f32_e32 v76, v66, v76
	v_fmac_f32_e32 v91, v62, v82
	s_waitcnt vmcnt(5)
	v_fma_f32 v59, v63, v83, -v75
	v_add_f32_e32 v54, v54, v90
	v_add_f32_e32 v55, v55, v58
	s_waitcnt lgkmcnt(0)
	v_mul_f32_e32 v94, v67, v77
	v_mul_f32_e32 v77, v68, v77
	v_fmac_f32_e32 v92, v64, v83
	s_waitcnt vmcnt(4)
	v_fma_f32 v60, v65, v84, -v76
	v_add_f32_e32 v54, v54, v91
	v_add_f32_e32 v55, v55, v59
	v_mul_f32_e32 v95, v69, v78
	v_mul_f32_e32 v78, v70, v78
	v_fmac_f32_e32 v93, v66, v84
	s_waitcnt vmcnt(3)
	v_fma_f32 v61, v67, v85, -v77
	v_add_f32_e32 v54, v54, v92
	v_add_f32_e32 v55, v55, v60
	v_fmac_f32_e32 v94, v68, v85
	s_waitcnt vmcnt(2)
	v_fma_f32 v62, v69, v86, -v78
	v_add_f32_e32 v54, v54, v93
	v_add_f32_e32 v55, v55, v61
	v_fmac_f32_e32 v95, v70, v86
	v_add_f32_e32 v54, v54, v94
	v_add_f32_e32 v55, v55, v62
	;; [unrolled: 1-line block ×3, first 2 shown]
	s_waitcnt vmcnt(1)
	v_sub_f32_e32 v55, v87, v55
	s_waitcnt vmcnt(0)
	v_sub_f32_e32 v54, v88, v54
	buffer_store_dword v55, off, s[0:3], 0 offset:136
	buffer_store_dword v54, off, s[0:3], 0 offset:140
	s_and_saveexec_b64 s[4:5], vcc
	s_cbranch_execz .LBB25_137
; %bb.136:
	buffer_load_dword v54, off, s[0:3], 0 offset:128
	buffer_load_dword v55, off, s[0:3], 0 offset:132
	v_mov_b32_e32 v56, 0
	buffer_store_dword v56, off, s[0:3], 0 offset:128
	buffer_store_dword v56, off, s[0:3], 0 offset:132
	s_waitcnt vmcnt(2)
	ds_write_b64 v53, v[54:55]
.LBB25_137:
	s_or_b64 exec, exec, s[4:5]
	s_waitcnt lgkmcnt(0)
	; wave barrier
	buffer_load_dword v73, off, s[0:3], 0 offset:140
	buffer_load_dword v74, off, s[0:3], 0 offset:148
	;; [unrolled: 1-line block ×20, first 2 shown]
	v_mov_b32_e32 v54, 0
	ds_read2_b64 v[55:58], v54 offset0:43 offset1:44
	ds_read2_b64 v[59:62], v54 offset0:45 offset1:46
	;; [unrolled: 1-line block ×4, first 2 shown]
	ds_read_b64 v[71:72], v54 offset:408
	v_cmp_lt_u32_e32 vcc, 15, v0
	s_waitcnt vmcnt(19) lgkmcnt(4)
	v_mul_f32_e32 v93, v55, v73
	v_mul_f32_e32 v73, v56, v73
	s_waitcnt vmcnt(18)
	v_mul_f32_e32 v94, v57, v74
	v_mul_f32_e32 v74, v58, v74
	s_waitcnt vmcnt(17) lgkmcnt(3)
	v_mul_f32_e32 v95, v59, v75
	s_waitcnt vmcnt(15) lgkmcnt(2)
	v_mul_f32_e32 v97, v63, v77
	v_mul_f32_e32 v75, v60, v75
	;; [unrolled: 1-line block ×4, first 2 shown]
	s_waitcnt vmcnt(10)
	v_fma_f32 v55, v55, v82, -v73
	v_fmac_f32_e32 v93, v56, v82
	s_waitcnt vmcnt(9)
	v_fma_f32 v56, v57, v83, -v74
	v_add_f32_e32 v55, 0, v55
	v_mul_f32_e32 v77, v64, v77
	v_fmac_f32_e32 v94, v58, v83
	s_waitcnt vmcnt(6)
	v_fmac_f32_e32 v97, v64, v86
	v_fma_f32 v57, v59, v84, -v75
	v_add_f32_e32 v64, 0, v93
	v_add_f32_e32 v55, v55, v56
	v_fmac_f32_e32 v95, v60, v84
	v_fma_f32 v58, v61, v85, -v76
	v_add_f32_e32 v64, v64, v94
	v_add_f32_e32 v55, v55, v57
	v_mul_f32_e32 v98, v65, v78
	v_mul_f32_e32 v78, v66, v78
	v_fmac_f32_e32 v96, v62, v85
	v_fma_f32 v59, v63, v86, -v77
	v_add_f32_e32 v56, v64, v95
	v_add_f32_e32 v55, v55, v58
	s_waitcnt lgkmcnt(1)
	v_mul_f32_e32 v99, v67, v79
	v_mul_f32_e32 v79, v68, v79
	s_waitcnt vmcnt(5)
	v_fma_f32 v60, v65, v87, -v78
	v_add_f32_e32 v56, v56, v96
	v_add_f32_e32 v55, v55, v59
	v_mul_f32_e32 v100, v69, v80
	v_mul_f32_e32 v80, v70, v80
	v_fmac_f32_e32 v98, v66, v87
	s_waitcnt vmcnt(4)
	v_fma_f32 v61, v67, v88, -v79
	v_add_f32_e32 v56, v56, v97
	v_add_f32_e32 v55, v55, v60
	s_waitcnt lgkmcnt(0)
	v_mul_f32_e32 v101, v71, v81
	v_mul_f32_e32 v81, v72, v81
	v_fmac_f32_e32 v99, v68, v88
	s_waitcnt vmcnt(3)
	v_fma_f32 v62, v69, v89, -v80
	v_add_f32_e32 v56, v56, v98
	v_add_f32_e32 v55, v55, v61
	v_fmac_f32_e32 v100, v70, v89
	s_waitcnt vmcnt(2)
	v_fma_f32 v63, v71, v90, -v81
	v_add_f32_e32 v56, v56, v99
	v_add_f32_e32 v55, v55, v62
	v_fmac_f32_e32 v101, v72, v90
	v_add_f32_e32 v56, v56, v100
	v_add_f32_e32 v55, v55, v63
	;; [unrolled: 1-line block ×3, first 2 shown]
	s_waitcnt vmcnt(1)
	v_sub_f32_e32 v55, v91, v55
	s_waitcnt vmcnt(0)
	v_sub_f32_e32 v56, v92, v56
	buffer_store_dword v55, off, s[0:3], 0 offset:128
	buffer_store_dword v56, off, s[0:3], 0 offset:132
	s_and_saveexec_b64 s[4:5], vcc
	s_cbranch_execz .LBB25_139
; %bb.138:
	buffer_load_dword v55, off, s[0:3], 0 offset:120
	buffer_load_dword v56, off, s[0:3], 0 offset:124
	s_waitcnt vmcnt(0)
	ds_write_b64 v53, v[55:56]
	buffer_store_dword v54, off, s[0:3], 0 offset:120
	buffer_store_dword v54, off, s[0:3], 0 offset:124
.LBB25_139:
	s_or_b64 exec, exec, s[4:5]
	s_waitcnt lgkmcnt(0)
	; wave barrier
	buffer_load_dword v75, off, s[0:3], 0 offset:132
	buffer_load_dword v76, off, s[0:3], 0 offset:140
	buffer_load_dword v77, off, s[0:3], 0 offset:148
	buffer_load_dword v78, off, s[0:3], 0 offset:156
	buffer_load_dword v79, off, s[0:3], 0 offset:164
	buffer_load_dword v80, off, s[0:3], 0 offset:172
	buffer_load_dword v81, off, s[0:3], 0 offset:180
	buffer_load_dword v82, off, s[0:3], 0 offset:188
	buffer_load_dword v83, off, s[0:3], 0 offset:196
	buffer_load_dword v84, off, s[0:3], 0 offset:204
	buffer_load_dword v85, off, s[0:3], 0 offset:128
	buffer_load_dword v86, off, s[0:3], 0 offset:136
	buffer_load_dword v87, off, s[0:3], 0 offset:144
	buffer_load_dword v88, off, s[0:3], 0 offset:152
	buffer_load_dword v89, off, s[0:3], 0 offset:160
	buffer_load_dword v90, off, s[0:3], 0 offset:168
	buffer_load_dword v91, off, s[0:3], 0 offset:176
	buffer_load_dword v92, off, s[0:3], 0 offset:184
	buffer_load_dword v93, off, s[0:3], 0 offset:192
	buffer_load_dword v94, off, s[0:3], 0 offset:200
	buffer_load_dword v95, off, s[0:3], 0 offset:120
	buffer_load_dword v96, off, s[0:3], 0 offset:124
	ds_read_b128 v[55:58], v54 offset:336
	ds_read_b128 v[59:62], v54 offset:352
	;; [unrolled: 1-line block ×5, first 2 shown]
	v_cmp_lt_u32_e32 vcc, 14, v0
	s_waitcnt vmcnt(21) lgkmcnt(4)
	v_mul_f32_e32 v54, v55, v75
	v_mul_f32_e32 v75, v56, v75
	s_waitcnt vmcnt(20)
	v_mul_f32_e32 v97, v57, v76
	v_mul_f32_e32 v76, v58, v76
	s_waitcnt vmcnt(19) lgkmcnt(3)
	v_mul_f32_e32 v98, v59, v77
	v_mul_f32_e32 v77, v60, v77
	s_waitcnt vmcnt(18)
	v_mul_f32_e32 v99, v61, v78
	v_mul_f32_e32 v78, v62, v78
	s_waitcnt vmcnt(17) lgkmcnt(2)
	v_mul_f32_e32 v100, v63, v79
	v_mul_f32_e32 v79, v64, v79
	s_waitcnt vmcnt(11)
	v_fma_f32 v55, v55, v85, -v75
	v_fmac_f32_e32 v54, v56, v85
	s_waitcnt vmcnt(10)
	v_fma_f32 v56, v57, v86, -v76
	v_add_f32_e32 v55, 0, v55
	v_fmac_f32_e32 v97, v58, v86
	s_waitcnt vmcnt(9)
	v_fma_f32 v57, v59, v87, -v77
	v_add_f32_e32 v54, 0, v54
	v_add_f32_e32 v55, v55, v56
	v_fmac_f32_e32 v98, v60, v87
	s_waitcnt vmcnt(8)
	v_fma_f32 v58, v61, v88, -v78
	v_add_f32_e32 v54, v54, v97
	v_add_f32_e32 v55, v55, v57
	v_mul_f32_e32 v101, v65, v80
	v_mul_f32_e32 v80, v66, v80
	v_fmac_f32_e32 v99, v62, v88
	s_waitcnt vmcnt(7)
	v_fma_f32 v59, v63, v89, -v79
	v_add_f32_e32 v54, v54, v98
	v_add_f32_e32 v55, v55, v58
	s_waitcnt lgkmcnt(1)
	v_mul_f32_e32 v102, v67, v81
	v_mul_f32_e32 v81, v68, v81
	v_fmac_f32_e32 v100, v64, v89
	s_waitcnt vmcnt(6)
	v_fma_f32 v60, v65, v90, -v80
	v_add_f32_e32 v54, v54, v99
	v_add_f32_e32 v55, v55, v59
	v_mul_f32_e32 v103, v69, v82
	v_mul_f32_e32 v82, v70, v82
	v_fmac_f32_e32 v101, v66, v90
	s_waitcnt vmcnt(5)
	v_fma_f32 v61, v67, v91, -v81
	v_add_f32_e32 v54, v54, v100
	v_add_f32_e32 v55, v55, v60
	s_waitcnt lgkmcnt(0)
	v_mul_f32_e32 v104, v71, v83
	v_mul_f32_e32 v83, v72, v83
	v_fmac_f32_e32 v102, v68, v91
	s_waitcnt vmcnt(4)
	v_fma_f32 v62, v69, v92, -v82
	v_add_f32_e32 v54, v54, v101
	v_add_f32_e32 v55, v55, v61
	v_mul_f32_e32 v105, v73, v84
	v_mul_f32_e32 v84, v74, v84
	v_fmac_f32_e32 v103, v70, v92
	s_waitcnt vmcnt(3)
	v_fma_f32 v63, v71, v93, -v83
	v_add_f32_e32 v54, v54, v102
	v_add_f32_e32 v55, v55, v62
	v_fmac_f32_e32 v104, v72, v93
	s_waitcnt vmcnt(2)
	v_fma_f32 v64, v73, v94, -v84
	v_add_f32_e32 v54, v54, v103
	v_add_f32_e32 v55, v55, v63
	v_fmac_f32_e32 v105, v74, v94
	v_add_f32_e32 v54, v54, v104
	v_add_f32_e32 v55, v55, v64
	;; [unrolled: 1-line block ×3, first 2 shown]
	s_waitcnt vmcnt(1)
	v_sub_f32_e32 v55, v95, v55
	s_waitcnt vmcnt(0)
	v_sub_f32_e32 v54, v96, v54
	buffer_store_dword v55, off, s[0:3], 0 offset:120
	buffer_store_dword v54, off, s[0:3], 0 offset:124
	s_and_saveexec_b64 s[4:5], vcc
	s_cbranch_execz .LBB25_141
; %bb.140:
	buffer_load_dword v54, off, s[0:3], 0 offset:112
	buffer_load_dword v55, off, s[0:3], 0 offset:116
	v_mov_b32_e32 v56, 0
	buffer_store_dword v56, off, s[0:3], 0 offset:112
	buffer_store_dword v56, off, s[0:3], 0 offset:116
	s_waitcnt vmcnt(2)
	ds_write_b64 v53, v[54:55]
.LBB25_141:
	s_or_b64 exec, exec, s[4:5]
	s_waitcnt lgkmcnt(0)
	; wave barrier
	buffer_load_dword v77, off, s[0:3], 0 offset:124
	buffer_load_dword v78, off, s[0:3], 0 offset:132
	;; [unrolled: 1-line block ×24, first 2 shown]
	v_mov_b32_e32 v54, 0
	ds_read2_b64 v[55:58], v54 offset0:41 offset1:42
	ds_read2_b64 v[59:62], v54 offset0:43 offset1:44
	ds_read2_b64 v[63:66], v54 offset0:45 offset1:46
	ds_read2_b64 v[67:70], v54 offset0:47 offset1:48
	ds_read2_b64 v[71:74], v54 offset0:49 offset1:50
	ds_read_b64 v[75:76], v54 offset:408
	v_cmp_lt_u32_e32 vcc, 13, v0
	s_waitcnt vmcnt(23) lgkmcnt(5)
	v_mul_f32_e32 v101, v55, v77
	v_mul_f32_e32 v77, v56, v77
	s_waitcnt vmcnt(22)
	v_mul_f32_e32 v102, v57, v78
	v_mul_f32_e32 v78, v58, v78
	s_waitcnt vmcnt(21) lgkmcnt(4)
	v_mul_f32_e32 v103, v59, v79
	v_mul_f32_e32 v79, v60, v79
	s_waitcnt vmcnt(20)
	v_mul_f32_e32 v104, v61, v80
	s_waitcnt vmcnt(19) lgkmcnt(3)
	v_mul_f32_e32 v105, v63, v81
	v_mul_f32_e32 v80, v62, v80
	;; [unrolled: 1-line block ×3, first 2 shown]
	s_waitcnt vmcnt(18)
	v_mul_f32_e32 v106, v65, v82
	s_waitcnt vmcnt(12)
	v_fma_f32 v55, v55, v88, -v77
	v_fmac_f32_e32 v101, v56, v88
	s_waitcnt vmcnt(11)
	v_fma_f32 v56, v57, v89, -v78
	v_add_f32_e32 v55, 0, v55
	s_waitcnt vmcnt(10)
	v_fma_f32 v57, v59, v90, -v79
	v_add_f32_e32 v55, v55, v56
	v_fmac_f32_e32 v102, v58, v89
	s_waitcnt vmcnt(8)
	v_fmac_f32_e32 v105, v64, v92
	v_fma_f32 v58, v61, v91, -v80
	v_add_f32_e32 v64, 0, v101
	v_add_f32_e32 v55, v55, v57
	v_mul_f32_e32 v82, v66, v82
	v_fmac_f32_e32 v103, v60, v90
	v_fma_f32 v59, v63, v92, -v81
	v_add_f32_e32 v64, v64, v102
	v_add_f32_e32 v55, v55, v58
	s_waitcnt lgkmcnt(2)
	v_mul_f32_e32 v107, v67, v83
	v_mul_f32_e32 v83, v68, v83
	v_fmac_f32_e32 v104, v62, v91
	s_waitcnt vmcnt(7)
	v_fma_f32 v60, v65, v93, -v82
	v_add_f32_e32 v56, v64, v103
	v_add_f32_e32 v55, v55, v59
	v_mul_f32_e32 v108, v69, v84
	v_mul_f32_e32 v84, v70, v84
	s_waitcnt vmcnt(6)
	v_fma_f32 v61, v67, v94, -v83
	v_add_f32_e32 v56, v56, v104
	v_add_f32_e32 v55, v55, v60
	s_waitcnt lgkmcnt(1)
	v_mul_f32_e32 v109, v71, v85
	v_mul_f32_e32 v85, v72, v85
	v_fmac_f32_e32 v106, v66, v93
	s_waitcnt vmcnt(5)
	v_fma_f32 v62, v69, v95, -v84
	v_add_f32_e32 v56, v56, v105
	v_add_f32_e32 v55, v55, v61
	v_fmac_f32_e32 v107, v68, v94
	s_waitcnt vmcnt(4)
	v_fma_f32 v63, v71, v96, -v85
	v_add_f32_e32 v56, v56, v106
	v_add_f32_e32 v55, v55, v62
	v_mul_f32_e32 v57, v74, v86
	v_fmac_f32_e32 v108, v70, v95
	v_add_f32_e32 v56, v56, v107
	v_add_f32_e32 v55, v55, v63
	s_waitcnt vmcnt(3)
	v_fma_f32 v57, v73, v97, -v57
	v_mul_f32_e32 v110, v73, v86
	v_fmac_f32_e32 v109, v72, v96
	v_add_f32_e32 v56, v56, v108
	v_add_f32_e32 v55, v55, v57
	s_waitcnt lgkmcnt(0)
	v_mul_f32_e32 v57, v76, v87
	v_mul_f32_e32 v111, v75, v87
	v_fmac_f32_e32 v110, v74, v97
	v_add_f32_e32 v56, v56, v109
	s_waitcnt vmcnt(2)
	v_fma_f32 v57, v75, v98, -v57
	v_fmac_f32_e32 v111, v76, v98
	v_add_f32_e32 v56, v56, v110
	v_add_f32_e32 v55, v55, v57
	;; [unrolled: 1-line block ×3, first 2 shown]
	s_waitcnt vmcnt(1)
	v_sub_f32_e32 v55, v99, v55
	s_waitcnt vmcnt(0)
	v_sub_f32_e32 v56, v100, v56
	buffer_store_dword v55, off, s[0:3], 0 offset:112
	buffer_store_dword v56, off, s[0:3], 0 offset:116
	s_and_saveexec_b64 s[4:5], vcc
	s_cbranch_execz .LBB25_143
; %bb.142:
	buffer_load_dword v55, off, s[0:3], 0 offset:104
	buffer_load_dword v56, off, s[0:3], 0 offset:108
	s_waitcnt vmcnt(0)
	ds_write_b64 v53, v[55:56]
	buffer_store_dword v54, off, s[0:3], 0 offset:104
	buffer_store_dword v54, off, s[0:3], 0 offset:108
.LBB25_143:
	s_or_b64 exec, exec, s[4:5]
	s_waitcnt lgkmcnt(0)
	; wave barrier
	buffer_load_dword v79, off, s[0:3], 0 offset:116
	buffer_load_dword v80, off, s[0:3], 0 offset:124
	;; [unrolled: 1-line block ×26, first 2 shown]
	ds_read_b128 v[55:58], v54 offset:320
	ds_read_b128 v[59:62], v54 offset:336
	ds_read_b128 v[63:66], v54 offset:352
	ds_read_b128 v[67:70], v54 offset:368
	ds_read_b128 v[71:74], v54 offset:384
	ds_read_b128 v[75:78], v54 offset:400
	v_cmp_lt_u32_e32 vcc, 12, v0
	s_waitcnt vmcnt(25) lgkmcnt(5)
	v_mul_f32_e32 v54, v55, v79
	v_mul_f32_e32 v79, v56, v79
	s_waitcnt vmcnt(24)
	v_mul_f32_e32 v105, v57, v80
	v_mul_f32_e32 v80, v58, v80
	s_waitcnt vmcnt(23) lgkmcnt(4)
	v_mul_f32_e32 v106, v59, v81
	v_mul_f32_e32 v81, v60, v81
	s_waitcnt vmcnt(22)
	v_mul_f32_e32 v107, v61, v82
	v_mul_f32_e32 v82, v62, v82
	;; [unrolled: 6-line block ×3, first 2 shown]
	s_waitcnt vmcnt(13)
	v_fma_f32 v55, v55, v91, -v79
	v_fmac_f32_e32 v54, v56, v91
	s_waitcnt vmcnt(12)
	v_fma_f32 v56, v57, v92, -v80
	v_add_f32_e32 v55, 0, v55
	s_waitcnt vmcnt(11)
	v_fma_f32 v57, v59, v93, -v81
	v_add_f32_e32 v55, v55, v56
	v_fmac_f32_e32 v105, v58, v92
	s_waitcnt vmcnt(10)
	v_fma_f32 v58, v61, v94, -v82
	v_add_f32_e32 v55, v55, v57
	s_waitcnt vmcnt(9)
	v_fma_f32 v59, v63, v95, -v83
	v_add_f32_e32 v55, v55, v58
	s_waitcnt lgkmcnt(2)
	v_mul_f32_e32 v110, v67, v85
	v_mul_f32_e32 v85, v68, v85
	v_fmac_f32_e32 v106, v60, v93
	s_waitcnt vmcnt(8)
	v_fma_f32 v60, v65, v96, -v84
	v_add_f32_e32 v54, 0, v54
	v_add_f32_e32 v55, v55, v59
	v_mul_f32_e32 v111, v69, v86
	v_mul_f32_e32 v86, v70, v86
	s_waitcnt vmcnt(7)
	v_fma_f32 v61, v67, v97, -v85
	v_add_f32_e32 v54, v54, v105
	v_add_f32_e32 v55, v55, v60
	v_fmac_f32_e32 v107, v62, v94
	s_waitcnt vmcnt(6)
	v_fma_f32 v62, v69, v98, -v86
	v_add_f32_e32 v54, v54, v106
	v_add_f32_e32 v55, v55, v61
	s_waitcnt lgkmcnt(1)
	v_mul_f32_e32 v56, v72, v87
	v_fmac_f32_e32 v108, v64, v95
	v_add_f32_e32 v54, v54, v107
	v_add_f32_e32 v55, v55, v62
	s_waitcnt vmcnt(5)
	v_fma_f32 v56, v71, v99, -v56
	v_fmac_f32_e32 v109, v66, v96
	v_add_f32_e32 v54, v54, v108
	v_add_f32_e32 v55, v55, v56
	v_mul_f32_e32 v56, v74, v88
	v_fmac_f32_e32 v110, v68, v97
	v_add_f32_e32 v54, v54, v109
	s_waitcnt vmcnt(4)
	v_fma_f32 v56, v73, v100, -v56
	v_mul_f32_e32 v112, v71, v87
	v_fmac_f32_e32 v111, v70, v98
	v_add_f32_e32 v54, v54, v110
	v_add_f32_e32 v55, v55, v56
	s_waitcnt lgkmcnt(0)
	v_mul_f32_e32 v56, v76, v89
	v_mul_f32_e32 v113, v73, v88
	v_fmac_f32_e32 v112, v72, v99
	v_add_f32_e32 v54, v54, v111
	s_waitcnt vmcnt(3)
	v_fma_f32 v56, v75, v101, -v56
	v_mul_f32_e32 v114, v75, v89
	v_fmac_f32_e32 v113, v74, v100
	v_add_f32_e32 v54, v54, v112
	v_add_f32_e32 v55, v55, v56
	v_mul_f32_e32 v56, v78, v90
	v_mul_f32_e32 v115, v77, v90
	v_fmac_f32_e32 v114, v76, v101
	v_add_f32_e32 v54, v54, v113
	s_waitcnt vmcnt(2)
	v_fma_f32 v56, v77, v102, -v56
	v_fmac_f32_e32 v115, v78, v102
	v_add_f32_e32 v54, v54, v114
	v_add_f32_e32 v55, v55, v56
	;; [unrolled: 1-line block ×3, first 2 shown]
	s_waitcnt vmcnt(1)
	v_sub_f32_e32 v55, v103, v55
	s_waitcnt vmcnt(0)
	v_sub_f32_e32 v54, v104, v54
	buffer_store_dword v55, off, s[0:3], 0 offset:104
	buffer_store_dword v54, off, s[0:3], 0 offset:108
	s_and_saveexec_b64 s[4:5], vcc
	s_cbranch_execz .LBB25_145
; %bb.144:
	buffer_load_dword v54, off, s[0:3], 0 offset:96
	buffer_load_dword v55, off, s[0:3], 0 offset:100
	v_mov_b32_e32 v56, 0
	buffer_store_dword v56, off, s[0:3], 0 offset:96
	buffer_store_dword v56, off, s[0:3], 0 offset:100
	s_waitcnt vmcnt(2)
	ds_write_b64 v53, v[54:55]
.LBB25_145:
	s_or_b64 exec, exec, s[4:5]
	s_waitcnt lgkmcnt(0)
	; wave barrier
	buffer_load_dword v81, off, s[0:3], 0 offset:108
	buffer_load_dword v82, off, s[0:3], 0 offset:116
	;; [unrolled: 1-line block ×28, first 2 shown]
	v_mov_b32_e32 v54, 0
	ds_read2_b64 v[55:58], v54 offset0:39 offset1:40
	ds_read2_b64 v[59:62], v54 offset0:41 offset1:42
	;; [unrolled: 1-line block ×6, first 2 shown]
	ds_read_b64 v[79:80], v54 offset:408
	v_cmp_lt_u32_e32 vcc, 11, v0
	s_waitcnt vmcnt(27) lgkmcnt(6)
	v_mul_f32_e32 v109, v55, v81
	v_mul_f32_e32 v81, v56, v81
	s_waitcnt vmcnt(26)
	v_mul_f32_e32 v110, v57, v82
	v_mul_f32_e32 v82, v58, v82
	s_waitcnt vmcnt(25) lgkmcnt(5)
	v_mul_f32_e32 v111, v59, v83
	v_mul_f32_e32 v83, v60, v83
	s_waitcnt vmcnt(24)
	v_mul_f32_e32 v112, v61, v84
	v_mul_f32_e32 v84, v62, v84
	;; [unrolled: 6-line block ×3, first 2 shown]
	s_waitcnt vmcnt(21) lgkmcnt(3)
	v_mul_f32_e32 v115, v67, v87
	s_waitcnt vmcnt(14)
	v_fma_f32 v55, v55, v94, -v81
	v_fmac_f32_e32 v109, v56, v94
	s_waitcnt vmcnt(13)
	v_fma_f32 v56, v57, v95, -v82
	v_add_f32_e32 v55, 0, v55
	s_waitcnt vmcnt(12)
	v_fma_f32 v57, v59, v96, -v83
	v_add_f32_e32 v55, v55, v56
	v_fmac_f32_e32 v110, v58, v95
	s_waitcnt vmcnt(11)
	v_fma_f32 v58, v61, v97, -v84
	v_add_f32_e32 v55, v55, v57
	s_waitcnt vmcnt(10)
	v_fma_f32 v59, v63, v98, -v85
	v_add_f32_e32 v55, v55, v58
	v_fmac_f32_e32 v111, v60, v96
	s_waitcnt vmcnt(9)
	v_fma_f32 v60, v65, v99, -v86
	v_add_f32_e32 v55, v55, v59
	v_mul_f32_e32 v57, v68, v87
	v_add_f32_e32 v55, v55, v60
	s_waitcnt vmcnt(8)
	v_fma_f32 v57, v67, v100, -v57
	v_add_f32_e32 v55, v55, v57
	v_mul_f32_e32 v57, v70, v88
	v_add_f32_e32 v61, 0, v109
	s_waitcnt vmcnt(7)
	v_fma_f32 v57, v69, v101, -v57
	v_add_f32_e32 v61, v61, v110
	v_add_f32_e32 v55, v55, v57
	s_waitcnt lgkmcnt(2)
	v_mul_f32_e32 v57, v72, v89
	v_fmac_f32_e32 v112, v62, v97
	v_add_f32_e32 v56, v61, v111
	s_waitcnt vmcnt(6)
	v_fma_f32 v57, v71, v102, -v57
	v_fmac_f32_e32 v113, v64, v98
	v_add_f32_e32 v56, v56, v112
	v_add_f32_e32 v55, v55, v57
	v_mul_f32_e32 v57, v74, v90
	v_fmac_f32_e32 v114, v66, v99
	v_add_f32_e32 v56, v56, v113
	s_waitcnt vmcnt(5)
	v_fma_f32 v57, v73, v103, -v57
	v_mul_f32_e32 v116, v69, v88
	v_fmac_f32_e32 v115, v68, v100
	v_add_f32_e32 v56, v56, v114
	v_add_f32_e32 v55, v55, v57
	s_waitcnt lgkmcnt(1)
	v_mul_f32_e32 v57, v76, v91
	v_mul_f32_e32 v117, v71, v89
	v_fmac_f32_e32 v116, v70, v101
	v_add_f32_e32 v56, v56, v115
	s_waitcnt vmcnt(4)
	v_fma_f32 v57, v75, v104, -v57
	v_mul_f32_e32 v118, v73, v90
	v_fmac_f32_e32 v117, v72, v102
	v_add_f32_e32 v56, v56, v116
	v_add_f32_e32 v55, v55, v57
	v_mul_f32_e32 v57, v78, v92
	v_mul_f32_e32 v119, v75, v91
	v_fmac_f32_e32 v118, v74, v103
	v_add_f32_e32 v56, v56, v117
	s_waitcnt vmcnt(3)
	v_fma_f32 v57, v77, v105, -v57
	v_mul_f32_e32 v120, v77, v92
	v_fmac_f32_e32 v119, v76, v104
	v_add_f32_e32 v56, v56, v118
	v_add_f32_e32 v55, v55, v57
	s_waitcnt lgkmcnt(0)
	v_mul_f32_e32 v57, v80, v93
	v_mul_f32_e32 v121, v79, v93
	v_fmac_f32_e32 v120, v78, v105
	v_add_f32_e32 v56, v56, v119
	s_waitcnt vmcnt(2)
	v_fma_f32 v57, v79, v106, -v57
	v_fmac_f32_e32 v121, v80, v106
	v_add_f32_e32 v56, v56, v120
	v_add_f32_e32 v55, v55, v57
	;; [unrolled: 1-line block ×3, first 2 shown]
	s_waitcnt vmcnt(1)
	v_sub_f32_e32 v55, v107, v55
	s_waitcnt vmcnt(0)
	v_sub_f32_e32 v56, v108, v56
	buffer_store_dword v55, off, s[0:3], 0 offset:96
	buffer_store_dword v56, off, s[0:3], 0 offset:100
	s_and_saveexec_b64 s[4:5], vcc
	s_cbranch_execz .LBB25_147
; %bb.146:
	buffer_load_dword v55, off, s[0:3], 0 offset:88
	buffer_load_dword v56, off, s[0:3], 0 offset:92
	s_waitcnt vmcnt(0)
	ds_write_b64 v53, v[55:56]
	buffer_store_dword v54, off, s[0:3], 0 offset:88
	buffer_store_dword v54, off, s[0:3], 0 offset:92
.LBB25_147:
	s_or_b64 exec, exec, s[4:5]
	s_waitcnt lgkmcnt(0)
	; wave barrier
	buffer_load_dword v83, off, s[0:3], 0 offset:100
	buffer_load_dword v84, off, s[0:3], 0 offset:108
	;; [unrolled: 1-line block ×30, first 2 shown]
	ds_read_b128 v[55:58], v54 offset:304
	ds_read_b128 v[59:62], v54 offset:320
	;; [unrolled: 1-line block ×7, first 2 shown]
	v_cmp_lt_u32_e32 vcc, 10, v0
	s_waitcnt vmcnt(29) lgkmcnt(6)
	v_mul_f32_e32 v54, v55, v83
	v_mul_f32_e32 v83, v56, v83
	s_waitcnt vmcnt(28)
	v_mul_f32_e32 v113, v57, v84
	v_mul_f32_e32 v84, v58, v84
	s_waitcnt vmcnt(27) lgkmcnt(5)
	v_mul_f32_e32 v114, v59, v85
	v_mul_f32_e32 v85, v60, v85
	s_waitcnt vmcnt(26)
	v_mul_f32_e32 v115, v61, v86
	v_mul_f32_e32 v86, v62, v86
	s_waitcnt vmcnt(25) lgkmcnt(4)
	v_mul_f32_e32 v116, v63, v87
	v_mul_f32_e32 v87, v64, v87
	s_waitcnt vmcnt(24)
	v_mul_f32_e32 v117, v65, v88
	s_waitcnt vmcnt(23) lgkmcnt(3)
	v_mul_f32_e32 v118, v67, v89
	s_waitcnt vmcnt(22)
	v_mul_f32_e32 v119, v69, v90
	s_waitcnt vmcnt(21) lgkmcnt(2)
	v_mul_f32_e32 v120, v71, v91
	s_waitcnt vmcnt(15)
	v_fma_f32 v55, v55, v97, -v83
	v_fmac_f32_e32 v54, v56, v97
	s_waitcnt vmcnt(14)
	v_fma_f32 v56, v57, v98, -v84
	v_add_f32_e32 v55, 0, v55
	s_waitcnt vmcnt(13)
	v_fma_f32 v57, v59, v99, -v85
	v_add_f32_e32 v55, v55, v56
	v_fmac_f32_e32 v113, v58, v98
	s_waitcnt vmcnt(12)
	v_fma_f32 v58, v61, v100, -v86
	v_add_f32_e32 v55, v55, v57
	s_waitcnt vmcnt(11)
	v_fma_f32 v59, v63, v101, -v87
	v_add_f32_e32 v55, v55, v58
	v_mul_f32_e32 v56, v66, v88
	v_add_f32_e32 v55, v55, v59
	s_waitcnt vmcnt(10)
	v_fma_f32 v56, v65, v102, -v56
	v_add_f32_e32 v55, v55, v56
	v_mul_f32_e32 v56, v68, v89
	s_waitcnt vmcnt(9)
	v_fma_f32 v56, v67, v103, -v56
	v_add_f32_e32 v55, v55, v56
	v_mul_f32_e32 v56, v70, v90
	s_waitcnt vmcnt(8)
	v_fma_f32 v56, v69, v104, -v56
	v_add_f32_e32 v54, 0, v54
	v_add_f32_e32 v55, v55, v56
	v_mul_f32_e32 v56, v72, v91
	v_fmac_f32_e32 v114, v60, v99
	v_add_f32_e32 v54, v54, v113
	s_waitcnt vmcnt(7)
	v_fma_f32 v56, v71, v105, -v56
	v_fmac_f32_e32 v115, v62, v100
	v_add_f32_e32 v54, v54, v114
	v_add_f32_e32 v55, v55, v56
	v_mul_f32_e32 v56, v74, v92
	v_fmac_f32_e32 v116, v64, v101
	v_add_f32_e32 v54, v54, v115
	s_waitcnt vmcnt(6)
	v_fma_f32 v56, v73, v106, -v56
	v_fmac_f32_e32 v117, v66, v102
	v_add_f32_e32 v54, v54, v116
	v_add_f32_e32 v55, v55, v56
	s_waitcnt lgkmcnt(1)
	v_mul_f32_e32 v56, v76, v93
	v_fmac_f32_e32 v118, v68, v103
	v_add_f32_e32 v54, v54, v117
	s_waitcnt vmcnt(5)
	v_fma_f32 v56, v75, v107, -v56
	v_fmac_f32_e32 v119, v70, v104
	v_add_f32_e32 v54, v54, v118
	v_add_f32_e32 v55, v55, v56
	v_mul_f32_e32 v56, v78, v94
	v_mul_f32_e32 v121, v73, v92
	v_fmac_f32_e32 v120, v72, v105
	v_add_f32_e32 v54, v54, v119
	s_waitcnt vmcnt(4)
	v_fma_f32 v56, v77, v108, -v56
	v_mul_f32_e32 v122, v75, v93
	v_fmac_f32_e32 v121, v74, v106
	v_add_f32_e32 v54, v54, v120
	v_add_f32_e32 v55, v55, v56
	s_waitcnt lgkmcnt(0)
	v_mul_f32_e32 v56, v80, v95
	v_mul_f32_e32 v123, v77, v94
	v_fmac_f32_e32 v122, v76, v107
	v_add_f32_e32 v54, v54, v121
	s_waitcnt vmcnt(3)
	v_fma_f32 v56, v79, v109, -v56
	v_mul_f32_e32 v124, v79, v95
	v_fmac_f32_e32 v123, v78, v108
	v_add_f32_e32 v54, v54, v122
	v_add_f32_e32 v55, v55, v56
	v_mul_f32_e32 v56, v82, v96
	v_mul_f32_e32 v125, v81, v96
	v_fmac_f32_e32 v124, v80, v109
	v_add_f32_e32 v54, v54, v123
	s_waitcnt vmcnt(2)
	v_fma_f32 v56, v81, v110, -v56
	v_fmac_f32_e32 v125, v82, v110
	v_add_f32_e32 v54, v54, v124
	v_add_f32_e32 v55, v55, v56
	;; [unrolled: 1-line block ×3, first 2 shown]
	s_waitcnt vmcnt(1)
	v_sub_f32_e32 v55, v111, v55
	s_waitcnt vmcnt(0)
	v_sub_f32_e32 v54, v112, v54
	buffer_store_dword v55, off, s[0:3], 0 offset:88
	buffer_store_dword v54, off, s[0:3], 0 offset:92
	s_and_saveexec_b64 s[4:5], vcc
	s_cbranch_execz .LBB25_149
; %bb.148:
	buffer_load_dword v54, off, s[0:3], 0 offset:80
	buffer_load_dword v55, off, s[0:3], 0 offset:84
	v_mov_b32_e32 v56, 0
	buffer_store_dword v56, off, s[0:3], 0 offset:80
	buffer_store_dword v56, off, s[0:3], 0 offset:84
	s_waitcnt vmcnt(2)
	ds_write_b64 v53, v[54:55]
.LBB25_149:
	s_or_b64 exec, exec, s[4:5]
	v_mov_b32_e32 v54, 0
	s_waitcnt lgkmcnt(0)
	; wave barrier
	ds_read2_b64 v[55:58], v54 offset0:37 offset1:38
	buffer_load_dword v85, off, s[0:3], 0 offset:80
	buffer_load_dword v86, off, s[0:3], 0 offset:84
	;; [unrolled: 1-line block ×16, first 2 shown]
	v_cmp_lt_u32_e32 vcc, 9, v0
	s_waitcnt vmcnt(12) lgkmcnt(0)
	v_mul_f32_e32 v59, v55, v88
	v_fmac_f32_e32 v59, v56, v87
	s_waitcnt vmcnt(10)
	v_mul_f32_e32 v60, v57, v90
	v_add_f32_e32 v59, 0, v59
	v_fmac_f32_e32 v60, v58, v89
	v_add_f32_e32 v63, v59, v60
	ds_read2_b64 v[59:62], v54 offset0:39 offset1:40
	v_mul_f32_e32 v56, v56, v88
	v_fma_f32 v55, v55, v87, -v56
	v_mul_f32_e32 v56, v58, v90
	v_add_f32_e32 v55, 0, v55
	s_waitcnt vmcnt(8) lgkmcnt(0)
	v_mul_f32_e32 v64, v59, v92
	v_fmac_f32_e32 v64, v60, v91
	v_add_f32_e32 v63, v63, v64
	s_waitcnt vmcnt(6)
	v_mul_f32_e32 v64, v61, v94
	v_fmac_f32_e32 v64, v62, v93
	v_add_f32_e32 v67, v63, v64
	ds_read2_b64 v[63:66], v54 offset0:41 offset1:42
	v_fma_f32 v56, v57, v89, -v56
	v_add_f32_e32 v55, v55, v56
	v_mul_f32_e32 v56, v60, v92
	v_fma_f32 v56, v59, v91, -v56
	s_waitcnt vmcnt(4) lgkmcnt(0)
	v_mul_f32_e32 v68, v63, v96
	v_fmac_f32_e32 v68, v64, v95
	v_add_f32_e32 v67, v67, v68
	s_waitcnt vmcnt(2)
	v_mul_f32_e32 v68, v65, v98
	v_fmac_f32_e32 v68, v66, v97
	v_add_f32_e32 v71, v67, v68
	ds_read2_b64 v[67:70], v54 offset0:43 offset1:44
	buffer_load_dword v101, off, s[0:3], 0 offset:144
	buffer_load_dword v102, off, s[0:3], 0 offset:148
	v_add_f32_e32 v55, v55, v56
	v_mul_f32_e32 v56, v62, v94
	v_fma_f32 v56, v61, v93, -v56
	s_waitcnt vmcnt(2) lgkmcnt(0)
	v_mul_f32_e32 v72, v67, v100
	v_fmac_f32_e32 v72, v68, v99
	v_add_f32_e32 v71, v71, v72
	v_add_f32_e32 v55, v55, v56
	v_mul_f32_e32 v56, v64, v96
	v_fma_f32 v56, v63, v95, -v56
	v_add_f32_e32 v55, v55, v56
	v_mul_f32_e32 v56, v66, v98
	v_fma_f32 v56, v65, v97, -v56
	;; [unrolled: 3-line block ×3, first 2 shown]
	v_add_f32_e32 v55, v55, v56
	s_waitcnt vmcnt(0)
	v_mul_f32_e32 v72, v69, v102
	v_fmac_f32_e32 v72, v70, v101
	v_add_f32_e32 v75, v71, v72
	ds_read2_b64 v[71:74], v54 offset0:45 offset1:46
	buffer_load_dword v103, off, s[0:3], 0 offset:152
	buffer_load_dword v104, off, s[0:3], 0 offset:156
	;; [unrolled: 1-line block ×4, first 2 shown]
	v_mul_f32_e32 v56, v70, v102
	v_fma_f32 v56, v69, v101, -v56
	v_add_f32_e32 v55, v55, v56
	s_waitcnt vmcnt(2) lgkmcnt(0)
	v_mul_f32_e32 v76, v71, v104
	v_fmac_f32_e32 v76, v72, v103
	v_add_f32_e32 v75, v75, v76
	s_waitcnt vmcnt(0)
	v_mul_f32_e32 v76, v73, v106
	v_fmac_f32_e32 v76, v74, v105
	v_add_f32_e32 v79, v75, v76
	ds_read2_b64 v[75:78], v54 offset0:47 offset1:48
	buffer_load_dword v107, off, s[0:3], 0 offset:168
	buffer_load_dword v108, off, s[0:3], 0 offset:172
	;; [unrolled: 1-line block ×4, first 2 shown]
	v_mul_f32_e32 v56, v72, v104
	v_fma_f32 v56, v71, v103, -v56
	v_add_f32_e32 v55, v55, v56
	v_mul_f32_e32 v56, v74, v106
	v_fma_f32 v56, v73, v105, -v56
	v_add_f32_e32 v55, v55, v56
	s_waitcnt vmcnt(2) lgkmcnt(0)
	v_mul_f32_e32 v80, v75, v108
	v_fmac_f32_e32 v80, v76, v107
	v_add_f32_e32 v79, v79, v80
	s_waitcnt vmcnt(0)
	v_mul_f32_e32 v80, v77, v110
	v_fmac_f32_e32 v80, v78, v109
	v_add_f32_e32 v83, v79, v80
	ds_read2_b64 v[79:82], v54 offset0:49 offset1:50
	buffer_load_dword v111, off, s[0:3], 0 offset:184
	buffer_load_dword v112, off, s[0:3], 0 offset:188
	;; [unrolled: 1-line block ×4, first 2 shown]
	v_mul_f32_e32 v56, v76, v108
	v_fma_f32 v56, v75, v107, -v56
	v_add_f32_e32 v55, v55, v56
	v_mul_f32_e32 v56, v78, v110
	v_fma_f32 v56, v77, v109, -v56
	v_add_f32_e32 v55, v55, v56
	s_waitcnt vmcnt(2) lgkmcnt(0)
	v_mul_f32_e32 v84, v79, v112
	v_fmac_f32_e32 v84, v80, v111
	v_add_f32_e32 v83, v83, v84
	s_waitcnt vmcnt(0)
	v_mul_f32_e32 v84, v81, v114
	v_fmac_f32_e32 v84, v82, v113
	v_add_f32_e32 v115, v83, v84
	ds_read_b64 v[83:84], v54 offset:408
	buffer_load_dword v116, off, s[0:3], 0 offset:200
	buffer_load_dword v117, off, s[0:3], 0 offset:204
	v_mul_f32_e32 v56, v80, v112
	v_fma_f32 v56, v79, v111, -v56
	v_add_f32_e32 v55, v55, v56
	v_mul_f32_e32 v56, v82, v114
	v_fma_f32 v56, v81, v113, -v56
	v_add_f32_e32 v55, v55, v56
	s_waitcnt vmcnt(0) lgkmcnt(0)
	v_mul_f32_e32 v56, v84, v117
	v_mul_f32_e32 v118, v83, v117
	v_fma_f32 v56, v83, v116, -v56
	v_fmac_f32_e32 v118, v84, v116
	v_add_f32_e32 v55, v55, v56
	v_add_f32_e32 v115, v115, v118
	v_sub_f32_e32 v55, v85, v55
	v_sub_f32_e32 v56, v86, v115
	buffer_store_dword v55, off, s[0:3], 0 offset:80
	buffer_store_dword v56, off, s[0:3], 0 offset:84
	s_and_saveexec_b64 s[4:5], vcc
	s_cbranch_execz .LBB25_151
; %bb.150:
	buffer_load_dword v55, off, s[0:3], 0 offset:72
	buffer_load_dword v56, off, s[0:3], 0 offset:76
	s_waitcnt vmcnt(0)
	ds_write_b64 v53, v[55:56]
	buffer_store_dword v54, off, s[0:3], 0 offset:72
	buffer_store_dword v54, off, s[0:3], 0 offset:76
.LBB25_151:
	s_or_b64 exec, exec, s[4:5]
	s_waitcnt lgkmcnt(0)
	; wave barrier
	ds_read_b128 v[55:58], v54 offset:288
	ds_read_b128 v[59:62], v54 offset:304
	;; [unrolled: 1-line block ×4, first 2 shown]
	buffer_load_dword v87, off, s[0:3], 0 offset:72
	buffer_load_dword v88, off, s[0:3], 0 offset:76
	;; [unrolled: 1-line block ×18, first 2 shown]
	v_cmp_lt_u32_e32 vcc, 8, v0
	s_waitcnt vmcnt(14) lgkmcnt(3)
	v_mul_f32_e32 v71, v55, v90
	v_fmac_f32_e32 v71, v56, v89
	s_waitcnt vmcnt(12)
	v_mul_f32_e32 v72, v57, v92
	v_add_f32_e32 v71, 0, v71
	v_fmac_f32_e32 v72, v58, v91
	v_add_f32_e32 v71, v71, v72
	s_waitcnt vmcnt(10) lgkmcnt(2)
	v_mul_f32_e32 v72, v59, v94
	v_fmac_f32_e32 v72, v60, v93
	v_add_f32_e32 v71, v71, v72
	s_waitcnt vmcnt(8)
	v_mul_f32_e32 v72, v61, v96
	v_fmac_f32_e32 v72, v62, v95
	v_add_f32_e32 v71, v71, v72
	s_waitcnt vmcnt(6) lgkmcnt(1)
	v_mul_f32_e32 v72, v63, v98
	v_fmac_f32_e32 v72, v64, v97
	v_add_f32_e32 v71, v71, v72
	s_waitcnt vmcnt(4)
	v_mul_f32_e32 v72, v65, v100
	;; [unrolled: 8-line block ×3, first 2 shown]
	v_fmac_f32_e32 v72, v70, v103
	v_add_f32_e32 v75, v71, v72
	ds_read_b128 v[71:74], v54 offset:352
	buffer_load_dword v105, off, s[0:3], 0 offset:144
	buffer_load_dword v106, off, s[0:3], 0 offset:148
	;; [unrolled: 1-line block ×4, first 2 shown]
	v_mul_f32_e32 v56, v56, v90
	v_fma_f32 v55, v55, v89, -v56
	v_mul_f32_e32 v56, v58, v92
	v_add_f32_e32 v55, 0, v55
	v_fma_f32 v56, v57, v91, -v56
	v_add_f32_e32 v55, v55, v56
	v_mul_f32_e32 v56, v60, v94
	v_fma_f32 v56, v59, v93, -v56
	v_add_f32_e32 v55, v55, v56
	v_mul_f32_e32 v56, v62, v96
	;; [unrolled: 3-line block ×6, first 2 shown]
	v_fma_f32 v56, v69, v103, -v56
	v_add_f32_e32 v55, v55, v56
	s_waitcnt vmcnt(2) lgkmcnt(0)
	v_mul_f32_e32 v76, v71, v106
	v_fmac_f32_e32 v76, v72, v105
	v_add_f32_e32 v75, v75, v76
	s_waitcnt vmcnt(0)
	v_mul_f32_e32 v76, v73, v108
	v_fmac_f32_e32 v76, v74, v107
	v_add_f32_e32 v79, v75, v76
	ds_read_b128 v[75:78], v54 offset:368
	buffer_load_dword v109, off, s[0:3], 0 offset:160
	buffer_load_dword v110, off, s[0:3], 0 offset:164
	;; [unrolled: 1-line block ×4, first 2 shown]
	v_mul_f32_e32 v56, v72, v106
	v_fma_f32 v56, v71, v105, -v56
	v_add_f32_e32 v55, v55, v56
	v_mul_f32_e32 v56, v74, v108
	v_fma_f32 v56, v73, v107, -v56
	v_add_f32_e32 v55, v55, v56
	s_waitcnt vmcnt(2) lgkmcnt(0)
	v_mul_f32_e32 v80, v75, v110
	v_fmac_f32_e32 v80, v76, v109
	v_add_f32_e32 v79, v79, v80
	s_waitcnt vmcnt(0)
	v_mul_f32_e32 v80, v77, v112
	v_fmac_f32_e32 v80, v78, v111
	v_add_f32_e32 v83, v79, v80
	ds_read_b128 v[79:82], v54 offset:384
	buffer_load_dword v113, off, s[0:3], 0 offset:176
	buffer_load_dword v114, off, s[0:3], 0 offset:180
	;; [unrolled: 1-line block ×4, first 2 shown]
	v_mul_f32_e32 v56, v76, v110
	v_fma_f32 v56, v75, v109, -v56
	v_add_f32_e32 v55, v55, v56
	v_mul_f32_e32 v56, v78, v112
	v_fma_f32 v56, v77, v111, -v56
	v_add_f32_e32 v55, v55, v56
	s_waitcnt vmcnt(2) lgkmcnt(0)
	v_mul_f32_e32 v84, v79, v114
	v_fmac_f32_e32 v84, v80, v113
	v_add_f32_e32 v83, v83, v84
	s_waitcnt vmcnt(0)
	v_mul_f32_e32 v84, v81, v116
	v_fmac_f32_e32 v84, v82, v115
	v_add_f32_e32 v117, v83, v84
	ds_read_b128 v[83:86], v54 offset:400
	buffer_load_dword v54, off, s[0:3], 0 offset:192
	buffer_load_dword v118, off, s[0:3], 0 offset:196
	v_mul_f32_e32 v56, v80, v114
	v_fma_f32 v56, v79, v113, -v56
	v_add_f32_e32 v55, v55, v56
	v_mul_f32_e32 v56, v82, v116
	v_fma_f32 v56, v81, v115, -v56
	v_add_f32_e32 v55, v55, v56
	s_waitcnt vmcnt(0) lgkmcnt(0)
	v_mul_f32_e32 v119, v83, v118
	v_fmac_f32_e32 v119, v84, v54
	v_add_f32_e32 v117, v117, v119
	buffer_load_dword v119, off, s[0:3], 0 offset:200
	buffer_load_dword v120, off, s[0:3], 0 offset:204
	v_mul_f32_e32 v56, v84, v118
	v_fma_f32 v54, v83, v54, -v56
	v_add_f32_e32 v54, v55, v54
	s_waitcnt vmcnt(0)
	v_mul_f32_e32 v55, v86, v120
	v_mul_f32_e32 v121, v85, v120
	v_fma_f32 v55, v85, v119, -v55
	v_fmac_f32_e32 v121, v86, v119
	v_add_f32_e32 v54, v54, v55
	v_add_f32_e32 v117, v117, v121
	v_sub_f32_e32 v54, v87, v54
	v_sub_f32_e32 v55, v88, v117
	buffer_store_dword v54, off, s[0:3], 0 offset:72
	buffer_store_dword v55, off, s[0:3], 0 offset:76
	s_and_saveexec_b64 s[4:5], vcc
	s_cbranch_execz .LBB25_153
; %bb.152:
	buffer_load_dword v54, off, s[0:3], 0 offset:64
	buffer_load_dword v55, off, s[0:3], 0 offset:68
	v_mov_b32_e32 v56, 0
	buffer_store_dword v56, off, s[0:3], 0 offset:64
	buffer_store_dword v56, off, s[0:3], 0 offset:68
	s_waitcnt vmcnt(2)
	ds_write_b64 v53, v[54:55]
.LBB25_153:
	s_or_b64 exec, exec, s[4:5]
	v_mov_b32_e32 v54, 0
	s_waitcnt lgkmcnt(0)
	; wave barrier
	ds_read2_b64 v[55:58], v54 offset0:35 offset1:36
	buffer_load_dword v89, off, s[0:3], 0 offset:64
	buffer_load_dword v90, off, s[0:3], 0 offset:68
	;; [unrolled: 1-line block ×16, first 2 shown]
	v_cmp_lt_u32_e32 vcc, 7, v0
	s_waitcnt vmcnt(12) lgkmcnt(0)
	v_mul_f32_e32 v59, v55, v92
	v_fmac_f32_e32 v59, v56, v91
	s_waitcnt vmcnt(10)
	v_mul_f32_e32 v60, v57, v94
	v_add_f32_e32 v59, 0, v59
	v_fmac_f32_e32 v60, v58, v93
	v_add_f32_e32 v63, v59, v60
	ds_read2_b64 v[59:62], v54 offset0:37 offset1:38
	v_mul_f32_e32 v56, v56, v92
	v_fma_f32 v55, v55, v91, -v56
	v_mul_f32_e32 v56, v58, v94
	v_add_f32_e32 v55, 0, v55
	s_waitcnt vmcnt(8) lgkmcnt(0)
	v_mul_f32_e32 v64, v59, v96
	v_fmac_f32_e32 v64, v60, v95
	v_add_f32_e32 v63, v63, v64
	s_waitcnt vmcnt(6)
	v_mul_f32_e32 v64, v61, v98
	v_fmac_f32_e32 v64, v62, v97
	v_add_f32_e32 v67, v63, v64
	ds_read2_b64 v[63:66], v54 offset0:39 offset1:40
	v_fma_f32 v56, v57, v93, -v56
	v_add_f32_e32 v55, v55, v56
	v_mul_f32_e32 v56, v60, v96
	v_fma_f32 v56, v59, v95, -v56
	s_waitcnt vmcnt(4) lgkmcnt(0)
	v_mul_f32_e32 v68, v63, v100
	v_fmac_f32_e32 v68, v64, v99
	v_add_f32_e32 v67, v67, v68
	s_waitcnt vmcnt(2)
	v_mul_f32_e32 v68, v65, v102
	v_fmac_f32_e32 v68, v66, v101
	v_add_f32_e32 v71, v67, v68
	ds_read2_b64 v[67:70], v54 offset0:41 offset1:42
	buffer_load_dword v105, off, s[0:3], 0 offset:128
	buffer_load_dword v106, off, s[0:3], 0 offset:132
	v_add_f32_e32 v55, v55, v56
	v_mul_f32_e32 v56, v62, v98
	v_fma_f32 v56, v61, v97, -v56
	s_waitcnt vmcnt(2) lgkmcnt(0)
	v_mul_f32_e32 v72, v67, v104
	v_fmac_f32_e32 v72, v68, v103
	v_add_f32_e32 v71, v71, v72
	v_add_f32_e32 v55, v55, v56
	v_mul_f32_e32 v56, v64, v100
	v_fma_f32 v56, v63, v99, -v56
	v_add_f32_e32 v55, v55, v56
	v_mul_f32_e32 v56, v66, v102
	v_fma_f32 v56, v65, v101, -v56
	;; [unrolled: 3-line block ×3, first 2 shown]
	v_add_f32_e32 v55, v55, v56
	s_waitcnt vmcnt(0)
	v_mul_f32_e32 v72, v69, v106
	v_fmac_f32_e32 v72, v70, v105
	v_add_f32_e32 v75, v71, v72
	ds_read2_b64 v[71:74], v54 offset0:43 offset1:44
	buffer_load_dword v107, off, s[0:3], 0 offset:136
	buffer_load_dword v108, off, s[0:3], 0 offset:140
	;; [unrolled: 1-line block ×4, first 2 shown]
	v_mul_f32_e32 v56, v70, v106
	v_fma_f32 v56, v69, v105, -v56
	v_add_f32_e32 v55, v55, v56
	s_waitcnt vmcnt(2) lgkmcnt(0)
	v_mul_f32_e32 v76, v71, v108
	v_fmac_f32_e32 v76, v72, v107
	v_add_f32_e32 v75, v75, v76
	s_waitcnt vmcnt(0)
	v_mul_f32_e32 v76, v73, v110
	v_fmac_f32_e32 v76, v74, v109
	v_add_f32_e32 v79, v75, v76
	ds_read2_b64 v[75:78], v54 offset0:45 offset1:46
	buffer_load_dword v111, off, s[0:3], 0 offset:152
	buffer_load_dword v112, off, s[0:3], 0 offset:156
	buffer_load_dword v113, off, s[0:3], 0 offset:160
	buffer_load_dword v114, off, s[0:3], 0 offset:164
	v_mul_f32_e32 v56, v72, v108
	v_fma_f32 v56, v71, v107, -v56
	v_add_f32_e32 v55, v55, v56
	v_mul_f32_e32 v56, v74, v110
	v_fma_f32 v56, v73, v109, -v56
	v_add_f32_e32 v55, v55, v56
	s_waitcnt vmcnt(2) lgkmcnt(0)
	v_mul_f32_e32 v80, v75, v112
	v_fmac_f32_e32 v80, v76, v111
	v_add_f32_e32 v79, v79, v80
	s_waitcnt vmcnt(0)
	v_mul_f32_e32 v80, v77, v114
	v_fmac_f32_e32 v80, v78, v113
	v_add_f32_e32 v83, v79, v80
	ds_read2_b64 v[79:82], v54 offset0:47 offset1:48
	buffer_load_dword v115, off, s[0:3], 0 offset:168
	buffer_load_dword v116, off, s[0:3], 0 offset:172
	buffer_load_dword v117, off, s[0:3], 0 offset:176
	buffer_load_dword v118, off, s[0:3], 0 offset:180
	v_mul_f32_e32 v56, v76, v112
	v_fma_f32 v56, v75, v111, -v56
	v_add_f32_e32 v55, v55, v56
	;; [unrolled: 19-line block ×3, first 2 shown]
	v_mul_f32_e32 v56, v82, v118
	v_fma_f32 v56, v81, v117, -v56
	v_add_f32_e32 v55, v55, v56
	s_waitcnt vmcnt(2) lgkmcnt(0)
	v_mul_f32_e32 v88, v83, v120
	v_fmac_f32_e32 v88, v84, v119
	v_add_f32_e32 v87, v87, v88
	s_waitcnt vmcnt(0)
	v_mul_f32_e32 v88, v85, v122
	v_fmac_f32_e32 v88, v86, v121
	v_add_f32_e32 v123, v87, v88
	ds_read_b64 v[87:88], v54 offset:408
	buffer_load_dword v124, off, s[0:3], 0 offset:200
	buffer_load_dword v125, off, s[0:3], 0 offset:204
	v_mul_f32_e32 v56, v84, v120
	v_fma_f32 v56, v83, v119, -v56
	v_add_f32_e32 v55, v55, v56
	v_mul_f32_e32 v56, v86, v122
	v_fma_f32 v56, v85, v121, -v56
	v_add_f32_e32 v55, v55, v56
	s_waitcnt vmcnt(0) lgkmcnt(0)
	v_mul_f32_e32 v56, v88, v125
	v_mul_f32_e32 v126, v87, v125
	v_fma_f32 v56, v87, v124, -v56
	v_fmac_f32_e32 v126, v88, v124
	v_add_f32_e32 v55, v55, v56
	v_add_f32_e32 v123, v123, v126
	v_sub_f32_e32 v55, v89, v55
	v_sub_f32_e32 v56, v90, v123
	buffer_store_dword v55, off, s[0:3], 0 offset:64
	buffer_store_dword v56, off, s[0:3], 0 offset:68
	s_and_saveexec_b64 s[4:5], vcc
	s_cbranch_execz .LBB25_155
; %bb.154:
	buffer_load_dword v55, off, s[0:3], 0 offset:56
	buffer_load_dword v56, off, s[0:3], 0 offset:60
	s_waitcnt vmcnt(0)
	ds_write_b64 v53, v[55:56]
	buffer_store_dword v54, off, s[0:3], 0 offset:56
	buffer_store_dword v54, off, s[0:3], 0 offset:60
.LBB25_155:
	s_or_b64 exec, exec, s[4:5]
	s_waitcnt lgkmcnt(0)
	; wave barrier
	buffer_load_dword v91, off, s[0:3], 0 offset:68
	buffer_load_dword v92, off, s[0:3], 0 offset:76
	;; [unrolled: 1-line block ×38, first 2 shown]
	ds_read_b128 v[55:58], v54 offset:272
	ds_read_b128 v[59:62], v54 offset:288
	;; [unrolled: 1-line block ×9, first 2 shown]
	v_cmp_lt_u32_e32 vcc, 6, v0
	s_waitcnt vmcnt(37) lgkmcnt(8)
	v_mul_f32_e32 v54, v55, v91
	s_waitcnt vmcnt(36)
	v_mul_f32_e32 v129, v57, v92
	s_waitcnt vmcnt(35) lgkmcnt(7)
	v_mul_f32_e32 v130, v59, v93
	s_waitcnt vmcnt(34)
	v_mul_f32_e32 v131, v61, v94
	;; [unrolled: 4-line block ×8, first 2 shown]
	s_waitcnt vmcnt(21) lgkmcnt(0)
	v_mul_f32_e32 v144, v87, v107
	s_waitcnt vmcnt(20)
	v_fmac_f32_e32 v54, v56, v108
	v_mul_f32_e32 v56, v56, v91
	v_fma_f32 v55, v55, v108, -v56
	v_mul_f32_e32 v56, v58, v92
	v_add_f32_e32 v55, 0, v55
	s_waitcnt vmcnt(19)
	v_fma_f32 v56, v57, v109, -v56
	v_add_f32_e32 v55, v55, v56
	v_mul_f32_e32 v56, v60, v93
	s_waitcnt vmcnt(18)
	v_fma_f32 v56, v59, v110, -v56
	v_add_f32_e32 v55, v55, v56
	v_mul_f32_e32 v56, v62, v94
	;; [unrolled: 4-line block ×8, first 2 shown]
	s_waitcnt vmcnt(11)
	v_fma_f32 v56, v73, v117, -v56
	v_fmac_f32_e32 v129, v58, v109
	v_add_f32_e32 v54, 0, v54
	v_add_f32_e32 v55, v55, v56
	v_mul_f32_e32 v56, v76, v101
	v_fmac_f32_e32 v130, v60, v110
	v_add_f32_e32 v54, v54, v129
	s_waitcnt vmcnt(10)
	v_fma_f32 v56, v75, v118, -v56
	v_fmac_f32_e32 v131, v62, v111
	v_add_f32_e32 v54, v54, v130
	v_add_f32_e32 v55, v55, v56
	v_mul_f32_e32 v56, v78, v102
	v_fmac_f32_e32 v132, v64, v112
	v_add_f32_e32 v54, v54, v131
	;; [unrolled: 8-line block ×7, first 2 shown]
	s_waitcnt vmcnt(4)
	v_fma_f32 v56, v87, v124, -v56
	v_fmac_f32_e32 v143, v86, v123
	v_add_f32_e32 v54, v54, v142
	v_add_f32_e32 v55, v55, v56
	s_waitcnt vmcnt(3)
	v_mul_f32_e32 v56, v90, v125
	v_add_f32_e32 v54, v54, v143
	v_fmac_f32_e32 v144, v88, v124
	v_mul_f32_e32 v129, v89, v125
	s_waitcnt vmcnt(2)
	v_fma_f32 v56, v89, v126, -v56
	v_add_f32_e32 v54, v54, v144
	v_fmac_f32_e32 v129, v90, v126
	v_add_f32_e32 v55, v55, v56
	v_add_f32_e32 v54, v54, v129
	s_waitcnt vmcnt(1)
	v_sub_f32_e32 v55, v127, v55
	s_waitcnt vmcnt(0)
	v_sub_f32_e32 v54, v128, v54
	buffer_store_dword v55, off, s[0:3], 0 offset:56
	buffer_store_dword v54, off, s[0:3], 0 offset:60
	s_and_saveexec_b64 s[4:5], vcc
	s_cbranch_execz .LBB25_157
; %bb.156:
	buffer_load_dword v54, off, s[0:3], 0 offset:48
	buffer_load_dword v55, off, s[0:3], 0 offset:52
	v_mov_b32_e32 v56, 0
	buffer_store_dword v56, off, s[0:3], 0 offset:48
	buffer_store_dword v56, off, s[0:3], 0 offset:52
	s_waitcnt vmcnt(2)
	ds_write_b64 v53, v[54:55]
.LBB25_157:
	s_or_b64 exec, exec, s[4:5]
	s_waitcnt lgkmcnt(0)
	; wave barrier
	buffer_load_dword v93, off, s[0:3], 0 offset:60
	buffer_load_dword v94, off, s[0:3], 0 offset:68
	;; [unrolled: 1-line block ×40, first 2 shown]
	v_mov_b32_e32 v54, 0
	ds_read2_b64 v[55:58], v54 offset0:33 offset1:34
	ds_read2_b64 v[59:62], v54 offset0:35 offset1:36
	ds_read2_b64 v[63:66], v54 offset0:37 offset1:38
	ds_read2_b64 v[67:70], v54 offset0:39 offset1:40
	ds_read2_b64 v[71:74], v54 offset0:41 offset1:42
	ds_read2_b64 v[75:78], v54 offset0:43 offset1:44
	ds_read2_b64 v[79:82], v54 offset0:45 offset1:46
	ds_read2_b64 v[83:86], v54 offset0:47 offset1:48
	ds_read2_b64 v[87:90], v54 offset0:49 offset1:50
	v_cmp_lt_u32_e32 vcc, 5, v0
	s_waitcnt vmcnt(39) lgkmcnt(8)
	v_mul_f32_e32 v91, v55, v93
	s_waitcnt vmcnt(38)
	v_mul_f32_e32 v92, v57, v94
	s_waitcnt vmcnt(37) lgkmcnt(7)
	v_mul_f32_e32 v133, v59, v95
	s_waitcnt vmcnt(36)
	v_mul_f32_e32 v134, v61, v96
	;; [unrolled: 4-line block ×7, first 2 shown]
	s_waitcnt vmcnt(25) lgkmcnt(1)
	v_mul_f32_e32 v145, v83, v107
	s_waitcnt vmcnt(24)
	v_fmac_f32_e32 v91, v56, v108
	v_mul_f32_e32 v56, v56, v93
	v_fma_f32 v55, v55, v108, -v56
	v_mul_f32_e32 v56, v58, v94
	v_add_f32_e32 v55, 0, v55
	s_waitcnt vmcnt(23)
	v_fma_f32 v56, v57, v109, -v56
	v_add_f32_e32 v55, v55, v56
	v_mul_f32_e32 v56, v60, v95
	s_waitcnt vmcnt(22)
	v_fma_f32 v56, v59, v110, -v56
	v_add_f32_e32 v55, v55, v56
	v_mul_f32_e32 v56, v62, v96
	s_waitcnt vmcnt(21)
	v_fma_f32 v56, v61, v111, -v56
	v_add_f32_e32 v55, v55, v56
	v_mul_f32_e32 v56, v64, v97
	s_waitcnt vmcnt(20)
	v_fma_f32 v56, v63, v112, -v56
	v_add_f32_e32 v55, v55, v56
	v_mul_f32_e32 v56, v66, v98
	s_waitcnt vmcnt(19)
	v_fma_f32 v56, v65, v113, -v56
	v_add_f32_e32 v55, v55, v56
	v_mul_f32_e32 v56, v68, v99
	s_waitcnt vmcnt(18)
	v_fma_f32 v56, v67, v114, -v56
	v_add_f32_e32 v55, v55, v56
	v_mul_f32_e32 v56, v70, v100
	s_waitcnt vmcnt(17)
	v_fma_f32 v56, v69, v115, -v56
	v_fmac_f32_e32 v92, v58, v109
	v_add_f32_e32 v91, 0, v91
	v_add_f32_e32 v55, v55, v56
	v_mul_f32_e32 v56, v72, v101
	v_fmac_f32_e32 v133, v60, v110
	v_add_f32_e32 v91, v91, v92
	s_waitcnt vmcnt(16)
	v_fma_f32 v56, v71, v116, -v56
	v_fmac_f32_e32 v134, v62, v111
	v_add_f32_e32 v91, v91, v133
	v_add_f32_e32 v55, v55, v56
	v_mul_f32_e32 v56, v74, v102
	v_fmac_f32_e32 v135, v64, v112
	v_add_f32_e32 v91, v91, v134
	;; [unrolled: 8-line block ×6, first 2 shown]
	s_waitcnt vmcnt(11)
	v_fma_f32 v56, v81, v121, -v56
	v_fmac_f32_e32 v144, v82, v121
	v_add_f32_e32 v91, v91, v143
	v_add_f32_e32 v55, v55, v56
	v_mul_f32_e32 v56, v84, v107
	s_waitcnt vmcnt(10)
	v_fmac_f32_e32 v145, v84, v122
	v_add_f32_e32 v91, v91, v144
	s_waitcnt vmcnt(9)
	v_mul_f32_e32 v92, v85, v123
	v_fma_f32 v56, v83, v122, -v56
	v_add_f32_e32 v91, v91, v145
	s_waitcnt vmcnt(8)
	v_fmac_f32_e32 v92, v86, v124
	v_add_f32_e32 v55, v55, v56
	v_mul_f32_e32 v56, v86, v123
	v_add_f32_e32 v133, v91, v92
	ds_read_b64 v[91:92], v54 offset:408
	v_fma_f32 v56, v85, v124, -v56
	v_add_f32_e32 v55, v55, v56
	s_waitcnt vmcnt(7) lgkmcnt(1)
	v_mul_f32_e32 v56, v88, v125
	v_mul_f32_e32 v134, v87, v125
	s_waitcnt vmcnt(6)
	v_fma_f32 v56, v87, v126, -v56
	v_fmac_f32_e32 v134, v88, v126
	v_add_f32_e32 v55, v55, v56
	s_waitcnt vmcnt(5)
	v_mul_f32_e32 v56, v90, v127
	v_add_f32_e32 v133, v133, v134
	v_mul_f32_e32 v134, v89, v127
	s_waitcnt vmcnt(4)
	v_fma_f32 v56, v89, v128, -v56
	v_fmac_f32_e32 v134, v90, v128
	v_add_f32_e32 v55, v55, v56
	s_waitcnt vmcnt(3) lgkmcnt(0)
	v_mul_f32_e32 v56, v92, v129
	v_add_f32_e32 v133, v133, v134
	v_mul_f32_e32 v134, v91, v129
	s_waitcnt vmcnt(2)
	v_fma_f32 v56, v91, v130, -v56
	v_fmac_f32_e32 v134, v92, v130
	v_add_f32_e32 v55, v55, v56
	v_add_f32_e32 v133, v133, v134
	s_waitcnt vmcnt(1)
	v_sub_f32_e32 v55, v131, v55
	s_waitcnt vmcnt(0)
	v_sub_f32_e32 v56, v132, v133
	buffer_store_dword v55, off, s[0:3], 0 offset:48
	buffer_store_dword v56, off, s[0:3], 0 offset:52
	s_and_saveexec_b64 s[4:5], vcc
	s_cbranch_execz .LBB25_159
; %bb.158:
	buffer_load_dword v55, off, s[0:3], 0 offset:40
	buffer_load_dword v56, off, s[0:3], 0 offset:44
	s_waitcnt vmcnt(0)
	ds_write_b64 v53, v[55:56]
	buffer_store_dword v54, off, s[0:3], 0 offset:40
	buffer_store_dword v54, off, s[0:3], 0 offset:44
.LBB25_159:
	s_or_b64 exec, exec, s[4:5]
	s_waitcnt lgkmcnt(0)
	; wave barrier
	buffer_load_dword v95, off, s[0:3], 0 offset:52
	buffer_load_dword v96, off, s[0:3], 0 offset:60
	;; [unrolled: 1-line block ×42, first 2 shown]
	ds_read_b128 v[55:58], v54 offset:256
	ds_read_b128 v[59:62], v54 offset:272
	;; [unrolled: 1-line block ×8, first 2 shown]
	v_cmp_lt_u32_e32 vcc, 4, v0
	s_waitcnt vmcnt(41) lgkmcnt(7)
	v_mul_f32_e32 v87, v55, v95
	s_waitcnt vmcnt(40)
	v_mul_f32_e32 v88, v57, v96
	s_waitcnt vmcnt(39) lgkmcnt(6)
	v_mul_f32_e32 v89, v59, v97
	s_waitcnt vmcnt(38)
	v_mul_f32_e32 v90, v61, v98
	s_waitcnt vmcnt(37) lgkmcnt(5)
	v_mul_f32_e32 v91, v63, v99
	s_waitcnt vmcnt(36)
	v_mul_f32_e32 v92, v65, v100
	s_waitcnt vmcnt(35) lgkmcnt(4)
	v_mul_f32_e32 v93, v67, v101
	s_waitcnt vmcnt(34)
	v_mul_f32_e32 v94, v69, v102
	s_waitcnt vmcnt(33) lgkmcnt(3)
	v_mul_f32_e32 v137, v71, v103
	s_waitcnt vmcnt(32)
	v_mul_f32_e32 v138, v73, v104
	s_waitcnt vmcnt(31) lgkmcnt(2)
	v_mul_f32_e32 v139, v75, v105
	s_waitcnt vmcnt(30)
	v_mul_f32_e32 v140, v77, v106
	s_waitcnt vmcnt(29) lgkmcnt(1)
	v_mul_f32_e32 v141, v79, v107
	s_waitcnt vmcnt(28)
	v_mul_f32_e32 v142, v81, v108
	s_waitcnt vmcnt(27) lgkmcnt(0)
	v_mul_f32_e32 v143, v83, v109
	s_waitcnt vmcnt(26)
	v_fmac_f32_e32 v87, v56, v110
	v_mul_f32_e32 v56, v56, v95
	v_fma_f32 v55, v55, v110, -v56
	v_mul_f32_e32 v56, v58, v96
	v_add_f32_e32 v55, 0, v55
	s_waitcnt vmcnt(25)
	v_fma_f32 v56, v57, v111, -v56
	v_add_f32_e32 v55, v55, v56
	v_mul_f32_e32 v56, v60, v97
	s_waitcnt vmcnt(24)
	v_fma_f32 v56, v59, v112, -v56
	v_add_f32_e32 v55, v55, v56
	v_mul_f32_e32 v56, v62, v98
	;; [unrolled: 4-line block ×5, first 2 shown]
	v_fmac_f32_e32 v88, v58, v111
	v_add_f32_e32 v87, 0, v87
	s_waitcnt vmcnt(20)
	v_fma_f32 v56, v67, v116, -v56
	v_fmac_f32_e32 v89, v60, v112
	v_add_f32_e32 v87, v87, v88
	v_add_f32_e32 v55, v55, v56
	v_mul_f32_e32 v56, v70, v102
	v_fmac_f32_e32 v90, v62, v113
	v_add_f32_e32 v87, v87, v89
	s_waitcnt vmcnt(19)
	v_fma_f32 v56, v69, v117, -v56
	v_fmac_f32_e32 v91, v64, v114
	v_add_f32_e32 v87, v87, v90
	v_add_f32_e32 v55, v55, v56
	v_mul_f32_e32 v56, v72, v103
	;; [unrolled: 8-line block ×5, first 2 shown]
	s_waitcnt vmcnt(15)
	v_fmac_f32_e32 v140, v78, v121
	v_add_f32_e32 v87, v87, v139
	v_fma_f32 v56, v77, v121, -v56
	s_waitcnt vmcnt(14)
	v_fmac_f32_e32 v141, v80, v122
	v_add_f32_e32 v87, v87, v140
	v_add_f32_e32 v55, v55, v56
	v_mul_f32_e32 v56, v80, v107
	s_waitcnt vmcnt(13)
	v_fmac_f32_e32 v142, v82, v123
	v_add_f32_e32 v87, v87, v141
	v_fma_f32 v56, v79, v122, -v56
	s_waitcnt vmcnt(12)
	v_fmac_f32_e32 v143, v84, v124
	v_add_f32_e32 v87, v87, v142
	v_add_f32_e32 v55, v55, v56
	v_mul_f32_e32 v56, v82, v108
	v_add_f32_e32 v91, v87, v143
	ds_read_b128 v[87:90], v54 offset:384
	v_fma_f32 v56, v81, v123, -v56
	v_add_f32_e32 v55, v55, v56
	v_mul_f32_e32 v56, v84, v109
	s_waitcnt vmcnt(11)
	v_mul_f32_e32 v92, v85, v125
	v_fma_f32 v56, v83, v124, -v56
	s_waitcnt vmcnt(10)
	v_fmac_f32_e32 v92, v86, v126
	v_add_f32_e32 v55, v55, v56
	v_mul_f32_e32 v56, v86, v125
	v_add_f32_e32 v137, v91, v92
	ds_read_b128 v[91:94], v54 offset:400
	v_fma_f32 v56, v85, v126, -v56
	v_add_f32_e32 v55, v55, v56
	s_waitcnt vmcnt(9) lgkmcnt(1)
	v_mul_f32_e32 v56, v88, v127
	v_mul_f32_e32 v54, v87, v127
	s_waitcnt vmcnt(8)
	v_fma_f32 v56, v87, v128, -v56
	v_fmac_f32_e32 v54, v88, v128
	v_add_f32_e32 v55, v55, v56
	s_waitcnt vmcnt(7)
	v_mul_f32_e32 v56, v90, v129
	v_add_f32_e32 v54, v137, v54
	v_mul_f32_e32 v137, v89, v129
	s_waitcnt vmcnt(6)
	v_fma_f32 v56, v89, v130, -v56
	v_fmac_f32_e32 v137, v90, v130
	v_add_f32_e32 v55, v55, v56
	s_waitcnt vmcnt(5) lgkmcnt(0)
	v_mul_f32_e32 v56, v92, v131
	v_add_f32_e32 v54, v54, v137
	v_mul_f32_e32 v137, v91, v131
	s_waitcnt vmcnt(4)
	v_fma_f32 v56, v91, v132, -v56
	v_fmac_f32_e32 v137, v92, v132
	v_add_f32_e32 v55, v55, v56
	s_waitcnt vmcnt(3)
	v_mul_f32_e32 v56, v94, v133
	v_add_f32_e32 v54, v54, v137
	v_mul_f32_e32 v137, v93, v133
	s_waitcnt vmcnt(2)
	v_fma_f32 v56, v93, v134, -v56
	v_fmac_f32_e32 v137, v94, v134
	v_add_f32_e32 v55, v55, v56
	v_add_f32_e32 v54, v54, v137
	s_waitcnt vmcnt(1)
	v_sub_f32_e32 v55, v135, v55
	s_waitcnt vmcnt(0)
	v_sub_f32_e32 v54, v136, v54
	buffer_store_dword v55, off, s[0:3], 0 offset:40
	buffer_store_dword v54, off, s[0:3], 0 offset:44
	s_and_saveexec_b64 s[4:5], vcc
	s_cbranch_execz .LBB25_161
; %bb.160:
	buffer_load_dword v54, off, s[0:3], 0 offset:32
	buffer_load_dword v55, off, s[0:3], 0 offset:36
	v_mov_b32_e32 v56, 0
	buffer_store_dword v56, off, s[0:3], 0 offset:32
	buffer_store_dword v56, off, s[0:3], 0 offset:36
	s_waitcnt vmcnt(2)
	ds_write_b64 v53, v[54:55]
.LBB25_161:
	s_or_b64 exec, exec, s[4:5]
	s_waitcnt lgkmcnt(0)
	; wave barrier
	buffer_load_dword v97, off, s[0:3], 0 offset:44
	buffer_load_dword v98, off, s[0:3], 0 offset:52
	;; [unrolled: 1-line block ×44, first 2 shown]
	v_mov_b32_e32 v54, 0
	ds_read2_b64 v[55:58], v54 offset0:31 offset1:32
	ds_read2_b64 v[59:62], v54 offset0:33 offset1:34
	ds_read2_b64 v[63:66], v54 offset0:35 offset1:36
	ds_read2_b64 v[67:70], v54 offset0:37 offset1:38
	ds_read2_b64 v[71:74], v54 offset0:39 offset1:40
	ds_read2_b64 v[75:78], v54 offset0:41 offset1:42
	ds_read2_b64 v[79:82], v54 offset0:43 offset1:44
	ds_read2_b64 v[83:86], v54 offset0:45 offset1:46
	v_cmp_lt_u32_e32 vcc, 3, v0
	s_waitcnt vmcnt(43) lgkmcnt(7)
	v_mul_f32_e32 v87, v55, v97
	s_waitcnt vmcnt(42)
	v_mul_f32_e32 v88, v57, v98
	s_waitcnt vmcnt(41) lgkmcnt(6)
	v_mul_f32_e32 v89, v59, v99
	s_waitcnt vmcnt(40)
	v_mul_f32_e32 v90, v61, v100
	;; [unrolled: 4-line block ×7, first 2 shown]
	s_waitcnt vmcnt(29)
	v_fmac_f32_e32 v87, v56, v111
	v_mul_f32_e32 v56, v56, v97
	v_fma_f32 v55, v55, v111, -v56
	v_mul_f32_e32 v56, v58, v98
	v_add_f32_e32 v55, 0, v55
	s_waitcnt vmcnt(28)
	v_fma_f32 v56, v57, v112, -v56
	v_add_f32_e32 v55, v55, v56
	v_mul_f32_e32 v56, v60, v99
	s_waitcnt vmcnt(27)
	v_fma_f32 v56, v59, v113, -v56
	v_add_f32_e32 v55, v55, v56
	v_mul_f32_e32 v56, v62, v100
	;; [unrolled: 4-line block ×4, first 2 shown]
	s_waitcnt vmcnt(24)
	v_fma_f32 v56, v65, v116, -v56
	v_fmac_f32_e32 v88, v58, v112
	v_add_f32_e32 v87, 0, v87
	v_add_f32_e32 v55, v55, v56
	v_mul_f32_e32 v56, v68, v103
	v_fmac_f32_e32 v89, v60, v113
	v_add_f32_e32 v87, v87, v88
	s_waitcnt vmcnt(23)
	v_fma_f32 v56, v67, v117, -v56
	v_fmac_f32_e32 v90, v62, v114
	v_add_f32_e32 v87, v87, v89
	v_add_f32_e32 v55, v55, v56
	v_mul_f32_e32 v56, v70, v104
	v_fmac_f32_e32 v91, v64, v115
	v_add_f32_e32 v87, v87, v90
	;; [unrolled: 8-line block ×4, first 2 shown]
	s_waitcnt vmcnt(20)
	v_fma_f32 v56, v73, v120, -v56
	v_fmac_f32_e32 v96, v74, v120
	v_add_f32_e32 v87, v87, v95
	v_add_f32_e32 v55, v55, v56
	v_mul_f32_e32 v56, v76, v107
	s_waitcnt vmcnt(19)
	v_fmac_f32_e32 v141, v76, v121
	v_add_f32_e32 v87, v87, v96
	v_fma_f32 v56, v75, v121, -v56
	s_waitcnt vmcnt(18)
	v_fmac_f32_e32 v142, v78, v122
	v_add_f32_e32 v87, v87, v141
	v_add_f32_e32 v55, v55, v56
	v_mul_f32_e32 v56, v78, v108
	s_waitcnt vmcnt(17)
	v_fmac_f32_e32 v143, v80, v123
	v_add_f32_e32 v87, v87, v142
	v_fma_f32 v56, v77, v122, -v56
	v_add_f32_e32 v87, v87, v143
	s_waitcnt vmcnt(16)
	v_fmac_f32_e32 v144, v82, v124
	s_waitcnt vmcnt(15) lgkmcnt(0)
	v_mul_f32_e32 v88, v83, v125
	v_add_f32_e32 v55, v55, v56
	v_mul_f32_e32 v56, v80, v109
	v_add_f32_e32 v87, v87, v144
	s_waitcnt vmcnt(14)
	v_fmac_f32_e32 v88, v84, v126
	v_fma_f32 v56, v79, v123, -v56
	v_add_f32_e32 v91, v87, v88
	ds_read2_b64 v[87:90], v54 offset0:47 offset1:48
	v_add_f32_e32 v55, v55, v56
	v_mul_f32_e32 v56, v82, v110
	v_fma_f32 v56, v81, v124, -v56
	v_add_f32_e32 v55, v55, v56
	v_mul_f32_e32 v56, v84, v125
	s_waitcnt vmcnt(13)
	v_mul_f32_e32 v92, v85, v127
	v_fma_f32 v56, v83, v126, -v56
	s_waitcnt vmcnt(12)
	v_fmac_f32_e32 v92, v86, v128
	v_add_f32_e32 v55, v55, v56
	v_mul_f32_e32 v56, v86, v127
	v_add_f32_e32 v95, v91, v92
	ds_read2_b64 v[91:94], v54 offset0:49 offset1:50
	s_waitcnt vmcnt(11) lgkmcnt(1)
	v_mul_f32_e32 v96, v87, v129
	v_fma_f32 v56, v85, v128, -v56
	s_waitcnt vmcnt(10)
	v_fmac_f32_e32 v96, v88, v130
	v_add_f32_e32 v55, v55, v56
	v_mul_f32_e32 v56, v88, v129
	v_add_f32_e32 v95, v95, v96
	s_waitcnt vmcnt(9)
	v_mul_f32_e32 v96, v89, v131
	v_fma_f32 v56, v87, v130, -v56
	s_waitcnt vmcnt(8)
	v_fmac_f32_e32 v96, v90, v132
	v_add_f32_e32 v55, v55, v56
	v_mul_f32_e32 v56, v90, v131
	v_add_f32_e32 v141, v95, v96
	ds_read_b64 v[95:96], v54 offset:408
	v_fma_f32 v56, v89, v132, -v56
	v_add_f32_e32 v55, v55, v56
	s_waitcnt vmcnt(7) lgkmcnt(1)
	v_mul_f32_e32 v56, v92, v133
	v_mul_f32_e32 v142, v91, v133
	s_waitcnt vmcnt(6)
	v_fma_f32 v56, v91, v134, -v56
	v_fmac_f32_e32 v142, v92, v134
	v_add_f32_e32 v55, v55, v56
	s_waitcnt vmcnt(5)
	v_mul_f32_e32 v56, v94, v135
	v_add_f32_e32 v141, v141, v142
	v_mul_f32_e32 v142, v93, v135
	s_waitcnt vmcnt(4)
	v_fma_f32 v56, v93, v136, -v56
	v_fmac_f32_e32 v142, v94, v136
	v_add_f32_e32 v55, v55, v56
	s_waitcnt vmcnt(3) lgkmcnt(0)
	v_mul_f32_e32 v56, v96, v137
	v_add_f32_e32 v141, v141, v142
	v_mul_f32_e32 v142, v95, v137
	s_waitcnt vmcnt(2)
	v_fma_f32 v56, v95, v138, -v56
	v_fmac_f32_e32 v142, v96, v138
	v_add_f32_e32 v55, v55, v56
	v_add_f32_e32 v141, v141, v142
	s_waitcnt vmcnt(1)
	v_sub_f32_e32 v55, v139, v55
	s_waitcnt vmcnt(0)
	v_sub_f32_e32 v56, v140, v141
	buffer_store_dword v55, off, s[0:3], 0 offset:32
	buffer_store_dword v56, off, s[0:3], 0 offset:36
	s_and_saveexec_b64 s[4:5], vcc
	s_cbranch_execz .LBB25_163
; %bb.162:
	buffer_load_dword v55, off, s[0:3], 0 offset:24
	buffer_load_dword v56, off, s[0:3], 0 offset:28
	s_waitcnt vmcnt(0)
	ds_write_b64 v53, v[55:56]
	buffer_store_dword v54, off, s[0:3], 0 offset:24
	buffer_store_dword v54, off, s[0:3], 0 offset:28
.LBB25_163:
	s_or_b64 exec, exec, s[4:5]
	s_waitcnt lgkmcnt(0)
	; wave barrier
	buffer_load_dword v99, off, s[0:3], 0 offset:36
	buffer_load_dword v100, off, s[0:3], 0 offset:44
	;; [unrolled: 1-line block ×46, first 2 shown]
	ds_read_b128 v[55:58], v54 offset:240
	ds_read_b128 v[59:62], v54 offset:256
	ds_read_b128 v[63:66], v54 offset:272
	ds_read_b128 v[67:70], v54 offset:288
	ds_read_b128 v[71:74], v54 offset:304
	ds_read_b128 v[75:78], v54 offset:320
	ds_read_b128 v[79:82], v54 offset:336
	ds_read_b128 v[83:86], v54 offset:352
	v_cmp_lt_u32_e32 vcc, 2, v0
	s_waitcnt vmcnt(45) lgkmcnt(7)
	v_mul_f32_e32 v87, v55, v99
	s_waitcnt vmcnt(44)
	v_mul_f32_e32 v88, v57, v100
	s_waitcnt vmcnt(43) lgkmcnt(6)
	v_mul_f32_e32 v89, v59, v101
	s_waitcnt vmcnt(42)
	v_mul_f32_e32 v90, v61, v102
	;; [unrolled: 4-line block ×6, first 2 shown]
	s_waitcnt vmcnt(33) lgkmcnt(1)
	v_mul_f32_e32 v145, v79, v111
	s_waitcnt vmcnt(32)
	v_fmac_f32_e32 v87, v56, v112
	v_mul_f32_e32 v56, v56, v99
	v_fma_f32 v55, v55, v112, -v56
	v_mul_f32_e32 v56, v58, v100
	v_add_f32_e32 v55, 0, v55
	s_waitcnt vmcnt(31)
	v_fma_f32 v56, v57, v113, -v56
	v_add_f32_e32 v55, v55, v56
	v_mul_f32_e32 v56, v60, v101
	s_waitcnt vmcnt(30)
	v_fma_f32 v56, v59, v114, -v56
	v_add_f32_e32 v55, v55, v56
	v_mul_f32_e32 v56, v62, v102
	;; [unrolled: 4-line block ×4, first 2 shown]
	v_fmac_f32_e32 v88, v58, v113
	v_add_f32_e32 v87, 0, v87
	s_waitcnt vmcnt(27)
	v_fma_f32 v56, v65, v117, -v56
	v_fmac_f32_e32 v89, v60, v114
	v_add_f32_e32 v87, v87, v88
	v_add_f32_e32 v55, v55, v56
	v_mul_f32_e32 v56, v68, v105
	v_fmac_f32_e32 v90, v62, v115
	v_add_f32_e32 v87, v87, v89
	s_waitcnt vmcnt(26)
	v_fma_f32 v56, v67, v118, -v56
	v_fmac_f32_e32 v91, v64, v116
	v_add_f32_e32 v87, v87, v90
	v_add_f32_e32 v55, v55, v56
	v_mul_f32_e32 v56, v70, v106
	v_fmac_f32_e32 v92, v66, v117
	v_add_f32_e32 v87, v87, v91
	s_waitcnt vmcnt(25)
	v_fma_f32 v56, v69, v119, -v56
	v_fmac_f32_e32 v93, v68, v118
	v_add_f32_e32 v87, v87, v92
	v_add_f32_e32 v55, v55, v56
	v_mul_f32_e32 v56, v72, v107
	v_fmac_f32_e32 v94, v70, v119
	v_add_f32_e32 v87, v87, v93
	s_waitcnt vmcnt(24)
	v_fma_f32 v56, v71, v120, -v56
	v_fmac_f32_e32 v95, v72, v120
	v_add_f32_e32 v87, v87, v94
	v_add_f32_e32 v55, v55, v56
	v_mul_f32_e32 v56, v74, v108
	s_waitcnt vmcnt(23)
	v_fmac_f32_e32 v96, v74, v121
	v_add_f32_e32 v87, v87, v95
	v_fma_f32 v56, v73, v121, -v56
	s_waitcnt vmcnt(22)
	v_fmac_f32_e32 v97, v76, v122
	v_add_f32_e32 v87, v87, v96
	v_add_f32_e32 v55, v55, v56
	v_mul_f32_e32 v56, v76, v109
	s_waitcnt vmcnt(21)
	v_fmac_f32_e32 v98, v78, v123
	v_add_f32_e32 v87, v87, v97
	v_fma_f32 v56, v75, v122, -v56
	s_waitcnt vmcnt(20)
	v_fmac_f32_e32 v145, v80, v124
	v_add_f32_e32 v87, v87, v98
	s_waitcnt vmcnt(19)
	v_mul_f32_e32 v88, v81, v125
	v_add_f32_e32 v55, v55, v56
	v_mul_f32_e32 v56, v78, v110
	v_add_f32_e32 v87, v87, v145
	s_waitcnt vmcnt(18)
	v_fmac_f32_e32 v88, v82, v126
	v_fma_f32 v56, v77, v123, -v56
	v_add_f32_e32 v87, v87, v88
	s_waitcnt vmcnt(17) lgkmcnt(0)
	v_mul_f32_e32 v88, v83, v127
	v_add_f32_e32 v55, v55, v56
	v_mul_f32_e32 v56, v80, v111
	s_waitcnt vmcnt(16)
	v_fmac_f32_e32 v88, v84, v128
	v_fma_f32 v56, v79, v124, -v56
	v_add_f32_e32 v91, v87, v88
	ds_read_b128 v[87:90], v54 offset:368
	v_add_f32_e32 v55, v55, v56
	v_mul_f32_e32 v56, v82, v125
	v_fma_f32 v56, v81, v126, -v56
	v_add_f32_e32 v55, v55, v56
	v_mul_f32_e32 v56, v84, v127
	s_waitcnt vmcnt(15)
	v_mul_f32_e32 v92, v85, v129
	v_fma_f32 v56, v83, v128, -v56
	s_waitcnt vmcnt(14)
	v_fmac_f32_e32 v92, v86, v130
	v_add_f32_e32 v55, v55, v56
	v_mul_f32_e32 v56, v86, v129
	v_add_f32_e32 v95, v91, v92
	ds_read_b128 v[91:94], v54 offset:384
	s_waitcnt vmcnt(13) lgkmcnt(1)
	v_mul_f32_e32 v96, v87, v131
	v_fma_f32 v56, v85, v130, -v56
	s_waitcnt vmcnt(12)
	v_fmac_f32_e32 v96, v88, v132
	v_add_f32_e32 v55, v55, v56
	v_mul_f32_e32 v56, v88, v131
	v_add_f32_e32 v95, v95, v96
	s_waitcnt vmcnt(11)
	v_mul_f32_e32 v96, v89, v133
	v_fma_f32 v56, v87, v132, -v56
	s_waitcnt vmcnt(10)
	v_fmac_f32_e32 v96, v90, v134
	v_add_f32_e32 v55, v55, v56
	v_mul_f32_e32 v56, v90, v133
	v_add_f32_e32 v145, v95, v96
	ds_read_b128 v[95:98], v54 offset:400
	v_fma_f32 v56, v89, v134, -v56
	v_add_f32_e32 v55, v55, v56
	s_waitcnt vmcnt(9) lgkmcnt(1)
	v_mul_f32_e32 v56, v92, v135
	v_mul_f32_e32 v146, v91, v135
	s_waitcnt vmcnt(8)
	v_fma_f32 v56, v91, v136, -v56
	v_fmac_f32_e32 v146, v92, v136
	v_add_f32_e32 v55, v55, v56
	s_waitcnt vmcnt(7)
	v_mul_f32_e32 v56, v94, v137
	v_add_f32_e32 v54, v145, v146
	v_mul_f32_e32 v145, v93, v137
	s_waitcnt vmcnt(6)
	v_fma_f32 v56, v93, v138, -v56
	v_fmac_f32_e32 v145, v94, v138
	v_add_f32_e32 v55, v55, v56
	s_waitcnt vmcnt(5) lgkmcnt(0)
	v_mul_f32_e32 v56, v96, v139
	v_add_f32_e32 v54, v54, v145
	v_mul_f32_e32 v145, v95, v139
	s_waitcnt vmcnt(4)
	v_fma_f32 v56, v95, v140, -v56
	v_fmac_f32_e32 v145, v96, v140
	v_add_f32_e32 v55, v55, v56
	s_waitcnt vmcnt(3)
	v_mul_f32_e32 v56, v98, v141
	v_add_f32_e32 v54, v54, v145
	v_mul_f32_e32 v145, v97, v141
	s_waitcnt vmcnt(2)
	v_fma_f32 v56, v97, v142, -v56
	v_fmac_f32_e32 v145, v98, v142
	v_add_f32_e32 v55, v55, v56
	v_add_f32_e32 v54, v54, v145
	s_waitcnt vmcnt(1)
	v_sub_f32_e32 v55, v143, v55
	s_waitcnt vmcnt(0)
	v_sub_f32_e32 v54, v144, v54
	buffer_store_dword v55, off, s[0:3], 0 offset:24
	buffer_store_dword v54, off, s[0:3], 0 offset:28
	s_and_saveexec_b64 s[4:5], vcc
	s_cbranch_execz .LBB25_165
; %bb.164:
	buffer_load_dword v54, off, s[0:3], 0 offset:16
	buffer_load_dword v55, off, s[0:3], 0 offset:20
	v_mov_b32_e32 v56, 0
	buffer_store_dword v56, off, s[0:3], 0 offset:16
	buffer_store_dword v56, off, s[0:3], 0 offset:20
	s_waitcnt vmcnt(2)
	ds_write_b64 v53, v[54:55]
.LBB25_165:
	s_or_b64 exec, exec, s[4:5]
	s_waitcnt lgkmcnt(0)
	; wave barrier
	buffer_load_dword v101, off, s[0:3], 0 offset:28
	buffer_load_dword v102, off, s[0:3], 0 offset:36
	;; [unrolled: 1-line block ×48, first 2 shown]
	v_mov_b32_e32 v54, 0
	ds_read2_b64 v[55:58], v54 offset0:29 offset1:30
	ds_read2_b64 v[59:62], v54 offset0:31 offset1:32
	;; [unrolled: 1-line block ×7, first 2 shown]
	v_cmp_lt_u32_e32 vcc, 1, v0
	s_waitcnt vmcnt(47) lgkmcnt(6)
	v_mul_f32_e32 v83, v55, v101
	s_waitcnt vmcnt(46)
	v_mul_f32_e32 v84, v57, v102
	s_waitcnt vmcnt(45) lgkmcnt(5)
	v_mul_f32_e32 v85, v59, v103
	s_waitcnt vmcnt(44)
	v_mul_f32_e32 v86, v61, v104
	;; [unrolled: 4-line block ×6, first 2 shown]
	s_waitcnt vmcnt(35)
	v_fmac_f32_e32 v83, v56, v113
	v_mul_f32_e32 v56, v56, v101
	v_fma_f32 v55, v55, v113, -v56
	v_mul_f32_e32 v56, v58, v102
	v_add_f32_e32 v55, 0, v55
	s_waitcnt vmcnt(34)
	v_fma_f32 v56, v57, v114, -v56
	v_add_f32_e32 v55, v55, v56
	v_mul_f32_e32 v56, v60, v103
	s_waitcnt vmcnt(33)
	v_fma_f32 v56, v59, v115, -v56
	v_fmac_f32_e32 v84, v58, v114
	v_add_f32_e32 v83, 0, v83
	v_add_f32_e32 v55, v55, v56
	v_mul_f32_e32 v56, v62, v104
	v_fmac_f32_e32 v85, v60, v115
	v_add_f32_e32 v83, v83, v84
	s_waitcnt vmcnt(32)
	v_fma_f32 v56, v61, v116, -v56
	v_fmac_f32_e32 v86, v62, v116
	v_add_f32_e32 v83, v83, v85
	v_add_f32_e32 v55, v55, v56
	v_mul_f32_e32 v56, v64, v105
	s_waitcnt vmcnt(31)
	v_fmac_f32_e32 v87, v64, v117
	v_add_f32_e32 v83, v83, v86
	v_fma_f32 v56, v63, v117, -v56
	s_waitcnt vmcnt(30)
	v_fmac_f32_e32 v88, v66, v118
	v_add_f32_e32 v83, v83, v87
	v_add_f32_e32 v55, v55, v56
	v_mul_f32_e32 v56, v66, v106
	s_waitcnt vmcnt(29)
	v_fmac_f32_e32 v89, v68, v119
	v_add_f32_e32 v83, v83, v88
	v_fma_f32 v56, v65, v118, -v56
	s_waitcnt vmcnt(28)
	;; [unrolled: 9-line block ×4, first 2 shown]
	v_fmac_f32_e32 v94, v78, v124
	v_add_f32_e32 v83, v83, v93
	v_add_f32_e32 v55, v55, v56
	v_mul_f32_e32 v56, v72, v109
	v_add_f32_e32 v87, v83, v94
	ds_read2_b64 v[83:86], v54 offset0:43 offset1:44
	v_fma_f32 v56, v71, v121, -v56
	s_waitcnt vmcnt(23) lgkmcnt(1)
	v_mul_f32_e32 v88, v79, v125
	v_add_f32_e32 v55, v55, v56
	v_mul_f32_e32 v56, v74, v110
	s_waitcnt vmcnt(22)
	v_fmac_f32_e32 v88, v80, v126
	v_fma_f32 v56, v73, v122, -v56
	v_add_f32_e32 v87, v87, v88
	s_waitcnt vmcnt(21)
	v_mul_f32_e32 v88, v81, v127
	v_add_f32_e32 v55, v55, v56
	v_mul_f32_e32 v56, v76, v111
	s_waitcnt vmcnt(20)
	v_fmac_f32_e32 v88, v82, v128
	v_fma_f32 v56, v75, v123, -v56
	v_add_f32_e32 v87, v87, v88
	s_waitcnt vmcnt(19) lgkmcnt(0)
	v_mul_f32_e32 v88, v83, v129
	v_add_f32_e32 v55, v55, v56
	v_mul_f32_e32 v56, v78, v112
	s_waitcnt vmcnt(18)
	v_fmac_f32_e32 v88, v84, v130
	v_fma_f32 v56, v77, v124, -v56
	v_add_f32_e32 v91, v87, v88
	ds_read2_b64 v[87:90], v54 offset0:45 offset1:46
	v_add_f32_e32 v55, v55, v56
	v_mul_f32_e32 v56, v80, v125
	v_fma_f32 v56, v79, v126, -v56
	s_waitcnt vmcnt(17)
	v_mul_f32_e32 v92, v85, v131
	v_add_f32_e32 v55, v55, v56
	v_mul_f32_e32 v56, v82, v127
	s_waitcnt vmcnt(16)
	v_fmac_f32_e32 v92, v86, v132
	v_fma_f32 v56, v81, v128, -v56
	v_add_f32_e32 v95, v91, v92
	ds_read2_b64 v[91:94], v54 offset0:47 offset1:48
	v_add_f32_e32 v55, v55, v56
	v_mul_f32_e32 v56, v84, v129
	s_waitcnt vmcnt(15) lgkmcnt(1)
	v_mul_f32_e32 v96, v87, v133
	v_fma_f32 v56, v83, v130, -v56
	s_waitcnt vmcnt(14)
	v_fmac_f32_e32 v96, v88, v134
	v_add_f32_e32 v55, v55, v56
	v_mul_f32_e32 v56, v86, v131
	v_add_f32_e32 v95, v95, v96
	s_waitcnt vmcnt(13)
	v_mul_f32_e32 v96, v89, v135
	v_fma_f32 v56, v85, v132, -v56
	s_waitcnt vmcnt(12)
	v_fmac_f32_e32 v96, v90, v136
	v_add_f32_e32 v55, v55, v56
	v_mul_f32_e32 v56, v88, v133
	v_add_f32_e32 v95, v95, v96
	s_waitcnt vmcnt(11) lgkmcnt(0)
	v_mul_f32_e32 v96, v91, v137
	v_fma_f32 v56, v87, v134, -v56
	s_waitcnt vmcnt(10)
	v_fmac_f32_e32 v96, v92, v138
	v_add_f32_e32 v55, v55, v56
	v_mul_f32_e32 v56, v90, v135
	v_add_f32_e32 v99, v95, v96
	ds_read2_b64 v[95:98], v54 offset0:49 offset1:50
	v_fma_f32 v56, v89, v136, -v56
	v_add_f32_e32 v55, v55, v56
	v_mul_f32_e32 v56, v92, v137
	s_waitcnt vmcnt(9)
	v_mul_f32_e32 v100, v93, v139
	v_fma_f32 v56, v91, v138, -v56
	s_waitcnt vmcnt(8)
	v_fmac_f32_e32 v100, v94, v140
	v_add_f32_e32 v55, v55, v56
	v_mul_f32_e32 v56, v94, v139
	v_add_f32_e32 v149, v99, v100
	ds_read_b64 v[99:100], v54 offset:408
	v_fma_f32 v56, v93, v140, -v56
	v_add_f32_e32 v55, v55, v56
	s_waitcnt vmcnt(6) lgkmcnt(1)
	v_mul_f32_e32 v56, v96, v142
	v_mul_f32_e32 v150, v95, v142
	v_fma_f32 v56, v95, v141, -v56
	v_fmac_f32_e32 v150, v96, v141
	v_add_f32_e32 v55, v55, v56
	s_waitcnt vmcnt(3)
	v_mul_f32_e32 v56, v98, v145
	v_add_f32_e32 v149, v149, v150
	v_mul_f32_e32 v150, v97, v145
	s_waitcnt vmcnt(2)
	v_fma_f32 v56, v97, v146, -v56
	v_fmac_f32_e32 v150, v98, v146
	v_add_f32_e32 v55, v55, v56
	s_waitcnt vmcnt(0) lgkmcnt(0)
	v_mul_f32_e32 v56, v100, v148
	v_add_f32_e32 v149, v149, v150
	v_mul_f32_e32 v150, v99, v148
	v_fma_f32 v56, v99, v147, -v56
	v_fmac_f32_e32 v150, v100, v147
	v_add_f32_e32 v55, v55, v56
	v_add_f32_e32 v149, v149, v150
	v_sub_f32_e32 v55, v143, v55
	v_sub_f32_e32 v56, v144, v149
	buffer_store_dword v55, off, s[0:3], 0 offset:16
	buffer_store_dword v56, off, s[0:3], 0 offset:20
	s_and_saveexec_b64 s[4:5], vcc
	s_cbranch_execz .LBB25_167
; %bb.166:
	buffer_load_dword v55, off, s[0:3], 0 offset:8
	buffer_load_dword v56, off, s[0:3], 0 offset:12
	s_waitcnt vmcnt(0)
	ds_write_b64 v53, v[55:56]
	buffer_store_dword v54, off, s[0:3], 0 offset:8
	buffer_store_dword v54, off, s[0:3], 0 offset:12
.LBB25_167:
	s_or_b64 exec, exec, s[4:5]
	s_waitcnt lgkmcnt(0)
	; wave barrier
	buffer_load_dword v103, off, s[0:3], 0 offset:20
	buffer_load_dword v104, off, s[0:3], 0 offset:28
	;; [unrolled: 1-line block ×48, first 2 shown]
	ds_read_b128 v[55:58], v54 offset:224
	ds_read_b128 v[59:62], v54 offset:240
	buffer_load_dword v151, off, s[0:3], 0 offset:200
	buffer_load_dword v152, off, s[0:3], 0 offset:204
	ds_read_b128 v[63:66], v54 offset:256
	ds_read_b128 v[67:70], v54 offset:272
	;; [unrolled: 1-line block ×5, first 2 shown]
	v_cmp_ne_u32_e32 vcc, 0, v0
	s_waitcnt vmcnt(49) lgkmcnt(6)
	v_mul_f32_e32 v83, v55, v103
	s_waitcnt vmcnt(48)
	v_mul_f32_e32 v84, v57, v104
	s_waitcnt vmcnt(47) lgkmcnt(5)
	v_mul_f32_e32 v85, v59, v105
	s_waitcnt vmcnt(46)
	v_mul_f32_e32 v86, v61, v106
	;; [unrolled: 4-line block ×6, first 2 shown]
	s_waitcnt vmcnt(37)
	v_fmac_f32_e32 v83, v56, v115
	v_mul_f32_e32 v56, v56, v103
	v_fma_f32 v55, v55, v115, -v56
	v_mul_f32_e32 v56, v58, v104
	v_add_f32_e32 v55, 0, v55
	s_waitcnt vmcnt(36)
	v_fma_f32 v56, v57, v116, -v56
	v_add_f32_e32 v55, v55, v56
	v_mul_f32_e32 v56, v60, v105
	s_waitcnt vmcnt(35)
	v_fma_f32 v56, v59, v117, -v56
	v_fmac_f32_e32 v84, v58, v116
	v_add_f32_e32 v83, 0, v83
	v_add_f32_e32 v55, v55, v56
	v_mul_f32_e32 v56, v62, v106
	v_fmac_f32_e32 v85, v60, v117
	v_add_f32_e32 v83, v83, v84
	s_waitcnt vmcnt(34)
	v_fma_f32 v56, v61, v118, -v56
	v_fmac_f32_e32 v86, v62, v118
	v_add_f32_e32 v83, v83, v85
	v_add_f32_e32 v55, v55, v56
	v_mul_f32_e32 v56, v64, v107
	s_waitcnt vmcnt(33)
	v_fmac_f32_e32 v87, v64, v119
	v_add_f32_e32 v83, v83, v86
	v_fma_f32 v56, v63, v119, -v56
	s_waitcnt vmcnt(32)
	v_fmac_f32_e32 v88, v66, v120
	v_add_f32_e32 v83, v83, v87
	v_add_f32_e32 v55, v55, v56
	v_mul_f32_e32 v56, v66, v108
	s_waitcnt vmcnt(31)
	v_fmac_f32_e32 v89, v68, v121
	v_add_f32_e32 v83, v83, v88
	v_fma_f32 v56, v65, v120, -v56
	s_waitcnt vmcnt(30)
	;; [unrolled: 9-line block ×3, first 2 shown]
	v_fmac_f32_e32 v92, v74, v124
	v_add_f32_e32 v83, v83, v91
	v_add_f32_e32 v55, v55, v56
	v_mul_f32_e32 v56, v70, v110
	s_waitcnt vmcnt(27)
	v_fmac_f32_e32 v93, v76, v125
	v_add_f32_e32 v83, v83, v92
	v_fma_f32 v56, v69, v122, -v56
	v_add_f32_e32 v83, v83, v93
	s_waitcnt vmcnt(26)
	v_fmac_f32_e32 v94, v78, v126
	v_add_f32_e32 v55, v55, v56
	v_mul_f32_e32 v56, v72, v111
	v_add_f32_e32 v87, v83, v94
	ds_read_b128 v[83:86], v54 offset:336
	v_fma_f32 v56, v71, v123, -v56
	s_waitcnt vmcnt(25) lgkmcnt(1)
	v_mul_f32_e32 v88, v79, v127
	v_add_f32_e32 v55, v55, v56
	v_mul_f32_e32 v56, v74, v112
	s_waitcnt vmcnt(24)
	v_fmac_f32_e32 v88, v80, v128
	v_fma_f32 v56, v73, v124, -v56
	v_add_f32_e32 v87, v87, v88
	s_waitcnt vmcnt(23)
	v_mul_f32_e32 v88, v81, v129
	v_add_f32_e32 v55, v55, v56
	v_mul_f32_e32 v56, v76, v113
	s_waitcnt vmcnt(22)
	v_fmac_f32_e32 v88, v82, v130
	v_fma_f32 v56, v75, v125, -v56
	v_add_f32_e32 v87, v87, v88
	s_waitcnt vmcnt(21) lgkmcnt(0)
	v_mul_f32_e32 v88, v83, v131
	v_add_f32_e32 v55, v55, v56
	v_mul_f32_e32 v56, v78, v114
	s_waitcnt vmcnt(20)
	v_fmac_f32_e32 v88, v84, v132
	v_fma_f32 v56, v77, v126, -v56
	v_add_f32_e32 v91, v87, v88
	ds_read_b128 v[87:90], v54 offset:352
	v_add_f32_e32 v55, v55, v56
	v_mul_f32_e32 v56, v80, v127
	v_fma_f32 v56, v79, v128, -v56
	s_waitcnt vmcnt(19)
	v_mul_f32_e32 v92, v85, v133
	v_add_f32_e32 v55, v55, v56
	v_mul_f32_e32 v56, v82, v129
	s_waitcnt vmcnt(18)
	v_fmac_f32_e32 v92, v86, v134
	v_fma_f32 v56, v81, v130, -v56
	v_add_f32_e32 v95, v91, v92
	ds_read_b128 v[91:94], v54 offset:368
	v_add_f32_e32 v55, v55, v56
	v_mul_f32_e32 v56, v84, v131
	s_waitcnt vmcnt(17) lgkmcnt(1)
	v_mul_f32_e32 v96, v87, v135
	v_fma_f32 v56, v83, v132, -v56
	s_waitcnt vmcnt(16)
	v_fmac_f32_e32 v96, v88, v136
	v_add_f32_e32 v55, v55, v56
	v_mul_f32_e32 v56, v86, v133
	v_add_f32_e32 v95, v95, v96
	s_waitcnt vmcnt(15)
	v_mul_f32_e32 v96, v89, v137
	v_fma_f32 v56, v85, v134, -v56
	s_waitcnt vmcnt(14)
	v_fmac_f32_e32 v96, v90, v138
	v_add_f32_e32 v55, v55, v56
	v_mul_f32_e32 v56, v88, v135
	v_add_f32_e32 v95, v95, v96
	s_waitcnt vmcnt(13) lgkmcnt(0)
	v_mul_f32_e32 v96, v91, v139
	v_fma_f32 v56, v87, v136, -v56
	s_waitcnt vmcnt(12)
	v_fmac_f32_e32 v96, v92, v140
	v_add_f32_e32 v55, v55, v56
	v_mul_f32_e32 v56, v90, v137
	v_add_f32_e32 v99, v95, v96
	ds_read_b128 v[95:98], v54 offset:384
	v_fma_f32 v56, v89, v138, -v56
	v_add_f32_e32 v55, v55, v56
	v_mul_f32_e32 v56, v92, v139
	s_waitcnt vmcnt(11)
	v_mul_f32_e32 v100, v93, v141
	v_fma_f32 v56, v91, v140, -v56
	s_waitcnt vmcnt(10)
	v_fmac_f32_e32 v100, v94, v142
	v_add_f32_e32 v55, v55, v56
	v_mul_f32_e32 v56, v94, v141
	v_add_f32_e32 v153, v99, v100
	ds_read_b128 v[99:102], v54 offset:400
	v_fma_f32 v56, v93, v142, -v56
	v_add_f32_e32 v55, v55, v56
	s_waitcnt vmcnt(7) lgkmcnt(1)
	v_mul_f32_e32 v56, v96, v145
	v_mul_f32_e32 v54, v95, v145
	s_waitcnt vmcnt(6)
	v_fma_f32 v56, v95, v146, -v56
	v_fmac_f32_e32 v54, v96, v146
	v_add_f32_e32 v55, v55, v56
	s_waitcnt vmcnt(4)
	v_mul_f32_e32 v56, v98, v148
	v_add_f32_e32 v54, v153, v54
	v_mul_f32_e32 v153, v97, v148
	v_fma_f32 v56, v97, v147, -v56
	v_fmac_f32_e32 v153, v98, v147
	v_add_f32_e32 v55, v55, v56
	s_waitcnt vmcnt(2) lgkmcnt(0)
	v_mul_f32_e32 v56, v100, v150
	v_add_f32_e32 v54, v54, v153
	v_mul_f32_e32 v153, v99, v150
	v_fma_f32 v56, v99, v149, -v56
	v_fmac_f32_e32 v153, v100, v149
	v_add_f32_e32 v55, v55, v56
	s_waitcnt vmcnt(0)
	v_mul_f32_e32 v56, v102, v152
	v_add_f32_e32 v54, v54, v153
	v_mul_f32_e32 v153, v101, v152
	v_fma_f32 v56, v101, v151, -v56
	v_fmac_f32_e32 v153, v102, v151
	v_add_f32_e32 v55, v55, v56
	v_add_f32_e32 v54, v54, v153
	v_sub_f32_e32 v55, v143, v55
	v_sub_f32_e32 v54, v144, v54
	buffer_store_dword v55, off, s[0:3], 0 offset:8
	buffer_store_dword v54, off, s[0:3], 0 offset:12
	s_and_saveexec_b64 s[4:5], vcc
	s_cbranch_execz .LBB25_169
; %bb.168:
	buffer_load_dword v54, off, s[0:3], 0
	buffer_load_dword v55, off, s[0:3], 0 offset:4
	v_mov_b32_e32 v0, 0
	buffer_store_dword v0, off, s[0:3], 0
	buffer_store_dword v0, off, s[0:3], 0 offset:4
	s_waitcnt vmcnt(2)
	ds_write_b64 v53, v[54:55]
.LBB25_169:
	s_or_b64 exec, exec, s[4:5]
	s_waitcnt lgkmcnt(0)
	; wave barrier
	buffer_load_dword v103, off, s[0:3], 0 offset:12
	buffer_load_dword v104, off, s[0:3], 0 offset:20
	buffer_load_dword v105, off, s[0:3], 0 offset:28
	buffer_load_dword v106, off, s[0:3], 0 offset:36
	buffer_load_dword v107, off, s[0:3], 0 offset:44
	buffer_load_dword v108, off, s[0:3], 0 offset:52
	buffer_load_dword v109, off, s[0:3], 0 offset:60
	buffer_load_dword v110, off, s[0:3], 0 offset:68
	buffer_load_dword v111, off, s[0:3], 0 offset:76
	buffer_load_dword v112, off, s[0:3], 0 offset:84
	buffer_load_dword v113, off, s[0:3], 0 offset:92
	buffer_load_dword v114, off, s[0:3], 0 offset:8
	buffer_load_dword v115, off, s[0:3], 0 offset:16
	buffer_load_dword v116, off, s[0:3], 0 offset:24
	buffer_load_dword v117, off, s[0:3], 0 offset:32
	buffer_load_dword v118, off, s[0:3], 0 offset:40
	buffer_load_dword v119, off, s[0:3], 0 offset:48
	buffer_load_dword v120, off, s[0:3], 0 offset:56
	buffer_load_dword v121, off, s[0:3], 0 offset:64
	buffer_load_dword v122, off, s[0:3], 0 offset:72
	buffer_load_dword v123, off, s[0:3], 0 offset:80
	buffer_load_dword v124, off, s[0:3], 0 offset:88
	buffer_load_dword v125, off, s[0:3], 0 offset:100
	buffer_load_dword v126, off, s[0:3], 0 offset:96
	buffer_load_dword v127, off, s[0:3], 0 offset:108
	buffer_load_dword v128, off, s[0:3], 0 offset:104
	buffer_load_dword v129, off, s[0:3], 0 offset:116
	buffer_load_dword v130, off, s[0:3], 0 offset:112
	buffer_load_dword v131, off, s[0:3], 0 offset:124
	buffer_load_dword v132, off, s[0:3], 0 offset:120
	buffer_load_dword v133, off, s[0:3], 0 offset:132
	buffer_load_dword v134, off, s[0:3], 0 offset:128
	buffer_load_dword v135, off, s[0:3], 0 offset:140
	buffer_load_dword v136, off, s[0:3], 0 offset:136
	buffer_load_dword v137, off, s[0:3], 0 offset:148
	buffer_load_dword v138, off, s[0:3], 0 offset:144
	buffer_load_dword v139, off, s[0:3], 0 offset:152
	buffer_load_dword v140, off, s[0:3], 0 offset:156
	buffer_load_dword v141, off, s[0:3], 0
	buffer_load_dword v142, off, s[0:3], 0 offset:4
	buffer_load_dword v143, off, s[0:3], 0 offset:164
	;; [unrolled: 1-line block ×13, first 2 shown]
	v_mov_b32_e32 v0, 0
	ds_read2_b64 v[53:56], v0 offset0:27 offset1:28
	ds_read2_b64 v[57:60], v0 offset0:29 offset1:30
	;; [unrolled: 1-line block ×6, first 2 shown]
	s_and_b64 vcc, exec, s[22:23]
	s_waitcnt vmcnt(51) lgkmcnt(5)
	v_mul_f32_e32 v77, v53, v103
	s_waitcnt vmcnt(50)
	v_mul_f32_e32 v78, v55, v104
	s_waitcnt vmcnt(49) lgkmcnt(4)
	v_mul_f32_e32 v79, v57, v105
	s_waitcnt vmcnt(48)
	v_mul_f32_e32 v80, v59, v106
	;; [unrolled: 4-line block ×5, first 2 shown]
	s_waitcnt vmcnt(41) lgkmcnt(0)
	v_mul_f32_e32 v87, v73, v113
	s_waitcnt vmcnt(40)
	v_fmac_f32_e32 v77, v54, v114
	v_mul_f32_e32 v54, v54, v103
	s_waitcnt vmcnt(39)
	v_fmac_f32_e32 v78, v56, v115
	v_add_f32_e32 v77, 0, v77
	v_fma_f32 v53, v53, v114, -v54
	v_mul_f32_e32 v54, v56, v104
	s_waitcnt vmcnt(38)
	v_fmac_f32_e32 v79, v58, v116
	v_add_f32_e32 v77, v77, v78
	v_add_f32_e32 v53, 0, v53
	v_fma_f32 v54, v55, v115, -v54
	s_waitcnt vmcnt(37)
	v_fmac_f32_e32 v80, v60, v117
	v_add_f32_e32 v77, v77, v79
	v_add_f32_e32 v53, v53, v54
	v_mul_f32_e32 v54, v58, v105
	s_waitcnt vmcnt(36)
	v_fmac_f32_e32 v81, v62, v118
	v_add_f32_e32 v77, v77, v80
	v_fma_f32 v54, v57, v116, -v54
	s_waitcnt vmcnt(35)
	v_fmac_f32_e32 v82, v64, v119
	v_add_f32_e32 v77, v77, v81
	v_add_f32_e32 v53, v53, v54
	v_mul_f32_e32 v54, v60, v106
	s_waitcnt vmcnt(34)
	v_fmac_f32_e32 v83, v66, v120
	;; [unrolled: 9-line block ×3, first 2 shown]
	v_add_f32_e32 v77, v77, v84
	v_fma_f32 v54, v61, v118, -v54
	s_waitcnt vmcnt(31)
	v_fmac_f32_e32 v86, v72, v123
	v_add_f32_e32 v77, v77, v85
	v_add_f32_e32 v53, v53, v54
	v_mul_f32_e32 v54, v64, v108
	v_add_f32_e32 v77, v77, v86
	s_waitcnt vmcnt(30)
	v_fmac_f32_e32 v87, v74, v124
	v_fma_f32 v54, v63, v119, -v54
	v_add_f32_e32 v81, v77, v87
	ds_read2_b64 v[77:80], v0 offset0:39 offset1:40
	v_add_f32_e32 v53, v53, v54
	v_mul_f32_e32 v54, v66, v109
	v_fma_f32 v54, v65, v120, -v54
	s_waitcnt vmcnt(29)
	v_mul_f32_e32 v82, v75, v125
	v_add_f32_e32 v53, v53, v54
	v_mul_f32_e32 v54, v68, v110
	s_waitcnt vmcnt(28)
	v_fmac_f32_e32 v82, v76, v126
	v_fma_f32 v54, v67, v121, -v54
	v_add_f32_e32 v85, v81, v82
	ds_read2_b64 v[81:84], v0 offset0:41 offset1:42
	v_add_f32_e32 v53, v53, v54
	v_mul_f32_e32 v54, v70, v111
	s_waitcnt vmcnt(27) lgkmcnt(1)
	v_mul_f32_e32 v86, v77, v127
	v_fma_f32 v54, v69, v122, -v54
	s_waitcnt vmcnt(26)
	v_fmac_f32_e32 v86, v78, v128
	v_add_f32_e32 v53, v53, v54
	v_mul_f32_e32 v54, v72, v112
	v_add_f32_e32 v85, v85, v86
	s_waitcnt vmcnt(25)
	v_mul_f32_e32 v86, v79, v129
	v_fma_f32 v54, v71, v123, -v54
	s_waitcnt vmcnt(24)
	v_fmac_f32_e32 v86, v80, v130
	v_add_f32_e32 v53, v53, v54
	v_mul_f32_e32 v54, v74, v113
	v_add_f32_e32 v85, v85, v86
	s_waitcnt vmcnt(23) lgkmcnt(0)
	v_mul_f32_e32 v86, v81, v131
	v_fma_f32 v54, v73, v124, -v54
	s_waitcnt vmcnt(22)
	v_fmac_f32_e32 v86, v82, v132
	v_add_f32_e32 v53, v53, v54
	v_mul_f32_e32 v54, v76, v125
	v_add_f32_e32 v89, v85, v86
	ds_read2_b64 v[85:88], v0 offset0:43 offset1:44
	v_fma_f32 v54, v75, v126, -v54
	v_add_f32_e32 v53, v53, v54
	v_mul_f32_e32 v54, v78, v127
	s_waitcnt vmcnt(21)
	v_mul_f32_e32 v90, v83, v133
	v_fma_f32 v54, v77, v128, -v54
	s_waitcnt vmcnt(20)
	v_fmac_f32_e32 v90, v84, v134
	v_add_f32_e32 v53, v53, v54
	v_mul_f32_e32 v54, v80, v129
	v_add_f32_e32 v93, v89, v90
	ds_read2_b64 v[89:92], v0 offset0:45 offset1:46
	v_fma_f32 v54, v79, v130, -v54
	s_waitcnt vmcnt(19) lgkmcnt(1)
	v_mul_f32_e32 v94, v85, v135
	v_add_f32_e32 v53, v53, v54
	v_mul_f32_e32 v54, v82, v131
	s_waitcnt vmcnt(18)
	v_fmac_f32_e32 v94, v86, v136
	v_fma_f32 v54, v81, v132, -v54
	v_add_f32_e32 v93, v93, v94
	s_waitcnt vmcnt(17)
	v_mul_f32_e32 v94, v87, v137
	v_add_f32_e32 v53, v53, v54
	v_mul_f32_e32 v54, v84, v133
	s_waitcnt vmcnt(16)
	v_fmac_f32_e32 v94, v88, v138
	v_fma_f32 v54, v83, v134, -v54
	v_add_f32_e32 v93, v93, v94
	s_waitcnt vmcnt(14) lgkmcnt(0)
	v_mul_f32_e32 v94, v89, v140
	v_add_f32_e32 v53, v53, v54
	v_mul_f32_e32 v54, v86, v135
	v_fmac_f32_e32 v94, v90, v139
	v_fma_f32 v54, v85, v136, -v54
	v_add_f32_e32 v97, v93, v94
	ds_read2_b64 v[93:96], v0 offset0:47 offset1:48
	v_add_f32_e32 v53, v53, v54
	v_mul_f32_e32 v54, v88, v137
	v_fma_f32 v54, v87, v138, -v54
	v_add_f32_e32 v53, v53, v54
	v_mul_f32_e32 v54, v90, v140
	s_waitcnt vmcnt(11)
	v_mul_f32_e32 v98, v91, v143
	v_fma_f32 v54, v89, v139, -v54
	s_waitcnt vmcnt(10)
	v_fmac_f32_e32 v98, v92, v144
	v_add_f32_e32 v53, v53, v54
	v_mul_f32_e32 v54, v92, v143
	v_add_f32_e32 v101, v97, v98
	ds_read2_b64 v[97:100], v0 offset0:49 offset1:50
	s_waitcnt vmcnt(8) lgkmcnt(1)
	v_mul_f32_e32 v102, v93, v146
	v_fma_f32 v54, v91, v144, -v54
	v_fmac_f32_e32 v102, v94, v145
	v_add_f32_e32 v53, v53, v54
	v_mul_f32_e32 v54, v94, v146
	v_add_f32_e32 v101, v101, v102
	s_waitcnt vmcnt(6)
	v_mul_f32_e32 v102, v95, v148
	v_fma_f32 v54, v93, v145, -v54
	v_fmac_f32_e32 v102, v96, v147
	v_add_f32_e32 v53, v53, v54
	v_mul_f32_e32 v54, v96, v148
	v_add_f32_e32 v155, v101, v102
	ds_read_b64 v[101:102], v0 offset:408
	v_fma_f32 v54, v95, v147, -v54
	v_add_f32_e32 v53, v53, v54
	s_waitcnt vmcnt(4) lgkmcnt(1)
	v_mul_f32_e32 v54, v98, v150
	v_mul_f32_e32 v156, v97, v150
	v_fma_f32 v54, v97, v149, -v54
	v_fmac_f32_e32 v156, v98, v149
	v_add_f32_e32 v53, v53, v54
	s_waitcnt vmcnt(2)
	v_mul_f32_e32 v54, v100, v152
	v_add_f32_e32 v155, v155, v156
	v_mul_f32_e32 v156, v99, v152
	v_fma_f32 v54, v99, v151, -v54
	v_fmac_f32_e32 v156, v100, v151
	v_add_f32_e32 v53, v53, v54
	s_waitcnt vmcnt(0) lgkmcnt(0)
	v_mul_f32_e32 v54, v102, v154
	v_add_f32_e32 v155, v155, v156
	v_mul_f32_e32 v156, v101, v154
	v_fma_f32 v54, v101, v153, -v54
	v_fmac_f32_e32 v156, v102, v153
	v_add_f32_e32 v53, v53, v54
	v_add_f32_e32 v155, v155, v156
	v_sub_f32_e32 v53, v141, v53
	v_sub_f32_e32 v54, v142, v155
	buffer_store_dword v53, off, s[0:3], 0
	buffer_store_dword v54, off, s[0:3], 0 offset:4
	s_cbranch_vccz .LBB25_220
; %bb.170:
	global_load_dword v0, v0, s[20:21] offset:96
	s_waitcnt vmcnt(0)
	v_add_u32_e32 v0, -1, v0
	v_cmp_ne_u32_e32 vcc, 24, v0
	s_cbranch_vccz .LBB25_172
; %bb.171:
	v_lshlrev_b32_e32 v0, 3, v0
	buffer_load_dword v53, v0, s[0:3], 0 offen
	buffer_load_dword v54, v0, s[0:3], 0 offen offset:4
	buffer_load_dword v55, off, s[0:3], 0 offset:196
	buffer_load_dword v56, off, s[0:3], 0 offset:192
	s_waitcnt vmcnt(3)
	buffer_store_dword v53, off, s[0:3], 0 offset:192
	s_waitcnt vmcnt(3)
	buffer_store_dword v54, off, s[0:3], 0 offset:196
	s_waitcnt vmcnt(3)
	buffer_store_dword v55, v0, s[0:3], 0 offen offset:4
	s_waitcnt vmcnt(3)
	buffer_store_dword v56, v0, s[0:3], 0 offen
.LBB25_172:
	v_mov_b32_e32 v0, 0
	global_load_dword v53, v0, s[20:21] offset:92
	s_waitcnt vmcnt(0)
	v_add_u32_e32 v53, -1, v53
	v_cmp_eq_u32_e32 vcc, 23, v53
	s_cbranch_vccnz .LBB25_174
; %bb.173:
	v_lshlrev_b32_e32 v53, 3, v53
	buffer_load_dword v54, v53, s[0:3], 0 offen
	buffer_load_dword v55, v53, s[0:3], 0 offen offset:4
	buffer_load_dword v56, off, s[0:3], 0 offset:184
	buffer_load_dword v57, off, s[0:3], 0 offset:188
	s_waitcnt vmcnt(3)
	buffer_store_dword v54, off, s[0:3], 0 offset:184
	s_waitcnt vmcnt(3)
	buffer_store_dword v55, off, s[0:3], 0 offset:188
	s_waitcnt vmcnt(3)
	buffer_store_dword v56, v53, s[0:3], 0 offen
	s_waitcnt vmcnt(3)
	buffer_store_dword v57, v53, s[0:3], 0 offen offset:4
.LBB25_174:
	global_load_dword v0, v0, s[20:21] offset:88
	s_waitcnt vmcnt(0)
	v_add_u32_e32 v0, -1, v0
	v_cmp_eq_u32_e32 vcc, 22, v0
	s_cbranch_vccnz .LBB25_176
; %bb.175:
	v_lshlrev_b32_e32 v0, 3, v0
	buffer_load_dword v53, v0, s[0:3], 0 offen
	buffer_load_dword v54, v0, s[0:3], 0 offen offset:4
	buffer_load_dword v55, off, s[0:3], 0 offset:180
	buffer_load_dword v56, off, s[0:3], 0 offset:176
	s_waitcnt vmcnt(3)
	buffer_store_dword v53, off, s[0:3], 0 offset:176
	s_waitcnt vmcnt(3)
	buffer_store_dword v54, off, s[0:3], 0 offset:180
	s_waitcnt vmcnt(3)
	buffer_store_dword v55, v0, s[0:3], 0 offen offset:4
	s_waitcnt vmcnt(3)
	buffer_store_dword v56, v0, s[0:3], 0 offen
.LBB25_176:
	v_mov_b32_e32 v0, 0
	global_load_dword v53, v0, s[20:21] offset:84
	s_waitcnt vmcnt(0)
	v_add_u32_e32 v53, -1, v53
	v_cmp_eq_u32_e32 vcc, 21, v53
	s_cbranch_vccnz .LBB25_178
; %bb.177:
	v_lshlrev_b32_e32 v53, 3, v53
	buffer_load_dword v54, v53, s[0:3], 0 offen
	buffer_load_dword v55, v53, s[0:3], 0 offen offset:4
	buffer_load_dword v56, off, s[0:3], 0 offset:168
	buffer_load_dword v57, off, s[0:3], 0 offset:172
	s_waitcnt vmcnt(3)
	buffer_store_dword v54, off, s[0:3], 0 offset:168
	s_waitcnt vmcnt(3)
	buffer_store_dword v55, off, s[0:3], 0 offset:172
	s_waitcnt vmcnt(3)
	buffer_store_dword v56, v53, s[0:3], 0 offen
	s_waitcnt vmcnt(3)
	buffer_store_dword v57, v53, s[0:3], 0 offen offset:4
.LBB25_178:
	global_load_dword v0, v0, s[20:21] offset:80
	s_waitcnt vmcnt(0)
	v_add_u32_e32 v0, -1, v0
	v_cmp_eq_u32_e32 vcc, 20, v0
	s_cbranch_vccnz .LBB25_180
; %bb.179:
	v_lshlrev_b32_e32 v0, 3, v0
	buffer_load_dword v53, v0, s[0:3], 0 offen
	buffer_load_dword v54, v0, s[0:3], 0 offen offset:4
	buffer_load_dword v55, off, s[0:3], 0 offset:164
	buffer_load_dword v56, off, s[0:3], 0 offset:160
	s_waitcnt vmcnt(3)
	buffer_store_dword v53, off, s[0:3], 0 offset:160
	s_waitcnt vmcnt(3)
	buffer_store_dword v54, off, s[0:3], 0 offset:164
	s_waitcnt vmcnt(3)
	buffer_store_dword v55, v0, s[0:3], 0 offen offset:4
	s_waitcnt vmcnt(3)
	buffer_store_dword v56, v0, s[0:3], 0 offen
.LBB25_180:
	;; [unrolled: 41-line block ×11, first 2 shown]
	v_mov_b32_e32 v0, 0
	global_load_dword v53, v0, s[20:21] offset:4
	s_waitcnt vmcnt(0)
	v_add_u32_e32 v53, -1, v53
	v_cmp_eq_u32_e32 vcc, 1, v53
	s_cbranch_vccnz .LBB25_218
; %bb.217:
	v_lshlrev_b32_e32 v53, 3, v53
	buffer_load_dword v54, v53, s[0:3], 0 offen
	buffer_load_dword v55, v53, s[0:3], 0 offen offset:4
	buffer_load_dword v56, off, s[0:3], 0 offset:8
	buffer_load_dword v57, off, s[0:3], 0 offset:12
	s_waitcnt vmcnt(3)
	buffer_store_dword v54, off, s[0:3], 0 offset:8
	s_waitcnt vmcnt(3)
	buffer_store_dword v55, off, s[0:3], 0 offset:12
	s_waitcnt vmcnt(3)
	buffer_store_dword v56, v53, s[0:3], 0 offen
	s_waitcnt vmcnt(3)
	buffer_store_dword v57, v53, s[0:3], 0 offen offset:4
.LBB25_218:
	global_load_dword v0, v0, s[20:21]
	s_waitcnt vmcnt(0)
	v_add_u32_e32 v0, -1, v0
	v_cmp_eq_u32_e32 vcc, 0, v0
	s_cbranch_vccnz .LBB25_220
; %bb.219:
	v_lshlrev_b32_e32 v0, 3, v0
	buffer_load_dword v53, v0, s[0:3], 0 offen
	buffer_load_dword v54, v0, s[0:3], 0 offen offset:4
	buffer_load_dword v55, off, s[0:3], 0 offset:4
	buffer_load_dword v56, off, s[0:3], 0
	s_waitcnt vmcnt(3)
	buffer_store_dword v53, off, s[0:3], 0
	s_waitcnt vmcnt(3)
	buffer_store_dword v54, off, s[0:3], 0 offset:4
	s_waitcnt vmcnt(3)
	buffer_store_dword v55, v0, s[0:3], 0 offen offset:4
	s_waitcnt vmcnt(3)
	buffer_store_dword v56, v0, s[0:3], 0 offen
.LBB25_220:
	buffer_load_dword v53, off, s[0:3], 0
	buffer_load_dword v54, off, s[0:3], 0 offset:4
	buffer_load_dword v55, off, s[0:3], 0 offset:8
	s_nop 0
	buffer_load_dword v56, off, s[0:3], 0 offset:12
	buffer_load_dword v57, off, s[0:3], 0 offset:16
	;; [unrolled: 1-line block ×49, first 2 shown]
	s_waitcnt vmcnt(50)
	global_store_dwordx2 v[43:44], v[53:54], off
	s_waitcnt vmcnt(49)
	global_store_dwordx2 v[45:46], v[55:56], off
	;; [unrolled: 2-line block ×9, first 2 shown]
	global_store_dwordx2 v[15:16], v[71:72], off
	global_store_dwordx2 v[17:18], v[73:74], off
	;; [unrolled: 1-line block ×3, first 2 shown]
	s_waitcnt vmcnt(38)
	global_store_dwordx2 v[21:22], v[77:78], off
	s_waitcnt vmcnt(37)
	global_store_dwordx2 v[23:24], v[79:80], off
	;; [unrolled: 2-line block ×14, first 2 shown]
	s_endpgm
	.section	.rodata,"a",@progbits
	.p2align	6, 0x0
	.amdhsa_kernel _ZN9rocsolver6v33100L18getri_kernel_smallILi26E19rocblas_complex_numIfEPS3_EEvT1_iilPiilS6_bb
		.amdhsa_group_segment_fixed_size 420
		.amdhsa_private_segment_fixed_size 224
		.amdhsa_kernarg_size 60
		.amdhsa_user_sgpr_count 6
		.amdhsa_user_sgpr_private_segment_buffer 1
		.amdhsa_user_sgpr_dispatch_ptr 0
		.amdhsa_user_sgpr_queue_ptr 0
		.amdhsa_user_sgpr_kernarg_segment_ptr 1
		.amdhsa_user_sgpr_dispatch_id 0
		.amdhsa_user_sgpr_flat_scratch_init 0
		.amdhsa_user_sgpr_private_segment_size 0
		.amdhsa_uses_dynamic_stack 0
		.amdhsa_system_sgpr_private_segment_wavefront_offset 1
		.amdhsa_system_sgpr_workgroup_id_x 1
		.amdhsa_system_sgpr_workgroup_id_y 0
		.amdhsa_system_sgpr_workgroup_id_z 0
		.amdhsa_system_sgpr_workgroup_info 0
		.amdhsa_system_vgpr_workitem_id 0
		.amdhsa_next_free_vgpr 157
		.amdhsa_next_free_sgpr 24
		.amdhsa_reserve_vcc 1
		.amdhsa_reserve_flat_scratch 0
		.amdhsa_float_round_mode_32 0
		.amdhsa_float_round_mode_16_64 0
		.amdhsa_float_denorm_mode_32 3
		.amdhsa_float_denorm_mode_16_64 3
		.amdhsa_dx10_clamp 1
		.amdhsa_ieee_mode 1
		.amdhsa_fp16_overflow 0
		.amdhsa_exception_fp_ieee_invalid_op 0
		.amdhsa_exception_fp_denorm_src 0
		.amdhsa_exception_fp_ieee_div_zero 0
		.amdhsa_exception_fp_ieee_overflow 0
		.amdhsa_exception_fp_ieee_underflow 0
		.amdhsa_exception_fp_ieee_inexact 0
		.amdhsa_exception_int_div_zero 0
	.end_amdhsa_kernel
	.section	.text._ZN9rocsolver6v33100L18getri_kernel_smallILi26E19rocblas_complex_numIfEPS3_EEvT1_iilPiilS6_bb,"axG",@progbits,_ZN9rocsolver6v33100L18getri_kernel_smallILi26E19rocblas_complex_numIfEPS3_EEvT1_iilPiilS6_bb,comdat
.Lfunc_end25:
	.size	_ZN9rocsolver6v33100L18getri_kernel_smallILi26E19rocblas_complex_numIfEPS3_EEvT1_iilPiilS6_bb, .Lfunc_end25-_ZN9rocsolver6v33100L18getri_kernel_smallILi26E19rocblas_complex_numIfEPS3_EEvT1_iilPiilS6_bb
                                        ; -- End function
	.set _ZN9rocsolver6v33100L18getri_kernel_smallILi26E19rocblas_complex_numIfEPS3_EEvT1_iilPiilS6_bb.num_vgpr, 157
	.set _ZN9rocsolver6v33100L18getri_kernel_smallILi26E19rocblas_complex_numIfEPS3_EEvT1_iilPiilS6_bb.num_agpr, 0
	.set _ZN9rocsolver6v33100L18getri_kernel_smallILi26E19rocblas_complex_numIfEPS3_EEvT1_iilPiilS6_bb.numbered_sgpr, 24
	.set _ZN9rocsolver6v33100L18getri_kernel_smallILi26E19rocblas_complex_numIfEPS3_EEvT1_iilPiilS6_bb.num_named_barrier, 0
	.set _ZN9rocsolver6v33100L18getri_kernel_smallILi26E19rocblas_complex_numIfEPS3_EEvT1_iilPiilS6_bb.private_seg_size, 224
	.set _ZN9rocsolver6v33100L18getri_kernel_smallILi26E19rocblas_complex_numIfEPS3_EEvT1_iilPiilS6_bb.uses_vcc, 1
	.set _ZN9rocsolver6v33100L18getri_kernel_smallILi26E19rocblas_complex_numIfEPS3_EEvT1_iilPiilS6_bb.uses_flat_scratch, 0
	.set _ZN9rocsolver6v33100L18getri_kernel_smallILi26E19rocblas_complex_numIfEPS3_EEvT1_iilPiilS6_bb.has_dyn_sized_stack, 0
	.set _ZN9rocsolver6v33100L18getri_kernel_smallILi26E19rocblas_complex_numIfEPS3_EEvT1_iilPiilS6_bb.has_recursion, 0
	.set _ZN9rocsolver6v33100L18getri_kernel_smallILi26E19rocblas_complex_numIfEPS3_EEvT1_iilPiilS6_bb.has_indirect_call, 0
	.section	.AMDGPU.csdata,"",@progbits
; Kernel info:
; codeLenInByte = 32068
; TotalNumSgprs: 28
; NumVgprs: 157
; ScratchSize: 224
; MemoryBound: 0
; FloatMode: 240
; IeeeMode: 1
; LDSByteSize: 420 bytes/workgroup (compile time only)
; SGPRBlocks: 3
; VGPRBlocks: 39
; NumSGPRsForWavesPerEU: 28
; NumVGPRsForWavesPerEU: 157
; Occupancy: 1
; WaveLimiterHint : 1
; COMPUTE_PGM_RSRC2:SCRATCH_EN: 1
; COMPUTE_PGM_RSRC2:USER_SGPR: 6
; COMPUTE_PGM_RSRC2:TRAP_HANDLER: 0
; COMPUTE_PGM_RSRC2:TGID_X_EN: 1
; COMPUTE_PGM_RSRC2:TGID_Y_EN: 0
; COMPUTE_PGM_RSRC2:TGID_Z_EN: 0
; COMPUTE_PGM_RSRC2:TIDIG_COMP_CNT: 0
	.section	.text._ZN9rocsolver6v33100L18getri_kernel_smallILi27E19rocblas_complex_numIfEPS3_EEvT1_iilPiilS6_bb,"axG",@progbits,_ZN9rocsolver6v33100L18getri_kernel_smallILi27E19rocblas_complex_numIfEPS3_EEvT1_iilPiilS6_bb,comdat
	.globl	_ZN9rocsolver6v33100L18getri_kernel_smallILi27E19rocblas_complex_numIfEPS3_EEvT1_iilPiilS6_bb ; -- Begin function _ZN9rocsolver6v33100L18getri_kernel_smallILi27E19rocblas_complex_numIfEPS3_EEvT1_iilPiilS6_bb
	.p2align	8
	.type	_ZN9rocsolver6v33100L18getri_kernel_smallILi27E19rocblas_complex_numIfEPS3_EEvT1_iilPiilS6_bb,@function
_ZN9rocsolver6v33100L18getri_kernel_smallILi27E19rocblas_complex_numIfEPS3_EEvT1_iilPiilS6_bb: ; @_ZN9rocsolver6v33100L18getri_kernel_smallILi27E19rocblas_complex_numIfEPS3_EEvT1_iilPiilS6_bb
; %bb.0:
	s_add_u32 s0, s0, s7
	s_addc_u32 s1, s1, 0
	v_cmp_gt_u32_e32 vcc, 27, v0
	s_and_saveexec_b64 s[8:9], vcc
	s_cbranch_execz .LBB26_122
; %bb.1:
	s_load_dword s12, s[4:5], 0x38
	s_load_dwordx4 s[16:19], s[4:5], 0x10
	s_load_dwordx4 s[8:11], s[4:5], 0x28
                                        ; implicit-def: $sgpr20_sgpr21
	s_waitcnt lgkmcnt(0)
	s_bitcmp1_b32 s12, 8
	s_cselect_b64 s[22:23], -1, 0
	s_ashr_i32 s7, s6, 31
	s_bfe_u32 s12, s12, 0x10008
	s_cmp_eq_u32 s12, 0
	s_cbranch_scc1 .LBB26_3
; %bb.2:
	s_load_dword s12, s[4:5], 0x20
	s_mul_i32 s13, s8, s7
	s_mul_hi_u32 s14, s8, s6
	s_mul_i32 s9, s9, s6
	s_add_i32 s14, s14, s13
	s_add_i32 s9, s14, s9
	s_mul_i32 s8, s8, s6
	s_waitcnt lgkmcnt(0)
	s_ashr_i32 s13, s12, 31
	s_lshl_b64 s[8:9], s[8:9], 2
	s_add_u32 s14, s18, s8
	s_addc_u32 s15, s19, s9
	s_lshl_b64 s[8:9], s[12:13], 2
	s_add_u32 s20, s14, s8
	s_addc_u32 s21, s15, s9
.LBB26_3:
	s_load_dwordx4 s[12:15], s[4:5], 0x0
	s_load_dword s8, s[4:5], 0x38
	s_mul_i32 s9, s16, s7
	s_mul_hi_u32 s18, s16, s6
	s_add_i32 s9, s18, s9
	s_waitcnt lgkmcnt(0)
	s_ashr_i32 s5, s14, 31
	s_mov_b32 s4, s14
	s_mul_i32 s14, s17, s6
	s_add_i32 s17, s9, s14
	s_mul_i32 s16, s16, s6
	s_lshl_b64 s[16:17], s[16:17], 3
	s_add_u32 s9, s12, s16
	s_addc_u32 s12, s13, s17
	s_lshl_b64 s[4:5], s[4:5], 3
	s_add_u32 s4, s9, s4
	s_addc_u32 s5, s12, s5
	s_add_i32 s9, s15, s15
	v_add_u32_e32 v3, s9, v0
	v_ashrrev_i32_e32 v4, 31, v3
	v_lshlrev_b64 v[1:2], 3, v[3:4]
	v_add_u32_e32 v5, s15, v3
	v_mov_b32_e32 v4, s5
	v_add_co_u32_e32 v1, vcc, s4, v1
	v_ashrrev_i32_e32 v6, 31, v5
	v_addc_co_u32_e32 v2, vcc, v4, v2, vcc
	v_lshlrev_b64 v[3:4], 3, v[5:6]
	v_add_u32_e32 v7, s15, v5
	v_mov_b32_e32 v6, s5
	v_add_co_u32_e32 v3, vcc, s4, v3
	v_ashrrev_i32_e32 v8, 31, v7
	v_addc_co_u32_e32 v4, vcc, v6, v4, vcc
	;; [unrolled: 6-line block ×8, first 2 shown]
	v_lshlrev_b64 v[17:18], 3, v[19:20]
	v_mov_b32_e32 v21, s5
	v_add_co_u32_e32 v17, vcc, s4, v17
	v_addc_co_u32_e32 v18, vcc, v21, v18, vcc
	v_add_u32_e32 v21, s15, v19
	v_ashrrev_i32_e32 v22, 31, v21
	v_lshlrev_b64 v[19:20], 3, v[21:22]
	v_mov_b32_e32 v23, s5
	v_add_co_u32_e32 v19, vcc, s4, v19
	v_addc_co_u32_e32 v20, vcc, v23, v20, vcc
	v_add_u32_e32 v23, s15, v21
	v_ashrrev_i32_e32 v24, 31, v23
	;; [unrolled: 6-line block ×12, first 2 shown]
	v_lshlrev_b64 v[41:42], 3, v[43:44]
	v_mov_b32_e32 v45, s5
	v_add_co_u32_e32 v41, vcc, s4, v41
	v_addc_co_u32_e32 v42, vcc, v45, v42, vcc
	v_lshlrev_b32_e32 v57, 3, v0
	v_add_u32_e32 v49, s15, v43
	v_mov_b32_e32 v46, s5
	v_add_co_u32_e32 v45, vcc, s4, v57
	s_ashr_i32 s13, s15, 31
	s_mov_b32 s12, s15
	v_ashrrev_i32_e32 v50, 31, v49
	v_addc_co_u32_e32 v46, vcc, 0, v46, vcc
	s_lshl_b64 s[12:13], s[12:13], 3
	v_lshlrev_b64 v[43:44], 3, v[49:50]
	v_mov_b32_e32 v48, s13
	v_add_co_u32_e32 v47, vcc, s12, v45
	v_addc_co_u32_e32 v48, vcc, v46, v48, vcc
	v_mov_b32_e32 v51, s5
	v_add_co_u32_e32 v43, vcc, s4, v43
	v_addc_co_u32_e32 v44, vcc, v51, v44, vcc
	v_add_u32_e32 v51, s15, v49
	v_ashrrev_i32_e32 v52, 31, v51
	v_lshlrev_b64 v[49:50], 3, v[51:52]
	v_mov_b32_e32 v53, s5
	v_add_co_u32_e32 v49, vcc, s4, v49
	v_addc_co_u32_e32 v50, vcc, v53, v50, vcc
	v_add_u32_e32 v53, s15, v51
	v_ashrrev_i32_e32 v54, 31, v53
	v_lshlrev_b64 v[51:52], 3, v[53:54]
	v_mov_b32_e32 v92, s5
	v_add_co_u32_e32 v51, vcc, s4, v51
	global_load_dwordx2 v[55:56], v57, s[4:5]
	global_load_dwordx2 v[60:61], v[1:2], off
	global_load_dwordx2 v[62:63], v[3:4], off
	;; [unrolled: 1-line block ×17, first 2 shown]
	v_addc_co_u32_e32 v52, vcc, v92, v52, vcc
	global_load_dwordx2 v[92:93], v[33:34], off
	global_load_dwordx2 v[94:95], v[35:36], off
	;; [unrolled: 1-line block ×8, first 2 shown]
	v_add_u32_e32 v53, s15, v53
	v_ashrrev_i32_e32 v54, 31, v53
	v_lshlrev_b64 v[53:54], 3, v[53:54]
	v_mov_b32_e32 v108, s5
	v_add_co_u32_e32 v53, vcc, s4, v53
	v_addc_co_u32_e32 v54, vcc, v108, v54, vcc
	global_load_dwordx2 v[108:109], v[53:54], off
	s_bitcmp0_b32 s8, 0
	s_mov_b64 s[8:9], -1
	s_waitcnt vmcnt(26)
	buffer_store_dword v56, off, s[0:3], 0 offset:4
	buffer_store_dword v55, off, s[0:3], 0
	s_waitcnt vmcnt(24)
	buffer_store_dword v59, off, s[0:3], 0 offset:12
	buffer_store_dword v58, off, s[0:3], 0 offset:8
	;; [unrolled: 1-line block ×8, first 2 shown]
	s_waitcnt vmcnt(31)
	buffer_store_dword v67, off, s[0:3], 0 offset:44
	buffer_store_dword v66, off, s[0:3], 0 offset:40
	s_waitcnt vmcnt(32)
	buffer_store_dword v69, off, s[0:3], 0 offset:52
	buffer_store_dword v68, off, s[0:3], 0 offset:48
	;; [unrolled: 3-line block ×22, first 2 shown]
	s_cbranch_scc1 .LBB26_120
; %bb.4:
	v_cmp_eq_u32_e64 s[4:5], 0, v0
	s_and_saveexec_b64 s[8:9], s[4:5]
; %bb.5:
	v_mov_b32_e32 v55, 0
	ds_write_b32 v55, v55 offset:216
; %bb.6:
	s_or_b64 exec, exec, s[8:9]
	v_mov_b32_e32 v55, 0
	v_lshl_add_u32 v59, v0, 3, v55
	s_waitcnt lgkmcnt(0)
	; wave barrier
	buffer_load_dword v55, v59, s[0:3], 0 offen
	buffer_load_dword v56, v59, s[0:3], 0 offen offset:4
	s_waitcnt vmcnt(1)
	v_cmp_eq_f32_e32 vcc, 0, v55
	s_waitcnt vmcnt(0)
	v_cmp_eq_f32_e64 s[8:9], 0, v56
	s_and_b64 s[8:9], vcc, s[8:9]
	s_and_saveexec_b64 s[12:13], s[8:9]
	s_cbranch_execz .LBB26_10
; %bb.7:
	v_mov_b32_e32 v55, 0
	ds_read_b32 v58, v55 offset:216
	v_add_u32_e32 v56, 1, v0
	s_waitcnt lgkmcnt(0)
	v_readfirstlane_b32 s8, v58
	s_cmp_eq_u32 s8, 0
	s_cselect_b64 s[14:15], -1, 0
	v_cmp_gt_i32_e32 vcc, s8, v56
	s_or_b64 s[14:15], s[14:15], vcc
	s_and_b64 exec, exec, s[14:15]
	s_cbranch_execz .LBB26_10
; %bb.8:
	s_mov_b64 s[14:15], 0
	v_mov_b32_e32 v58, s8
.LBB26_9:                               ; =>This Inner Loop Header: Depth=1
	ds_cmpst_rtn_b32 v58, v55, v58, v56 offset:216
	s_waitcnt lgkmcnt(0)
	v_cmp_ne_u32_e32 vcc, 0, v58
	v_cmp_le_i32_e64 s[8:9], v58, v56
	s_and_b64 s[8:9], vcc, s[8:9]
	s_and_b64 s[8:9], exec, s[8:9]
	s_or_b64 s[14:15], s[8:9], s[14:15]
	s_andn2_b64 exec, exec, s[14:15]
	s_cbranch_execnz .LBB26_9
.LBB26_10:
	s_or_b64 exec, exec, s[12:13]
	v_mov_b32_e32 v56, 0
	; wave barrier
	ds_read_b32 v55, v56 offset:216
	s_and_saveexec_b64 s[8:9], s[4:5]
	s_cbranch_execz .LBB26_12
; %bb.11:
	s_lshl_b64 s[12:13], s[6:7], 2
	s_add_u32 s12, s10, s12
	s_addc_u32 s13, s11, s13
	s_waitcnt lgkmcnt(0)
	global_store_dword v56, v55, s[12:13]
.LBB26_12:
	s_or_b64 exec, exec, s[8:9]
	s_waitcnt lgkmcnt(0)
	v_cmp_ne_u32_e32 vcc, 0, v55
	s_mov_b64 s[8:9], 0
	s_cbranch_vccnz .LBB26_120
; %bb.13:
	buffer_load_dword v56, v59, s[0:3], 0 offen
	buffer_load_dword v58, v59, s[0:3], 0 offen offset:4
                                        ; implicit-def: $vgpr61
                                        ; implicit-def: $vgpr60
                                        ; implicit-def: $vgpr55
	s_waitcnt vmcnt(0)
	v_cmp_ngt_f32_e64 s[8:9], |v56|, |v58|
	s_and_saveexec_b64 s[12:13], s[8:9]
	s_xor_b64 s[8:9], exec, s[12:13]
	s_cbranch_execz .LBB26_15
; %bb.14:
	v_div_scale_f32 v55, s[12:13], v58, v58, v56
	v_div_scale_f32 v60, vcc, v56, v58, v56
	v_rcp_f32_e32 v61, v55
	v_fma_f32 v62, -v55, v61, 1.0
	v_fmac_f32_e32 v61, v62, v61
	v_mul_f32_e32 v62, v60, v61
	v_fma_f32 v63, -v55, v62, v60
	v_fmac_f32_e32 v62, v63, v61
	v_fma_f32 v55, -v55, v62, v60
	v_div_fmas_f32 v55, v55, v61, v62
	v_div_fixup_f32 v55, v55, v58, v56
	v_fmac_f32_e32 v58, v56, v55
	v_div_scale_f32 v56, s[12:13], v58, v58, 1.0
	v_div_scale_f32 v60, vcc, 1.0, v58, 1.0
	v_rcp_f32_e32 v61, v56
	v_fma_f32 v62, -v56, v61, 1.0
	v_fmac_f32_e32 v61, v62, v61
	v_mul_f32_e32 v62, v60, v61
	v_fma_f32 v63, -v56, v62, v60
	v_fmac_f32_e32 v62, v63, v61
	v_fma_f32 v56, -v56, v62, v60
	v_div_fmas_f32 v56, v56, v61, v62
	v_div_fixup_f32 v56, v56, v58, 1.0
	v_mul_f32_e32 v61, v55, v56
	v_xor_b32_e32 v60, 0x80000000, v56
	v_xor_b32_e32 v55, 0x80000000, v61
                                        ; implicit-def: $vgpr56
                                        ; implicit-def: $vgpr58
.LBB26_15:
	s_andn2_saveexec_b64 s[8:9], s[8:9]
	s_cbranch_execz .LBB26_17
; %bb.16:
	v_div_scale_f32 v55, s[12:13], v56, v56, v58
	v_div_scale_f32 v60, vcc, v58, v56, v58
	v_rcp_f32_e32 v61, v55
	v_fma_f32 v62, -v55, v61, 1.0
	v_fmac_f32_e32 v61, v62, v61
	v_mul_f32_e32 v62, v60, v61
	v_fma_f32 v63, -v55, v62, v60
	v_fmac_f32_e32 v62, v63, v61
	v_fma_f32 v55, -v55, v62, v60
	v_div_fmas_f32 v55, v55, v61, v62
	v_div_fixup_f32 v60, v55, v56, v58
	v_fmac_f32_e32 v56, v58, v60
	v_div_scale_f32 v55, s[12:13], v56, v56, 1.0
	v_div_scale_f32 v58, vcc, 1.0, v56, 1.0
	v_rcp_f32_e32 v61, v55
	v_fma_f32 v62, -v55, v61, 1.0
	v_fmac_f32_e32 v61, v62, v61
	v_mul_f32_e32 v62, v58, v61
	v_fma_f32 v63, -v55, v62, v58
	v_fmac_f32_e32 v62, v63, v61
	v_fma_f32 v55, -v55, v62, v58
	v_div_fmas_f32 v55, v55, v61, v62
	v_div_fixup_f32 v61, v55, v56, 1.0
	v_xor_b32_e32 v55, 0x80000000, v61
	v_mul_f32_e64 v60, v60, -v61
.LBB26_17:
	s_or_b64 exec, exec, s[8:9]
	buffer_store_dword v61, v59, s[0:3], 0 offen
	buffer_store_dword v60, v59, s[0:3], 0 offen offset:4
	buffer_load_dword v62, off, s[0:3], 0 offset:12
	s_nop 0
	buffer_load_dword v61, off, s[0:3], 0 offset:8
	v_xor_b32_e32 v56, 0x80000000, v60
	v_add_u32_e32 v58, 0xe0, v57
	s_waitcnt vmcnt(0)
	ds_write2_b64 v57, v[55:56], v[61:62] offset1:28
	s_waitcnt lgkmcnt(0)
	; wave barrier
	s_and_saveexec_b64 s[8:9], s[4:5]
	s_cbranch_execz .LBB26_19
; %bb.18:
	buffer_load_dword v60, v59, s[0:3], 0 offen
	buffer_load_dword v61, v59, s[0:3], 0 offen offset:4
	ds_read_b64 v[55:56], v58
	s_waitcnt vmcnt(0) lgkmcnt(0)
	v_mul_f32_e32 v62, v56, v61
	v_fma_f32 v62, v55, v60, -v62
	v_mul_f32_e32 v55, v55, v61
	v_fmac_f32_e32 v55, v56, v60
	v_add_f32_e32 v61, 0, v55
	v_mov_b32_e32 v55, 0
	ds_read_b64 v[55:56], v55 offset:8
	v_add_f32_e32 v60, 0, v62
	s_waitcnt lgkmcnt(0)
	v_mul_f32_e32 v62, v61, v56
	v_fma_f32 v62, v60, v55, -v62
	v_mul_f32_e32 v56, v60, v56
	v_fmac_f32_e32 v56, v61, v55
	buffer_store_dword v62, off, s[0:3], 0 offset:8
	buffer_store_dword v56, off, s[0:3], 0 offset:12
.LBB26_19:
	s_or_b64 exec, exec, s[8:9]
	; wave barrier
	buffer_load_dword v55, off, s[0:3], 0 offset:16
	buffer_load_dword v56, off, s[0:3], 0 offset:20
	v_cmp_gt_u32_e32 vcc, 2, v0
	s_waitcnt vmcnt(0)
	ds_write_b64 v58, v[55:56]
	s_waitcnt lgkmcnt(0)
	; wave barrier
	s_and_saveexec_b64 s[8:9], vcc
	s_cbranch_execz .LBB26_23
; %bb.20:
	buffer_load_dword v60, v59, s[0:3], 0 offen offset:4
	buffer_load_dword v61, v59, s[0:3], 0 offen
	ds_read_b64 v[55:56], v58
	s_waitcnt vmcnt(1) lgkmcnt(0)
	v_mul_f32_e32 v59, v56, v60
	v_mul_f32_e32 v60, v55, v60
	s_waitcnt vmcnt(0)
	v_fma_f32 v55, v55, v61, -v59
	v_fmac_f32_e32 v60, v56, v61
	v_add_f32_e32 v56, 0, v55
	v_add_f32_e32 v55, 0, v60
	s_and_saveexec_b64 s[12:13], s[4:5]
	s_cbranch_execz .LBB26_22
; %bb.21:
	v_mov_b32_e32 v59, 0
	ds_read_b64 v[59:60], v59 offset:232
	buffer_load_dword v61, off, s[0:3], 0 offset:8
	buffer_load_dword v62, off, s[0:3], 0 offset:12
	s_waitcnt vmcnt(0) lgkmcnt(0)
	v_mul_f32_e32 v63, v59, v62
	v_fmac_f32_e32 v63, v60, v61
	v_mul_f32_e32 v60, v60, v62
	v_fma_f32 v59, v59, v61, -v60
	v_add_f32_e32 v55, v55, v63
	v_add_f32_e32 v56, v56, v59
.LBB26_22:
	s_or_b64 exec, exec, s[12:13]
	v_mov_b32_e32 v59, 0
	ds_read_b64 v[59:60], v59 offset:16
	s_waitcnt lgkmcnt(0)
	v_mul_f32_e32 v61, v55, v60
	v_mul_f32_e32 v60, v56, v60
	v_fma_f32 v56, v56, v59, -v61
	v_fmac_f32_e32 v60, v55, v59
	buffer_store_dword v56, off, s[0:3], 0 offset:16
	buffer_store_dword v60, off, s[0:3], 0 offset:20
.LBB26_23:
	s_or_b64 exec, exec, s[8:9]
	; wave barrier
	buffer_load_dword v55, off, s[0:3], 0 offset:24
	buffer_load_dword v56, off, s[0:3], 0 offset:28
	v_cmp_gt_u32_e32 vcc, 3, v0
	s_waitcnt vmcnt(0)
	ds_write_b64 v58, v[55:56]
	v_add_u32_e32 v55, -1, v0
	s_waitcnt lgkmcnt(0)
	; wave barrier
	s_and_saveexec_b64 s[4:5], vcc
	s_cbranch_execz .LBB26_27
; %bb.24:
	v_add_u32_e32 v59, -1, v0
	v_add_u32_e32 v60, 0xe0, v57
	v_mov_b32_e32 v61, v57
	v_mov_b32_e32 v56, 0
	s_mov_b64 s[8:9], 0
	v_mov_b32_e32 v62, 0
.LBB26_25:                              ; =>This Inner Loop Header: Depth=1
	buffer_load_dword v65, v61, s[0:3], 0 offen offset:4
	buffer_load_dword v66, v61, s[0:3], 0 offen
	ds_read_b64 v[63:64], v60
	v_add_u32_e32 v59, 1, v59
	v_cmp_lt_u32_e32 vcc, 1, v59
	v_add_u32_e32 v60, 8, v60
	v_add_u32_e32 v61, 8, v61
	s_or_b64 s[8:9], vcc, s[8:9]
	s_waitcnt vmcnt(1) lgkmcnt(0)
	v_mul_f32_e32 v67, v64, v65
	v_mul_f32_e32 v65, v63, v65
	s_waitcnt vmcnt(0)
	v_fma_f32 v63, v63, v66, -v67
	v_fmac_f32_e32 v65, v64, v66
	v_add_f32_e32 v62, v62, v63
	v_add_f32_e32 v56, v56, v65
	s_andn2_b64 exec, exec, s[8:9]
	s_cbranch_execnz .LBB26_25
; %bb.26:
	s_or_b64 exec, exec, s[8:9]
	v_mov_b32_e32 v59, 0
	ds_read_b64 v[59:60], v59 offset:24
	s_waitcnt lgkmcnt(0)
	v_mul_f32_e32 v61, v56, v60
	v_mul_f32_e32 v60, v62, v60
	v_fma_f32 v61, v62, v59, -v61
	v_fmac_f32_e32 v60, v56, v59
	buffer_store_dword v61, off, s[0:3], 0 offset:24
	buffer_store_dword v60, off, s[0:3], 0 offset:28
.LBB26_27:
	s_or_b64 exec, exec, s[4:5]
	; wave barrier
	buffer_load_dword v59, off, s[0:3], 0 offset:32
	buffer_load_dword v60, off, s[0:3], 0 offset:36
	v_cmp_gt_u32_e32 vcc, 4, v0
	s_waitcnt vmcnt(0)
	ds_write_b64 v58, v[59:60]
	s_waitcnt lgkmcnt(0)
	; wave barrier
	s_and_saveexec_b64 s[4:5], vcc
	s_cbranch_execz .LBB26_31
; %bb.28:
	v_add_u32_e32 v59, -1, v0
	v_add_u32_e32 v60, 0xe0, v57
	v_mov_b32_e32 v61, v57
	v_mov_b32_e32 v56, 0
	s_mov_b64 s[8:9], 0
	v_mov_b32_e32 v62, 0
.LBB26_29:                              ; =>This Inner Loop Header: Depth=1
	buffer_load_dword v65, v61, s[0:3], 0 offen offset:4
	buffer_load_dword v66, v61, s[0:3], 0 offen
	ds_read_b64 v[63:64], v60
	v_add_u32_e32 v59, 1, v59
	v_cmp_lt_u32_e32 vcc, 2, v59
	v_add_u32_e32 v60, 8, v60
	v_add_u32_e32 v61, 8, v61
	s_or_b64 s[8:9], vcc, s[8:9]
	s_waitcnt vmcnt(1) lgkmcnt(0)
	v_mul_f32_e32 v67, v64, v65
	v_mul_f32_e32 v65, v63, v65
	s_waitcnt vmcnt(0)
	v_fma_f32 v63, v63, v66, -v67
	v_fmac_f32_e32 v65, v64, v66
	v_add_f32_e32 v62, v62, v63
	v_add_f32_e32 v56, v56, v65
	s_andn2_b64 exec, exec, s[8:9]
	s_cbranch_execnz .LBB26_29
; %bb.30:
	s_or_b64 exec, exec, s[8:9]
	v_mov_b32_e32 v59, 0
	ds_read_b64 v[59:60], v59 offset:32
	s_waitcnt lgkmcnt(0)
	v_mul_f32_e32 v61, v56, v60
	v_mul_f32_e32 v60, v62, v60
	v_fma_f32 v61, v62, v59, -v61
	v_fmac_f32_e32 v60, v56, v59
	buffer_store_dword v61, off, s[0:3], 0 offset:32
	buffer_store_dword v60, off, s[0:3], 0 offset:36
.LBB26_31:
	s_or_b64 exec, exec, s[4:5]
	; wave barrier
	buffer_load_dword v59, off, s[0:3], 0 offset:40
	buffer_load_dword v60, off, s[0:3], 0 offset:44
	v_cmp_gt_u32_e32 vcc, 5, v0
	s_waitcnt vmcnt(0)
	ds_write_b64 v58, v[59:60]
	s_waitcnt lgkmcnt(0)
	; wave barrier
	s_and_saveexec_b64 s[4:5], vcc
	s_cbranch_execz .LBB26_35
; %bb.32:
	v_add_u32_e32 v59, -1, v0
	v_add_u32_e32 v60, 0xe0, v57
	v_mov_b32_e32 v61, v57
	v_mov_b32_e32 v56, 0
	s_mov_b64 s[8:9], 0
	v_mov_b32_e32 v62, 0
.LBB26_33:                              ; =>This Inner Loop Header: Depth=1
	buffer_load_dword v65, v61, s[0:3], 0 offen offset:4
	buffer_load_dword v66, v61, s[0:3], 0 offen
	ds_read_b64 v[63:64], v60
	v_add_u32_e32 v59, 1, v59
	v_cmp_lt_u32_e32 vcc, 3, v59
	v_add_u32_e32 v60, 8, v60
	v_add_u32_e32 v61, 8, v61
	s_or_b64 s[8:9], vcc, s[8:9]
	s_waitcnt vmcnt(1) lgkmcnt(0)
	v_mul_f32_e32 v67, v64, v65
	v_mul_f32_e32 v65, v63, v65
	s_waitcnt vmcnt(0)
	v_fma_f32 v63, v63, v66, -v67
	v_fmac_f32_e32 v65, v64, v66
	v_add_f32_e32 v62, v62, v63
	v_add_f32_e32 v56, v56, v65
	s_andn2_b64 exec, exec, s[8:9]
	s_cbranch_execnz .LBB26_33
; %bb.34:
	s_or_b64 exec, exec, s[8:9]
	v_mov_b32_e32 v59, 0
	ds_read_b64 v[59:60], v59 offset:40
	s_waitcnt lgkmcnt(0)
	v_mul_f32_e32 v61, v56, v60
	v_mul_f32_e32 v60, v62, v60
	v_fma_f32 v61, v62, v59, -v61
	v_fmac_f32_e32 v60, v56, v59
	buffer_store_dword v61, off, s[0:3], 0 offset:40
	buffer_store_dword v60, off, s[0:3], 0 offset:44
.LBB26_35:
	s_or_b64 exec, exec, s[4:5]
	; wave barrier
	buffer_load_dword v59, off, s[0:3], 0 offset:48
	buffer_load_dword v60, off, s[0:3], 0 offset:52
	v_cmp_gt_u32_e32 vcc, 6, v0
	s_waitcnt vmcnt(0)
	ds_write_b64 v58, v[59:60]
	s_waitcnt lgkmcnt(0)
	; wave barrier
	s_and_saveexec_b64 s[4:5], vcc
	s_cbranch_execz .LBB26_39
; %bb.36:
	v_add_u32_e32 v59, -1, v0
	v_add_u32_e32 v60, 0xe0, v57
	v_mov_b32_e32 v61, v57
	v_mov_b32_e32 v56, 0
	s_mov_b64 s[8:9], 0
	v_mov_b32_e32 v62, 0
.LBB26_37:                              ; =>This Inner Loop Header: Depth=1
	buffer_load_dword v65, v61, s[0:3], 0 offen offset:4
	buffer_load_dword v66, v61, s[0:3], 0 offen
	ds_read_b64 v[63:64], v60
	v_add_u32_e32 v59, 1, v59
	v_cmp_lt_u32_e32 vcc, 4, v59
	v_add_u32_e32 v60, 8, v60
	v_add_u32_e32 v61, 8, v61
	s_or_b64 s[8:9], vcc, s[8:9]
	s_waitcnt vmcnt(1) lgkmcnt(0)
	v_mul_f32_e32 v67, v64, v65
	v_mul_f32_e32 v65, v63, v65
	s_waitcnt vmcnt(0)
	v_fma_f32 v63, v63, v66, -v67
	v_fmac_f32_e32 v65, v64, v66
	v_add_f32_e32 v62, v62, v63
	v_add_f32_e32 v56, v56, v65
	s_andn2_b64 exec, exec, s[8:9]
	s_cbranch_execnz .LBB26_37
; %bb.38:
	s_or_b64 exec, exec, s[8:9]
	v_mov_b32_e32 v59, 0
	ds_read_b64 v[59:60], v59 offset:48
	s_waitcnt lgkmcnt(0)
	v_mul_f32_e32 v61, v56, v60
	v_mul_f32_e32 v60, v62, v60
	v_fma_f32 v61, v62, v59, -v61
	v_fmac_f32_e32 v60, v56, v59
	buffer_store_dword v61, off, s[0:3], 0 offset:48
	buffer_store_dword v60, off, s[0:3], 0 offset:52
.LBB26_39:
	s_or_b64 exec, exec, s[4:5]
	; wave barrier
	buffer_load_dword v59, off, s[0:3], 0 offset:56
	buffer_load_dword v60, off, s[0:3], 0 offset:60
	v_cmp_gt_u32_e32 vcc, 7, v0
	s_waitcnt vmcnt(0)
	ds_write_b64 v58, v[59:60]
	s_waitcnt lgkmcnt(0)
	; wave barrier
	s_and_saveexec_b64 s[4:5], vcc
	s_cbranch_execz .LBB26_43
; %bb.40:
	v_add_u32_e32 v59, -1, v0
	v_add_u32_e32 v60, 0xe0, v57
	v_mov_b32_e32 v61, v57
	v_mov_b32_e32 v56, 0
	s_mov_b64 s[8:9], 0
	v_mov_b32_e32 v62, 0
.LBB26_41:                              ; =>This Inner Loop Header: Depth=1
	buffer_load_dword v65, v61, s[0:3], 0 offen offset:4
	buffer_load_dword v66, v61, s[0:3], 0 offen
	ds_read_b64 v[63:64], v60
	v_add_u32_e32 v59, 1, v59
	v_cmp_lt_u32_e32 vcc, 5, v59
	v_add_u32_e32 v60, 8, v60
	v_add_u32_e32 v61, 8, v61
	s_or_b64 s[8:9], vcc, s[8:9]
	s_waitcnt vmcnt(1) lgkmcnt(0)
	v_mul_f32_e32 v67, v64, v65
	v_mul_f32_e32 v65, v63, v65
	s_waitcnt vmcnt(0)
	v_fma_f32 v63, v63, v66, -v67
	v_fmac_f32_e32 v65, v64, v66
	v_add_f32_e32 v62, v62, v63
	v_add_f32_e32 v56, v56, v65
	s_andn2_b64 exec, exec, s[8:9]
	s_cbranch_execnz .LBB26_41
; %bb.42:
	s_or_b64 exec, exec, s[8:9]
	v_mov_b32_e32 v59, 0
	ds_read_b64 v[59:60], v59 offset:56
	s_waitcnt lgkmcnt(0)
	v_mul_f32_e32 v61, v56, v60
	v_mul_f32_e32 v60, v62, v60
	v_fma_f32 v61, v62, v59, -v61
	v_fmac_f32_e32 v60, v56, v59
	buffer_store_dword v61, off, s[0:3], 0 offset:56
	buffer_store_dword v60, off, s[0:3], 0 offset:60
.LBB26_43:
	s_or_b64 exec, exec, s[4:5]
	; wave barrier
	buffer_load_dword v59, off, s[0:3], 0 offset:64
	buffer_load_dword v60, off, s[0:3], 0 offset:68
	v_cmp_gt_u32_e32 vcc, 8, v0
	s_waitcnt vmcnt(0)
	ds_write_b64 v58, v[59:60]
	s_waitcnt lgkmcnt(0)
	; wave barrier
	s_and_saveexec_b64 s[4:5], vcc
	s_cbranch_execz .LBB26_47
; %bb.44:
	v_add_u32_e32 v59, -1, v0
	v_add_u32_e32 v60, 0xe0, v57
	v_mov_b32_e32 v61, v57
	v_mov_b32_e32 v56, 0
	s_mov_b64 s[8:9], 0
	v_mov_b32_e32 v62, 0
.LBB26_45:                              ; =>This Inner Loop Header: Depth=1
	buffer_load_dword v65, v61, s[0:3], 0 offen offset:4
	buffer_load_dword v66, v61, s[0:3], 0 offen
	ds_read_b64 v[63:64], v60
	v_add_u32_e32 v59, 1, v59
	v_cmp_lt_u32_e32 vcc, 6, v59
	v_add_u32_e32 v60, 8, v60
	v_add_u32_e32 v61, 8, v61
	s_or_b64 s[8:9], vcc, s[8:9]
	s_waitcnt vmcnt(1) lgkmcnt(0)
	v_mul_f32_e32 v67, v64, v65
	v_mul_f32_e32 v65, v63, v65
	s_waitcnt vmcnt(0)
	v_fma_f32 v63, v63, v66, -v67
	v_fmac_f32_e32 v65, v64, v66
	v_add_f32_e32 v62, v62, v63
	v_add_f32_e32 v56, v56, v65
	s_andn2_b64 exec, exec, s[8:9]
	s_cbranch_execnz .LBB26_45
; %bb.46:
	s_or_b64 exec, exec, s[8:9]
	v_mov_b32_e32 v59, 0
	ds_read_b64 v[59:60], v59 offset:64
	s_waitcnt lgkmcnt(0)
	v_mul_f32_e32 v61, v56, v60
	v_mul_f32_e32 v60, v62, v60
	v_fma_f32 v61, v62, v59, -v61
	v_fmac_f32_e32 v60, v56, v59
	buffer_store_dword v61, off, s[0:3], 0 offset:64
	buffer_store_dword v60, off, s[0:3], 0 offset:68
.LBB26_47:
	s_or_b64 exec, exec, s[4:5]
	; wave barrier
	buffer_load_dword v59, off, s[0:3], 0 offset:72
	buffer_load_dword v60, off, s[0:3], 0 offset:76
	v_cmp_gt_u32_e32 vcc, 9, v0
	s_waitcnt vmcnt(0)
	ds_write_b64 v58, v[59:60]
	s_waitcnt lgkmcnt(0)
	; wave barrier
	s_and_saveexec_b64 s[4:5], vcc
	s_cbranch_execz .LBB26_51
; %bb.48:
	v_add_u32_e32 v59, -1, v0
	v_add_u32_e32 v60, 0xe0, v57
	v_mov_b32_e32 v61, v57
	v_mov_b32_e32 v56, 0
	s_mov_b64 s[8:9], 0
	v_mov_b32_e32 v62, 0
.LBB26_49:                              ; =>This Inner Loop Header: Depth=1
	buffer_load_dword v65, v61, s[0:3], 0 offen offset:4
	buffer_load_dword v66, v61, s[0:3], 0 offen
	ds_read_b64 v[63:64], v60
	v_add_u32_e32 v59, 1, v59
	v_cmp_lt_u32_e32 vcc, 7, v59
	v_add_u32_e32 v60, 8, v60
	v_add_u32_e32 v61, 8, v61
	s_or_b64 s[8:9], vcc, s[8:9]
	s_waitcnt vmcnt(1) lgkmcnt(0)
	v_mul_f32_e32 v67, v64, v65
	v_mul_f32_e32 v65, v63, v65
	s_waitcnt vmcnt(0)
	v_fma_f32 v63, v63, v66, -v67
	v_fmac_f32_e32 v65, v64, v66
	v_add_f32_e32 v62, v62, v63
	v_add_f32_e32 v56, v56, v65
	s_andn2_b64 exec, exec, s[8:9]
	s_cbranch_execnz .LBB26_49
; %bb.50:
	s_or_b64 exec, exec, s[8:9]
	v_mov_b32_e32 v59, 0
	ds_read_b64 v[59:60], v59 offset:72
	s_waitcnt lgkmcnt(0)
	v_mul_f32_e32 v61, v56, v60
	v_mul_f32_e32 v60, v62, v60
	v_fma_f32 v61, v62, v59, -v61
	v_fmac_f32_e32 v60, v56, v59
	buffer_store_dword v61, off, s[0:3], 0 offset:72
	buffer_store_dword v60, off, s[0:3], 0 offset:76
.LBB26_51:
	s_or_b64 exec, exec, s[4:5]
	; wave barrier
	buffer_load_dword v59, off, s[0:3], 0 offset:80
	buffer_load_dword v60, off, s[0:3], 0 offset:84
	v_cmp_gt_u32_e32 vcc, 10, v0
	s_waitcnt vmcnt(0)
	ds_write_b64 v58, v[59:60]
	s_waitcnt lgkmcnt(0)
	; wave barrier
	s_and_saveexec_b64 s[4:5], vcc
	s_cbranch_execz .LBB26_55
; %bb.52:
	v_add_u32_e32 v59, -1, v0
	v_add_u32_e32 v60, 0xe0, v57
	v_mov_b32_e32 v61, v57
	v_mov_b32_e32 v56, 0
	s_mov_b64 s[8:9], 0
	v_mov_b32_e32 v62, 0
.LBB26_53:                              ; =>This Inner Loop Header: Depth=1
	buffer_load_dword v65, v61, s[0:3], 0 offen offset:4
	buffer_load_dword v66, v61, s[0:3], 0 offen
	ds_read_b64 v[63:64], v60
	v_add_u32_e32 v59, 1, v59
	v_cmp_lt_u32_e32 vcc, 8, v59
	v_add_u32_e32 v60, 8, v60
	v_add_u32_e32 v61, 8, v61
	s_or_b64 s[8:9], vcc, s[8:9]
	s_waitcnt vmcnt(1) lgkmcnt(0)
	v_mul_f32_e32 v67, v64, v65
	v_mul_f32_e32 v65, v63, v65
	s_waitcnt vmcnt(0)
	v_fma_f32 v63, v63, v66, -v67
	v_fmac_f32_e32 v65, v64, v66
	v_add_f32_e32 v62, v62, v63
	v_add_f32_e32 v56, v56, v65
	s_andn2_b64 exec, exec, s[8:9]
	s_cbranch_execnz .LBB26_53
; %bb.54:
	s_or_b64 exec, exec, s[8:9]
	v_mov_b32_e32 v59, 0
	ds_read_b64 v[59:60], v59 offset:80
	s_waitcnt lgkmcnt(0)
	v_mul_f32_e32 v61, v56, v60
	v_mul_f32_e32 v60, v62, v60
	v_fma_f32 v61, v62, v59, -v61
	v_fmac_f32_e32 v60, v56, v59
	buffer_store_dword v61, off, s[0:3], 0 offset:80
	buffer_store_dword v60, off, s[0:3], 0 offset:84
.LBB26_55:
	s_or_b64 exec, exec, s[4:5]
	; wave barrier
	buffer_load_dword v59, off, s[0:3], 0 offset:88
	buffer_load_dword v60, off, s[0:3], 0 offset:92
	v_cmp_gt_u32_e32 vcc, 11, v0
	s_waitcnt vmcnt(0)
	ds_write_b64 v58, v[59:60]
	s_waitcnt lgkmcnt(0)
	; wave barrier
	s_and_saveexec_b64 s[4:5], vcc
	s_cbranch_execz .LBB26_59
; %bb.56:
	v_add_u32_e32 v59, -1, v0
	v_add_u32_e32 v60, 0xe0, v57
	v_mov_b32_e32 v61, v57
	v_mov_b32_e32 v56, 0
	s_mov_b64 s[8:9], 0
	v_mov_b32_e32 v62, 0
.LBB26_57:                              ; =>This Inner Loop Header: Depth=1
	buffer_load_dword v65, v61, s[0:3], 0 offen offset:4
	buffer_load_dword v66, v61, s[0:3], 0 offen
	ds_read_b64 v[63:64], v60
	v_add_u32_e32 v59, 1, v59
	v_cmp_lt_u32_e32 vcc, 9, v59
	v_add_u32_e32 v60, 8, v60
	v_add_u32_e32 v61, 8, v61
	s_or_b64 s[8:9], vcc, s[8:9]
	s_waitcnt vmcnt(1) lgkmcnt(0)
	v_mul_f32_e32 v67, v64, v65
	v_mul_f32_e32 v65, v63, v65
	s_waitcnt vmcnt(0)
	v_fma_f32 v63, v63, v66, -v67
	v_fmac_f32_e32 v65, v64, v66
	v_add_f32_e32 v62, v62, v63
	v_add_f32_e32 v56, v56, v65
	s_andn2_b64 exec, exec, s[8:9]
	s_cbranch_execnz .LBB26_57
; %bb.58:
	s_or_b64 exec, exec, s[8:9]
	v_mov_b32_e32 v59, 0
	ds_read_b64 v[59:60], v59 offset:88
	s_waitcnt lgkmcnt(0)
	v_mul_f32_e32 v61, v56, v60
	v_mul_f32_e32 v60, v62, v60
	v_fma_f32 v61, v62, v59, -v61
	v_fmac_f32_e32 v60, v56, v59
	buffer_store_dword v61, off, s[0:3], 0 offset:88
	buffer_store_dword v60, off, s[0:3], 0 offset:92
.LBB26_59:
	s_or_b64 exec, exec, s[4:5]
	; wave barrier
	buffer_load_dword v59, off, s[0:3], 0 offset:96
	buffer_load_dword v60, off, s[0:3], 0 offset:100
	v_cmp_gt_u32_e32 vcc, 12, v0
	s_waitcnt vmcnt(0)
	ds_write_b64 v58, v[59:60]
	s_waitcnt lgkmcnt(0)
	; wave barrier
	s_and_saveexec_b64 s[4:5], vcc
	s_cbranch_execz .LBB26_63
; %bb.60:
	v_add_u32_e32 v59, -1, v0
	v_add_u32_e32 v60, 0xe0, v57
	v_mov_b32_e32 v61, v57
	v_mov_b32_e32 v56, 0
	s_mov_b64 s[8:9], 0
	v_mov_b32_e32 v62, 0
.LBB26_61:                              ; =>This Inner Loop Header: Depth=1
	buffer_load_dword v65, v61, s[0:3], 0 offen offset:4
	buffer_load_dword v66, v61, s[0:3], 0 offen
	ds_read_b64 v[63:64], v60
	v_add_u32_e32 v59, 1, v59
	v_cmp_lt_u32_e32 vcc, 10, v59
	v_add_u32_e32 v60, 8, v60
	v_add_u32_e32 v61, 8, v61
	s_or_b64 s[8:9], vcc, s[8:9]
	s_waitcnt vmcnt(1) lgkmcnt(0)
	v_mul_f32_e32 v67, v64, v65
	v_mul_f32_e32 v65, v63, v65
	s_waitcnt vmcnt(0)
	v_fma_f32 v63, v63, v66, -v67
	v_fmac_f32_e32 v65, v64, v66
	v_add_f32_e32 v62, v62, v63
	v_add_f32_e32 v56, v56, v65
	s_andn2_b64 exec, exec, s[8:9]
	s_cbranch_execnz .LBB26_61
; %bb.62:
	s_or_b64 exec, exec, s[8:9]
	v_mov_b32_e32 v59, 0
	ds_read_b64 v[59:60], v59 offset:96
	s_waitcnt lgkmcnt(0)
	v_mul_f32_e32 v61, v56, v60
	v_mul_f32_e32 v60, v62, v60
	v_fma_f32 v61, v62, v59, -v61
	v_fmac_f32_e32 v60, v56, v59
	buffer_store_dword v61, off, s[0:3], 0 offset:96
	buffer_store_dword v60, off, s[0:3], 0 offset:100
.LBB26_63:
	s_or_b64 exec, exec, s[4:5]
	; wave barrier
	buffer_load_dword v59, off, s[0:3], 0 offset:104
	buffer_load_dword v60, off, s[0:3], 0 offset:108
	v_cmp_gt_u32_e32 vcc, 13, v0
	s_waitcnt vmcnt(0)
	ds_write_b64 v58, v[59:60]
	s_waitcnt lgkmcnt(0)
	; wave barrier
	s_and_saveexec_b64 s[4:5], vcc
	s_cbranch_execz .LBB26_67
; %bb.64:
	v_add_u32_e32 v59, -1, v0
	v_add_u32_e32 v60, 0xe0, v57
	v_mov_b32_e32 v61, v57
	v_mov_b32_e32 v56, 0
	s_mov_b64 s[8:9], 0
	v_mov_b32_e32 v62, 0
.LBB26_65:                              ; =>This Inner Loop Header: Depth=1
	buffer_load_dword v65, v61, s[0:3], 0 offen offset:4
	buffer_load_dword v66, v61, s[0:3], 0 offen
	ds_read_b64 v[63:64], v60
	v_add_u32_e32 v59, 1, v59
	v_cmp_lt_u32_e32 vcc, 11, v59
	v_add_u32_e32 v60, 8, v60
	v_add_u32_e32 v61, 8, v61
	s_or_b64 s[8:9], vcc, s[8:9]
	s_waitcnt vmcnt(1) lgkmcnt(0)
	v_mul_f32_e32 v67, v64, v65
	v_mul_f32_e32 v65, v63, v65
	s_waitcnt vmcnt(0)
	v_fma_f32 v63, v63, v66, -v67
	v_fmac_f32_e32 v65, v64, v66
	v_add_f32_e32 v62, v62, v63
	v_add_f32_e32 v56, v56, v65
	s_andn2_b64 exec, exec, s[8:9]
	s_cbranch_execnz .LBB26_65
; %bb.66:
	s_or_b64 exec, exec, s[8:9]
	v_mov_b32_e32 v59, 0
	ds_read_b64 v[59:60], v59 offset:104
	s_waitcnt lgkmcnt(0)
	v_mul_f32_e32 v61, v56, v60
	v_mul_f32_e32 v60, v62, v60
	v_fma_f32 v61, v62, v59, -v61
	v_fmac_f32_e32 v60, v56, v59
	buffer_store_dword v61, off, s[0:3], 0 offset:104
	buffer_store_dword v60, off, s[0:3], 0 offset:108
.LBB26_67:
	s_or_b64 exec, exec, s[4:5]
	; wave barrier
	buffer_load_dword v59, off, s[0:3], 0 offset:112
	buffer_load_dword v60, off, s[0:3], 0 offset:116
	v_cmp_gt_u32_e32 vcc, 14, v0
	s_waitcnt vmcnt(0)
	ds_write_b64 v58, v[59:60]
	s_waitcnt lgkmcnt(0)
	; wave barrier
	s_and_saveexec_b64 s[4:5], vcc
	s_cbranch_execz .LBB26_71
; %bb.68:
	v_add_u32_e32 v59, -1, v0
	v_add_u32_e32 v60, 0xe0, v57
	v_mov_b32_e32 v61, v57
	v_mov_b32_e32 v56, 0
	s_mov_b64 s[8:9], 0
	v_mov_b32_e32 v62, 0
.LBB26_69:                              ; =>This Inner Loop Header: Depth=1
	buffer_load_dword v65, v61, s[0:3], 0 offen offset:4
	buffer_load_dword v66, v61, s[0:3], 0 offen
	ds_read_b64 v[63:64], v60
	v_add_u32_e32 v59, 1, v59
	v_cmp_lt_u32_e32 vcc, 12, v59
	v_add_u32_e32 v60, 8, v60
	v_add_u32_e32 v61, 8, v61
	s_or_b64 s[8:9], vcc, s[8:9]
	s_waitcnt vmcnt(1) lgkmcnt(0)
	v_mul_f32_e32 v67, v64, v65
	v_mul_f32_e32 v65, v63, v65
	s_waitcnt vmcnt(0)
	v_fma_f32 v63, v63, v66, -v67
	v_fmac_f32_e32 v65, v64, v66
	v_add_f32_e32 v62, v62, v63
	v_add_f32_e32 v56, v56, v65
	s_andn2_b64 exec, exec, s[8:9]
	s_cbranch_execnz .LBB26_69
; %bb.70:
	s_or_b64 exec, exec, s[8:9]
	v_mov_b32_e32 v59, 0
	ds_read_b64 v[59:60], v59 offset:112
	s_waitcnt lgkmcnt(0)
	v_mul_f32_e32 v61, v56, v60
	v_mul_f32_e32 v60, v62, v60
	v_fma_f32 v61, v62, v59, -v61
	v_fmac_f32_e32 v60, v56, v59
	buffer_store_dword v61, off, s[0:3], 0 offset:112
	buffer_store_dword v60, off, s[0:3], 0 offset:116
.LBB26_71:
	s_or_b64 exec, exec, s[4:5]
	; wave barrier
	buffer_load_dword v59, off, s[0:3], 0 offset:120
	buffer_load_dword v60, off, s[0:3], 0 offset:124
	v_cmp_gt_u32_e32 vcc, 15, v0
	s_waitcnt vmcnt(0)
	ds_write_b64 v58, v[59:60]
	s_waitcnt lgkmcnt(0)
	; wave barrier
	s_and_saveexec_b64 s[4:5], vcc
	s_cbranch_execz .LBB26_75
; %bb.72:
	v_add_u32_e32 v59, -1, v0
	v_add_u32_e32 v60, 0xe0, v57
	v_mov_b32_e32 v61, v57
	v_mov_b32_e32 v56, 0
	s_mov_b64 s[8:9], 0
	v_mov_b32_e32 v62, 0
.LBB26_73:                              ; =>This Inner Loop Header: Depth=1
	buffer_load_dword v65, v61, s[0:3], 0 offen offset:4
	buffer_load_dword v66, v61, s[0:3], 0 offen
	ds_read_b64 v[63:64], v60
	v_add_u32_e32 v59, 1, v59
	v_cmp_lt_u32_e32 vcc, 13, v59
	v_add_u32_e32 v60, 8, v60
	v_add_u32_e32 v61, 8, v61
	s_or_b64 s[8:9], vcc, s[8:9]
	s_waitcnt vmcnt(1) lgkmcnt(0)
	v_mul_f32_e32 v67, v64, v65
	v_mul_f32_e32 v65, v63, v65
	s_waitcnt vmcnt(0)
	v_fma_f32 v63, v63, v66, -v67
	v_fmac_f32_e32 v65, v64, v66
	v_add_f32_e32 v62, v62, v63
	v_add_f32_e32 v56, v56, v65
	s_andn2_b64 exec, exec, s[8:9]
	s_cbranch_execnz .LBB26_73
; %bb.74:
	s_or_b64 exec, exec, s[8:9]
	v_mov_b32_e32 v59, 0
	ds_read_b64 v[59:60], v59 offset:120
	s_waitcnt lgkmcnt(0)
	v_mul_f32_e32 v61, v56, v60
	v_mul_f32_e32 v60, v62, v60
	v_fma_f32 v61, v62, v59, -v61
	v_fmac_f32_e32 v60, v56, v59
	buffer_store_dword v61, off, s[0:3], 0 offset:120
	buffer_store_dword v60, off, s[0:3], 0 offset:124
.LBB26_75:
	s_or_b64 exec, exec, s[4:5]
	; wave barrier
	buffer_load_dword v59, off, s[0:3], 0 offset:128
	buffer_load_dword v60, off, s[0:3], 0 offset:132
	v_cmp_gt_u32_e32 vcc, 16, v0
	s_waitcnt vmcnt(0)
	ds_write_b64 v58, v[59:60]
	s_waitcnt lgkmcnt(0)
	; wave barrier
	s_and_saveexec_b64 s[4:5], vcc
	s_cbranch_execz .LBB26_79
; %bb.76:
	v_add_u32_e32 v59, -1, v0
	v_add_u32_e32 v60, 0xe0, v57
	v_mov_b32_e32 v61, v57
	v_mov_b32_e32 v56, 0
	s_mov_b64 s[8:9], 0
	v_mov_b32_e32 v62, 0
.LBB26_77:                              ; =>This Inner Loop Header: Depth=1
	buffer_load_dword v65, v61, s[0:3], 0 offen offset:4
	buffer_load_dword v66, v61, s[0:3], 0 offen
	ds_read_b64 v[63:64], v60
	v_add_u32_e32 v59, 1, v59
	v_cmp_lt_u32_e32 vcc, 14, v59
	v_add_u32_e32 v60, 8, v60
	v_add_u32_e32 v61, 8, v61
	s_or_b64 s[8:9], vcc, s[8:9]
	s_waitcnt vmcnt(1) lgkmcnt(0)
	v_mul_f32_e32 v67, v64, v65
	v_mul_f32_e32 v65, v63, v65
	s_waitcnt vmcnt(0)
	v_fma_f32 v63, v63, v66, -v67
	v_fmac_f32_e32 v65, v64, v66
	v_add_f32_e32 v62, v62, v63
	v_add_f32_e32 v56, v56, v65
	s_andn2_b64 exec, exec, s[8:9]
	s_cbranch_execnz .LBB26_77
; %bb.78:
	s_or_b64 exec, exec, s[8:9]
	v_mov_b32_e32 v59, 0
	ds_read_b64 v[59:60], v59 offset:128
	s_waitcnt lgkmcnt(0)
	v_mul_f32_e32 v61, v56, v60
	v_mul_f32_e32 v60, v62, v60
	v_fma_f32 v61, v62, v59, -v61
	v_fmac_f32_e32 v60, v56, v59
	buffer_store_dword v61, off, s[0:3], 0 offset:128
	buffer_store_dword v60, off, s[0:3], 0 offset:132
.LBB26_79:
	s_or_b64 exec, exec, s[4:5]
	; wave barrier
	buffer_load_dword v59, off, s[0:3], 0 offset:136
	buffer_load_dword v60, off, s[0:3], 0 offset:140
	v_cmp_gt_u32_e32 vcc, 17, v0
	s_waitcnt vmcnt(0)
	ds_write_b64 v58, v[59:60]
	s_waitcnt lgkmcnt(0)
	; wave barrier
	s_and_saveexec_b64 s[4:5], vcc
	s_cbranch_execz .LBB26_83
; %bb.80:
	v_add_u32_e32 v59, -1, v0
	v_add_u32_e32 v60, 0xe0, v57
	v_mov_b32_e32 v61, v57
	v_mov_b32_e32 v56, 0
	s_mov_b64 s[8:9], 0
	v_mov_b32_e32 v62, 0
.LBB26_81:                              ; =>This Inner Loop Header: Depth=1
	buffer_load_dword v65, v61, s[0:3], 0 offen offset:4
	buffer_load_dword v66, v61, s[0:3], 0 offen
	ds_read_b64 v[63:64], v60
	v_add_u32_e32 v59, 1, v59
	v_cmp_lt_u32_e32 vcc, 15, v59
	v_add_u32_e32 v60, 8, v60
	v_add_u32_e32 v61, 8, v61
	s_or_b64 s[8:9], vcc, s[8:9]
	s_waitcnt vmcnt(1) lgkmcnt(0)
	v_mul_f32_e32 v67, v64, v65
	v_mul_f32_e32 v65, v63, v65
	s_waitcnt vmcnt(0)
	v_fma_f32 v63, v63, v66, -v67
	v_fmac_f32_e32 v65, v64, v66
	v_add_f32_e32 v62, v62, v63
	v_add_f32_e32 v56, v56, v65
	s_andn2_b64 exec, exec, s[8:9]
	s_cbranch_execnz .LBB26_81
; %bb.82:
	s_or_b64 exec, exec, s[8:9]
	v_mov_b32_e32 v59, 0
	ds_read_b64 v[59:60], v59 offset:136
	s_waitcnt lgkmcnt(0)
	v_mul_f32_e32 v61, v56, v60
	v_mul_f32_e32 v60, v62, v60
	v_fma_f32 v61, v62, v59, -v61
	v_fmac_f32_e32 v60, v56, v59
	buffer_store_dword v61, off, s[0:3], 0 offset:136
	buffer_store_dword v60, off, s[0:3], 0 offset:140
.LBB26_83:
	s_or_b64 exec, exec, s[4:5]
	; wave barrier
	buffer_load_dword v59, off, s[0:3], 0 offset:144
	buffer_load_dword v60, off, s[0:3], 0 offset:148
	v_cmp_gt_u32_e32 vcc, 18, v0
	s_waitcnt vmcnt(0)
	ds_write_b64 v58, v[59:60]
	s_waitcnt lgkmcnt(0)
	; wave barrier
	s_and_saveexec_b64 s[4:5], vcc
	s_cbranch_execz .LBB26_87
; %bb.84:
	v_add_u32_e32 v59, -1, v0
	v_add_u32_e32 v60, 0xe0, v57
	v_mov_b32_e32 v61, v57
	v_mov_b32_e32 v56, 0
	s_mov_b64 s[8:9], 0
	v_mov_b32_e32 v62, 0
.LBB26_85:                              ; =>This Inner Loop Header: Depth=1
	buffer_load_dword v65, v61, s[0:3], 0 offen offset:4
	buffer_load_dword v66, v61, s[0:3], 0 offen
	ds_read_b64 v[63:64], v60
	v_add_u32_e32 v59, 1, v59
	v_cmp_lt_u32_e32 vcc, 16, v59
	v_add_u32_e32 v60, 8, v60
	v_add_u32_e32 v61, 8, v61
	s_or_b64 s[8:9], vcc, s[8:9]
	s_waitcnt vmcnt(1) lgkmcnt(0)
	v_mul_f32_e32 v67, v64, v65
	v_mul_f32_e32 v65, v63, v65
	s_waitcnt vmcnt(0)
	v_fma_f32 v63, v63, v66, -v67
	v_fmac_f32_e32 v65, v64, v66
	v_add_f32_e32 v62, v62, v63
	v_add_f32_e32 v56, v56, v65
	s_andn2_b64 exec, exec, s[8:9]
	s_cbranch_execnz .LBB26_85
; %bb.86:
	s_or_b64 exec, exec, s[8:9]
	v_mov_b32_e32 v59, 0
	ds_read_b64 v[59:60], v59 offset:144
	s_waitcnt lgkmcnt(0)
	v_mul_f32_e32 v61, v56, v60
	v_mul_f32_e32 v60, v62, v60
	v_fma_f32 v61, v62, v59, -v61
	v_fmac_f32_e32 v60, v56, v59
	buffer_store_dword v61, off, s[0:3], 0 offset:144
	buffer_store_dword v60, off, s[0:3], 0 offset:148
.LBB26_87:
	s_or_b64 exec, exec, s[4:5]
	; wave barrier
	buffer_load_dword v59, off, s[0:3], 0 offset:152
	buffer_load_dword v60, off, s[0:3], 0 offset:156
	v_cmp_gt_u32_e32 vcc, 19, v0
	s_waitcnt vmcnt(0)
	ds_write_b64 v58, v[59:60]
	s_waitcnt lgkmcnt(0)
	; wave barrier
	s_and_saveexec_b64 s[4:5], vcc
	s_cbranch_execz .LBB26_91
; %bb.88:
	v_add_u32_e32 v59, -1, v0
	v_add_u32_e32 v60, 0xe0, v57
	v_mov_b32_e32 v61, v57
	v_mov_b32_e32 v56, 0
	s_mov_b64 s[8:9], 0
	v_mov_b32_e32 v62, 0
.LBB26_89:                              ; =>This Inner Loop Header: Depth=1
	buffer_load_dword v65, v61, s[0:3], 0 offen offset:4
	buffer_load_dword v66, v61, s[0:3], 0 offen
	ds_read_b64 v[63:64], v60
	v_add_u32_e32 v59, 1, v59
	v_cmp_lt_u32_e32 vcc, 17, v59
	v_add_u32_e32 v60, 8, v60
	v_add_u32_e32 v61, 8, v61
	s_or_b64 s[8:9], vcc, s[8:9]
	s_waitcnt vmcnt(1) lgkmcnt(0)
	v_mul_f32_e32 v67, v64, v65
	v_mul_f32_e32 v65, v63, v65
	s_waitcnt vmcnt(0)
	v_fma_f32 v63, v63, v66, -v67
	v_fmac_f32_e32 v65, v64, v66
	v_add_f32_e32 v62, v62, v63
	v_add_f32_e32 v56, v56, v65
	s_andn2_b64 exec, exec, s[8:9]
	s_cbranch_execnz .LBB26_89
; %bb.90:
	s_or_b64 exec, exec, s[8:9]
	v_mov_b32_e32 v59, 0
	ds_read_b64 v[59:60], v59 offset:152
	s_waitcnt lgkmcnt(0)
	v_mul_f32_e32 v61, v56, v60
	v_mul_f32_e32 v60, v62, v60
	v_fma_f32 v61, v62, v59, -v61
	v_fmac_f32_e32 v60, v56, v59
	buffer_store_dword v61, off, s[0:3], 0 offset:152
	buffer_store_dword v60, off, s[0:3], 0 offset:156
.LBB26_91:
	s_or_b64 exec, exec, s[4:5]
	; wave barrier
	buffer_load_dword v59, off, s[0:3], 0 offset:160
	buffer_load_dword v60, off, s[0:3], 0 offset:164
	v_cmp_gt_u32_e32 vcc, 20, v0
	s_waitcnt vmcnt(0)
	ds_write_b64 v58, v[59:60]
	s_waitcnt lgkmcnt(0)
	; wave barrier
	s_and_saveexec_b64 s[4:5], vcc
	s_cbranch_execz .LBB26_95
; %bb.92:
	v_add_u32_e32 v59, -1, v0
	v_add_u32_e32 v60, 0xe0, v57
	v_mov_b32_e32 v61, v57
	v_mov_b32_e32 v56, 0
	s_mov_b64 s[8:9], 0
	v_mov_b32_e32 v62, 0
.LBB26_93:                              ; =>This Inner Loop Header: Depth=1
	buffer_load_dword v65, v61, s[0:3], 0 offen offset:4
	buffer_load_dword v66, v61, s[0:3], 0 offen
	ds_read_b64 v[63:64], v60
	v_add_u32_e32 v59, 1, v59
	v_cmp_lt_u32_e32 vcc, 18, v59
	v_add_u32_e32 v60, 8, v60
	v_add_u32_e32 v61, 8, v61
	s_or_b64 s[8:9], vcc, s[8:9]
	s_waitcnt vmcnt(1) lgkmcnt(0)
	v_mul_f32_e32 v67, v64, v65
	v_mul_f32_e32 v65, v63, v65
	s_waitcnt vmcnt(0)
	v_fma_f32 v63, v63, v66, -v67
	v_fmac_f32_e32 v65, v64, v66
	v_add_f32_e32 v62, v62, v63
	v_add_f32_e32 v56, v56, v65
	s_andn2_b64 exec, exec, s[8:9]
	s_cbranch_execnz .LBB26_93
; %bb.94:
	s_or_b64 exec, exec, s[8:9]
	v_mov_b32_e32 v59, 0
	ds_read_b64 v[59:60], v59 offset:160
	s_waitcnt lgkmcnt(0)
	v_mul_f32_e32 v61, v56, v60
	v_mul_f32_e32 v60, v62, v60
	v_fma_f32 v61, v62, v59, -v61
	v_fmac_f32_e32 v60, v56, v59
	buffer_store_dword v61, off, s[0:3], 0 offset:160
	buffer_store_dword v60, off, s[0:3], 0 offset:164
.LBB26_95:
	s_or_b64 exec, exec, s[4:5]
	; wave barrier
	buffer_load_dword v59, off, s[0:3], 0 offset:168
	buffer_load_dword v60, off, s[0:3], 0 offset:172
	v_cmp_gt_u32_e32 vcc, 21, v0
	s_waitcnt vmcnt(0)
	ds_write_b64 v58, v[59:60]
	s_waitcnt lgkmcnt(0)
	; wave barrier
	s_and_saveexec_b64 s[4:5], vcc
	s_cbranch_execz .LBB26_99
; %bb.96:
	v_add_u32_e32 v59, -1, v0
	v_add_u32_e32 v60, 0xe0, v57
	v_mov_b32_e32 v61, v57
	v_mov_b32_e32 v56, 0
	s_mov_b64 s[8:9], 0
	v_mov_b32_e32 v62, 0
.LBB26_97:                              ; =>This Inner Loop Header: Depth=1
	buffer_load_dword v65, v61, s[0:3], 0 offen offset:4
	buffer_load_dword v66, v61, s[0:3], 0 offen
	ds_read_b64 v[63:64], v60
	v_add_u32_e32 v59, 1, v59
	v_cmp_lt_u32_e32 vcc, 19, v59
	v_add_u32_e32 v60, 8, v60
	v_add_u32_e32 v61, 8, v61
	s_or_b64 s[8:9], vcc, s[8:9]
	s_waitcnt vmcnt(1) lgkmcnt(0)
	v_mul_f32_e32 v67, v64, v65
	v_mul_f32_e32 v65, v63, v65
	s_waitcnt vmcnt(0)
	v_fma_f32 v63, v63, v66, -v67
	v_fmac_f32_e32 v65, v64, v66
	v_add_f32_e32 v62, v62, v63
	v_add_f32_e32 v56, v56, v65
	s_andn2_b64 exec, exec, s[8:9]
	s_cbranch_execnz .LBB26_97
; %bb.98:
	s_or_b64 exec, exec, s[8:9]
	v_mov_b32_e32 v59, 0
	ds_read_b64 v[59:60], v59 offset:168
	s_waitcnt lgkmcnt(0)
	v_mul_f32_e32 v61, v56, v60
	v_mul_f32_e32 v60, v62, v60
	v_fma_f32 v61, v62, v59, -v61
	v_fmac_f32_e32 v60, v56, v59
	buffer_store_dword v61, off, s[0:3], 0 offset:168
	buffer_store_dword v60, off, s[0:3], 0 offset:172
.LBB26_99:
	s_or_b64 exec, exec, s[4:5]
	; wave barrier
	buffer_load_dword v59, off, s[0:3], 0 offset:176
	buffer_load_dword v60, off, s[0:3], 0 offset:180
	v_cmp_gt_u32_e32 vcc, 22, v0
	s_waitcnt vmcnt(0)
	ds_write_b64 v58, v[59:60]
	s_waitcnt lgkmcnt(0)
	; wave barrier
	s_and_saveexec_b64 s[4:5], vcc
	s_cbranch_execz .LBB26_103
; %bb.100:
	v_add_u32_e32 v59, -1, v0
	v_add_u32_e32 v60, 0xe0, v57
	v_mov_b32_e32 v61, v57
	v_mov_b32_e32 v56, 0
	s_mov_b64 s[8:9], 0
	v_mov_b32_e32 v62, 0
.LBB26_101:                             ; =>This Inner Loop Header: Depth=1
	buffer_load_dword v65, v61, s[0:3], 0 offen offset:4
	buffer_load_dword v66, v61, s[0:3], 0 offen
	ds_read_b64 v[63:64], v60
	v_add_u32_e32 v59, 1, v59
	v_cmp_lt_u32_e32 vcc, 20, v59
	v_add_u32_e32 v60, 8, v60
	v_add_u32_e32 v61, 8, v61
	s_or_b64 s[8:9], vcc, s[8:9]
	s_waitcnt vmcnt(1) lgkmcnt(0)
	v_mul_f32_e32 v67, v64, v65
	v_mul_f32_e32 v65, v63, v65
	s_waitcnt vmcnt(0)
	v_fma_f32 v63, v63, v66, -v67
	v_fmac_f32_e32 v65, v64, v66
	v_add_f32_e32 v62, v62, v63
	v_add_f32_e32 v56, v56, v65
	s_andn2_b64 exec, exec, s[8:9]
	s_cbranch_execnz .LBB26_101
; %bb.102:
	s_or_b64 exec, exec, s[8:9]
	v_mov_b32_e32 v59, 0
	ds_read_b64 v[59:60], v59 offset:176
	s_waitcnt lgkmcnt(0)
	v_mul_f32_e32 v61, v56, v60
	v_mul_f32_e32 v60, v62, v60
	v_fma_f32 v61, v62, v59, -v61
	v_fmac_f32_e32 v60, v56, v59
	buffer_store_dword v61, off, s[0:3], 0 offset:176
	buffer_store_dword v60, off, s[0:3], 0 offset:180
.LBB26_103:
	s_or_b64 exec, exec, s[4:5]
	; wave barrier
	buffer_load_dword v59, off, s[0:3], 0 offset:184
	buffer_load_dword v60, off, s[0:3], 0 offset:188
	v_cmp_gt_u32_e32 vcc, 23, v0
	s_waitcnt vmcnt(0)
	ds_write_b64 v58, v[59:60]
	s_waitcnt lgkmcnt(0)
	; wave barrier
	s_and_saveexec_b64 s[4:5], vcc
	s_cbranch_execz .LBB26_107
; %bb.104:
	v_add_u32_e32 v59, -1, v0
	v_add_u32_e32 v60, 0xe0, v57
	v_mov_b32_e32 v61, v57
	v_mov_b32_e32 v56, 0
	s_mov_b64 s[8:9], 0
	v_mov_b32_e32 v62, 0
.LBB26_105:                             ; =>This Inner Loop Header: Depth=1
	buffer_load_dword v65, v61, s[0:3], 0 offen offset:4
	buffer_load_dword v66, v61, s[0:3], 0 offen
	ds_read_b64 v[63:64], v60
	v_add_u32_e32 v59, 1, v59
	v_cmp_lt_u32_e32 vcc, 21, v59
	v_add_u32_e32 v60, 8, v60
	v_add_u32_e32 v61, 8, v61
	s_or_b64 s[8:9], vcc, s[8:9]
	s_waitcnt vmcnt(1) lgkmcnt(0)
	v_mul_f32_e32 v67, v64, v65
	v_mul_f32_e32 v65, v63, v65
	s_waitcnt vmcnt(0)
	v_fma_f32 v63, v63, v66, -v67
	v_fmac_f32_e32 v65, v64, v66
	v_add_f32_e32 v62, v62, v63
	v_add_f32_e32 v56, v56, v65
	s_andn2_b64 exec, exec, s[8:9]
	s_cbranch_execnz .LBB26_105
; %bb.106:
	s_or_b64 exec, exec, s[8:9]
	v_mov_b32_e32 v59, 0
	ds_read_b64 v[59:60], v59 offset:184
	s_waitcnt lgkmcnt(0)
	v_mul_f32_e32 v61, v56, v60
	v_mul_f32_e32 v60, v62, v60
	v_fma_f32 v61, v62, v59, -v61
	v_fmac_f32_e32 v60, v56, v59
	buffer_store_dword v61, off, s[0:3], 0 offset:184
	buffer_store_dword v60, off, s[0:3], 0 offset:188
.LBB26_107:
	s_or_b64 exec, exec, s[4:5]
	; wave barrier
	buffer_load_dword v59, off, s[0:3], 0 offset:192
	buffer_load_dword v60, off, s[0:3], 0 offset:196
	v_cmp_gt_u32_e32 vcc, 24, v0
	s_waitcnt vmcnt(0)
	ds_write_b64 v58, v[59:60]
	;; [unrolled: 49-line block ×3, first 2 shown]
	s_waitcnt lgkmcnt(0)
	; wave barrier
	s_and_saveexec_b64 s[4:5], vcc
	s_cbranch_execz .LBB26_115
; %bb.112:
	v_add_u32_e32 v59, -1, v0
	v_add_u32_e32 v60, 0xe0, v57
	v_mov_b32_e32 v61, v57
	v_mov_b32_e32 v56, 0
	s_mov_b64 s[8:9], 0
	v_mov_b32_e32 v62, 0
.LBB26_113:                             ; =>This Inner Loop Header: Depth=1
	buffer_load_dword v65, v61, s[0:3], 0 offen offset:4
	buffer_load_dword v66, v61, s[0:3], 0 offen
	ds_read_b64 v[63:64], v60
	v_add_u32_e32 v59, 1, v59
	v_cmp_lt_u32_e32 vcc, 23, v59
	v_add_u32_e32 v60, 8, v60
	v_add_u32_e32 v61, 8, v61
	s_or_b64 s[8:9], vcc, s[8:9]
	s_waitcnt vmcnt(1) lgkmcnt(0)
	v_mul_f32_e32 v67, v64, v65
	v_mul_f32_e32 v65, v63, v65
	s_waitcnt vmcnt(0)
	v_fma_f32 v63, v63, v66, -v67
	v_fmac_f32_e32 v65, v64, v66
	v_add_f32_e32 v62, v62, v63
	v_add_f32_e32 v56, v56, v65
	s_andn2_b64 exec, exec, s[8:9]
	s_cbranch_execnz .LBB26_113
; %bb.114:
	s_or_b64 exec, exec, s[8:9]
	v_mov_b32_e32 v59, 0
	ds_read_b64 v[59:60], v59 offset:200
	s_waitcnt lgkmcnt(0)
	v_mul_f32_e32 v61, v56, v60
	v_mul_f32_e32 v60, v62, v60
	v_fma_f32 v61, v62, v59, -v61
	v_fmac_f32_e32 v60, v56, v59
	buffer_store_dword v61, off, s[0:3], 0 offset:200
	buffer_store_dword v60, off, s[0:3], 0 offset:204
.LBB26_115:
	s_or_b64 exec, exec, s[4:5]
	; wave barrier
	buffer_load_dword v59, off, s[0:3], 0 offset:208
	buffer_load_dword v60, off, s[0:3], 0 offset:212
	v_cmp_ne_u32_e32 vcc, 26, v0
	s_waitcnt vmcnt(0)
	ds_write_b64 v58, v[59:60]
	s_waitcnt lgkmcnt(0)
	; wave barrier
	s_and_saveexec_b64 s[4:5], vcc
	s_cbranch_execz .LBB26_119
; %bb.116:
	v_add_u32_e32 v58, 0xe0, v57
	v_mov_b32_e32 v56, 0
	s_mov_b64 s[8:9], 0
	v_mov_b32_e32 v59, 0
.LBB26_117:                             ; =>This Inner Loop Header: Depth=1
	buffer_load_dword v62, v57, s[0:3], 0 offen offset:4
	buffer_load_dword v63, v57, s[0:3], 0 offen
	ds_read_b64 v[60:61], v58
	v_add_u32_e32 v55, 1, v55
	v_cmp_lt_u32_e32 vcc, 24, v55
	v_add_u32_e32 v58, 8, v58
	v_add_u32_e32 v57, 8, v57
	s_or_b64 s[8:9], vcc, s[8:9]
	s_waitcnt vmcnt(1) lgkmcnt(0)
	v_mul_f32_e32 v64, v61, v62
	v_mul_f32_e32 v62, v60, v62
	s_waitcnt vmcnt(0)
	v_fma_f32 v60, v60, v63, -v64
	v_fmac_f32_e32 v62, v61, v63
	v_add_f32_e32 v59, v59, v60
	v_add_f32_e32 v56, v56, v62
	s_andn2_b64 exec, exec, s[8:9]
	s_cbranch_execnz .LBB26_117
; %bb.118:
	s_or_b64 exec, exec, s[8:9]
	v_mov_b32_e32 v55, 0
	ds_read_b64 v[57:58], v55 offset:208
	s_waitcnt lgkmcnt(0)
	v_mul_f32_e32 v55, v56, v58
	v_mul_f32_e32 v58, v59, v58
	v_fma_f32 v55, v59, v57, -v55
	v_fmac_f32_e32 v58, v56, v57
	buffer_store_dword v55, off, s[0:3], 0 offset:208
	buffer_store_dword v58, off, s[0:3], 0 offset:212
.LBB26_119:
	s_or_b64 exec, exec, s[4:5]
	s_mov_b64 s[8:9], -1
	; wave barrier
.LBB26_120:
	s_and_b64 vcc, exec, s[8:9]
	s_cbranch_vccz .LBB26_122
; %bb.121:
	s_lshl_b64 s[4:5], s[6:7], 2
	s_add_u32 s4, s10, s4
	s_addc_u32 s5, s11, s5
	v_mov_b32_e32 v55, 0
	global_load_dword v55, v55, s[4:5]
	s_waitcnt vmcnt(0)
	v_cmp_ne_u32_e32 vcc, 0, v55
	s_cbranch_vccz .LBB26_123
.LBB26_122:
	s_endpgm
.LBB26_123:
	v_mov_b32_e32 v55, 0xe0
	v_lshl_add_u32 v55, v0, 3, v55
	v_cmp_eq_u32_e32 vcc, 26, v0
	s_and_saveexec_b64 s[4:5], vcc
	s_cbranch_execz .LBB26_125
; %bb.124:
	buffer_load_dword v56, off, s[0:3], 0 offset:200
	buffer_load_dword v57, off, s[0:3], 0 offset:204
	v_mov_b32_e32 v58, 0
	buffer_store_dword v58, off, s[0:3], 0 offset:200
	buffer_store_dword v58, off, s[0:3], 0 offset:204
	s_waitcnt vmcnt(2)
	ds_write_b64 v55, v[56:57]
.LBB26_125:
	s_or_b64 exec, exec, s[4:5]
	s_waitcnt lgkmcnt(0)
	; wave barrier
	buffer_load_dword v59, off, s[0:3], 0 offset:212
	buffer_load_dword v60, off, s[0:3], 0 offset:208
	;; [unrolled: 1-line block ×4, first 2 shown]
	v_mov_b32_e32 v56, 0
	ds_read_b64 v[57:58], v56 offset:432
	v_cmp_lt_u32_e32 vcc, 24, v0
	s_waitcnt vmcnt(3) lgkmcnt(0)
	v_mul_f32_e32 v63, v57, v59
	v_mul_f32_e32 v59, v58, v59
	s_waitcnt vmcnt(2)
	v_fma_f32 v57, v57, v60, -v59
	v_fmac_f32_e32 v63, v58, v60
	v_add_f32_e32 v57, 0, v57
	v_add_f32_e32 v58, 0, v63
	s_waitcnt vmcnt(1)
	v_sub_f32_e32 v57, v61, v57
	s_waitcnt vmcnt(0)
	v_sub_f32_e32 v58, v62, v58
	buffer_store_dword v57, off, s[0:3], 0 offset:200
	buffer_store_dword v58, off, s[0:3], 0 offset:204
	s_and_saveexec_b64 s[4:5], vcc
	s_cbranch_execz .LBB26_127
; %bb.126:
	buffer_load_dword v57, off, s[0:3], 0 offset:192
	buffer_load_dword v58, off, s[0:3], 0 offset:196
	s_waitcnt vmcnt(0)
	ds_write_b64 v55, v[57:58]
	buffer_store_dword v56, off, s[0:3], 0 offset:192
	buffer_store_dword v56, off, s[0:3], 0 offset:196
.LBB26_127:
	s_or_b64 exec, exec, s[4:5]
	s_waitcnt lgkmcnt(0)
	; wave barrier
	buffer_load_dword v60, off, s[0:3], 0 offset:204
	buffer_load_dword v61, off, s[0:3], 0 offset:212
	;; [unrolled: 1-line block ×6, first 2 shown]
	ds_read2_b64 v[56:59], v56 offset0:53 offset1:54
	v_cmp_lt_u32_e32 vcc, 23, v0
	s_waitcnt vmcnt(5) lgkmcnt(0)
	v_mul_f32_e32 v66, v56, v60
	v_mul_f32_e32 v60, v57, v60
	s_waitcnt vmcnt(4)
	v_mul_f32_e32 v67, v58, v61
	v_mul_f32_e32 v61, v59, v61
	s_waitcnt vmcnt(3)
	v_fma_f32 v56, v56, v62, -v60
	v_fmac_f32_e32 v66, v57, v62
	s_waitcnt vmcnt(2)
	v_fma_f32 v57, v58, v63, -v61
	v_add_f32_e32 v56, 0, v56
	v_fmac_f32_e32 v67, v59, v63
	v_add_f32_e32 v58, 0, v66
	v_add_f32_e32 v56, v56, v57
	;; [unrolled: 1-line block ×3, first 2 shown]
	s_waitcnt vmcnt(1)
	v_sub_f32_e32 v56, v64, v56
	s_waitcnt vmcnt(0)
	v_sub_f32_e32 v57, v65, v58
	buffer_store_dword v56, off, s[0:3], 0 offset:192
	buffer_store_dword v57, off, s[0:3], 0 offset:196
	s_and_saveexec_b64 s[4:5], vcc
	s_cbranch_execz .LBB26_129
; %bb.128:
	buffer_load_dword v56, off, s[0:3], 0 offset:184
	buffer_load_dword v57, off, s[0:3], 0 offset:188
	v_mov_b32_e32 v58, 0
	buffer_store_dword v58, off, s[0:3], 0 offset:184
	buffer_store_dword v58, off, s[0:3], 0 offset:188
	s_waitcnt vmcnt(2)
	ds_write_b64 v55, v[56:57]
.LBB26_129:
	s_or_b64 exec, exec, s[4:5]
	s_waitcnt lgkmcnt(0)
	; wave barrier
	buffer_load_dword v63, off, s[0:3], 0 offset:196
	buffer_load_dword v64, off, s[0:3], 0 offset:204
	;; [unrolled: 1-line block ×8, first 2 shown]
	v_mov_b32_e32 v56, 0
	ds_read_b128 v[57:60], v56 offset:416
	ds_read_b64 v[61:62], v56 offset:432
	v_cmp_lt_u32_e32 vcc, 22, v0
	s_waitcnt vmcnt(7) lgkmcnt(1)
	v_mul_f32_e32 v71, v57, v63
	v_mul_f32_e32 v63, v58, v63
	s_waitcnt vmcnt(6)
	v_mul_f32_e32 v72, v59, v64
	v_mul_f32_e32 v64, v60, v64
	s_waitcnt vmcnt(4)
	v_fma_f32 v57, v57, v66, -v63
	s_waitcnt lgkmcnt(0)
	v_mul_f32_e32 v73, v61, v65
	v_mul_f32_e32 v65, v62, v65
	v_fmac_f32_e32 v71, v58, v66
	s_waitcnt vmcnt(3)
	v_fma_f32 v58, v59, v67, -v64
	v_add_f32_e32 v57, 0, v57
	v_fmac_f32_e32 v72, v60, v67
	s_waitcnt vmcnt(2)
	v_fma_f32 v59, v61, v68, -v65
	v_add_f32_e32 v60, 0, v71
	v_add_f32_e32 v57, v57, v58
	v_fmac_f32_e32 v73, v62, v68
	v_add_f32_e32 v60, v60, v72
	v_add_f32_e32 v57, v57, v59
	;; [unrolled: 1-line block ×3, first 2 shown]
	s_waitcnt vmcnt(1)
	v_sub_f32_e32 v57, v69, v57
	s_waitcnt vmcnt(0)
	v_sub_f32_e32 v58, v70, v58
	buffer_store_dword v57, off, s[0:3], 0 offset:184
	buffer_store_dword v58, off, s[0:3], 0 offset:188
	s_and_saveexec_b64 s[4:5], vcc
	s_cbranch_execz .LBB26_131
; %bb.130:
	buffer_load_dword v57, off, s[0:3], 0 offset:176
	buffer_load_dword v58, off, s[0:3], 0 offset:180
	s_waitcnt vmcnt(0)
	ds_write_b64 v55, v[57:58]
	buffer_store_dword v56, off, s[0:3], 0 offset:176
	buffer_store_dword v56, off, s[0:3], 0 offset:180
.LBB26_131:
	s_or_b64 exec, exec, s[4:5]
	s_waitcnt lgkmcnt(0)
	; wave barrier
	buffer_load_dword v65, off, s[0:3], 0 offset:188
	buffer_load_dword v66, off, s[0:3], 0 offset:196
	buffer_load_dword v67, off, s[0:3], 0 offset:204
	buffer_load_dword v68, off, s[0:3], 0 offset:212
	buffer_load_dword v69, off, s[0:3], 0 offset:184
	buffer_load_dword v70, off, s[0:3], 0 offset:192
	buffer_load_dword v71, off, s[0:3], 0 offset:200
	buffer_load_dword v72, off, s[0:3], 0 offset:208
	buffer_load_dword v73, off, s[0:3], 0 offset:176
	buffer_load_dword v74, off, s[0:3], 0 offset:180
	ds_read2_b64 v[57:60], v56 offset0:51 offset1:52
	ds_read2_b64 v[61:64], v56 offset0:53 offset1:54
	v_cmp_lt_u32_e32 vcc, 21, v0
	s_waitcnt vmcnt(9) lgkmcnt(1)
	v_mul_f32_e32 v56, v57, v65
	v_mul_f32_e32 v65, v58, v65
	s_waitcnt vmcnt(8)
	v_mul_f32_e32 v75, v59, v66
	v_mul_f32_e32 v66, v60, v66
	s_waitcnt vmcnt(5)
	v_fma_f32 v57, v57, v69, -v65
	s_waitcnt lgkmcnt(0)
	v_mul_f32_e32 v76, v61, v67
	v_mul_f32_e32 v67, v62, v67
	v_fmac_f32_e32 v56, v58, v69
	s_waitcnt vmcnt(4)
	v_fma_f32 v58, v59, v70, -v66
	v_add_f32_e32 v57, 0, v57
	v_mul_f32_e32 v77, v63, v68
	v_mul_f32_e32 v68, v64, v68
	v_fmac_f32_e32 v75, v60, v70
	s_waitcnt vmcnt(3)
	v_fma_f32 v59, v61, v71, -v67
	v_add_f32_e32 v56, 0, v56
	v_add_f32_e32 v57, v57, v58
	v_fmac_f32_e32 v76, v62, v71
	s_waitcnt vmcnt(2)
	v_fma_f32 v60, v63, v72, -v68
	v_add_f32_e32 v56, v56, v75
	v_add_f32_e32 v57, v57, v59
	v_fmac_f32_e32 v77, v64, v72
	v_add_f32_e32 v56, v56, v76
	v_add_f32_e32 v57, v57, v60
	;; [unrolled: 1-line block ×3, first 2 shown]
	s_waitcnt vmcnt(1)
	v_sub_f32_e32 v57, v73, v57
	s_waitcnt vmcnt(0)
	v_sub_f32_e32 v56, v74, v56
	buffer_store_dword v57, off, s[0:3], 0 offset:176
	buffer_store_dword v56, off, s[0:3], 0 offset:180
	s_and_saveexec_b64 s[4:5], vcc
	s_cbranch_execz .LBB26_133
; %bb.132:
	buffer_load_dword v56, off, s[0:3], 0 offset:168
	buffer_load_dword v57, off, s[0:3], 0 offset:172
	v_mov_b32_e32 v58, 0
	buffer_store_dword v58, off, s[0:3], 0 offset:168
	buffer_store_dword v58, off, s[0:3], 0 offset:172
	s_waitcnt vmcnt(2)
	ds_write_b64 v55, v[56:57]
.LBB26_133:
	s_or_b64 exec, exec, s[4:5]
	v_mov_b32_e32 v56, 0
	s_waitcnt lgkmcnt(0)
	; wave barrier
	ds_read_b128 v[57:60], v56 offset:400
	ds_read_b128 v[61:64], v56 offset:416
	ds_read_b64 v[65:66], v56 offset:432
	buffer_load_dword v67, off, s[0:3], 0 offset:168
	buffer_load_dword v68, off, s[0:3], 0 offset:172
	;; [unrolled: 1-line block ×12, first 2 shown]
	v_cmp_lt_u32_e32 vcc, 20, v0
	s_waitcnt vmcnt(8) lgkmcnt(2)
	v_mul_f32_e32 v79, v57, v70
	v_fmac_f32_e32 v79, v58, v69
	v_mul_f32_e32 v58, v58, v70
	v_fma_f32 v57, v57, v69, -v58
	s_waitcnt vmcnt(6)
	v_mul_f32_e32 v58, v60, v72
	v_mul_f32_e32 v80, v59, v72
	v_add_f32_e32 v57, 0, v57
	v_fma_f32 v58, v59, v71, -v58
	v_add_f32_e32 v79, 0, v79
	v_fmac_f32_e32 v80, v60, v71
	v_add_f32_e32 v57, v57, v58
	s_waitcnt vmcnt(4) lgkmcnt(1)
	v_mul_f32_e32 v58, v62, v74
	v_add_f32_e32 v79, v79, v80
	v_mul_f32_e32 v80, v61, v74
	v_fma_f32 v58, v61, v73, -v58
	v_fmac_f32_e32 v80, v62, v73
	v_add_f32_e32 v57, v57, v58
	s_waitcnt vmcnt(2)
	v_mul_f32_e32 v58, v64, v76
	v_add_f32_e32 v79, v79, v80
	v_mul_f32_e32 v80, v63, v76
	v_fma_f32 v58, v63, v75, -v58
	v_fmac_f32_e32 v80, v64, v75
	v_add_f32_e32 v57, v57, v58
	s_waitcnt vmcnt(0) lgkmcnt(0)
	v_mul_f32_e32 v58, v66, v78
	v_add_f32_e32 v79, v79, v80
	v_mul_f32_e32 v80, v65, v78
	v_fma_f32 v58, v65, v77, -v58
	v_fmac_f32_e32 v80, v66, v77
	v_add_f32_e32 v57, v57, v58
	v_add_f32_e32 v79, v79, v80
	v_sub_f32_e32 v57, v67, v57
	v_sub_f32_e32 v58, v68, v79
	buffer_store_dword v57, off, s[0:3], 0 offset:168
	buffer_store_dword v58, off, s[0:3], 0 offset:172
	s_and_saveexec_b64 s[4:5], vcc
	s_cbranch_execz .LBB26_135
; %bb.134:
	buffer_load_dword v57, off, s[0:3], 0 offset:160
	buffer_load_dword v58, off, s[0:3], 0 offset:164
	s_waitcnt vmcnt(0)
	ds_write_b64 v55, v[57:58]
	buffer_store_dword v56, off, s[0:3], 0 offset:160
	buffer_store_dword v56, off, s[0:3], 0 offset:164
.LBB26_135:
	s_or_b64 exec, exec, s[4:5]
	s_waitcnt lgkmcnt(0)
	; wave barrier
	buffer_load_dword v69, off, s[0:3], 0 offset:172
	buffer_load_dword v70, off, s[0:3], 0 offset:180
	buffer_load_dword v71, off, s[0:3], 0 offset:188
	buffer_load_dword v72, off, s[0:3], 0 offset:196
	buffer_load_dword v73, off, s[0:3], 0 offset:204
	buffer_load_dword v74, off, s[0:3], 0 offset:212
	buffer_load_dword v75, off, s[0:3], 0 offset:168
	buffer_load_dword v76, off, s[0:3], 0 offset:176
	buffer_load_dword v77, off, s[0:3], 0 offset:184
	buffer_load_dword v78, off, s[0:3], 0 offset:192
	buffer_load_dword v79, off, s[0:3], 0 offset:200
	buffer_load_dword v80, off, s[0:3], 0 offset:208
	buffer_load_dword v81, off, s[0:3], 0 offset:160
	buffer_load_dword v82, off, s[0:3], 0 offset:164
	ds_read2_b64 v[57:60], v56 offset0:49 offset1:50
	ds_read2_b64 v[61:64], v56 offset0:51 offset1:52
	ds_read2_b64 v[65:68], v56 offset0:53 offset1:54
	v_cmp_lt_u32_e32 vcc, 19, v0
	s_waitcnt vmcnt(13) lgkmcnt(2)
	v_mul_f32_e32 v56, v57, v69
	v_mul_f32_e32 v69, v58, v69
	s_waitcnt vmcnt(12)
	v_mul_f32_e32 v83, v59, v70
	v_mul_f32_e32 v70, v60, v70
	s_waitcnt vmcnt(11) lgkmcnt(1)
	v_mul_f32_e32 v84, v61, v71
	v_mul_f32_e32 v71, v62, v71
	s_waitcnt vmcnt(7)
	v_fma_f32 v57, v57, v75, -v69
	v_fmac_f32_e32 v56, v58, v75
	s_waitcnt vmcnt(6)
	v_fma_f32 v58, v59, v76, -v70
	v_add_f32_e32 v57, 0, v57
	v_mul_f32_e32 v85, v63, v72
	v_mul_f32_e32 v72, v64, v72
	v_fmac_f32_e32 v83, v60, v76
	s_waitcnt vmcnt(5)
	v_fma_f32 v59, v61, v77, -v71
	v_add_f32_e32 v56, 0, v56
	v_add_f32_e32 v57, v57, v58
	s_waitcnt lgkmcnt(0)
	v_mul_f32_e32 v86, v65, v73
	v_mul_f32_e32 v73, v66, v73
	v_fmac_f32_e32 v84, v62, v77
	s_waitcnt vmcnt(4)
	v_fma_f32 v60, v63, v78, -v72
	v_add_f32_e32 v56, v56, v83
	v_add_f32_e32 v57, v57, v59
	v_mul_f32_e32 v87, v67, v74
	v_mul_f32_e32 v74, v68, v74
	v_fmac_f32_e32 v85, v64, v78
	s_waitcnt vmcnt(3)
	v_fma_f32 v61, v65, v79, -v73
	v_add_f32_e32 v56, v56, v84
	v_add_f32_e32 v57, v57, v60
	v_fmac_f32_e32 v86, v66, v79
	s_waitcnt vmcnt(2)
	v_fma_f32 v62, v67, v80, -v74
	v_add_f32_e32 v56, v56, v85
	v_add_f32_e32 v57, v57, v61
	v_fmac_f32_e32 v87, v68, v80
	v_add_f32_e32 v56, v56, v86
	v_add_f32_e32 v57, v57, v62
	v_add_f32_e32 v56, v56, v87
	s_waitcnt vmcnt(1)
	v_sub_f32_e32 v57, v81, v57
	s_waitcnt vmcnt(0)
	v_sub_f32_e32 v56, v82, v56
	buffer_store_dword v57, off, s[0:3], 0 offset:160
	buffer_store_dword v56, off, s[0:3], 0 offset:164
	s_and_saveexec_b64 s[4:5], vcc
	s_cbranch_execz .LBB26_137
; %bb.136:
	buffer_load_dword v56, off, s[0:3], 0 offset:152
	buffer_load_dword v57, off, s[0:3], 0 offset:156
	v_mov_b32_e32 v58, 0
	buffer_store_dword v58, off, s[0:3], 0 offset:152
	buffer_store_dword v58, off, s[0:3], 0 offset:156
	s_waitcnt vmcnt(2)
	ds_write_b64 v55, v[56:57]
.LBB26_137:
	s_or_b64 exec, exec, s[4:5]
	s_waitcnt lgkmcnt(0)
	; wave barrier
	buffer_load_dword v71, off, s[0:3], 0 offset:164
	buffer_load_dword v72, off, s[0:3], 0 offset:172
	;; [unrolled: 1-line block ×16, first 2 shown]
	v_mov_b32_e32 v56, 0
	ds_read_b128 v[57:60], v56 offset:384
	ds_read_b128 v[61:64], v56 offset:400
	;; [unrolled: 1-line block ×3, first 2 shown]
	ds_read_b64 v[69:70], v56 offset:432
	v_cmp_lt_u32_e32 vcc, 18, v0
	s_waitcnt vmcnt(15) lgkmcnt(3)
	v_mul_f32_e32 v87, v57, v71
	v_mul_f32_e32 v71, v58, v71
	s_waitcnt vmcnt(14)
	v_mul_f32_e32 v88, v59, v72
	v_mul_f32_e32 v72, v60, v72
	s_waitcnt vmcnt(13) lgkmcnt(2)
	v_mul_f32_e32 v89, v61, v73
	s_waitcnt vmcnt(12)
	v_mul_f32_e32 v90, v63, v74
	v_mul_f32_e32 v73, v62, v73
	s_waitcnt vmcnt(8)
	v_fma_f32 v57, v57, v78, -v71
	v_fmac_f32_e32 v87, v58, v78
	s_waitcnt vmcnt(7)
	v_fma_f32 v58, v59, v79, -v72
	v_add_f32_e32 v57, 0, v57
	v_mul_f32_e32 v74, v64, v74
	v_fmac_f32_e32 v88, v60, v79
	s_waitcnt vmcnt(5)
	v_fmac_f32_e32 v90, v64, v81
	v_fma_f32 v59, v61, v80, -v73
	v_add_f32_e32 v64, 0, v87
	v_add_f32_e32 v57, v57, v58
	s_waitcnt lgkmcnt(1)
	v_mul_f32_e32 v91, v65, v75
	v_mul_f32_e32 v75, v66, v75
	v_fmac_f32_e32 v89, v62, v80
	v_fma_f32 v60, v63, v81, -v74
	v_add_f32_e32 v64, v64, v88
	v_add_f32_e32 v57, v57, v59
	v_mul_f32_e32 v92, v67, v76
	v_mul_f32_e32 v76, v68, v76
	s_waitcnt vmcnt(4)
	v_fma_f32 v61, v65, v82, -v75
	v_add_f32_e32 v58, v64, v89
	v_add_f32_e32 v57, v57, v60
	s_waitcnt lgkmcnt(0)
	v_mul_f32_e32 v93, v69, v77
	v_mul_f32_e32 v77, v70, v77
	v_fmac_f32_e32 v91, v66, v82
	s_waitcnt vmcnt(3)
	v_fma_f32 v62, v67, v83, -v76
	v_add_f32_e32 v58, v58, v90
	v_add_f32_e32 v57, v57, v61
	v_fmac_f32_e32 v92, v68, v83
	s_waitcnt vmcnt(2)
	v_fma_f32 v63, v69, v84, -v77
	v_add_f32_e32 v58, v58, v91
	v_add_f32_e32 v57, v57, v62
	v_fmac_f32_e32 v93, v70, v84
	v_add_f32_e32 v58, v58, v92
	v_add_f32_e32 v57, v57, v63
	;; [unrolled: 1-line block ×3, first 2 shown]
	s_waitcnt vmcnt(1)
	v_sub_f32_e32 v57, v85, v57
	s_waitcnt vmcnt(0)
	v_sub_f32_e32 v58, v86, v58
	buffer_store_dword v57, off, s[0:3], 0 offset:152
	buffer_store_dword v58, off, s[0:3], 0 offset:156
	s_and_saveexec_b64 s[4:5], vcc
	s_cbranch_execz .LBB26_139
; %bb.138:
	buffer_load_dword v57, off, s[0:3], 0 offset:144
	buffer_load_dword v58, off, s[0:3], 0 offset:148
	s_waitcnt vmcnt(0)
	ds_write_b64 v55, v[57:58]
	buffer_store_dword v56, off, s[0:3], 0 offset:144
	buffer_store_dword v56, off, s[0:3], 0 offset:148
.LBB26_139:
	s_or_b64 exec, exec, s[4:5]
	s_waitcnt lgkmcnt(0)
	; wave barrier
	buffer_load_dword v73, off, s[0:3], 0 offset:156
	buffer_load_dword v74, off, s[0:3], 0 offset:164
	;; [unrolled: 1-line block ×18, first 2 shown]
	ds_read2_b64 v[57:60], v56 offset0:47 offset1:48
	ds_read2_b64 v[61:64], v56 offset0:49 offset1:50
	;; [unrolled: 1-line block ×4, first 2 shown]
	v_cmp_lt_u32_e32 vcc, 17, v0
	s_waitcnt vmcnt(17) lgkmcnt(3)
	v_mul_f32_e32 v56, v57, v73
	v_mul_f32_e32 v73, v58, v73
	s_waitcnt vmcnt(16)
	v_mul_f32_e32 v91, v59, v74
	v_mul_f32_e32 v74, v60, v74
	s_waitcnt vmcnt(15) lgkmcnt(2)
	v_mul_f32_e32 v92, v61, v75
	v_mul_f32_e32 v75, v62, v75
	s_waitcnt vmcnt(14)
	v_mul_f32_e32 v93, v63, v76
	v_mul_f32_e32 v76, v64, v76
	s_waitcnt vmcnt(9)
	v_fma_f32 v57, v57, v81, -v73
	v_fmac_f32_e32 v56, v58, v81
	s_waitcnt vmcnt(8)
	v_fma_f32 v58, v59, v82, -v74
	v_add_f32_e32 v57, 0, v57
	v_fmac_f32_e32 v91, v60, v82
	s_waitcnt vmcnt(7)
	v_fma_f32 v59, v61, v83, -v75
	v_add_f32_e32 v56, 0, v56
	v_add_f32_e32 v57, v57, v58
	s_waitcnt lgkmcnt(1)
	v_mul_f32_e32 v94, v65, v77
	v_mul_f32_e32 v77, v66, v77
	v_fmac_f32_e32 v92, v62, v83
	s_waitcnt vmcnt(6)
	v_fma_f32 v60, v63, v84, -v76
	v_add_f32_e32 v56, v56, v91
	v_add_f32_e32 v57, v57, v59
	v_mul_f32_e32 v95, v67, v78
	v_mul_f32_e32 v78, v68, v78
	v_fmac_f32_e32 v93, v64, v84
	s_waitcnt vmcnt(5)
	v_fma_f32 v61, v65, v85, -v77
	v_add_f32_e32 v56, v56, v92
	v_add_f32_e32 v57, v57, v60
	s_waitcnt lgkmcnt(0)
	v_mul_f32_e32 v96, v69, v79
	v_mul_f32_e32 v79, v70, v79
	v_fmac_f32_e32 v94, v66, v85
	s_waitcnt vmcnt(4)
	v_fma_f32 v62, v67, v86, -v78
	v_add_f32_e32 v56, v56, v93
	v_add_f32_e32 v57, v57, v61
	v_mul_f32_e32 v97, v71, v80
	v_mul_f32_e32 v80, v72, v80
	v_fmac_f32_e32 v95, v68, v86
	s_waitcnt vmcnt(3)
	v_fma_f32 v63, v69, v87, -v79
	v_add_f32_e32 v56, v56, v94
	v_add_f32_e32 v57, v57, v62
	v_fmac_f32_e32 v96, v70, v87
	s_waitcnt vmcnt(2)
	v_fma_f32 v64, v71, v88, -v80
	v_add_f32_e32 v56, v56, v95
	v_add_f32_e32 v57, v57, v63
	v_fmac_f32_e32 v97, v72, v88
	v_add_f32_e32 v56, v56, v96
	v_add_f32_e32 v57, v57, v64
	;; [unrolled: 1-line block ×3, first 2 shown]
	s_waitcnt vmcnt(1)
	v_sub_f32_e32 v57, v89, v57
	s_waitcnt vmcnt(0)
	v_sub_f32_e32 v56, v90, v56
	buffer_store_dword v57, off, s[0:3], 0 offset:144
	buffer_store_dword v56, off, s[0:3], 0 offset:148
	s_and_saveexec_b64 s[4:5], vcc
	s_cbranch_execz .LBB26_141
; %bb.140:
	buffer_load_dword v56, off, s[0:3], 0 offset:136
	buffer_load_dword v57, off, s[0:3], 0 offset:140
	v_mov_b32_e32 v58, 0
	buffer_store_dword v58, off, s[0:3], 0 offset:136
	buffer_store_dword v58, off, s[0:3], 0 offset:140
	s_waitcnt vmcnt(2)
	ds_write_b64 v55, v[56:57]
.LBB26_141:
	s_or_b64 exec, exec, s[4:5]
	s_waitcnt lgkmcnt(0)
	; wave barrier
	buffer_load_dword v75, off, s[0:3], 0 offset:148
	buffer_load_dword v76, off, s[0:3], 0 offset:156
	;; [unrolled: 1-line block ×20, first 2 shown]
	v_mov_b32_e32 v56, 0
	ds_read_b128 v[57:60], v56 offset:368
	ds_read_b128 v[61:64], v56 offset:384
	;; [unrolled: 1-line block ×4, first 2 shown]
	ds_read_b64 v[73:74], v56 offset:432
	v_cmp_lt_u32_e32 vcc, 16, v0
	s_waitcnt vmcnt(19) lgkmcnt(4)
	v_mul_f32_e32 v95, v57, v75
	v_mul_f32_e32 v75, v58, v75
	s_waitcnt vmcnt(18)
	v_mul_f32_e32 v96, v59, v76
	v_mul_f32_e32 v76, v60, v76
	s_waitcnt vmcnt(17) lgkmcnt(3)
	v_mul_f32_e32 v97, v61, v77
	s_waitcnt vmcnt(15) lgkmcnt(2)
	v_mul_f32_e32 v99, v65, v79
	v_mul_f32_e32 v77, v62, v77
	;; [unrolled: 1-line block ×4, first 2 shown]
	s_waitcnt vmcnt(10)
	v_fma_f32 v57, v57, v84, -v75
	v_fmac_f32_e32 v95, v58, v84
	s_waitcnt vmcnt(9)
	v_fma_f32 v58, v59, v85, -v76
	v_add_f32_e32 v57, 0, v57
	v_mul_f32_e32 v79, v66, v79
	v_fmac_f32_e32 v96, v60, v85
	s_waitcnt vmcnt(6)
	v_fmac_f32_e32 v99, v66, v88
	v_fma_f32 v59, v61, v86, -v77
	v_add_f32_e32 v66, 0, v95
	v_add_f32_e32 v57, v57, v58
	v_fmac_f32_e32 v97, v62, v86
	v_fma_f32 v60, v63, v87, -v78
	v_add_f32_e32 v66, v66, v96
	v_add_f32_e32 v57, v57, v59
	v_mul_f32_e32 v100, v67, v80
	v_mul_f32_e32 v80, v68, v80
	v_fmac_f32_e32 v98, v64, v87
	v_fma_f32 v61, v65, v88, -v79
	v_add_f32_e32 v58, v66, v97
	v_add_f32_e32 v57, v57, v60
	s_waitcnt lgkmcnt(1)
	v_mul_f32_e32 v101, v69, v81
	v_mul_f32_e32 v81, v70, v81
	s_waitcnt vmcnt(5)
	v_fma_f32 v62, v67, v89, -v80
	v_add_f32_e32 v58, v58, v98
	v_add_f32_e32 v57, v57, v61
	v_mul_f32_e32 v102, v71, v82
	v_mul_f32_e32 v82, v72, v82
	v_fmac_f32_e32 v100, v68, v89
	s_waitcnt vmcnt(4)
	v_fma_f32 v63, v69, v90, -v81
	v_add_f32_e32 v58, v58, v99
	v_add_f32_e32 v57, v57, v62
	s_waitcnt lgkmcnt(0)
	v_mul_f32_e32 v103, v73, v83
	v_mul_f32_e32 v83, v74, v83
	v_fmac_f32_e32 v101, v70, v90
	s_waitcnt vmcnt(3)
	v_fma_f32 v64, v71, v91, -v82
	v_add_f32_e32 v58, v58, v100
	v_add_f32_e32 v57, v57, v63
	v_fmac_f32_e32 v102, v72, v91
	s_waitcnt vmcnt(2)
	v_fma_f32 v65, v73, v92, -v83
	v_add_f32_e32 v58, v58, v101
	v_add_f32_e32 v57, v57, v64
	v_fmac_f32_e32 v103, v74, v92
	v_add_f32_e32 v58, v58, v102
	v_add_f32_e32 v57, v57, v65
	;; [unrolled: 1-line block ×3, first 2 shown]
	s_waitcnt vmcnt(1)
	v_sub_f32_e32 v57, v93, v57
	s_waitcnt vmcnt(0)
	v_sub_f32_e32 v58, v94, v58
	buffer_store_dword v57, off, s[0:3], 0 offset:136
	buffer_store_dword v58, off, s[0:3], 0 offset:140
	s_and_saveexec_b64 s[4:5], vcc
	s_cbranch_execz .LBB26_143
; %bb.142:
	buffer_load_dword v57, off, s[0:3], 0 offset:128
	buffer_load_dword v58, off, s[0:3], 0 offset:132
	s_waitcnt vmcnt(0)
	ds_write_b64 v55, v[57:58]
	buffer_store_dword v56, off, s[0:3], 0 offset:128
	buffer_store_dword v56, off, s[0:3], 0 offset:132
.LBB26_143:
	s_or_b64 exec, exec, s[4:5]
	s_waitcnt lgkmcnt(0)
	; wave barrier
	buffer_load_dword v77, off, s[0:3], 0 offset:140
	buffer_load_dword v78, off, s[0:3], 0 offset:148
	;; [unrolled: 1-line block ×22, first 2 shown]
	ds_read2_b64 v[57:60], v56 offset0:45 offset1:46
	ds_read2_b64 v[61:64], v56 offset0:47 offset1:48
	;; [unrolled: 1-line block ×5, first 2 shown]
	v_cmp_lt_u32_e32 vcc, 15, v0
	s_waitcnt vmcnt(21) lgkmcnt(4)
	v_mul_f32_e32 v56, v57, v77
	v_mul_f32_e32 v77, v58, v77
	s_waitcnt vmcnt(20)
	v_mul_f32_e32 v99, v59, v78
	v_mul_f32_e32 v78, v60, v78
	s_waitcnt vmcnt(19) lgkmcnt(3)
	v_mul_f32_e32 v100, v61, v79
	v_mul_f32_e32 v79, v62, v79
	s_waitcnt vmcnt(18)
	v_mul_f32_e32 v101, v63, v80
	v_mul_f32_e32 v80, v64, v80
	s_waitcnt vmcnt(17) lgkmcnt(2)
	v_mul_f32_e32 v102, v65, v81
	v_mul_f32_e32 v81, v66, v81
	s_waitcnt vmcnt(11)
	v_fma_f32 v57, v57, v87, -v77
	v_fmac_f32_e32 v56, v58, v87
	s_waitcnt vmcnt(10)
	v_fma_f32 v58, v59, v88, -v78
	v_add_f32_e32 v57, 0, v57
	v_fmac_f32_e32 v99, v60, v88
	s_waitcnt vmcnt(9)
	v_fma_f32 v59, v61, v89, -v79
	v_add_f32_e32 v56, 0, v56
	v_add_f32_e32 v57, v57, v58
	v_fmac_f32_e32 v100, v62, v89
	s_waitcnt vmcnt(8)
	v_fma_f32 v60, v63, v90, -v80
	v_add_f32_e32 v56, v56, v99
	v_add_f32_e32 v57, v57, v59
	v_mul_f32_e32 v103, v67, v82
	v_mul_f32_e32 v82, v68, v82
	v_fmac_f32_e32 v101, v64, v90
	s_waitcnt vmcnt(7)
	v_fma_f32 v61, v65, v91, -v81
	v_add_f32_e32 v56, v56, v100
	v_add_f32_e32 v57, v57, v60
	s_waitcnt lgkmcnt(1)
	v_mul_f32_e32 v104, v69, v83
	v_mul_f32_e32 v83, v70, v83
	v_fmac_f32_e32 v102, v66, v91
	s_waitcnt vmcnt(6)
	v_fma_f32 v62, v67, v92, -v82
	v_add_f32_e32 v56, v56, v101
	v_add_f32_e32 v57, v57, v61
	v_mul_f32_e32 v105, v71, v84
	v_mul_f32_e32 v84, v72, v84
	v_fmac_f32_e32 v103, v68, v92
	s_waitcnt vmcnt(5)
	v_fma_f32 v63, v69, v93, -v83
	v_add_f32_e32 v56, v56, v102
	v_add_f32_e32 v57, v57, v62
	s_waitcnt lgkmcnt(0)
	v_mul_f32_e32 v106, v73, v85
	v_mul_f32_e32 v85, v74, v85
	v_fmac_f32_e32 v104, v70, v93
	s_waitcnt vmcnt(4)
	v_fma_f32 v64, v71, v94, -v84
	v_add_f32_e32 v56, v56, v103
	v_add_f32_e32 v57, v57, v63
	v_mul_f32_e32 v107, v75, v86
	v_mul_f32_e32 v86, v76, v86
	v_fmac_f32_e32 v105, v72, v94
	s_waitcnt vmcnt(3)
	v_fma_f32 v65, v73, v95, -v85
	v_add_f32_e32 v56, v56, v104
	v_add_f32_e32 v57, v57, v64
	v_fmac_f32_e32 v106, v74, v95
	s_waitcnt vmcnt(2)
	v_fma_f32 v66, v75, v96, -v86
	v_add_f32_e32 v56, v56, v105
	v_add_f32_e32 v57, v57, v65
	v_fmac_f32_e32 v107, v76, v96
	v_add_f32_e32 v56, v56, v106
	v_add_f32_e32 v57, v57, v66
	;; [unrolled: 1-line block ×3, first 2 shown]
	s_waitcnt vmcnt(1)
	v_sub_f32_e32 v57, v97, v57
	s_waitcnt vmcnt(0)
	v_sub_f32_e32 v56, v98, v56
	buffer_store_dword v57, off, s[0:3], 0 offset:128
	buffer_store_dword v56, off, s[0:3], 0 offset:132
	s_and_saveexec_b64 s[4:5], vcc
	s_cbranch_execz .LBB26_145
; %bb.144:
	buffer_load_dword v56, off, s[0:3], 0 offset:120
	buffer_load_dword v57, off, s[0:3], 0 offset:124
	v_mov_b32_e32 v58, 0
	buffer_store_dword v58, off, s[0:3], 0 offset:120
	buffer_store_dword v58, off, s[0:3], 0 offset:124
	s_waitcnt vmcnt(2)
	ds_write_b64 v55, v[56:57]
.LBB26_145:
	s_or_b64 exec, exec, s[4:5]
	s_waitcnt lgkmcnt(0)
	; wave barrier
	buffer_load_dword v79, off, s[0:3], 0 offset:132
	buffer_load_dword v80, off, s[0:3], 0 offset:140
	;; [unrolled: 1-line block ×24, first 2 shown]
	v_mov_b32_e32 v56, 0
	ds_read_b128 v[57:60], v56 offset:352
	ds_read_b128 v[61:64], v56 offset:368
	;; [unrolled: 1-line block ×5, first 2 shown]
	ds_read_b64 v[77:78], v56 offset:432
	v_cmp_lt_u32_e32 vcc, 14, v0
	s_waitcnt vmcnt(23) lgkmcnt(5)
	v_mul_f32_e32 v103, v57, v79
	v_mul_f32_e32 v79, v58, v79
	s_waitcnt vmcnt(22)
	v_mul_f32_e32 v104, v59, v80
	v_mul_f32_e32 v80, v60, v80
	s_waitcnt vmcnt(21) lgkmcnt(4)
	v_mul_f32_e32 v105, v61, v81
	v_mul_f32_e32 v81, v62, v81
	s_waitcnt vmcnt(20)
	v_mul_f32_e32 v106, v63, v82
	s_waitcnt vmcnt(19) lgkmcnt(3)
	v_mul_f32_e32 v107, v65, v83
	v_mul_f32_e32 v82, v64, v82
	;; [unrolled: 1-line block ×3, first 2 shown]
	s_waitcnt vmcnt(18)
	v_mul_f32_e32 v108, v67, v84
	s_waitcnt vmcnt(12)
	v_fma_f32 v57, v57, v90, -v79
	v_fmac_f32_e32 v103, v58, v90
	s_waitcnt vmcnt(11)
	v_fma_f32 v58, v59, v91, -v80
	v_add_f32_e32 v57, 0, v57
	s_waitcnt vmcnt(10)
	v_fma_f32 v59, v61, v92, -v81
	v_add_f32_e32 v57, v57, v58
	v_fmac_f32_e32 v104, v60, v91
	s_waitcnt vmcnt(8)
	v_fmac_f32_e32 v107, v66, v94
	v_fma_f32 v60, v63, v93, -v82
	v_add_f32_e32 v66, 0, v103
	v_add_f32_e32 v57, v57, v59
	v_mul_f32_e32 v84, v68, v84
	v_fmac_f32_e32 v105, v62, v92
	v_fma_f32 v61, v65, v94, -v83
	v_add_f32_e32 v66, v66, v104
	v_add_f32_e32 v57, v57, v60
	s_waitcnt lgkmcnt(2)
	v_mul_f32_e32 v109, v69, v85
	v_mul_f32_e32 v85, v70, v85
	v_fmac_f32_e32 v106, v64, v93
	s_waitcnt vmcnt(7)
	v_fma_f32 v62, v67, v95, -v84
	v_add_f32_e32 v58, v66, v105
	v_add_f32_e32 v57, v57, v61
	v_mul_f32_e32 v110, v71, v86
	v_mul_f32_e32 v86, v72, v86
	s_waitcnt vmcnt(6)
	v_fma_f32 v63, v69, v96, -v85
	v_add_f32_e32 v58, v58, v106
	v_add_f32_e32 v57, v57, v62
	s_waitcnt lgkmcnt(1)
	v_mul_f32_e32 v111, v73, v87
	v_mul_f32_e32 v87, v74, v87
	v_fmac_f32_e32 v108, v68, v95
	s_waitcnt vmcnt(5)
	v_fma_f32 v64, v71, v97, -v86
	v_add_f32_e32 v58, v58, v107
	v_add_f32_e32 v57, v57, v63
	v_fmac_f32_e32 v109, v70, v96
	s_waitcnt vmcnt(4)
	v_fma_f32 v65, v73, v98, -v87
	v_add_f32_e32 v58, v58, v108
	v_add_f32_e32 v57, v57, v64
	v_mul_f32_e32 v59, v76, v88
	v_fmac_f32_e32 v110, v72, v97
	v_add_f32_e32 v58, v58, v109
	v_add_f32_e32 v57, v57, v65
	s_waitcnt vmcnt(3)
	v_fma_f32 v59, v75, v99, -v59
	v_mul_f32_e32 v112, v75, v88
	v_fmac_f32_e32 v111, v74, v98
	v_add_f32_e32 v58, v58, v110
	v_add_f32_e32 v57, v57, v59
	s_waitcnt lgkmcnt(0)
	v_mul_f32_e32 v59, v78, v89
	v_mul_f32_e32 v113, v77, v89
	v_fmac_f32_e32 v112, v76, v99
	v_add_f32_e32 v58, v58, v111
	s_waitcnt vmcnt(2)
	v_fma_f32 v59, v77, v100, -v59
	v_fmac_f32_e32 v113, v78, v100
	v_add_f32_e32 v58, v58, v112
	v_add_f32_e32 v57, v57, v59
	v_add_f32_e32 v58, v58, v113
	s_waitcnt vmcnt(1)
	v_sub_f32_e32 v57, v101, v57
	s_waitcnt vmcnt(0)
	v_sub_f32_e32 v58, v102, v58
	buffer_store_dword v57, off, s[0:3], 0 offset:120
	buffer_store_dword v58, off, s[0:3], 0 offset:124
	s_and_saveexec_b64 s[4:5], vcc
	s_cbranch_execz .LBB26_147
; %bb.146:
	buffer_load_dword v57, off, s[0:3], 0 offset:112
	buffer_load_dword v58, off, s[0:3], 0 offset:116
	s_waitcnt vmcnt(0)
	ds_write_b64 v55, v[57:58]
	buffer_store_dword v56, off, s[0:3], 0 offset:112
	buffer_store_dword v56, off, s[0:3], 0 offset:116
.LBB26_147:
	s_or_b64 exec, exec, s[4:5]
	s_waitcnt lgkmcnt(0)
	; wave barrier
	buffer_load_dword v81, off, s[0:3], 0 offset:124
	buffer_load_dword v82, off, s[0:3], 0 offset:132
	;; [unrolled: 1-line block ×26, first 2 shown]
	ds_read2_b64 v[57:60], v56 offset0:43 offset1:44
	ds_read2_b64 v[61:64], v56 offset0:45 offset1:46
	;; [unrolled: 1-line block ×6, first 2 shown]
	v_cmp_lt_u32_e32 vcc, 13, v0
	s_waitcnt vmcnt(25) lgkmcnt(5)
	v_mul_f32_e32 v56, v57, v81
	v_mul_f32_e32 v81, v58, v81
	s_waitcnt vmcnt(24)
	v_mul_f32_e32 v107, v59, v82
	v_mul_f32_e32 v82, v60, v82
	s_waitcnt vmcnt(23) lgkmcnt(4)
	v_mul_f32_e32 v108, v61, v83
	v_mul_f32_e32 v83, v62, v83
	s_waitcnt vmcnt(22)
	v_mul_f32_e32 v109, v63, v84
	v_mul_f32_e32 v84, v64, v84
	;; [unrolled: 6-line block ×3, first 2 shown]
	s_waitcnt vmcnt(13)
	v_fma_f32 v57, v57, v93, -v81
	v_fmac_f32_e32 v56, v58, v93
	s_waitcnt vmcnt(12)
	v_fma_f32 v58, v59, v94, -v82
	v_add_f32_e32 v57, 0, v57
	s_waitcnt vmcnt(11)
	v_fma_f32 v59, v61, v95, -v83
	v_add_f32_e32 v57, v57, v58
	v_fmac_f32_e32 v107, v60, v94
	s_waitcnt vmcnt(10)
	v_fma_f32 v60, v63, v96, -v84
	v_add_f32_e32 v57, v57, v59
	s_waitcnt vmcnt(9)
	v_fma_f32 v61, v65, v97, -v85
	v_add_f32_e32 v57, v57, v60
	s_waitcnt lgkmcnt(2)
	v_mul_f32_e32 v112, v69, v87
	v_mul_f32_e32 v87, v70, v87
	v_fmac_f32_e32 v108, v62, v95
	s_waitcnt vmcnt(8)
	v_fma_f32 v62, v67, v98, -v86
	v_add_f32_e32 v56, 0, v56
	v_add_f32_e32 v57, v57, v61
	v_mul_f32_e32 v113, v71, v88
	v_mul_f32_e32 v88, v72, v88
	s_waitcnt vmcnt(7)
	v_fma_f32 v63, v69, v99, -v87
	v_add_f32_e32 v56, v56, v107
	v_add_f32_e32 v57, v57, v62
	v_fmac_f32_e32 v109, v64, v96
	s_waitcnt vmcnt(6)
	v_fma_f32 v64, v71, v100, -v88
	v_add_f32_e32 v56, v56, v108
	v_add_f32_e32 v57, v57, v63
	s_waitcnt lgkmcnt(1)
	v_mul_f32_e32 v58, v74, v89
	v_fmac_f32_e32 v110, v66, v97
	v_add_f32_e32 v56, v56, v109
	v_add_f32_e32 v57, v57, v64
	s_waitcnt vmcnt(5)
	v_fma_f32 v58, v73, v101, -v58
	v_fmac_f32_e32 v111, v68, v98
	v_add_f32_e32 v56, v56, v110
	v_add_f32_e32 v57, v57, v58
	v_mul_f32_e32 v58, v76, v90
	v_fmac_f32_e32 v112, v70, v99
	v_add_f32_e32 v56, v56, v111
	s_waitcnt vmcnt(4)
	v_fma_f32 v58, v75, v102, -v58
	v_mul_f32_e32 v114, v73, v89
	v_fmac_f32_e32 v113, v72, v100
	v_add_f32_e32 v56, v56, v112
	v_add_f32_e32 v57, v57, v58
	s_waitcnt lgkmcnt(0)
	v_mul_f32_e32 v58, v78, v91
	v_mul_f32_e32 v115, v75, v90
	v_fmac_f32_e32 v114, v74, v101
	v_add_f32_e32 v56, v56, v113
	s_waitcnt vmcnt(3)
	v_fma_f32 v58, v77, v103, -v58
	v_mul_f32_e32 v116, v77, v91
	v_fmac_f32_e32 v115, v76, v102
	v_add_f32_e32 v56, v56, v114
	v_add_f32_e32 v57, v57, v58
	v_mul_f32_e32 v58, v80, v92
	v_mul_f32_e32 v117, v79, v92
	v_fmac_f32_e32 v116, v78, v103
	v_add_f32_e32 v56, v56, v115
	s_waitcnt vmcnt(2)
	v_fma_f32 v58, v79, v104, -v58
	v_fmac_f32_e32 v117, v80, v104
	v_add_f32_e32 v56, v56, v116
	v_add_f32_e32 v57, v57, v58
	;; [unrolled: 1-line block ×3, first 2 shown]
	s_waitcnt vmcnt(1)
	v_sub_f32_e32 v57, v105, v57
	s_waitcnt vmcnt(0)
	v_sub_f32_e32 v56, v106, v56
	buffer_store_dword v57, off, s[0:3], 0 offset:112
	buffer_store_dword v56, off, s[0:3], 0 offset:116
	s_and_saveexec_b64 s[4:5], vcc
	s_cbranch_execz .LBB26_149
; %bb.148:
	buffer_load_dword v56, off, s[0:3], 0 offset:104
	buffer_load_dword v57, off, s[0:3], 0 offset:108
	v_mov_b32_e32 v58, 0
	buffer_store_dword v58, off, s[0:3], 0 offset:104
	buffer_store_dword v58, off, s[0:3], 0 offset:108
	s_waitcnt vmcnt(2)
	ds_write_b64 v55, v[56:57]
.LBB26_149:
	s_or_b64 exec, exec, s[4:5]
	s_waitcnt lgkmcnt(0)
	; wave barrier
	buffer_load_dword v83, off, s[0:3], 0 offset:116
	buffer_load_dword v84, off, s[0:3], 0 offset:124
	;; [unrolled: 1-line block ×28, first 2 shown]
	v_mov_b32_e32 v56, 0
	ds_read_b128 v[57:60], v56 offset:336
	ds_read_b128 v[61:64], v56 offset:352
	;; [unrolled: 1-line block ×6, first 2 shown]
	ds_read_b64 v[81:82], v56 offset:432
	v_cmp_lt_u32_e32 vcc, 12, v0
	s_waitcnt vmcnt(27) lgkmcnt(6)
	v_mul_f32_e32 v111, v57, v83
	v_mul_f32_e32 v83, v58, v83
	s_waitcnt vmcnt(26)
	v_mul_f32_e32 v112, v59, v84
	v_mul_f32_e32 v84, v60, v84
	s_waitcnt vmcnt(25) lgkmcnt(5)
	v_mul_f32_e32 v113, v61, v85
	v_mul_f32_e32 v85, v62, v85
	s_waitcnt vmcnt(24)
	v_mul_f32_e32 v114, v63, v86
	v_mul_f32_e32 v86, v64, v86
	;; [unrolled: 6-line block ×3, first 2 shown]
	s_waitcnt vmcnt(21) lgkmcnt(3)
	v_mul_f32_e32 v117, v69, v89
	s_waitcnt vmcnt(14)
	v_fma_f32 v57, v57, v96, -v83
	v_fmac_f32_e32 v111, v58, v96
	s_waitcnt vmcnt(13)
	v_fma_f32 v58, v59, v97, -v84
	v_add_f32_e32 v57, 0, v57
	s_waitcnt vmcnt(12)
	v_fma_f32 v59, v61, v98, -v85
	v_add_f32_e32 v57, v57, v58
	v_fmac_f32_e32 v112, v60, v97
	s_waitcnt vmcnt(11)
	v_fma_f32 v60, v63, v99, -v86
	v_add_f32_e32 v57, v57, v59
	s_waitcnt vmcnt(10)
	v_fma_f32 v61, v65, v100, -v87
	v_add_f32_e32 v57, v57, v60
	v_fmac_f32_e32 v113, v62, v98
	s_waitcnt vmcnt(9)
	v_fma_f32 v62, v67, v101, -v88
	v_add_f32_e32 v57, v57, v61
	v_mul_f32_e32 v59, v70, v89
	v_add_f32_e32 v57, v57, v62
	s_waitcnt vmcnt(8)
	v_fma_f32 v59, v69, v102, -v59
	v_add_f32_e32 v57, v57, v59
	v_mul_f32_e32 v59, v72, v90
	v_add_f32_e32 v63, 0, v111
	s_waitcnt vmcnt(7)
	v_fma_f32 v59, v71, v103, -v59
	v_add_f32_e32 v63, v63, v112
	v_add_f32_e32 v57, v57, v59
	s_waitcnt lgkmcnt(2)
	v_mul_f32_e32 v59, v74, v91
	v_fmac_f32_e32 v114, v64, v99
	v_add_f32_e32 v58, v63, v113
	s_waitcnt vmcnt(6)
	v_fma_f32 v59, v73, v104, -v59
	v_fmac_f32_e32 v115, v66, v100
	v_add_f32_e32 v58, v58, v114
	v_add_f32_e32 v57, v57, v59
	v_mul_f32_e32 v59, v76, v92
	v_fmac_f32_e32 v116, v68, v101
	v_add_f32_e32 v58, v58, v115
	s_waitcnt vmcnt(5)
	v_fma_f32 v59, v75, v105, -v59
	v_mul_f32_e32 v118, v71, v90
	v_fmac_f32_e32 v117, v70, v102
	v_add_f32_e32 v58, v58, v116
	v_add_f32_e32 v57, v57, v59
	s_waitcnt lgkmcnt(1)
	v_mul_f32_e32 v59, v78, v93
	v_mul_f32_e32 v119, v73, v91
	v_fmac_f32_e32 v118, v72, v103
	v_add_f32_e32 v58, v58, v117
	s_waitcnt vmcnt(4)
	v_fma_f32 v59, v77, v106, -v59
	v_mul_f32_e32 v120, v75, v92
	v_fmac_f32_e32 v119, v74, v104
	v_add_f32_e32 v58, v58, v118
	v_add_f32_e32 v57, v57, v59
	v_mul_f32_e32 v59, v80, v94
	v_mul_f32_e32 v121, v77, v93
	v_fmac_f32_e32 v120, v76, v105
	v_add_f32_e32 v58, v58, v119
	s_waitcnt vmcnt(3)
	v_fma_f32 v59, v79, v107, -v59
	v_mul_f32_e32 v122, v79, v94
	v_fmac_f32_e32 v121, v78, v106
	v_add_f32_e32 v58, v58, v120
	v_add_f32_e32 v57, v57, v59
	s_waitcnt lgkmcnt(0)
	v_mul_f32_e32 v59, v82, v95
	v_mul_f32_e32 v123, v81, v95
	v_fmac_f32_e32 v122, v80, v107
	v_add_f32_e32 v58, v58, v121
	s_waitcnt vmcnt(2)
	v_fma_f32 v59, v81, v108, -v59
	v_fmac_f32_e32 v123, v82, v108
	v_add_f32_e32 v58, v58, v122
	v_add_f32_e32 v57, v57, v59
	;; [unrolled: 1-line block ×3, first 2 shown]
	s_waitcnt vmcnt(1)
	v_sub_f32_e32 v57, v109, v57
	s_waitcnt vmcnt(0)
	v_sub_f32_e32 v58, v110, v58
	buffer_store_dword v57, off, s[0:3], 0 offset:104
	buffer_store_dword v58, off, s[0:3], 0 offset:108
	s_and_saveexec_b64 s[4:5], vcc
	s_cbranch_execz .LBB26_151
; %bb.150:
	buffer_load_dword v57, off, s[0:3], 0 offset:96
	buffer_load_dword v58, off, s[0:3], 0 offset:100
	s_waitcnt vmcnt(0)
	ds_write_b64 v55, v[57:58]
	buffer_store_dword v56, off, s[0:3], 0 offset:96
	buffer_store_dword v56, off, s[0:3], 0 offset:100
.LBB26_151:
	s_or_b64 exec, exec, s[4:5]
	s_waitcnt lgkmcnt(0)
	; wave barrier
	ds_read2_b64 v[57:60], v56 offset0:41 offset1:42
	buffer_load_dword v85, off, s[0:3], 0 offset:96
	buffer_load_dword v86, off, s[0:3], 0 offset:100
	;; [unrolled: 1-line block ×16, first 2 shown]
	v_cmp_lt_u32_e32 vcc, 11, v0
	s_waitcnt vmcnt(12) lgkmcnt(0)
	v_mul_f32_e32 v61, v57, v88
	v_fmac_f32_e32 v61, v58, v87
	s_waitcnt vmcnt(10)
	v_mul_f32_e32 v62, v59, v90
	v_add_f32_e32 v61, 0, v61
	v_fmac_f32_e32 v62, v60, v89
	v_add_f32_e32 v65, v61, v62
	ds_read2_b64 v[61:64], v56 offset0:43 offset1:44
	v_mul_f32_e32 v58, v58, v88
	v_fma_f32 v57, v57, v87, -v58
	v_mul_f32_e32 v58, v60, v90
	v_add_f32_e32 v57, 0, v57
	s_waitcnt vmcnt(8) lgkmcnt(0)
	v_mul_f32_e32 v66, v61, v92
	v_fmac_f32_e32 v66, v62, v91
	v_add_f32_e32 v65, v65, v66
	s_waitcnt vmcnt(6)
	v_mul_f32_e32 v66, v63, v94
	v_fmac_f32_e32 v66, v64, v93
	v_add_f32_e32 v69, v65, v66
	ds_read2_b64 v[65:68], v56 offset0:45 offset1:46
	v_fma_f32 v58, v59, v89, -v58
	v_add_f32_e32 v57, v57, v58
	v_mul_f32_e32 v58, v62, v92
	v_fma_f32 v58, v61, v91, -v58
	s_waitcnt vmcnt(4) lgkmcnt(0)
	v_mul_f32_e32 v70, v65, v96
	v_fmac_f32_e32 v70, v66, v95
	v_add_f32_e32 v69, v69, v70
	s_waitcnt vmcnt(2)
	v_mul_f32_e32 v70, v67, v98
	v_fmac_f32_e32 v70, v68, v97
	v_add_f32_e32 v73, v69, v70
	ds_read2_b64 v[69:72], v56 offset0:47 offset1:48
	buffer_load_dword v101, off, s[0:3], 0 offset:160
	buffer_load_dword v102, off, s[0:3], 0 offset:164
	v_add_f32_e32 v57, v57, v58
	v_mul_f32_e32 v58, v64, v94
	v_fma_f32 v58, v63, v93, -v58
	s_waitcnt vmcnt(2) lgkmcnt(0)
	v_mul_f32_e32 v74, v69, v100
	v_fmac_f32_e32 v74, v70, v99
	v_add_f32_e32 v73, v73, v74
	v_add_f32_e32 v57, v57, v58
	v_mul_f32_e32 v58, v66, v96
	v_fma_f32 v58, v65, v95, -v58
	v_add_f32_e32 v57, v57, v58
	v_mul_f32_e32 v58, v68, v98
	v_fma_f32 v58, v67, v97, -v58
	;; [unrolled: 3-line block ×3, first 2 shown]
	v_add_f32_e32 v57, v57, v58
	s_waitcnt vmcnt(0)
	v_mul_f32_e32 v74, v71, v102
	v_fmac_f32_e32 v74, v72, v101
	v_add_f32_e32 v77, v73, v74
	ds_read2_b64 v[73:76], v56 offset0:49 offset1:50
	buffer_load_dword v103, off, s[0:3], 0 offset:168
	buffer_load_dword v104, off, s[0:3], 0 offset:172
	;; [unrolled: 1-line block ×4, first 2 shown]
	v_mul_f32_e32 v58, v72, v102
	v_fma_f32 v58, v71, v101, -v58
	v_add_f32_e32 v57, v57, v58
	s_waitcnt vmcnt(2) lgkmcnt(0)
	v_mul_f32_e32 v78, v73, v104
	v_fmac_f32_e32 v78, v74, v103
	v_add_f32_e32 v77, v77, v78
	s_waitcnt vmcnt(0)
	v_mul_f32_e32 v78, v75, v106
	v_fmac_f32_e32 v78, v76, v105
	v_add_f32_e32 v81, v77, v78
	ds_read2_b64 v[77:80], v56 offset0:51 offset1:52
	buffer_load_dword v107, off, s[0:3], 0 offset:184
	buffer_load_dword v108, off, s[0:3], 0 offset:188
	;; [unrolled: 1-line block ×4, first 2 shown]
	v_mul_f32_e32 v58, v74, v104
	v_fma_f32 v58, v73, v103, -v58
	v_add_f32_e32 v57, v57, v58
	v_mul_f32_e32 v58, v76, v106
	v_fma_f32 v58, v75, v105, -v58
	v_add_f32_e32 v57, v57, v58
	s_waitcnt vmcnt(2) lgkmcnt(0)
	v_mul_f32_e32 v82, v77, v108
	v_fmac_f32_e32 v82, v78, v107
	v_add_f32_e32 v81, v81, v82
	s_waitcnt vmcnt(0)
	v_mul_f32_e32 v82, v79, v110
	v_fmac_f32_e32 v82, v80, v109
	v_add_f32_e32 v111, v81, v82
	ds_read2_b64 v[81:84], v56 offset0:53 offset1:54
	buffer_load_dword v56, off, s[0:3], 0 offset:200
	buffer_load_dword v112, off, s[0:3], 0 offset:204
	v_mul_f32_e32 v58, v78, v108
	v_fma_f32 v58, v77, v107, -v58
	v_add_f32_e32 v57, v57, v58
	v_mul_f32_e32 v58, v80, v110
	v_fma_f32 v58, v79, v109, -v58
	v_add_f32_e32 v57, v57, v58
	s_waitcnt vmcnt(0) lgkmcnt(0)
	v_mul_f32_e32 v113, v81, v112
	v_fmac_f32_e32 v113, v82, v56
	v_add_f32_e32 v111, v111, v113
	buffer_load_dword v113, off, s[0:3], 0 offset:208
	buffer_load_dword v114, off, s[0:3], 0 offset:212
	v_mul_f32_e32 v58, v82, v112
	v_fma_f32 v56, v81, v56, -v58
	v_add_f32_e32 v56, v57, v56
	s_waitcnt vmcnt(0)
	v_mul_f32_e32 v57, v84, v114
	v_mul_f32_e32 v115, v83, v114
	v_fma_f32 v57, v83, v113, -v57
	v_fmac_f32_e32 v115, v84, v113
	v_add_f32_e32 v56, v56, v57
	v_add_f32_e32 v111, v111, v115
	v_sub_f32_e32 v56, v85, v56
	v_sub_f32_e32 v57, v86, v111
	buffer_store_dword v56, off, s[0:3], 0 offset:96
	buffer_store_dword v57, off, s[0:3], 0 offset:100
	s_and_saveexec_b64 s[4:5], vcc
	s_cbranch_execz .LBB26_153
; %bb.152:
	buffer_load_dword v56, off, s[0:3], 0 offset:88
	buffer_load_dword v57, off, s[0:3], 0 offset:92
	v_mov_b32_e32 v58, 0
	buffer_store_dword v58, off, s[0:3], 0 offset:88
	buffer_store_dword v58, off, s[0:3], 0 offset:92
	s_waitcnt vmcnt(2)
	ds_write_b64 v55, v[56:57]
.LBB26_153:
	s_or_b64 exec, exec, s[4:5]
	v_mov_b32_e32 v56, 0
	s_waitcnt lgkmcnt(0)
	; wave barrier
	ds_read_b128 v[57:60], v56 offset:320
	ds_read_b128 v[61:64], v56 offset:336
	;; [unrolled: 1-line block ×4, first 2 shown]
	buffer_load_dword v87, off, s[0:3], 0 offset:88
	buffer_load_dword v88, off, s[0:3], 0 offset:92
	;; [unrolled: 1-line block ×18, first 2 shown]
	v_cmp_lt_u32_e32 vcc, 10, v0
	s_waitcnt vmcnt(14) lgkmcnt(3)
	v_mul_f32_e32 v73, v57, v90
	v_fmac_f32_e32 v73, v58, v89
	s_waitcnt vmcnt(12)
	v_mul_f32_e32 v74, v59, v92
	v_add_f32_e32 v73, 0, v73
	v_fmac_f32_e32 v74, v60, v91
	v_add_f32_e32 v73, v73, v74
	s_waitcnt vmcnt(10) lgkmcnt(2)
	v_mul_f32_e32 v74, v61, v94
	v_fmac_f32_e32 v74, v62, v93
	v_add_f32_e32 v73, v73, v74
	s_waitcnt vmcnt(8)
	v_mul_f32_e32 v74, v63, v96
	v_fmac_f32_e32 v74, v64, v95
	v_add_f32_e32 v73, v73, v74
	s_waitcnt vmcnt(6) lgkmcnt(1)
	v_mul_f32_e32 v74, v65, v98
	v_fmac_f32_e32 v74, v66, v97
	v_add_f32_e32 v73, v73, v74
	s_waitcnt vmcnt(4)
	v_mul_f32_e32 v74, v67, v100
	;; [unrolled: 8-line block ×3, first 2 shown]
	v_fmac_f32_e32 v74, v72, v103
	v_add_f32_e32 v77, v73, v74
	ds_read_b128 v[73:76], v56 offset:384
	buffer_load_dword v105, off, s[0:3], 0 offset:160
	buffer_load_dword v106, off, s[0:3], 0 offset:164
	;; [unrolled: 1-line block ×4, first 2 shown]
	v_mul_f32_e32 v58, v58, v90
	v_fma_f32 v57, v57, v89, -v58
	v_mul_f32_e32 v58, v60, v92
	v_add_f32_e32 v57, 0, v57
	v_fma_f32 v58, v59, v91, -v58
	v_add_f32_e32 v57, v57, v58
	v_mul_f32_e32 v58, v62, v94
	v_fma_f32 v58, v61, v93, -v58
	v_add_f32_e32 v57, v57, v58
	v_mul_f32_e32 v58, v64, v96
	;; [unrolled: 3-line block ×6, first 2 shown]
	v_fma_f32 v58, v71, v103, -v58
	v_add_f32_e32 v57, v57, v58
	s_waitcnt vmcnt(2) lgkmcnt(0)
	v_mul_f32_e32 v78, v73, v106
	v_fmac_f32_e32 v78, v74, v105
	v_add_f32_e32 v77, v77, v78
	s_waitcnt vmcnt(0)
	v_mul_f32_e32 v78, v75, v108
	v_fmac_f32_e32 v78, v76, v107
	v_add_f32_e32 v81, v77, v78
	ds_read_b128 v[77:80], v56 offset:400
	buffer_load_dword v109, off, s[0:3], 0 offset:176
	buffer_load_dword v110, off, s[0:3], 0 offset:180
	;; [unrolled: 1-line block ×4, first 2 shown]
	v_mul_f32_e32 v58, v74, v106
	v_fma_f32 v58, v73, v105, -v58
	v_add_f32_e32 v57, v57, v58
	v_mul_f32_e32 v58, v76, v108
	v_fma_f32 v58, v75, v107, -v58
	v_add_f32_e32 v57, v57, v58
	s_waitcnt vmcnt(2) lgkmcnt(0)
	v_mul_f32_e32 v82, v77, v110
	v_fmac_f32_e32 v82, v78, v109
	v_add_f32_e32 v81, v81, v82
	s_waitcnt vmcnt(0)
	v_mul_f32_e32 v82, v79, v112
	v_fmac_f32_e32 v82, v80, v111
	v_add_f32_e32 v85, v81, v82
	ds_read_b128 v[81:84], v56 offset:416
	buffer_load_dword v113, off, s[0:3], 0 offset:192
	buffer_load_dword v114, off, s[0:3], 0 offset:196
	;; [unrolled: 1-line block ×4, first 2 shown]
	v_mul_f32_e32 v58, v78, v110
	v_fma_f32 v58, v77, v109, -v58
	v_add_f32_e32 v57, v57, v58
	v_mul_f32_e32 v58, v80, v112
	v_fma_f32 v58, v79, v111, -v58
	v_add_f32_e32 v57, v57, v58
	s_waitcnt vmcnt(2) lgkmcnt(0)
	v_mul_f32_e32 v86, v81, v114
	v_fmac_f32_e32 v86, v82, v113
	v_add_f32_e32 v85, v85, v86
	s_waitcnt vmcnt(0)
	v_mul_f32_e32 v86, v83, v116
	v_fmac_f32_e32 v86, v84, v115
	v_add_f32_e32 v117, v85, v86
	ds_read_b64 v[85:86], v56 offset:432
	buffer_load_dword v118, off, s[0:3], 0 offset:208
	buffer_load_dword v119, off, s[0:3], 0 offset:212
	v_mul_f32_e32 v58, v82, v114
	v_fma_f32 v58, v81, v113, -v58
	v_add_f32_e32 v57, v57, v58
	v_mul_f32_e32 v58, v84, v116
	v_fma_f32 v58, v83, v115, -v58
	v_add_f32_e32 v57, v57, v58
	s_waitcnt vmcnt(0) lgkmcnt(0)
	v_mul_f32_e32 v58, v86, v119
	v_mul_f32_e32 v120, v85, v119
	v_fma_f32 v58, v85, v118, -v58
	v_fmac_f32_e32 v120, v86, v118
	v_add_f32_e32 v57, v57, v58
	v_add_f32_e32 v117, v117, v120
	v_sub_f32_e32 v57, v87, v57
	v_sub_f32_e32 v58, v88, v117
	buffer_store_dword v57, off, s[0:3], 0 offset:88
	buffer_store_dword v58, off, s[0:3], 0 offset:92
	s_and_saveexec_b64 s[4:5], vcc
	s_cbranch_execz .LBB26_155
; %bb.154:
	buffer_load_dword v57, off, s[0:3], 0 offset:80
	buffer_load_dword v58, off, s[0:3], 0 offset:84
	s_waitcnt vmcnt(0)
	ds_write_b64 v55, v[57:58]
	buffer_store_dword v56, off, s[0:3], 0 offset:80
	buffer_store_dword v56, off, s[0:3], 0 offset:84
.LBB26_155:
	s_or_b64 exec, exec, s[4:5]
	s_waitcnt lgkmcnt(0)
	; wave barrier
	ds_read2_b64 v[57:60], v56 offset0:39 offset1:40
	buffer_load_dword v89, off, s[0:3], 0 offset:80
	buffer_load_dword v90, off, s[0:3], 0 offset:84
	;; [unrolled: 1-line block ×16, first 2 shown]
	v_cmp_lt_u32_e32 vcc, 9, v0
	s_waitcnt vmcnt(12) lgkmcnt(0)
	v_mul_f32_e32 v61, v57, v92
	v_fmac_f32_e32 v61, v58, v91
	s_waitcnt vmcnt(10)
	v_mul_f32_e32 v62, v59, v94
	v_add_f32_e32 v61, 0, v61
	v_fmac_f32_e32 v62, v60, v93
	v_add_f32_e32 v65, v61, v62
	ds_read2_b64 v[61:64], v56 offset0:41 offset1:42
	v_mul_f32_e32 v58, v58, v92
	v_fma_f32 v57, v57, v91, -v58
	v_mul_f32_e32 v58, v60, v94
	v_add_f32_e32 v57, 0, v57
	s_waitcnt vmcnt(8) lgkmcnt(0)
	v_mul_f32_e32 v66, v61, v96
	v_fmac_f32_e32 v66, v62, v95
	v_add_f32_e32 v65, v65, v66
	s_waitcnt vmcnt(6)
	v_mul_f32_e32 v66, v63, v98
	v_fmac_f32_e32 v66, v64, v97
	v_add_f32_e32 v69, v65, v66
	ds_read2_b64 v[65:68], v56 offset0:43 offset1:44
	v_fma_f32 v58, v59, v93, -v58
	v_add_f32_e32 v57, v57, v58
	v_mul_f32_e32 v58, v62, v96
	v_fma_f32 v58, v61, v95, -v58
	s_waitcnt vmcnt(4) lgkmcnt(0)
	v_mul_f32_e32 v70, v65, v100
	v_fmac_f32_e32 v70, v66, v99
	v_add_f32_e32 v69, v69, v70
	s_waitcnt vmcnt(2)
	v_mul_f32_e32 v70, v67, v102
	v_fmac_f32_e32 v70, v68, v101
	v_add_f32_e32 v73, v69, v70
	ds_read2_b64 v[69:72], v56 offset0:45 offset1:46
	buffer_load_dword v105, off, s[0:3], 0 offset:144
	buffer_load_dword v106, off, s[0:3], 0 offset:148
	v_add_f32_e32 v57, v57, v58
	v_mul_f32_e32 v58, v64, v98
	v_fma_f32 v58, v63, v97, -v58
	s_waitcnt vmcnt(2) lgkmcnt(0)
	v_mul_f32_e32 v74, v69, v104
	v_fmac_f32_e32 v74, v70, v103
	v_add_f32_e32 v73, v73, v74
	v_add_f32_e32 v57, v57, v58
	v_mul_f32_e32 v58, v66, v100
	v_fma_f32 v58, v65, v99, -v58
	v_add_f32_e32 v57, v57, v58
	v_mul_f32_e32 v58, v68, v102
	v_fma_f32 v58, v67, v101, -v58
	;; [unrolled: 3-line block ×3, first 2 shown]
	v_add_f32_e32 v57, v57, v58
	s_waitcnt vmcnt(0)
	v_mul_f32_e32 v74, v71, v106
	v_fmac_f32_e32 v74, v72, v105
	v_add_f32_e32 v77, v73, v74
	ds_read2_b64 v[73:76], v56 offset0:47 offset1:48
	buffer_load_dword v107, off, s[0:3], 0 offset:152
	buffer_load_dword v108, off, s[0:3], 0 offset:156
	buffer_load_dword v109, off, s[0:3], 0 offset:160
	buffer_load_dword v110, off, s[0:3], 0 offset:164
	v_mul_f32_e32 v58, v72, v106
	v_fma_f32 v58, v71, v105, -v58
	v_add_f32_e32 v57, v57, v58
	s_waitcnt vmcnt(2) lgkmcnt(0)
	v_mul_f32_e32 v78, v73, v108
	v_fmac_f32_e32 v78, v74, v107
	v_add_f32_e32 v77, v77, v78
	s_waitcnt vmcnt(0)
	v_mul_f32_e32 v78, v75, v110
	v_fmac_f32_e32 v78, v76, v109
	v_add_f32_e32 v81, v77, v78
	ds_read2_b64 v[77:80], v56 offset0:49 offset1:50
	buffer_load_dword v111, off, s[0:3], 0 offset:168
	buffer_load_dword v112, off, s[0:3], 0 offset:172
	;; [unrolled: 1-line block ×4, first 2 shown]
	v_mul_f32_e32 v58, v74, v108
	v_fma_f32 v58, v73, v107, -v58
	v_add_f32_e32 v57, v57, v58
	v_mul_f32_e32 v58, v76, v110
	v_fma_f32 v58, v75, v109, -v58
	v_add_f32_e32 v57, v57, v58
	s_waitcnt vmcnt(2) lgkmcnt(0)
	v_mul_f32_e32 v82, v77, v112
	v_fmac_f32_e32 v82, v78, v111
	v_add_f32_e32 v81, v81, v82
	s_waitcnt vmcnt(0)
	v_mul_f32_e32 v82, v79, v114
	v_fmac_f32_e32 v82, v80, v113
	v_add_f32_e32 v85, v81, v82
	ds_read2_b64 v[81:84], v56 offset0:51 offset1:52
	buffer_load_dword v115, off, s[0:3], 0 offset:184
	buffer_load_dword v116, off, s[0:3], 0 offset:188
	buffer_load_dword v117, off, s[0:3], 0 offset:192
	buffer_load_dword v118, off, s[0:3], 0 offset:196
	v_mul_f32_e32 v58, v78, v112
	v_fma_f32 v58, v77, v111, -v58
	v_add_f32_e32 v57, v57, v58
	v_mul_f32_e32 v58, v80, v114
	v_fma_f32 v58, v79, v113, -v58
	v_add_f32_e32 v57, v57, v58
	s_waitcnt vmcnt(2) lgkmcnt(0)
	v_mul_f32_e32 v86, v81, v116
	v_fmac_f32_e32 v86, v82, v115
	v_add_f32_e32 v85, v85, v86
	s_waitcnt vmcnt(0)
	v_mul_f32_e32 v86, v83, v118
	v_fmac_f32_e32 v86, v84, v117
	v_add_f32_e32 v119, v85, v86
	ds_read2_b64 v[85:88], v56 offset0:53 offset1:54
	buffer_load_dword v56, off, s[0:3], 0 offset:200
	buffer_load_dword v120, off, s[0:3], 0 offset:204
	v_mul_f32_e32 v58, v82, v116
	v_fma_f32 v58, v81, v115, -v58
	v_add_f32_e32 v57, v57, v58
	v_mul_f32_e32 v58, v84, v118
	v_fma_f32 v58, v83, v117, -v58
	v_add_f32_e32 v57, v57, v58
	s_waitcnt vmcnt(0) lgkmcnt(0)
	v_mul_f32_e32 v121, v85, v120
	v_fmac_f32_e32 v121, v86, v56
	v_add_f32_e32 v119, v119, v121
	buffer_load_dword v121, off, s[0:3], 0 offset:208
	buffer_load_dword v122, off, s[0:3], 0 offset:212
	v_mul_f32_e32 v58, v86, v120
	v_fma_f32 v56, v85, v56, -v58
	v_add_f32_e32 v56, v57, v56
	s_waitcnt vmcnt(0)
	v_mul_f32_e32 v57, v88, v122
	v_mul_f32_e32 v123, v87, v122
	v_fma_f32 v57, v87, v121, -v57
	v_fmac_f32_e32 v123, v88, v121
	v_add_f32_e32 v56, v56, v57
	v_add_f32_e32 v119, v119, v123
	v_sub_f32_e32 v56, v89, v56
	v_sub_f32_e32 v57, v90, v119
	buffer_store_dword v56, off, s[0:3], 0 offset:80
	buffer_store_dword v57, off, s[0:3], 0 offset:84
	s_and_saveexec_b64 s[4:5], vcc
	s_cbranch_execz .LBB26_157
; %bb.156:
	buffer_load_dword v56, off, s[0:3], 0 offset:72
	buffer_load_dword v57, off, s[0:3], 0 offset:76
	v_mov_b32_e32 v58, 0
	buffer_store_dword v58, off, s[0:3], 0 offset:72
	buffer_store_dword v58, off, s[0:3], 0 offset:76
	s_waitcnt vmcnt(2)
	ds_write_b64 v55, v[56:57]
.LBB26_157:
	s_or_b64 exec, exec, s[4:5]
	s_waitcnt lgkmcnt(0)
	; wave barrier
	buffer_load_dword v91, off, s[0:3], 0 offset:84
	buffer_load_dword v92, off, s[0:3], 0 offset:92
	buffer_load_dword v93, off, s[0:3], 0 offset:100
	buffer_load_dword v94, off, s[0:3], 0 offset:108
	buffer_load_dword v95, off, s[0:3], 0 offset:116
	buffer_load_dword v96, off, s[0:3], 0 offset:124
	buffer_load_dword v97, off, s[0:3], 0 offset:132
	buffer_load_dword v98, off, s[0:3], 0 offset:140
	buffer_load_dword v99, off, s[0:3], 0 offset:148
	buffer_load_dword v100, off, s[0:3], 0 offset:156
	buffer_load_dword v101, off, s[0:3], 0 offset:164
	buffer_load_dword v102, off, s[0:3], 0 offset:172
	buffer_load_dword v103, off, s[0:3], 0 offset:180
	buffer_load_dword v104, off, s[0:3], 0 offset:188
	buffer_load_dword v105, off, s[0:3], 0 offset:196
	buffer_load_dword v106, off, s[0:3], 0 offset:204
	buffer_load_dword v107, off, s[0:3], 0 offset:212
	buffer_load_dword v108, off, s[0:3], 0 offset:80
	buffer_load_dword v109, off, s[0:3], 0 offset:88
	buffer_load_dword v110, off, s[0:3], 0 offset:96
	buffer_load_dword v111, off, s[0:3], 0 offset:104
	buffer_load_dword v112, off, s[0:3], 0 offset:112
	buffer_load_dword v113, off, s[0:3], 0 offset:120
	buffer_load_dword v114, off, s[0:3], 0 offset:128
	buffer_load_dword v115, off, s[0:3], 0 offset:136
	buffer_load_dword v116, off, s[0:3], 0 offset:144
	buffer_load_dword v117, off, s[0:3], 0 offset:152
	buffer_load_dword v118, off, s[0:3], 0 offset:160
	buffer_load_dword v119, off, s[0:3], 0 offset:168
	buffer_load_dword v120, off, s[0:3], 0 offset:176
	buffer_load_dword v121, off, s[0:3], 0 offset:184
	buffer_load_dword v122, off, s[0:3], 0 offset:192
	buffer_load_dword v123, off, s[0:3], 0 offset:200
	buffer_load_dword v124, off, s[0:3], 0 offset:208
	buffer_load_dword v125, off, s[0:3], 0 offset:72
	buffer_load_dword v126, off, s[0:3], 0 offset:76
	v_mov_b32_e32 v56, 0
	ds_read_b128 v[57:60], v56 offset:304
	ds_read_b128 v[61:64], v56 offset:320
	;; [unrolled: 1-line block ×8, first 2 shown]
	ds_read_b64 v[89:90], v56 offset:432
	v_cmp_lt_u32_e32 vcc, 8, v0
	s_waitcnt vmcnt(35) lgkmcnt(8)
	v_mul_f32_e32 v127, v57, v91
	s_waitcnt vmcnt(34)
	v_mul_f32_e32 v128, v59, v92
	s_waitcnt vmcnt(33) lgkmcnt(7)
	v_mul_f32_e32 v129, v61, v93
	s_waitcnt vmcnt(32)
	v_mul_f32_e32 v130, v63, v94
	;; [unrolled: 4-line block ×8, first 2 shown]
	s_waitcnt vmcnt(19) lgkmcnt(0)
	v_mul_f32_e32 v143, v89, v107
	s_waitcnt vmcnt(18)
	v_fmac_f32_e32 v127, v58, v108
	v_mul_f32_e32 v58, v58, v91
	v_fma_f32 v57, v57, v108, -v58
	v_mul_f32_e32 v58, v60, v92
	v_add_f32_e32 v57, 0, v57
	s_waitcnt vmcnt(17)
	v_fma_f32 v58, v59, v109, -v58
	v_add_f32_e32 v57, v57, v58
	v_mul_f32_e32 v58, v62, v93
	s_waitcnt vmcnt(16)
	v_fma_f32 v58, v61, v110, -v58
	v_add_f32_e32 v57, v57, v58
	v_mul_f32_e32 v58, v64, v94
	;; [unrolled: 4-line block ×8, first 2 shown]
	v_fmac_f32_e32 v128, v60, v109
	v_add_f32_e32 v127, 0, v127
	s_waitcnt vmcnt(9)
	v_fma_f32 v58, v75, v117, -v58
	v_fmac_f32_e32 v129, v62, v110
	v_add_f32_e32 v127, v127, v128
	v_add_f32_e32 v57, v57, v58
	v_mul_f32_e32 v58, v78, v101
	v_fmac_f32_e32 v130, v64, v111
	v_add_f32_e32 v127, v127, v129
	s_waitcnt vmcnt(8)
	v_fma_f32 v58, v77, v118, -v58
	v_fmac_f32_e32 v131, v66, v112
	v_add_f32_e32 v127, v127, v130
	v_add_f32_e32 v57, v57, v58
	v_mul_f32_e32 v58, v80, v102
	;; [unrolled: 8-line block ×7, first 2 shown]
	v_fmac_f32_e32 v142, v88, v123
	v_add_f32_e32 v127, v127, v141
	s_waitcnt vmcnt(2)
	v_fma_f32 v58, v89, v124, -v58
	v_fmac_f32_e32 v143, v90, v124
	v_add_f32_e32 v127, v127, v142
	v_add_f32_e32 v57, v57, v58
	;; [unrolled: 1-line block ×3, first 2 shown]
	s_waitcnt vmcnt(1)
	v_sub_f32_e32 v57, v125, v57
	s_waitcnt vmcnt(0)
	v_sub_f32_e32 v58, v126, v127
	buffer_store_dword v57, off, s[0:3], 0 offset:72
	buffer_store_dword v58, off, s[0:3], 0 offset:76
	s_and_saveexec_b64 s[4:5], vcc
	s_cbranch_execz .LBB26_159
; %bb.158:
	buffer_load_dword v57, off, s[0:3], 0 offset:64
	buffer_load_dword v58, off, s[0:3], 0 offset:68
	s_waitcnt vmcnt(0)
	ds_write_b64 v55, v[57:58]
	buffer_store_dword v56, off, s[0:3], 0 offset:64
	buffer_store_dword v56, off, s[0:3], 0 offset:68
.LBB26_159:
	s_or_b64 exec, exec, s[4:5]
	s_waitcnt lgkmcnt(0)
	; wave barrier
	buffer_load_dword v93, off, s[0:3], 0 offset:76
	buffer_load_dword v94, off, s[0:3], 0 offset:84
	;; [unrolled: 1-line block ×38, first 2 shown]
	ds_read2_b64 v[57:60], v56 offset0:37 offset1:38
	ds_read2_b64 v[61:64], v56 offset0:39 offset1:40
	;; [unrolled: 1-line block ×9, first 2 shown]
	v_cmp_lt_u32_e32 vcc, 7, v0
	s_waitcnt vmcnt(37) lgkmcnt(8)
	v_mul_f32_e32 v56, v57, v93
	s_waitcnt vmcnt(36)
	v_mul_f32_e32 v131, v59, v94
	s_waitcnt vmcnt(35) lgkmcnt(7)
	v_mul_f32_e32 v132, v61, v95
	s_waitcnt vmcnt(34)
	v_mul_f32_e32 v133, v63, v96
	;; [unrolled: 4-line block ×8, first 2 shown]
	s_waitcnt vmcnt(21) lgkmcnt(0)
	v_mul_f32_e32 v146, v89, v109
	s_waitcnt vmcnt(20)
	v_fmac_f32_e32 v56, v58, v110
	v_mul_f32_e32 v58, v58, v93
	v_fma_f32 v57, v57, v110, -v58
	v_mul_f32_e32 v58, v60, v94
	v_add_f32_e32 v57, 0, v57
	s_waitcnt vmcnt(19)
	v_fma_f32 v58, v59, v111, -v58
	v_add_f32_e32 v57, v57, v58
	v_mul_f32_e32 v58, v62, v95
	s_waitcnt vmcnt(18)
	v_fma_f32 v58, v61, v112, -v58
	v_add_f32_e32 v57, v57, v58
	v_mul_f32_e32 v58, v64, v96
	;; [unrolled: 4-line block ×8, first 2 shown]
	s_waitcnt vmcnt(11)
	v_fma_f32 v58, v75, v119, -v58
	v_fmac_f32_e32 v131, v60, v111
	v_add_f32_e32 v56, 0, v56
	v_add_f32_e32 v57, v57, v58
	v_mul_f32_e32 v58, v78, v103
	v_fmac_f32_e32 v132, v62, v112
	v_add_f32_e32 v56, v56, v131
	s_waitcnt vmcnt(10)
	v_fma_f32 v58, v77, v120, -v58
	v_fmac_f32_e32 v133, v64, v113
	v_add_f32_e32 v56, v56, v132
	v_add_f32_e32 v57, v57, v58
	v_mul_f32_e32 v58, v80, v104
	v_fmac_f32_e32 v134, v66, v114
	v_add_f32_e32 v56, v56, v133
	;; [unrolled: 8-line block ×7, first 2 shown]
	s_waitcnt vmcnt(4)
	v_fma_f32 v58, v89, v126, -v58
	v_fmac_f32_e32 v145, v88, v125
	v_add_f32_e32 v56, v56, v144
	v_add_f32_e32 v57, v57, v58
	s_waitcnt vmcnt(3)
	v_mul_f32_e32 v58, v92, v127
	v_add_f32_e32 v56, v56, v145
	v_fmac_f32_e32 v146, v90, v126
	v_mul_f32_e32 v131, v91, v127
	s_waitcnt vmcnt(2)
	v_fma_f32 v58, v91, v128, -v58
	v_add_f32_e32 v56, v56, v146
	v_fmac_f32_e32 v131, v92, v128
	v_add_f32_e32 v57, v57, v58
	v_add_f32_e32 v56, v56, v131
	s_waitcnt vmcnt(1)
	v_sub_f32_e32 v57, v129, v57
	s_waitcnt vmcnt(0)
	v_sub_f32_e32 v56, v130, v56
	buffer_store_dword v57, off, s[0:3], 0 offset:64
	buffer_store_dword v56, off, s[0:3], 0 offset:68
	s_and_saveexec_b64 s[4:5], vcc
	s_cbranch_execz .LBB26_161
; %bb.160:
	buffer_load_dword v56, off, s[0:3], 0 offset:56
	buffer_load_dword v57, off, s[0:3], 0 offset:60
	v_mov_b32_e32 v58, 0
	buffer_store_dword v58, off, s[0:3], 0 offset:56
	buffer_store_dword v58, off, s[0:3], 0 offset:60
	s_waitcnt vmcnt(2)
	ds_write_b64 v55, v[56:57]
.LBB26_161:
	s_or_b64 exec, exec, s[4:5]
	s_waitcnt lgkmcnt(0)
	; wave barrier
	buffer_load_dword v95, off, s[0:3], 0 offset:68
	buffer_load_dword v96, off, s[0:3], 0 offset:76
	;; [unrolled: 1-line block ×40, first 2 shown]
	v_mov_b32_e32 v56, 0
	ds_read_b128 v[57:60], v56 offset:288
	ds_read_b128 v[61:64], v56 offset:304
	;; [unrolled: 1-line block ×9, first 2 shown]
	v_cmp_lt_u32_e32 vcc, 6, v0
	s_waitcnt vmcnt(39) lgkmcnt(8)
	v_mul_f32_e32 v93, v57, v95
	s_waitcnt vmcnt(38)
	v_mul_f32_e32 v94, v59, v96
	s_waitcnt vmcnt(37) lgkmcnt(7)
	v_mul_f32_e32 v135, v61, v97
	s_waitcnt vmcnt(36)
	v_mul_f32_e32 v136, v63, v98
	;; [unrolled: 4-line block ×7, first 2 shown]
	s_waitcnt vmcnt(25) lgkmcnt(1)
	v_mul_f32_e32 v147, v85, v109
	s_waitcnt vmcnt(24)
	v_fmac_f32_e32 v93, v58, v110
	v_mul_f32_e32 v58, v58, v95
	v_fma_f32 v57, v57, v110, -v58
	v_mul_f32_e32 v58, v60, v96
	v_add_f32_e32 v57, 0, v57
	s_waitcnt vmcnt(23)
	v_fma_f32 v58, v59, v111, -v58
	v_add_f32_e32 v57, v57, v58
	v_mul_f32_e32 v58, v62, v97
	s_waitcnt vmcnt(22)
	v_fma_f32 v58, v61, v112, -v58
	v_add_f32_e32 v57, v57, v58
	v_mul_f32_e32 v58, v64, v98
	;; [unrolled: 4-line block ×6, first 2 shown]
	s_waitcnt vmcnt(17)
	v_fma_f32 v58, v71, v117, -v58
	v_fmac_f32_e32 v94, v60, v111
	v_add_f32_e32 v93, 0, v93
	v_add_f32_e32 v57, v57, v58
	v_mul_f32_e32 v58, v74, v103
	v_fmac_f32_e32 v135, v62, v112
	v_add_f32_e32 v93, v93, v94
	s_waitcnt vmcnt(16)
	v_fma_f32 v58, v73, v118, -v58
	v_fmac_f32_e32 v136, v64, v113
	v_add_f32_e32 v93, v93, v135
	v_add_f32_e32 v57, v57, v58
	v_mul_f32_e32 v58, v76, v104
	v_fmac_f32_e32 v137, v66, v114
	v_add_f32_e32 v93, v93, v136
	;; [unrolled: 8-line block ×6, first 2 shown]
	s_waitcnt vmcnt(11)
	v_fma_f32 v58, v83, v123, -v58
	v_fmac_f32_e32 v146, v84, v123
	v_add_f32_e32 v93, v93, v145
	v_add_f32_e32 v57, v57, v58
	v_mul_f32_e32 v58, v86, v109
	s_waitcnt vmcnt(10)
	v_fmac_f32_e32 v147, v86, v124
	v_add_f32_e32 v93, v93, v146
	s_waitcnt vmcnt(9)
	v_mul_f32_e32 v94, v87, v125
	v_fma_f32 v58, v85, v124, -v58
	v_add_f32_e32 v93, v93, v147
	s_waitcnt vmcnt(8)
	v_fmac_f32_e32 v94, v88, v126
	v_add_f32_e32 v57, v57, v58
	v_mul_f32_e32 v58, v88, v125
	v_add_f32_e32 v135, v93, v94
	ds_read_b64 v[93:94], v56 offset:432
	v_fma_f32 v58, v87, v126, -v58
	v_add_f32_e32 v57, v57, v58
	s_waitcnt vmcnt(7) lgkmcnt(1)
	v_mul_f32_e32 v58, v90, v127
	v_mul_f32_e32 v136, v89, v127
	s_waitcnt vmcnt(6)
	v_fma_f32 v58, v89, v128, -v58
	v_fmac_f32_e32 v136, v90, v128
	v_add_f32_e32 v57, v57, v58
	s_waitcnt vmcnt(5)
	v_mul_f32_e32 v58, v92, v129
	v_add_f32_e32 v135, v135, v136
	v_mul_f32_e32 v136, v91, v129
	s_waitcnt vmcnt(4)
	v_fma_f32 v58, v91, v130, -v58
	v_fmac_f32_e32 v136, v92, v130
	v_add_f32_e32 v57, v57, v58
	s_waitcnt vmcnt(3) lgkmcnt(0)
	v_mul_f32_e32 v58, v94, v131
	v_add_f32_e32 v135, v135, v136
	v_mul_f32_e32 v136, v93, v131
	s_waitcnt vmcnt(2)
	v_fma_f32 v58, v93, v132, -v58
	v_fmac_f32_e32 v136, v94, v132
	v_add_f32_e32 v57, v57, v58
	v_add_f32_e32 v135, v135, v136
	s_waitcnt vmcnt(1)
	v_sub_f32_e32 v57, v133, v57
	s_waitcnt vmcnt(0)
	v_sub_f32_e32 v58, v134, v135
	buffer_store_dword v57, off, s[0:3], 0 offset:56
	buffer_store_dword v58, off, s[0:3], 0 offset:60
	s_and_saveexec_b64 s[4:5], vcc
	s_cbranch_execz .LBB26_163
; %bb.162:
	buffer_load_dword v57, off, s[0:3], 0 offset:48
	buffer_load_dword v58, off, s[0:3], 0 offset:52
	s_waitcnt vmcnt(0)
	ds_write_b64 v55, v[57:58]
	buffer_store_dword v56, off, s[0:3], 0 offset:48
	buffer_store_dword v56, off, s[0:3], 0 offset:52
.LBB26_163:
	s_or_b64 exec, exec, s[4:5]
	s_waitcnt lgkmcnt(0)
	; wave barrier
	buffer_load_dword v97, off, s[0:3], 0 offset:60
	buffer_load_dword v98, off, s[0:3], 0 offset:68
	;; [unrolled: 1-line block ×42, first 2 shown]
	ds_read2_b64 v[57:60], v56 offset0:35 offset1:36
	ds_read2_b64 v[61:64], v56 offset0:37 offset1:38
	;; [unrolled: 1-line block ×8, first 2 shown]
	v_cmp_lt_u32_e32 vcc, 5, v0
	s_waitcnt vmcnt(41) lgkmcnt(7)
	v_mul_f32_e32 v89, v57, v97
	s_waitcnt vmcnt(40)
	v_mul_f32_e32 v90, v59, v98
	s_waitcnt vmcnt(39) lgkmcnt(6)
	v_mul_f32_e32 v91, v61, v99
	s_waitcnt vmcnt(38)
	v_mul_f32_e32 v92, v63, v100
	;; [unrolled: 4-line block ×7, first 2 shown]
	s_waitcnt vmcnt(27) lgkmcnt(0)
	v_mul_f32_e32 v145, v85, v111
	s_waitcnt vmcnt(26)
	v_fmac_f32_e32 v89, v58, v112
	v_mul_f32_e32 v58, v58, v97
	v_fma_f32 v57, v57, v112, -v58
	v_mul_f32_e32 v58, v60, v98
	v_add_f32_e32 v57, 0, v57
	s_waitcnt vmcnt(25)
	v_fma_f32 v58, v59, v113, -v58
	v_add_f32_e32 v57, v57, v58
	v_mul_f32_e32 v58, v62, v99
	s_waitcnt vmcnt(24)
	v_fma_f32 v58, v61, v114, -v58
	v_add_f32_e32 v57, v57, v58
	v_mul_f32_e32 v58, v64, v100
	;; [unrolled: 4-line block ×5, first 2 shown]
	v_fmac_f32_e32 v90, v60, v113
	v_add_f32_e32 v89, 0, v89
	s_waitcnt vmcnt(20)
	v_fma_f32 v58, v69, v118, -v58
	v_fmac_f32_e32 v91, v62, v114
	v_add_f32_e32 v89, v89, v90
	v_add_f32_e32 v57, v57, v58
	v_mul_f32_e32 v58, v72, v104
	v_fmac_f32_e32 v92, v64, v115
	v_add_f32_e32 v89, v89, v91
	s_waitcnt vmcnt(19)
	v_fma_f32 v58, v71, v119, -v58
	v_fmac_f32_e32 v93, v66, v116
	v_add_f32_e32 v89, v89, v92
	v_add_f32_e32 v57, v57, v58
	v_mul_f32_e32 v58, v74, v105
	;; [unrolled: 8-line block ×5, first 2 shown]
	s_waitcnt vmcnt(15)
	v_fmac_f32_e32 v142, v80, v123
	v_add_f32_e32 v89, v89, v141
	v_fma_f32 v58, v79, v123, -v58
	s_waitcnt vmcnt(14)
	v_fmac_f32_e32 v143, v82, v124
	v_add_f32_e32 v89, v89, v142
	v_add_f32_e32 v57, v57, v58
	v_mul_f32_e32 v58, v82, v109
	s_waitcnt vmcnt(13)
	v_fmac_f32_e32 v144, v84, v125
	v_add_f32_e32 v89, v89, v143
	v_fma_f32 v58, v81, v124, -v58
	s_waitcnt vmcnt(12)
	v_fmac_f32_e32 v145, v86, v126
	v_add_f32_e32 v89, v89, v144
	v_add_f32_e32 v57, v57, v58
	v_mul_f32_e32 v58, v84, v110
	v_add_f32_e32 v93, v89, v145
	ds_read2_b64 v[89:92], v56 offset0:51 offset1:52
	v_fma_f32 v58, v83, v125, -v58
	v_add_f32_e32 v57, v57, v58
	v_mul_f32_e32 v58, v86, v111
	s_waitcnt vmcnt(11)
	v_mul_f32_e32 v94, v87, v127
	v_fma_f32 v58, v85, v126, -v58
	s_waitcnt vmcnt(10)
	v_fmac_f32_e32 v94, v88, v128
	v_add_f32_e32 v57, v57, v58
	v_mul_f32_e32 v58, v88, v127
	v_add_f32_e32 v139, v93, v94
	ds_read2_b64 v[93:96], v56 offset0:53 offset1:54
	v_fma_f32 v58, v87, v128, -v58
	v_add_f32_e32 v57, v57, v58
	s_waitcnt vmcnt(9) lgkmcnt(1)
	v_mul_f32_e32 v58, v90, v129
	v_mul_f32_e32 v56, v89, v129
	s_waitcnt vmcnt(8)
	v_fma_f32 v58, v89, v130, -v58
	v_fmac_f32_e32 v56, v90, v130
	v_add_f32_e32 v57, v57, v58
	s_waitcnt vmcnt(7)
	v_mul_f32_e32 v58, v92, v131
	v_add_f32_e32 v56, v139, v56
	v_mul_f32_e32 v139, v91, v131
	s_waitcnt vmcnt(6)
	v_fma_f32 v58, v91, v132, -v58
	v_fmac_f32_e32 v139, v92, v132
	v_add_f32_e32 v57, v57, v58
	s_waitcnt vmcnt(5) lgkmcnt(0)
	v_mul_f32_e32 v58, v94, v133
	v_add_f32_e32 v56, v56, v139
	v_mul_f32_e32 v139, v93, v133
	s_waitcnt vmcnt(4)
	v_fma_f32 v58, v93, v134, -v58
	v_fmac_f32_e32 v139, v94, v134
	v_add_f32_e32 v57, v57, v58
	s_waitcnt vmcnt(3)
	v_mul_f32_e32 v58, v96, v135
	v_add_f32_e32 v56, v56, v139
	v_mul_f32_e32 v139, v95, v135
	s_waitcnt vmcnt(2)
	v_fma_f32 v58, v95, v136, -v58
	v_fmac_f32_e32 v139, v96, v136
	v_add_f32_e32 v57, v57, v58
	v_add_f32_e32 v56, v56, v139
	s_waitcnt vmcnt(1)
	v_sub_f32_e32 v57, v137, v57
	s_waitcnt vmcnt(0)
	v_sub_f32_e32 v56, v138, v56
	buffer_store_dword v57, off, s[0:3], 0 offset:48
	buffer_store_dword v56, off, s[0:3], 0 offset:52
	s_and_saveexec_b64 s[4:5], vcc
	s_cbranch_execz .LBB26_165
; %bb.164:
	buffer_load_dword v56, off, s[0:3], 0 offset:40
	buffer_load_dword v57, off, s[0:3], 0 offset:44
	v_mov_b32_e32 v58, 0
	buffer_store_dword v58, off, s[0:3], 0 offset:40
	buffer_store_dword v58, off, s[0:3], 0 offset:44
	s_waitcnt vmcnt(2)
	ds_write_b64 v55, v[56:57]
.LBB26_165:
	s_or_b64 exec, exec, s[4:5]
	s_waitcnt lgkmcnt(0)
	; wave barrier
	buffer_load_dword v99, off, s[0:3], 0 offset:52
	buffer_load_dword v100, off, s[0:3], 0 offset:60
	;; [unrolled: 1-line block ×44, first 2 shown]
	v_mov_b32_e32 v56, 0
	ds_read_b128 v[57:60], v56 offset:272
	ds_read_b128 v[61:64], v56 offset:288
	;; [unrolled: 1-line block ×8, first 2 shown]
	v_cmp_lt_u32_e32 vcc, 4, v0
	s_waitcnt vmcnt(43) lgkmcnt(7)
	v_mul_f32_e32 v89, v57, v99
	s_waitcnt vmcnt(42)
	v_mul_f32_e32 v90, v59, v100
	s_waitcnt vmcnt(41) lgkmcnt(6)
	v_mul_f32_e32 v91, v61, v101
	s_waitcnt vmcnt(40)
	v_mul_f32_e32 v92, v63, v102
	;; [unrolled: 4-line block ×7, first 2 shown]
	s_waitcnt vmcnt(29)
	v_fmac_f32_e32 v89, v58, v113
	v_mul_f32_e32 v58, v58, v99
	v_fma_f32 v57, v57, v113, -v58
	v_mul_f32_e32 v58, v60, v100
	v_add_f32_e32 v57, 0, v57
	s_waitcnt vmcnt(28)
	v_fma_f32 v58, v59, v114, -v58
	v_add_f32_e32 v57, v57, v58
	v_mul_f32_e32 v58, v62, v101
	s_waitcnt vmcnt(27)
	v_fma_f32 v58, v61, v115, -v58
	v_add_f32_e32 v57, v57, v58
	v_mul_f32_e32 v58, v64, v102
	;; [unrolled: 4-line block ×4, first 2 shown]
	s_waitcnt vmcnt(24)
	v_fma_f32 v58, v67, v118, -v58
	v_fmac_f32_e32 v90, v60, v114
	v_add_f32_e32 v89, 0, v89
	v_add_f32_e32 v57, v57, v58
	v_mul_f32_e32 v58, v70, v105
	v_fmac_f32_e32 v91, v62, v115
	v_add_f32_e32 v89, v89, v90
	s_waitcnt vmcnt(23)
	v_fma_f32 v58, v69, v119, -v58
	v_fmac_f32_e32 v92, v64, v116
	v_add_f32_e32 v89, v89, v91
	v_add_f32_e32 v57, v57, v58
	v_mul_f32_e32 v58, v72, v106
	v_fmac_f32_e32 v93, v66, v117
	v_add_f32_e32 v89, v89, v92
	;; [unrolled: 8-line block ×4, first 2 shown]
	s_waitcnt vmcnt(20)
	v_fma_f32 v58, v75, v122, -v58
	v_fmac_f32_e32 v98, v76, v122
	v_add_f32_e32 v89, v89, v97
	v_add_f32_e32 v57, v57, v58
	v_mul_f32_e32 v58, v78, v109
	s_waitcnt vmcnt(19)
	v_fmac_f32_e32 v143, v78, v123
	v_add_f32_e32 v89, v89, v98
	v_fma_f32 v58, v77, v123, -v58
	s_waitcnt vmcnt(18)
	v_fmac_f32_e32 v144, v80, v124
	v_add_f32_e32 v89, v89, v143
	v_add_f32_e32 v57, v57, v58
	v_mul_f32_e32 v58, v80, v110
	s_waitcnt vmcnt(17)
	v_fmac_f32_e32 v145, v82, v125
	v_add_f32_e32 v89, v89, v144
	v_fma_f32 v58, v79, v124, -v58
	v_add_f32_e32 v89, v89, v145
	s_waitcnt vmcnt(16)
	v_fmac_f32_e32 v146, v84, v126
	s_waitcnt vmcnt(15) lgkmcnt(0)
	v_mul_f32_e32 v90, v85, v127
	v_add_f32_e32 v57, v57, v58
	v_mul_f32_e32 v58, v82, v111
	v_add_f32_e32 v89, v89, v146
	s_waitcnt vmcnt(14)
	v_fmac_f32_e32 v90, v86, v128
	v_fma_f32 v58, v81, v125, -v58
	v_add_f32_e32 v93, v89, v90
	ds_read_b128 v[89:92], v56 offset:400
	v_add_f32_e32 v57, v57, v58
	v_mul_f32_e32 v58, v84, v112
	v_fma_f32 v58, v83, v126, -v58
	v_add_f32_e32 v57, v57, v58
	v_mul_f32_e32 v58, v86, v127
	s_waitcnt vmcnt(13)
	v_mul_f32_e32 v94, v87, v129
	v_fma_f32 v58, v85, v128, -v58
	s_waitcnt vmcnt(12)
	v_fmac_f32_e32 v94, v88, v130
	v_add_f32_e32 v57, v57, v58
	v_mul_f32_e32 v58, v88, v129
	v_add_f32_e32 v97, v93, v94
	ds_read_b128 v[93:96], v56 offset:416
	s_waitcnt vmcnt(11) lgkmcnt(1)
	v_mul_f32_e32 v98, v89, v131
	v_fma_f32 v58, v87, v130, -v58
	s_waitcnt vmcnt(10)
	v_fmac_f32_e32 v98, v90, v132
	v_add_f32_e32 v57, v57, v58
	v_mul_f32_e32 v58, v90, v131
	v_add_f32_e32 v97, v97, v98
	s_waitcnt vmcnt(9)
	v_mul_f32_e32 v98, v91, v133
	v_fma_f32 v58, v89, v132, -v58
	s_waitcnt vmcnt(8)
	v_fmac_f32_e32 v98, v92, v134
	v_add_f32_e32 v57, v57, v58
	v_mul_f32_e32 v58, v92, v133
	v_add_f32_e32 v143, v97, v98
	ds_read_b64 v[97:98], v56 offset:432
	v_fma_f32 v58, v91, v134, -v58
	v_add_f32_e32 v57, v57, v58
	s_waitcnt vmcnt(7) lgkmcnt(1)
	v_mul_f32_e32 v58, v94, v135
	v_mul_f32_e32 v144, v93, v135
	s_waitcnt vmcnt(6)
	v_fma_f32 v58, v93, v136, -v58
	v_fmac_f32_e32 v144, v94, v136
	v_add_f32_e32 v57, v57, v58
	s_waitcnt vmcnt(5)
	v_mul_f32_e32 v58, v96, v137
	v_add_f32_e32 v143, v143, v144
	v_mul_f32_e32 v144, v95, v137
	s_waitcnt vmcnt(4)
	v_fma_f32 v58, v95, v138, -v58
	v_fmac_f32_e32 v144, v96, v138
	v_add_f32_e32 v57, v57, v58
	s_waitcnt vmcnt(3) lgkmcnt(0)
	v_mul_f32_e32 v58, v98, v139
	v_add_f32_e32 v143, v143, v144
	v_mul_f32_e32 v144, v97, v139
	s_waitcnt vmcnt(2)
	v_fma_f32 v58, v97, v140, -v58
	v_fmac_f32_e32 v144, v98, v140
	v_add_f32_e32 v57, v57, v58
	v_add_f32_e32 v143, v143, v144
	s_waitcnt vmcnt(1)
	v_sub_f32_e32 v57, v141, v57
	s_waitcnt vmcnt(0)
	v_sub_f32_e32 v58, v142, v143
	buffer_store_dword v57, off, s[0:3], 0 offset:40
	buffer_store_dword v58, off, s[0:3], 0 offset:44
	s_and_saveexec_b64 s[4:5], vcc
	s_cbranch_execz .LBB26_167
; %bb.166:
	buffer_load_dword v57, off, s[0:3], 0 offset:32
	buffer_load_dword v58, off, s[0:3], 0 offset:36
	s_waitcnt vmcnt(0)
	ds_write_b64 v55, v[57:58]
	buffer_store_dword v56, off, s[0:3], 0 offset:32
	buffer_store_dword v56, off, s[0:3], 0 offset:36
.LBB26_167:
	s_or_b64 exec, exec, s[4:5]
	s_waitcnt lgkmcnt(0)
	; wave barrier
	buffer_load_dword v101, off, s[0:3], 0 offset:44
	buffer_load_dword v102, off, s[0:3], 0 offset:52
	;; [unrolled: 1-line block ×46, first 2 shown]
	ds_read2_b64 v[57:60], v56 offset0:33 offset1:34
	ds_read2_b64 v[61:64], v56 offset0:35 offset1:36
	;; [unrolled: 1-line block ×8, first 2 shown]
	v_cmp_lt_u32_e32 vcc, 3, v0
	s_waitcnt vmcnt(45) lgkmcnt(7)
	v_mul_f32_e32 v89, v57, v101
	s_waitcnt vmcnt(44)
	v_mul_f32_e32 v90, v59, v102
	s_waitcnt vmcnt(43) lgkmcnt(6)
	v_mul_f32_e32 v91, v61, v103
	s_waitcnt vmcnt(42)
	v_mul_f32_e32 v92, v63, v104
	;; [unrolled: 4-line block ×6, first 2 shown]
	s_waitcnt vmcnt(33) lgkmcnt(1)
	v_mul_f32_e32 v147, v81, v113
	s_waitcnt vmcnt(32)
	v_fmac_f32_e32 v89, v58, v114
	v_mul_f32_e32 v58, v58, v101
	v_fma_f32 v57, v57, v114, -v58
	v_mul_f32_e32 v58, v60, v102
	v_add_f32_e32 v57, 0, v57
	s_waitcnt vmcnt(31)
	v_fma_f32 v58, v59, v115, -v58
	v_add_f32_e32 v57, v57, v58
	v_mul_f32_e32 v58, v62, v103
	s_waitcnt vmcnt(30)
	v_fma_f32 v58, v61, v116, -v58
	v_add_f32_e32 v57, v57, v58
	v_mul_f32_e32 v58, v64, v104
	s_waitcnt vmcnt(29)
	v_fma_f32 v58, v63, v117, -v58
	v_add_f32_e32 v57, v57, v58
	v_mul_f32_e32 v58, v66, v105
	s_waitcnt vmcnt(28)
	v_fma_f32 v58, v65, v118, -v58
	v_add_f32_e32 v57, v57, v58
	v_mul_f32_e32 v58, v68, v106
	v_fmac_f32_e32 v90, v60, v115
	v_add_f32_e32 v89, 0, v89
	s_waitcnt vmcnt(27)
	v_fma_f32 v58, v67, v119, -v58
	v_fmac_f32_e32 v91, v62, v116
	v_add_f32_e32 v89, v89, v90
	v_add_f32_e32 v57, v57, v58
	v_mul_f32_e32 v58, v70, v107
	v_fmac_f32_e32 v92, v64, v117
	v_add_f32_e32 v89, v89, v91
	s_waitcnt vmcnt(26)
	v_fma_f32 v58, v69, v120, -v58
	v_fmac_f32_e32 v93, v66, v118
	v_add_f32_e32 v89, v89, v92
	v_add_f32_e32 v57, v57, v58
	v_mul_f32_e32 v58, v72, v108
	;; [unrolled: 8-line block ×4, first 2 shown]
	s_waitcnt vmcnt(23)
	v_fmac_f32_e32 v98, v76, v123
	v_add_f32_e32 v89, v89, v97
	v_fma_f32 v58, v75, v123, -v58
	s_waitcnt vmcnt(22)
	v_fmac_f32_e32 v99, v78, v124
	v_add_f32_e32 v89, v89, v98
	v_add_f32_e32 v57, v57, v58
	v_mul_f32_e32 v58, v78, v111
	s_waitcnt vmcnt(21)
	v_fmac_f32_e32 v100, v80, v125
	v_add_f32_e32 v89, v89, v99
	v_fma_f32 v58, v77, v124, -v58
	s_waitcnt vmcnt(20)
	v_fmac_f32_e32 v147, v82, v126
	v_add_f32_e32 v89, v89, v100
	s_waitcnt vmcnt(19)
	v_mul_f32_e32 v90, v83, v127
	v_add_f32_e32 v57, v57, v58
	v_mul_f32_e32 v58, v80, v112
	v_add_f32_e32 v89, v89, v147
	s_waitcnt vmcnt(18)
	v_fmac_f32_e32 v90, v84, v128
	v_fma_f32 v58, v79, v125, -v58
	v_add_f32_e32 v89, v89, v90
	s_waitcnt vmcnt(17) lgkmcnt(0)
	v_mul_f32_e32 v90, v85, v129
	v_add_f32_e32 v57, v57, v58
	v_mul_f32_e32 v58, v82, v113
	s_waitcnt vmcnt(16)
	v_fmac_f32_e32 v90, v86, v130
	v_fma_f32 v58, v81, v126, -v58
	v_add_f32_e32 v93, v89, v90
	ds_read2_b64 v[89:92], v56 offset0:49 offset1:50
	v_add_f32_e32 v57, v57, v58
	v_mul_f32_e32 v58, v84, v127
	v_fma_f32 v58, v83, v128, -v58
	v_add_f32_e32 v57, v57, v58
	v_mul_f32_e32 v58, v86, v129
	s_waitcnt vmcnt(15)
	v_mul_f32_e32 v94, v87, v131
	v_fma_f32 v58, v85, v130, -v58
	s_waitcnt vmcnt(14)
	v_fmac_f32_e32 v94, v88, v132
	v_add_f32_e32 v57, v57, v58
	v_mul_f32_e32 v58, v88, v131
	v_add_f32_e32 v97, v93, v94
	ds_read2_b64 v[93:96], v56 offset0:51 offset1:52
	s_waitcnt vmcnt(13) lgkmcnt(1)
	v_mul_f32_e32 v98, v89, v133
	v_fma_f32 v58, v87, v132, -v58
	s_waitcnt vmcnt(12)
	v_fmac_f32_e32 v98, v90, v134
	v_add_f32_e32 v57, v57, v58
	v_mul_f32_e32 v58, v90, v133
	v_add_f32_e32 v97, v97, v98
	s_waitcnt vmcnt(11)
	v_mul_f32_e32 v98, v91, v135
	v_fma_f32 v58, v89, v134, -v58
	s_waitcnt vmcnt(10)
	v_fmac_f32_e32 v98, v92, v136
	v_add_f32_e32 v57, v57, v58
	v_mul_f32_e32 v58, v92, v135
	v_add_f32_e32 v147, v97, v98
	ds_read2_b64 v[97:100], v56 offset0:53 offset1:54
	v_fma_f32 v58, v91, v136, -v58
	v_add_f32_e32 v57, v57, v58
	s_waitcnt vmcnt(9) lgkmcnt(1)
	v_mul_f32_e32 v58, v94, v137
	v_mul_f32_e32 v148, v93, v137
	s_waitcnt vmcnt(8)
	v_fma_f32 v58, v93, v138, -v58
	v_fmac_f32_e32 v148, v94, v138
	v_add_f32_e32 v57, v57, v58
	s_waitcnt vmcnt(7)
	v_mul_f32_e32 v58, v96, v139
	v_add_f32_e32 v56, v147, v148
	v_mul_f32_e32 v147, v95, v139
	s_waitcnt vmcnt(6)
	v_fma_f32 v58, v95, v140, -v58
	v_fmac_f32_e32 v147, v96, v140
	v_add_f32_e32 v57, v57, v58
	s_waitcnt vmcnt(5) lgkmcnt(0)
	v_mul_f32_e32 v58, v98, v141
	v_add_f32_e32 v56, v56, v147
	v_mul_f32_e32 v147, v97, v141
	s_waitcnt vmcnt(4)
	v_fma_f32 v58, v97, v142, -v58
	v_fmac_f32_e32 v147, v98, v142
	v_add_f32_e32 v57, v57, v58
	s_waitcnt vmcnt(3)
	v_mul_f32_e32 v58, v100, v143
	v_add_f32_e32 v56, v56, v147
	v_mul_f32_e32 v147, v99, v143
	s_waitcnt vmcnt(2)
	v_fma_f32 v58, v99, v144, -v58
	v_fmac_f32_e32 v147, v100, v144
	v_add_f32_e32 v57, v57, v58
	v_add_f32_e32 v56, v56, v147
	s_waitcnt vmcnt(1)
	v_sub_f32_e32 v57, v145, v57
	s_waitcnt vmcnt(0)
	v_sub_f32_e32 v56, v146, v56
	buffer_store_dword v57, off, s[0:3], 0 offset:32
	buffer_store_dword v56, off, s[0:3], 0 offset:36
	s_and_saveexec_b64 s[4:5], vcc
	s_cbranch_execz .LBB26_169
; %bb.168:
	buffer_load_dword v56, off, s[0:3], 0 offset:24
	buffer_load_dword v57, off, s[0:3], 0 offset:28
	v_mov_b32_e32 v58, 0
	buffer_store_dword v58, off, s[0:3], 0 offset:24
	buffer_store_dword v58, off, s[0:3], 0 offset:28
	s_waitcnt vmcnt(2)
	ds_write_b64 v55, v[56:57]
.LBB26_169:
	s_or_b64 exec, exec, s[4:5]
	s_waitcnt lgkmcnt(0)
	; wave barrier
	buffer_load_dword v103, off, s[0:3], 0 offset:36
	buffer_load_dword v104, off, s[0:3], 0 offset:44
	;; [unrolled: 1-line block ×48, first 2 shown]
	v_mov_b32_e32 v56, 0
	ds_read_b128 v[57:60], v56 offset:256
	ds_read_b128 v[61:64], v56 offset:272
	;; [unrolled: 1-line block ×7, first 2 shown]
	v_cmp_lt_u32_e32 vcc, 2, v0
	s_waitcnt vmcnt(47) lgkmcnt(6)
	v_mul_f32_e32 v85, v57, v103
	s_waitcnt vmcnt(46)
	v_mul_f32_e32 v86, v59, v104
	s_waitcnt vmcnt(45) lgkmcnt(5)
	v_mul_f32_e32 v87, v61, v105
	s_waitcnt vmcnt(44)
	v_mul_f32_e32 v88, v63, v106
	;; [unrolled: 4-line block ×6, first 2 shown]
	s_waitcnt vmcnt(35)
	v_fmac_f32_e32 v85, v58, v115
	v_mul_f32_e32 v58, v58, v103
	v_fma_f32 v57, v57, v115, -v58
	v_mul_f32_e32 v58, v60, v104
	v_add_f32_e32 v57, 0, v57
	s_waitcnt vmcnt(34)
	v_fma_f32 v58, v59, v116, -v58
	v_add_f32_e32 v57, v57, v58
	v_mul_f32_e32 v58, v62, v105
	s_waitcnt vmcnt(33)
	v_fma_f32 v58, v61, v117, -v58
	v_fmac_f32_e32 v86, v60, v116
	v_add_f32_e32 v85, 0, v85
	v_add_f32_e32 v57, v57, v58
	v_mul_f32_e32 v58, v64, v106
	v_fmac_f32_e32 v87, v62, v117
	v_add_f32_e32 v85, v85, v86
	s_waitcnt vmcnt(32)
	v_fma_f32 v58, v63, v118, -v58
	v_fmac_f32_e32 v88, v64, v118
	v_add_f32_e32 v85, v85, v87
	v_add_f32_e32 v57, v57, v58
	v_mul_f32_e32 v58, v66, v107
	s_waitcnt vmcnt(31)
	v_fmac_f32_e32 v89, v66, v119
	v_add_f32_e32 v85, v85, v88
	v_fma_f32 v58, v65, v119, -v58
	s_waitcnt vmcnt(30)
	v_fmac_f32_e32 v90, v68, v120
	v_add_f32_e32 v85, v85, v89
	v_add_f32_e32 v57, v57, v58
	v_mul_f32_e32 v58, v68, v108
	s_waitcnt vmcnt(29)
	v_fmac_f32_e32 v91, v70, v121
	v_add_f32_e32 v85, v85, v90
	v_fma_f32 v58, v67, v120, -v58
	s_waitcnt vmcnt(28)
	;; [unrolled: 9-line block ×4, first 2 shown]
	v_fmac_f32_e32 v96, v80, v126
	v_add_f32_e32 v85, v85, v95
	v_add_f32_e32 v57, v57, v58
	v_mul_f32_e32 v58, v74, v111
	v_add_f32_e32 v89, v85, v96
	ds_read_b128 v[85:88], v56 offset:368
	v_fma_f32 v58, v73, v123, -v58
	s_waitcnt vmcnt(23) lgkmcnt(1)
	v_mul_f32_e32 v90, v81, v127
	v_add_f32_e32 v57, v57, v58
	v_mul_f32_e32 v58, v76, v112
	s_waitcnt vmcnt(22)
	v_fmac_f32_e32 v90, v82, v128
	v_fma_f32 v58, v75, v124, -v58
	v_add_f32_e32 v89, v89, v90
	s_waitcnt vmcnt(21)
	v_mul_f32_e32 v90, v83, v129
	v_add_f32_e32 v57, v57, v58
	v_mul_f32_e32 v58, v78, v113
	s_waitcnt vmcnt(20)
	v_fmac_f32_e32 v90, v84, v130
	v_fma_f32 v58, v77, v125, -v58
	v_add_f32_e32 v89, v89, v90
	s_waitcnt vmcnt(19) lgkmcnt(0)
	v_mul_f32_e32 v90, v85, v131
	v_add_f32_e32 v57, v57, v58
	v_mul_f32_e32 v58, v80, v114
	s_waitcnt vmcnt(18)
	v_fmac_f32_e32 v90, v86, v132
	v_fma_f32 v58, v79, v126, -v58
	v_add_f32_e32 v93, v89, v90
	ds_read_b128 v[89:92], v56 offset:384
	v_add_f32_e32 v57, v57, v58
	v_mul_f32_e32 v58, v82, v127
	v_fma_f32 v58, v81, v128, -v58
	s_waitcnt vmcnt(17)
	v_mul_f32_e32 v94, v87, v133
	v_add_f32_e32 v57, v57, v58
	v_mul_f32_e32 v58, v84, v129
	s_waitcnt vmcnt(16)
	v_fmac_f32_e32 v94, v88, v134
	v_fma_f32 v58, v83, v130, -v58
	v_add_f32_e32 v97, v93, v94
	ds_read_b128 v[93:96], v56 offset:400
	v_add_f32_e32 v57, v57, v58
	v_mul_f32_e32 v58, v86, v131
	s_waitcnt vmcnt(15) lgkmcnt(1)
	v_mul_f32_e32 v98, v89, v135
	v_fma_f32 v58, v85, v132, -v58
	s_waitcnt vmcnt(14)
	v_fmac_f32_e32 v98, v90, v136
	v_add_f32_e32 v57, v57, v58
	v_mul_f32_e32 v58, v88, v133
	v_add_f32_e32 v97, v97, v98
	s_waitcnt vmcnt(13)
	v_mul_f32_e32 v98, v91, v137
	v_fma_f32 v58, v87, v134, -v58
	s_waitcnt vmcnt(12)
	v_fmac_f32_e32 v98, v92, v138
	v_add_f32_e32 v57, v57, v58
	v_mul_f32_e32 v58, v90, v135
	v_add_f32_e32 v97, v97, v98
	s_waitcnt vmcnt(11) lgkmcnt(0)
	v_mul_f32_e32 v98, v93, v139
	v_fma_f32 v58, v89, v136, -v58
	s_waitcnt vmcnt(10)
	v_fmac_f32_e32 v98, v94, v140
	v_add_f32_e32 v57, v57, v58
	v_mul_f32_e32 v58, v92, v137
	v_add_f32_e32 v101, v97, v98
	ds_read_b128 v[97:100], v56 offset:416
	v_fma_f32 v58, v91, v138, -v58
	v_add_f32_e32 v57, v57, v58
	v_mul_f32_e32 v58, v94, v139
	s_waitcnt vmcnt(9)
	v_mul_f32_e32 v102, v95, v141
	v_fma_f32 v58, v93, v140, -v58
	s_waitcnt vmcnt(8)
	v_fmac_f32_e32 v102, v96, v142
	v_add_f32_e32 v57, v57, v58
	v_mul_f32_e32 v58, v96, v141
	v_add_f32_e32 v151, v101, v102
	ds_read_b64 v[101:102], v56 offset:432
	v_fma_f32 v58, v95, v142, -v58
	v_add_f32_e32 v57, v57, v58
	s_waitcnt vmcnt(6) lgkmcnt(1)
	v_mul_f32_e32 v58, v98, v144
	v_mul_f32_e32 v152, v97, v144
	v_fma_f32 v58, v97, v143, -v58
	v_fmac_f32_e32 v152, v98, v143
	v_add_f32_e32 v57, v57, v58
	s_waitcnt vmcnt(3)
	v_mul_f32_e32 v58, v100, v147
	v_add_f32_e32 v151, v151, v152
	v_mul_f32_e32 v152, v99, v147
	s_waitcnt vmcnt(2)
	v_fma_f32 v58, v99, v148, -v58
	v_fmac_f32_e32 v152, v100, v148
	v_add_f32_e32 v57, v57, v58
	s_waitcnt vmcnt(0) lgkmcnt(0)
	v_mul_f32_e32 v58, v102, v150
	v_add_f32_e32 v151, v151, v152
	v_mul_f32_e32 v152, v101, v150
	v_fma_f32 v58, v101, v149, -v58
	v_fmac_f32_e32 v152, v102, v149
	v_add_f32_e32 v57, v57, v58
	v_add_f32_e32 v151, v151, v152
	v_sub_f32_e32 v57, v145, v57
	v_sub_f32_e32 v58, v146, v151
	buffer_store_dword v57, off, s[0:3], 0 offset:24
	buffer_store_dword v58, off, s[0:3], 0 offset:28
	s_and_saveexec_b64 s[4:5], vcc
	s_cbranch_execz .LBB26_171
; %bb.170:
	buffer_load_dword v57, off, s[0:3], 0 offset:16
	buffer_load_dword v58, off, s[0:3], 0 offset:20
	s_waitcnt vmcnt(0)
	ds_write_b64 v55, v[57:58]
	buffer_store_dword v56, off, s[0:3], 0 offset:16
	buffer_store_dword v56, off, s[0:3], 0 offset:20
.LBB26_171:
	s_or_b64 exec, exec, s[4:5]
	s_waitcnt lgkmcnt(0)
	; wave barrier
	buffer_load_dword v105, off, s[0:3], 0 offset:28
	buffer_load_dword v106, off, s[0:3], 0 offset:36
	;; [unrolled: 1-line block ×48, first 2 shown]
	ds_read2_b64 v[57:60], v56 offset0:31 offset1:32
	ds_read2_b64 v[61:64], v56 offset0:33 offset1:34
	buffer_load_dword v153, off, s[0:3], 0 offset:208
	buffer_load_dword v154, off, s[0:3], 0 offset:212
	ds_read2_b64 v[65:68], v56 offset0:35 offset1:36
	ds_read2_b64 v[69:72], v56 offset0:37 offset1:38
	;; [unrolled: 1-line block ×5, first 2 shown]
	v_cmp_lt_u32_e32 vcc, 1, v0
	s_waitcnt vmcnt(49) lgkmcnt(6)
	v_mul_f32_e32 v85, v57, v105
	s_waitcnt vmcnt(48)
	v_mul_f32_e32 v86, v59, v106
	s_waitcnt vmcnt(47) lgkmcnt(5)
	v_mul_f32_e32 v87, v61, v107
	s_waitcnt vmcnt(46)
	v_mul_f32_e32 v88, v63, v108
	;; [unrolled: 4-line block ×6, first 2 shown]
	s_waitcnt vmcnt(37)
	v_fmac_f32_e32 v85, v58, v117
	v_mul_f32_e32 v58, v58, v105
	v_fma_f32 v57, v57, v117, -v58
	v_mul_f32_e32 v58, v60, v106
	v_add_f32_e32 v57, 0, v57
	s_waitcnt vmcnt(36)
	v_fma_f32 v58, v59, v118, -v58
	v_add_f32_e32 v57, v57, v58
	v_mul_f32_e32 v58, v62, v107
	s_waitcnt vmcnt(35)
	v_fma_f32 v58, v61, v119, -v58
	v_fmac_f32_e32 v86, v60, v118
	v_add_f32_e32 v85, 0, v85
	v_add_f32_e32 v57, v57, v58
	v_mul_f32_e32 v58, v64, v108
	v_fmac_f32_e32 v87, v62, v119
	v_add_f32_e32 v85, v85, v86
	s_waitcnt vmcnt(34)
	v_fma_f32 v58, v63, v120, -v58
	v_fmac_f32_e32 v88, v64, v120
	v_add_f32_e32 v85, v85, v87
	v_add_f32_e32 v57, v57, v58
	v_mul_f32_e32 v58, v66, v109
	s_waitcnt vmcnt(33)
	v_fmac_f32_e32 v89, v66, v121
	v_add_f32_e32 v85, v85, v88
	v_fma_f32 v58, v65, v121, -v58
	s_waitcnt vmcnt(32)
	v_fmac_f32_e32 v90, v68, v122
	v_add_f32_e32 v85, v85, v89
	v_add_f32_e32 v57, v57, v58
	v_mul_f32_e32 v58, v68, v110
	s_waitcnt vmcnt(31)
	v_fmac_f32_e32 v91, v70, v123
	v_add_f32_e32 v85, v85, v90
	v_fma_f32 v58, v67, v122, -v58
	s_waitcnt vmcnt(30)
	;; [unrolled: 9-line block ×3, first 2 shown]
	v_fmac_f32_e32 v94, v76, v126
	v_add_f32_e32 v85, v85, v93
	v_add_f32_e32 v57, v57, v58
	v_mul_f32_e32 v58, v72, v112
	s_waitcnt vmcnt(27)
	v_fmac_f32_e32 v95, v78, v127
	v_add_f32_e32 v85, v85, v94
	v_fma_f32 v58, v71, v124, -v58
	v_add_f32_e32 v85, v85, v95
	s_waitcnt vmcnt(26)
	v_fmac_f32_e32 v96, v80, v128
	v_add_f32_e32 v57, v57, v58
	v_mul_f32_e32 v58, v74, v113
	v_add_f32_e32 v89, v85, v96
	ds_read2_b64 v[85:88], v56 offset0:45 offset1:46
	v_fma_f32 v58, v73, v125, -v58
	s_waitcnt vmcnt(25) lgkmcnt(1)
	v_mul_f32_e32 v90, v81, v129
	v_add_f32_e32 v57, v57, v58
	v_mul_f32_e32 v58, v76, v114
	s_waitcnt vmcnt(24)
	v_fmac_f32_e32 v90, v82, v130
	v_fma_f32 v58, v75, v126, -v58
	v_add_f32_e32 v89, v89, v90
	s_waitcnt vmcnt(23)
	v_mul_f32_e32 v90, v83, v131
	v_add_f32_e32 v57, v57, v58
	v_mul_f32_e32 v58, v78, v115
	s_waitcnt vmcnt(22)
	v_fmac_f32_e32 v90, v84, v132
	v_fma_f32 v58, v77, v127, -v58
	v_add_f32_e32 v89, v89, v90
	s_waitcnt vmcnt(21) lgkmcnt(0)
	v_mul_f32_e32 v90, v85, v133
	v_add_f32_e32 v57, v57, v58
	v_mul_f32_e32 v58, v80, v116
	s_waitcnt vmcnt(20)
	v_fmac_f32_e32 v90, v86, v134
	v_fma_f32 v58, v79, v128, -v58
	v_add_f32_e32 v93, v89, v90
	ds_read2_b64 v[89:92], v56 offset0:47 offset1:48
	v_add_f32_e32 v57, v57, v58
	v_mul_f32_e32 v58, v82, v129
	v_fma_f32 v58, v81, v130, -v58
	s_waitcnt vmcnt(19)
	v_mul_f32_e32 v94, v87, v135
	v_add_f32_e32 v57, v57, v58
	v_mul_f32_e32 v58, v84, v131
	s_waitcnt vmcnt(18)
	v_fmac_f32_e32 v94, v88, v136
	v_fma_f32 v58, v83, v132, -v58
	v_add_f32_e32 v97, v93, v94
	ds_read2_b64 v[93:96], v56 offset0:49 offset1:50
	v_add_f32_e32 v57, v57, v58
	v_mul_f32_e32 v58, v86, v133
	s_waitcnt vmcnt(17) lgkmcnt(1)
	v_mul_f32_e32 v98, v89, v137
	v_fma_f32 v58, v85, v134, -v58
	s_waitcnt vmcnt(16)
	v_fmac_f32_e32 v98, v90, v138
	v_add_f32_e32 v57, v57, v58
	v_mul_f32_e32 v58, v88, v135
	v_add_f32_e32 v97, v97, v98
	s_waitcnt vmcnt(15)
	v_mul_f32_e32 v98, v91, v139
	v_fma_f32 v58, v87, v136, -v58
	s_waitcnt vmcnt(14)
	v_fmac_f32_e32 v98, v92, v140
	v_add_f32_e32 v57, v57, v58
	v_mul_f32_e32 v58, v90, v137
	v_add_f32_e32 v97, v97, v98
	s_waitcnt vmcnt(13) lgkmcnt(0)
	v_mul_f32_e32 v98, v93, v141
	v_fma_f32 v58, v89, v138, -v58
	s_waitcnt vmcnt(12)
	v_fmac_f32_e32 v98, v94, v142
	v_add_f32_e32 v57, v57, v58
	v_mul_f32_e32 v58, v92, v139
	v_add_f32_e32 v101, v97, v98
	ds_read2_b64 v[97:100], v56 offset0:51 offset1:52
	v_fma_f32 v58, v91, v140, -v58
	v_add_f32_e32 v57, v57, v58
	v_mul_f32_e32 v58, v94, v141
	s_waitcnt vmcnt(11)
	v_mul_f32_e32 v102, v95, v143
	v_fma_f32 v58, v93, v142, -v58
	s_waitcnt vmcnt(10)
	v_fmac_f32_e32 v102, v96, v144
	v_add_f32_e32 v57, v57, v58
	v_mul_f32_e32 v58, v96, v143
	v_add_f32_e32 v155, v101, v102
	ds_read2_b64 v[101:104], v56 offset0:53 offset1:54
	v_fma_f32 v58, v95, v144, -v58
	v_add_f32_e32 v57, v57, v58
	s_waitcnt vmcnt(7) lgkmcnt(1)
	v_mul_f32_e32 v58, v98, v147
	v_mul_f32_e32 v56, v97, v147
	s_waitcnt vmcnt(6)
	v_fma_f32 v58, v97, v148, -v58
	v_fmac_f32_e32 v56, v98, v148
	v_add_f32_e32 v57, v57, v58
	s_waitcnt vmcnt(4)
	v_mul_f32_e32 v58, v100, v150
	v_add_f32_e32 v56, v155, v56
	v_mul_f32_e32 v155, v99, v150
	v_fma_f32 v58, v99, v149, -v58
	v_fmac_f32_e32 v155, v100, v149
	v_add_f32_e32 v57, v57, v58
	s_waitcnt vmcnt(2) lgkmcnt(0)
	v_mul_f32_e32 v58, v102, v152
	v_add_f32_e32 v56, v56, v155
	v_mul_f32_e32 v155, v101, v152
	v_fma_f32 v58, v101, v151, -v58
	v_fmac_f32_e32 v155, v102, v151
	v_add_f32_e32 v57, v57, v58
	s_waitcnt vmcnt(0)
	v_mul_f32_e32 v58, v104, v154
	v_add_f32_e32 v56, v56, v155
	v_mul_f32_e32 v155, v103, v154
	v_fma_f32 v58, v103, v153, -v58
	v_fmac_f32_e32 v155, v104, v153
	v_add_f32_e32 v57, v57, v58
	v_add_f32_e32 v56, v56, v155
	v_sub_f32_e32 v57, v145, v57
	v_sub_f32_e32 v56, v146, v56
	buffer_store_dword v57, off, s[0:3], 0 offset:16
	buffer_store_dword v56, off, s[0:3], 0 offset:20
	s_and_saveexec_b64 s[4:5], vcc
	s_cbranch_execz .LBB26_173
; %bb.172:
	buffer_load_dword v56, off, s[0:3], 0 offset:8
	buffer_load_dword v57, off, s[0:3], 0 offset:12
	v_mov_b32_e32 v58, 0
	buffer_store_dword v58, off, s[0:3], 0 offset:8
	buffer_store_dword v58, off, s[0:3], 0 offset:12
	s_waitcnt vmcnt(2)
	ds_write_b64 v55, v[56:57]
.LBB26_173:
	s_or_b64 exec, exec, s[4:5]
	s_waitcnt lgkmcnt(0)
	; wave barrier
	buffer_load_dword v107, off, s[0:3], 0 offset:20
	buffer_load_dword v108, off, s[0:3], 0 offset:28
	;; [unrolled: 1-line block ×52, first 2 shown]
	v_mov_b32_e32 v56, 0
	ds_read_b128 v[57:60], v56 offset:240
	ds_read_b128 v[61:64], v56 offset:256
	;; [unrolled: 1-line block ×6, first 2 shown]
	v_cmp_ne_u32_e32 vcc, 0, v0
	s_waitcnt vmcnt(51) lgkmcnt(5)
	v_mul_f32_e32 v81, v57, v107
	s_waitcnt vmcnt(50)
	v_mul_f32_e32 v82, v59, v108
	s_waitcnt vmcnt(49) lgkmcnt(4)
	v_mul_f32_e32 v83, v61, v109
	s_waitcnt vmcnt(48)
	v_mul_f32_e32 v84, v63, v110
	;; [unrolled: 4-line block ×5, first 2 shown]
	s_waitcnt vmcnt(41) lgkmcnt(0)
	v_mul_f32_e32 v91, v77, v117
	s_waitcnt vmcnt(40)
	v_fmac_f32_e32 v81, v58, v118
	v_mul_f32_e32 v58, v58, v107
	s_waitcnt vmcnt(39)
	v_fmac_f32_e32 v82, v60, v119
	v_add_f32_e32 v81, 0, v81
	v_fma_f32 v57, v57, v118, -v58
	v_mul_f32_e32 v58, v60, v108
	s_waitcnt vmcnt(38)
	v_fmac_f32_e32 v83, v62, v120
	v_add_f32_e32 v81, v81, v82
	v_add_f32_e32 v57, 0, v57
	v_fma_f32 v58, v59, v119, -v58
	s_waitcnt vmcnt(37)
	v_fmac_f32_e32 v84, v64, v121
	v_add_f32_e32 v81, v81, v83
	v_add_f32_e32 v57, v57, v58
	v_mul_f32_e32 v58, v62, v109
	s_waitcnt vmcnt(36)
	v_fmac_f32_e32 v85, v66, v122
	v_add_f32_e32 v81, v81, v84
	v_fma_f32 v58, v61, v120, -v58
	s_waitcnt vmcnt(35)
	v_fmac_f32_e32 v86, v68, v123
	v_add_f32_e32 v81, v81, v85
	v_add_f32_e32 v57, v57, v58
	v_mul_f32_e32 v58, v64, v110
	s_waitcnt vmcnt(34)
	v_fmac_f32_e32 v87, v70, v124
	;; [unrolled: 9-line block ×3, first 2 shown]
	v_add_f32_e32 v81, v81, v88
	v_fma_f32 v58, v65, v122, -v58
	s_waitcnt vmcnt(31)
	v_fmac_f32_e32 v90, v76, v127
	v_add_f32_e32 v81, v81, v89
	v_add_f32_e32 v57, v57, v58
	v_mul_f32_e32 v58, v68, v112
	v_add_f32_e32 v81, v81, v90
	s_waitcnt vmcnt(30)
	v_fmac_f32_e32 v91, v78, v128
	v_fma_f32 v58, v67, v123, -v58
	v_add_f32_e32 v85, v81, v91
	ds_read_b128 v[81:84], v56 offset:336
	v_add_f32_e32 v57, v57, v58
	v_mul_f32_e32 v58, v70, v113
	v_fma_f32 v58, v69, v124, -v58
	s_waitcnt vmcnt(29)
	v_mul_f32_e32 v86, v79, v129
	v_add_f32_e32 v57, v57, v58
	v_mul_f32_e32 v58, v72, v114
	s_waitcnt vmcnt(28)
	v_fmac_f32_e32 v86, v80, v130
	v_fma_f32 v58, v71, v125, -v58
	v_add_f32_e32 v89, v85, v86
	ds_read_b128 v[85:88], v56 offset:352
	v_add_f32_e32 v57, v57, v58
	v_mul_f32_e32 v58, v74, v115
	s_waitcnt vmcnt(27) lgkmcnt(1)
	v_mul_f32_e32 v90, v81, v131
	v_fma_f32 v58, v73, v126, -v58
	s_waitcnt vmcnt(26)
	v_fmac_f32_e32 v90, v82, v132
	v_add_f32_e32 v57, v57, v58
	v_mul_f32_e32 v58, v76, v116
	v_add_f32_e32 v89, v89, v90
	s_waitcnt vmcnt(25)
	v_mul_f32_e32 v90, v83, v133
	v_fma_f32 v58, v75, v127, -v58
	s_waitcnt vmcnt(24)
	v_fmac_f32_e32 v90, v84, v134
	v_add_f32_e32 v57, v57, v58
	v_mul_f32_e32 v58, v78, v117
	v_add_f32_e32 v89, v89, v90
	s_waitcnt vmcnt(23) lgkmcnt(0)
	v_mul_f32_e32 v90, v85, v135
	v_fma_f32 v58, v77, v128, -v58
	s_waitcnt vmcnt(22)
	v_fmac_f32_e32 v90, v86, v136
	v_add_f32_e32 v57, v57, v58
	v_mul_f32_e32 v58, v80, v129
	v_add_f32_e32 v93, v89, v90
	ds_read_b128 v[89:92], v56 offset:368
	v_fma_f32 v58, v79, v130, -v58
	v_add_f32_e32 v57, v57, v58
	v_mul_f32_e32 v58, v82, v131
	s_waitcnt vmcnt(21)
	v_mul_f32_e32 v94, v87, v137
	v_fma_f32 v58, v81, v132, -v58
	s_waitcnt vmcnt(20)
	v_fmac_f32_e32 v94, v88, v138
	v_add_f32_e32 v57, v57, v58
	v_mul_f32_e32 v58, v84, v133
	v_add_f32_e32 v97, v93, v94
	ds_read_b128 v[93:96], v56 offset:384
	v_fma_f32 v58, v83, v134, -v58
	s_waitcnt vmcnt(19) lgkmcnt(1)
	v_mul_f32_e32 v98, v89, v139
	v_add_f32_e32 v57, v57, v58
	v_mul_f32_e32 v58, v86, v135
	s_waitcnt vmcnt(18)
	v_fmac_f32_e32 v98, v90, v140
	v_fma_f32 v58, v85, v136, -v58
	v_add_f32_e32 v97, v97, v98
	s_waitcnt vmcnt(17)
	v_mul_f32_e32 v98, v91, v141
	v_add_f32_e32 v57, v57, v58
	v_mul_f32_e32 v58, v88, v137
	s_waitcnt vmcnt(16)
	v_fmac_f32_e32 v98, v92, v142
	v_fma_f32 v58, v87, v138, -v58
	v_add_f32_e32 v97, v97, v98
	s_waitcnt vmcnt(14) lgkmcnt(0)
	v_mul_f32_e32 v98, v93, v144
	v_add_f32_e32 v57, v57, v58
	v_mul_f32_e32 v58, v90, v139
	v_fmac_f32_e32 v98, v94, v143
	v_fma_f32 v58, v89, v140, -v58
	v_add_f32_e32 v101, v97, v98
	ds_read_b128 v[97:100], v56 offset:400
	v_add_f32_e32 v57, v57, v58
	v_mul_f32_e32 v58, v92, v141
	v_fma_f32 v58, v91, v142, -v58
	v_add_f32_e32 v57, v57, v58
	v_mul_f32_e32 v58, v94, v144
	s_waitcnt vmcnt(11)
	v_mul_f32_e32 v102, v95, v147
	v_fma_f32 v58, v93, v143, -v58
	s_waitcnt vmcnt(10)
	v_fmac_f32_e32 v102, v96, v148
	v_add_f32_e32 v57, v57, v58
	v_mul_f32_e32 v58, v96, v147
	v_add_f32_e32 v105, v101, v102
	ds_read_b128 v[101:104], v56 offset:416
	s_waitcnt vmcnt(8) lgkmcnt(1)
	v_mul_f32_e32 v106, v97, v150
	v_fma_f32 v58, v95, v148, -v58
	v_fmac_f32_e32 v106, v98, v149
	v_add_f32_e32 v57, v57, v58
	v_mul_f32_e32 v58, v98, v150
	v_add_f32_e32 v105, v105, v106
	s_waitcnt vmcnt(6)
	v_mul_f32_e32 v106, v99, v152
	v_fma_f32 v58, v97, v149, -v58
	v_fmac_f32_e32 v106, v100, v151
	v_add_f32_e32 v57, v57, v58
	v_mul_f32_e32 v58, v100, v152
	v_add_f32_e32 v159, v105, v106
	ds_read_b64 v[105:106], v56 offset:432
	v_fma_f32 v58, v99, v151, -v58
	v_add_f32_e32 v57, v57, v58
	s_waitcnt vmcnt(4) lgkmcnt(1)
	v_mul_f32_e32 v58, v102, v154
	v_mul_f32_e32 v160, v101, v154
	v_fma_f32 v58, v101, v153, -v58
	v_fmac_f32_e32 v160, v102, v153
	v_add_f32_e32 v57, v57, v58
	s_waitcnt vmcnt(2)
	v_mul_f32_e32 v58, v104, v156
	v_add_f32_e32 v159, v159, v160
	v_mul_f32_e32 v160, v103, v156
	v_fma_f32 v58, v103, v155, -v58
	v_fmac_f32_e32 v160, v104, v155
	v_add_f32_e32 v57, v57, v58
	s_waitcnt vmcnt(0) lgkmcnt(0)
	v_mul_f32_e32 v58, v106, v158
	v_add_f32_e32 v159, v159, v160
	v_mul_f32_e32 v160, v105, v158
	v_fma_f32 v58, v105, v157, -v58
	v_fmac_f32_e32 v160, v106, v157
	v_add_f32_e32 v57, v57, v58
	v_add_f32_e32 v159, v159, v160
	v_sub_f32_e32 v57, v145, v57
	v_sub_f32_e32 v58, v146, v159
	buffer_store_dword v57, off, s[0:3], 0 offset:8
	buffer_store_dword v58, off, s[0:3], 0 offset:12
	s_and_saveexec_b64 s[4:5], vcc
	s_cbranch_execz .LBB26_175
; %bb.174:
	buffer_load_dword v57, off, s[0:3], 0
	buffer_load_dword v58, off, s[0:3], 0 offset:4
	s_waitcnt vmcnt(0)
	ds_write_b64 v55, v[57:58]
	buffer_store_dword v56, off, s[0:3], 0
	buffer_store_dword v56, off, s[0:3], 0 offset:4
.LBB26_175:
	s_or_b64 exec, exec, s[4:5]
	s_waitcnt lgkmcnt(0)
	; wave barrier
	buffer_load_dword v0, off, s[0:3], 0 offset:12
	buffer_load_dword v55, off, s[0:3], 0 offset:20
	;; [unrolled: 1-line block ×36, first 2 shown]
	buffer_load_dword v143, off, s[0:3], 0
	buffer_load_dword v144, off, s[0:3], 0 offset:4
	buffer_load_dword v145, off, s[0:3], 0 offset:156
	;; [unrolled: 1-line block ×5, first 2 shown]
	ds_read2_b64 v[57:60], v56 offset0:29 offset1:30
	ds_read2_b64 v[61:64], v56 offset0:31 offset1:32
	;; [unrolled: 1-line block ×4, first 2 shown]
	buffer_load_dword v149, off, s[0:3], 0 offset:172
	buffer_load_dword v150, off, s[0:3], 0 offset:168
	;; [unrolled: 1-line block ×6, first 2 shown]
	ds_read2_b64 v[73:76], v56 offset0:37 offset1:38
	ds_read2_b64 v[77:80], v56 offset0:39 offset1:40
	buffer_load_dword v155, off, s[0:3], 0 offset:192
	buffer_load_dword v156, off, s[0:3], 0 offset:196
	;; [unrolled: 1-line block ×6, first 2 shown]
	s_and_b64 vcc, exec, s[22:23]
	s_waitcnt vmcnt(53) lgkmcnt(5)
	v_mul_f32_e32 v81, v57, v0
	s_waitcnt vmcnt(52)
	v_mul_f32_e32 v82, v59, v55
	v_mul_f32_e32 v0, v58, v0
	s_waitcnt vmcnt(51) lgkmcnt(4)
	v_mul_f32_e32 v83, v61, v109
	v_mul_f32_e32 v55, v60, v55
	s_waitcnt vmcnt(50)
	v_mul_f32_e32 v84, v63, v110
	s_waitcnt vmcnt(49) lgkmcnt(3)
	v_mul_f32_e32 v85, v65, v111
	s_waitcnt vmcnt(48)
	v_mul_f32_e32 v86, v67, v112
	s_waitcnt vmcnt(47) lgkmcnt(2)
	v_mul_f32_e32 v87, v69, v113
	s_waitcnt vmcnt(46)
	v_mul_f32_e32 v88, v71, v114
	s_waitcnt vmcnt(43)
	v_fmac_f32_e32 v81, v58, v117
	s_waitcnt vmcnt(42)
	v_fmac_f32_e32 v82, v60, v118
	v_add_f32_e32 v81, 0, v81
	v_fma_f32 v0, v57, v117, -v0
	s_waitcnt vmcnt(41)
	v_fmac_f32_e32 v83, v62, v119
	v_add_f32_e32 v81, v81, v82
	v_add_f32_e32 v0, 0, v0
	v_fma_f32 v55, v59, v118, -v55
	s_waitcnt vmcnt(40)
	v_fmac_f32_e32 v84, v64, v120
	v_add_f32_e32 v81, v81, v83
	v_add_f32_e32 v0, v0, v55
	v_mul_f32_e32 v55, v62, v109
	s_waitcnt vmcnt(39)
	v_fmac_f32_e32 v85, v66, v121
	v_add_f32_e32 v81, v81, v84
	v_fma_f32 v55, v61, v119, -v55
	s_waitcnt vmcnt(38)
	v_fmac_f32_e32 v86, v68, v122
	v_add_f32_e32 v81, v81, v85
	v_add_f32_e32 v0, v0, v55
	v_mul_f32_e32 v55, v64, v110
	s_waitcnt vmcnt(37)
	v_fmac_f32_e32 v87, v70, v123
	v_add_f32_e32 v81, v81, v86
	v_fma_f32 v55, v63, v120, -v55
	s_waitcnt lgkmcnt(1)
	v_mul_f32_e32 v89, v73, v115
	s_waitcnt vmcnt(36)
	v_fmac_f32_e32 v88, v72, v124
	v_add_f32_e32 v81, v81, v87
	v_add_f32_e32 v0, v0, v55
	v_mul_f32_e32 v55, v66, v111
	v_mul_f32_e32 v90, v75, v116
	s_waitcnt vmcnt(35)
	v_fmac_f32_e32 v89, v74, v125
	v_add_f32_e32 v81, v81, v88
	v_fma_f32 v55, v65, v121, -v55
	s_waitcnt vmcnt(34)
	v_fmac_f32_e32 v90, v76, v126
	v_add_f32_e32 v81, v81, v89
	s_waitcnt vmcnt(33) lgkmcnt(0)
	v_mul_f32_e32 v82, v77, v127
	v_add_f32_e32 v0, v0, v55
	v_mul_f32_e32 v55, v68, v112
	v_add_f32_e32 v81, v81, v90
	s_waitcnt vmcnt(32)
	v_fmac_f32_e32 v82, v78, v128
	v_fma_f32 v55, v67, v122, -v55
	v_add_f32_e32 v85, v81, v82
	ds_read2_b64 v[81:84], v56 offset0:41 offset1:42
	v_add_f32_e32 v0, v0, v55
	v_mul_f32_e32 v55, v70, v113
	v_fma_f32 v55, v69, v123, -v55
	s_waitcnt vmcnt(31)
	v_mul_f32_e32 v86, v79, v129
	v_add_f32_e32 v0, v0, v55
	v_mul_f32_e32 v55, v72, v114
	s_waitcnt vmcnt(30)
	v_fmac_f32_e32 v86, v80, v130
	v_fma_f32 v55, v71, v124, -v55
	v_add_f32_e32 v89, v85, v86
	ds_read2_b64 v[85:88], v56 offset0:43 offset1:44
	v_add_f32_e32 v0, v0, v55
	v_mul_f32_e32 v55, v74, v115
	s_waitcnt vmcnt(29) lgkmcnt(1)
	v_mul_f32_e32 v90, v81, v131
	v_fma_f32 v55, v73, v125, -v55
	s_waitcnt vmcnt(28)
	v_fmac_f32_e32 v90, v82, v132
	v_add_f32_e32 v0, v0, v55
	v_mul_f32_e32 v55, v76, v116
	v_add_f32_e32 v89, v89, v90
	s_waitcnt vmcnt(27)
	v_mul_f32_e32 v90, v83, v133
	v_fma_f32 v55, v75, v126, -v55
	s_waitcnt vmcnt(26)
	v_fmac_f32_e32 v90, v84, v134
	v_add_f32_e32 v0, v0, v55
	v_mul_f32_e32 v55, v78, v127
	v_add_f32_e32 v89, v89, v90
	s_waitcnt vmcnt(25) lgkmcnt(0)
	v_mul_f32_e32 v90, v85, v135
	v_fma_f32 v55, v77, v128, -v55
	s_waitcnt vmcnt(24)
	v_fmac_f32_e32 v90, v86, v136
	v_add_f32_e32 v0, v0, v55
	v_mul_f32_e32 v55, v80, v129
	v_add_f32_e32 v93, v89, v90
	ds_read2_b64 v[89:92], v56 offset0:45 offset1:46
	v_fma_f32 v55, v79, v130, -v55
	v_add_f32_e32 v0, v0, v55
	v_mul_f32_e32 v55, v82, v131
	s_waitcnt vmcnt(23)
	v_mul_f32_e32 v94, v87, v137
	v_fma_f32 v55, v81, v132, -v55
	s_waitcnt vmcnt(22)
	v_fmac_f32_e32 v94, v88, v138
	v_add_f32_e32 v0, v0, v55
	v_mul_f32_e32 v55, v84, v133
	v_add_f32_e32 v97, v93, v94
	ds_read2_b64 v[93:96], v56 offset0:47 offset1:48
	v_fma_f32 v55, v83, v134, -v55
	s_waitcnt vmcnt(21) lgkmcnt(1)
	v_mul_f32_e32 v98, v89, v139
	v_add_f32_e32 v0, v0, v55
	v_mul_f32_e32 v55, v86, v135
	s_waitcnt vmcnt(20)
	v_fmac_f32_e32 v98, v90, v140
	v_fma_f32 v55, v85, v136, -v55
	v_add_f32_e32 v97, v97, v98
	s_waitcnt vmcnt(18)
	v_mul_f32_e32 v98, v91, v142
	v_add_f32_e32 v0, v0, v55
	v_mul_f32_e32 v55, v88, v137
	v_fmac_f32_e32 v98, v92, v141
	v_fma_f32 v55, v87, v138, -v55
	v_add_f32_e32 v97, v97, v98
	s_waitcnt vmcnt(15) lgkmcnt(0)
	v_mul_f32_e32 v98, v93, v145
	v_add_f32_e32 v0, v0, v55
	v_mul_f32_e32 v55, v90, v139
	s_waitcnt vmcnt(14)
	v_fmac_f32_e32 v98, v94, v146
	v_fma_f32 v55, v89, v140, -v55
	v_add_f32_e32 v101, v97, v98
	ds_read2_b64 v[97:100], v56 offset0:49 offset1:50
	v_add_f32_e32 v0, v0, v55
	v_mul_f32_e32 v55, v92, v142
	v_fma_f32 v55, v91, v141, -v55
	v_add_f32_e32 v0, v0, v55
	v_mul_f32_e32 v55, v94, v145
	s_waitcnt vmcnt(12)
	v_mul_f32_e32 v102, v95, v148
	v_fma_f32 v55, v93, v146, -v55
	v_fmac_f32_e32 v102, v96, v147
	v_add_f32_e32 v0, v0, v55
	v_mul_f32_e32 v55, v96, v148
	v_add_f32_e32 v105, v101, v102
	ds_read2_b64 v[101:104], v56 offset0:51 offset1:52
	s_waitcnt vmcnt(11) lgkmcnt(1)
	v_mul_f32_e32 v106, v97, v149
	v_fma_f32 v55, v95, v147, -v55
	s_waitcnt vmcnt(10)
	v_fmac_f32_e32 v106, v98, v150
	v_add_f32_e32 v0, v0, v55
	v_mul_f32_e32 v55, v98, v149
	v_add_f32_e32 v105, v105, v106
	s_waitcnt vmcnt(8)
	v_mul_f32_e32 v106, v99, v152
	v_fma_f32 v55, v97, v150, -v55
	v_fmac_f32_e32 v106, v100, v151
	v_add_f32_e32 v0, v0, v55
	v_mul_f32_e32 v55, v100, v152
	v_add_f32_e32 v161, v105, v106
	ds_read2_b64 v[105:108], v56 offset0:53 offset1:54
	v_fma_f32 v55, v99, v151, -v55
	v_add_f32_e32 v0, v0, v55
	s_waitcnt vmcnt(6) lgkmcnt(1)
	v_mul_f32_e32 v55, v102, v154
	v_mul_f32_e32 v162, v101, v154
	v_fma_f32 v55, v101, v153, -v55
	v_fmac_f32_e32 v162, v102, v153
	v_add_f32_e32 v0, v0, v55
	s_waitcnt vmcnt(4)
	v_mul_f32_e32 v55, v104, v156
	v_add_f32_e32 v56, v161, v162
	v_mul_f32_e32 v161, v103, v156
	v_fma_f32 v55, v103, v155, -v55
	v_fmac_f32_e32 v161, v104, v155
	v_add_f32_e32 v0, v0, v55
	s_waitcnt vmcnt(2) lgkmcnt(0)
	v_mul_f32_e32 v55, v106, v158
	v_add_f32_e32 v56, v56, v161
	v_mul_f32_e32 v161, v105, v158
	v_fma_f32 v55, v105, v157, -v55
	v_fmac_f32_e32 v161, v106, v157
	v_add_f32_e32 v0, v0, v55
	s_waitcnt vmcnt(0)
	v_mul_f32_e32 v55, v108, v160
	v_add_f32_e32 v56, v56, v161
	v_mul_f32_e32 v161, v107, v160
	v_fma_f32 v55, v107, v159, -v55
	v_fmac_f32_e32 v161, v108, v159
	v_add_f32_e32 v0, v0, v55
	v_add_f32_e32 v56, v56, v161
	v_sub_f32_e32 v0, v143, v0
	v_sub_f32_e32 v55, v144, v56
	buffer_store_dword v0, off, s[0:3], 0
	buffer_store_dword v55, off, s[0:3], 0 offset:4
	s_cbranch_vccz .LBB26_228
; %bb.176:
	v_mov_b32_e32 v0, 0
	global_load_dword v55, v0, s[20:21] offset:100
	s_waitcnt vmcnt(0)
	v_add_u32_e32 v55, -1, v55
	v_cmp_ne_u32_e32 vcc, 25, v55
	s_cbranch_vccz .LBB26_178
; %bb.177:
	v_lshlrev_b32_e32 v55, 3, v55
	buffer_load_dword v56, v55, s[0:3], 0 offen
	buffer_load_dword v57, v55, s[0:3], 0 offen offset:4
	buffer_load_dword v58, off, s[0:3], 0 offset:200
	buffer_load_dword v59, off, s[0:3], 0 offset:204
	s_waitcnt vmcnt(3)
	buffer_store_dword v56, off, s[0:3], 0 offset:200
	s_waitcnt vmcnt(3)
	buffer_store_dword v57, off, s[0:3], 0 offset:204
	s_waitcnt vmcnt(3)
	buffer_store_dword v58, v55, s[0:3], 0 offen
	s_waitcnt vmcnt(3)
	buffer_store_dword v59, v55, s[0:3], 0 offen offset:4
.LBB26_178:
	global_load_dword v0, v0, s[20:21] offset:96
	s_waitcnt vmcnt(0)
	v_add_u32_e32 v0, -1, v0
	v_cmp_eq_u32_e32 vcc, 24, v0
	s_cbranch_vccnz .LBB26_180
; %bb.179:
	v_lshlrev_b32_e32 v0, 3, v0
	buffer_load_dword v55, v0, s[0:3], 0 offen
	buffer_load_dword v56, v0, s[0:3], 0 offen offset:4
	buffer_load_dword v57, off, s[0:3], 0 offset:196
	buffer_load_dword v58, off, s[0:3], 0 offset:192
	s_waitcnt vmcnt(3)
	buffer_store_dword v55, off, s[0:3], 0 offset:192
	s_waitcnt vmcnt(3)
	buffer_store_dword v56, off, s[0:3], 0 offset:196
	s_waitcnt vmcnt(3)
	buffer_store_dword v57, v0, s[0:3], 0 offen offset:4
	s_waitcnt vmcnt(3)
	buffer_store_dword v58, v0, s[0:3], 0 offen
.LBB26_180:
	v_mov_b32_e32 v0, 0
	global_load_dword v55, v0, s[20:21] offset:92
	s_waitcnt vmcnt(0)
	v_add_u32_e32 v55, -1, v55
	v_cmp_eq_u32_e32 vcc, 23, v55
	s_cbranch_vccnz .LBB26_182
; %bb.181:
	v_lshlrev_b32_e32 v55, 3, v55
	buffer_load_dword v56, v55, s[0:3], 0 offen
	buffer_load_dword v57, v55, s[0:3], 0 offen offset:4
	buffer_load_dword v58, off, s[0:3], 0 offset:184
	buffer_load_dword v59, off, s[0:3], 0 offset:188
	s_waitcnt vmcnt(3)
	buffer_store_dword v56, off, s[0:3], 0 offset:184
	s_waitcnt vmcnt(3)
	buffer_store_dword v57, off, s[0:3], 0 offset:188
	s_waitcnt vmcnt(3)
	buffer_store_dword v58, v55, s[0:3], 0 offen
	s_waitcnt vmcnt(3)
	buffer_store_dword v59, v55, s[0:3], 0 offen offset:4
.LBB26_182:
	global_load_dword v0, v0, s[20:21] offset:88
	s_waitcnt vmcnt(0)
	v_add_u32_e32 v0, -1, v0
	v_cmp_eq_u32_e32 vcc, 22, v0
	s_cbranch_vccnz .LBB26_184
; %bb.183:
	v_lshlrev_b32_e32 v0, 3, v0
	buffer_load_dword v55, v0, s[0:3], 0 offen
	buffer_load_dword v56, v0, s[0:3], 0 offen offset:4
	buffer_load_dword v57, off, s[0:3], 0 offset:180
	buffer_load_dword v58, off, s[0:3], 0 offset:176
	s_waitcnt vmcnt(3)
	buffer_store_dword v55, off, s[0:3], 0 offset:176
	s_waitcnt vmcnt(3)
	buffer_store_dword v56, off, s[0:3], 0 offset:180
	s_waitcnt vmcnt(3)
	buffer_store_dword v57, v0, s[0:3], 0 offen offset:4
	s_waitcnt vmcnt(3)
	buffer_store_dword v58, v0, s[0:3], 0 offen
.LBB26_184:
	v_mov_b32_e32 v0, 0
	global_load_dword v55, v0, s[20:21] offset:84
	s_waitcnt vmcnt(0)
	v_add_u32_e32 v55, -1, v55
	v_cmp_eq_u32_e32 vcc, 21, v55
	s_cbranch_vccnz .LBB26_186
; %bb.185:
	v_lshlrev_b32_e32 v55, 3, v55
	buffer_load_dword v56, v55, s[0:3], 0 offen
	buffer_load_dword v57, v55, s[0:3], 0 offen offset:4
	buffer_load_dword v58, off, s[0:3], 0 offset:168
	buffer_load_dword v59, off, s[0:3], 0 offset:172
	s_waitcnt vmcnt(3)
	buffer_store_dword v56, off, s[0:3], 0 offset:168
	s_waitcnt vmcnt(3)
	buffer_store_dword v57, off, s[0:3], 0 offset:172
	s_waitcnt vmcnt(3)
	buffer_store_dword v58, v55, s[0:3], 0 offen
	s_waitcnt vmcnt(3)
	buffer_store_dword v59, v55, s[0:3], 0 offen offset:4
.LBB26_186:
	;; [unrolled: 41-line block ×12, first 2 shown]
	global_load_dword v0, v0, s[20:21]
	s_waitcnt vmcnt(0)
	v_add_u32_e32 v0, -1, v0
	v_cmp_eq_u32_e32 vcc, 0, v0
	s_cbranch_vccnz .LBB26_228
; %bb.227:
	v_lshlrev_b32_e32 v0, 3, v0
	buffer_load_dword v55, v0, s[0:3], 0 offen
	buffer_load_dword v56, v0, s[0:3], 0 offen offset:4
	buffer_load_dword v57, off, s[0:3], 0 offset:4
	buffer_load_dword v58, off, s[0:3], 0
	s_waitcnt vmcnt(3)
	buffer_store_dword v55, off, s[0:3], 0
	s_waitcnt vmcnt(3)
	buffer_store_dword v56, off, s[0:3], 0 offset:4
	s_waitcnt vmcnt(3)
	buffer_store_dword v57, v0, s[0:3], 0 offen offset:4
	s_waitcnt vmcnt(3)
	buffer_store_dword v58, v0, s[0:3], 0 offen
.LBB26_228:
	buffer_load_dword v55, off, s[0:3], 0
	buffer_load_dword v56, off, s[0:3], 0 offset:4
	buffer_load_dword v57, off, s[0:3], 0 offset:8
	s_nop 0
	buffer_load_dword v58, off, s[0:3], 0 offset:12
	buffer_load_dword v59, off, s[0:3], 0 offset:16
	;; [unrolled: 1-line block ×51, first 2 shown]
	s_waitcnt vmcnt(52)
	global_store_dwordx2 v[45:46], v[55:56], off
	s_waitcnt vmcnt(51)
	global_store_dwordx2 v[47:48], v[57:58], off
	;; [unrolled: 2-line block ×9, first 2 shown]
	global_store_dwordx2 v[15:16], v[73:74], off
	global_store_dwordx2 v[17:18], v[75:76], off
	;; [unrolled: 1-line block ×3, first 2 shown]
	s_waitcnt vmcnt(40)
	global_store_dwordx2 v[21:22], v[79:80], off
	s_waitcnt vmcnt(39)
	global_store_dwordx2 v[23:24], v[81:82], off
	;; [unrolled: 2-line block ×15, first 2 shown]
	s_endpgm
	.section	.rodata,"a",@progbits
	.p2align	6, 0x0
	.amdhsa_kernel _ZN9rocsolver6v33100L18getri_kernel_smallILi27E19rocblas_complex_numIfEPS3_EEvT1_iilPiilS6_bb
		.amdhsa_group_segment_fixed_size 440
		.amdhsa_private_segment_fixed_size 224
		.amdhsa_kernarg_size 60
		.amdhsa_user_sgpr_count 6
		.amdhsa_user_sgpr_private_segment_buffer 1
		.amdhsa_user_sgpr_dispatch_ptr 0
		.amdhsa_user_sgpr_queue_ptr 0
		.amdhsa_user_sgpr_kernarg_segment_ptr 1
		.amdhsa_user_sgpr_dispatch_id 0
		.amdhsa_user_sgpr_flat_scratch_init 0
		.amdhsa_user_sgpr_private_segment_size 0
		.amdhsa_uses_dynamic_stack 0
		.amdhsa_system_sgpr_private_segment_wavefront_offset 1
		.amdhsa_system_sgpr_workgroup_id_x 1
		.amdhsa_system_sgpr_workgroup_id_y 0
		.amdhsa_system_sgpr_workgroup_id_z 0
		.amdhsa_system_sgpr_workgroup_info 0
		.amdhsa_system_vgpr_workitem_id 0
		.amdhsa_next_free_vgpr 163
		.amdhsa_next_free_sgpr 24
		.amdhsa_reserve_vcc 1
		.amdhsa_reserve_flat_scratch 0
		.amdhsa_float_round_mode_32 0
		.amdhsa_float_round_mode_16_64 0
		.amdhsa_float_denorm_mode_32 3
		.amdhsa_float_denorm_mode_16_64 3
		.amdhsa_dx10_clamp 1
		.amdhsa_ieee_mode 1
		.amdhsa_fp16_overflow 0
		.amdhsa_exception_fp_ieee_invalid_op 0
		.amdhsa_exception_fp_denorm_src 0
		.amdhsa_exception_fp_ieee_div_zero 0
		.amdhsa_exception_fp_ieee_overflow 0
		.amdhsa_exception_fp_ieee_underflow 0
		.amdhsa_exception_fp_ieee_inexact 0
		.amdhsa_exception_int_div_zero 0
	.end_amdhsa_kernel
	.section	.text._ZN9rocsolver6v33100L18getri_kernel_smallILi27E19rocblas_complex_numIfEPS3_EEvT1_iilPiilS6_bb,"axG",@progbits,_ZN9rocsolver6v33100L18getri_kernel_smallILi27E19rocblas_complex_numIfEPS3_EEvT1_iilPiilS6_bb,comdat
.Lfunc_end26:
	.size	_ZN9rocsolver6v33100L18getri_kernel_smallILi27E19rocblas_complex_numIfEPS3_EEvT1_iilPiilS6_bb, .Lfunc_end26-_ZN9rocsolver6v33100L18getri_kernel_smallILi27E19rocblas_complex_numIfEPS3_EEvT1_iilPiilS6_bb
                                        ; -- End function
	.set _ZN9rocsolver6v33100L18getri_kernel_smallILi27E19rocblas_complex_numIfEPS3_EEvT1_iilPiilS6_bb.num_vgpr, 163
	.set _ZN9rocsolver6v33100L18getri_kernel_smallILi27E19rocblas_complex_numIfEPS3_EEvT1_iilPiilS6_bb.num_agpr, 0
	.set _ZN9rocsolver6v33100L18getri_kernel_smallILi27E19rocblas_complex_numIfEPS3_EEvT1_iilPiilS6_bb.numbered_sgpr, 24
	.set _ZN9rocsolver6v33100L18getri_kernel_smallILi27E19rocblas_complex_numIfEPS3_EEvT1_iilPiilS6_bb.num_named_barrier, 0
	.set _ZN9rocsolver6v33100L18getri_kernel_smallILi27E19rocblas_complex_numIfEPS3_EEvT1_iilPiilS6_bb.private_seg_size, 224
	.set _ZN9rocsolver6v33100L18getri_kernel_smallILi27E19rocblas_complex_numIfEPS3_EEvT1_iilPiilS6_bb.uses_vcc, 1
	.set _ZN9rocsolver6v33100L18getri_kernel_smallILi27E19rocblas_complex_numIfEPS3_EEvT1_iilPiilS6_bb.uses_flat_scratch, 0
	.set _ZN9rocsolver6v33100L18getri_kernel_smallILi27E19rocblas_complex_numIfEPS3_EEvT1_iilPiilS6_bb.has_dyn_sized_stack, 0
	.set _ZN9rocsolver6v33100L18getri_kernel_smallILi27E19rocblas_complex_numIfEPS3_EEvT1_iilPiilS6_bb.has_recursion, 0
	.set _ZN9rocsolver6v33100L18getri_kernel_smallILi27E19rocblas_complex_numIfEPS3_EEvT1_iilPiilS6_bb.has_indirect_call, 0
	.section	.AMDGPU.csdata,"",@progbits
; Kernel info:
; codeLenInByte = 34032
; TotalNumSgprs: 28
; NumVgprs: 163
; ScratchSize: 224
; MemoryBound: 0
; FloatMode: 240
; IeeeMode: 1
; LDSByteSize: 440 bytes/workgroup (compile time only)
; SGPRBlocks: 3
; VGPRBlocks: 40
; NumSGPRsForWavesPerEU: 28
; NumVGPRsForWavesPerEU: 163
; Occupancy: 1
; WaveLimiterHint : 1
; COMPUTE_PGM_RSRC2:SCRATCH_EN: 1
; COMPUTE_PGM_RSRC2:USER_SGPR: 6
; COMPUTE_PGM_RSRC2:TRAP_HANDLER: 0
; COMPUTE_PGM_RSRC2:TGID_X_EN: 1
; COMPUTE_PGM_RSRC2:TGID_Y_EN: 0
; COMPUTE_PGM_RSRC2:TGID_Z_EN: 0
; COMPUTE_PGM_RSRC2:TIDIG_COMP_CNT: 0
	.section	.text._ZN9rocsolver6v33100L18getri_kernel_smallILi28E19rocblas_complex_numIfEPS3_EEvT1_iilPiilS6_bb,"axG",@progbits,_ZN9rocsolver6v33100L18getri_kernel_smallILi28E19rocblas_complex_numIfEPS3_EEvT1_iilPiilS6_bb,comdat
	.globl	_ZN9rocsolver6v33100L18getri_kernel_smallILi28E19rocblas_complex_numIfEPS3_EEvT1_iilPiilS6_bb ; -- Begin function _ZN9rocsolver6v33100L18getri_kernel_smallILi28E19rocblas_complex_numIfEPS3_EEvT1_iilPiilS6_bb
	.p2align	8
	.type	_ZN9rocsolver6v33100L18getri_kernel_smallILi28E19rocblas_complex_numIfEPS3_EEvT1_iilPiilS6_bb,@function
_ZN9rocsolver6v33100L18getri_kernel_smallILi28E19rocblas_complex_numIfEPS3_EEvT1_iilPiilS6_bb: ; @_ZN9rocsolver6v33100L18getri_kernel_smallILi28E19rocblas_complex_numIfEPS3_EEvT1_iilPiilS6_bb
; %bb.0:
	s_add_u32 s0, s0, s7
	s_addc_u32 s1, s1, 0
	v_cmp_gt_u32_e32 vcc, 28, v0
	s_and_saveexec_b64 s[8:9], vcc
	s_cbranch_execz .LBB27_126
; %bb.1:
	s_load_dword s12, s[4:5], 0x38
	s_load_dwordx4 s[16:19], s[4:5], 0x10
	s_load_dwordx4 s[8:11], s[4:5], 0x28
                                        ; implicit-def: $sgpr20_sgpr21
	s_waitcnt lgkmcnt(0)
	s_bitcmp1_b32 s12, 8
	s_cselect_b64 s[22:23], -1, 0
	s_ashr_i32 s7, s6, 31
	s_bfe_u32 s12, s12, 0x10008
	s_cmp_eq_u32 s12, 0
	s_cbranch_scc1 .LBB27_3
; %bb.2:
	s_load_dword s12, s[4:5], 0x20
	s_mul_i32 s13, s8, s7
	s_mul_hi_u32 s14, s8, s6
	s_mul_i32 s9, s9, s6
	s_add_i32 s14, s14, s13
	s_add_i32 s9, s14, s9
	s_mul_i32 s8, s8, s6
	s_waitcnt lgkmcnt(0)
	s_ashr_i32 s13, s12, 31
	s_lshl_b64 s[8:9], s[8:9], 2
	s_add_u32 s14, s18, s8
	s_addc_u32 s15, s19, s9
	s_lshl_b64 s[8:9], s[12:13], 2
	s_add_u32 s20, s14, s8
	s_addc_u32 s21, s15, s9
.LBB27_3:
	s_load_dwordx4 s[12:15], s[4:5], 0x0
	s_load_dword s8, s[4:5], 0x38
	s_mul_i32 s9, s16, s7
	s_mul_hi_u32 s18, s16, s6
	s_add_i32 s9, s18, s9
	s_waitcnt lgkmcnt(0)
	s_ashr_i32 s5, s14, 31
	s_mov_b32 s4, s14
	s_mul_i32 s14, s17, s6
	s_add_i32 s17, s9, s14
	s_mul_i32 s16, s16, s6
	s_lshl_b64 s[16:17], s[16:17], 3
	s_add_u32 s9, s12, s16
	s_addc_u32 s12, s13, s17
	s_lshl_b64 s[4:5], s[4:5], 3
	s_add_u32 s4, s9, s4
	s_addc_u32 s5, s12, s5
	v_lshlrev_b32_e32 v75, 3, v0
	s_add_i32 s9, s15, s15
	v_mov_b32_e32 v2, s5
	v_add_co_u32_e32 v1, vcc, s4, v75
	s_ashr_i32 s13, s15, 31
	s_mov_b32 s12, s15
	v_add_u32_e32 v7, s9, v0
	v_addc_co_u32_e32 v2, vcc, 0, v2, vcc
	s_lshl_b64 s[12:13], s[12:13], 3
	v_ashrrev_i32_e32 v8, 31, v7
	v_mov_b32_e32 v4, s13
	v_add_co_u32_e32 v3, vcc, s12, v1
	v_lshlrev_b64 v[5:6], 3, v[7:8]
	v_addc_co_u32_e32 v4, vcc, v2, v4, vcc
	v_add_u32_e32 v9, s15, v7
	v_mov_b32_e32 v8, s5
	v_add_co_u32_e32 v5, vcc, s4, v5
	v_ashrrev_i32_e32 v10, 31, v9
	v_addc_co_u32_e32 v6, vcc, v8, v6, vcc
	v_lshlrev_b64 v[7:8], 3, v[9:10]
	v_add_u32_e32 v11, s15, v9
	v_mov_b32_e32 v10, s5
	v_add_co_u32_e32 v7, vcc, s4, v7
	v_ashrrev_i32_e32 v12, 31, v11
	v_addc_co_u32_e32 v8, vcc, v10, v8, vcc
	v_lshlrev_b64 v[9:10], 3, v[11:12]
	v_add_u32_e32 v13, s15, v11
	v_mov_b32_e32 v12, s5
	v_add_co_u32_e32 v9, vcc, s4, v9
	v_ashrrev_i32_e32 v14, 31, v13
	v_addc_co_u32_e32 v10, vcc, v12, v10, vcc
	v_lshlrev_b64 v[11:12], 3, v[13:14]
	v_add_u32_e32 v15, s15, v13
	v_mov_b32_e32 v14, s5
	v_add_co_u32_e32 v11, vcc, s4, v11
	v_ashrrev_i32_e32 v16, 31, v15
	v_addc_co_u32_e32 v12, vcc, v14, v12, vcc
	v_lshlrev_b64 v[13:14], 3, v[15:16]
	v_add_u32_e32 v17, s15, v15
	v_mov_b32_e32 v16, s5
	v_add_co_u32_e32 v13, vcc, s4, v13
	v_ashrrev_i32_e32 v18, 31, v17
	v_addc_co_u32_e32 v14, vcc, v16, v14, vcc
	v_lshlrev_b64 v[15:16], 3, v[17:18]
	v_add_u32_e32 v19, s15, v17
	v_mov_b32_e32 v18, s5
	v_add_co_u32_e32 v15, vcc, s4, v15
	v_ashrrev_i32_e32 v20, 31, v19
	v_addc_co_u32_e32 v16, vcc, v18, v16, vcc
	v_lshlrev_b64 v[17:18], 3, v[19:20]
	v_add_u32_e32 v21, s15, v19
	v_mov_b32_e32 v20, s5
	v_add_co_u32_e32 v17, vcc, s4, v17
	v_ashrrev_i32_e32 v22, 31, v21
	v_addc_co_u32_e32 v18, vcc, v20, v18, vcc
	v_lshlrev_b64 v[19:20], 3, v[21:22]
	v_add_u32_e32 v23, s15, v21
	v_mov_b32_e32 v22, s5
	v_add_co_u32_e32 v19, vcc, s4, v19
	v_ashrrev_i32_e32 v24, 31, v23
	v_addc_co_u32_e32 v20, vcc, v22, v20, vcc
	v_lshlrev_b64 v[21:22], 3, v[23:24]
	v_add_u32_e32 v25, s15, v23
	v_mov_b32_e32 v24, s5
	v_add_co_u32_e32 v21, vcc, s4, v21
	v_ashrrev_i32_e32 v26, 31, v25
	v_addc_co_u32_e32 v22, vcc, v24, v22, vcc
	v_lshlrev_b64 v[23:24], 3, v[25:26]
	v_add_u32_e32 v27, s15, v25
	v_mov_b32_e32 v26, s5
	v_add_co_u32_e32 v23, vcc, s4, v23
	v_ashrrev_i32_e32 v28, 31, v27
	v_addc_co_u32_e32 v24, vcc, v26, v24, vcc
	v_lshlrev_b64 v[25:26], 3, v[27:28]
	v_add_u32_e32 v29, s15, v27
	v_mov_b32_e32 v28, s5
	v_add_co_u32_e32 v25, vcc, s4, v25
	v_ashrrev_i32_e32 v30, 31, v29
	v_addc_co_u32_e32 v26, vcc, v28, v26, vcc
	v_lshlrev_b64 v[27:28], 3, v[29:30]
	v_add_u32_e32 v31, s15, v29
	v_mov_b32_e32 v30, s5
	v_add_co_u32_e32 v27, vcc, s4, v27
	v_ashrrev_i32_e32 v32, 31, v31
	v_addc_co_u32_e32 v28, vcc, v30, v28, vcc
	v_lshlrev_b64 v[29:30], 3, v[31:32]
	v_add_u32_e32 v33, s15, v31
	v_mov_b32_e32 v32, s5
	v_add_co_u32_e32 v29, vcc, s4, v29
	v_ashrrev_i32_e32 v34, 31, v33
	v_addc_co_u32_e32 v30, vcc, v32, v30, vcc
	v_lshlrev_b64 v[31:32], 3, v[33:34]
	v_add_u32_e32 v35, s15, v33
	v_mov_b32_e32 v34, s5
	v_add_co_u32_e32 v31, vcc, s4, v31
	v_ashrrev_i32_e32 v36, 31, v35
	v_addc_co_u32_e32 v32, vcc, v34, v32, vcc
	v_lshlrev_b64 v[33:34], 3, v[35:36]
	v_add_u32_e32 v37, s15, v35
	v_mov_b32_e32 v36, s5
	v_add_co_u32_e32 v33, vcc, s4, v33
	v_ashrrev_i32_e32 v38, 31, v37
	v_addc_co_u32_e32 v34, vcc, v36, v34, vcc
	v_lshlrev_b64 v[35:36], 3, v[37:38]
	v_add_u32_e32 v39, s15, v37
	v_mov_b32_e32 v38, s5
	v_add_co_u32_e32 v35, vcc, s4, v35
	v_ashrrev_i32_e32 v40, 31, v39
	v_addc_co_u32_e32 v36, vcc, v38, v36, vcc
	v_lshlrev_b64 v[37:38], 3, v[39:40]
	v_add_u32_e32 v41, s15, v39
	v_mov_b32_e32 v40, s5
	v_add_co_u32_e32 v37, vcc, s4, v37
	v_ashrrev_i32_e32 v42, 31, v41
	v_addc_co_u32_e32 v38, vcc, v40, v38, vcc
	v_lshlrev_b64 v[39:40], 3, v[41:42]
	v_add_u32_e32 v43, s15, v41
	v_mov_b32_e32 v42, s5
	v_add_co_u32_e32 v39, vcc, s4, v39
	v_ashrrev_i32_e32 v44, 31, v43
	v_addc_co_u32_e32 v40, vcc, v42, v40, vcc
	v_lshlrev_b64 v[41:42], 3, v[43:44]
	v_add_u32_e32 v45, s15, v43
	v_mov_b32_e32 v44, s5
	v_add_co_u32_e32 v41, vcc, s4, v41
	v_ashrrev_i32_e32 v46, 31, v45
	v_addc_co_u32_e32 v42, vcc, v44, v42, vcc
	v_lshlrev_b64 v[43:44], 3, v[45:46]
	v_add_u32_e32 v47, s15, v45
	v_mov_b32_e32 v46, s5
	v_add_co_u32_e32 v43, vcc, s4, v43
	v_ashrrev_i32_e32 v48, 31, v47
	v_addc_co_u32_e32 v44, vcc, v46, v44, vcc
	v_lshlrev_b64 v[45:46], 3, v[47:48]
	v_add_u32_e32 v49, s15, v47
	v_mov_b32_e32 v48, s5
	v_add_co_u32_e32 v45, vcc, s4, v45
	v_ashrrev_i32_e32 v50, 31, v49
	v_addc_co_u32_e32 v46, vcc, v48, v46, vcc
	v_lshlrev_b64 v[47:48], 3, v[49:50]
	v_add_u32_e32 v51, s15, v49
	v_mov_b32_e32 v50, s5
	v_add_co_u32_e32 v47, vcc, s4, v47
	v_ashrrev_i32_e32 v52, 31, v51
	v_addc_co_u32_e32 v48, vcc, v50, v48, vcc
	v_lshlrev_b64 v[49:50], 3, v[51:52]
	v_add_u32_e32 v53, s15, v51
	v_mov_b32_e32 v52, s5
	v_add_co_u32_e32 v49, vcc, s4, v49
	v_ashrrev_i32_e32 v54, 31, v53
	v_addc_co_u32_e32 v50, vcc, v52, v50, vcc
	v_lshlrev_b64 v[51:52], 3, v[53:54]
	v_add_u32_e32 v55, s15, v53
	v_mov_b32_e32 v54, s5
	v_add_co_u32_e32 v51, vcc, s4, v51
	v_ashrrev_i32_e32 v56, 31, v55
	v_addc_co_u32_e32 v52, vcc, v54, v52, vcc
	v_lshlrev_b64 v[53:54], 3, v[55:56]
	v_mov_b32_e32 v56, s5
	v_add_co_u32_e32 v53, vcc, s4, v53
	global_load_dwordx2 v[57:58], v75, s[4:5]
	global_load_dwordx2 v[65:66], v[3:4], off
	global_load_dwordx2 v[63:64], v[5:6], off
	;; [unrolled: 1-line block ×24, first 2 shown]
	v_addc_co_u32_e32 v54, vcc, v56, v54, vcc
	global_load_dwordx2 v[108:109], v[51:52], off
	global_load_dwordx2 v[110:111], v[53:54], off
	v_add_u32_e32 v55, s15, v55
	v_ashrrev_i32_e32 v56, 31, v55
	v_lshlrev_b64 v[55:56], 3, v[55:56]
	v_mov_b32_e32 v112, s5
	v_add_co_u32_e32 v55, vcc, s4, v55
	v_addc_co_u32_e32 v56, vcc, v112, v56, vcc
	global_load_dwordx2 v[112:113], v[55:56], off
	s_bitcmp0_b32 s8, 0
	s_mov_b64 s[8:9], -1
	s_waitcnt vmcnt(27)
	buffer_store_dword v58, off, s[0:3], 0 offset:4
	buffer_store_dword v57, off, s[0:3], 0
	s_waitcnt vmcnt(28)
	buffer_store_dword v66, off, s[0:3], 0 offset:12
	buffer_store_dword v65, off, s[0:3], 0 offset:8
	s_waitcnt vmcnt(29)
	buffer_store_dword v64, off, s[0:3], 0 offset:20
	buffer_store_dword v63, off, s[0:3], 0 offset:16
	s_waitcnt vmcnt(30)
	buffer_store_dword v62, off, s[0:3], 0 offset:28
	buffer_store_dword v61, off, s[0:3], 0 offset:24
	s_waitcnt vmcnt(31)
	buffer_store_dword v60, off, s[0:3], 0 offset:36
	buffer_store_dword v59, off, s[0:3], 0 offset:32
	s_waitcnt vmcnt(32)
	buffer_store_dword v74, off, s[0:3], 0 offset:44
	buffer_store_dword v73, off, s[0:3], 0 offset:40
	s_waitcnt vmcnt(33)
	buffer_store_dword v72, off, s[0:3], 0 offset:52
	buffer_store_dword v71, off, s[0:3], 0 offset:48
	s_waitcnt vmcnt(34)
	buffer_store_dword v70, off, s[0:3], 0 offset:60
	buffer_store_dword v69, off, s[0:3], 0 offset:56
	s_waitcnt vmcnt(35)
	buffer_store_dword v68, off, s[0:3], 0 offset:68
	buffer_store_dword v67, off, s[0:3], 0 offset:64
	s_waitcnt vmcnt(36)
	buffer_store_dword v76, off, s[0:3], 0 offset:72
	buffer_store_dword v77, off, s[0:3], 0 offset:76
	s_waitcnt vmcnt(37)
	buffer_store_dword v78, off, s[0:3], 0 offset:80
	buffer_store_dword v79, off, s[0:3], 0 offset:84
	s_waitcnt vmcnt(38)
	buffer_store_dword v80, off, s[0:3], 0 offset:88
	buffer_store_dword v81, off, s[0:3], 0 offset:92
	s_waitcnt vmcnt(39)
	buffer_store_dword v82, off, s[0:3], 0 offset:96
	buffer_store_dword v83, off, s[0:3], 0 offset:100
	s_waitcnt vmcnt(40)
	buffer_store_dword v84, off, s[0:3], 0 offset:104
	buffer_store_dword v85, off, s[0:3], 0 offset:108
	s_waitcnt vmcnt(41)
	buffer_store_dword v87, off, s[0:3], 0 offset:116
	buffer_store_dword v86, off, s[0:3], 0 offset:112
	s_waitcnt vmcnt(42)
	buffer_store_dword v88, off, s[0:3], 0 offset:120
	buffer_store_dword v89, off, s[0:3], 0 offset:124
	s_waitcnt vmcnt(43)
	buffer_store_dword v90, off, s[0:3], 0 offset:128
	buffer_store_dword v91, off, s[0:3], 0 offset:132
	s_waitcnt vmcnt(44)
	buffer_store_dword v92, off, s[0:3], 0 offset:136
	buffer_store_dword v93, off, s[0:3], 0 offset:140
	s_waitcnt vmcnt(45)
	buffer_store_dword v94, off, s[0:3], 0 offset:144
	buffer_store_dword v95, off, s[0:3], 0 offset:148
	s_waitcnt vmcnt(46)
	buffer_store_dword v97, off, s[0:3], 0 offset:156
	buffer_store_dword v96, off, s[0:3], 0 offset:152
	s_waitcnt vmcnt(47)
	buffer_store_dword v99, off, s[0:3], 0 offset:164
	buffer_store_dword v98, off, s[0:3], 0 offset:160
	s_waitcnt vmcnt(48)
	buffer_store_dword v100, off, s[0:3], 0 offset:168
	buffer_store_dword v101, off, s[0:3], 0 offset:172
	s_waitcnt vmcnt(49)
	buffer_store_dword v102, off, s[0:3], 0 offset:176
	buffer_store_dword v103, off, s[0:3], 0 offset:180
	s_waitcnt vmcnt(50)
	buffer_store_dword v104, off, s[0:3], 0 offset:184
	buffer_store_dword v105, off, s[0:3], 0 offset:188
	s_waitcnt vmcnt(51)
	buffer_store_dword v106, off, s[0:3], 0 offset:192
	buffer_store_dword v107, off, s[0:3], 0 offset:196
	s_waitcnt vmcnt(52)
	buffer_store_dword v109, off, s[0:3], 0 offset:204
	buffer_store_dword v108, off, s[0:3], 0 offset:200
	s_waitcnt vmcnt(53)
	buffer_store_dword v111, off, s[0:3], 0 offset:212
	buffer_store_dword v110, off, s[0:3], 0 offset:208
	s_waitcnt vmcnt(54)
	buffer_store_dword v112, off, s[0:3], 0 offset:216
	buffer_store_dword v113, off, s[0:3], 0 offset:220
	s_cbranch_scc1 .LBB27_124
; %bb.4:
	v_cmp_eq_u32_e64 s[4:5], 0, v0
	s_and_saveexec_b64 s[8:9], s[4:5]
; %bb.5:
	v_mov_b32_e32 v57, 0
	ds_write_b32 v57, v57 offset:448
; %bb.6:
	s_or_b64 exec, exec, s[8:9]
	v_mov_b32_e32 v57, 0
	v_lshl_add_u32 v60, v0, 3, v57
	s_waitcnt lgkmcnt(0)
	; wave barrier
	buffer_load_dword v57, v60, s[0:3], 0 offen
	buffer_load_dword v58, v60, s[0:3], 0 offen offset:4
	s_waitcnt vmcnt(1)
	v_cmp_eq_f32_e32 vcc, 0, v57
	s_waitcnt vmcnt(0)
	v_cmp_eq_f32_e64 s[8:9], 0, v58
	s_and_b64 s[8:9], vcc, s[8:9]
	s_and_saveexec_b64 s[12:13], s[8:9]
	s_cbranch_execz .LBB27_10
; %bb.7:
	v_mov_b32_e32 v57, 0
	ds_read_b32 v59, v57 offset:448
	v_add_u32_e32 v58, 1, v0
	s_waitcnt lgkmcnt(0)
	v_readfirstlane_b32 s8, v59
	s_cmp_eq_u32 s8, 0
	s_cselect_b64 s[14:15], -1, 0
	v_cmp_gt_i32_e32 vcc, s8, v58
	s_or_b64 s[14:15], s[14:15], vcc
	s_and_b64 exec, exec, s[14:15]
	s_cbranch_execz .LBB27_10
; %bb.8:
	s_mov_b64 s[14:15], 0
	v_mov_b32_e32 v59, s8
.LBB27_9:                               ; =>This Inner Loop Header: Depth=1
	ds_cmpst_rtn_b32 v59, v57, v59, v58 offset:448
	s_waitcnt lgkmcnt(0)
	v_cmp_ne_u32_e32 vcc, 0, v59
	v_cmp_le_i32_e64 s[8:9], v59, v58
	s_and_b64 s[8:9], vcc, s[8:9]
	s_and_b64 s[8:9], exec, s[8:9]
	s_or_b64 s[14:15], s[8:9], s[14:15]
	s_andn2_b64 exec, exec, s[14:15]
	s_cbranch_execnz .LBB27_9
.LBB27_10:
	s_or_b64 exec, exec, s[12:13]
	v_mov_b32_e32 v58, 0
	; wave barrier
	ds_read_b32 v57, v58 offset:448
	s_and_saveexec_b64 s[8:9], s[4:5]
	s_cbranch_execz .LBB27_12
; %bb.11:
	s_lshl_b64 s[12:13], s[6:7], 2
	s_add_u32 s12, s10, s12
	s_addc_u32 s13, s11, s13
	s_waitcnt lgkmcnt(0)
	global_store_dword v58, v57, s[12:13]
.LBB27_12:
	s_or_b64 exec, exec, s[8:9]
	s_waitcnt lgkmcnt(0)
	v_cmp_ne_u32_e32 vcc, 0, v57
	s_mov_b64 s[8:9], 0
	s_cbranch_vccnz .LBB27_124
; %bb.13:
	buffer_load_dword v58, v60, s[0:3], 0 offen
	buffer_load_dword v59, v60, s[0:3], 0 offen offset:4
                                        ; implicit-def: $vgpr62
                                        ; implicit-def: $vgpr61
                                        ; implicit-def: $vgpr57
	s_waitcnt vmcnt(0)
	v_cmp_ngt_f32_e64 s[8:9], |v58|, |v59|
	s_and_saveexec_b64 s[12:13], s[8:9]
	s_xor_b64 s[8:9], exec, s[12:13]
	s_cbranch_execz .LBB27_15
; %bb.14:
	v_div_scale_f32 v57, s[12:13], v59, v59, v58
	v_div_scale_f32 v61, vcc, v58, v59, v58
	v_rcp_f32_e32 v62, v57
	v_fma_f32 v63, -v57, v62, 1.0
	v_fmac_f32_e32 v62, v63, v62
	v_mul_f32_e32 v63, v61, v62
	v_fma_f32 v64, -v57, v63, v61
	v_fmac_f32_e32 v63, v64, v62
	v_fma_f32 v57, -v57, v63, v61
	v_div_fmas_f32 v57, v57, v62, v63
	v_div_fixup_f32 v57, v57, v59, v58
	v_fmac_f32_e32 v59, v58, v57
	v_div_scale_f32 v58, s[12:13], v59, v59, 1.0
	v_div_scale_f32 v61, vcc, 1.0, v59, 1.0
	v_rcp_f32_e32 v62, v58
	v_fma_f32 v63, -v58, v62, 1.0
	v_fmac_f32_e32 v62, v63, v62
	v_mul_f32_e32 v63, v61, v62
	v_fma_f32 v64, -v58, v63, v61
	v_fmac_f32_e32 v63, v64, v62
	v_fma_f32 v58, -v58, v63, v61
	v_div_fmas_f32 v58, v58, v62, v63
	v_div_fixup_f32 v58, v58, v59, 1.0
	v_mul_f32_e32 v62, v57, v58
	v_xor_b32_e32 v61, 0x80000000, v58
	v_xor_b32_e32 v57, 0x80000000, v62
                                        ; implicit-def: $vgpr58
                                        ; implicit-def: $vgpr59
.LBB27_15:
	s_andn2_saveexec_b64 s[8:9], s[8:9]
	s_cbranch_execz .LBB27_17
; %bb.16:
	v_div_scale_f32 v57, s[12:13], v58, v58, v59
	v_div_scale_f32 v61, vcc, v59, v58, v59
	v_rcp_f32_e32 v62, v57
	v_fma_f32 v63, -v57, v62, 1.0
	v_fmac_f32_e32 v62, v63, v62
	v_mul_f32_e32 v63, v61, v62
	v_fma_f32 v64, -v57, v63, v61
	v_fmac_f32_e32 v63, v64, v62
	v_fma_f32 v57, -v57, v63, v61
	v_div_fmas_f32 v57, v57, v62, v63
	v_div_fixup_f32 v61, v57, v58, v59
	v_fmac_f32_e32 v58, v59, v61
	v_div_scale_f32 v57, s[12:13], v58, v58, 1.0
	v_div_scale_f32 v59, vcc, 1.0, v58, 1.0
	v_rcp_f32_e32 v62, v57
	v_fma_f32 v63, -v57, v62, 1.0
	v_fmac_f32_e32 v62, v63, v62
	v_mul_f32_e32 v63, v59, v62
	v_fma_f32 v64, -v57, v63, v59
	v_fmac_f32_e32 v63, v64, v62
	v_fma_f32 v57, -v57, v63, v59
	v_div_fmas_f32 v57, v57, v62, v63
	v_div_fixup_f32 v62, v57, v58, 1.0
	v_xor_b32_e32 v57, 0x80000000, v62
	v_mul_f32_e64 v61, v61, -v62
.LBB27_17:
	s_or_b64 exec, exec, s[8:9]
	buffer_store_dword v62, v60, s[0:3], 0 offen
	buffer_store_dword v61, v60, s[0:3], 0 offen offset:4
	buffer_load_dword v63, off, s[0:3], 0 offset:12
	s_nop 0
	buffer_load_dword v62, off, s[0:3], 0 offset:8
	v_xor_b32_e32 v58, 0x80000000, v61
	v_add_u32_e32 v59, 0xe0, v75
	s_waitcnt vmcnt(0)
	ds_write2_b64 v75, v[57:58], v[62:63] offset1:28
	s_waitcnt lgkmcnt(0)
	; wave barrier
	s_and_saveexec_b64 s[8:9], s[4:5]
	s_cbranch_execz .LBB27_19
; %bb.18:
	buffer_load_dword v63, v60, s[0:3], 0 offen offset:4
	buffer_load_dword v64, v60, s[0:3], 0 offen
	ds_read_b64 v[57:58], v59
	v_mov_b32_e32 v61, 0
	ds_read_b64 v[61:62], v61 offset:8
	s_waitcnt vmcnt(1) lgkmcnt(1)
	v_mul_f32_e32 v65, v58, v63
	v_mul_f32_e32 v63, v57, v63
	s_waitcnt vmcnt(0)
	v_fmac_f32_e32 v63, v58, v64
	v_fma_f32 v57, v57, v64, -v65
	v_add_f32_e32 v58, 0, v63
	v_add_f32_e32 v57, 0, v57
	s_waitcnt lgkmcnt(0)
	v_mul_f32_e32 v63, v58, v62
	v_mul_f32_e32 v62, v57, v62
	v_fma_f32 v57, v57, v61, -v63
	v_fmac_f32_e32 v62, v58, v61
	buffer_store_dword v57, off, s[0:3], 0 offset:8
	buffer_store_dword v62, off, s[0:3], 0 offset:12
.LBB27_19:
	s_or_b64 exec, exec, s[8:9]
	; wave barrier
	buffer_load_dword v57, off, s[0:3], 0 offset:16
	buffer_load_dword v58, off, s[0:3], 0 offset:20
	v_cmp_gt_u32_e32 vcc, 2, v0
	s_waitcnt vmcnt(0)
	ds_write_b64 v59, v[57:58]
	s_waitcnt lgkmcnt(0)
	; wave barrier
	s_and_saveexec_b64 s[8:9], vcc
	s_cbranch_execz .LBB27_23
; %bb.20:
	buffer_load_dword v61, v60, s[0:3], 0 offen offset:4
	buffer_load_dword v62, v60, s[0:3], 0 offen
	ds_read_b64 v[57:58], v59
	s_waitcnt vmcnt(1) lgkmcnt(0)
	v_mul_f32_e32 v60, v58, v61
	v_mul_f32_e32 v61, v57, v61
	s_waitcnt vmcnt(0)
	v_fma_f32 v57, v57, v62, -v60
	v_fmac_f32_e32 v61, v58, v62
	v_add_f32_e32 v58, 0, v57
	v_add_f32_e32 v57, 0, v61
	s_and_saveexec_b64 s[12:13], s[4:5]
	s_cbranch_execz .LBB27_22
; %bb.21:
	buffer_load_dword v62, off, s[0:3], 0 offset:12
	buffer_load_dword v63, off, s[0:3], 0 offset:8
	v_mov_b32_e32 v60, 0
	ds_read_b64 v[60:61], v60 offset:232
	s_waitcnt vmcnt(1) lgkmcnt(0)
	v_mul_f32_e32 v64, v60, v62
	v_mul_f32_e32 v62, v61, v62
	s_waitcnt vmcnt(0)
	v_fmac_f32_e32 v64, v61, v63
	v_fma_f32 v60, v60, v63, -v62
	v_add_f32_e32 v57, v57, v64
	v_add_f32_e32 v58, v58, v60
.LBB27_22:
	s_or_b64 exec, exec, s[12:13]
	v_mov_b32_e32 v60, 0
	ds_read_b64 v[60:61], v60 offset:16
	s_waitcnt lgkmcnt(0)
	v_mul_f32_e32 v62, v57, v61
	v_mul_f32_e32 v61, v58, v61
	v_fma_f32 v58, v58, v60, -v62
	v_fmac_f32_e32 v61, v57, v60
	buffer_store_dword v58, off, s[0:3], 0 offset:16
	buffer_store_dword v61, off, s[0:3], 0 offset:20
.LBB27_23:
	s_or_b64 exec, exec, s[8:9]
	; wave barrier
	buffer_load_dword v57, off, s[0:3], 0 offset:24
	buffer_load_dword v58, off, s[0:3], 0 offset:28
	v_cmp_gt_u32_e32 vcc, 3, v0
	s_waitcnt vmcnt(0)
	ds_write_b64 v59, v[57:58]
	v_add_u32_e32 v57, -1, v0
	s_waitcnt lgkmcnt(0)
	; wave barrier
	s_and_saveexec_b64 s[4:5], vcc
	s_cbranch_execz .LBB27_27
; %bb.24:
	v_add_u32_e32 v60, -1, v0
	v_add_u32_e32 v61, 0xe0, v75
	v_mov_b32_e32 v62, v75
	v_mov_b32_e32 v58, 0
	s_mov_b64 s[8:9], 0
	v_mov_b32_e32 v63, 0
.LBB27_25:                              ; =>This Inner Loop Header: Depth=1
	buffer_load_dword v66, v62, s[0:3], 0 offen offset:4
	buffer_load_dword v67, v62, s[0:3], 0 offen
	ds_read_b64 v[64:65], v61
	v_add_u32_e32 v60, 1, v60
	v_cmp_lt_u32_e32 vcc, 1, v60
	v_add_u32_e32 v61, 8, v61
	v_add_u32_e32 v62, 8, v62
	s_or_b64 s[8:9], vcc, s[8:9]
	s_waitcnt vmcnt(1) lgkmcnt(0)
	v_mul_f32_e32 v68, v65, v66
	v_mul_f32_e32 v66, v64, v66
	s_waitcnt vmcnt(0)
	v_fma_f32 v64, v64, v67, -v68
	v_fmac_f32_e32 v66, v65, v67
	v_add_f32_e32 v63, v63, v64
	v_add_f32_e32 v58, v58, v66
	s_andn2_b64 exec, exec, s[8:9]
	s_cbranch_execnz .LBB27_25
; %bb.26:
	s_or_b64 exec, exec, s[8:9]
	v_mov_b32_e32 v60, 0
	ds_read_b64 v[60:61], v60 offset:24
	s_waitcnt lgkmcnt(0)
	v_mul_f32_e32 v62, v58, v61
	v_mul_f32_e32 v61, v63, v61
	v_fma_f32 v62, v63, v60, -v62
	v_fmac_f32_e32 v61, v58, v60
	buffer_store_dword v62, off, s[0:3], 0 offset:24
	buffer_store_dword v61, off, s[0:3], 0 offset:28
.LBB27_27:
	s_or_b64 exec, exec, s[4:5]
	; wave barrier
	buffer_load_dword v60, off, s[0:3], 0 offset:32
	buffer_load_dword v61, off, s[0:3], 0 offset:36
	v_cmp_gt_u32_e32 vcc, 4, v0
	s_waitcnt vmcnt(0)
	ds_write_b64 v59, v[60:61]
	s_waitcnt lgkmcnt(0)
	; wave barrier
	s_and_saveexec_b64 s[4:5], vcc
	s_cbranch_execz .LBB27_31
; %bb.28:
	v_add_u32_e32 v60, -1, v0
	v_add_u32_e32 v61, 0xe0, v75
	v_mov_b32_e32 v62, v75
	v_mov_b32_e32 v58, 0
	s_mov_b64 s[8:9], 0
	v_mov_b32_e32 v63, 0
.LBB27_29:                              ; =>This Inner Loop Header: Depth=1
	buffer_load_dword v66, v62, s[0:3], 0 offen offset:4
	buffer_load_dword v67, v62, s[0:3], 0 offen
	ds_read_b64 v[64:65], v61
	v_add_u32_e32 v60, 1, v60
	v_cmp_lt_u32_e32 vcc, 2, v60
	v_add_u32_e32 v61, 8, v61
	v_add_u32_e32 v62, 8, v62
	s_or_b64 s[8:9], vcc, s[8:9]
	s_waitcnt vmcnt(1) lgkmcnt(0)
	v_mul_f32_e32 v68, v65, v66
	v_mul_f32_e32 v66, v64, v66
	s_waitcnt vmcnt(0)
	v_fma_f32 v64, v64, v67, -v68
	v_fmac_f32_e32 v66, v65, v67
	v_add_f32_e32 v63, v63, v64
	v_add_f32_e32 v58, v58, v66
	s_andn2_b64 exec, exec, s[8:9]
	s_cbranch_execnz .LBB27_29
; %bb.30:
	s_or_b64 exec, exec, s[8:9]
	v_mov_b32_e32 v60, 0
	ds_read_b64 v[60:61], v60 offset:32
	s_waitcnt lgkmcnt(0)
	v_mul_f32_e32 v62, v58, v61
	v_mul_f32_e32 v61, v63, v61
	v_fma_f32 v62, v63, v60, -v62
	v_fmac_f32_e32 v61, v58, v60
	buffer_store_dword v62, off, s[0:3], 0 offset:32
	buffer_store_dword v61, off, s[0:3], 0 offset:36
.LBB27_31:
	s_or_b64 exec, exec, s[4:5]
	; wave barrier
	buffer_load_dword v60, off, s[0:3], 0 offset:40
	buffer_load_dword v61, off, s[0:3], 0 offset:44
	v_cmp_gt_u32_e32 vcc, 5, v0
	s_waitcnt vmcnt(0)
	ds_write_b64 v59, v[60:61]
	;; [unrolled: 49-line block ×19, first 2 shown]
	s_waitcnt lgkmcnt(0)
	; wave barrier
	s_and_saveexec_b64 s[4:5], vcc
	s_cbranch_execz .LBB27_103
; %bb.100:
	v_add_u32_e32 v60, -1, v0
	v_add_u32_e32 v61, 0xe0, v75
	v_mov_b32_e32 v62, v75
	v_mov_b32_e32 v58, 0
	s_mov_b64 s[8:9], 0
	v_mov_b32_e32 v63, 0
.LBB27_101:                             ; =>This Inner Loop Header: Depth=1
	buffer_load_dword v66, v62, s[0:3], 0 offen offset:4
	buffer_load_dword v67, v62, s[0:3], 0 offen
	ds_read_b64 v[64:65], v61
	v_add_u32_e32 v60, 1, v60
	v_cmp_lt_u32_e32 vcc, 20, v60
	v_add_u32_e32 v61, 8, v61
	v_add_u32_e32 v62, 8, v62
	s_or_b64 s[8:9], vcc, s[8:9]
	s_waitcnt vmcnt(1) lgkmcnt(0)
	v_mul_f32_e32 v68, v65, v66
	v_mul_f32_e32 v66, v64, v66
	s_waitcnt vmcnt(0)
	v_fma_f32 v64, v64, v67, -v68
	v_fmac_f32_e32 v66, v65, v67
	v_add_f32_e32 v63, v63, v64
	v_add_f32_e32 v58, v58, v66
	s_andn2_b64 exec, exec, s[8:9]
	s_cbranch_execnz .LBB27_101
; %bb.102:
	s_or_b64 exec, exec, s[8:9]
	v_mov_b32_e32 v60, 0
	ds_read_b64 v[60:61], v60 offset:176
	s_waitcnt lgkmcnt(0)
	v_mul_f32_e32 v62, v58, v61
	v_mul_f32_e32 v61, v63, v61
	v_fma_f32 v62, v63, v60, -v62
	v_fmac_f32_e32 v61, v58, v60
	buffer_store_dword v62, off, s[0:3], 0 offset:176
	buffer_store_dword v61, off, s[0:3], 0 offset:180
.LBB27_103:
	s_or_b64 exec, exec, s[4:5]
	; wave barrier
	buffer_load_dword v60, off, s[0:3], 0 offset:184
	buffer_load_dword v61, off, s[0:3], 0 offset:188
	v_cmp_gt_u32_e32 vcc, 23, v0
	s_waitcnt vmcnt(0)
	ds_write_b64 v59, v[60:61]
	s_waitcnt lgkmcnt(0)
	; wave barrier
	s_and_saveexec_b64 s[4:5], vcc
	s_cbranch_execz .LBB27_107
; %bb.104:
	v_add_u32_e32 v60, -1, v0
	v_add_u32_e32 v61, 0xe0, v75
	v_mov_b32_e32 v62, v75
	v_mov_b32_e32 v58, 0
	s_mov_b64 s[8:9], 0
	v_mov_b32_e32 v63, 0
.LBB27_105:                             ; =>This Inner Loop Header: Depth=1
	buffer_load_dword v66, v62, s[0:3], 0 offen offset:4
	buffer_load_dword v67, v62, s[0:3], 0 offen
	ds_read_b64 v[64:65], v61
	v_add_u32_e32 v60, 1, v60
	v_cmp_lt_u32_e32 vcc, 21, v60
	v_add_u32_e32 v61, 8, v61
	v_add_u32_e32 v62, 8, v62
	s_or_b64 s[8:9], vcc, s[8:9]
	s_waitcnt vmcnt(1) lgkmcnt(0)
	v_mul_f32_e32 v68, v65, v66
	v_mul_f32_e32 v66, v64, v66
	s_waitcnt vmcnt(0)
	v_fma_f32 v64, v64, v67, -v68
	v_fmac_f32_e32 v66, v65, v67
	v_add_f32_e32 v63, v63, v64
	v_add_f32_e32 v58, v58, v66
	s_andn2_b64 exec, exec, s[8:9]
	s_cbranch_execnz .LBB27_105
; %bb.106:
	s_or_b64 exec, exec, s[8:9]
	v_mov_b32_e32 v60, 0
	ds_read_b64 v[60:61], v60 offset:184
	s_waitcnt lgkmcnt(0)
	v_mul_f32_e32 v62, v58, v61
	v_mul_f32_e32 v61, v63, v61
	v_fma_f32 v62, v63, v60, -v62
	v_fmac_f32_e32 v61, v58, v60
	buffer_store_dword v62, off, s[0:3], 0 offset:184
	buffer_store_dword v61, off, s[0:3], 0 offset:188
.LBB27_107:
	s_or_b64 exec, exec, s[4:5]
	; wave barrier
	buffer_load_dword v60, off, s[0:3], 0 offset:192
	buffer_load_dword v61, off, s[0:3], 0 offset:196
	v_cmp_gt_u32_e32 vcc, 24, v0
	s_waitcnt vmcnt(0)
	ds_write_b64 v59, v[60:61]
	;; [unrolled: 49-line block ×4, first 2 shown]
	s_waitcnt lgkmcnt(0)
	; wave barrier
	s_and_saveexec_b64 s[4:5], vcc
	s_cbranch_execz .LBB27_119
; %bb.116:
	v_add_u32_e32 v60, -1, v0
	v_add_u32_e32 v61, 0xe0, v75
	v_mov_b32_e32 v62, v75
	v_mov_b32_e32 v58, 0
	s_mov_b64 s[8:9], 0
	v_mov_b32_e32 v63, 0
.LBB27_117:                             ; =>This Inner Loop Header: Depth=1
	buffer_load_dword v66, v62, s[0:3], 0 offen offset:4
	buffer_load_dword v67, v62, s[0:3], 0 offen
	ds_read_b64 v[64:65], v61
	v_add_u32_e32 v60, 1, v60
	v_cmp_lt_u32_e32 vcc, 24, v60
	v_add_u32_e32 v61, 8, v61
	v_add_u32_e32 v62, 8, v62
	s_or_b64 s[8:9], vcc, s[8:9]
	s_waitcnt vmcnt(1) lgkmcnt(0)
	v_mul_f32_e32 v68, v65, v66
	v_mul_f32_e32 v66, v64, v66
	s_waitcnt vmcnt(0)
	v_fma_f32 v64, v64, v67, -v68
	v_fmac_f32_e32 v66, v65, v67
	v_add_f32_e32 v63, v63, v64
	v_add_f32_e32 v58, v58, v66
	s_andn2_b64 exec, exec, s[8:9]
	s_cbranch_execnz .LBB27_117
; %bb.118:
	s_or_b64 exec, exec, s[8:9]
	v_mov_b32_e32 v60, 0
	ds_read_b64 v[60:61], v60 offset:208
	s_waitcnt lgkmcnt(0)
	v_mul_f32_e32 v62, v58, v61
	v_mul_f32_e32 v61, v63, v61
	v_fma_f32 v62, v63, v60, -v62
	v_fmac_f32_e32 v61, v58, v60
	buffer_store_dword v62, off, s[0:3], 0 offset:208
	buffer_store_dword v61, off, s[0:3], 0 offset:212
.LBB27_119:
	s_or_b64 exec, exec, s[4:5]
	; wave barrier
	buffer_load_dword v60, off, s[0:3], 0 offset:216
	buffer_load_dword v61, off, s[0:3], 0 offset:220
	v_cmp_ne_u32_e32 vcc, 27, v0
	s_waitcnt vmcnt(0)
	ds_write_b64 v59, v[60:61]
	s_waitcnt lgkmcnt(0)
	; wave barrier
	s_and_saveexec_b64 s[4:5], vcc
	s_cbranch_execz .LBB27_123
; %bb.120:
	v_add_u32_e32 v59, 0xe0, v75
	v_mov_b32_e32 v60, v75
	v_mov_b32_e32 v58, 0
	s_mov_b64 s[8:9], 0
	v_mov_b32_e32 v61, 0
.LBB27_121:                             ; =>This Inner Loop Header: Depth=1
	buffer_load_dword v64, v60, s[0:3], 0 offen offset:4
	buffer_load_dword v65, v60, s[0:3], 0 offen
	ds_read_b64 v[62:63], v59
	v_add_u32_e32 v57, 1, v57
	v_cmp_lt_u32_e32 vcc, 25, v57
	v_add_u32_e32 v59, 8, v59
	v_add_u32_e32 v60, 8, v60
	s_or_b64 s[8:9], vcc, s[8:9]
	s_waitcnt vmcnt(1) lgkmcnt(0)
	v_mul_f32_e32 v66, v63, v64
	v_mul_f32_e32 v64, v62, v64
	s_waitcnt vmcnt(0)
	v_fma_f32 v62, v62, v65, -v66
	v_fmac_f32_e32 v64, v63, v65
	v_add_f32_e32 v61, v61, v62
	v_add_f32_e32 v58, v58, v64
	s_andn2_b64 exec, exec, s[8:9]
	s_cbranch_execnz .LBB27_121
; %bb.122:
	s_or_b64 exec, exec, s[8:9]
	v_mov_b32_e32 v57, 0
	ds_read_b64 v[59:60], v57 offset:216
	s_waitcnt lgkmcnt(0)
	v_mul_f32_e32 v57, v58, v60
	v_mul_f32_e32 v60, v61, v60
	v_fma_f32 v57, v61, v59, -v57
	v_fmac_f32_e32 v60, v58, v59
	buffer_store_dword v57, off, s[0:3], 0 offset:216
	buffer_store_dword v60, off, s[0:3], 0 offset:220
.LBB27_123:
	s_or_b64 exec, exec, s[4:5]
	s_mov_b64 s[8:9], -1
	; wave barrier
.LBB27_124:
	s_and_b64 vcc, exec, s[8:9]
	s_cbranch_vccz .LBB27_126
; %bb.125:
	s_lshl_b64 s[4:5], s[6:7], 2
	s_add_u32 s4, s10, s4
	s_addc_u32 s5, s11, s5
	v_mov_b32_e32 v57, 0
	global_load_dword v57, v57, s[4:5]
	s_waitcnt vmcnt(0)
	v_cmp_ne_u32_e32 vcc, 0, v57
	s_cbranch_vccz .LBB27_127
.LBB27_126:
	s_endpgm
.LBB27_127:
	v_mov_b32_e32 v57, 0xe0
	v_lshl_add_u32 v57, v0, 3, v57
	v_cmp_eq_u32_e32 vcc, 27, v0
	s_and_saveexec_b64 s[4:5], vcc
	s_cbranch_execz .LBB27_129
; %bb.128:
	buffer_load_dword v58, off, s[0:3], 0 offset:208
	buffer_load_dword v59, off, s[0:3], 0 offset:212
	v_mov_b32_e32 v60, 0
	buffer_store_dword v60, off, s[0:3], 0 offset:208
	buffer_store_dword v60, off, s[0:3], 0 offset:212
	s_waitcnt vmcnt(2)
	ds_write_b64 v57, v[58:59]
.LBB27_129:
	s_or_b64 exec, exec, s[4:5]
	s_waitcnt lgkmcnt(0)
	; wave barrier
	buffer_load_dword v61, off, s[0:3], 0 offset:220
	buffer_load_dword v62, off, s[0:3], 0 offset:216
	;; [unrolled: 1-line block ×4, first 2 shown]
	v_mov_b32_e32 v58, 0
	ds_read_b64 v[59:60], v58 offset:440
	v_cmp_lt_u32_e32 vcc, 25, v0
	s_waitcnt vmcnt(3) lgkmcnt(0)
	v_mul_f32_e32 v65, v59, v61
	v_mul_f32_e32 v61, v60, v61
	s_waitcnt vmcnt(2)
	v_fma_f32 v59, v59, v62, -v61
	v_fmac_f32_e32 v65, v60, v62
	v_add_f32_e32 v59, 0, v59
	v_add_f32_e32 v60, 0, v65
	s_waitcnt vmcnt(1)
	v_sub_f32_e32 v59, v63, v59
	s_waitcnt vmcnt(0)
	v_sub_f32_e32 v60, v64, v60
	buffer_store_dword v59, off, s[0:3], 0 offset:208
	buffer_store_dword v60, off, s[0:3], 0 offset:212
	s_and_saveexec_b64 s[4:5], vcc
	s_cbranch_execz .LBB27_131
; %bb.130:
	buffer_load_dword v59, off, s[0:3], 0 offset:200
	buffer_load_dword v60, off, s[0:3], 0 offset:204
	s_waitcnt vmcnt(0)
	ds_write_b64 v57, v[59:60]
	buffer_store_dword v58, off, s[0:3], 0 offset:200
	buffer_store_dword v58, off, s[0:3], 0 offset:204
.LBB27_131:
	s_or_b64 exec, exec, s[4:5]
	s_waitcnt lgkmcnt(0)
	; wave barrier
	buffer_load_dword v62, off, s[0:3], 0 offset:212
	buffer_load_dword v63, off, s[0:3], 0 offset:220
	;; [unrolled: 1-line block ×6, first 2 shown]
	ds_read_b128 v[58:61], v58 offset:432
	v_cmp_lt_u32_e32 vcc, 24, v0
	s_waitcnt vmcnt(5) lgkmcnt(0)
	v_mul_f32_e32 v68, v58, v62
	v_mul_f32_e32 v62, v59, v62
	s_waitcnt vmcnt(4)
	v_mul_f32_e32 v69, v60, v63
	v_mul_f32_e32 v63, v61, v63
	s_waitcnt vmcnt(3)
	v_fma_f32 v58, v58, v64, -v62
	v_fmac_f32_e32 v68, v59, v64
	s_waitcnt vmcnt(2)
	v_fma_f32 v59, v60, v65, -v63
	v_add_f32_e32 v58, 0, v58
	v_fmac_f32_e32 v69, v61, v65
	v_add_f32_e32 v60, 0, v68
	v_add_f32_e32 v58, v58, v59
	;; [unrolled: 1-line block ×3, first 2 shown]
	s_waitcnt vmcnt(1)
	v_sub_f32_e32 v58, v66, v58
	s_waitcnt vmcnt(0)
	v_sub_f32_e32 v59, v67, v60
	buffer_store_dword v58, off, s[0:3], 0 offset:200
	buffer_store_dword v59, off, s[0:3], 0 offset:204
	s_and_saveexec_b64 s[4:5], vcc
	s_cbranch_execz .LBB27_133
; %bb.132:
	buffer_load_dword v58, off, s[0:3], 0 offset:192
	buffer_load_dword v59, off, s[0:3], 0 offset:196
	v_mov_b32_e32 v60, 0
	buffer_store_dword v60, off, s[0:3], 0 offset:192
	buffer_store_dword v60, off, s[0:3], 0 offset:196
	s_waitcnt vmcnt(2)
	ds_write_b64 v57, v[58:59]
.LBB27_133:
	s_or_b64 exec, exec, s[4:5]
	s_waitcnt lgkmcnt(0)
	; wave barrier
	buffer_load_dword v65, off, s[0:3], 0 offset:204
	buffer_load_dword v66, off, s[0:3], 0 offset:212
	;; [unrolled: 1-line block ×8, first 2 shown]
	v_mov_b32_e32 v58, 0
	ds_read2_b64 v[59:62], v58 offset0:53 offset1:54
	ds_read_b64 v[63:64], v58 offset:440
	v_cmp_lt_u32_e32 vcc, 23, v0
	s_waitcnt vmcnt(7) lgkmcnt(1)
	v_mul_f32_e32 v73, v59, v65
	v_mul_f32_e32 v65, v60, v65
	s_waitcnt vmcnt(6)
	v_mul_f32_e32 v74, v61, v66
	v_mul_f32_e32 v66, v62, v66
	s_waitcnt vmcnt(4)
	v_fma_f32 v59, v59, v68, -v65
	s_waitcnt lgkmcnt(0)
	v_mul_f32_e32 v75, v63, v67
	v_mul_f32_e32 v67, v64, v67
	v_fmac_f32_e32 v73, v60, v68
	s_waitcnt vmcnt(3)
	v_fma_f32 v60, v61, v69, -v66
	v_add_f32_e32 v59, 0, v59
	v_fmac_f32_e32 v74, v62, v69
	s_waitcnt vmcnt(2)
	v_fma_f32 v61, v63, v70, -v67
	v_add_f32_e32 v62, 0, v73
	v_add_f32_e32 v59, v59, v60
	v_fmac_f32_e32 v75, v64, v70
	v_add_f32_e32 v62, v62, v74
	v_add_f32_e32 v59, v59, v61
	;; [unrolled: 1-line block ×3, first 2 shown]
	s_waitcnt vmcnt(1)
	v_sub_f32_e32 v59, v71, v59
	s_waitcnt vmcnt(0)
	v_sub_f32_e32 v60, v72, v60
	buffer_store_dword v59, off, s[0:3], 0 offset:192
	buffer_store_dword v60, off, s[0:3], 0 offset:196
	s_and_saveexec_b64 s[4:5], vcc
	s_cbranch_execz .LBB27_135
; %bb.134:
	buffer_load_dword v59, off, s[0:3], 0 offset:184
	buffer_load_dword v60, off, s[0:3], 0 offset:188
	s_waitcnt vmcnt(0)
	ds_write_b64 v57, v[59:60]
	buffer_store_dword v58, off, s[0:3], 0 offset:184
	buffer_store_dword v58, off, s[0:3], 0 offset:188
.LBB27_135:
	s_or_b64 exec, exec, s[4:5]
	s_waitcnt lgkmcnt(0)
	; wave barrier
	buffer_load_dword v67, off, s[0:3], 0 offset:196
	buffer_load_dword v68, off, s[0:3], 0 offset:204
	buffer_load_dword v69, off, s[0:3], 0 offset:212
	buffer_load_dword v70, off, s[0:3], 0 offset:220
	buffer_load_dword v71, off, s[0:3], 0 offset:192
	buffer_load_dword v72, off, s[0:3], 0 offset:200
	buffer_load_dword v73, off, s[0:3], 0 offset:208
	buffer_load_dword v74, off, s[0:3], 0 offset:216
	buffer_load_dword v75, off, s[0:3], 0 offset:184
	buffer_load_dword v76, off, s[0:3], 0 offset:188
	ds_read_b128 v[59:62], v58 offset:416
	ds_read_b128 v[63:66], v58 offset:432
	v_cmp_lt_u32_e32 vcc, 22, v0
	s_waitcnt vmcnt(9) lgkmcnt(1)
	v_mul_f32_e32 v58, v59, v67
	v_mul_f32_e32 v67, v60, v67
	s_waitcnt vmcnt(8)
	v_mul_f32_e32 v77, v61, v68
	v_mul_f32_e32 v68, v62, v68
	s_waitcnt vmcnt(5)
	v_fma_f32 v59, v59, v71, -v67
	s_waitcnt lgkmcnt(0)
	v_mul_f32_e32 v78, v63, v69
	v_mul_f32_e32 v69, v64, v69
	v_fmac_f32_e32 v58, v60, v71
	s_waitcnt vmcnt(4)
	v_fma_f32 v60, v61, v72, -v68
	v_add_f32_e32 v59, 0, v59
	v_mul_f32_e32 v79, v65, v70
	v_mul_f32_e32 v70, v66, v70
	v_fmac_f32_e32 v77, v62, v72
	s_waitcnt vmcnt(3)
	v_fma_f32 v61, v63, v73, -v69
	v_add_f32_e32 v58, 0, v58
	v_add_f32_e32 v59, v59, v60
	v_fmac_f32_e32 v78, v64, v73
	s_waitcnt vmcnt(2)
	v_fma_f32 v62, v65, v74, -v70
	v_add_f32_e32 v58, v58, v77
	v_add_f32_e32 v59, v59, v61
	v_fmac_f32_e32 v79, v66, v74
	v_add_f32_e32 v58, v58, v78
	v_add_f32_e32 v59, v59, v62
	;; [unrolled: 1-line block ×3, first 2 shown]
	s_waitcnt vmcnt(1)
	v_sub_f32_e32 v59, v75, v59
	s_waitcnt vmcnt(0)
	v_sub_f32_e32 v58, v76, v58
	buffer_store_dword v59, off, s[0:3], 0 offset:184
	buffer_store_dword v58, off, s[0:3], 0 offset:188
	s_and_saveexec_b64 s[4:5], vcc
	s_cbranch_execz .LBB27_137
; %bb.136:
	buffer_load_dword v58, off, s[0:3], 0 offset:176
	buffer_load_dword v59, off, s[0:3], 0 offset:180
	v_mov_b32_e32 v60, 0
	buffer_store_dword v60, off, s[0:3], 0 offset:176
	buffer_store_dword v60, off, s[0:3], 0 offset:180
	s_waitcnt vmcnt(2)
	ds_write_b64 v57, v[58:59]
.LBB27_137:
	s_or_b64 exec, exec, s[4:5]
	v_mov_b32_e32 v58, 0
	s_waitcnt lgkmcnt(0)
	; wave barrier
	ds_read2_b64 v[59:62], v58 offset0:51 offset1:52
	buffer_load_dword v69, off, s[0:3], 0 offset:176
	buffer_load_dword v70, off, s[0:3], 0 offset:180
	;; [unrolled: 1-line block ×12, first 2 shown]
	v_cmp_lt_u32_e32 vcc, 21, v0
	s_waitcnt vmcnt(8) lgkmcnt(0)
	v_mul_f32_e32 v63, v59, v72
	v_fmac_f32_e32 v63, v60, v71
	s_waitcnt vmcnt(6)
	v_mul_f32_e32 v64, v61, v74
	v_add_f32_e32 v63, 0, v63
	v_fmac_f32_e32 v64, v62, v73
	v_add_f32_e32 v67, v63, v64
	ds_read2_b64 v[63:66], v58 offset0:53 offset1:54
	v_mul_f32_e32 v60, v60, v72
	v_fma_f32 v59, v59, v71, -v60
	v_mul_f32_e32 v60, v62, v74
	v_add_f32_e32 v59, 0, v59
	s_waitcnt vmcnt(4) lgkmcnt(0)
	v_mul_f32_e32 v68, v63, v76
	v_fmac_f32_e32 v68, v64, v75
	v_add_f32_e32 v67, v67, v68
	s_waitcnt vmcnt(2)
	v_mul_f32_e32 v68, v65, v78
	v_fmac_f32_e32 v68, v66, v77
	v_add_f32_e32 v81, v67, v68
	ds_read_b64 v[67:68], v58 offset:440
	v_fma_f32 v60, v61, v73, -v60
	v_add_f32_e32 v59, v59, v60
	v_mul_f32_e32 v60, v64, v76
	v_fma_f32 v60, v63, v75, -v60
	v_add_f32_e32 v59, v59, v60
	v_mul_f32_e32 v60, v66, v78
	v_fma_f32 v60, v65, v77, -v60
	v_add_f32_e32 v59, v59, v60
	s_waitcnt vmcnt(0) lgkmcnt(0)
	v_mul_f32_e32 v60, v68, v80
	v_mul_f32_e32 v82, v67, v80
	v_fma_f32 v60, v67, v79, -v60
	v_fmac_f32_e32 v82, v68, v79
	v_add_f32_e32 v59, v59, v60
	v_add_f32_e32 v81, v81, v82
	v_sub_f32_e32 v59, v69, v59
	v_sub_f32_e32 v60, v70, v81
	buffer_store_dword v59, off, s[0:3], 0 offset:176
	buffer_store_dword v60, off, s[0:3], 0 offset:180
	s_and_saveexec_b64 s[4:5], vcc
	s_cbranch_execz .LBB27_139
; %bb.138:
	buffer_load_dword v59, off, s[0:3], 0 offset:168
	buffer_load_dword v60, off, s[0:3], 0 offset:172
	s_waitcnt vmcnt(0)
	ds_write_b64 v57, v[59:60]
	buffer_store_dword v58, off, s[0:3], 0 offset:168
	buffer_store_dword v58, off, s[0:3], 0 offset:172
.LBB27_139:
	s_or_b64 exec, exec, s[4:5]
	s_waitcnt lgkmcnt(0)
	; wave barrier
	buffer_load_dword v71, off, s[0:3], 0 offset:180
	buffer_load_dword v72, off, s[0:3], 0 offset:188
	;; [unrolled: 1-line block ×14, first 2 shown]
	ds_read_b128 v[59:62], v58 offset:400
	ds_read_b128 v[63:66], v58 offset:416
	;; [unrolled: 1-line block ×3, first 2 shown]
	v_cmp_lt_u32_e32 vcc, 20, v0
	s_waitcnt vmcnt(13) lgkmcnt(2)
	v_mul_f32_e32 v58, v59, v71
	v_mul_f32_e32 v71, v60, v71
	s_waitcnt vmcnt(12)
	v_mul_f32_e32 v85, v61, v72
	v_mul_f32_e32 v72, v62, v72
	s_waitcnt vmcnt(11) lgkmcnt(1)
	v_mul_f32_e32 v86, v63, v73
	v_mul_f32_e32 v73, v64, v73
	s_waitcnt vmcnt(7)
	v_fma_f32 v59, v59, v77, -v71
	v_fmac_f32_e32 v58, v60, v77
	s_waitcnt vmcnt(6)
	v_fma_f32 v60, v61, v78, -v72
	v_add_f32_e32 v59, 0, v59
	v_mul_f32_e32 v87, v65, v74
	v_mul_f32_e32 v74, v66, v74
	v_fmac_f32_e32 v85, v62, v78
	s_waitcnt vmcnt(5)
	v_fma_f32 v61, v63, v79, -v73
	v_add_f32_e32 v58, 0, v58
	v_add_f32_e32 v59, v59, v60
	s_waitcnt lgkmcnt(0)
	v_mul_f32_e32 v88, v67, v75
	v_mul_f32_e32 v75, v68, v75
	v_fmac_f32_e32 v86, v64, v79
	s_waitcnt vmcnt(4)
	v_fma_f32 v62, v65, v80, -v74
	v_add_f32_e32 v58, v58, v85
	v_add_f32_e32 v59, v59, v61
	v_mul_f32_e32 v89, v69, v76
	v_mul_f32_e32 v76, v70, v76
	v_fmac_f32_e32 v87, v66, v80
	s_waitcnt vmcnt(3)
	v_fma_f32 v63, v67, v81, -v75
	v_add_f32_e32 v58, v58, v86
	v_add_f32_e32 v59, v59, v62
	v_fmac_f32_e32 v88, v68, v81
	s_waitcnt vmcnt(2)
	v_fma_f32 v64, v69, v82, -v76
	v_add_f32_e32 v58, v58, v87
	v_add_f32_e32 v59, v59, v63
	v_fmac_f32_e32 v89, v70, v82
	v_add_f32_e32 v58, v58, v88
	v_add_f32_e32 v59, v59, v64
	v_add_f32_e32 v58, v58, v89
	s_waitcnt vmcnt(1)
	v_sub_f32_e32 v59, v83, v59
	s_waitcnt vmcnt(0)
	v_sub_f32_e32 v58, v84, v58
	buffer_store_dword v59, off, s[0:3], 0 offset:168
	buffer_store_dword v58, off, s[0:3], 0 offset:172
	s_and_saveexec_b64 s[4:5], vcc
	s_cbranch_execz .LBB27_141
; %bb.140:
	buffer_load_dword v58, off, s[0:3], 0 offset:160
	buffer_load_dword v59, off, s[0:3], 0 offset:164
	v_mov_b32_e32 v60, 0
	buffer_store_dword v60, off, s[0:3], 0 offset:160
	buffer_store_dword v60, off, s[0:3], 0 offset:164
	s_waitcnt vmcnt(2)
	ds_write_b64 v57, v[58:59]
.LBB27_141:
	s_or_b64 exec, exec, s[4:5]
	s_waitcnt lgkmcnt(0)
	; wave barrier
	buffer_load_dword v73, off, s[0:3], 0 offset:172
	buffer_load_dword v74, off, s[0:3], 0 offset:180
	;; [unrolled: 1-line block ×16, first 2 shown]
	v_mov_b32_e32 v58, 0
	ds_read2_b64 v[59:62], v58 offset0:49 offset1:50
	ds_read2_b64 v[63:66], v58 offset0:51 offset1:52
	;; [unrolled: 1-line block ×3, first 2 shown]
	ds_read_b64 v[71:72], v58 offset:440
	v_cmp_lt_u32_e32 vcc, 19, v0
	s_waitcnt vmcnt(15) lgkmcnt(3)
	v_mul_f32_e32 v89, v59, v73
	v_mul_f32_e32 v73, v60, v73
	s_waitcnt vmcnt(14)
	v_mul_f32_e32 v90, v61, v74
	v_mul_f32_e32 v74, v62, v74
	s_waitcnt vmcnt(13) lgkmcnt(2)
	v_mul_f32_e32 v91, v63, v75
	s_waitcnt vmcnt(12)
	v_mul_f32_e32 v92, v65, v76
	v_mul_f32_e32 v75, v64, v75
	s_waitcnt vmcnt(8)
	v_fma_f32 v59, v59, v80, -v73
	v_fmac_f32_e32 v89, v60, v80
	s_waitcnt vmcnt(7)
	v_fma_f32 v60, v61, v81, -v74
	v_add_f32_e32 v59, 0, v59
	v_mul_f32_e32 v76, v66, v76
	v_fmac_f32_e32 v90, v62, v81
	s_waitcnt vmcnt(5)
	v_fmac_f32_e32 v92, v66, v83
	v_fma_f32 v61, v63, v82, -v75
	v_add_f32_e32 v66, 0, v89
	v_add_f32_e32 v59, v59, v60
	s_waitcnt lgkmcnt(1)
	v_mul_f32_e32 v93, v67, v77
	v_mul_f32_e32 v77, v68, v77
	v_fmac_f32_e32 v91, v64, v82
	v_fma_f32 v62, v65, v83, -v76
	v_add_f32_e32 v66, v66, v90
	v_add_f32_e32 v59, v59, v61
	v_mul_f32_e32 v94, v69, v78
	v_mul_f32_e32 v78, v70, v78
	s_waitcnt vmcnt(4)
	v_fma_f32 v63, v67, v84, -v77
	v_add_f32_e32 v60, v66, v91
	v_add_f32_e32 v59, v59, v62
	s_waitcnt lgkmcnt(0)
	v_mul_f32_e32 v95, v71, v79
	v_mul_f32_e32 v79, v72, v79
	v_fmac_f32_e32 v93, v68, v84
	s_waitcnt vmcnt(3)
	v_fma_f32 v64, v69, v85, -v78
	v_add_f32_e32 v60, v60, v92
	v_add_f32_e32 v59, v59, v63
	v_fmac_f32_e32 v94, v70, v85
	s_waitcnt vmcnt(2)
	v_fma_f32 v65, v71, v86, -v79
	v_add_f32_e32 v60, v60, v93
	v_add_f32_e32 v59, v59, v64
	v_fmac_f32_e32 v95, v72, v86
	v_add_f32_e32 v60, v60, v94
	v_add_f32_e32 v59, v59, v65
	;; [unrolled: 1-line block ×3, first 2 shown]
	s_waitcnt vmcnt(1)
	v_sub_f32_e32 v59, v87, v59
	s_waitcnt vmcnt(0)
	v_sub_f32_e32 v60, v88, v60
	buffer_store_dword v59, off, s[0:3], 0 offset:160
	buffer_store_dword v60, off, s[0:3], 0 offset:164
	s_and_saveexec_b64 s[4:5], vcc
	s_cbranch_execz .LBB27_143
; %bb.142:
	buffer_load_dword v59, off, s[0:3], 0 offset:152
	buffer_load_dword v60, off, s[0:3], 0 offset:156
	s_waitcnt vmcnt(0)
	ds_write_b64 v57, v[59:60]
	buffer_store_dword v58, off, s[0:3], 0 offset:152
	buffer_store_dword v58, off, s[0:3], 0 offset:156
.LBB27_143:
	s_or_b64 exec, exec, s[4:5]
	s_waitcnt lgkmcnt(0)
	; wave barrier
	buffer_load_dword v75, off, s[0:3], 0 offset:164
	buffer_load_dword v76, off, s[0:3], 0 offset:172
	;; [unrolled: 1-line block ×18, first 2 shown]
	ds_read_b128 v[59:62], v58 offset:384
	ds_read_b128 v[63:66], v58 offset:400
	;; [unrolled: 1-line block ×4, first 2 shown]
	v_cmp_lt_u32_e32 vcc, 18, v0
	s_waitcnt vmcnt(17) lgkmcnt(3)
	v_mul_f32_e32 v58, v59, v75
	v_mul_f32_e32 v75, v60, v75
	s_waitcnt vmcnt(16)
	v_mul_f32_e32 v93, v61, v76
	v_mul_f32_e32 v76, v62, v76
	s_waitcnt vmcnt(15) lgkmcnt(2)
	v_mul_f32_e32 v94, v63, v77
	v_mul_f32_e32 v77, v64, v77
	s_waitcnt vmcnt(14)
	v_mul_f32_e32 v95, v65, v78
	v_mul_f32_e32 v78, v66, v78
	s_waitcnt vmcnt(9)
	v_fma_f32 v59, v59, v83, -v75
	v_fmac_f32_e32 v58, v60, v83
	s_waitcnt vmcnt(8)
	v_fma_f32 v60, v61, v84, -v76
	v_add_f32_e32 v59, 0, v59
	v_fmac_f32_e32 v93, v62, v84
	s_waitcnt vmcnt(7)
	v_fma_f32 v61, v63, v85, -v77
	v_add_f32_e32 v58, 0, v58
	v_add_f32_e32 v59, v59, v60
	s_waitcnt lgkmcnt(1)
	v_mul_f32_e32 v96, v67, v79
	v_mul_f32_e32 v79, v68, v79
	v_fmac_f32_e32 v94, v64, v85
	s_waitcnt vmcnt(6)
	v_fma_f32 v62, v65, v86, -v78
	v_add_f32_e32 v58, v58, v93
	v_add_f32_e32 v59, v59, v61
	v_mul_f32_e32 v97, v69, v80
	v_mul_f32_e32 v80, v70, v80
	v_fmac_f32_e32 v95, v66, v86
	s_waitcnt vmcnt(5)
	v_fma_f32 v63, v67, v87, -v79
	v_add_f32_e32 v58, v58, v94
	v_add_f32_e32 v59, v59, v62
	s_waitcnt lgkmcnt(0)
	v_mul_f32_e32 v98, v71, v81
	v_mul_f32_e32 v81, v72, v81
	v_fmac_f32_e32 v96, v68, v87
	s_waitcnt vmcnt(4)
	v_fma_f32 v64, v69, v88, -v80
	v_add_f32_e32 v58, v58, v95
	v_add_f32_e32 v59, v59, v63
	v_mul_f32_e32 v99, v73, v82
	v_mul_f32_e32 v82, v74, v82
	v_fmac_f32_e32 v97, v70, v88
	s_waitcnt vmcnt(3)
	v_fma_f32 v65, v71, v89, -v81
	v_add_f32_e32 v58, v58, v96
	v_add_f32_e32 v59, v59, v64
	v_fmac_f32_e32 v98, v72, v89
	s_waitcnt vmcnt(2)
	v_fma_f32 v66, v73, v90, -v82
	v_add_f32_e32 v58, v58, v97
	v_add_f32_e32 v59, v59, v65
	v_fmac_f32_e32 v99, v74, v90
	v_add_f32_e32 v58, v58, v98
	v_add_f32_e32 v59, v59, v66
	;; [unrolled: 1-line block ×3, first 2 shown]
	s_waitcnt vmcnt(1)
	v_sub_f32_e32 v59, v91, v59
	s_waitcnt vmcnt(0)
	v_sub_f32_e32 v58, v92, v58
	buffer_store_dword v59, off, s[0:3], 0 offset:152
	buffer_store_dword v58, off, s[0:3], 0 offset:156
	s_and_saveexec_b64 s[4:5], vcc
	s_cbranch_execz .LBB27_145
; %bb.144:
	buffer_load_dword v58, off, s[0:3], 0 offset:144
	buffer_load_dword v59, off, s[0:3], 0 offset:148
	v_mov_b32_e32 v60, 0
	buffer_store_dword v60, off, s[0:3], 0 offset:144
	buffer_store_dword v60, off, s[0:3], 0 offset:148
	s_waitcnt vmcnt(2)
	ds_write_b64 v57, v[58:59]
.LBB27_145:
	s_or_b64 exec, exec, s[4:5]
	s_waitcnt lgkmcnt(0)
	; wave barrier
	buffer_load_dword v77, off, s[0:3], 0 offset:156
	buffer_load_dword v78, off, s[0:3], 0 offset:164
	;; [unrolled: 1-line block ×20, first 2 shown]
	v_mov_b32_e32 v58, 0
	ds_read2_b64 v[59:62], v58 offset0:47 offset1:48
	ds_read2_b64 v[63:66], v58 offset0:49 offset1:50
	;; [unrolled: 1-line block ×4, first 2 shown]
	ds_read_b64 v[75:76], v58 offset:440
	v_cmp_lt_u32_e32 vcc, 17, v0
	s_waitcnt vmcnt(19) lgkmcnt(4)
	v_mul_f32_e32 v97, v59, v77
	v_mul_f32_e32 v77, v60, v77
	s_waitcnt vmcnt(18)
	v_mul_f32_e32 v98, v61, v78
	v_mul_f32_e32 v78, v62, v78
	s_waitcnt vmcnt(17) lgkmcnt(3)
	v_mul_f32_e32 v99, v63, v79
	s_waitcnt vmcnt(15) lgkmcnt(2)
	v_mul_f32_e32 v101, v67, v81
	v_mul_f32_e32 v79, v64, v79
	;; [unrolled: 1-line block ×4, first 2 shown]
	s_waitcnt vmcnt(10)
	v_fma_f32 v59, v59, v86, -v77
	v_fmac_f32_e32 v97, v60, v86
	s_waitcnt vmcnt(9)
	v_fma_f32 v60, v61, v87, -v78
	v_add_f32_e32 v59, 0, v59
	v_mul_f32_e32 v81, v68, v81
	v_fmac_f32_e32 v98, v62, v87
	s_waitcnt vmcnt(6)
	v_fmac_f32_e32 v101, v68, v90
	v_fma_f32 v61, v63, v88, -v79
	v_add_f32_e32 v68, 0, v97
	v_add_f32_e32 v59, v59, v60
	v_fmac_f32_e32 v99, v64, v88
	v_fma_f32 v62, v65, v89, -v80
	v_add_f32_e32 v68, v68, v98
	v_add_f32_e32 v59, v59, v61
	v_mul_f32_e32 v102, v69, v82
	v_mul_f32_e32 v82, v70, v82
	v_fmac_f32_e32 v100, v66, v89
	v_fma_f32 v63, v67, v90, -v81
	v_add_f32_e32 v60, v68, v99
	v_add_f32_e32 v59, v59, v62
	s_waitcnt lgkmcnt(1)
	v_mul_f32_e32 v103, v71, v83
	v_mul_f32_e32 v83, v72, v83
	s_waitcnt vmcnt(5)
	v_fma_f32 v64, v69, v91, -v82
	v_add_f32_e32 v60, v60, v100
	v_add_f32_e32 v59, v59, v63
	v_mul_f32_e32 v104, v73, v84
	v_mul_f32_e32 v84, v74, v84
	v_fmac_f32_e32 v102, v70, v91
	s_waitcnt vmcnt(4)
	v_fma_f32 v65, v71, v92, -v83
	v_add_f32_e32 v60, v60, v101
	v_add_f32_e32 v59, v59, v64
	s_waitcnt lgkmcnt(0)
	v_mul_f32_e32 v105, v75, v85
	v_mul_f32_e32 v85, v76, v85
	v_fmac_f32_e32 v103, v72, v92
	s_waitcnt vmcnt(3)
	v_fma_f32 v66, v73, v93, -v84
	v_add_f32_e32 v60, v60, v102
	v_add_f32_e32 v59, v59, v65
	v_fmac_f32_e32 v104, v74, v93
	s_waitcnt vmcnt(2)
	v_fma_f32 v67, v75, v94, -v85
	v_add_f32_e32 v60, v60, v103
	v_add_f32_e32 v59, v59, v66
	v_fmac_f32_e32 v105, v76, v94
	v_add_f32_e32 v60, v60, v104
	v_add_f32_e32 v59, v59, v67
	;; [unrolled: 1-line block ×3, first 2 shown]
	s_waitcnt vmcnt(1)
	v_sub_f32_e32 v59, v95, v59
	s_waitcnt vmcnt(0)
	v_sub_f32_e32 v60, v96, v60
	buffer_store_dword v59, off, s[0:3], 0 offset:144
	buffer_store_dword v60, off, s[0:3], 0 offset:148
	s_and_saveexec_b64 s[4:5], vcc
	s_cbranch_execz .LBB27_147
; %bb.146:
	buffer_load_dword v59, off, s[0:3], 0 offset:136
	buffer_load_dword v60, off, s[0:3], 0 offset:140
	s_waitcnt vmcnt(0)
	ds_write_b64 v57, v[59:60]
	buffer_store_dword v58, off, s[0:3], 0 offset:136
	buffer_store_dword v58, off, s[0:3], 0 offset:140
.LBB27_147:
	s_or_b64 exec, exec, s[4:5]
	s_waitcnt lgkmcnt(0)
	; wave barrier
	buffer_load_dword v79, off, s[0:3], 0 offset:148
	buffer_load_dword v80, off, s[0:3], 0 offset:156
	;; [unrolled: 1-line block ×22, first 2 shown]
	ds_read_b128 v[59:62], v58 offset:368
	ds_read_b128 v[63:66], v58 offset:384
	;; [unrolled: 1-line block ×5, first 2 shown]
	v_cmp_lt_u32_e32 vcc, 16, v0
	s_waitcnt vmcnt(21) lgkmcnt(4)
	v_mul_f32_e32 v58, v59, v79
	v_mul_f32_e32 v79, v60, v79
	s_waitcnt vmcnt(20)
	v_mul_f32_e32 v101, v61, v80
	v_mul_f32_e32 v80, v62, v80
	s_waitcnt vmcnt(19) lgkmcnt(3)
	v_mul_f32_e32 v102, v63, v81
	v_mul_f32_e32 v81, v64, v81
	s_waitcnt vmcnt(18)
	v_mul_f32_e32 v103, v65, v82
	v_mul_f32_e32 v82, v66, v82
	s_waitcnt vmcnt(17) lgkmcnt(2)
	v_mul_f32_e32 v104, v67, v83
	v_mul_f32_e32 v83, v68, v83
	s_waitcnt vmcnt(11)
	v_fma_f32 v59, v59, v89, -v79
	v_fmac_f32_e32 v58, v60, v89
	s_waitcnt vmcnt(10)
	v_fma_f32 v60, v61, v90, -v80
	v_add_f32_e32 v59, 0, v59
	v_fmac_f32_e32 v101, v62, v90
	s_waitcnt vmcnt(9)
	v_fma_f32 v61, v63, v91, -v81
	v_add_f32_e32 v58, 0, v58
	v_add_f32_e32 v59, v59, v60
	v_fmac_f32_e32 v102, v64, v91
	s_waitcnt vmcnt(8)
	v_fma_f32 v62, v65, v92, -v82
	v_add_f32_e32 v58, v58, v101
	v_add_f32_e32 v59, v59, v61
	v_mul_f32_e32 v105, v69, v84
	v_mul_f32_e32 v84, v70, v84
	v_fmac_f32_e32 v103, v66, v92
	s_waitcnt vmcnt(7)
	v_fma_f32 v63, v67, v93, -v83
	v_add_f32_e32 v58, v58, v102
	v_add_f32_e32 v59, v59, v62
	s_waitcnt lgkmcnt(1)
	v_mul_f32_e32 v106, v71, v85
	v_mul_f32_e32 v85, v72, v85
	v_fmac_f32_e32 v104, v68, v93
	s_waitcnt vmcnt(6)
	v_fma_f32 v64, v69, v94, -v84
	v_add_f32_e32 v58, v58, v103
	v_add_f32_e32 v59, v59, v63
	v_mul_f32_e32 v107, v73, v86
	v_mul_f32_e32 v86, v74, v86
	v_fmac_f32_e32 v105, v70, v94
	s_waitcnt vmcnt(5)
	v_fma_f32 v65, v71, v95, -v85
	v_add_f32_e32 v58, v58, v104
	v_add_f32_e32 v59, v59, v64
	s_waitcnt lgkmcnt(0)
	v_mul_f32_e32 v108, v75, v87
	v_mul_f32_e32 v87, v76, v87
	v_fmac_f32_e32 v106, v72, v95
	s_waitcnt vmcnt(4)
	v_fma_f32 v66, v73, v96, -v86
	v_add_f32_e32 v58, v58, v105
	v_add_f32_e32 v59, v59, v65
	v_mul_f32_e32 v109, v77, v88
	v_mul_f32_e32 v88, v78, v88
	v_fmac_f32_e32 v107, v74, v96
	s_waitcnt vmcnt(3)
	v_fma_f32 v67, v75, v97, -v87
	v_add_f32_e32 v58, v58, v106
	v_add_f32_e32 v59, v59, v66
	v_fmac_f32_e32 v108, v76, v97
	s_waitcnt vmcnt(2)
	v_fma_f32 v68, v77, v98, -v88
	v_add_f32_e32 v58, v58, v107
	v_add_f32_e32 v59, v59, v67
	v_fmac_f32_e32 v109, v78, v98
	v_add_f32_e32 v58, v58, v108
	v_add_f32_e32 v59, v59, v68
	;; [unrolled: 1-line block ×3, first 2 shown]
	s_waitcnt vmcnt(1)
	v_sub_f32_e32 v59, v99, v59
	s_waitcnt vmcnt(0)
	v_sub_f32_e32 v58, v100, v58
	buffer_store_dword v59, off, s[0:3], 0 offset:136
	buffer_store_dword v58, off, s[0:3], 0 offset:140
	s_and_saveexec_b64 s[4:5], vcc
	s_cbranch_execz .LBB27_149
; %bb.148:
	buffer_load_dword v58, off, s[0:3], 0 offset:128
	buffer_load_dword v59, off, s[0:3], 0 offset:132
	v_mov_b32_e32 v60, 0
	buffer_store_dword v60, off, s[0:3], 0 offset:128
	buffer_store_dword v60, off, s[0:3], 0 offset:132
	s_waitcnt vmcnt(2)
	ds_write_b64 v57, v[58:59]
.LBB27_149:
	s_or_b64 exec, exec, s[4:5]
	s_waitcnt lgkmcnt(0)
	; wave barrier
	buffer_load_dword v81, off, s[0:3], 0 offset:140
	buffer_load_dword v82, off, s[0:3], 0 offset:148
	;; [unrolled: 1-line block ×24, first 2 shown]
	v_mov_b32_e32 v58, 0
	ds_read2_b64 v[59:62], v58 offset0:45 offset1:46
	ds_read2_b64 v[63:66], v58 offset0:47 offset1:48
	;; [unrolled: 1-line block ×5, first 2 shown]
	ds_read_b64 v[79:80], v58 offset:440
	v_cmp_lt_u32_e32 vcc, 15, v0
	s_waitcnt vmcnt(23) lgkmcnt(5)
	v_mul_f32_e32 v105, v59, v81
	v_mul_f32_e32 v81, v60, v81
	s_waitcnt vmcnt(22)
	v_mul_f32_e32 v106, v61, v82
	v_mul_f32_e32 v82, v62, v82
	s_waitcnt vmcnt(21) lgkmcnt(4)
	v_mul_f32_e32 v107, v63, v83
	v_mul_f32_e32 v83, v64, v83
	s_waitcnt vmcnt(20)
	v_mul_f32_e32 v108, v65, v84
	s_waitcnt vmcnt(19) lgkmcnt(3)
	v_mul_f32_e32 v109, v67, v85
	v_mul_f32_e32 v84, v66, v84
	;; [unrolled: 1-line block ×3, first 2 shown]
	s_waitcnt vmcnt(18)
	v_mul_f32_e32 v110, v69, v86
	s_waitcnt vmcnt(12)
	v_fma_f32 v59, v59, v92, -v81
	v_fmac_f32_e32 v105, v60, v92
	s_waitcnt vmcnt(11)
	v_fma_f32 v60, v61, v93, -v82
	v_add_f32_e32 v59, 0, v59
	s_waitcnt vmcnt(10)
	v_fma_f32 v61, v63, v94, -v83
	v_add_f32_e32 v59, v59, v60
	v_fmac_f32_e32 v106, v62, v93
	s_waitcnt vmcnt(8)
	v_fmac_f32_e32 v109, v68, v96
	v_fma_f32 v62, v65, v95, -v84
	v_add_f32_e32 v68, 0, v105
	v_add_f32_e32 v59, v59, v61
	v_mul_f32_e32 v86, v70, v86
	v_fmac_f32_e32 v107, v64, v94
	v_fma_f32 v63, v67, v96, -v85
	v_add_f32_e32 v68, v68, v106
	v_add_f32_e32 v59, v59, v62
	s_waitcnt lgkmcnt(2)
	v_mul_f32_e32 v111, v71, v87
	v_mul_f32_e32 v87, v72, v87
	v_fmac_f32_e32 v108, v66, v95
	s_waitcnt vmcnt(7)
	v_fma_f32 v64, v69, v97, -v86
	v_add_f32_e32 v60, v68, v107
	v_add_f32_e32 v59, v59, v63
	v_mul_f32_e32 v112, v73, v88
	v_mul_f32_e32 v88, v74, v88
	s_waitcnt vmcnt(6)
	v_fma_f32 v65, v71, v98, -v87
	v_add_f32_e32 v60, v60, v108
	v_add_f32_e32 v59, v59, v64
	s_waitcnt lgkmcnt(1)
	v_mul_f32_e32 v113, v75, v89
	v_mul_f32_e32 v89, v76, v89
	v_fmac_f32_e32 v110, v70, v97
	s_waitcnt vmcnt(5)
	v_fma_f32 v66, v73, v99, -v88
	v_add_f32_e32 v60, v60, v109
	v_add_f32_e32 v59, v59, v65
	v_fmac_f32_e32 v111, v72, v98
	s_waitcnt vmcnt(4)
	v_fma_f32 v67, v75, v100, -v89
	v_add_f32_e32 v60, v60, v110
	v_add_f32_e32 v59, v59, v66
	v_mul_f32_e32 v61, v78, v90
	v_fmac_f32_e32 v112, v74, v99
	v_add_f32_e32 v60, v60, v111
	v_add_f32_e32 v59, v59, v67
	s_waitcnt vmcnt(3)
	v_fma_f32 v61, v77, v101, -v61
	v_mul_f32_e32 v114, v77, v90
	v_fmac_f32_e32 v113, v76, v100
	v_add_f32_e32 v60, v60, v112
	v_add_f32_e32 v59, v59, v61
	s_waitcnt lgkmcnt(0)
	v_mul_f32_e32 v61, v80, v91
	v_mul_f32_e32 v115, v79, v91
	v_fmac_f32_e32 v114, v78, v101
	v_add_f32_e32 v60, v60, v113
	s_waitcnt vmcnt(2)
	v_fma_f32 v61, v79, v102, -v61
	v_fmac_f32_e32 v115, v80, v102
	v_add_f32_e32 v60, v60, v114
	v_add_f32_e32 v59, v59, v61
	;; [unrolled: 1-line block ×3, first 2 shown]
	s_waitcnt vmcnt(1)
	v_sub_f32_e32 v59, v103, v59
	s_waitcnt vmcnt(0)
	v_sub_f32_e32 v60, v104, v60
	buffer_store_dword v59, off, s[0:3], 0 offset:128
	buffer_store_dword v60, off, s[0:3], 0 offset:132
	s_and_saveexec_b64 s[4:5], vcc
	s_cbranch_execz .LBB27_151
; %bb.150:
	buffer_load_dword v59, off, s[0:3], 0 offset:120
	buffer_load_dword v60, off, s[0:3], 0 offset:124
	s_waitcnt vmcnt(0)
	ds_write_b64 v57, v[59:60]
	buffer_store_dword v58, off, s[0:3], 0 offset:120
	buffer_store_dword v58, off, s[0:3], 0 offset:124
.LBB27_151:
	s_or_b64 exec, exec, s[4:5]
	s_waitcnt lgkmcnt(0)
	; wave barrier
	buffer_load_dword v83, off, s[0:3], 0 offset:132
	buffer_load_dword v84, off, s[0:3], 0 offset:140
	;; [unrolled: 1-line block ×26, first 2 shown]
	ds_read_b128 v[59:62], v58 offset:352
	ds_read_b128 v[63:66], v58 offset:368
	;; [unrolled: 1-line block ×6, first 2 shown]
	v_cmp_lt_u32_e32 vcc, 14, v0
	s_waitcnt vmcnt(25) lgkmcnt(5)
	v_mul_f32_e32 v58, v59, v83
	v_mul_f32_e32 v83, v60, v83
	s_waitcnt vmcnt(24)
	v_mul_f32_e32 v109, v61, v84
	v_mul_f32_e32 v84, v62, v84
	s_waitcnt vmcnt(23) lgkmcnt(4)
	v_mul_f32_e32 v110, v63, v85
	v_mul_f32_e32 v85, v64, v85
	s_waitcnt vmcnt(22)
	v_mul_f32_e32 v111, v65, v86
	v_mul_f32_e32 v86, v66, v86
	;; [unrolled: 6-line block ×3, first 2 shown]
	s_waitcnt vmcnt(13)
	v_fma_f32 v59, v59, v95, -v83
	v_fmac_f32_e32 v58, v60, v95
	s_waitcnt vmcnt(12)
	v_fma_f32 v60, v61, v96, -v84
	v_add_f32_e32 v59, 0, v59
	s_waitcnt vmcnt(11)
	v_fma_f32 v61, v63, v97, -v85
	v_add_f32_e32 v59, v59, v60
	v_fmac_f32_e32 v109, v62, v96
	s_waitcnt vmcnt(10)
	v_fma_f32 v62, v65, v98, -v86
	v_add_f32_e32 v59, v59, v61
	s_waitcnt vmcnt(9)
	v_fma_f32 v63, v67, v99, -v87
	v_add_f32_e32 v59, v59, v62
	s_waitcnt lgkmcnt(2)
	v_mul_f32_e32 v114, v71, v89
	v_mul_f32_e32 v89, v72, v89
	v_fmac_f32_e32 v110, v64, v97
	s_waitcnt vmcnt(8)
	v_fma_f32 v64, v69, v100, -v88
	v_add_f32_e32 v58, 0, v58
	v_add_f32_e32 v59, v59, v63
	v_mul_f32_e32 v115, v73, v90
	v_mul_f32_e32 v90, v74, v90
	s_waitcnt vmcnt(7)
	v_fma_f32 v65, v71, v101, -v89
	v_add_f32_e32 v58, v58, v109
	v_add_f32_e32 v59, v59, v64
	v_fmac_f32_e32 v111, v66, v98
	s_waitcnt vmcnt(6)
	v_fma_f32 v66, v73, v102, -v90
	v_add_f32_e32 v58, v58, v110
	v_add_f32_e32 v59, v59, v65
	s_waitcnt lgkmcnt(1)
	v_mul_f32_e32 v60, v76, v91
	v_fmac_f32_e32 v112, v68, v99
	v_add_f32_e32 v58, v58, v111
	v_add_f32_e32 v59, v59, v66
	s_waitcnt vmcnt(5)
	v_fma_f32 v60, v75, v103, -v60
	v_fmac_f32_e32 v113, v70, v100
	v_add_f32_e32 v58, v58, v112
	v_add_f32_e32 v59, v59, v60
	v_mul_f32_e32 v60, v78, v92
	v_fmac_f32_e32 v114, v72, v101
	v_add_f32_e32 v58, v58, v113
	s_waitcnt vmcnt(4)
	v_fma_f32 v60, v77, v104, -v60
	v_mul_f32_e32 v116, v75, v91
	v_fmac_f32_e32 v115, v74, v102
	v_add_f32_e32 v58, v58, v114
	v_add_f32_e32 v59, v59, v60
	s_waitcnt lgkmcnt(0)
	v_mul_f32_e32 v60, v80, v93
	v_mul_f32_e32 v117, v77, v92
	v_fmac_f32_e32 v116, v76, v103
	v_add_f32_e32 v58, v58, v115
	s_waitcnt vmcnt(3)
	v_fma_f32 v60, v79, v105, -v60
	v_mul_f32_e32 v118, v79, v93
	v_fmac_f32_e32 v117, v78, v104
	v_add_f32_e32 v58, v58, v116
	v_add_f32_e32 v59, v59, v60
	v_mul_f32_e32 v60, v82, v94
	v_mul_f32_e32 v119, v81, v94
	v_fmac_f32_e32 v118, v80, v105
	v_add_f32_e32 v58, v58, v117
	s_waitcnt vmcnt(2)
	v_fma_f32 v60, v81, v106, -v60
	v_fmac_f32_e32 v119, v82, v106
	v_add_f32_e32 v58, v58, v118
	v_add_f32_e32 v59, v59, v60
	;; [unrolled: 1-line block ×3, first 2 shown]
	s_waitcnt vmcnt(1)
	v_sub_f32_e32 v59, v107, v59
	s_waitcnt vmcnt(0)
	v_sub_f32_e32 v58, v108, v58
	buffer_store_dword v59, off, s[0:3], 0 offset:120
	buffer_store_dword v58, off, s[0:3], 0 offset:124
	s_and_saveexec_b64 s[4:5], vcc
	s_cbranch_execz .LBB27_153
; %bb.152:
	buffer_load_dword v58, off, s[0:3], 0 offset:112
	buffer_load_dword v59, off, s[0:3], 0 offset:116
	v_mov_b32_e32 v60, 0
	buffer_store_dword v60, off, s[0:3], 0 offset:112
	buffer_store_dword v60, off, s[0:3], 0 offset:116
	s_waitcnt vmcnt(2)
	ds_write_b64 v57, v[58:59]
.LBB27_153:
	s_or_b64 exec, exec, s[4:5]
	s_waitcnt lgkmcnt(0)
	; wave barrier
	buffer_load_dword v85, off, s[0:3], 0 offset:124
	buffer_load_dword v86, off, s[0:3], 0 offset:132
	;; [unrolled: 1-line block ×28, first 2 shown]
	v_mov_b32_e32 v58, 0
	ds_read2_b64 v[59:62], v58 offset0:43 offset1:44
	ds_read2_b64 v[63:66], v58 offset0:45 offset1:46
	;; [unrolled: 1-line block ×6, first 2 shown]
	ds_read_b64 v[83:84], v58 offset:440
	v_cmp_lt_u32_e32 vcc, 13, v0
	s_waitcnt vmcnt(27) lgkmcnt(6)
	v_mul_f32_e32 v113, v59, v85
	v_mul_f32_e32 v85, v60, v85
	s_waitcnt vmcnt(26)
	v_mul_f32_e32 v114, v61, v86
	v_mul_f32_e32 v86, v62, v86
	s_waitcnt vmcnt(25) lgkmcnt(5)
	v_mul_f32_e32 v115, v63, v87
	v_mul_f32_e32 v87, v64, v87
	s_waitcnt vmcnt(24)
	v_mul_f32_e32 v116, v65, v88
	v_mul_f32_e32 v88, v66, v88
	;; [unrolled: 6-line block ×3, first 2 shown]
	s_waitcnt vmcnt(21) lgkmcnt(3)
	v_mul_f32_e32 v119, v71, v91
	s_waitcnt vmcnt(14)
	v_fma_f32 v59, v59, v98, -v85
	v_fmac_f32_e32 v113, v60, v98
	s_waitcnt vmcnt(13)
	v_fma_f32 v60, v61, v99, -v86
	v_add_f32_e32 v59, 0, v59
	s_waitcnt vmcnt(12)
	v_fma_f32 v61, v63, v100, -v87
	v_add_f32_e32 v59, v59, v60
	v_fmac_f32_e32 v114, v62, v99
	s_waitcnt vmcnt(11)
	v_fma_f32 v62, v65, v101, -v88
	v_add_f32_e32 v59, v59, v61
	s_waitcnt vmcnt(10)
	v_fma_f32 v63, v67, v102, -v89
	v_add_f32_e32 v59, v59, v62
	v_fmac_f32_e32 v115, v64, v100
	s_waitcnt vmcnt(9)
	v_fma_f32 v64, v69, v103, -v90
	v_add_f32_e32 v59, v59, v63
	v_mul_f32_e32 v61, v72, v91
	v_add_f32_e32 v59, v59, v64
	s_waitcnt vmcnt(8)
	v_fma_f32 v61, v71, v104, -v61
	v_add_f32_e32 v59, v59, v61
	v_mul_f32_e32 v61, v74, v92
	v_add_f32_e32 v65, 0, v113
	s_waitcnt vmcnt(7)
	v_fma_f32 v61, v73, v105, -v61
	v_add_f32_e32 v65, v65, v114
	v_add_f32_e32 v59, v59, v61
	s_waitcnt lgkmcnt(2)
	v_mul_f32_e32 v61, v76, v93
	v_fmac_f32_e32 v116, v66, v101
	v_add_f32_e32 v60, v65, v115
	s_waitcnt vmcnt(6)
	v_fma_f32 v61, v75, v106, -v61
	v_fmac_f32_e32 v117, v68, v102
	v_add_f32_e32 v60, v60, v116
	v_add_f32_e32 v59, v59, v61
	v_mul_f32_e32 v61, v78, v94
	v_fmac_f32_e32 v118, v70, v103
	v_add_f32_e32 v60, v60, v117
	s_waitcnt vmcnt(5)
	v_fma_f32 v61, v77, v107, -v61
	v_mul_f32_e32 v120, v73, v92
	v_fmac_f32_e32 v119, v72, v104
	v_add_f32_e32 v60, v60, v118
	v_add_f32_e32 v59, v59, v61
	s_waitcnt lgkmcnt(1)
	v_mul_f32_e32 v61, v80, v95
	v_mul_f32_e32 v121, v75, v93
	v_fmac_f32_e32 v120, v74, v105
	v_add_f32_e32 v60, v60, v119
	s_waitcnt vmcnt(4)
	v_fma_f32 v61, v79, v108, -v61
	v_mul_f32_e32 v122, v77, v94
	v_fmac_f32_e32 v121, v76, v106
	v_add_f32_e32 v60, v60, v120
	v_add_f32_e32 v59, v59, v61
	v_mul_f32_e32 v61, v82, v96
	v_mul_f32_e32 v123, v79, v95
	v_fmac_f32_e32 v122, v78, v107
	v_add_f32_e32 v60, v60, v121
	s_waitcnt vmcnt(3)
	v_fma_f32 v61, v81, v109, -v61
	v_mul_f32_e32 v124, v81, v96
	v_fmac_f32_e32 v123, v80, v108
	v_add_f32_e32 v60, v60, v122
	v_add_f32_e32 v59, v59, v61
	s_waitcnt lgkmcnt(0)
	v_mul_f32_e32 v61, v84, v97
	v_mul_f32_e32 v125, v83, v97
	v_fmac_f32_e32 v124, v82, v109
	v_add_f32_e32 v60, v60, v123
	s_waitcnt vmcnt(2)
	v_fma_f32 v61, v83, v110, -v61
	v_fmac_f32_e32 v125, v84, v110
	v_add_f32_e32 v60, v60, v124
	v_add_f32_e32 v59, v59, v61
	v_add_f32_e32 v60, v60, v125
	s_waitcnt vmcnt(1)
	v_sub_f32_e32 v59, v111, v59
	s_waitcnt vmcnt(0)
	v_sub_f32_e32 v60, v112, v60
	buffer_store_dword v59, off, s[0:3], 0 offset:112
	buffer_store_dword v60, off, s[0:3], 0 offset:116
	s_and_saveexec_b64 s[4:5], vcc
	s_cbranch_execz .LBB27_155
; %bb.154:
	buffer_load_dword v59, off, s[0:3], 0 offset:104
	buffer_load_dword v60, off, s[0:3], 0 offset:108
	s_waitcnt vmcnt(0)
	ds_write_b64 v57, v[59:60]
	buffer_store_dword v58, off, s[0:3], 0 offset:104
	buffer_store_dword v58, off, s[0:3], 0 offset:108
.LBB27_155:
	s_or_b64 exec, exec, s[4:5]
	s_waitcnt lgkmcnt(0)
	; wave barrier
	ds_read_b128 v[59:62], v58 offset:336
	ds_read_b128 v[63:66], v58 offset:352
	ds_read_b128 v[67:70], v58 offset:368
	ds_read_b128 v[71:74], v58 offset:384
	buffer_load_dword v87, off, s[0:3], 0 offset:104
	buffer_load_dword v88, off, s[0:3], 0 offset:108
	;; [unrolled: 1-line block ×18, first 2 shown]
	v_cmp_lt_u32_e32 vcc, 12, v0
	s_waitcnt vmcnt(14) lgkmcnt(3)
	v_mul_f32_e32 v75, v59, v90
	v_fmac_f32_e32 v75, v60, v89
	s_waitcnt vmcnt(12)
	v_mul_f32_e32 v76, v61, v92
	v_add_f32_e32 v75, 0, v75
	v_fmac_f32_e32 v76, v62, v91
	v_add_f32_e32 v75, v75, v76
	s_waitcnt vmcnt(10) lgkmcnt(2)
	v_mul_f32_e32 v76, v63, v94
	v_fmac_f32_e32 v76, v64, v93
	v_add_f32_e32 v75, v75, v76
	s_waitcnt vmcnt(8)
	v_mul_f32_e32 v76, v65, v96
	v_fmac_f32_e32 v76, v66, v95
	v_add_f32_e32 v75, v75, v76
	s_waitcnt vmcnt(6) lgkmcnt(1)
	v_mul_f32_e32 v76, v67, v98
	v_fmac_f32_e32 v76, v68, v97
	v_add_f32_e32 v75, v75, v76
	s_waitcnt vmcnt(4)
	v_mul_f32_e32 v76, v69, v100
	;; [unrolled: 8-line block ×3, first 2 shown]
	v_fmac_f32_e32 v76, v74, v103
	v_add_f32_e32 v79, v75, v76
	ds_read_b128 v[75:78], v58 offset:400
	buffer_load_dword v105, off, s[0:3], 0 offset:176
	buffer_load_dword v106, off, s[0:3], 0 offset:180
	;; [unrolled: 1-line block ×4, first 2 shown]
	v_mul_f32_e32 v60, v60, v90
	v_fma_f32 v59, v59, v89, -v60
	v_mul_f32_e32 v60, v62, v92
	v_add_f32_e32 v59, 0, v59
	v_fma_f32 v60, v61, v91, -v60
	v_add_f32_e32 v59, v59, v60
	v_mul_f32_e32 v60, v64, v94
	v_fma_f32 v60, v63, v93, -v60
	v_add_f32_e32 v59, v59, v60
	v_mul_f32_e32 v60, v66, v96
	;; [unrolled: 3-line block ×6, first 2 shown]
	v_fma_f32 v60, v73, v103, -v60
	v_add_f32_e32 v59, v59, v60
	s_waitcnt vmcnt(2) lgkmcnt(0)
	v_mul_f32_e32 v80, v75, v106
	v_fmac_f32_e32 v80, v76, v105
	v_add_f32_e32 v79, v79, v80
	s_waitcnt vmcnt(0)
	v_mul_f32_e32 v80, v77, v108
	v_fmac_f32_e32 v80, v78, v107
	v_add_f32_e32 v83, v79, v80
	ds_read_b128 v[79:82], v58 offset:416
	buffer_load_dword v109, off, s[0:3], 0 offset:192
	buffer_load_dword v110, off, s[0:3], 0 offset:196
	;; [unrolled: 1-line block ×4, first 2 shown]
	v_mul_f32_e32 v60, v76, v106
	v_fma_f32 v60, v75, v105, -v60
	v_add_f32_e32 v59, v59, v60
	v_mul_f32_e32 v60, v78, v108
	v_fma_f32 v60, v77, v107, -v60
	v_add_f32_e32 v59, v59, v60
	s_waitcnt vmcnt(2) lgkmcnt(0)
	v_mul_f32_e32 v84, v79, v110
	v_fmac_f32_e32 v84, v80, v109
	v_add_f32_e32 v83, v83, v84
	s_waitcnt vmcnt(0)
	v_mul_f32_e32 v84, v81, v112
	v_fmac_f32_e32 v84, v82, v111
	v_add_f32_e32 v113, v83, v84
	ds_read_b128 v[83:86], v58 offset:432
	buffer_load_dword v58, off, s[0:3], 0 offset:208
	buffer_load_dword v114, off, s[0:3], 0 offset:212
	v_mul_f32_e32 v60, v80, v110
	v_fma_f32 v60, v79, v109, -v60
	v_add_f32_e32 v59, v59, v60
	v_mul_f32_e32 v60, v82, v112
	v_fma_f32 v60, v81, v111, -v60
	v_add_f32_e32 v59, v59, v60
	s_waitcnt vmcnt(0) lgkmcnt(0)
	v_mul_f32_e32 v115, v83, v114
	v_fmac_f32_e32 v115, v84, v58
	v_add_f32_e32 v113, v113, v115
	buffer_load_dword v115, off, s[0:3], 0 offset:216
	buffer_load_dword v116, off, s[0:3], 0 offset:220
	v_mul_f32_e32 v60, v84, v114
	v_fma_f32 v58, v83, v58, -v60
	v_add_f32_e32 v58, v59, v58
	s_waitcnt vmcnt(0)
	v_mul_f32_e32 v59, v86, v116
	v_mul_f32_e32 v117, v85, v116
	v_fma_f32 v59, v85, v115, -v59
	v_fmac_f32_e32 v117, v86, v115
	v_add_f32_e32 v58, v58, v59
	v_add_f32_e32 v113, v113, v117
	v_sub_f32_e32 v58, v87, v58
	v_sub_f32_e32 v59, v88, v113
	buffer_store_dword v58, off, s[0:3], 0 offset:104
	buffer_store_dword v59, off, s[0:3], 0 offset:108
	s_and_saveexec_b64 s[4:5], vcc
	s_cbranch_execz .LBB27_157
; %bb.156:
	buffer_load_dword v58, off, s[0:3], 0 offset:96
	buffer_load_dword v59, off, s[0:3], 0 offset:100
	v_mov_b32_e32 v60, 0
	buffer_store_dword v60, off, s[0:3], 0 offset:96
	buffer_store_dword v60, off, s[0:3], 0 offset:100
	s_waitcnt vmcnt(2)
	ds_write_b64 v57, v[58:59]
.LBB27_157:
	s_or_b64 exec, exec, s[4:5]
	v_mov_b32_e32 v58, 0
	s_waitcnt lgkmcnt(0)
	; wave barrier
	ds_read2_b64 v[59:62], v58 offset0:41 offset1:42
	buffer_load_dword v89, off, s[0:3], 0 offset:96
	buffer_load_dword v90, off, s[0:3], 0 offset:100
	;; [unrolled: 1-line block ×16, first 2 shown]
	v_cmp_lt_u32_e32 vcc, 11, v0
	s_waitcnt vmcnt(12) lgkmcnt(0)
	v_mul_f32_e32 v63, v59, v92
	v_fmac_f32_e32 v63, v60, v91
	s_waitcnt vmcnt(10)
	v_mul_f32_e32 v64, v61, v94
	v_add_f32_e32 v63, 0, v63
	v_fmac_f32_e32 v64, v62, v93
	v_add_f32_e32 v67, v63, v64
	ds_read2_b64 v[63:66], v58 offset0:43 offset1:44
	v_mul_f32_e32 v60, v60, v92
	v_fma_f32 v59, v59, v91, -v60
	v_mul_f32_e32 v60, v62, v94
	v_add_f32_e32 v59, 0, v59
	s_waitcnt vmcnt(8) lgkmcnt(0)
	v_mul_f32_e32 v68, v63, v96
	v_fmac_f32_e32 v68, v64, v95
	v_add_f32_e32 v67, v67, v68
	s_waitcnt vmcnt(6)
	v_mul_f32_e32 v68, v65, v98
	v_fmac_f32_e32 v68, v66, v97
	v_add_f32_e32 v71, v67, v68
	ds_read2_b64 v[67:70], v58 offset0:45 offset1:46
	v_fma_f32 v60, v61, v93, -v60
	v_add_f32_e32 v59, v59, v60
	v_mul_f32_e32 v60, v64, v96
	v_fma_f32 v60, v63, v95, -v60
	s_waitcnt vmcnt(4) lgkmcnt(0)
	v_mul_f32_e32 v72, v67, v100
	v_fmac_f32_e32 v72, v68, v99
	v_add_f32_e32 v71, v71, v72
	s_waitcnt vmcnt(2)
	v_mul_f32_e32 v72, v69, v102
	v_fmac_f32_e32 v72, v70, v101
	v_add_f32_e32 v75, v71, v72
	ds_read2_b64 v[71:74], v58 offset0:47 offset1:48
	buffer_load_dword v105, off, s[0:3], 0 offset:160
	buffer_load_dword v106, off, s[0:3], 0 offset:164
	v_add_f32_e32 v59, v59, v60
	v_mul_f32_e32 v60, v66, v98
	v_fma_f32 v60, v65, v97, -v60
	s_waitcnt vmcnt(2) lgkmcnt(0)
	v_mul_f32_e32 v76, v71, v104
	v_fmac_f32_e32 v76, v72, v103
	v_add_f32_e32 v75, v75, v76
	v_add_f32_e32 v59, v59, v60
	v_mul_f32_e32 v60, v68, v100
	v_fma_f32 v60, v67, v99, -v60
	v_add_f32_e32 v59, v59, v60
	v_mul_f32_e32 v60, v70, v102
	v_fma_f32 v60, v69, v101, -v60
	;; [unrolled: 3-line block ×3, first 2 shown]
	v_add_f32_e32 v59, v59, v60
	s_waitcnt vmcnt(0)
	v_mul_f32_e32 v76, v73, v106
	v_fmac_f32_e32 v76, v74, v105
	v_add_f32_e32 v79, v75, v76
	ds_read2_b64 v[75:78], v58 offset0:49 offset1:50
	buffer_load_dword v107, off, s[0:3], 0 offset:168
	buffer_load_dword v108, off, s[0:3], 0 offset:172
	;; [unrolled: 1-line block ×4, first 2 shown]
	v_mul_f32_e32 v60, v74, v106
	v_fma_f32 v60, v73, v105, -v60
	v_add_f32_e32 v59, v59, v60
	s_waitcnt vmcnt(2) lgkmcnt(0)
	v_mul_f32_e32 v80, v75, v108
	v_fmac_f32_e32 v80, v76, v107
	v_add_f32_e32 v79, v79, v80
	s_waitcnt vmcnt(0)
	v_mul_f32_e32 v80, v77, v110
	v_fmac_f32_e32 v80, v78, v109
	v_add_f32_e32 v83, v79, v80
	ds_read2_b64 v[79:82], v58 offset0:51 offset1:52
	buffer_load_dword v111, off, s[0:3], 0 offset:184
	buffer_load_dword v112, off, s[0:3], 0 offset:188
	buffer_load_dword v113, off, s[0:3], 0 offset:192
	buffer_load_dword v114, off, s[0:3], 0 offset:196
	v_mul_f32_e32 v60, v76, v108
	v_fma_f32 v60, v75, v107, -v60
	v_add_f32_e32 v59, v59, v60
	v_mul_f32_e32 v60, v78, v110
	v_fma_f32 v60, v77, v109, -v60
	v_add_f32_e32 v59, v59, v60
	s_waitcnt vmcnt(2) lgkmcnt(0)
	v_mul_f32_e32 v84, v79, v112
	v_fmac_f32_e32 v84, v80, v111
	v_add_f32_e32 v83, v83, v84
	s_waitcnt vmcnt(0)
	v_mul_f32_e32 v84, v81, v114
	v_fmac_f32_e32 v84, v82, v113
	v_add_f32_e32 v87, v83, v84
	ds_read2_b64 v[83:86], v58 offset0:53 offset1:54
	buffer_load_dword v115, off, s[0:3], 0 offset:200
	buffer_load_dword v116, off, s[0:3], 0 offset:204
	;; [unrolled: 1-line block ×4, first 2 shown]
	v_mul_f32_e32 v60, v80, v112
	v_fma_f32 v60, v79, v111, -v60
	v_add_f32_e32 v59, v59, v60
	v_mul_f32_e32 v60, v82, v114
	v_fma_f32 v60, v81, v113, -v60
	v_add_f32_e32 v59, v59, v60
	s_waitcnt vmcnt(2) lgkmcnt(0)
	v_mul_f32_e32 v88, v83, v116
	v_fmac_f32_e32 v88, v84, v115
	v_add_f32_e32 v87, v87, v88
	s_waitcnt vmcnt(0)
	v_mul_f32_e32 v88, v85, v118
	v_fmac_f32_e32 v88, v86, v117
	v_add_f32_e32 v119, v87, v88
	ds_read_b64 v[87:88], v58 offset:440
	buffer_load_dword v120, off, s[0:3], 0 offset:216
	buffer_load_dword v121, off, s[0:3], 0 offset:220
	v_mul_f32_e32 v60, v84, v116
	v_fma_f32 v60, v83, v115, -v60
	v_add_f32_e32 v59, v59, v60
	v_mul_f32_e32 v60, v86, v118
	v_fma_f32 v60, v85, v117, -v60
	v_add_f32_e32 v59, v59, v60
	s_waitcnt vmcnt(0) lgkmcnt(0)
	v_mul_f32_e32 v60, v88, v121
	v_mul_f32_e32 v122, v87, v121
	v_fma_f32 v60, v87, v120, -v60
	v_fmac_f32_e32 v122, v88, v120
	v_add_f32_e32 v59, v59, v60
	v_add_f32_e32 v119, v119, v122
	v_sub_f32_e32 v59, v89, v59
	v_sub_f32_e32 v60, v90, v119
	buffer_store_dword v59, off, s[0:3], 0 offset:96
	buffer_store_dword v60, off, s[0:3], 0 offset:100
	s_and_saveexec_b64 s[4:5], vcc
	s_cbranch_execz .LBB27_159
; %bb.158:
	buffer_load_dword v59, off, s[0:3], 0 offset:88
	buffer_load_dword v60, off, s[0:3], 0 offset:92
	s_waitcnt vmcnt(0)
	ds_write_b64 v57, v[59:60]
	buffer_store_dword v58, off, s[0:3], 0 offset:88
	buffer_store_dword v58, off, s[0:3], 0 offset:92
.LBB27_159:
	s_or_b64 exec, exec, s[4:5]
	s_waitcnt lgkmcnt(0)
	; wave barrier
	ds_read_b128 v[59:62], v58 offset:320
	ds_read_b128 v[63:66], v58 offset:336
	ds_read_b128 v[67:70], v58 offset:352
	ds_read_b128 v[71:74], v58 offset:368
	buffer_load_dword v91, off, s[0:3], 0 offset:88
	buffer_load_dword v92, off, s[0:3], 0 offset:92
	buffer_load_dword v93, off, s[0:3], 0 offset:96
	buffer_load_dword v94, off, s[0:3], 0 offset:100
	buffer_load_dword v95, off, s[0:3], 0 offset:104
	buffer_load_dword v96, off, s[0:3], 0 offset:108
	buffer_load_dword v97, off, s[0:3], 0 offset:112
	buffer_load_dword v98, off, s[0:3], 0 offset:116
	buffer_load_dword v99, off, s[0:3], 0 offset:120
	buffer_load_dword v100, off, s[0:3], 0 offset:124
	buffer_load_dword v101, off, s[0:3], 0 offset:128
	buffer_load_dword v102, off, s[0:3], 0 offset:132
	buffer_load_dword v103, off, s[0:3], 0 offset:136
	buffer_load_dword v104, off, s[0:3], 0 offset:140
	buffer_load_dword v105, off, s[0:3], 0 offset:144
	buffer_load_dword v106, off, s[0:3], 0 offset:148
	buffer_load_dword v107, off, s[0:3], 0 offset:152
	buffer_load_dword v108, off, s[0:3], 0 offset:156
	v_cmp_lt_u32_e32 vcc, 10, v0
	s_waitcnt vmcnt(14) lgkmcnt(3)
	v_mul_f32_e32 v75, v59, v94
	v_fmac_f32_e32 v75, v60, v93
	s_waitcnt vmcnt(12)
	v_mul_f32_e32 v76, v61, v96
	v_add_f32_e32 v75, 0, v75
	v_fmac_f32_e32 v76, v62, v95
	v_add_f32_e32 v75, v75, v76
	s_waitcnt vmcnt(10) lgkmcnt(2)
	v_mul_f32_e32 v76, v63, v98
	v_fmac_f32_e32 v76, v64, v97
	v_add_f32_e32 v75, v75, v76
	s_waitcnt vmcnt(8)
	v_mul_f32_e32 v76, v65, v100
	v_fmac_f32_e32 v76, v66, v99
	v_add_f32_e32 v75, v75, v76
	s_waitcnt vmcnt(6) lgkmcnt(1)
	v_mul_f32_e32 v76, v67, v102
	v_fmac_f32_e32 v76, v68, v101
	v_add_f32_e32 v75, v75, v76
	s_waitcnt vmcnt(4)
	v_mul_f32_e32 v76, v69, v104
	;; [unrolled: 8-line block ×3, first 2 shown]
	v_fmac_f32_e32 v76, v74, v107
	v_add_f32_e32 v79, v75, v76
	ds_read_b128 v[75:78], v58 offset:384
	buffer_load_dword v109, off, s[0:3], 0 offset:160
	buffer_load_dword v110, off, s[0:3], 0 offset:164
	buffer_load_dword v111, off, s[0:3], 0 offset:168
	buffer_load_dword v112, off, s[0:3], 0 offset:172
	v_mul_f32_e32 v60, v60, v94
	v_fma_f32 v59, v59, v93, -v60
	v_mul_f32_e32 v60, v62, v96
	v_add_f32_e32 v59, 0, v59
	v_fma_f32 v60, v61, v95, -v60
	v_add_f32_e32 v59, v59, v60
	v_mul_f32_e32 v60, v64, v98
	v_fma_f32 v60, v63, v97, -v60
	v_add_f32_e32 v59, v59, v60
	v_mul_f32_e32 v60, v66, v100
	;; [unrolled: 3-line block ×6, first 2 shown]
	v_fma_f32 v60, v73, v107, -v60
	v_add_f32_e32 v59, v59, v60
	s_waitcnt vmcnt(2) lgkmcnt(0)
	v_mul_f32_e32 v80, v75, v110
	v_fmac_f32_e32 v80, v76, v109
	v_add_f32_e32 v79, v79, v80
	s_waitcnt vmcnt(0)
	v_mul_f32_e32 v80, v77, v112
	v_fmac_f32_e32 v80, v78, v111
	v_add_f32_e32 v83, v79, v80
	ds_read_b128 v[79:82], v58 offset:400
	buffer_load_dword v113, off, s[0:3], 0 offset:176
	buffer_load_dword v114, off, s[0:3], 0 offset:180
	;; [unrolled: 1-line block ×4, first 2 shown]
	v_mul_f32_e32 v60, v76, v110
	v_fma_f32 v60, v75, v109, -v60
	v_add_f32_e32 v59, v59, v60
	v_mul_f32_e32 v60, v78, v112
	v_fma_f32 v60, v77, v111, -v60
	v_add_f32_e32 v59, v59, v60
	s_waitcnt vmcnt(2) lgkmcnt(0)
	v_mul_f32_e32 v84, v79, v114
	v_fmac_f32_e32 v84, v80, v113
	v_add_f32_e32 v83, v83, v84
	s_waitcnt vmcnt(0)
	v_mul_f32_e32 v84, v81, v116
	v_fmac_f32_e32 v84, v82, v115
	v_add_f32_e32 v87, v83, v84
	ds_read_b128 v[83:86], v58 offset:416
	buffer_load_dword v117, off, s[0:3], 0 offset:192
	buffer_load_dword v118, off, s[0:3], 0 offset:196
	;; [unrolled: 1-line block ×4, first 2 shown]
	v_mul_f32_e32 v60, v80, v114
	v_fma_f32 v60, v79, v113, -v60
	v_add_f32_e32 v59, v59, v60
	v_mul_f32_e32 v60, v82, v116
	v_fma_f32 v60, v81, v115, -v60
	v_add_f32_e32 v59, v59, v60
	s_waitcnt vmcnt(2) lgkmcnt(0)
	v_mul_f32_e32 v88, v83, v118
	v_fmac_f32_e32 v88, v84, v117
	v_add_f32_e32 v87, v87, v88
	s_waitcnt vmcnt(0)
	v_mul_f32_e32 v88, v85, v120
	v_fmac_f32_e32 v88, v86, v119
	v_add_f32_e32 v121, v87, v88
	ds_read_b128 v[87:90], v58 offset:432
	buffer_load_dword v58, off, s[0:3], 0 offset:208
	buffer_load_dword v122, off, s[0:3], 0 offset:212
	v_mul_f32_e32 v60, v84, v118
	v_fma_f32 v60, v83, v117, -v60
	v_add_f32_e32 v59, v59, v60
	v_mul_f32_e32 v60, v86, v120
	v_fma_f32 v60, v85, v119, -v60
	v_add_f32_e32 v59, v59, v60
	s_waitcnt vmcnt(0) lgkmcnt(0)
	v_mul_f32_e32 v123, v87, v122
	v_fmac_f32_e32 v123, v88, v58
	v_add_f32_e32 v121, v121, v123
	buffer_load_dword v123, off, s[0:3], 0 offset:216
	buffer_load_dword v124, off, s[0:3], 0 offset:220
	v_mul_f32_e32 v60, v88, v122
	v_fma_f32 v58, v87, v58, -v60
	v_add_f32_e32 v58, v59, v58
	s_waitcnt vmcnt(0)
	v_mul_f32_e32 v59, v90, v124
	v_mul_f32_e32 v125, v89, v124
	v_fma_f32 v59, v89, v123, -v59
	v_fmac_f32_e32 v125, v90, v123
	v_add_f32_e32 v58, v58, v59
	v_add_f32_e32 v121, v121, v125
	v_sub_f32_e32 v58, v91, v58
	v_sub_f32_e32 v59, v92, v121
	buffer_store_dword v58, off, s[0:3], 0 offset:88
	buffer_store_dword v59, off, s[0:3], 0 offset:92
	s_and_saveexec_b64 s[4:5], vcc
	s_cbranch_execz .LBB27_161
; %bb.160:
	buffer_load_dword v58, off, s[0:3], 0 offset:80
	buffer_load_dword v59, off, s[0:3], 0 offset:84
	v_mov_b32_e32 v60, 0
	buffer_store_dword v60, off, s[0:3], 0 offset:80
	buffer_store_dword v60, off, s[0:3], 0 offset:84
	s_waitcnt vmcnt(2)
	ds_write_b64 v57, v[58:59]
.LBB27_161:
	s_or_b64 exec, exec, s[4:5]
	s_waitcnt lgkmcnt(0)
	; wave barrier
	buffer_load_dword v93, off, s[0:3], 0 offset:92
	buffer_load_dword v94, off, s[0:3], 0 offset:100
	;; [unrolled: 1-line block ×36, first 2 shown]
	v_mov_b32_e32 v58, 0
	ds_read2_b64 v[59:62], v58 offset0:39 offset1:40
	ds_read2_b64 v[63:66], v58 offset0:41 offset1:42
	;; [unrolled: 1-line block ×8, first 2 shown]
	ds_read_b64 v[91:92], v58 offset:440
	v_cmp_lt_u32_e32 vcc, 9, v0
	s_waitcnt vmcnt(35) lgkmcnt(8)
	v_mul_f32_e32 v129, v59, v93
	s_waitcnt vmcnt(34)
	v_mul_f32_e32 v130, v61, v94
	s_waitcnt vmcnt(33) lgkmcnt(7)
	v_mul_f32_e32 v131, v63, v95
	s_waitcnt vmcnt(32)
	v_mul_f32_e32 v132, v65, v96
	;; [unrolled: 4-line block ×8, first 2 shown]
	s_waitcnt vmcnt(19) lgkmcnt(0)
	v_mul_f32_e32 v145, v91, v109
	s_waitcnt vmcnt(18)
	v_fmac_f32_e32 v129, v60, v110
	v_mul_f32_e32 v60, v60, v93
	v_fma_f32 v59, v59, v110, -v60
	v_mul_f32_e32 v60, v62, v94
	v_add_f32_e32 v59, 0, v59
	s_waitcnt vmcnt(17)
	v_fma_f32 v60, v61, v111, -v60
	v_add_f32_e32 v59, v59, v60
	v_mul_f32_e32 v60, v64, v95
	s_waitcnt vmcnt(16)
	v_fma_f32 v60, v63, v112, -v60
	v_add_f32_e32 v59, v59, v60
	v_mul_f32_e32 v60, v66, v96
	;; [unrolled: 4-line block ×8, first 2 shown]
	v_fmac_f32_e32 v130, v62, v111
	v_add_f32_e32 v129, 0, v129
	s_waitcnt vmcnt(9)
	v_fma_f32 v60, v77, v119, -v60
	v_fmac_f32_e32 v131, v64, v112
	v_add_f32_e32 v129, v129, v130
	v_add_f32_e32 v59, v59, v60
	v_mul_f32_e32 v60, v80, v103
	v_fmac_f32_e32 v132, v66, v113
	v_add_f32_e32 v129, v129, v131
	s_waitcnt vmcnt(8)
	v_fma_f32 v60, v79, v120, -v60
	v_fmac_f32_e32 v133, v68, v114
	v_add_f32_e32 v129, v129, v132
	v_add_f32_e32 v59, v59, v60
	v_mul_f32_e32 v60, v82, v104
	;; [unrolled: 8-line block ×7, first 2 shown]
	v_fmac_f32_e32 v144, v90, v125
	v_add_f32_e32 v129, v129, v143
	s_waitcnt vmcnt(2)
	v_fma_f32 v60, v91, v126, -v60
	v_fmac_f32_e32 v145, v92, v126
	v_add_f32_e32 v129, v129, v144
	v_add_f32_e32 v59, v59, v60
	;; [unrolled: 1-line block ×3, first 2 shown]
	s_waitcnt vmcnt(1)
	v_sub_f32_e32 v59, v127, v59
	s_waitcnt vmcnt(0)
	v_sub_f32_e32 v60, v128, v129
	buffer_store_dword v59, off, s[0:3], 0 offset:80
	buffer_store_dword v60, off, s[0:3], 0 offset:84
	s_and_saveexec_b64 s[4:5], vcc
	s_cbranch_execz .LBB27_163
; %bb.162:
	buffer_load_dword v59, off, s[0:3], 0 offset:72
	buffer_load_dword v60, off, s[0:3], 0 offset:76
	s_waitcnt vmcnt(0)
	ds_write_b64 v57, v[59:60]
	buffer_store_dword v58, off, s[0:3], 0 offset:72
	buffer_store_dword v58, off, s[0:3], 0 offset:76
.LBB27_163:
	s_or_b64 exec, exec, s[4:5]
	s_waitcnt lgkmcnt(0)
	; wave barrier
	buffer_load_dword v95, off, s[0:3], 0 offset:84
	buffer_load_dword v96, off, s[0:3], 0 offset:92
	;; [unrolled: 1-line block ×38, first 2 shown]
	ds_read_b128 v[59:62], v58 offset:304
	ds_read_b128 v[63:66], v58 offset:320
	;; [unrolled: 1-line block ×9, first 2 shown]
	v_cmp_lt_u32_e32 vcc, 8, v0
	s_waitcnt vmcnt(37) lgkmcnt(8)
	v_mul_f32_e32 v58, v59, v95
	s_waitcnt vmcnt(36)
	v_mul_f32_e32 v133, v61, v96
	s_waitcnt vmcnt(35) lgkmcnt(7)
	v_mul_f32_e32 v134, v63, v97
	s_waitcnt vmcnt(34)
	v_mul_f32_e32 v135, v65, v98
	;; [unrolled: 4-line block ×8, first 2 shown]
	s_waitcnt vmcnt(21) lgkmcnt(0)
	v_mul_f32_e32 v148, v91, v111
	s_waitcnt vmcnt(20)
	v_fmac_f32_e32 v58, v60, v112
	v_mul_f32_e32 v60, v60, v95
	v_fma_f32 v59, v59, v112, -v60
	v_mul_f32_e32 v60, v62, v96
	v_add_f32_e32 v59, 0, v59
	s_waitcnt vmcnt(19)
	v_fma_f32 v60, v61, v113, -v60
	v_add_f32_e32 v59, v59, v60
	v_mul_f32_e32 v60, v64, v97
	s_waitcnt vmcnt(18)
	v_fma_f32 v60, v63, v114, -v60
	v_add_f32_e32 v59, v59, v60
	v_mul_f32_e32 v60, v66, v98
	;; [unrolled: 4-line block ×8, first 2 shown]
	s_waitcnt vmcnt(11)
	v_fma_f32 v60, v77, v121, -v60
	v_fmac_f32_e32 v133, v62, v113
	v_add_f32_e32 v58, 0, v58
	v_add_f32_e32 v59, v59, v60
	v_mul_f32_e32 v60, v80, v105
	v_fmac_f32_e32 v134, v64, v114
	v_add_f32_e32 v58, v58, v133
	s_waitcnt vmcnt(10)
	v_fma_f32 v60, v79, v122, -v60
	v_fmac_f32_e32 v135, v66, v115
	v_add_f32_e32 v58, v58, v134
	v_add_f32_e32 v59, v59, v60
	v_mul_f32_e32 v60, v82, v106
	v_fmac_f32_e32 v136, v68, v116
	v_add_f32_e32 v58, v58, v135
	s_waitcnt vmcnt(9)
	v_fma_f32 v60, v81, v123, -v60
	v_fmac_f32_e32 v137, v70, v117
	v_add_f32_e32 v58, v58, v136
	v_add_f32_e32 v59, v59, v60
	v_mul_f32_e32 v60, v84, v107
	v_fmac_f32_e32 v138, v72, v118
	v_add_f32_e32 v58, v58, v137
	s_waitcnt vmcnt(8)
	v_fma_f32 v60, v83, v124, -v60
	v_fmac_f32_e32 v139, v74, v119
	v_add_f32_e32 v58, v58, v138
	v_add_f32_e32 v59, v59, v60
	v_mul_f32_e32 v60, v86, v108
	v_fmac_f32_e32 v140, v76, v120
	v_add_f32_e32 v58, v58, v139
	s_waitcnt vmcnt(7)
	v_fma_f32 v60, v85, v125, -v60
	v_fmac_f32_e32 v141, v78, v121
	v_add_f32_e32 v58, v58, v140
	v_add_f32_e32 v59, v59, v60
	v_mul_f32_e32 v60, v88, v109
	v_fmac_f32_e32 v142, v80, v122
	v_add_f32_e32 v58, v58, v141
	s_waitcnt vmcnt(6)
	v_fma_f32 v60, v87, v126, -v60
	v_fmac_f32_e32 v143, v82, v123
	v_add_f32_e32 v58, v58, v142
	v_add_f32_e32 v59, v59, v60
	v_mul_f32_e32 v60, v90, v110
	v_fmac_f32_e32 v144, v84, v124
	v_add_f32_e32 v58, v58, v143
	s_waitcnt vmcnt(5)
	v_fma_f32 v60, v89, v127, -v60
	v_fmac_f32_e32 v145, v86, v125
	v_add_f32_e32 v58, v58, v144
	v_add_f32_e32 v59, v59, v60
	v_mul_f32_e32 v60, v92, v111
	v_fmac_f32_e32 v146, v88, v126
	v_add_f32_e32 v58, v58, v145
	s_waitcnt vmcnt(4)
	v_fma_f32 v60, v91, v128, -v60
	v_fmac_f32_e32 v147, v90, v127
	v_add_f32_e32 v58, v58, v146
	v_add_f32_e32 v59, v59, v60
	s_waitcnt vmcnt(3)
	v_mul_f32_e32 v60, v94, v129
	v_add_f32_e32 v58, v58, v147
	v_fmac_f32_e32 v148, v92, v128
	v_mul_f32_e32 v133, v93, v129
	s_waitcnt vmcnt(2)
	v_fma_f32 v60, v93, v130, -v60
	v_add_f32_e32 v58, v58, v148
	v_fmac_f32_e32 v133, v94, v130
	v_add_f32_e32 v59, v59, v60
	v_add_f32_e32 v58, v58, v133
	s_waitcnt vmcnt(1)
	v_sub_f32_e32 v59, v131, v59
	s_waitcnt vmcnt(0)
	v_sub_f32_e32 v58, v132, v58
	buffer_store_dword v59, off, s[0:3], 0 offset:72
	buffer_store_dword v58, off, s[0:3], 0 offset:76
	s_and_saveexec_b64 s[4:5], vcc
	s_cbranch_execz .LBB27_165
; %bb.164:
	buffer_load_dword v58, off, s[0:3], 0 offset:64
	buffer_load_dword v59, off, s[0:3], 0 offset:68
	v_mov_b32_e32 v60, 0
	buffer_store_dword v60, off, s[0:3], 0 offset:64
	buffer_store_dword v60, off, s[0:3], 0 offset:68
	s_waitcnt vmcnt(2)
	ds_write_b64 v57, v[58:59]
.LBB27_165:
	s_or_b64 exec, exec, s[4:5]
	s_waitcnt lgkmcnt(0)
	; wave barrier
	buffer_load_dword v97, off, s[0:3], 0 offset:76
	buffer_load_dword v98, off, s[0:3], 0 offset:84
	;; [unrolled: 1-line block ×40, first 2 shown]
	v_mov_b32_e32 v58, 0
	ds_read2_b64 v[59:62], v58 offset0:37 offset1:38
	ds_read2_b64 v[63:66], v58 offset0:39 offset1:40
	;; [unrolled: 1-line block ×9, first 2 shown]
	v_cmp_lt_u32_e32 vcc, 7, v0
	s_waitcnt vmcnt(39) lgkmcnt(8)
	v_mul_f32_e32 v95, v59, v97
	s_waitcnt vmcnt(38)
	v_mul_f32_e32 v96, v61, v98
	s_waitcnt vmcnt(37) lgkmcnt(7)
	v_mul_f32_e32 v137, v63, v99
	s_waitcnt vmcnt(36)
	v_mul_f32_e32 v138, v65, v100
	;; [unrolled: 4-line block ×7, first 2 shown]
	s_waitcnt vmcnt(25) lgkmcnt(1)
	v_mul_f32_e32 v149, v87, v111
	s_waitcnt vmcnt(24)
	v_fmac_f32_e32 v95, v60, v112
	v_mul_f32_e32 v60, v60, v97
	v_fma_f32 v59, v59, v112, -v60
	v_mul_f32_e32 v60, v62, v98
	v_add_f32_e32 v59, 0, v59
	s_waitcnt vmcnt(23)
	v_fma_f32 v60, v61, v113, -v60
	v_add_f32_e32 v59, v59, v60
	v_mul_f32_e32 v60, v64, v99
	s_waitcnt vmcnt(22)
	v_fma_f32 v60, v63, v114, -v60
	v_add_f32_e32 v59, v59, v60
	v_mul_f32_e32 v60, v66, v100
	;; [unrolled: 4-line block ×6, first 2 shown]
	s_waitcnt vmcnt(17)
	v_fma_f32 v60, v73, v119, -v60
	v_fmac_f32_e32 v96, v62, v113
	v_add_f32_e32 v95, 0, v95
	v_add_f32_e32 v59, v59, v60
	v_mul_f32_e32 v60, v76, v105
	v_fmac_f32_e32 v137, v64, v114
	v_add_f32_e32 v95, v95, v96
	s_waitcnt vmcnt(16)
	v_fma_f32 v60, v75, v120, -v60
	v_fmac_f32_e32 v138, v66, v115
	v_add_f32_e32 v95, v95, v137
	v_add_f32_e32 v59, v59, v60
	v_mul_f32_e32 v60, v78, v106
	v_fmac_f32_e32 v139, v68, v116
	v_add_f32_e32 v95, v95, v138
	;; [unrolled: 8-line block ×6, first 2 shown]
	s_waitcnt vmcnt(11)
	v_fma_f32 v60, v85, v125, -v60
	v_fmac_f32_e32 v148, v86, v125
	v_add_f32_e32 v95, v95, v147
	v_add_f32_e32 v59, v59, v60
	v_mul_f32_e32 v60, v88, v111
	s_waitcnt vmcnt(10)
	v_fmac_f32_e32 v149, v88, v126
	v_add_f32_e32 v95, v95, v148
	s_waitcnt vmcnt(9)
	v_mul_f32_e32 v96, v89, v127
	v_fma_f32 v60, v87, v126, -v60
	v_add_f32_e32 v95, v95, v149
	s_waitcnt vmcnt(8)
	v_fmac_f32_e32 v96, v90, v128
	v_add_f32_e32 v59, v59, v60
	v_mul_f32_e32 v60, v90, v127
	v_add_f32_e32 v137, v95, v96
	ds_read_b64 v[95:96], v58 offset:440
	v_fma_f32 v60, v89, v128, -v60
	v_add_f32_e32 v59, v59, v60
	s_waitcnt vmcnt(7) lgkmcnt(1)
	v_mul_f32_e32 v60, v92, v129
	v_mul_f32_e32 v138, v91, v129
	s_waitcnt vmcnt(6)
	v_fma_f32 v60, v91, v130, -v60
	v_fmac_f32_e32 v138, v92, v130
	v_add_f32_e32 v59, v59, v60
	s_waitcnt vmcnt(5)
	v_mul_f32_e32 v60, v94, v131
	v_add_f32_e32 v137, v137, v138
	v_mul_f32_e32 v138, v93, v131
	s_waitcnt vmcnt(4)
	v_fma_f32 v60, v93, v132, -v60
	v_fmac_f32_e32 v138, v94, v132
	v_add_f32_e32 v59, v59, v60
	s_waitcnt vmcnt(3) lgkmcnt(0)
	v_mul_f32_e32 v60, v96, v133
	v_add_f32_e32 v137, v137, v138
	v_mul_f32_e32 v138, v95, v133
	s_waitcnt vmcnt(2)
	v_fma_f32 v60, v95, v134, -v60
	v_fmac_f32_e32 v138, v96, v134
	v_add_f32_e32 v59, v59, v60
	v_add_f32_e32 v137, v137, v138
	s_waitcnt vmcnt(1)
	v_sub_f32_e32 v59, v135, v59
	s_waitcnt vmcnt(0)
	v_sub_f32_e32 v60, v136, v137
	buffer_store_dword v59, off, s[0:3], 0 offset:64
	buffer_store_dword v60, off, s[0:3], 0 offset:68
	s_and_saveexec_b64 s[4:5], vcc
	s_cbranch_execz .LBB27_167
; %bb.166:
	buffer_load_dword v59, off, s[0:3], 0 offset:56
	buffer_load_dword v60, off, s[0:3], 0 offset:60
	s_waitcnt vmcnt(0)
	ds_write_b64 v57, v[59:60]
	buffer_store_dword v58, off, s[0:3], 0 offset:56
	buffer_store_dword v58, off, s[0:3], 0 offset:60
.LBB27_167:
	s_or_b64 exec, exec, s[4:5]
	s_waitcnt lgkmcnt(0)
	; wave barrier
	buffer_load_dword v99, off, s[0:3], 0 offset:68
	buffer_load_dword v100, off, s[0:3], 0 offset:76
	buffer_load_dword v101, off, s[0:3], 0 offset:84
	buffer_load_dword v102, off, s[0:3], 0 offset:92
	buffer_load_dword v103, off, s[0:3], 0 offset:100
	buffer_load_dword v104, off, s[0:3], 0 offset:108
	buffer_load_dword v105, off, s[0:3], 0 offset:116
	buffer_load_dword v106, off, s[0:3], 0 offset:124
	buffer_load_dword v107, off, s[0:3], 0 offset:132
	buffer_load_dword v108, off, s[0:3], 0 offset:140
	buffer_load_dword v109, off, s[0:3], 0 offset:148
	buffer_load_dword v110, off, s[0:3], 0 offset:156
	buffer_load_dword v111, off, s[0:3], 0 offset:164
	buffer_load_dword v112, off, s[0:3], 0 offset:172
	buffer_load_dword v113, off, s[0:3], 0 offset:180
	buffer_load_dword v114, off, s[0:3], 0 offset:64
	buffer_load_dword v115, off, s[0:3], 0 offset:72
	buffer_load_dword v116, off, s[0:3], 0 offset:80
	buffer_load_dword v117, off, s[0:3], 0 offset:88
	buffer_load_dword v118, off, s[0:3], 0 offset:96
	buffer_load_dword v119, off, s[0:3], 0 offset:104
	buffer_load_dword v120, off, s[0:3], 0 offset:112
	buffer_load_dword v121, off, s[0:3], 0 offset:120
	buffer_load_dword v122, off, s[0:3], 0 offset:128
	buffer_load_dword v123, off, s[0:3], 0 offset:136
	buffer_load_dword v124, off, s[0:3], 0 offset:144
	buffer_load_dword v125, off, s[0:3], 0 offset:152
	buffer_load_dword v126, off, s[0:3], 0 offset:160
	buffer_load_dword v127, off, s[0:3], 0 offset:168
	buffer_load_dword v128, off, s[0:3], 0 offset:176
	buffer_load_dword v129, off, s[0:3], 0 offset:188
	buffer_load_dword v130, off, s[0:3], 0 offset:184
	buffer_load_dword v131, off, s[0:3], 0 offset:196
	buffer_load_dword v132, off, s[0:3], 0 offset:192
	buffer_load_dword v133, off, s[0:3], 0 offset:204
	buffer_load_dword v134, off, s[0:3], 0 offset:200
	buffer_load_dword v135, off, s[0:3], 0 offset:212
	buffer_load_dword v136, off, s[0:3], 0 offset:208
	buffer_load_dword v137, off, s[0:3], 0 offset:220
	buffer_load_dword v138, off, s[0:3], 0 offset:216
	buffer_load_dword v139, off, s[0:3], 0 offset:56
	buffer_load_dword v140, off, s[0:3], 0 offset:60
	ds_read_b128 v[59:62], v58 offset:288
	ds_read_b128 v[63:66], v58 offset:304
	;; [unrolled: 1-line block ×8, first 2 shown]
	v_cmp_lt_u32_e32 vcc, 6, v0
	s_waitcnt vmcnt(41) lgkmcnt(7)
	v_mul_f32_e32 v91, v59, v99
	s_waitcnt vmcnt(40)
	v_mul_f32_e32 v92, v61, v100
	s_waitcnt vmcnt(39) lgkmcnt(6)
	v_mul_f32_e32 v93, v63, v101
	s_waitcnt vmcnt(38)
	v_mul_f32_e32 v94, v65, v102
	;; [unrolled: 4-line block ×7, first 2 shown]
	s_waitcnt vmcnt(27) lgkmcnt(0)
	v_mul_f32_e32 v147, v87, v113
	s_waitcnt vmcnt(26)
	v_fmac_f32_e32 v91, v60, v114
	v_mul_f32_e32 v60, v60, v99
	v_fma_f32 v59, v59, v114, -v60
	v_mul_f32_e32 v60, v62, v100
	v_add_f32_e32 v59, 0, v59
	s_waitcnt vmcnt(25)
	v_fma_f32 v60, v61, v115, -v60
	v_add_f32_e32 v59, v59, v60
	v_mul_f32_e32 v60, v64, v101
	s_waitcnt vmcnt(24)
	v_fma_f32 v60, v63, v116, -v60
	v_add_f32_e32 v59, v59, v60
	v_mul_f32_e32 v60, v66, v102
	;; [unrolled: 4-line block ×5, first 2 shown]
	v_fmac_f32_e32 v92, v62, v115
	v_add_f32_e32 v91, 0, v91
	s_waitcnt vmcnt(20)
	v_fma_f32 v60, v71, v120, -v60
	v_fmac_f32_e32 v93, v64, v116
	v_add_f32_e32 v91, v91, v92
	v_add_f32_e32 v59, v59, v60
	v_mul_f32_e32 v60, v74, v106
	v_fmac_f32_e32 v94, v66, v117
	v_add_f32_e32 v91, v91, v93
	s_waitcnt vmcnt(19)
	v_fma_f32 v60, v73, v121, -v60
	v_fmac_f32_e32 v95, v68, v118
	v_add_f32_e32 v91, v91, v94
	v_add_f32_e32 v59, v59, v60
	v_mul_f32_e32 v60, v76, v107
	;; [unrolled: 8-line block ×5, first 2 shown]
	s_waitcnt vmcnt(15)
	v_fmac_f32_e32 v144, v82, v125
	v_add_f32_e32 v91, v91, v143
	v_fma_f32 v60, v81, v125, -v60
	s_waitcnt vmcnt(14)
	v_fmac_f32_e32 v145, v84, v126
	v_add_f32_e32 v91, v91, v144
	v_add_f32_e32 v59, v59, v60
	v_mul_f32_e32 v60, v84, v111
	s_waitcnt vmcnt(13)
	v_fmac_f32_e32 v146, v86, v127
	v_add_f32_e32 v91, v91, v145
	v_fma_f32 v60, v83, v126, -v60
	s_waitcnt vmcnt(12)
	v_fmac_f32_e32 v147, v88, v128
	v_add_f32_e32 v91, v91, v146
	v_add_f32_e32 v59, v59, v60
	v_mul_f32_e32 v60, v86, v112
	v_add_f32_e32 v95, v91, v147
	ds_read_b128 v[91:94], v58 offset:416
	v_fma_f32 v60, v85, v127, -v60
	v_add_f32_e32 v59, v59, v60
	v_mul_f32_e32 v60, v88, v113
	s_waitcnt vmcnt(11)
	v_mul_f32_e32 v96, v89, v129
	v_fma_f32 v60, v87, v128, -v60
	s_waitcnt vmcnt(10)
	v_fmac_f32_e32 v96, v90, v130
	v_add_f32_e32 v59, v59, v60
	v_mul_f32_e32 v60, v90, v129
	v_add_f32_e32 v141, v95, v96
	ds_read_b128 v[95:98], v58 offset:432
	v_fma_f32 v60, v89, v130, -v60
	v_add_f32_e32 v59, v59, v60
	s_waitcnt vmcnt(9) lgkmcnt(1)
	v_mul_f32_e32 v60, v92, v131
	v_mul_f32_e32 v58, v91, v131
	s_waitcnt vmcnt(8)
	v_fma_f32 v60, v91, v132, -v60
	v_fmac_f32_e32 v58, v92, v132
	v_add_f32_e32 v59, v59, v60
	s_waitcnt vmcnt(7)
	v_mul_f32_e32 v60, v94, v133
	v_add_f32_e32 v58, v141, v58
	v_mul_f32_e32 v141, v93, v133
	s_waitcnt vmcnt(6)
	v_fma_f32 v60, v93, v134, -v60
	v_fmac_f32_e32 v141, v94, v134
	v_add_f32_e32 v59, v59, v60
	s_waitcnt vmcnt(5) lgkmcnt(0)
	v_mul_f32_e32 v60, v96, v135
	v_add_f32_e32 v58, v58, v141
	v_mul_f32_e32 v141, v95, v135
	s_waitcnt vmcnt(4)
	v_fma_f32 v60, v95, v136, -v60
	v_fmac_f32_e32 v141, v96, v136
	v_add_f32_e32 v59, v59, v60
	s_waitcnt vmcnt(3)
	v_mul_f32_e32 v60, v98, v137
	v_add_f32_e32 v58, v58, v141
	v_mul_f32_e32 v141, v97, v137
	s_waitcnt vmcnt(2)
	v_fma_f32 v60, v97, v138, -v60
	v_fmac_f32_e32 v141, v98, v138
	v_add_f32_e32 v59, v59, v60
	v_add_f32_e32 v58, v58, v141
	s_waitcnt vmcnt(1)
	v_sub_f32_e32 v59, v139, v59
	s_waitcnt vmcnt(0)
	v_sub_f32_e32 v58, v140, v58
	buffer_store_dword v59, off, s[0:3], 0 offset:56
	buffer_store_dword v58, off, s[0:3], 0 offset:60
	s_and_saveexec_b64 s[4:5], vcc
	s_cbranch_execz .LBB27_169
; %bb.168:
	buffer_load_dword v58, off, s[0:3], 0 offset:48
	buffer_load_dword v59, off, s[0:3], 0 offset:52
	v_mov_b32_e32 v60, 0
	buffer_store_dword v60, off, s[0:3], 0 offset:48
	buffer_store_dword v60, off, s[0:3], 0 offset:52
	s_waitcnt vmcnt(2)
	ds_write_b64 v57, v[58:59]
.LBB27_169:
	s_or_b64 exec, exec, s[4:5]
	s_waitcnt lgkmcnt(0)
	; wave barrier
	buffer_load_dword v101, off, s[0:3], 0 offset:60
	buffer_load_dword v102, off, s[0:3], 0 offset:68
	;; [unrolled: 1-line block ×44, first 2 shown]
	v_mov_b32_e32 v58, 0
	ds_read2_b64 v[59:62], v58 offset0:35 offset1:36
	ds_read2_b64 v[63:66], v58 offset0:37 offset1:38
	;; [unrolled: 1-line block ×8, first 2 shown]
	v_cmp_lt_u32_e32 vcc, 5, v0
	s_waitcnt vmcnt(43) lgkmcnt(7)
	v_mul_f32_e32 v91, v59, v101
	s_waitcnt vmcnt(42)
	v_mul_f32_e32 v92, v61, v102
	s_waitcnt vmcnt(41) lgkmcnt(6)
	v_mul_f32_e32 v93, v63, v103
	s_waitcnt vmcnt(40)
	v_mul_f32_e32 v94, v65, v104
	;; [unrolled: 4-line block ×7, first 2 shown]
	s_waitcnt vmcnt(29)
	v_fmac_f32_e32 v91, v60, v115
	v_mul_f32_e32 v60, v60, v101
	v_fma_f32 v59, v59, v115, -v60
	v_mul_f32_e32 v60, v62, v102
	v_add_f32_e32 v59, 0, v59
	s_waitcnt vmcnt(28)
	v_fma_f32 v60, v61, v116, -v60
	v_add_f32_e32 v59, v59, v60
	v_mul_f32_e32 v60, v64, v103
	s_waitcnt vmcnt(27)
	v_fma_f32 v60, v63, v117, -v60
	v_add_f32_e32 v59, v59, v60
	v_mul_f32_e32 v60, v66, v104
	s_waitcnt vmcnt(26)
	v_fma_f32 v60, v65, v118, -v60
	v_add_f32_e32 v59, v59, v60
	v_mul_f32_e32 v60, v68, v105
	s_waitcnt vmcnt(25)
	v_fma_f32 v60, v67, v119, -v60
	v_add_f32_e32 v59, v59, v60
	v_mul_f32_e32 v60, v70, v106
	s_waitcnt vmcnt(24)
	v_fma_f32 v60, v69, v120, -v60
	v_fmac_f32_e32 v92, v62, v116
	v_add_f32_e32 v91, 0, v91
	v_add_f32_e32 v59, v59, v60
	v_mul_f32_e32 v60, v72, v107
	v_fmac_f32_e32 v93, v64, v117
	v_add_f32_e32 v91, v91, v92
	s_waitcnt vmcnt(23)
	v_fma_f32 v60, v71, v121, -v60
	v_fmac_f32_e32 v94, v66, v118
	v_add_f32_e32 v91, v91, v93
	v_add_f32_e32 v59, v59, v60
	v_mul_f32_e32 v60, v74, v108
	v_fmac_f32_e32 v95, v68, v119
	v_add_f32_e32 v91, v91, v94
	;; [unrolled: 8-line block ×4, first 2 shown]
	s_waitcnt vmcnt(20)
	v_fma_f32 v60, v77, v124, -v60
	v_fmac_f32_e32 v100, v78, v124
	v_add_f32_e32 v91, v91, v99
	v_add_f32_e32 v59, v59, v60
	v_mul_f32_e32 v60, v80, v111
	s_waitcnt vmcnt(19)
	v_fmac_f32_e32 v145, v80, v125
	v_add_f32_e32 v91, v91, v100
	v_fma_f32 v60, v79, v125, -v60
	s_waitcnt vmcnt(18)
	v_fmac_f32_e32 v146, v82, v126
	v_add_f32_e32 v91, v91, v145
	v_add_f32_e32 v59, v59, v60
	v_mul_f32_e32 v60, v82, v112
	s_waitcnt vmcnt(17)
	v_fmac_f32_e32 v147, v84, v127
	v_add_f32_e32 v91, v91, v146
	v_fma_f32 v60, v81, v126, -v60
	v_add_f32_e32 v91, v91, v147
	s_waitcnt vmcnt(16)
	v_fmac_f32_e32 v148, v86, v128
	s_waitcnt vmcnt(15) lgkmcnt(0)
	v_mul_f32_e32 v92, v87, v129
	v_add_f32_e32 v59, v59, v60
	v_mul_f32_e32 v60, v84, v113
	v_add_f32_e32 v91, v91, v148
	s_waitcnt vmcnt(14)
	v_fmac_f32_e32 v92, v88, v130
	v_fma_f32 v60, v83, v127, -v60
	v_add_f32_e32 v95, v91, v92
	ds_read2_b64 v[91:94], v58 offset0:51 offset1:52
	v_add_f32_e32 v59, v59, v60
	v_mul_f32_e32 v60, v86, v114
	v_fma_f32 v60, v85, v128, -v60
	v_add_f32_e32 v59, v59, v60
	v_mul_f32_e32 v60, v88, v129
	s_waitcnt vmcnt(13)
	v_mul_f32_e32 v96, v89, v131
	v_fma_f32 v60, v87, v130, -v60
	s_waitcnt vmcnt(12)
	v_fmac_f32_e32 v96, v90, v132
	v_add_f32_e32 v59, v59, v60
	v_mul_f32_e32 v60, v90, v131
	v_add_f32_e32 v99, v95, v96
	ds_read2_b64 v[95:98], v58 offset0:53 offset1:54
	s_waitcnt vmcnt(11) lgkmcnt(1)
	v_mul_f32_e32 v100, v91, v133
	v_fma_f32 v60, v89, v132, -v60
	s_waitcnt vmcnt(10)
	v_fmac_f32_e32 v100, v92, v134
	v_add_f32_e32 v59, v59, v60
	v_mul_f32_e32 v60, v92, v133
	v_add_f32_e32 v99, v99, v100
	s_waitcnt vmcnt(9)
	v_mul_f32_e32 v100, v93, v135
	v_fma_f32 v60, v91, v134, -v60
	s_waitcnt vmcnt(8)
	v_fmac_f32_e32 v100, v94, v136
	v_add_f32_e32 v59, v59, v60
	v_mul_f32_e32 v60, v94, v135
	v_add_f32_e32 v145, v99, v100
	ds_read_b64 v[99:100], v58 offset:440
	v_fma_f32 v60, v93, v136, -v60
	v_add_f32_e32 v59, v59, v60
	s_waitcnt vmcnt(7) lgkmcnt(1)
	v_mul_f32_e32 v60, v96, v137
	v_mul_f32_e32 v146, v95, v137
	s_waitcnt vmcnt(6)
	v_fma_f32 v60, v95, v138, -v60
	v_fmac_f32_e32 v146, v96, v138
	v_add_f32_e32 v59, v59, v60
	s_waitcnt vmcnt(5)
	v_mul_f32_e32 v60, v98, v139
	v_add_f32_e32 v145, v145, v146
	v_mul_f32_e32 v146, v97, v139
	s_waitcnt vmcnt(4)
	v_fma_f32 v60, v97, v140, -v60
	v_fmac_f32_e32 v146, v98, v140
	v_add_f32_e32 v59, v59, v60
	s_waitcnt vmcnt(3) lgkmcnt(0)
	v_mul_f32_e32 v60, v100, v141
	v_add_f32_e32 v145, v145, v146
	v_mul_f32_e32 v146, v99, v141
	s_waitcnt vmcnt(2)
	v_fma_f32 v60, v99, v142, -v60
	v_fmac_f32_e32 v146, v100, v142
	v_add_f32_e32 v59, v59, v60
	v_add_f32_e32 v145, v145, v146
	s_waitcnt vmcnt(1)
	v_sub_f32_e32 v59, v143, v59
	s_waitcnt vmcnt(0)
	v_sub_f32_e32 v60, v144, v145
	buffer_store_dword v59, off, s[0:3], 0 offset:48
	buffer_store_dword v60, off, s[0:3], 0 offset:52
	s_and_saveexec_b64 s[4:5], vcc
	s_cbranch_execz .LBB27_171
; %bb.170:
	buffer_load_dword v59, off, s[0:3], 0 offset:40
	buffer_load_dword v60, off, s[0:3], 0 offset:44
	s_waitcnt vmcnt(0)
	ds_write_b64 v57, v[59:60]
	buffer_store_dword v58, off, s[0:3], 0 offset:40
	buffer_store_dword v58, off, s[0:3], 0 offset:44
.LBB27_171:
	s_or_b64 exec, exec, s[4:5]
	s_waitcnt lgkmcnt(0)
	; wave barrier
	buffer_load_dword v103, off, s[0:3], 0 offset:52
	buffer_load_dword v104, off, s[0:3], 0 offset:60
	;; [unrolled: 1-line block ×46, first 2 shown]
	ds_read_b128 v[59:62], v58 offset:272
	ds_read_b128 v[63:66], v58 offset:288
	;; [unrolled: 1-line block ×8, first 2 shown]
	v_cmp_lt_u32_e32 vcc, 4, v0
	s_waitcnt vmcnt(45) lgkmcnt(7)
	v_mul_f32_e32 v91, v59, v103
	s_waitcnt vmcnt(44)
	v_mul_f32_e32 v92, v61, v104
	s_waitcnt vmcnt(43) lgkmcnt(6)
	v_mul_f32_e32 v93, v63, v105
	s_waitcnt vmcnt(42)
	v_mul_f32_e32 v94, v65, v106
	;; [unrolled: 4-line block ×6, first 2 shown]
	s_waitcnt vmcnt(33) lgkmcnt(1)
	v_mul_f32_e32 v149, v83, v115
	s_waitcnt vmcnt(32)
	v_fmac_f32_e32 v91, v60, v116
	v_mul_f32_e32 v60, v60, v103
	v_fma_f32 v59, v59, v116, -v60
	v_mul_f32_e32 v60, v62, v104
	v_add_f32_e32 v59, 0, v59
	s_waitcnt vmcnt(31)
	v_fma_f32 v60, v61, v117, -v60
	v_add_f32_e32 v59, v59, v60
	v_mul_f32_e32 v60, v64, v105
	s_waitcnt vmcnt(30)
	v_fma_f32 v60, v63, v118, -v60
	v_add_f32_e32 v59, v59, v60
	v_mul_f32_e32 v60, v66, v106
	;; [unrolled: 4-line block ×4, first 2 shown]
	v_fmac_f32_e32 v92, v62, v117
	v_add_f32_e32 v91, 0, v91
	s_waitcnt vmcnt(27)
	v_fma_f32 v60, v69, v121, -v60
	v_fmac_f32_e32 v93, v64, v118
	v_add_f32_e32 v91, v91, v92
	v_add_f32_e32 v59, v59, v60
	v_mul_f32_e32 v60, v72, v109
	v_fmac_f32_e32 v94, v66, v119
	v_add_f32_e32 v91, v91, v93
	s_waitcnt vmcnt(26)
	v_fma_f32 v60, v71, v122, -v60
	v_fmac_f32_e32 v95, v68, v120
	v_add_f32_e32 v91, v91, v94
	v_add_f32_e32 v59, v59, v60
	v_mul_f32_e32 v60, v74, v110
	;; [unrolled: 8-line block ×4, first 2 shown]
	s_waitcnt vmcnt(23)
	v_fmac_f32_e32 v100, v78, v125
	v_add_f32_e32 v91, v91, v99
	v_fma_f32 v60, v77, v125, -v60
	s_waitcnt vmcnt(22)
	v_fmac_f32_e32 v101, v80, v126
	v_add_f32_e32 v91, v91, v100
	v_add_f32_e32 v59, v59, v60
	v_mul_f32_e32 v60, v80, v113
	s_waitcnt vmcnt(21)
	v_fmac_f32_e32 v102, v82, v127
	v_add_f32_e32 v91, v91, v101
	v_fma_f32 v60, v79, v126, -v60
	s_waitcnt vmcnt(20)
	v_fmac_f32_e32 v149, v84, v128
	v_add_f32_e32 v91, v91, v102
	s_waitcnt vmcnt(19)
	v_mul_f32_e32 v92, v85, v129
	v_add_f32_e32 v59, v59, v60
	v_mul_f32_e32 v60, v82, v114
	v_add_f32_e32 v91, v91, v149
	s_waitcnt vmcnt(18)
	v_fmac_f32_e32 v92, v86, v130
	v_fma_f32 v60, v81, v127, -v60
	v_add_f32_e32 v91, v91, v92
	s_waitcnt vmcnt(17) lgkmcnt(0)
	v_mul_f32_e32 v92, v87, v131
	v_add_f32_e32 v59, v59, v60
	v_mul_f32_e32 v60, v84, v115
	s_waitcnt vmcnt(16)
	v_fmac_f32_e32 v92, v88, v132
	v_fma_f32 v60, v83, v128, -v60
	v_add_f32_e32 v95, v91, v92
	ds_read_b128 v[91:94], v58 offset:400
	v_add_f32_e32 v59, v59, v60
	v_mul_f32_e32 v60, v86, v129
	v_fma_f32 v60, v85, v130, -v60
	v_add_f32_e32 v59, v59, v60
	v_mul_f32_e32 v60, v88, v131
	s_waitcnt vmcnt(15)
	v_mul_f32_e32 v96, v89, v133
	v_fma_f32 v60, v87, v132, -v60
	s_waitcnt vmcnt(14)
	v_fmac_f32_e32 v96, v90, v134
	v_add_f32_e32 v59, v59, v60
	v_mul_f32_e32 v60, v90, v133
	v_add_f32_e32 v99, v95, v96
	ds_read_b128 v[95:98], v58 offset:416
	s_waitcnt vmcnt(13) lgkmcnt(1)
	v_mul_f32_e32 v100, v91, v135
	v_fma_f32 v60, v89, v134, -v60
	s_waitcnt vmcnt(12)
	v_fmac_f32_e32 v100, v92, v136
	v_add_f32_e32 v59, v59, v60
	v_mul_f32_e32 v60, v92, v135
	v_add_f32_e32 v99, v99, v100
	s_waitcnt vmcnt(11)
	v_mul_f32_e32 v100, v93, v137
	v_fma_f32 v60, v91, v136, -v60
	s_waitcnt vmcnt(10)
	v_fmac_f32_e32 v100, v94, v138
	v_add_f32_e32 v59, v59, v60
	v_mul_f32_e32 v60, v94, v137
	v_add_f32_e32 v149, v99, v100
	ds_read_b128 v[99:102], v58 offset:432
	v_fma_f32 v60, v93, v138, -v60
	v_add_f32_e32 v59, v59, v60
	s_waitcnt vmcnt(9) lgkmcnt(1)
	v_mul_f32_e32 v60, v96, v139
	v_mul_f32_e32 v150, v95, v139
	s_waitcnt vmcnt(8)
	v_fma_f32 v60, v95, v140, -v60
	v_fmac_f32_e32 v150, v96, v140
	v_add_f32_e32 v59, v59, v60
	s_waitcnt vmcnt(7)
	v_mul_f32_e32 v60, v98, v141
	v_add_f32_e32 v58, v149, v150
	v_mul_f32_e32 v149, v97, v141
	s_waitcnt vmcnt(6)
	v_fma_f32 v60, v97, v142, -v60
	v_fmac_f32_e32 v149, v98, v142
	v_add_f32_e32 v59, v59, v60
	s_waitcnt vmcnt(5) lgkmcnt(0)
	v_mul_f32_e32 v60, v100, v143
	v_add_f32_e32 v58, v58, v149
	v_mul_f32_e32 v149, v99, v143
	s_waitcnt vmcnt(4)
	v_fma_f32 v60, v99, v144, -v60
	v_fmac_f32_e32 v149, v100, v144
	v_add_f32_e32 v59, v59, v60
	s_waitcnt vmcnt(3)
	v_mul_f32_e32 v60, v102, v145
	v_add_f32_e32 v58, v58, v149
	v_mul_f32_e32 v149, v101, v145
	s_waitcnt vmcnt(2)
	v_fma_f32 v60, v101, v146, -v60
	v_fmac_f32_e32 v149, v102, v146
	v_add_f32_e32 v59, v59, v60
	v_add_f32_e32 v58, v58, v149
	s_waitcnt vmcnt(1)
	v_sub_f32_e32 v59, v147, v59
	s_waitcnt vmcnt(0)
	v_sub_f32_e32 v58, v148, v58
	buffer_store_dword v59, off, s[0:3], 0 offset:40
	buffer_store_dword v58, off, s[0:3], 0 offset:44
	s_and_saveexec_b64 s[4:5], vcc
	s_cbranch_execz .LBB27_173
; %bb.172:
	buffer_load_dword v58, off, s[0:3], 0 offset:32
	buffer_load_dword v59, off, s[0:3], 0 offset:36
	v_mov_b32_e32 v60, 0
	buffer_store_dword v60, off, s[0:3], 0 offset:32
	buffer_store_dword v60, off, s[0:3], 0 offset:36
	s_waitcnt vmcnt(2)
	ds_write_b64 v57, v[58:59]
.LBB27_173:
	s_or_b64 exec, exec, s[4:5]
	s_waitcnt lgkmcnt(0)
	; wave barrier
	buffer_load_dword v105, off, s[0:3], 0 offset:44
	buffer_load_dword v106, off, s[0:3], 0 offset:52
	;; [unrolled: 1-line block ×48, first 2 shown]
	v_mov_b32_e32 v58, 0
	ds_read2_b64 v[59:62], v58 offset0:33 offset1:34
	ds_read2_b64 v[63:66], v58 offset0:35 offset1:36
	;; [unrolled: 1-line block ×7, first 2 shown]
	v_cmp_lt_u32_e32 vcc, 3, v0
	s_waitcnt vmcnt(47) lgkmcnt(6)
	v_mul_f32_e32 v87, v59, v105
	s_waitcnt vmcnt(46)
	v_mul_f32_e32 v88, v61, v106
	s_waitcnt vmcnt(45) lgkmcnt(5)
	v_mul_f32_e32 v89, v63, v107
	s_waitcnt vmcnt(44)
	v_mul_f32_e32 v90, v65, v108
	;; [unrolled: 4-line block ×6, first 2 shown]
	s_waitcnt vmcnt(35)
	v_fmac_f32_e32 v87, v60, v117
	v_mul_f32_e32 v60, v60, v105
	v_fma_f32 v59, v59, v117, -v60
	v_mul_f32_e32 v60, v62, v106
	v_add_f32_e32 v59, 0, v59
	s_waitcnt vmcnt(34)
	v_fma_f32 v60, v61, v118, -v60
	v_add_f32_e32 v59, v59, v60
	v_mul_f32_e32 v60, v64, v107
	s_waitcnt vmcnt(33)
	v_fma_f32 v60, v63, v119, -v60
	v_fmac_f32_e32 v88, v62, v118
	v_add_f32_e32 v87, 0, v87
	v_add_f32_e32 v59, v59, v60
	v_mul_f32_e32 v60, v66, v108
	v_fmac_f32_e32 v89, v64, v119
	v_add_f32_e32 v87, v87, v88
	s_waitcnt vmcnt(32)
	v_fma_f32 v60, v65, v120, -v60
	v_fmac_f32_e32 v90, v66, v120
	v_add_f32_e32 v87, v87, v89
	v_add_f32_e32 v59, v59, v60
	v_mul_f32_e32 v60, v68, v109
	s_waitcnt vmcnt(31)
	v_fmac_f32_e32 v91, v68, v121
	v_add_f32_e32 v87, v87, v90
	v_fma_f32 v60, v67, v121, -v60
	s_waitcnt vmcnt(30)
	v_fmac_f32_e32 v92, v70, v122
	v_add_f32_e32 v87, v87, v91
	v_add_f32_e32 v59, v59, v60
	v_mul_f32_e32 v60, v70, v110
	s_waitcnt vmcnt(29)
	v_fmac_f32_e32 v93, v72, v123
	v_add_f32_e32 v87, v87, v92
	v_fma_f32 v60, v69, v122, -v60
	s_waitcnt vmcnt(28)
	;; [unrolled: 9-line block ×4, first 2 shown]
	v_fmac_f32_e32 v98, v82, v128
	v_add_f32_e32 v87, v87, v97
	v_add_f32_e32 v59, v59, v60
	v_mul_f32_e32 v60, v76, v113
	v_add_f32_e32 v91, v87, v98
	ds_read2_b64 v[87:90], v58 offset0:47 offset1:48
	v_fma_f32 v60, v75, v125, -v60
	s_waitcnt vmcnt(23) lgkmcnt(1)
	v_mul_f32_e32 v92, v83, v129
	v_add_f32_e32 v59, v59, v60
	v_mul_f32_e32 v60, v78, v114
	s_waitcnt vmcnt(22)
	v_fmac_f32_e32 v92, v84, v130
	v_fma_f32 v60, v77, v126, -v60
	v_add_f32_e32 v91, v91, v92
	s_waitcnt vmcnt(21)
	v_mul_f32_e32 v92, v85, v131
	v_add_f32_e32 v59, v59, v60
	v_mul_f32_e32 v60, v80, v115
	s_waitcnt vmcnt(20)
	v_fmac_f32_e32 v92, v86, v132
	v_fma_f32 v60, v79, v127, -v60
	v_add_f32_e32 v91, v91, v92
	s_waitcnt vmcnt(19) lgkmcnt(0)
	v_mul_f32_e32 v92, v87, v133
	v_add_f32_e32 v59, v59, v60
	v_mul_f32_e32 v60, v82, v116
	s_waitcnt vmcnt(18)
	v_fmac_f32_e32 v92, v88, v134
	v_fma_f32 v60, v81, v128, -v60
	v_add_f32_e32 v95, v91, v92
	ds_read2_b64 v[91:94], v58 offset0:49 offset1:50
	v_add_f32_e32 v59, v59, v60
	v_mul_f32_e32 v60, v84, v129
	v_fma_f32 v60, v83, v130, -v60
	s_waitcnt vmcnt(17)
	v_mul_f32_e32 v96, v89, v135
	v_add_f32_e32 v59, v59, v60
	v_mul_f32_e32 v60, v86, v131
	s_waitcnt vmcnt(16)
	v_fmac_f32_e32 v96, v90, v136
	v_fma_f32 v60, v85, v132, -v60
	v_add_f32_e32 v99, v95, v96
	ds_read2_b64 v[95:98], v58 offset0:51 offset1:52
	v_add_f32_e32 v59, v59, v60
	v_mul_f32_e32 v60, v88, v133
	s_waitcnt vmcnt(15) lgkmcnt(1)
	v_mul_f32_e32 v100, v91, v137
	v_fma_f32 v60, v87, v134, -v60
	s_waitcnt vmcnt(14)
	v_fmac_f32_e32 v100, v92, v138
	v_add_f32_e32 v59, v59, v60
	v_mul_f32_e32 v60, v90, v135
	v_add_f32_e32 v99, v99, v100
	s_waitcnt vmcnt(13)
	v_mul_f32_e32 v100, v93, v139
	v_fma_f32 v60, v89, v136, -v60
	s_waitcnt vmcnt(12)
	v_fmac_f32_e32 v100, v94, v140
	v_add_f32_e32 v59, v59, v60
	v_mul_f32_e32 v60, v92, v137
	v_add_f32_e32 v99, v99, v100
	s_waitcnt vmcnt(11) lgkmcnt(0)
	v_mul_f32_e32 v100, v95, v141
	v_fma_f32 v60, v91, v138, -v60
	s_waitcnt vmcnt(10)
	v_fmac_f32_e32 v100, v96, v142
	v_add_f32_e32 v59, v59, v60
	v_mul_f32_e32 v60, v94, v139
	v_add_f32_e32 v103, v99, v100
	ds_read2_b64 v[99:102], v58 offset0:53 offset1:54
	v_fma_f32 v60, v93, v140, -v60
	v_add_f32_e32 v59, v59, v60
	v_mul_f32_e32 v60, v96, v141
	s_waitcnt vmcnt(9)
	v_mul_f32_e32 v104, v97, v143
	v_fma_f32 v60, v95, v142, -v60
	s_waitcnt vmcnt(8)
	v_fmac_f32_e32 v104, v98, v144
	v_add_f32_e32 v59, v59, v60
	v_mul_f32_e32 v60, v98, v143
	v_add_f32_e32 v153, v103, v104
	ds_read_b64 v[103:104], v58 offset:440
	v_fma_f32 v60, v97, v144, -v60
	v_add_f32_e32 v59, v59, v60
	s_waitcnt vmcnt(6) lgkmcnt(1)
	v_mul_f32_e32 v60, v100, v146
	v_mul_f32_e32 v154, v99, v146
	v_fma_f32 v60, v99, v145, -v60
	v_fmac_f32_e32 v154, v100, v145
	v_add_f32_e32 v59, v59, v60
	s_waitcnt vmcnt(3)
	v_mul_f32_e32 v60, v102, v149
	v_add_f32_e32 v153, v153, v154
	v_mul_f32_e32 v154, v101, v149
	s_waitcnt vmcnt(2)
	v_fma_f32 v60, v101, v150, -v60
	v_fmac_f32_e32 v154, v102, v150
	v_add_f32_e32 v59, v59, v60
	s_waitcnt vmcnt(0) lgkmcnt(0)
	v_mul_f32_e32 v60, v104, v152
	v_add_f32_e32 v153, v153, v154
	v_mul_f32_e32 v154, v103, v152
	v_fma_f32 v60, v103, v151, -v60
	v_fmac_f32_e32 v154, v104, v151
	v_add_f32_e32 v59, v59, v60
	v_add_f32_e32 v153, v153, v154
	v_sub_f32_e32 v59, v147, v59
	v_sub_f32_e32 v60, v148, v153
	buffer_store_dword v59, off, s[0:3], 0 offset:32
	buffer_store_dword v60, off, s[0:3], 0 offset:36
	s_and_saveexec_b64 s[4:5], vcc
	s_cbranch_execz .LBB27_175
; %bb.174:
	buffer_load_dword v59, off, s[0:3], 0 offset:24
	buffer_load_dword v60, off, s[0:3], 0 offset:28
	s_waitcnt vmcnt(0)
	ds_write_b64 v57, v[59:60]
	buffer_store_dword v58, off, s[0:3], 0 offset:24
	buffer_store_dword v58, off, s[0:3], 0 offset:28
.LBB27_175:
	s_or_b64 exec, exec, s[4:5]
	s_waitcnt lgkmcnt(0)
	; wave barrier
	buffer_load_dword v107, off, s[0:3], 0 offset:36
	buffer_load_dword v108, off, s[0:3], 0 offset:44
	;; [unrolled: 1-line block ×48, first 2 shown]
	ds_read_b128 v[59:62], v58 offset:256
	ds_read_b128 v[63:66], v58 offset:272
	buffer_load_dword v155, off, s[0:3], 0 offset:216
	buffer_load_dword v156, off, s[0:3], 0 offset:220
	ds_read_b128 v[67:70], v58 offset:288
	ds_read_b128 v[71:74], v58 offset:304
	;; [unrolled: 1-line block ×5, first 2 shown]
	v_cmp_lt_u32_e32 vcc, 2, v0
	s_waitcnt vmcnt(49) lgkmcnt(6)
	v_mul_f32_e32 v87, v59, v107
	s_waitcnt vmcnt(48)
	v_mul_f32_e32 v88, v61, v108
	s_waitcnt vmcnt(47) lgkmcnt(5)
	v_mul_f32_e32 v89, v63, v109
	s_waitcnt vmcnt(46)
	v_mul_f32_e32 v90, v65, v110
	;; [unrolled: 4-line block ×6, first 2 shown]
	s_waitcnt vmcnt(37)
	v_fmac_f32_e32 v87, v60, v119
	v_mul_f32_e32 v60, v60, v107
	v_fma_f32 v59, v59, v119, -v60
	v_mul_f32_e32 v60, v62, v108
	v_add_f32_e32 v59, 0, v59
	s_waitcnt vmcnt(36)
	v_fma_f32 v60, v61, v120, -v60
	v_add_f32_e32 v59, v59, v60
	v_mul_f32_e32 v60, v64, v109
	s_waitcnt vmcnt(35)
	v_fma_f32 v60, v63, v121, -v60
	v_fmac_f32_e32 v88, v62, v120
	v_add_f32_e32 v87, 0, v87
	v_add_f32_e32 v59, v59, v60
	v_mul_f32_e32 v60, v66, v110
	v_fmac_f32_e32 v89, v64, v121
	v_add_f32_e32 v87, v87, v88
	s_waitcnt vmcnt(34)
	v_fma_f32 v60, v65, v122, -v60
	v_fmac_f32_e32 v90, v66, v122
	v_add_f32_e32 v87, v87, v89
	v_add_f32_e32 v59, v59, v60
	v_mul_f32_e32 v60, v68, v111
	s_waitcnt vmcnt(33)
	v_fmac_f32_e32 v91, v68, v123
	v_add_f32_e32 v87, v87, v90
	v_fma_f32 v60, v67, v123, -v60
	s_waitcnt vmcnt(32)
	v_fmac_f32_e32 v92, v70, v124
	v_add_f32_e32 v87, v87, v91
	v_add_f32_e32 v59, v59, v60
	v_mul_f32_e32 v60, v70, v112
	s_waitcnt vmcnt(31)
	v_fmac_f32_e32 v93, v72, v125
	v_add_f32_e32 v87, v87, v92
	v_fma_f32 v60, v69, v124, -v60
	s_waitcnt vmcnt(30)
	v_fmac_f32_e32 v94, v74, v126
	v_add_f32_e32 v87, v87, v93
	v_add_f32_e32 v59, v59, v60
	v_mul_f32_e32 v60, v72, v113
	s_waitcnt vmcnt(29)
	v_fmac_f32_e32 v95, v76, v127
	v_add_f32_e32 v87, v87, v94
	v_fma_f32 v60, v71, v125, -v60
	s_waitcnt vmcnt(28)
	v_fmac_f32_e32 v96, v78, v128
	v_add_f32_e32 v87, v87, v95
	v_add_f32_e32 v59, v59, v60
	v_mul_f32_e32 v60, v74, v114
	s_waitcnt vmcnt(27)
	v_fmac_f32_e32 v97, v80, v129
	v_add_f32_e32 v87, v87, v96
	v_fma_f32 v60, v73, v126, -v60
	v_add_f32_e32 v87, v87, v97
	s_waitcnt vmcnt(26)
	v_fmac_f32_e32 v98, v82, v130
	v_add_f32_e32 v59, v59, v60
	v_mul_f32_e32 v60, v76, v115
	v_add_f32_e32 v91, v87, v98
	ds_read_b128 v[87:90], v58 offset:368
	v_fma_f32 v60, v75, v127, -v60
	s_waitcnt vmcnt(25) lgkmcnt(1)
	v_mul_f32_e32 v92, v83, v131
	v_add_f32_e32 v59, v59, v60
	v_mul_f32_e32 v60, v78, v116
	s_waitcnt vmcnt(24)
	v_fmac_f32_e32 v92, v84, v132
	v_fma_f32 v60, v77, v128, -v60
	v_add_f32_e32 v91, v91, v92
	s_waitcnt vmcnt(23)
	v_mul_f32_e32 v92, v85, v133
	v_add_f32_e32 v59, v59, v60
	v_mul_f32_e32 v60, v80, v117
	s_waitcnt vmcnt(22)
	v_fmac_f32_e32 v92, v86, v134
	v_fma_f32 v60, v79, v129, -v60
	v_add_f32_e32 v91, v91, v92
	s_waitcnt vmcnt(21) lgkmcnt(0)
	v_mul_f32_e32 v92, v87, v135
	v_add_f32_e32 v59, v59, v60
	v_mul_f32_e32 v60, v82, v118
	s_waitcnt vmcnt(20)
	v_fmac_f32_e32 v92, v88, v136
	v_fma_f32 v60, v81, v130, -v60
	v_add_f32_e32 v95, v91, v92
	ds_read_b128 v[91:94], v58 offset:384
	v_add_f32_e32 v59, v59, v60
	v_mul_f32_e32 v60, v84, v131
	v_fma_f32 v60, v83, v132, -v60
	s_waitcnt vmcnt(19)
	v_mul_f32_e32 v96, v89, v137
	v_add_f32_e32 v59, v59, v60
	v_mul_f32_e32 v60, v86, v133
	s_waitcnt vmcnt(18)
	v_fmac_f32_e32 v96, v90, v138
	v_fma_f32 v60, v85, v134, -v60
	v_add_f32_e32 v99, v95, v96
	ds_read_b128 v[95:98], v58 offset:400
	v_add_f32_e32 v59, v59, v60
	v_mul_f32_e32 v60, v88, v135
	s_waitcnt vmcnt(17) lgkmcnt(1)
	v_mul_f32_e32 v100, v91, v139
	v_fma_f32 v60, v87, v136, -v60
	s_waitcnt vmcnt(16)
	v_fmac_f32_e32 v100, v92, v140
	v_add_f32_e32 v59, v59, v60
	v_mul_f32_e32 v60, v90, v137
	v_add_f32_e32 v99, v99, v100
	s_waitcnt vmcnt(15)
	v_mul_f32_e32 v100, v93, v141
	v_fma_f32 v60, v89, v138, -v60
	s_waitcnt vmcnt(14)
	v_fmac_f32_e32 v100, v94, v142
	v_add_f32_e32 v59, v59, v60
	v_mul_f32_e32 v60, v92, v139
	v_add_f32_e32 v99, v99, v100
	s_waitcnt vmcnt(13) lgkmcnt(0)
	v_mul_f32_e32 v100, v95, v143
	v_fma_f32 v60, v91, v140, -v60
	s_waitcnt vmcnt(12)
	v_fmac_f32_e32 v100, v96, v144
	v_add_f32_e32 v59, v59, v60
	v_mul_f32_e32 v60, v94, v141
	v_add_f32_e32 v103, v99, v100
	ds_read_b128 v[99:102], v58 offset:416
	v_fma_f32 v60, v93, v142, -v60
	v_add_f32_e32 v59, v59, v60
	v_mul_f32_e32 v60, v96, v143
	s_waitcnt vmcnt(11)
	v_mul_f32_e32 v104, v97, v145
	v_fma_f32 v60, v95, v144, -v60
	s_waitcnt vmcnt(10)
	v_fmac_f32_e32 v104, v98, v146
	v_add_f32_e32 v59, v59, v60
	v_mul_f32_e32 v60, v98, v145
	v_add_f32_e32 v157, v103, v104
	ds_read_b128 v[103:106], v58 offset:432
	v_fma_f32 v60, v97, v146, -v60
	v_add_f32_e32 v59, v59, v60
	s_waitcnt vmcnt(7) lgkmcnt(1)
	v_mul_f32_e32 v60, v100, v149
	v_mul_f32_e32 v58, v99, v149
	s_waitcnt vmcnt(6)
	v_fma_f32 v60, v99, v150, -v60
	v_fmac_f32_e32 v58, v100, v150
	v_add_f32_e32 v59, v59, v60
	s_waitcnt vmcnt(4)
	v_mul_f32_e32 v60, v102, v152
	v_add_f32_e32 v58, v157, v58
	v_mul_f32_e32 v157, v101, v152
	v_fma_f32 v60, v101, v151, -v60
	v_fmac_f32_e32 v157, v102, v151
	v_add_f32_e32 v59, v59, v60
	s_waitcnt vmcnt(2) lgkmcnt(0)
	v_mul_f32_e32 v60, v104, v154
	v_add_f32_e32 v58, v58, v157
	v_mul_f32_e32 v157, v103, v154
	v_fma_f32 v60, v103, v153, -v60
	v_fmac_f32_e32 v157, v104, v153
	v_add_f32_e32 v59, v59, v60
	s_waitcnt vmcnt(0)
	v_mul_f32_e32 v60, v106, v156
	v_add_f32_e32 v58, v58, v157
	v_mul_f32_e32 v157, v105, v156
	v_fma_f32 v60, v105, v155, -v60
	v_fmac_f32_e32 v157, v106, v155
	v_add_f32_e32 v59, v59, v60
	v_add_f32_e32 v58, v58, v157
	v_sub_f32_e32 v59, v147, v59
	v_sub_f32_e32 v58, v148, v58
	buffer_store_dword v59, off, s[0:3], 0 offset:24
	buffer_store_dword v58, off, s[0:3], 0 offset:28
	s_and_saveexec_b64 s[4:5], vcc
	s_cbranch_execz .LBB27_177
; %bb.176:
	buffer_load_dword v58, off, s[0:3], 0 offset:16
	buffer_load_dword v59, off, s[0:3], 0 offset:20
	v_mov_b32_e32 v60, 0
	buffer_store_dword v60, off, s[0:3], 0 offset:16
	buffer_store_dword v60, off, s[0:3], 0 offset:20
	s_waitcnt vmcnt(2)
	ds_write_b64 v57, v[58:59]
.LBB27_177:
	s_or_b64 exec, exec, s[4:5]
	s_waitcnt lgkmcnt(0)
	; wave barrier
	buffer_load_dword v109, off, s[0:3], 0 offset:28
	buffer_load_dword v110, off, s[0:3], 0 offset:36
	buffer_load_dword v111, off, s[0:3], 0 offset:44
	buffer_load_dword v112, off, s[0:3], 0 offset:52
	buffer_load_dword v113, off, s[0:3], 0 offset:60
	buffer_load_dword v114, off, s[0:3], 0 offset:68
	buffer_load_dword v115, off, s[0:3], 0 offset:76
	buffer_load_dword v116, off, s[0:3], 0 offset:84
	buffer_load_dword v117, off, s[0:3], 0 offset:92
	buffer_load_dword v118, off, s[0:3], 0 offset:100
	buffer_load_dword v119, off, s[0:3], 0 offset:108
	buffer_load_dword v120, off, s[0:3], 0 offset:24
	buffer_load_dword v121, off, s[0:3], 0 offset:32
	buffer_load_dword v122, off, s[0:3], 0 offset:40
	buffer_load_dword v123, off, s[0:3], 0 offset:48
	buffer_load_dword v124, off, s[0:3], 0 offset:56
	buffer_load_dword v125, off, s[0:3], 0 offset:64
	buffer_load_dword v126, off, s[0:3], 0 offset:72
	buffer_load_dword v127, off, s[0:3], 0 offset:80
	buffer_load_dword v128, off, s[0:3], 0 offset:88
	buffer_load_dword v129, off, s[0:3], 0 offset:96
	buffer_load_dword v130, off, s[0:3], 0 offset:104
	buffer_load_dword v131, off, s[0:3], 0 offset:116
	buffer_load_dword v132, off, s[0:3], 0 offset:112
	buffer_load_dword v133, off, s[0:3], 0 offset:124
	buffer_load_dword v134, off, s[0:3], 0 offset:120
	buffer_load_dword v135, off, s[0:3], 0 offset:132
	buffer_load_dword v136, off, s[0:3], 0 offset:128
	buffer_load_dword v137, off, s[0:3], 0 offset:140
	buffer_load_dword v138, off, s[0:3], 0 offset:136
	buffer_load_dword v139, off, s[0:3], 0 offset:148
	buffer_load_dword v140, off, s[0:3], 0 offset:144
	buffer_load_dword v141, off, s[0:3], 0 offset:156
	buffer_load_dword v142, off, s[0:3], 0 offset:152
	buffer_load_dword v143, off, s[0:3], 0 offset:164
	buffer_load_dword v144, off, s[0:3], 0 offset:160
	buffer_load_dword v145, off, s[0:3], 0 offset:168
	buffer_load_dword v146, off, s[0:3], 0 offset:172
	buffer_load_dword v147, off, s[0:3], 0 offset:16
	buffer_load_dword v148, off, s[0:3], 0 offset:20
	buffer_load_dword v149, off, s[0:3], 0 offset:180
	buffer_load_dword v150, off, s[0:3], 0 offset:176
	buffer_load_dword v151, off, s[0:3], 0 offset:184
	buffer_load_dword v152, off, s[0:3], 0 offset:188
	buffer_load_dword v153, off, s[0:3], 0 offset:192
	buffer_load_dword v154, off, s[0:3], 0 offset:196
	buffer_load_dword v155, off, s[0:3], 0 offset:200
	buffer_load_dword v156, off, s[0:3], 0 offset:204
	buffer_load_dword v157, off, s[0:3], 0 offset:208
	buffer_load_dword v158, off, s[0:3], 0 offset:212
	buffer_load_dword v159, off, s[0:3], 0 offset:216
	buffer_load_dword v160, off, s[0:3], 0 offset:220
	v_mov_b32_e32 v58, 0
	ds_read2_b64 v[59:62], v58 offset0:31 offset1:32
	ds_read2_b64 v[63:66], v58 offset0:33 offset1:34
	;; [unrolled: 1-line block ×6, first 2 shown]
	v_cmp_lt_u32_e32 vcc, 1, v0
	s_waitcnt vmcnt(51) lgkmcnt(5)
	v_mul_f32_e32 v83, v59, v109
	s_waitcnt vmcnt(50)
	v_mul_f32_e32 v84, v61, v110
	s_waitcnt vmcnt(49) lgkmcnt(4)
	v_mul_f32_e32 v85, v63, v111
	s_waitcnt vmcnt(48)
	v_mul_f32_e32 v86, v65, v112
	;; [unrolled: 4-line block ×5, first 2 shown]
	s_waitcnt vmcnt(41) lgkmcnt(0)
	v_mul_f32_e32 v93, v79, v119
	s_waitcnt vmcnt(40)
	v_fmac_f32_e32 v83, v60, v120
	v_mul_f32_e32 v60, v60, v109
	s_waitcnt vmcnt(39)
	v_fmac_f32_e32 v84, v62, v121
	v_add_f32_e32 v83, 0, v83
	v_fma_f32 v59, v59, v120, -v60
	v_mul_f32_e32 v60, v62, v110
	s_waitcnt vmcnt(38)
	v_fmac_f32_e32 v85, v64, v122
	v_add_f32_e32 v83, v83, v84
	v_add_f32_e32 v59, 0, v59
	v_fma_f32 v60, v61, v121, -v60
	s_waitcnt vmcnt(37)
	v_fmac_f32_e32 v86, v66, v123
	v_add_f32_e32 v83, v83, v85
	v_add_f32_e32 v59, v59, v60
	v_mul_f32_e32 v60, v64, v111
	s_waitcnt vmcnt(36)
	v_fmac_f32_e32 v87, v68, v124
	v_add_f32_e32 v83, v83, v86
	v_fma_f32 v60, v63, v122, -v60
	s_waitcnt vmcnt(35)
	v_fmac_f32_e32 v88, v70, v125
	v_add_f32_e32 v83, v83, v87
	v_add_f32_e32 v59, v59, v60
	v_mul_f32_e32 v60, v66, v112
	s_waitcnt vmcnt(34)
	v_fmac_f32_e32 v89, v72, v126
	;; [unrolled: 9-line block ×3, first 2 shown]
	v_add_f32_e32 v83, v83, v90
	v_fma_f32 v60, v67, v124, -v60
	s_waitcnt vmcnt(31)
	v_fmac_f32_e32 v92, v78, v129
	v_add_f32_e32 v83, v83, v91
	v_add_f32_e32 v59, v59, v60
	v_mul_f32_e32 v60, v70, v114
	v_add_f32_e32 v83, v83, v92
	s_waitcnt vmcnt(30)
	v_fmac_f32_e32 v93, v80, v130
	v_fma_f32 v60, v69, v125, -v60
	v_add_f32_e32 v87, v83, v93
	ds_read2_b64 v[83:86], v58 offset0:43 offset1:44
	v_add_f32_e32 v59, v59, v60
	v_mul_f32_e32 v60, v72, v115
	v_fma_f32 v60, v71, v126, -v60
	s_waitcnt vmcnt(29)
	v_mul_f32_e32 v88, v81, v131
	v_add_f32_e32 v59, v59, v60
	v_mul_f32_e32 v60, v74, v116
	s_waitcnt vmcnt(28)
	v_fmac_f32_e32 v88, v82, v132
	v_fma_f32 v60, v73, v127, -v60
	v_add_f32_e32 v91, v87, v88
	ds_read2_b64 v[87:90], v58 offset0:45 offset1:46
	v_add_f32_e32 v59, v59, v60
	v_mul_f32_e32 v60, v76, v117
	s_waitcnt vmcnt(27) lgkmcnt(1)
	v_mul_f32_e32 v92, v83, v133
	v_fma_f32 v60, v75, v128, -v60
	s_waitcnt vmcnt(26)
	v_fmac_f32_e32 v92, v84, v134
	v_add_f32_e32 v59, v59, v60
	v_mul_f32_e32 v60, v78, v118
	v_add_f32_e32 v91, v91, v92
	s_waitcnt vmcnt(25)
	v_mul_f32_e32 v92, v85, v135
	v_fma_f32 v60, v77, v129, -v60
	s_waitcnt vmcnt(24)
	v_fmac_f32_e32 v92, v86, v136
	v_add_f32_e32 v59, v59, v60
	v_mul_f32_e32 v60, v80, v119
	v_add_f32_e32 v91, v91, v92
	s_waitcnt vmcnt(23) lgkmcnt(0)
	v_mul_f32_e32 v92, v87, v137
	v_fma_f32 v60, v79, v130, -v60
	s_waitcnt vmcnt(22)
	v_fmac_f32_e32 v92, v88, v138
	v_add_f32_e32 v59, v59, v60
	v_mul_f32_e32 v60, v82, v131
	v_add_f32_e32 v95, v91, v92
	ds_read2_b64 v[91:94], v58 offset0:47 offset1:48
	v_fma_f32 v60, v81, v132, -v60
	v_add_f32_e32 v59, v59, v60
	v_mul_f32_e32 v60, v84, v133
	s_waitcnt vmcnt(21)
	v_mul_f32_e32 v96, v89, v139
	v_fma_f32 v60, v83, v134, -v60
	s_waitcnt vmcnt(20)
	v_fmac_f32_e32 v96, v90, v140
	v_add_f32_e32 v59, v59, v60
	v_mul_f32_e32 v60, v86, v135
	v_add_f32_e32 v99, v95, v96
	ds_read2_b64 v[95:98], v58 offset0:49 offset1:50
	v_fma_f32 v60, v85, v136, -v60
	s_waitcnt vmcnt(19) lgkmcnt(1)
	v_mul_f32_e32 v100, v91, v141
	v_add_f32_e32 v59, v59, v60
	v_mul_f32_e32 v60, v88, v137
	s_waitcnt vmcnt(18)
	v_fmac_f32_e32 v100, v92, v142
	v_fma_f32 v60, v87, v138, -v60
	v_add_f32_e32 v99, v99, v100
	s_waitcnt vmcnt(17)
	v_mul_f32_e32 v100, v93, v143
	v_add_f32_e32 v59, v59, v60
	v_mul_f32_e32 v60, v90, v139
	s_waitcnt vmcnt(16)
	v_fmac_f32_e32 v100, v94, v144
	v_fma_f32 v60, v89, v140, -v60
	v_add_f32_e32 v99, v99, v100
	s_waitcnt vmcnt(14) lgkmcnt(0)
	v_mul_f32_e32 v100, v95, v146
	v_add_f32_e32 v59, v59, v60
	v_mul_f32_e32 v60, v92, v141
	v_fmac_f32_e32 v100, v96, v145
	v_fma_f32 v60, v91, v142, -v60
	v_add_f32_e32 v103, v99, v100
	ds_read2_b64 v[99:102], v58 offset0:51 offset1:52
	v_add_f32_e32 v59, v59, v60
	v_mul_f32_e32 v60, v94, v143
	v_fma_f32 v60, v93, v144, -v60
	v_add_f32_e32 v59, v59, v60
	v_mul_f32_e32 v60, v96, v146
	s_waitcnt vmcnt(11)
	v_mul_f32_e32 v104, v97, v149
	v_fma_f32 v60, v95, v145, -v60
	s_waitcnt vmcnt(10)
	v_fmac_f32_e32 v104, v98, v150
	v_add_f32_e32 v59, v59, v60
	v_mul_f32_e32 v60, v98, v149
	v_add_f32_e32 v107, v103, v104
	ds_read2_b64 v[103:106], v58 offset0:53 offset1:54
	s_waitcnt vmcnt(8) lgkmcnt(1)
	v_mul_f32_e32 v108, v99, v152
	v_fma_f32 v60, v97, v150, -v60
	v_fmac_f32_e32 v108, v100, v151
	v_add_f32_e32 v59, v59, v60
	v_mul_f32_e32 v60, v100, v152
	v_add_f32_e32 v107, v107, v108
	s_waitcnt vmcnt(6)
	v_mul_f32_e32 v108, v101, v154
	v_fma_f32 v60, v99, v151, -v60
	v_fmac_f32_e32 v108, v102, v153
	v_add_f32_e32 v59, v59, v60
	v_mul_f32_e32 v60, v102, v154
	v_add_f32_e32 v161, v107, v108
	ds_read_b64 v[107:108], v58 offset:440
	v_fma_f32 v60, v101, v153, -v60
	v_add_f32_e32 v59, v59, v60
	s_waitcnt vmcnt(4) lgkmcnt(1)
	v_mul_f32_e32 v60, v104, v156
	v_mul_f32_e32 v162, v103, v156
	v_fma_f32 v60, v103, v155, -v60
	v_fmac_f32_e32 v162, v104, v155
	v_add_f32_e32 v59, v59, v60
	s_waitcnt vmcnt(2)
	v_mul_f32_e32 v60, v106, v158
	v_add_f32_e32 v161, v161, v162
	v_mul_f32_e32 v162, v105, v158
	v_fma_f32 v60, v105, v157, -v60
	v_fmac_f32_e32 v162, v106, v157
	v_add_f32_e32 v59, v59, v60
	s_waitcnt vmcnt(0) lgkmcnt(0)
	v_mul_f32_e32 v60, v108, v160
	v_add_f32_e32 v161, v161, v162
	v_mul_f32_e32 v162, v107, v160
	v_fma_f32 v60, v107, v159, -v60
	v_fmac_f32_e32 v162, v108, v159
	v_add_f32_e32 v59, v59, v60
	v_add_f32_e32 v161, v161, v162
	v_sub_f32_e32 v59, v147, v59
	v_sub_f32_e32 v60, v148, v161
	buffer_store_dword v59, off, s[0:3], 0 offset:16
	buffer_store_dword v60, off, s[0:3], 0 offset:20
	s_and_saveexec_b64 s[4:5], vcc
	s_cbranch_execz .LBB27_179
; %bb.178:
	buffer_load_dword v59, off, s[0:3], 0 offset:8
	buffer_load_dword v60, off, s[0:3], 0 offset:12
	s_waitcnt vmcnt(0)
	ds_write_b64 v57, v[59:60]
	buffer_store_dword v58, off, s[0:3], 0 offset:8
	buffer_store_dword v58, off, s[0:3], 0 offset:12
.LBB27_179:
	s_or_b64 exec, exec, s[4:5]
	s_waitcnt lgkmcnt(0)
	; wave barrier
	buffer_load_dword v111, off, s[0:3], 0 offset:20
	buffer_load_dword v112, off, s[0:3], 0 offset:28
	;; [unrolled: 1-line block ×42, first 2 shown]
	ds_read_b128 v[59:62], v58 offset:240
	ds_read_b128 v[63:66], v58 offset:256
	;; [unrolled: 1-line block ×4, first 2 shown]
	buffer_load_dword v153, off, s[0:3], 0 offset:180
	buffer_load_dword v154, off, s[0:3], 0 offset:176
	buffer_load_dword v155, off, s[0:3], 0 offset:184
	buffer_load_dword v156, off, s[0:3], 0 offset:188
	buffer_load_dword v157, off, s[0:3], 0 offset:192
	buffer_load_dword v158, off, s[0:3], 0 offset:196
	ds_read_b128 v[75:78], v58 offset:304
	ds_read_b128 v[79:82], v58 offset:320
	buffer_load_dword v159, off, s[0:3], 0 offset:200
	buffer_load_dword v160, off, s[0:3], 0 offset:204
	;; [unrolled: 1-line block ×6, first 2 shown]
	v_cmp_ne_u32_e32 vcc, 0, v0
	s_waitcnt vmcnt(53) lgkmcnt(5)
	v_mul_f32_e32 v83, v59, v111
	s_waitcnt vmcnt(52)
	v_mul_f32_e32 v84, v61, v112
	s_waitcnt vmcnt(51) lgkmcnt(4)
	v_mul_f32_e32 v85, v63, v113
	s_waitcnt vmcnt(50)
	v_mul_f32_e32 v86, v65, v114
	;; [unrolled: 4-line block ×5, first 2 shown]
	s_waitcnt vmcnt(43)
	v_fmac_f32_e32 v83, v60, v121
	v_mul_f32_e32 v60, v60, v111
	s_waitcnt vmcnt(42)
	v_fmac_f32_e32 v84, v62, v122
	v_add_f32_e32 v83, 0, v83
	v_fma_f32 v59, v59, v121, -v60
	v_mul_f32_e32 v60, v62, v112
	s_waitcnt vmcnt(41)
	v_fmac_f32_e32 v85, v64, v123
	v_add_f32_e32 v83, v83, v84
	v_add_f32_e32 v59, 0, v59
	v_fma_f32 v60, v61, v122, -v60
	s_waitcnt vmcnt(40)
	v_fmac_f32_e32 v86, v66, v124
	v_add_f32_e32 v83, v83, v85
	v_add_f32_e32 v59, v59, v60
	v_mul_f32_e32 v60, v64, v113
	s_waitcnt vmcnt(39)
	v_fmac_f32_e32 v87, v68, v125
	v_add_f32_e32 v83, v83, v86
	v_fma_f32 v60, v63, v123, -v60
	s_waitcnt vmcnt(38)
	v_fmac_f32_e32 v88, v70, v126
	v_add_f32_e32 v83, v83, v87
	v_add_f32_e32 v59, v59, v60
	v_mul_f32_e32 v60, v66, v114
	s_waitcnt vmcnt(37)
	v_fmac_f32_e32 v89, v72, v127
	;; [unrolled: 9-line block ×3, first 2 shown]
	v_add_f32_e32 v83, v83, v90
	v_fma_f32 v60, v67, v125, -v60
	s_waitcnt vmcnt(34)
	v_fmac_f32_e32 v92, v78, v130
	v_add_f32_e32 v83, v83, v91
	s_waitcnt vmcnt(33) lgkmcnt(0)
	v_mul_f32_e32 v84, v79, v131
	v_add_f32_e32 v59, v59, v60
	v_mul_f32_e32 v60, v70, v116
	v_add_f32_e32 v83, v83, v92
	s_waitcnt vmcnt(32)
	v_fmac_f32_e32 v84, v80, v132
	v_fma_f32 v60, v69, v126, -v60
	v_add_f32_e32 v87, v83, v84
	ds_read_b128 v[83:86], v58 offset:336
	v_add_f32_e32 v59, v59, v60
	v_mul_f32_e32 v60, v72, v117
	v_fma_f32 v60, v71, v127, -v60
	s_waitcnt vmcnt(31)
	v_mul_f32_e32 v88, v81, v133
	v_add_f32_e32 v59, v59, v60
	v_mul_f32_e32 v60, v74, v118
	s_waitcnt vmcnt(30)
	v_fmac_f32_e32 v88, v82, v134
	v_fma_f32 v60, v73, v128, -v60
	v_add_f32_e32 v91, v87, v88
	ds_read_b128 v[87:90], v58 offset:352
	v_add_f32_e32 v59, v59, v60
	v_mul_f32_e32 v60, v76, v119
	s_waitcnt vmcnt(29) lgkmcnt(1)
	v_mul_f32_e32 v92, v83, v135
	v_fma_f32 v60, v75, v129, -v60
	s_waitcnt vmcnt(28)
	v_fmac_f32_e32 v92, v84, v136
	v_add_f32_e32 v59, v59, v60
	v_mul_f32_e32 v60, v78, v120
	v_add_f32_e32 v91, v91, v92
	s_waitcnt vmcnt(27)
	v_mul_f32_e32 v92, v85, v137
	v_fma_f32 v60, v77, v130, -v60
	s_waitcnt vmcnt(26)
	v_fmac_f32_e32 v92, v86, v138
	v_add_f32_e32 v59, v59, v60
	v_mul_f32_e32 v60, v80, v131
	v_add_f32_e32 v91, v91, v92
	s_waitcnt vmcnt(25) lgkmcnt(0)
	v_mul_f32_e32 v92, v87, v139
	v_fma_f32 v60, v79, v132, -v60
	s_waitcnt vmcnt(24)
	v_fmac_f32_e32 v92, v88, v140
	v_add_f32_e32 v59, v59, v60
	v_mul_f32_e32 v60, v82, v133
	v_add_f32_e32 v95, v91, v92
	ds_read_b128 v[91:94], v58 offset:368
	v_fma_f32 v60, v81, v134, -v60
	v_add_f32_e32 v59, v59, v60
	v_mul_f32_e32 v60, v84, v135
	s_waitcnt vmcnt(23)
	v_mul_f32_e32 v96, v89, v141
	v_fma_f32 v60, v83, v136, -v60
	s_waitcnt vmcnt(22)
	v_fmac_f32_e32 v96, v90, v142
	v_add_f32_e32 v59, v59, v60
	v_mul_f32_e32 v60, v86, v137
	v_add_f32_e32 v99, v95, v96
	ds_read_b128 v[95:98], v58 offset:384
	v_fma_f32 v60, v85, v138, -v60
	s_waitcnt vmcnt(21) lgkmcnt(1)
	v_mul_f32_e32 v100, v91, v143
	v_add_f32_e32 v59, v59, v60
	v_mul_f32_e32 v60, v88, v139
	s_waitcnt vmcnt(20)
	v_fmac_f32_e32 v100, v92, v144
	v_fma_f32 v60, v87, v140, -v60
	v_add_f32_e32 v99, v99, v100
	s_waitcnt vmcnt(18)
	v_mul_f32_e32 v100, v93, v146
	v_add_f32_e32 v59, v59, v60
	v_mul_f32_e32 v60, v90, v141
	v_fmac_f32_e32 v100, v94, v145
	v_fma_f32 v60, v89, v142, -v60
	v_add_f32_e32 v99, v99, v100
	s_waitcnt vmcnt(15) lgkmcnt(0)
	v_mul_f32_e32 v100, v95, v149
	v_add_f32_e32 v59, v59, v60
	v_mul_f32_e32 v60, v92, v143
	s_waitcnt vmcnt(14)
	v_fmac_f32_e32 v100, v96, v150
	v_fma_f32 v60, v91, v144, -v60
	v_add_f32_e32 v103, v99, v100
	ds_read_b128 v[99:102], v58 offset:400
	v_add_f32_e32 v59, v59, v60
	v_mul_f32_e32 v60, v94, v146
	v_fma_f32 v60, v93, v145, -v60
	v_add_f32_e32 v59, v59, v60
	v_mul_f32_e32 v60, v96, v149
	s_waitcnt vmcnt(12)
	v_mul_f32_e32 v104, v97, v152
	v_fma_f32 v60, v95, v150, -v60
	v_fmac_f32_e32 v104, v98, v151
	v_add_f32_e32 v59, v59, v60
	v_mul_f32_e32 v60, v98, v152
	v_add_f32_e32 v107, v103, v104
	ds_read_b128 v[103:106], v58 offset:416
	s_waitcnt vmcnt(11) lgkmcnt(1)
	v_mul_f32_e32 v108, v99, v153
	v_fma_f32 v60, v97, v151, -v60
	s_waitcnt vmcnt(10)
	v_fmac_f32_e32 v108, v100, v154
	v_add_f32_e32 v59, v59, v60
	v_mul_f32_e32 v60, v100, v153
	v_add_f32_e32 v107, v107, v108
	s_waitcnt vmcnt(8)
	v_mul_f32_e32 v108, v101, v156
	v_fma_f32 v60, v99, v154, -v60
	v_fmac_f32_e32 v108, v102, v155
	v_add_f32_e32 v59, v59, v60
	v_mul_f32_e32 v60, v102, v156
	v_add_f32_e32 v165, v107, v108
	ds_read_b128 v[107:110], v58 offset:432
	v_fma_f32 v60, v101, v155, -v60
	v_add_f32_e32 v59, v59, v60
	s_waitcnt vmcnt(6) lgkmcnt(1)
	v_mul_f32_e32 v60, v104, v158
	v_mul_f32_e32 v166, v103, v158
	v_fma_f32 v60, v103, v157, -v60
	v_fmac_f32_e32 v166, v104, v157
	v_add_f32_e32 v59, v59, v60
	s_waitcnt vmcnt(4)
	v_mul_f32_e32 v60, v106, v160
	v_add_f32_e32 v58, v165, v166
	v_mul_f32_e32 v165, v105, v160
	v_fma_f32 v60, v105, v159, -v60
	v_fmac_f32_e32 v165, v106, v159
	v_add_f32_e32 v59, v59, v60
	s_waitcnt vmcnt(2) lgkmcnt(0)
	v_mul_f32_e32 v60, v108, v162
	v_add_f32_e32 v58, v58, v165
	v_mul_f32_e32 v165, v107, v162
	v_fma_f32 v60, v107, v161, -v60
	v_fmac_f32_e32 v165, v108, v161
	v_add_f32_e32 v59, v59, v60
	s_waitcnt vmcnt(0)
	v_mul_f32_e32 v60, v110, v164
	v_add_f32_e32 v58, v58, v165
	v_mul_f32_e32 v165, v109, v164
	v_fma_f32 v60, v109, v163, -v60
	v_fmac_f32_e32 v165, v110, v163
	v_add_f32_e32 v59, v59, v60
	v_add_f32_e32 v58, v58, v165
	v_sub_f32_e32 v59, v147, v59
	v_sub_f32_e32 v58, v148, v58
	buffer_store_dword v59, off, s[0:3], 0 offset:8
	buffer_store_dword v58, off, s[0:3], 0 offset:12
	s_and_saveexec_b64 s[4:5], vcc
	s_cbranch_execz .LBB27_181
; %bb.180:
	buffer_load_dword v58, off, s[0:3], 0
	buffer_load_dword v59, off, s[0:3], 0 offset:4
	v_mov_b32_e32 v0, 0
	buffer_store_dword v0, off, s[0:3], 0
	buffer_store_dword v0, off, s[0:3], 0 offset:4
	s_waitcnt vmcnt(2)
	ds_write_b64 v57, v[58:59]
.LBB27_181:
	s_or_b64 exec, exec, s[4:5]
	s_waitcnt lgkmcnt(0)
	; wave barrier
	buffer_load_dword v111, off, s[0:3], 0 offset:12
	buffer_load_dword v112, off, s[0:3], 0 offset:20
	;; [unrolled: 1-line block ×32, first 2 shown]
	buffer_load_dword v143, off, s[0:3], 0
	buffer_load_dword v144, off, s[0:3], 0 offset:4
	buffer_load_dword v145, off, s[0:3], 0 offset:140
	;; [unrolled: 1-line block ×23, first 2 shown]
	v_mov_b32_e32 v0, 0
	ds_read2_b64 v[57:60], v0 offset0:29 offset1:30
	ds_read2_b64 v[61:64], v0 offset0:31 offset1:32
	;; [unrolled: 1-line block ×6, first 2 shown]
	s_and_b64 vcc, exec, s[22:23]
	s_waitcnt vmcnt(55) lgkmcnt(5)
	v_mul_f32_e32 v81, v57, v111
	s_waitcnt vmcnt(54)
	v_mul_f32_e32 v82, v59, v112
	s_waitcnt vmcnt(53) lgkmcnt(4)
	v_mul_f32_e32 v83, v61, v113
	s_waitcnt vmcnt(52)
	v_mul_f32_e32 v84, v63, v114
	;; [unrolled: 4-line block ×4, first 2 shown]
	s_waitcnt vmcnt(47) lgkmcnt(1)
	v_mul_f32_e32 v89, v73, v119
	s_waitcnt vmcnt(46)
	v_fmac_f32_e32 v81, v58, v120
	s_waitcnt vmcnt(45)
	v_fmac_f32_e32 v82, v60, v121
	v_add_f32_e32 v81, 0, v81
	s_waitcnt vmcnt(44)
	v_fmac_f32_e32 v83, v62, v122
	v_add_f32_e32 v81, v81, v82
	;; [unrolled: 3-line block ×3, first 2 shown]
	v_mul_f32_e32 v58, v58, v111
	s_waitcnt vmcnt(42)
	v_fmac_f32_e32 v85, v66, v124
	v_add_f32_e32 v81, v81, v84
	v_fma_f32 v57, v57, v120, -v58
	v_mul_f32_e32 v58, v60, v112
	s_waitcnt vmcnt(41)
	v_fmac_f32_e32 v86, v68, v125
	v_add_f32_e32 v81, v81, v85
	v_add_f32_e32 v57, 0, v57
	v_fma_f32 v58, v59, v121, -v58
	s_waitcnt vmcnt(40)
	v_fmac_f32_e32 v87, v70, v126
	v_add_f32_e32 v81, v81, v86
	v_add_f32_e32 v57, v57, v58
	v_mul_f32_e32 v58, v62, v113
	s_waitcnt vmcnt(39)
	v_fmac_f32_e32 v88, v72, v127
	v_add_f32_e32 v81, v81, v87
	v_fma_f32 v58, v61, v122, -v58
	v_add_f32_e32 v81, v81, v88
	s_waitcnt vmcnt(38)
	v_fmac_f32_e32 v89, v74, v128
	s_waitcnt vmcnt(37)
	v_mul_f32_e32 v82, v75, v129
	v_add_f32_e32 v57, v57, v58
	v_mul_f32_e32 v58, v64, v114
	v_add_f32_e32 v81, v81, v89
	s_waitcnt vmcnt(36)
	v_fmac_f32_e32 v82, v76, v130
	v_fma_f32 v58, v63, v123, -v58
	v_add_f32_e32 v81, v81, v82
	s_waitcnt vmcnt(35) lgkmcnt(0)
	v_mul_f32_e32 v82, v77, v131
	v_add_f32_e32 v57, v57, v58
	v_mul_f32_e32 v58, v66, v115
	s_waitcnt vmcnt(34)
	v_fmac_f32_e32 v82, v78, v132
	v_fma_f32 v58, v65, v124, -v58
	v_add_f32_e32 v85, v81, v82
	ds_read2_b64 v[81:84], v0 offset0:41 offset1:42
	v_add_f32_e32 v57, v57, v58
	v_mul_f32_e32 v58, v68, v116
	v_fma_f32 v58, v67, v125, -v58
	s_waitcnt vmcnt(33)
	v_mul_f32_e32 v86, v79, v133
	v_add_f32_e32 v57, v57, v58
	v_mul_f32_e32 v58, v70, v117
	s_waitcnt vmcnt(32)
	v_fmac_f32_e32 v86, v80, v134
	v_fma_f32 v58, v69, v126, -v58
	v_add_f32_e32 v89, v85, v86
	ds_read2_b64 v[85:88], v0 offset0:43 offset1:44
	v_add_f32_e32 v57, v57, v58
	v_mul_f32_e32 v58, v72, v118
	s_waitcnt vmcnt(31) lgkmcnt(1)
	v_mul_f32_e32 v90, v81, v135
	v_fma_f32 v58, v71, v127, -v58
	s_waitcnt vmcnt(30)
	v_fmac_f32_e32 v90, v82, v136
	v_add_f32_e32 v57, v57, v58
	v_mul_f32_e32 v58, v74, v119
	v_add_f32_e32 v89, v89, v90
	s_waitcnt vmcnt(29)
	v_mul_f32_e32 v90, v83, v137
	v_fma_f32 v58, v73, v128, -v58
	s_waitcnt vmcnt(28)
	v_fmac_f32_e32 v90, v84, v138
	v_add_f32_e32 v57, v57, v58
	v_mul_f32_e32 v58, v76, v129
	v_add_f32_e32 v89, v89, v90
	s_waitcnt vmcnt(27) lgkmcnt(0)
	v_mul_f32_e32 v90, v85, v139
	v_fma_f32 v58, v75, v130, -v58
	s_waitcnt vmcnt(26)
	v_fmac_f32_e32 v90, v86, v140
	v_add_f32_e32 v57, v57, v58
	v_mul_f32_e32 v58, v78, v131
	v_add_f32_e32 v93, v89, v90
	ds_read2_b64 v[89:92], v0 offset0:45 offset1:46
	v_fma_f32 v58, v77, v132, -v58
	v_add_f32_e32 v57, v57, v58
	v_mul_f32_e32 v58, v80, v133
	s_waitcnt vmcnt(24)
	v_mul_f32_e32 v94, v87, v142
	v_fma_f32 v58, v79, v134, -v58
	v_fmac_f32_e32 v94, v88, v141
	v_add_f32_e32 v57, v57, v58
	v_mul_f32_e32 v58, v82, v135
	v_add_f32_e32 v97, v93, v94
	ds_read2_b64 v[93:96], v0 offset0:47 offset1:48
	v_fma_f32 v58, v81, v136, -v58
	s_waitcnt vmcnt(21) lgkmcnt(1)
	v_mul_f32_e32 v98, v89, v145
	v_add_f32_e32 v57, v57, v58
	v_mul_f32_e32 v58, v84, v137
	s_waitcnt vmcnt(20)
	v_fmac_f32_e32 v98, v90, v146
	v_fma_f32 v58, v83, v138, -v58
	v_add_f32_e32 v97, v97, v98
	s_waitcnt vmcnt(18)
	v_mul_f32_e32 v98, v91, v148
	v_add_f32_e32 v57, v57, v58
	v_mul_f32_e32 v58, v86, v139
	v_fmac_f32_e32 v98, v92, v147
	v_fma_f32 v58, v85, v140, -v58
	v_add_f32_e32 v97, v97, v98
	s_waitcnt vmcnt(16) lgkmcnt(0)
	v_mul_f32_e32 v98, v93, v150
	v_add_f32_e32 v57, v57, v58
	v_mul_f32_e32 v58, v88, v142
	v_fmac_f32_e32 v98, v94, v149
	v_fma_f32 v58, v87, v141, -v58
	v_add_f32_e32 v101, v97, v98
	ds_read2_b64 v[97:100], v0 offset0:49 offset1:50
	v_add_f32_e32 v57, v57, v58
	v_mul_f32_e32 v58, v90, v145
	v_fma_f32 v58, v89, v146, -v58
	s_waitcnt vmcnt(14)
	v_mul_f32_e32 v102, v95, v152
	v_add_f32_e32 v57, v57, v58
	v_mul_f32_e32 v58, v92, v148
	v_fmac_f32_e32 v102, v96, v151
	v_fma_f32 v58, v91, v147, -v58
	v_add_f32_e32 v105, v101, v102
	ds_read2_b64 v[101:104], v0 offset0:51 offset1:52
	v_add_f32_e32 v57, v57, v58
	v_mul_f32_e32 v58, v94, v150
	s_waitcnt vmcnt(12) lgkmcnt(1)
	v_mul_f32_e32 v106, v97, v154
	v_fma_f32 v58, v93, v149, -v58
	v_fmac_f32_e32 v106, v98, v153
	v_add_f32_e32 v57, v57, v58
	v_mul_f32_e32 v58, v96, v152
	v_add_f32_e32 v105, v105, v106
	s_waitcnt vmcnt(10)
	v_mul_f32_e32 v106, v99, v156
	v_fma_f32 v58, v95, v151, -v58
	v_fmac_f32_e32 v106, v100, v155
	v_add_f32_e32 v57, v57, v58
	v_mul_f32_e32 v58, v98, v154
	v_add_f32_e32 v105, v105, v106
	s_waitcnt vmcnt(8) lgkmcnt(0)
	v_mul_f32_e32 v106, v101, v158
	v_fma_f32 v58, v97, v153, -v58
	v_fmac_f32_e32 v106, v102, v157
	v_add_f32_e32 v57, v57, v58
	v_mul_f32_e32 v58, v100, v156
	v_add_f32_e32 v109, v105, v106
	ds_read2_b64 v[105:108], v0 offset0:53 offset1:54
	v_fma_f32 v58, v99, v155, -v58
	v_add_f32_e32 v57, v57, v58
	v_mul_f32_e32 v58, v102, v158
	s_waitcnt vmcnt(6)
	v_mul_f32_e32 v110, v103, v160
	v_fma_f32 v58, v101, v157, -v58
	v_fmac_f32_e32 v110, v104, v159
	v_add_f32_e32 v57, v57, v58
	v_mul_f32_e32 v58, v104, v160
	v_add_f32_e32 v167, v109, v110
	ds_read_b64 v[109:110], v0 offset:440
	v_fma_f32 v58, v103, v159, -v58
	v_add_f32_e32 v57, v57, v58
	s_waitcnt vmcnt(4) lgkmcnt(1)
	v_mul_f32_e32 v58, v106, v162
	v_mul_f32_e32 v168, v105, v162
	v_fma_f32 v58, v105, v161, -v58
	v_fmac_f32_e32 v168, v106, v161
	v_add_f32_e32 v57, v57, v58
	s_waitcnt vmcnt(2)
	v_mul_f32_e32 v58, v108, v164
	v_add_f32_e32 v167, v167, v168
	v_mul_f32_e32 v168, v107, v164
	v_fma_f32 v58, v107, v163, -v58
	v_fmac_f32_e32 v168, v108, v163
	v_add_f32_e32 v57, v57, v58
	s_waitcnt vmcnt(0) lgkmcnt(0)
	v_mul_f32_e32 v58, v110, v166
	v_add_f32_e32 v167, v167, v168
	v_mul_f32_e32 v168, v109, v166
	v_fma_f32 v58, v109, v165, -v58
	v_fmac_f32_e32 v168, v110, v165
	v_add_f32_e32 v57, v57, v58
	v_add_f32_e32 v167, v167, v168
	v_sub_f32_e32 v57, v143, v57
	v_sub_f32_e32 v58, v144, v167
	buffer_store_dword v57, off, s[0:3], 0
	buffer_store_dword v58, off, s[0:3], 0 offset:4
	s_cbranch_vccz .LBB27_236
; %bb.182:
	global_load_dword v0, v0, s[20:21] offset:104
	s_waitcnt vmcnt(0)
	v_add_u32_e32 v0, -1, v0
	v_cmp_ne_u32_e32 vcc, 26, v0
	s_cbranch_vccz .LBB27_184
; %bb.183:
	v_lshlrev_b32_e32 v0, 3, v0
	buffer_load_dword v57, v0, s[0:3], 0 offen
	buffer_load_dword v58, v0, s[0:3], 0 offen offset:4
	buffer_load_dword v59, off, s[0:3], 0 offset:212
	buffer_load_dword v60, off, s[0:3], 0 offset:208
	s_waitcnt vmcnt(3)
	buffer_store_dword v57, off, s[0:3], 0 offset:208
	s_waitcnt vmcnt(3)
	buffer_store_dword v58, off, s[0:3], 0 offset:212
	s_waitcnt vmcnt(3)
	buffer_store_dword v59, v0, s[0:3], 0 offen offset:4
	s_waitcnt vmcnt(3)
	buffer_store_dword v60, v0, s[0:3], 0 offen
.LBB27_184:
	v_mov_b32_e32 v0, 0
	global_load_dword v57, v0, s[20:21] offset:100
	s_waitcnt vmcnt(0)
	v_add_u32_e32 v57, -1, v57
	v_cmp_eq_u32_e32 vcc, 25, v57
	s_cbranch_vccnz .LBB27_186
; %bb.185:
	v_lshlrev_b32_e32 v57, 3, v57
	buffer_load_dword v58, v57, s[0:3], 0 offen
	buffer_load_dword v59, v57, s[0:3], 0 offen offset:4
	buffer_load_dword v60, off, s[0:3], 0 offset:200
	buffer_load_dword v61, off, s[0:3], 0 offset:204
	s_waitcnt vmcnt(3)
	buffer_store_dword v58, off, s[0:3], 0 offset:200
	s_waitcnt vmcnt(3)
	buffer_store_dword v59, off, s[0:3], 0 offset:204
	s_waitcnt vmcnt(3)
	buffer_store_dword v60, v57, s[0:3], 0 offen
	s_waitcnt vmcnt(3)
	buffer_store_dword v61, v57, s[0:3], 0 offen offset:4
.LBB27_186:
	global_load_dword v0, v0, s[20:21] offset:96
	s_waitcnt vmcnt(0)
	v_add_u32_e32 v0, -1, v0
	v_cmp_eq_u32_e32 vcc, 24, v0
	s_cbranch_vccnz .LBB27_188
; %bb.187:
	v_lshlrev_b32_e32 v0, 3, v0
	buffer_load_dword v57, v0, s[0:3], 0 offen
	buffer_load_dword v58, v0, s[0:3], 0 offen offset:4
	buffer_load_dword v59, off, s[0:3], 0 offset:196
	buffer_load_dword v60, off, s[0:3], 0 offset:192
	s_waitcnt vmcnt(3)
	buffer_store_dword v57, off, s[0:3], 0 offset:192
	s_waitcnt vmcnt(3)
	buffer_store_dword v58, off, s[0:3], 0 offset:196
	s_waitcnt vmcnt(3)
	buffer_store_dword v59, v0, s[0:3], 0 offen offset:4
	s_waitcnt vmcnt(3)
	buffer_store_dword v60, v0, s[0:3], 0 offen
.LBB27_188:
	v_mov_b32_e32 v0, 0
	global_load_dword v57, v0, s[20:21] offset:92
	s_waitcnt vmcnt(0)
	v_add_u32_e32 v57, -1, v57
	v_cmp_eq_u32_e32 vcc, 23, v57
	s_cbranch_vccnz .LBB27_190
; %bb.189:
	v_lshlrev_b32_e32 v57, 3, v57
	buffer_load_dword v58, v57, s[0:3], 0 offen
	buffer_load_dword v59, v57, s[0:3], 0 offen offset:4
	buffer_load_dword v60, off, s[0:3], 0 offset:184
	buffer_load_dword v61, off, s[0:3], 0 offset:188
	s_waitcnt vmcnt(3)
	buffer_store_dword v58, off, s[0:3], 0 offset:184
	s_waitcnt vmcnt(3)
	buffer_store_dword v59, off, s[0:3], 0 offset:188
	s_waitcnt vmcnt(3)
	buffer_store_dword v60, v57, s[0:3], 0 offen
	s_waitcnt vmcnt(3)
	buffer_store_dword v61, v57, s[0:3], 0 offen offset:4
.LBB27_190:
	global_load_dword v0, v0, s[20:21] offset:88
	s_waitcnt vmcnt(0)
	v_add_u32_e32 v0, -1, v0
	v_cmp_eq_u32_e32 vcc, 22, v0
	s_cbranch_vccnz .LBB27_192
; %bb.191:
	v_lshlrev_b32_e32 v0, 3, v0
	buffer_load_dword v57, v0, s[0:3], 0 offen
	buffer_load_dword v58, v0, s[0:3], 0 offen offset:4
	buffer_load_dword v59, off, s[0:3], 0 offset:180
	buffer_load_dword v60, off, s[0:3], 0 offset:176
	s_waitcnt vmcnt(3)
	buffer_store_dword v57, off, s[0:3], 0 offset:176
	s_waitcnt vmcnt(3)
	buffer_store_dword v58, off, s[0:3], 0 offset:180
	s_waitcnt vmcnt(3)
	buffer_store_dword v59, v0, s[0:3], 0 offen offset:4
	s_waitcnt vmcnt(3)
	buffer_store_dword v60, v0, s[0:3], 0 offen
.LBB27_192:
	;; [unrolled: 41-line block ×12, first 2 shown]
	v_mov_b32_e32 v0, 0
	global_load_dword v57, v0, s[20:21] offset:4
	s_waitcnt vmcnt(0)
	v_add_u32_e32 v57, -1, v57
	v_cmp_eq_u32_e32 vcc, 1, v57
	s_cbranch_vccnz .LBB27_234
; %bb.233:
	v_lshlrev_b32_e32 v57, 3, v57
	buffer_load_dword v58, v57, s[0:3], 0 offen
	buffer_load_dword v59, v57, s[0:3], 0 offen offset:4
	buffer_load_dword v60, off, s[0:3], 0 offset:8
	buffer_load_dword v61, off, s[0:3], 0 offset:12
	s_waitcnt vmcnt(3)
	buffer_store_dword v58, off, s[0:3], 0 offset:8
	s_waitcnt vmcnt(3)
	buffer_store_dword v59, off, s[0:3], 0 offset:12
	s_waitcnt vmcnt(3)
	buffer_store_dword v60, v57, s[0:3], 0 offen
	s_waitcnt vmcnt(3)
	buffer_store_dword v61, v57, s[0:3], 0 offen offset:4
.LBB27_234:
	global_load_dword v0, v0, s[20:21]
	s_waitcnt vmcnt(0)
	v_add_u32_e32 v0, -1, v0
	v_cmp_eq_u32_e32 vcc, 0, v0
	s_cbranch_vccnz .LBB27_236
; %bb.235:
	v_lshlrev_b32_e32 v0, 3, v0
	buffer_load_dword v57, v0, s[0:3], 0 offen
	buffer_load_dword v58, v0, s[0:3], 0 offen offset:4
	buffer_load_dword v59, off, s[0:3], 0 offset:4
	buffer_load_dword v60, off, s[0:3], 0
	s_waitcnt vmcnt(3)
	buffer_store_dword v57, off, s[0:3], 0
	s_waitcnt vmcnt(3)
	buffer_store_dword v58, off, s[0:3], 0 offset:4
	s_waitcnt vmcnt(3)
	buffer_store_dword v59, v0, s[0:3], 0 offen offset:4
	s_waitcnt vmcnt(3)
	buffer_store_dword v60, v0, s[0:3], 0 offen
.LBB27_236:
	buffer_load_dword v57, off, s[0:3], 0
	buffer_load_dword v58, off, s[0:3], 0 offset:4
	buffer_load_dword v59, off, s[0:3], 0 offset:8
	s_nop 0
	buffer_load_dword v60, off, s[0:3], 0 offset:12
	buffer_load_dword v61, off, s[0:3], 0 offset:16
	;; [unrolled: 1-line block ×53, first 2 shown]
	s_waitcnt vmcnt(54)
	global_store_dwordx2 v[1:2], v[57:58], off
	s_waitcnt vmcnt(53)
	global_store_dwordx2 v[3:4], v[59:60], off
	;; [unrolled: 2-line block ×9, first 2 shown]
	global_store_dwordx2 v[19:20], v[75:76], off
	global_store_dwordx2 v[21:22], v[77:78], off
	global_store_dwordx2 v[23:24], v[79:80], off
	s_waitcnt vmcnt(42)
	global_store_dwordx2 v[25:26], v[81:82], off
	s_waitcnt vmcnt(41)
	global_store_dwordx2 v[27:28], v[83:84], off
	;; [unrolled: 2-line block ×16, first 2 shown]
	s_endpgm
	.section	.rodata,"a",@progbits
	.p2align	6, 0x0
	.amdhsa_kernel _ZN9rocsolver6v33100L18getri_kernel_smallILi28E19rocblas_complex_numIfEPS3_EEvT1_iilPiilS6_bb
		.amdhsa_group_segment_fixed_size 452
		.amdhsa_private_segment_fixed_size 240
		.amdhsa_kernarg_size 60
		.amdhsa_user_sgpr_count 6
		.amdhsa_user_sgpr_private_segment_buffer 1
		.amdhsa_user_sgpr_dispatch_ptr 0
		.amdhsa_user_sgpr_queue_ptr 0
		.amdhsa_user_sgpr_kernarg_segment_ptr 1
		.amdhsa_user_sgpr_dispatch_id 0
		.amdhsa_user_sgpr_flat_scratch_init 0
		.amdhsa_user_sgpr_private_segment_size 0
		.amdhsa_uses_dynamic_stack 0
		.amdhsa_system_sgpr_private_segment_wavefront_offset 1
		.amdhsa_system_sgpr_workgroup_id_x 1
		.amdhsa_system_sgpr_workgroup_id_y 0
		.amdhsa_system_sgpr_workgroup_id_z 0
		.amdhsa_system_sgpr_workgroup_info 0
		.amdhsa_system_vgpr_workitem_id 0
		.amdhsa_next_free_vgpr 169
		.amdhsa_next_free_sgpr 24
		.amdhsa_reserve_vcc 1
		.amdhsa_reserve_flat_scratch 0
		.amdhsa_float_round_mode_32 0
		.amdhsa_float_round_mode_16_64 0
		.amdhsa_float_denorm_mode_32 3
		.amdhsa_float_denorm_mode_16_64 3
		.amdhsa_dx10_clamp 1
		.amdhsa_ieee_mode 1
		.amdhsa_fp16_overflow 0
		.amdhsa_exception_fp_ieee_invalid_op 0
		.amdhsa_exception_fp_denorm_src 0
		.amdhsa_exception_fp_ieee_div_zero 0
		.amdhsa_exception_fp_ieee_overflow 0
		.amdhsa_exception_fp_ieee_underflow 0
		.amdhsa_exception_fp_ieee_inexact 0
		.amdhsa_exception_int_div_zero 0
	.end_amdhsa_kernel
	.section	.text._ZN9rocsolver6v33100L18getri_kernel_smallILi28E19rocblas_complex_numIfEPS3_EEvT1_iilPiilS6_bb,"axG",@progbits,_ZN9rocsolver6v33100L18getri_kernel_smallILi28E19rocblas_complex_numIfEPS3_EEvT1_iilPiilS6_bb,comdat
.Lfunc_end27:
	.size	_ZN9rocsolver6v33100L18getri_kernel_smallILi28E19rocblas_complex_numIfEPS3_EEvT1_iilPiilS6_bb, .Lfunc_end27-_ZN9rocsolver6v33100L18getri_kernel_smallILi28E19rocblas_complex_numIfEPS3_EEvT1_iilPiilS6_bb
                                        ; -- End function
	.set _ZN9rocsolver6v33100L18getri_kernel_smallILi28E19rocblas_complex_numIfEPS3_EEvT1_iilPiilS6_bb.num_vgpr, 169
	.set _ZN9rocsolver6v33100L18getri_kernel_smallILi28E19rocblas_complex_numIfEPS3_EEvT1_iilPiilS6_bb.num_agpr, 0
	.set _ZN9rocsolver6v33100L18getri_kernel_smallILi28E19rocblas_complex_numIfEPS3_EEvT1_iilPiilS6_bb.numbered_sgpr, 24
	.set _ZN9rocsolver6v33100L18getri_kernel_smallILi28E19rocblas_complex_numIfEPS3_EEvT1_iilPiilS6_bb.num_named_barrier, 0
	.set _ZN9rocsolver6v33100L18getri_kernel_smallILi28E19rocblas_complex_numIfEPS3_EEvT1_iilPiilS6_bb.private_seg_size, 240
	.set _ZN9rocsolver6v33100L18getri_kernel_smallILi28E19rocblas_complex_numIfEPS3_EEvT1_iilPiilS6_bb.uses_vcc, 1
	.set _ZN9rocsolver6v33100L18getri_kernel_smallILi28E19rocblas_complex_numIfEPS3_EEvT1_iilPiilS6_bb.uses_flat_scratch, 0
	.set _ZN9rocsolver6v33100L18getri_kernel_smallILi28E19rocblas_complex_numIfEPS3_EEvT1_iilPiilS6_bb.has_dyn_sized_stack, 0
	.set _ZN9rocsolver6v33100L18getri_kernel_smallILi28E19rocblas_complex_numIfEPS3_EEvT1_iilPiilS6_bb.has_recursion, 0
	.set _ZN9rocsolver6v33100L18getri_kernel_smallILi28E19rocblas_complex_numIfEPS3_EEvT1_iilPiilS6_bb.has_indirect_call, 0
	.section	.AMDGPU.csdata,"",@progbits
; Kernel info:
; codeLenInByte = 36056
; TotalNumSgprs: 28
; NumVgprs: 169
; ScratchSize: 240
; MemoryBound: 0
; FloatMode: 240
; IeeeMode: 1
; LDSByteSize: 452 bytes/workgroup (compile time only)
; SGPRBlocks: 3
; VGPRBlocks: 42
; NumSGPRsForWavesPerEU: 28
; NumVGPRsForWavesPerEU: 169
; Occupancy: 1
; WaveLimiterHint : 1
; COMPUTE_PGM_RSRC2:SCRATCH_EN: 1
; COMPUTE_PGM_RSRC2:USER_SGPR: 6
; COMPUTE_PGM_RSRC2:TRAP_HANDLER: 0
; COMPUTE_PGM_RSRC2:TGID_X_EN: 1
; COMPUTE_PGM_RSRC2:TGID_Y_EN: 0
; COMPUTE_PGM_RSRC2:TGID_Z_EN: 0
; COMPUTE_PGM_RSRC2:TIDIG_COMP_CNT: 0
	.section	.text._ZN9rocsolver6v33100L18getri_kernel_smallILi29E19rocblas_complex_numIfEPS3_EEvT1_iilPiilS6_bb,"axG",@progbits,_ZN9rocsolver6v33100L18getri_kernel_smallILi29E19rocblas_complex_numIfEPS3_EEvT1_iilPiilS6_bb,comdat
	.globl	_ZN9rocsolver6v33100L18getri_kernel_smallILi29E19rocblas_complex_numIfEPS3_EEvT1_iilPiilS6_bb ; -- Begin function _ZN9rocsolver6v33100L18getri_kernel_smallILi29E19rocblas_complex_numIfEPS3_EEvT1_iilPiilS6_bb
	.p2align	8
	.type	_ZN9rocsolver6v33100L18getri_kernel_smallILi29E19rocblas_complex_numIfEPS3_EEvT1_iilPiilS6_bb,@function
_ZN9rocsolver6v33100L18getri_kernel_smallILi29E19rocblas_complex_numIfEPS3_EEvT1_iilPiilS6_bb: ; @_ZN9rocsolver6v33100L18getri_kernel_smallILi29E19rocblas_complex_numIfEPS3_EEvT1_iilPiilS6_bb
; %bb.0:
	s_add_u32 s0, s0, s7
	s_addc_u32 s1, s1, 0
	v_cmp_gt_u32_e32 vcc, 29, v0
	s_and_saveexec_b64 s[8:9], vcc
	s_cbranch_execz .LBB28_130
; %bb.1:
	s_load_dword s12, s[4:5], 0x38
	s_load_dwordx4 s[16:19], s[4:5], 0x10
	s_load_dwordx4 s[8:11], s[4:5], 0x28
                                        ; implicit-def: $sgpr20_sgpr21
	s_waitcnt lgkmcnt(0)
	s_bitcmp1_b32 s12, 8
	s_cselect_b64 s[22:23], -1, 0
	s_ashr_i32 s7, s6, 31
	s_bfe_u32 s12, s12, 0x10008
	s_cmp_eq_u32 s12, 0
	s_cbranch_scc1 .LBB28_3
; %bb.2:
	s_load_dword s12, s[4:5], 0x20
	s_mul_i32 s13, s8, s7
	s_mul_hi_u32 s14, s8, s6
	s_mul_i32 s9, s9, s6
	s_add_i32 s14, s14, s13
	s_add_i32 s9, s14, s9
	s_mul_i32 s8, s8, s6
	s_waitcnt lgkmcnt(0)
	s_ashr_i32 s13, s12, 31
	s_lshl_b64 s[8:9], s[8:9], 2
	s_add_u32 s14, s18, s8
	s_addc_u32 s15, s19, s9
	s_lshl_b64 s[8:9], s[12:13], 2
	s_add_u32 s20, s14, s8
	s_addc_u32 s21, s15, s9
.LBB28_3:
	s_load_dwordx4 s[12:15], s[4:5], 0x0
	s_load_dword s8, s[4:5], 0x38
	s_mul_i32 s9, s16, s7
	s_mul_hi_u32 s18, s16, s6
	s_add_i32 s9, s18, s9
	s_waitcnt lgkmcnt(0)
	s_ashr_i32 s5, s14, 31
	s_mov_b32 s4, s14
	s_mul_i32 s14, s17, s6
	s_add_i32 s17, s9, s14
	s_mul_i32 s16, s16, s6
	s_lshl_b64 s[16:17], s[16:17], 3
	s_add_u32 s9, s12, s16
	s_addc_u32 s12, s13, s17
	s_lshl_b64 s[4:5], s[4:5], 3
	s_add_u32 s4, s9, s4
	s_addc_u32 s5, s12, s5
	v_lshlrev_b32_e32 v77, 3, v0
	s_add_i32 s9, s15, s15
	v_mov_b32_e32 v2, s5
	v_add_co_u32_e32 v1, vcc, s4, v77
	s_ashr_i32 s13, s15, 31
	s_mov_b32 s12, s15
	v_add_u32_e32 v7, s9, v0
	v_addc_co_u32_e32 v2, vcc, 0, v2, vcc
	s_lshl_b64 s[12:13], s[12:13], 3
	v_ashrrev_i32_e32 v8, 31, v7
	v_mov_b32_e32 v4, s13
	v_add_co_u32_e32 v3, vcc, s12, v1
	v_lshlrev_b64 v[5:6], 3, v[7:8]
	v_addc_co_u32_e32 v4, vcc, v2, v4, vcc
	v_add_u32_e32 v9, s15, v7
	v_mov_b32_e32 v8, s5
	v_add_co_u32_e32 v5, vcc, s4, v5
	v_ashrrev_i32_e32 v10, 31, v9
	v_addc_co_u32_e32 v6, vcc, v8, v6, vcc
	v_lshlrev_b64 v[7:8], 3, v[9:10]
	v_add_u32_e32 v11, s15, v9
	v_mov_b32_e32 v10, s5
	v_add_co_u32_e32 v7, vcc, s4, v7
	v_ashrrev_i32_e32 v12, 31, v11
	v_addc_co_u32_e32 v8, vcc, v10, v8, vcc
	v_lshlrev_b64 v[9:10], 3, v[11:12]
	;; [unrolled: 6-line block ×25, first 2 shown]
	v_mov_b32_e32 v58, s5
	v_add_co_u32_e32 v55, vcc, s4, v55
	global_load_dwordx2 v[59:60], v77, s[4:5]
	global_load_dwordx2 v[67:68], v[3:4], off
	global_load_dwordx2 v[65:66], v[5:6], off
	;; [unrolled: 1-line block ×24, first 2 shown]
	v_addc_co_u32_e32 v56, vcc, v58, v56, vcc
	global_load_dwordx2 v[110:111], v[51:52], off
	global_load_dwordx2 v[112:113], v[53:54], off
	;; [unrolled: 1-line block ×3, first 2 shown]
	v_add_u32_e32 v57, s15, v57
	v_ashrrev_i32_e32 v58, 31, v57
	v_lshlrev_b64 v[57:58], 3, v[57:58]
	v_mov_b32_e32 v116, s5
	v_add_co_u32_e32 v57, vcc, s4, v57
	v_addc_co_u32_e32 v58, vcc, v116, v58, vcc
	global_load_dwordx2 v[116:117], v[57:58], off
	s_bitcmp0_b32 s8, 0
	s_mov_b64 s[8:9], -1
	s_waitcnt vmcnt(28)
	buffer_store_dword v60, off, s[0:3], 0 offset:4
	buffer_store_dword v59, off, s[0:3], 0
	s_waitcnt vmcnt(29)
	buffer_store_dword v68, off, s[0:3], 0 offset:12
	buffer_store_dword v67, off, s[0:3], 0 offset:8
	s_waitcnt vmcnt(30)
	buffer_store_dword v66, off, s[0:3], 0 offset:20
	buffer_store_dword v65, off, s[0:3], 0 offset:16
	;; [unrolled: 3-line block ×28, first 2 shown]
	s_cbranch_scc1 .LBB28_128
; %bb.4:
	v_cmp_eq_u32_e64 s[4:5], 0, v0
	s_and_saveexec_b64 s[8:9], s[4:5]
; %bb.5:
	v_mov_b32_e32 v59, 0
	ds_write_b32 v59, v59 offset:232
; %bb.6:
	s_or_b64 exec, exec, s[8:9]
	v_mov_b32_e32 v59, 0
	v_lshl_add_u32 v62, v0, 3, v59
	s_waitcnt lgkmcnt(0)
	; wave barrier
	buffer_load_dword v59, v62, s[0:3], 0 offen
	buffer_load_dword v60, v62, s[0:3], 0 offen offset:4
	s_waitcnt vmcnt(1)
	v_cmp_eq_f32_e32 vcc, 0, v59
	s_waitcnt vmcnt(0)
	v_cmp_eq_f32_e64 s[8:9], 0, v60
	s_and_b64 s[8:9], vcc, s[8:9]
	s_and_saveexec_b64 s[12:13], s[8:9]
	s_cbranch_execz .LBB28_10
; %bb.7:
	v_mov_b32_e32 v59, 0
	ds_read_b32 v61, v59 offset:232
	v_add_u32_e32 v60, 1, v0
	s_waitcnt lgkmcnt(0)
	v_readfirstlane_b32 s8, v61
	s_cmp_eq_u32 s8, 0
	s_cselect_b64 s[14:15], -1, 0
	v_cmp_gt_i32_e32 vcc, s8, v60
	s_or_b64 s[14:15], s[14:15], vcc
	s_and_b64 exec, exec, s[14:15]
	s_cbranch_execz .LBB28_10
; %bb.8:
	s_mov_b64 s[14:15], 0
	v_mov_b32_e32 v61, s8
.LBB28_9:                               ; =>This Inner Loop Header: Depth=1
	ds_cmpst_rtn_b32 v61, v59, v61, v60 offset:232
	s_waitcnt lgkmcnt(0)
	v_cmp_ne_u32_e32 vcc, 0, v61
	v_cmp_le_i32_e64 s[8:9], v61, v60
	s_and_b64 s[8:9], vcc, s[8:9]
	s_and_b64 s[8:9], exec, s[8:9]
	s_or_b64 s[14:15], s[8:9], s[14:15]
	s_andn2_b64 exec, exec, s[14:15]
	s_cbranch_execnz .LBB28_9
.LBB28_10:
	s_or_b64 exec, exec, s[12:13]
	v_mov_b32_e32 v60, 0
	; wave barrier
	ds_read_b32 v59, v60 offset:232
	s_and_saveexec_b64 s[8:9], s[4:5]
	s_cbranch_execz .LBB28_12
; %bb.11:
	s_lshl_b64 s[12:13], s[6:7], 2
	s_add_u32 s12, s10, s12
	s_addc_u32 s13, s11, s13
	s_waitcnt lgkmcnt(0)
	global_store_dword v60, v59, s[12:13]
.LBB28_12:
	s_or_b64 exec, exec, s[8:9]
	s_waitcnt lgkmcnt(0)
	v_cmp_ne_u32_e32 vcc, 0, v59
	s_mov_b64 s[8:9], 0
	s_cbranch_vccnz .LBB28_128
; %bb.13:
	buffer_load_dword v60, v62, s[0:3], 0 offen
	buffer_load_dword v61, v62, s[0:3], 0 offen offset:4
                                        ; implicit-def: $vgpr64
                                        ; implicit-def: $vgpr63
                                        ; implicit-def: $vgpr59
	s_waitcnt vmcnt(0)
	v_cmp_ngt_f32_e64 s[8:9], |v60|, |v61|
	s_and_saveexec_b64 s[12:13], s[8:9]
	s_xor_b64 s[8:9], exec, s[12:13]
	s_cbranch_execz .LBB28_15
; %bb.14:
	v_div_scale_f32 v59, s[12:13], v61, v61, v60
	v_div_scale_f32 v63, vcc, v60, v61, v60
	v_rcp_f32_e32 v64, v59
	v_fma_f32 v65, -v59, v64, 1.0
	v_fmac_f32_e32 v64, v65, v64
	v_mul_f32_e32 v65, v63, v64
	v_fma_f32 v66, -v59, v65, v63
	v_fmac_f32_e32 v65, v66, v64
	v_fma_f32 v59, -v59, v65, v63
	v_div_fmas_f32 v59, v59, v64, v65
	v_div_fixup_f32 v59, v59, v61, v60
	v_fmac_f32_e32 v61, v60, v59
	v_div_scale_f32 v60, s[12:13], v61, v61, 1.0
	v_div_scale_f32 v63, vcc, 1.0, v61, 1.0
	v_rcp_f32_e32 v64, v60
	v_fma_f32 v65, -v60, v64, 1.0
	v_fmac_f32_e32 v64, v65, v64
	v_mul_f32_e32 v65, v63, v64
	v_fma_f32 v66, -v60, v65, v63
	v_fmac_f32_e32 v65, v66, v64
	v_fma_f32 v60, -v60, v65, v63
	v_div_fmas_f32 v60, v60, v64, v65
	v_div_fixup_f32 v60, v60, v61, 1.0
	v_mul_f32_e32 v64, v59, v60
	v_xor_b32_e32 v63, 0x80000000, v60
	v_xor_b32_e32 v59, 0x80000000, v64
                                        ; implicit-def: $vgpr60
                                        ; implicit-def: $vgpr61
.LBB28_15:
	s_andn2_saveexec_b64 s[8:9], s[8:9]
	s_cbranch_execz .LBB28_17
; %bb.16:
	v_div_scale_f32 v59, s[12:13], v60, v60, v61
	v_div_scale_f32 v63, vcc, v61, v60, v61
	v_rcp_f32_e32 v64, v59
	v_fma_f32 v65, -v59, v64, 1.0
	v_fmac_f32_e32 v64, v65, v64
	v_mul_f32_e32 v65, v63, v64
	v_fma_f32 v66, -v59, v65, v63
	v_fmac_f32_e32 v65, v66, v64
	v_fma_f32 v59, -v59, v65, v63
	v_div_fmas_f32 v59, v59, v64, v65
	v_div_fixup_f32 v63, v59, v60, v61
	v_fmac_f32_e32 v60, v61, v63
	v_div_scale_f32 v59, s[12:13], v60, v60, 1.0
	v_div_scale_f32 v61, vcc, 1.0, v60, 1.0
	v_rcp_f32_e32 v64, v59
	v_fma_f32 v65, -v59, v64, 1.0
	v_fmac_f32_e32 v64, v65, v64
	v_mul_f32_e32 v65, v61, v64
	v_fma_f32 v66, -v59, v65, v61
	v_fmac_f32_e32 v65, v66, v64
	v_fma_f32 v59, -v59, v65, v61
	v_div_fmas_f32 v59, v59, v64, v65
	v_div_fixup_f32 v64, v59, v60, 1.0
	v_xor_b32_e32 v59, 0x80000000, v64
	v_mul_f32_e64 v63, v63, -v64
.LBB28_17:
	s_or_b64 exec, exec, s[8:9]
	buffer_store_dword v64, v62, s[0:3], 0 offen
	buffer_store_dword v63, v62, s[0:3], 0 offen offset:4
	buffer_load_dword v65, off, s[0:3], 0 offset:12
	s_nop 0
	buffer_load_dword v64, off, s[0:3], 0 offset:8
	v_xor_b32_e32 v60, 0x80000000, v63
	v_add_u32_e32 v61, 0xf0, v77
	s_waitcnt vmcnt(0)
	ds_write2_b64 v77, v[59:60], v[64:65] offset1:30
	s_waitcnt lgkmcnt(0)
	; wave barrier
	s_and_saveexec_b64 s[8:9], s[4:5]
	s_cbranch_execz .LBB28_19
; %bb.18:
	buffer_load_dword v65, v62, s[0:3], 0 offen offset:4
	buffer_load_dword v66, v62, s[0:3], 0 offen
	ds_read_b64 v[59:60], v61
	v_mov_b32_e32 v63, 0
	ds_read_b64 v[63:64], v63 offset:8
	s_waitcnt vmcnt(1) lgkmcnt(1)
	v_mul_f32_e32 v67, v60, v65
	v_mul_f32_e32 v65, v59, v65
	s_waitcnt vmcnt(0)
	v_fmac_f32_e32 v65, v60, v66
	v_fma_f32 v59, v59, v66, -v67
	v_add_f32_e32 v60, 0, v65
	v_add_f32_e32 v59, 0, v59
	s_waitcnt lgkmcnt(0)
	v_mul_f32_e32 v65, v60, v64
	v_mul_f32_e32 v64, v59, v64
	v_fma_f32 v59, v59, v63, -v65
	v_fmac_f32_e32 v64, v60, v63
	buffer_store_dword v59, off, s[0:3], 0 offset:8
	buffer_store_dword v64, off, s[0:3], 0 offset:12
.LBB28_19:
	s_or_b64 exec, exec, s[8:9]
	; wave barrier
	buffer_load_dword v59, off, s[0:3], 0 offset:16
	buffer_load_dword v60, off, s[0:3], 0 offset:20
	v_cmp_gt_u32_e32 vcc, 2, v0
	s_waitcnt vmcnt(0)
	ds_write_b64 v61, v[59:60]
	s_waitcnt lgkmcnt(0)
	; wave barrier
	s_and_saveexec_b64 s[8:9], vcc
	s_cbranch_execz .LBB28_23
; %bb.20:
	buffer_load_dword v63, v62, s[0:3], 0 offen offset:4
	buffer_load_dword v64, v62, s[0:3], 0 offen
	ds_read_b64 v[59:60], v61
	s_waitcnt vmcnt(1) lgkmcnt(0)
	v_mul_f32_e32 v62, v60, v63
	v_mul_f32_e32 v63, v59, v63
	s_waitcnt vmcnt(0)
	v_fma_f32 v59, v59, v64, -v62
	v_fmac_f32_e32 v63, v60, v64
	v_add_f32_e32 v60, 0, v59
	v_add_f32_e32 v59, 0, v63
	s_and_saveexec_b64 s[12:13], s[4:5]
	s_cbranch_execz .LBB28_22
; %bb.21:
	buffer_load_dword v64, off, s[0:3], 0 offset:12
	buffer_load_dword v65, off, s[0:3], 0 offset:8
	v_mov_b32_e32 v62, 0
	ds_read_b64 v[62:63], v62 offset:248
	s_waitcnt vmcnt(1) lgkmcnt(0)
	v_mul_f32_e32 v66, v62, v64
	v_mul_f32_e32 v64, v63, v64
	s_waitcnt vmcnt(0)
	v_fmac_f32_e32 v66, v63, v65
	v_fma_f32 v62, v62, v65, -v64
	v_add_f32_e32 v59, v59, v66
	v_add_f32_e32 v60, v60, v62
.LBB28_22:
	s_or_b64 exec, exec, s[12:13]
	v_mov_b32_e32 v62, 0
	ds_read_b64 v[62:63], v62 offset:16
	s_waitcnt lgkmcnt(0)
	v_mul_f32_e32 v64, v59, v63
	v_mul_f32_e32 v63, v60, v63
	v_fma_f32 v60, v60, v62, -v64
	v_fmac_f32_e32 v63, v59, v62
	buffer_store_dword v60, off, s[0:3], 0 offset:16
	buffer_store_dword v63, off, s[0:3], 0 offset:20
.LBB28_23:
	s_or_b64 exec, exec, s[8:9]
	; wave barrier
	buffer_load_dword v59, off, s[0:3], 0 offset:24
	buffer_load_dword v60, off, s[0:3], 0 offset:28
	v_cmp_gt_u32_e32 vcc, 3, v0
	s_waitcnt vmcnt(0)
	ds_write_b64 v61, v[59:60]
	v_add_u32_e32 v59, -1, v0
	s_waitcnt lgkmcnt(0)
	; wave barrier
	s_and_saveexec_b64 s[4:5], vcc
	s_cbranch_execz .LBB28_27
; %bb.24:
	v_add_u32_e32 v62, -1, v0
	v_add_u32_e32 v63, 0xf0, v77
	v_mov_b32_e32 v64, v77
	v_mov_b32_e32 v60, 0
	s_mov_b64 s[8:9], 0
	v_mov_b32_e32 v65, 0
.LBB28_25:                              ; =>This Inner Loop Header: Depth=1
	buffer_load_dword v68, v64, s[0:3], 0 offen offset:4
	buffer_load_dword v69, v64, s[0:3], 0 offen
	ds_read_b64 v[66:67], v63
	v_add_u32_e32 v62, 1, v62
	v_cmp_lt_u32_e32 vcc, 1, v62
	v_add_u32_e32 v63, 8, v63
	v_add_u32_e32 v64, 8, v64
	s_or_b64 s[8:9], vcc, s[8:9]
	s_waitcnt vmcnt(1) lgkmcnt(0)
	v_mul_f32_e32 v70, v67, v68
	v_mul_f32_e32 v68, v66, v68
	s_waitcnt vmcnt(0)
	v_fma_f32 v66, v66, v69, -v70
	v_fmac_f32_e32 v68, v67, v69
	v_add_f32_e32 v65, v65, v66
	v_add_f32_e32 v60, v60, v68
	s_andn2_b64 exec, exec, s[8:9]
	s_cbranch_execnz .LBB28_25
; %bb.26:
	s_or_b64 exec, exec, s[8:9]
	v_mov_b32_e32 v62, 0
	ds_read_b64 v[62:63], v62 offset:24
	s_waitcnt lgkmcnt(0)
	v_mul_f32_e32 v64, v60, v63
	v_mul_f32_e32 v63, v65, v63
	v_fma_f32 v64, v65, v62, -v64
	v_fmac_f32_e32 v63, v60, v62
	buffer_store_dword v64, off, s[0:3], 0 offset:24
	buffer_store_dword v63, off, s[0:3], 0 offset:28
.LBB28_27:
	s_or_b64 exec, exec, s[4:5]
	; wave barrier
	buffer_load_dword v62, off, s[0:3], 0 offset:32
	buffer_load_dword v63, off, s[0:3], 0 offset:36
	v_cmp_gt_u32_e32 vcc, 4, v0
	s_waitcnt vmcnt(0)
	ds_write_b64 v61, v[62:63]
	s_waitcnt lgkmcnt(0)
	; wave barrier
	s_and_saveexec_b64 s[4:5], vcc
	s_cbranch_execz .LBB28_31
; %bb.28:
	v_add_u32_e32 v62, -1, v0
	v_add_u32_e32 v63, 0xf0, v77
	v_mov_b32_e32 v64, v77
	v_mov_b32_e32 v60, 0
	s_mov_b64 s[8:9], 0
	v_mov_b32_e32 v65, 0
.LBB28_29:                              ; =>This Inner Loop Header: Depth=1
	buffer_load_dword v68, v64, s[0:3], 0 offen offset:4
	buffer_load_dword v69, v64, s[0:3], 0 offen
	ds_read_b64 v[66:67], v63
	v_add_u32_e32 v62, 1, v62
	v_cmp_lt_u32_e32 vcc, 2, v62
	v_add_u32_e32 v63, 8, v63
	v_add_u32_e32 v64, 8, v64
	s_or_b64 s[8:9], vcc, s[8:9]
	s_waitcnt vmcnt(1) lgkmcnt(0)
	v_mul_f32_e32 v70, v67, v68
	v_mul_f32_e32 v68, v66, v68
	s_waitcnt vmcnt(0)
	v_fma_f32 v66, v66, v69, -v70
	v_fmac_f32_e32 v68, v67, v69
	v_add_f32_e32 v65, v65, v66
	v_add_f32_e32 v60, v60, v68
	s_andn2_b64 exec, exec, s[8:9]
	s_cbranch_execnz .LBB28_29
; %bb.30:
	s_or_b64 exec, exec, s[8:9]
	v_mov_b32_e32 v62, 0
	ds_read_b64 v[62:63], v62 offset:32
	s_waitcnt lgkmcnt(0)
	v_mul_f32_e32 v64, v60, v63
	v_mul_f32_e32 v63, v65, v63
	v_fma_f32 v64, v65, v62, -v64
	v_fmac_f32_e32 v63, v60, v62
	buffer_store_dword v64, off, s[0:3], 0 offset:32
	buffer_store_dword v63, off, s[0:3], 0 offset:36
.LBB28_31:
	s_or_b64 exec, exec, s[4:5]
	; wave barrier
	buffer_load_dword v62, off, s[0:3], 0 offset:40
	buffer_load_dword v63, off, s[0:3], 0 offset:44
	v_cmp_gt_u32_e32 vcc, 5, v0
	s_waitcnt vmcnt(0)
	ds_write_b64 v61, v[62:63]
	;; [unrolled: 49-line block ×19, first 2 shown]
	s_waitcnt lgkmcnt(0)
	; wave barrier
	s_and_saveexec_b64 s[4:5], vcc
	s_cbranch_execz .LBB28_103
; %bb.100:
	v_add_u32_e32 v62, -1, v0
	v_add_u32_e32 v63, 0xf0, v77
	v_mov_b32_e32 v64, v77
	v_mov_b32_e32 v60, 0
	s_mov_b64 s[8:9], 0
	v_mov_b32_e32 v65, 0
.LBB28_101:                             ; =>This Inner Loop Header: Depth=1
	buffer_load_dword v68, v64, s[0:3], 0 offen offset:4
	buffer_load_dword v69, v64, s[0:3], 0 offen
	ds_read_b64 v[66:67], v63
	v_add_u32_e32 v62, 1, v62
	v_cmp_lt_u32_e32 vcc, 20, v62
	v_add_u32_e32 v63, 8, v63
	v_add_u32_e32 v64, 8, v64
	s_or_b64 s[8:9], vcc, s[8:9]
	s_waitcnt vmcnt(1) lgkmcnt(0)
	v_mul_f32_e32 v70, v67, v68
	v_mul_f32_e32 v68, v66, v68
	s_waitcnt vmcnt(0)
	v_fma_f32 v66, v66, v69, -v70
	v_fmac_f32_e32 v68, v67, v69
	v_add_f32_e32 v65, v65, v66
	v_add_f32_e32 v60, v60, v68
	s_andn2_b64 exec, exec, s[8:9]
	s_cbranch_execnz .LBB28_101
; %bb.102:
	s_or_b64 exec, exec, s[8:9]
	v_mov_b32_e32 v62, 0
	ds_read_b64 v[62:63], v62 offset:176
	s_waitcnt lgkmcnt(0)
	v_mul_f32_e32 v64, v60, v63
	v_mul_f32_e32 v63, v65, v63
	v_fma_f32 v64, v65, v62, -v64
	v_fmac_f32_e32 v63, v60, v62
	buffer_store_dword v64, off, s[0:3], 0 offset:176
	buffer_store_dword v63, off, s[0:3], 0 offset:180
.LBB28_103:
	s_or_b64 exec, exec, s[4:5]
	; wave barrier
	buffer_load_dword v62, off, s[0:3], 0 offset:184
	buffer_load_dword v63, off, s[0:3], 0 offset:188
	v_cmp_gt_u32_e32 vcc, 23, v0
	s_waitcnt vmcnt(0)
	ds_write_b64 v61, v[62:63]
	s_waitcnt lgkmcnt(0)
	; wave barrier
	s_and_saveexec_b64 s[4:5], vcc
	s_cbranch_execz .LBB28_107
; %bb.104:
	v_add_u32_e32 v62, -1, v0
	v_add_u32_e32 v63, 0xf0, v77
	v_mov_b32_e32 v64, v77
	v_mov_b32_e32 v60, 0
	s_mov_b64 s[8:9], 0
	v_mov_b32_e32 v65, 0
.LBB28_105:                             ; =>This Inner Loop Header: Depth=1
	buffer_load_dword v68, v64, s[0:3], 0 offen offset:4
	buffer_load_dword v69, v64, s[0:3], 0 offen
	ds_read_b64 v[66:67], v63
	v_add_u32_e32 v62, 1, v62
	v_cmp_lt_u32_e32 vcc, 21, v62
	v_add_u32_e32 v63, 8, v63
	v_add_u32_e32 v64, 8, v64
	s_or_b64 s[8:9], vcc, s[8:9]
	s_waitcnt vmcnt(1) lgkmcnt(0)
	v_mul_f32_e32 v70, v67, v68
	v_mul_f32_e32 v68, v66, v68
	s_waitcnt vmcnt(0)
	v_fma_f32 v66, v66, v69, -v70
	v_fmac_f32_e32 v68, v67, v69
	v_add_f32_e32 v65, v65, v66
	v_add_f32_e32 v60, v60, v68
	s_andn2_b64 exec, exec, s[8:9]
	s_cbranch_execnz .LBB28_105
; %bb.106:
	s_or_b64 exec, exec, s[8:9]
	v_mov_b32_e32 v62, 0
	ds_read_b64 v[62:63], v62 offset:184
	s_waitcnt lgkmcnt(0)
	v_mul_f32_e32 v64, v60, v63
	v_mul_f32_e32 v63, v65, v63
	v_fma_f32 v64, v65, v62, -v64
	v_fmac_f32_e32 v63, v60, v62
	buffer_store_dword v64, off, s[0:3], 0 offset:184
	buffer_store_dword v63, off, s[0:3], 0 offset:188
.LBB28_107:
	s_or_b64 exec, exec, s[4:5]
	; wave barrier
	buffer_load_dword v62, off, s[0:3], 0 offset:192
	buffer_load_dword v63, off, s[0:3], 0 offset:196
	v_cmp_gt_u32_e32 vcc, 24, v0
	s_waitcnt vmcnt(0)
	ds_write_b64 v61, v[62:63]
	;; [unrolled: 49-line block ×5, first 2 shown]
	s_waitcnt lgkmcnt(0)
	; wave barrier
	s_and_saveexec_b64 s[4:5], vcc
	s_cbranch_execz .LBB28_123
; %bb.120:
	v_add_u32_e32 v62, -1, v0
	v_add_u32_e32 v63, 0xf0, v77
	v_mov_b32_e32 v64, v77
	v_mov_b32_e32 v60, 0
	s_mov_b64 s[8:9], 0
	v_mov_b32_e32 v65, 0
.LBB28_121:                             ; =>This Inner Loop Header: Depth=1
	buffer_load_dword v68, v64, s[0:3], 0 offen offset:4
	buffer_load_dword v69, v64, s[0:3], 0 offen
	ds_read_b64 v[66:67], v63
	v_add_u32_e32 v62, 1, v62
	v_cmp_lt_u32_e32 vcc, 25, v62
	v_add_u32_e32 v63, 8, v63
	v_add_u32_e32 v64, 8, v64
	s_or_b64 s[8:9], vcc, s[8:9]
	s_waitcnt vmcnt(1) lgkmcnt(0)
	v_mul_f32_e32 v70, v67, v68
	v_mul_f32_e32 v68, v66, v68
	s_waitcnt vmcnt(0)
	v_fma_f32 v66, v66, v69, -v70
	v_fmac_f32_e32 v68, v67, v69
	v_add_f32_e32 v65, v65, v66
	v_add_f32_e32 v60, v60, v68
	s_andn2_b64 exec, exec, s[8:9]
	s_cbranch_execnz .LBB28_121
; %bb.122:
	s_or_b64 exec, exec, s[8:9]
	v_mov_b32_e32 v62, 0
	ds_read_b64 v[62:63], v62 offset:216
	s_waitcnt lgkmcnt(0)
	v_mul_f32_e32 v64, v60, v63
	v_mul_f32_e32 v63, v65, v63
	v_fma_f32 v64, v65, v62, -v64
	v_fmac_f32_e32 v63, v60, v62
	buffer_store_dword v64, off, s[0:3], 0 offset:216
	buffer_store_dword v63, off, s[0:3], 0 offset:220
.LBB28_123:
	s_or_b64 exec, exec, s[4:5]
	; wave barrier
	buffer_load_dword v62, off, s[0:3], 0 offset:224
	buffer_load_dword v63, off, s[0:3], 0 offset:228
	v_cmp_ne_u32_e32 vcc, 28, v0
	s_waitcnt vmcnt(0)
	ds_write_b64 v61, v[62:63]
	s_waitcnt lgkmcnt(0)
	; wave barrier
	s_and_saveexec_b64 s[4:5], vcc
	s_cbranch_execz .LBB28_127
; %bb.124:
	v_add_u32_e32 v61, 0xf0, v77
	v_mov_b32_e32 v62, v77
	v_mov_b32_e32 v60, 0
	s_mov_b64 s[8:9], 0
	v_mov_b32_e32 v63, 0
.LBB28_125:                             ; =>This Inner Loop Header: Depth=1
	buffer_load_dword v66, v62, s[0:3], 0 offen offset:4
	buffer_load_dword v67, v62, s[0:3], 0 offen
	ds_read_b64 v[64:65], v61
	v_add_u32_e32 v59, 1, v59
	v_cmp_lt_u32_e32 vcc, 26, v59
	v_add_u32_e32 v61, 8, v61
	v_add_u32_e32 v62, 8, v62
	s_or_b64 s[8:9], vcc, s[8:9]
	s_waitcnt vmcnt(1) lgkmcnt(0)
	v_mul_f32_e32 v68, v65, v66
	v_mul_f32_e32 v66, v64, v66
	s_waitcnt vmcnt(0)
	v_fma_f32 v64, v64, v67, -v68
	v_fmac_f32_e32 v66, v65, v67
	v_add_f32_e32 v63, v63, v64
	v_add_f32_e32 v60, v60, v66
	s_andn2_b64 exec, exec, s[8:9]
	s_cbranch_execnz .LBB28_125
; %bb.126:
	s_or_b64 exec, exec, s[8:9]
	v_mov_b32_e32 v59, 0
	ds_read_b64 v[61:62], v59 offset:224
	s_waitcnt lgkmcnt(0)
	v_mul_f32_e32 v59, v60, v62
	v_mul_f32_e32 v62, v63, v62
	v_fma_f32 v59, v63, v61, -v59
	v_fmac_f32_e32 v62, v60, v61
	buffer_store_dword v59, off, s[0:3], 0 offset:224
	buffer_store_dword v62, off, s[0:3], 0 offset:228
.LBB28_127:
	s_or_b64 exec, exec, s[4:5]
	s_mov_b64 s[8:9], -1
	; wave barrier
.LBB28_128:
	s_and_b64 vcc, exec, s[8:9]
	s_cbranch_vccz .LBB28_130
; %bb.129:
	s_lshl_b64 s[4:5], s[6:7], 2
	s_add_u32 s4, s10, s4
	s_addc_u32 s5, s11, s5
	v_mov_b32_e32 v59, 0
	global_load_dword v59, v59, s[4:5]
	s_waitcnt vmcnt(0)
	v_cmp_ne_u32_e32 vcc, 0, v59
	s_cbranch_vccz .LBB28_131
.LBB28_130:
	s_endpgm
.LBB28_131:
	v_mov_b32_e32 v59, 0xf0
	v_lshl_add_u32 v59, v0, 3, v59
	v_cmp_eq_u32_e32 vcc, 28, v0
	s_and_saveexec_b64 s[4:5], vcc
	s_cbranch_execz .LBB28_133
; %bb.132:
	buffer_load_dword v60, off, s[0:3], 0 offset:216
	buffer_load_dword v61, off, s[0:3], 0 offset:220
	v_mov_b32_e32 v62, 0
	buffer_store_dword v62, off, s[0:3], 0 offset:216
	buffer_store_dword v62, off, s[0:3], 0 offset:220
	s_waitcnt vmcnt(2)
	ds_write_b64 v59, v[60:61]
.LBB28_133:
	s_or_b64 exec, exec, s[4:5]
	s_waitcnt lgkmcnt(0)
	; wave barrier
	buffer_load_dword v63, off, s[0:3], 0 offset:228
	buffer_load_dword v64, off, s[0:3], 0 offset:224
	;; [unrolled: 1-line block ×4, first 2 shown]
	v_mov_b32_e32 v60, 0
	ds_read_b64 v[61:62], v60 offset:464
	v_cmp_lt_u32_e32 vcc, 26, v0
	s_waitcnt vmcnt(3) lgkmcnt(0)
	v_mul_f32_e32 v67, v61, v63
	v_mul_f32_e32 v63, v62, v63
	s_waitcnt vmcnt(2)
	v_fma_f32 v61, v61, v64, -v63
	v_fmac_f32_e32 v67, v62, v64
	v_add_f32_e32 v61, 0, v61
	v_add_f32_e32 v62, 0, v67
	s_waitcnt vmcnt(1)
	v_sub_f32_e32 v61, v65, v61
	s_waitcnt vmcnt(0)
	v_sub_f32_e32 v62, v66, v62
	buffer_store_dword v61, off, s[0:3], 0 offset:216
	buffer_store_dword v62, off, s[0:3], 0 offset:220
	s_and_saveexec_b64 s[4:5], vcc
	s_cbranch_execz .LBB28_135
; %bb.134:
	buffer_load_dword v61, off, s[0:3], 0 offset:208
	buffer_load_dword v62, off, s[0:3], 0 offset:212
	s_waitcnt vmcnt(0)
	ds_write_b64 v59, v[61:62]
	buffer_store_dword v60, off, s[0:3], 0 offset:208
	buffer_store_dword v60, off, s[0:3], 0 offset:212
.LBB28_135:
	s_or_b64 exec, exec, s[4:5]
	s_waitcnt lgkmcnt(0)
	; wave barrier
	buffer_load_dword v64, off, s[0:3], 0 offset:220
	buffer_load_dword v65, off, s[0:3], 0 offset:228
	;; [unrolled: 1-line block ×6, first 2 shown]
	ds_read2_b64 v[60:63], v60 offset0:57 offset1:58
	v_cmp_lt_u32_e32 vcc, 25, v0
	s_waitcnt vmcnt(5) lgkmcnt(0)
	v_mul_f32_e32 v70, v60, v64
	v_mul_f32_e32 v64, v61, v64
	s_waitcnt vmcnt(4)
	v_mul_f32_e32 v71, v62, v65
	v_mul_f32_e32 v65, v63, v65
	s_waitcnt vmcnt(3)
	v_fma_f32 v60, v60, v66, -v64
	v_fmac_f32_e32 v70, v61, v66
	s_waitcnt vmcnt(2)
	v_fma_f32 v61, v62, v67, -v65
	v_add_f32_e32 v60, 0, v60
	v_fmac_f32_e32 v71, v63, v67
	v_add_f32_e32 v62, 0, v70
	v_add_f32_e32 v60, v60, v61
	;; [unrolled: 1-line block ×3, first 2 shown]
	s_waitcnt vmcnt(1)
	v_sub_f32_e32 v60, v68, v60
	s_waitcnt vmcnt(0)
	v_sub_f32_e32 v61, v69, v62
	buffer_store_dword v60, off, s[0:3], 0 offset:208
	buffer_store_dword v61, off, s[0:3], 0 offset:212
	s_and_saveexec_b64 s[4:5], vcc
	s_cbranch_execz .LBB28_137
; %bb.136:
	buffer_load_dword v60, off, s[0:3], 0 offset:200
	buffer_load_dword v61, off, s[0:3], 0 offset:204
	v_mov_b32_e32 v62, 0
	buffer_store_dword v62, off, s[0:3], 0 offset:200
	buffer_store_dword v62, off, s[0:3], 0 offset:204
	s_waitcnt vmcnt(2)
	ds_write_b64 v59, v[60:61]
.LBB28_137:
	s_or_b64 exec, exec, s[4:5]
	s_waitcnt lgkmcnt(0)
	; wave barrier
	buffer_load_dword v67, off, s[0:3], 0 offset:212
	buffer_load_dword v68, off, s[0:3], 0 offset:220
	;; [unrolled: 1-line block ×8, first 2 shown]
	v_mov_b32_e32 v60, 0
	ds_read_b128 v[61:64], v60 offset:448
	ds_read_b64 v[65:66], v60 offset:464
	v_cmp_lt_u32_e32 vcc, 24, v0
	s_waitcnt vmcnt(7) lgkmcnt(1)
	v_mul_f32_e32 v75, v61, v67
	v_mul_f32_e32 v67, v62, v67
	s_waitcnt vmcnt(6)
	v_mul_f32_e32 v76, v63, v68
	v_mul_f32_e32 v68, v64, v68
	s_waitcnt vmcnt(4)
	v_fma_f32 v61, v61, v70, -v67
	s_waitcnt lgkmcnt(0)
	v_mul_f32_e32 v77, v65, v69
	v_mul_f32_e32 v69, v66, v69
	v_fmac_f32_e32 v75, v62, v70
	s_waitcnt vmcnt(3)
	v_fma_f32 v62, v63, v71, -v68
	v_add_f32_e32 v61, 0, v61
	v_fmac_f32_e32 v76, v64, v71
	s_waitcnt vmcnt(2)
	v_fma_f32 v63, v65, v72, -v69
	v_add_f32_e32 v64, 0, v75
	v_add_f32_e32 v61, v61, v62
	v_fmac_f32_e32 v77, v66, v72
	v_add_f32_e32 v64, v64, v76
	v_add_f32_e32 v61, v61, v63
	;; [unrolled: 1-line block ×3, first 2 shown]
	s_waitcnt vmcnt(1)
	v_sub_f32_e32 v61, v73, v61
	s_waitcnt vmcnt(0)
	v_sub_f32_e32 v62, v74, v62
	buffer_store_dword v61, off, s[0:3], 0 offset:200
	buffer_store_dword v62, off, s[0:3], 0 offset:204
	s_and_saveexec_b64 s[4:5], vcc
	s_cbranch_execz .LBB28_139
; %bb.138:
	buffer_load_dword v61, off, s[0:3], 0 offset:192
	buffer_load_dword v62, off, s[0:3], 0 offset:196
	s_waitcnt vmcnt(0)
	ds_write_b64 v59, v[61:62]
	buffer_store_dword v60, off, s[0:3], 0 offset:192
	buffer_store_dword v60, off, s[0:3], 0 offset:196
.LBB28_139:
	s_or_b64 exec, exec, s[4:5]
	s_waitcnt lgkmcnt(0)
	; wave barrier
	buffer_load_dword v69, off, s[0:3], 0 offset:204
	buffer_load_dword v70, off, s[0:3], 0 offset:212
	;; [unrolled: 1-line block ×10, first 2 shown]
	ds_read2_b64 v[61:64], v60 offset0:55 offset1:56
	ds_read2_b64 v[65:68], v60 offset0:57 offset1:58
	v_cmp_lt_u32_e32 vcc, 23, v0
	s_waitcnt vmcnt(9) lgkmcnt(1)
	v_mul_f32_e32 v60, v61, v69
	v_mul_f32_e32 v69, v62, v69
	s_waitcnt vmcnt(8)
	v_mul_f32_e32 v79, v63, v70
	v_mul_f32_e32 v70, v64, v70
	s_waitcnt vmcnt(5)
	v_fma_f32 v61, v61, v73, -v69
	s_waitcnt lgkmcnt(0)
	v_mul_f32_e32 v80, v65, v71
	v_mul_f32_e32 v71, v66, v71
	v_fmac_f32_e32 v60, v62, v73
	s_waitcnt vmcnt(4)
	v_fma_f32 v62, v63, v74, -v70
	v_add_f32_e32 v61, 0, v61
	v_mul_f32_e32 v81, v67, v72
	v_mul_f32_e32 v72, v68, v72
	v_fmac_f32_e32 v79, v64, v74
	s_waitcnt vmcnt(3)
	v_fma_f32 v63, v65, v75, -v71
	v_add_f32_e32 v60, 0, v60
	v_add_f32_e32 v61, v61, v62
	v_fmac_f32_e32 v80, v66, v75
	s_waitcnt vmcnt(2)
	v_fma_f32 v64, v67, v76, -v72
	v_add_f32_e32 v60, v60, v79
	v_add_f32_e32 v61, v61, v63
	v_fmac_f32_e32 v81, v68, v76
	v_add_f32_e32 v60, v60, v80
	v_add_f32_e32 v61, v61, v64
	;; [unrolled: 1-line block ×3, first 2 shown]
	s_waitcnt vmcnt(1)
	v_sub_f32_e32 v61, v77, v61
	s_waitcnt vmcnt(0)
	v_sub_f32_e32 v60, v78, v60
	buffer_store_dword v61, off, s[0:3], 0 offset:192
	buffer_store_dword v60, off, s[0:3], 0 offset:196
	s_and_saveexec_b64 s[4:5], vcc
	s_cbranch_execz .LBB28_141
; %bb.140:
	buffer_load_dword v60, off, s[0:3], 0 offset:184
	buffer_load_dword v61, off, s[0:3], 0 offset:188
	v_mov_b32_e32 v62, 0
	buffer_store_dword v62, off, s[0:3], 0 offset:184
	buffer_store_dword v62, off, s[0:3], 0 offset:188
	s_waitcnt vmcnt(2)
	ds_write_b64 v59, v[60:61]
.LBB28_141:
	s_or_b64 exec, exec, s[4:5]
	s_waitcnt lgkmcnt(0)
	; wave barrier
	buffer_load_dword v71, off, s[0:3], 0 offset:196
	buffer_load_dword v72, off, s[0:3], 0 offset:204
	;; [unrolled: 1-line block ×12, first 2 shown]
	v_mov_b32_e32 v60, 0
	ds_read_b128 v[61:64], v60 offset:432
	ds_read_b128 v[65:68], v60 offset:448
	ds_read_b64 v[69:70], v60 offset:464
	v_cmp_lt_u32_e32 vcc, 22, v0
	s_waitcnt vmcnt(11) lgkmcnt(2)
	v_mul_f32_e32 v83, v61, v71
	v_mul_f32_e32 v71, v62, v71
	s_waitcnt vmcnt(10)
	v_mul_f32_e32 v84, v63, v72
	v_mul_f32_e32 v72, v64, v72
	s_waitcnt vmcnt(9) lgkmcnt(1)
	v_mul_f32_e32 v85, v65, v73
	s_waitcnt vmcnt(6)
	v_fma_f32 v61, v61, v76, -v71
	v_mul_f32_e32 v73, v66, v73
	v_fmac_f32_e32 v83, v62, v76
	s_waitcnt vmcnt(5)
	v_fma_f32 v62, v63, v77, -v72
	v_add_f32_e32 v61, 0, v61
	v_mul_f32_e32 v86, v67, v74
	v_mul_f32_e32 v74, v68, v74
	v_fmac_f32_e32 v84, v64, v77
	s_waitcnt vmcnt(4)
	v_fmac_f32_e32 v85, v66, v78
	v_fma_f32 v63, v65, v78, -v73
	v_add_f32_e32 v66, 0, v83
	v_add_f32_e32 v61, v61, v62
	s_waitcnt lgkmcnt(0)
	v_mul_f32_e32 v87, v69, v75
	v_mul_f32_e32 v75, v70, v75
	s_waitcnt vmcnt(3)
	v_fma_f32 v64, v67, v79, -v74
	v_add_f32_e32 v66, v66, v84
	v_add_f32_e32 v61, v61, v63
	v_fmac_f32_e32 v86, v68, v79
	s_waitcnt vmcnt(2)
	v_fma_f32 v65, v69, v80, -v75
	v_add_f32_e32 v62, v66, v85
	v_add_f32_e32 v61, v61, v64
	v_fmac_f32_e32 v87, v70, v80
	v_add_f32_e32 v62, v62, v86
	v_add_f32_e32 v61, v61, v65
	;; [unrolled: 1-line block ×3, first 2 shown]
	s_waitcnt vmcnt(1)
	v_sub_f32_e32 v61, v81, v61
	s_waitcnt vmcnt(0)
	v_sub_f32_e32 v62, v82, v62
	buffer_store_dword v61, off, s[0:3], 0 offset:184
	buffer_store_dword v62, off, s[0:3], 0 offset:188
	s_and_saveexec_b64 s[4:5], vcc
	s_cbranch_execz .LBB28_143
; %bb.142:
	buffer_load_dword v61, off, s[0:3], 0 offset:176
	buffer_load_dword v62, off, s[0:3], 0 offset:180
	s_waitcnt vmcnt(0)
	ds_write_b64 v59, v[61:62]
	buffer_store_dword v60, off, s[0:3], 0 offset:176
	buffer_store_dword v60, off, s[0:3], 0 offset:180
.LBB28_143:
	s_or_b64 exec, exec, s[4:5]
	s_waitcnt lgkmcnt(0)
	; wave barrier
	buffer_load_dword v73, off, s[0:3], 0 offset:188
	buffer_load_dword v74, off, s[0:3], 0 offset:196
	;; [unrolled: 1-line block ×14, first 2 shown]
	ds_read2_b64 v[61:64], v60 offset0:53 offset1:54
	ds_read2_b64 v[65:68], v60 offset0:55 offset1:56
	ds_read2_b64 v[69:72], v60 offset0:57 offset1:58
	v_cmp_lt_u32_e32 vcc, 21, v0
	s_waitcnt vmcnt(13) lgkmcnt(2)
	v_mul_f32_e32 v60, v61, v73
	v_mul_f32_e32 v73, v62, v73
	s_waitcnt vmcnt(12)
	v_mul_f32_e32 v87, v63, v74
	v_mul_f32_e32 v74, v64, v74
	s_waitcnt vmcnt(11) lgkmcnt(1)
	v_mul_f32_e32 v88, v65, v75
	v_mul_f32_e32 v75, v66, v75
	s_waitcnt vmcnt(7)
	v_fma_f32 v61, v61, v79, -v73
	v_fmac_f32_e32 v60, v62, v79
	s_waitcnt vmcnt(6)
	v_fma_f32 v62, v63, v80, -v74
	v_add_f32_e32 v61, 0, v61
	v_mul_f32_e32 v89, v67, v76
	v_mul_f32_e32 v76, v68, v76
	v_fmac_f32_e32 v87, v64, v80
	s_waitcnt vmcnt(5)
	v_fma_f32 v63, v65, v81, -v75
	v_add_f32_e32 v60, 0, v60
	v_add_f32_e32 v61, v61, v62
	s_waitcnt lgkmcnt(0)
	v_mul_f32_e32 v90, v69, v77
	v_mul_f32_e32 v77, v70, v77
	v_fmac_f32_e32 v88, v66, v81
	s_waitcnt vmcnt(4)
	v_fma_f32 v64, v67, v82, -v76
	v_add_f32_e32 v60, v60, v87
	v_add_f32_e32 v61, v61, v63
	v_mul_f32_e32 v91, v71, v78
	v_mul_f32_e32 v78, v72, v78
	v_fmac_f32_e32 v89, v68, v82
	s_waitcnt vmcnt(3)
	v_fma_f32 v65, v69, v83, -v77
	v_add_f32_e32 v60, v60, v88
	v_add_f32_e32 v61, v61, v64
	v_fmac_f32_e32 v90, v70, v83
	s_waitcnt vmcnt(2)
	v_fma_f32 v66, v71, v84, -v78
	v_add_f32_e32 v60, v60, v89
	v_add_f32_e32 v61, v61, v65
	v_fmac_f32_e32 v91, v72, v84
	v_add_f32_e32 v60, v60, v90
	v_add_f32_e32 v61, v61, v66
	;; [unrolled: 1-line block ×3, first 2 shown]
	s_waitcnt vmcnt(1)
	v_sub_f32_e32 v61, v85, v61
	s_waitcnt vmcnt(0)
	v_sub_f32_e32 v60, v86, v60
	buffer_store_dword v61, off, s[0:3], 0 offset:176
	buffer_store_dword v60, off, s[0:3], 0 offset:180
	s_and_saveexec_b64 s[4:5], vcc
	s_cbranch_execz .LBB28_145
; %bb.144:
	buffer_load_dword v60, off, s[0:3], 0 offset:168
	buffer_load_dword v61, off, s[0:3], 0 offset:172
	v_mov_b32_e32 v62, 0
	buffer_store_dword v62, off, s[0:3], 0 offset:168
	buffer_store_dword v62, off, s[0:3], 0 offset:172
	s_waitcnt vmcnt(2)
	ds_write_b64 v59, v[60:61]
.LBB28_145:
	s_or_b64 exec, exec, s[4:5]
	s_waitcnt lgkmcnt(0)
	; wave barrier
	buffer_load_dword v75, off, s[0:3], 0 offset:180
	buffer_load_dword v76, off, s[0:3], 0 offset:188
	;; [unrolled: 1-line block ×16, first 2 shown]
	v_mov_b32_e32 v60, 0
	ds_read_b128 v[61:64], v60 offset:416
	ds_read_b128 v[65:68], v60 offset:432
	ds_read_b128 v[69:72], v60 offset:448
	ds_read_b64 v[73:74], v60 offset:464
	v_cmp_lt_u32_e32 vcc, 20, v0
	s_waitcnt vmcnt(15) lgkmcnt(3)
	v_mul_f32_e32 v91, v61, v75
	v_mul_f32_e32 v75, v62, v75
	s_waitcnt vmcnt(14)
	v_mul_f32_e32 v92, v63, v76
	v_mul_f32_e32 v76, v64, v76
	s_waitcnt vmcnt(13) lgkmcnt(2)
	v_mul_f32_e32 v93, v65, v77
	s_waitcnt vmcnt(12)
	v_mul_f32_e32 v94, v67, v78
	v_mul_f32_e32 v77, v66, v77
	s_waitcnt vmcnt(8)
	v_fma_f32 v61, v61, v82, -v75
	v_fmac_f32_e32 v91, v62, v82
	s_waitcnt vmcnt(7)
	v_fma_f32 v62, v63, v83, -v76
	v_add_f32_e32 v61, 0, v61
	v_mul_f32_e32 v78, v68, v78
	v_fmac_f32_e32 v92, v64, v83
	s_waitcnt vmcnt(5)
	v_fmac_f32_e32 v94, v68, v85
	v_fma_f32 v63, v65, v84, -v77
	v_add_f32_e32 v68, 0, v91
	v_add_f32_e32 v61, v61, v62
	s_waitcnt lgkmcnt(1)
	v_mul_f32_e32 v95, v69, v79
	v_mul_f32_e32 v79, v70, v79
	v_fmac_f32_e32 v93, v66, v84
	v_fma_f32 v64, v67, v85, -v78
	v_add_f32_e32 v68, v68, v92
	v_add_f32_e32 v61, v61, v63
	v_mul_f32_e32 v96, v71, v80
	v_mul_f32_e32 v80, v72, v80
	s_waitcnt vmcnt(4)
	v_fma_f32 v65, v69, v86, -v79
	v_add_f32_e32 v62, v68, v93
	v_add_f32_e32 v61, v61, v64
	s_waitcnt lgkmcnt(0)
	v_mul_f32_e32 v97, v73, v81
	v_mul_f32_e32 v81, v74, v81
	v_fmac_f32_e32 v95, v70, v86
	s_waitcnt vmcnt(3)
	v_fma_f32 v66, v71, v87, -v80
	v_add_f32_e32 v62, v62, v94
	v_add_f32_e32 v61, v61, v65
	v_fmac_f32_e32 v96, v72, v87
	s_waitcnt vmcnt(2)
	v_fma_f32 v67, v73, v88, -v81
	v_add_f32_e32 v62, v62, v95
	v_add_f32_e32 v61, v61, v66
	v_fmac_f32_e32 v97, v74, v88
	v_add_f32_e32 v62, v62, v96
	v_add_f32_e32 v61, v61, v67
	;; [unrolled: 1-line block ×3, first 2 shown]
	s_waitcnt vmcnt(1)
	v_sub_f32_e32 v61, v89, v61
	s_waitcnt vmcnt(0)
	v_sub_f32_e32 v62, v90, v62
	buffer_store_dword v61, off, s[0:3], 0 offset:168
	buffer_store_dword v62, off, s[0:3], 0 offset:172
	s_and_saveexec_b64 s[4:5], vcc
	s_cbranch_execz .LBB28_147
; %bb.146:
	buffer_load_dword v61, off, s[0:3], 0 offset:160
	buffer_load_dword v62, off, s[0:3], 0 offset:164
	s_waitcnt vmcnt(0)
	ds_write_b64 v59, v[61:62]
	buffer_store_dword v60, off, s[0:3], 0 offset:160
	buffer_store_dword v60, off, s[0:3], 0 offset:164
.LBB28_147:
	s_or_b64 exec, exec, s[4:5]
	s_waitcnt lgkmcnt(0)
	; wave barrier
	buffer_load_dword v77, off, s[0:3], 0 offset:172
	buffer_load_dword v78, off, s[0:3], 0 offset:180
	;; [unrolled: 1-line block ×18, first 2 shown]
	ds_read2_b64 v[61:64], v60 offset0:51 offset1:52
	ds_read2_b64 v[65:68], v60 offset0:53 offset1:54
	;; [unrolled: 1-line block ×4, first 2 shown]
	v_cmp_lt_u32_e32 vcc, 19, v0
	s_waitcnt vmcnt(17) lgkmcnt(3)
	v_mul_f32_e32 v60, v61, v77
	v_mul_f32_e32 v77, v62, v77
	s_waitcnt vmcnt(16)
	v_mul_f32_e32 v95, v63, v78
	v_mul_f32_e32 v78, v64, v78
	s_waitcnt vmcnt(15) lgkmcnt(2)
	v_mul_f32_e32 v96, v65, v79
	v_mul_f32_e32 v79, v66, v79
	s_waitcnt vmcnt(14)
	v_mul_f32_e32 v97, v67, v80
	v_mul_f32_e32 v80, v68, v80
	s_waitcnt vmcnt(9)
	v_fma_f32 v61, v61, v85, -v77
	v_fmac_f32_e32 v60, v62, v85
	s_waitcnt vmcnt(8)
	v_fma_f32 v62, v63, v86, -v78
	v_add_f32_e32 v61, 0, v61
	v_fmac_f32_e32 v95, v64, v86
	s_waitcnt vmcnt(7)
	v_fma_f32 v63, v65, v87, -v79
	v_add_f32_e32 v60, 0, v60
	v_add_f32_e32 v61, v61, v62
	s_waitcnt lgkmcnt(1)
	v_mul_f32_e32 v98, v69, v81
	v_mul_f32_e32 v81, v70, v81
	v_fmac_f32_e32 v96, v66, v87
	s_waitcnt vmcnt(6)
	v_fma_f32 v64, v67, v88, -v80
	v_add_f32_e32 v60, v60, v95
	v_add_f32_e32 v61, v61, v63
	v_mul_f32_e32 v99, v71, v82
	v_mul_f32_e32 v82, v72, v82
	v_fmac_f32_e32 v97, v68, v88
	s_waitcnt vmcnt(5)
	v_fma_f32 v65, v69, v89, -v81
	v_add_f32_e32 v60, v60, v96
	v_add_f32_e32 v61, v61, v64
	s_waitcnt lgkmcnt(0)
	v_mul_f32_e32 v100, v73, v83
	v_mul_f32_e32 v83, v74, v83
	v_fmac_f32_e32 v98, v70, v89
	s_waitcnt vmcnt(4)
	v_fma_f32 v66, v71, v90, -v82
	v_add_f32_e32 v60, v60, v97
	v_add_f32_e32 v61, v61, v65
	v_mul_f32_e32 v101, v75, v84
	v_mul_f32_e32 v84, v76, v84
	v_fmac_f32_e32 v99, v72, v90
	s_waitcnt vmcnt(3)
	v_fma_f32 v67, v73, v91, -v83
	v_add_f32_e32 v60, v60, v98
	v_add_f32_e32 v61, v61, v66
	v_fmac_f32_e32 v100, v74, v91
	s_waitcnt vmcnt(2)
	v_fma_f32 v68, v75, v92, -v84
	v_add_f32_e32 v60, v60, v99
	v_add_f32_e32 v61, v61, v67
	v_fmac_f32_e32 v101, v76, v92
	v_add_f32_e32 v60, v60, v100
	v_add_f32_e32 v61, v61, v68
	;; [unrolled: 1-line block ×3, first 2 shown]
	s_waitcnt vmcnt(1)
	v_sub_f32_e32 v61, v93, v61
	s_waitcnt vmcnt(0)
	v_sub_f32_e32 v60, v94, v60
	buffer_store_dword v61, off, s[0:3], 0 offset:160
	buffer_store_dword v60, off, s[0:3], 0 offset:164
	s_and_saveexec_b64 s[4:5], vcc
	s_cbranch_execz .LBB28_149
; %bb.148:
	buffer_load_dword v60, off, s[0:3], 0 offset:152
	buffer_load_dword v61, off, s[0:3], 0 offset:156
	v_mov_b32_e32 v62, 0
	buffer_store_dword v62, off, s[0:3], 0 offset:152
	buffer_store_dword v62, off, s[0:3], 0 offset:156
	s_waitcnt vmcnt(2)
	ds_write_b64 v59, v[60:61]
.LBB28_149:
	s_or_b64 exec, exec, s[4:5]
	s_waitcnt lgkmcnt(0)
	; wave barrier
	buffer_load_dword v79, off, s[0:3], 0 offset:164
	buffer_load_dword v80, off, s[0:3], 0 offset:172
	;; [unrolled: 1-line block ×20, first 2 shown]
	v_mov_b32_e32 v60, 0
	ds_read_b128 v[61:64], v60 offset:400
	ds_read_b128 v[65:68], v60 offset:416
	;; [unrolled: 1-line block ×4, first 2 shown]
	ds_read_b64 v[77:78], v60 offset:464
	v_cmp_lt_u32_e32 vcc, 18, v0
	s_waitcnt vmcnt(19) lgkmcnt(4)
	v_mul_f32_e32 v99, v61, v79
	v_mul_f32_e32 v79, v62, v79
	s_waitcnt vmcnt(18)
	v_mul_f32_e32 v100, v63, v80
	v_mul_f32_e32 v80, v64, v80
	s_waitcnt vmcnt(17) lgkmcnt(3)
	v_mul_f32_e32 v101, v65, v81
	s_waitcnt vmcnt(15) lgkmcnt(2)
	v_mul_f32_e32 v103, v69, v83
	v_mul_f32_e32 v81, v66, v81
	;; [unrolled: 1-line block ×4, first 2 shown]
	s_waitcnt vmcnt(10)
	v_fma_f32 v61, v61, v88, -v79
	v_fmac_f32_e32 v99, v62, v88
	s_waitcnt vmcnt(9)
	v_fma_f32 v62, v63, v89, -v80
	v_add_f32_e32 v61, 0, v61
	v_mul_f32_e32 v83, v70, v83
	v_fmac_f32_e32 v100, v64, v89
	s_waitcnt vmcnt(6)
	v_fmac_f32_e32 v103, v70, v92
	v_fma_f32 v63, v65, v90, -v81
	v_add_f32_e32 v70, 0, v99
	v_add_f32_e32 v61, v61, v62
	v_fmac_f32_e32 v101, v66, v90
	v_fma_f32 v64, v67, v91, -v82
	v_add_f32_e32 v70, v70, v100
	v_add_f32_e32 v61, v61, v63
	v_mul_f32_e32 v104, v71, v84
	v_mul_f32_e32 v84, v72, v84
	v_fmac_f32_e32 v102, v68, v91
	v_fma_f32 v65, v69, v92, -v83
	v_add_f32_e32 v62, v70, v101
	v_add_f32_e32 v61, v61, v64
	s_waitcnt lgkmcnt(1)
	v_mul_f32_e32 v105, v73, v85
	v_mul_f32_e32 v85, v74, v85
	s_waitcnt vmcnt(5)
	v_fma_f32 v66, v71, v93, -v84
	v_add_f32_e32 v62, v62, v102
	v_add_f32_e32 v61, v61, v65
	v_mul_f32_e32 v106, v75, v86
	v_mul_f32_e32 v86, v76, v86
	v_fmac_f32_e32 v104, v72, v93
	s_waitcnt vmcnt(4)
	v_fma_f32 v67, v73, v94, -v85
	v_add_f32_e32 v62, v62, v103
	v_add_f32_e32 v61, v61, v66
	s_waitcnt lgkmcnt(0)
	v_mul_f32_e32 v107, v77, v87
	v_mul_f32_e32 v87, v78, v87
	v_fmac_f32_e32 v105, v74, v94
	s_waitcnt vmcnt(3)
	v_fma_f32 v68, v75, v95, -v86
	v_add_f32_e32 v62, v62, v104
	v_add_f32_e32 v61, v61, v67
	v_fmac_f32_e32 v106, v76, v95
	s_waitcnt vmcnt(2)
	v_fma_f32 v69, v77, v96, -v87
	v_add_f32_e32 v62, v62, v105
	v_add_f32_e32 v61, v61, v68
	v_fmac_f32_e32 v107, v78, v96
	v_add_f32_e32 v62, v62, v106
	v_add_f32_e32 v61, v61, v69
	;; [unrolled: 1-line block ×3, first 2 shown]
	s_waitcnt vmcnt(1)
	v_sub_f32_e32 v61, v97, v61
	s_waitcnt vmcnt(0)
	v_sub_f32_e32 v62, v98, v62
	buffer_store_dword v61, off, s[0:3], 0 offset:152
	buffer_store_dword v62, off, s[0:3], 0 offset:156
	s_and_saveexec_b64 s[4:5], vcc
	s_cbranch_execz .LBB28_151
; %bb.150:
	buffer_load_dword v61, off, s[0:3], 0 offset:144
	buffer_load_dword v62, off, s[0:3], 0 offset:148
	s_waitcnt vmcnt(0)
	ds_write_b64 v59, v[61:62]
	buffer_store_dword v60, off, s[0:3], 0 offset:144
	buffer_store_dword v60, off, s[0:3], 0 offset:148
.LBB28_151:
	s_or_b64 exec, exec, s[4:5]
	s_waitcnt lgkmcnt(0)
	; wave barrier
	buffer_load_dword v81, off, s[0:3], 0 offset:156
	buffer_load_dword v82, off, s[0:3], 0 offset:164
	;; [unrolled: 1-line block ×22, first 2 shown]
	ds_read2_b64 v[61:64], v60 offset0:49 offset1:50
	ds_read2_b64 v[65:68], v60 offset0:51 offset1:52
	;; [unrolled: 1-line block ×5, first 2 shown]
	v_cmp_lt_u32_e32 vcc, 17, v0
	s_waitcnt vmcnt(21) lgkmcnt(4)
	v_mul_f32_e32 v60, v61, v81
	v_mul_f32_e32 v81, v62, v81
	s_waitcnt vmcnt(20)
	v_mul_f32_e32 v103, v63, v82
	v_mul_f32_e32 v82, v64, v82
	s_waitcnt vmcnt(19) lgkmcnt(3)
	v_mul_f32_e32 v104, v65, v83
	v_mul_f32_e32 v83, v66, v83
	s_waitcnt vmcnt(18)
	v_mul_f32_e32 v105, v67, v84
	v_mul_f32_e32 v84, v68, v84
	s_waitcnt vmcnt(17) lgkmcnt(2)
	v_mul_f32_e32 v106, v69, v85
	v_mul_f32_e32 v85, v70, v85
	s_waitcnt vmcnt(11)
	v_fma_f32 v61, v61, v91, -v81
	v_fmac_f32_e32 v60, v62, v91
	s_waitcnt vmcnt(10)
	v_fma_f32 v62, v63, v92, -v82
	v_add_f32_e32 v61, 0, v61
	v_fmac_f32_e32 v103, v64, v92
	s_waitcnt vmcnt(9)
	v_fma_f32 v63, v65, v93, -v83
	v_add_f32_e32 v60, 0, v60
	v_add_f32_e32 v61, v61, v62
	v_fmac_f32_e32 v104, v66, v93
	s_waitcnt vmcnt(8)
	v_fma_f32 v64, v67, v94, -v84
	v_add_f32_e32 v60, v60, v103
	v_add_f32_e32 v61, v61, v63
	v_mul_f32_e32 v107, v71, v86
	v_mul_f32_e32 v86, v72, v86
	v_fmac_f32_e32 v105, v68, v94
	s_waitcnt vmcnt(7)
	v_fma_f32 v65, v69, v95, -v85
	v_add_f32_e32 v60, v60, v104
	v_add_f32_e32 v61, v61, v64
	s_waitcnt lgkmcnt(1)
	v_mul_f32_e32 v108, v73, v87
	v_mul_f32_e32 v87, v74, v87
	v_fmac_f32_e32 v106, v70, v95
	s_waitcnt vmcnt(6)
	v_fma_f32 v66, v71, v96, -v86
	v_add_f32_e32 v60, v60, v105
	v_add_f32_e32 v61, v61, v65
	v_mul_f32_e32 v109, v75, v88
	v_mul_f32_e32 v88, v76, v88
	v_fmac_f32_e32 v107, v72, v96
	s_waitcnt vmcnt(5)
	v_fma_f32 v67, v73, v97, -v87
	v_add_f32_e32 v60, v60, v106
	v_add_f32_e32 v61, v61, v66
	s_waitcnt lgkmcnt(0)
	v_mul_f32_e32 v110, v77, v89
	v_mul_f32_e32 v89, v78, v89
	v_fmac_f32_e32 v108, v74, v97
	s_waitcnt vmcnt(4)
	v_fma_f32 v68, v75, v98, -v88
	v_add_f32_e32 v60, v60, v107
	v_add_f32_e32 v61, v61, v67
	v_mul_f32_e32 v111, v79, v90
	v_mul_f32_e32 v90, v80, v90
	v_fmac_f32_e32 v109, v76, v98
	s_waitcnt vmcnt(3)
	v_fma_f32 v69, v77, v99, -v89
	v_add_f32_e32 v60, v60, v108
	v_add_f32_e32 v61, v61, v68
	v_fmac_f32_e32 v110, v78, v99
	s_waitcnt vmcnt(2)
	v_fma_f32 v70, v79, v100, -v90
	v_add_f32_e32 v60, v60, v109
	v_add_f32_e32 v61, v61, v69
	v_fmac_f32_e32 v111, v80, v100
	v_add_f32_e32 v60, v60, v110
	v_add_f32_e32 v61, v61, v70
	;; [unrolled: 1-line block ×3, first 2 shown]
	s_waitcnt vmcnt(1)
	v_sub_f32_e32 v61, v101, v61
	s_waitcnt vmcnt(0)
	v_sub_f32_e32 v60, v102, v60
	buffer_store_dword v61, off, s[0:3], 0 offset:144
	buffer_store_dword v60, off, s[0:3], 0 offset:148
	s_and_saveexec_b64 s[4:5], vcc
	s_cbranch_execz .LBB28_153
; %bb.152:
	buffer_load_dword v60, off, s[0:3], 0 offset:136
	buffer_load_dword v61, off, s[0:3], 0 offset:140
	v_mov_b32_e32 v62, 0
	buffer_store_dword v62, off, s[0:3], 0 offset:136
	buffer_store_dword v62, off, s[0:3], 0 offset:140
	s_waitcnt vmcnt(2)
	ds_write_b64 v59, v[60:61]
.LBB28_153:
	s_or_b64 exec, exec, s[4:5]
	s_waitcnt lgkmcnt(0)
	; wave barrier
	buffer_load_dword v83, off, s[0:3], 0 offset:148
	buffer_load_dword v84, off, s[0:3], 0 offset:156
	;; [unrolled: 1-line block ×24, first 2 shown]
	v_mov_b32_e32 v60, 0
	ds_read_b128 v[61:64], v60 offset:384
	ds_read_b128 v[65:68], v60 offset:400
	ds_read_b128 v[69:72], v60 offset:416
	ds_read_b128 v[73:76], v60 offset:432
	ds_read_b128 v[77:80], v60 offset:448
	ds_read_b64 v[81:82], v60 offset:464
	v_cmp_lt_u32_e32 vcc, 16, v0
	s_waitcnt vmcnt(23) lgkmcnt(5)
	v_mul_f32_e32 v107, v61, v83
	v_mul_f32_e32 v83, v62, v83
	s_waitcnt vmcnt(22)
	v_mul_f32_e32 v108, v63, v84
	v_mul_f32_e32 v84, v64, v84
	s_waitcnt vmcnt(21) lgkmcnt(4)
	v_mul_f32_e32 v109, v65, v85
	v_mul_f32_e32 v85, v66, v85
	s_waitcnt vmcnt(20)
	v_mul_f32_e32 v110, v67, v86
	s_waitcnt vmcnt(19) lgkmcnt(3)
	v_mul_f32_e32 v111, v69, v87
	v_mul_f32_e32 v86, v68, v86
	;; [unrolled: 1-line block ×3, first 2 shown]
	s_waitcnt vmcnt(18)
	v_mul_f32_e32 v112, v71, v88
	s_waitcnt vmcnt(12)
	v_fma_f32 v61, v61, v94, -v83
	v_fmac_f32_e32 v107, v62, v94
	s_waitcnt vmcnt(11)
	v_fma_f32 v62, v63, v95, -v84
	v_add_f32_e32 v61, 0, v61
	s_waitcnt vmcnt(10)
	v_fma_f32 v63, v65, v96, -v85
	v_add_f32_e32 v61, v61, v62
	v_fmac_f32_e32 v108, v64, v95
	s_waitcnt vmcnt(8)
	v_fmac_f32_e32 v111, v70, v98
	v_fma_f32 v64, v67, v97, -v86
	v_add_f32_e32 v70, 0, v107
	v_add_f32_e32 v61, v61, v63
	v_mul_f32_e32 v88, v72, v88
	v_fmac_f32_e32 v109, v66, v96
	v_fma_f32 v65, v69, v98, -v87
	v_add_f32_e32 v70, v70, v108
	v_add_f32_e32 v61, v61, v64
	s_waitcnt lgkmcnt(2)
	v_mul_f32_e32 v113, v73, v89
	v_mul_f32_e32 v89, v74, v89
	v_fmac_f32_e32 v110, v68, v97
	s_waitcnt vmcnt(7)
	v_fma_f32 v66, v71, v99, -v88
	v_add_f32_e32 v62, v70, v109
	v_add_f32_e32 v61, v61, v65
	v_mul_f32_e32 v114, v75, v90
	v_mul_f32_e32 v90, v76, v90
	s_waitcnt vmcnt(6)
	v_fma_f32 v67, v73, v100, -v89
	v_add_f32_e32 v62, v62, v110
	v_add_f32_e32 v61, v61, v66
	s_waitcnt lgkmcnt(1)
	v_mul_f32_e32 v115, v77, v91
	v_mul_f32_e32 v91, v78, v91
	v_fmac_f32_e32 v112, v72, v99
	s_waitcnt vmcnt(5)
	v_fma_f32 v68, v75, v101, -v90
	v_add_f32_e32 v62, v62, v111
	v_add_f32_e32 v61, v61, v67
	v_fmac_f32_e32 v113, v74, v100
	s_waitcnt vmcnt(4)
	v_fma_f32 v69, v77, v102, -v91
	v_add_f32_e32 v62, v62, v112
	v_add_f32_e32 v61, v61, v68
	v_mul_f32_e32 v63, v80, v92
	v_fmac_f32_e32 v114, v76, v101
	v_add_f32_e32 v62, v62, v113
	v_add_f32_e32 v61, v61, v69
	s_waitcnt vmcnt(3)
	v_fma_f32 v63, v79, v103, -v63
	v_mul_f32_e32 v116, v79, v92
	v_fmac_f32_e32 v115, v78, v102
	v_add_f32_e32 v62, v62, v114
	v_add_f32_e32 v61, v61, v63
	s_waitcnt lgkmcnt(0)
	v_mul_f32_e32 v63, v82, v93
	v_mul_f32_e32 v117, v81, v93
	v_fmac_f32_e32 v116, v80, v103
	v_add_f32_e32 v62, v62, v115
	s_waitcnt vmcnt(2)
	v_fma_f32 v63, v81, v104, -v63
	v_fmac_f32_e32 v117, v82, v104
	v_add_f32_e32 v62, v62, v116
	v_add_f32_e32 v61, v61, v63
	;; [unrolled: 1-line block ×3, first 2 shown]
	s_waitcnt vmcnt(1)
	v_sub_f32_e32 v61, v105, v61
	s_waitcnt vmcnt(0)
	v_sub_f32_e32 v62, v106, v62
	buffer_store_dword v61, off, s[0:3], 0 offset:136
	buffer_store_dword v62, off, s[0:3], 0 offset:140
	s_and_saveexec_b64 s[4:5], vcc
	s_cbranch_execz .LBB28_155
; %bb.154:
	buffer_load_dword v61, off, s[0:3], 0 offset:128
	buffer_load_dword v62, off, s[0:3], 0 offset:132
	s_waitcnt vmcnt(0)
	ds_write_b64 v59, v[61:62]
	buffer_store_dword v60, off, s[0:3], 0 offset:128
	buffer_store_dword v60, off, s[0:3], 0 offset:132
.LBB28_155:
	s_or_b64 exec, exec, s[4:5]
	s_waitcnt lgkmcnt(0)
	; wave barrier
	buffer_load_dword v85, off, s[0:3], 0 offset:140
	buffer_load_dword v86, off, s[0:3], 0 offset:148
	;; [unrolled: 1-line block ×26, first 2 shown]
	ds_read2_b64 v[61:64], v60 offset0:47 offset1:48
	ds_read2_b64 v[65:68], v60 offset0:49 offset1:50
	;; [unrolled: 1-line block ×6, first 2 shown]
	v_cmp_lt_u32_e32 vcc, 15, v0
	s_waitcnt vmcnt(25) lgkmcnt(5)
	v_mul_f32_e32 v60, v61, v85
	v_mul_f32_e32 v85, v62, v85
	s_waitcnt vmcnt(24)
	v_mul_f32_e32 v111, v63, v86
	v_mul_f32_e32 v86, v64, v86
	s_waitcnt vmcnt(23) lgkmcnt(4)
	v_mul_f32_e32 v112, v65, v87
	v_mul_f32_e32 v87, v66, v87
	s_waitcnt vmcnt(22)
	v_mul_f32_e32 v113, v67, v88
	v_mul_f32_e32 v88, v68, v88
	;; [unrolled: 6-line block ×3, first 2 shown]
	s_waitcnt vmcnt(13)
	v_fma_f32 v61, v61, v97, -v85
	v_fmac_f32_e32 v60, v62, v97
	s_waitcnt vmcnt(12)
	v_fma_f32 v62, v63, v98, -v86
	v_add_f32_e32 v61, 0, v61
	s_waitcnt vmcnt(11)
	v_fma_f32 v63, v65, v99, -v87
	v_add_f32_e32 v61, v61, v62
	v_fmac_f32_e32 v111, v64, v98
	s_waitcnt vmcnt(10)
	v_fma_f32 v64, v67, v100, -v88
	v_add_f32_e32 v61, v61, v63
	s_waitcnt vmcnt(9)
	v_fma_f32 v65, v69, v101, -v89
	v_add_f32_e32 v61, v61, v64
	s_waitcnt lgkmcnt(2)
	v_mul_f32_e32 v116, v73, v91
	v_mul_f32_e32 v91, v74, v91
	v_fmac_f32_e32 v112, v66, v99
	s_waitcnt vmcnt(8)
	v_fma_f32 v66, v71, v102, -v90
	v_add_f32_e32 v60, 0, v60
	v_add_f32_e32 v61, v61, v65
	v_mul_f32_e32 v117, v75, v92
	v_mul_f32_e32 v92, v76, v92
	s_waitcnt vmcnt(7)
	v_fma_f32 v67, v73, v103, -v91
	v_add_f32_e32 v60, v60, v111
	v_add_f32_e32 v61, v61, v66
	v_fmac_f32_e32 v113, v68, v100
	s_waitcnt vmcnt(6)
	v_fma_f32 v68, v75, v104, -v92
	v_add_f32_e32 v60, v60, v112
	v_add_f32_e32 v61, v61, v67
	s_waitcnt lgkmcnt(1)
	v_mul_f32_e32 v62, v78, v93
	v_fmac_f32_e32 v114, v70, v101
	v_add_f32_e32 v60, v60, v113
	v_add_f32_e32 v61, v61, v68
	s_waitcnt vmcnt(5)
	v_fma_f32 v62, v77, v105, -v62
	v_fmac_f32_e32 v115, v72, v102
	v_add_f32_e32 v60, v60, v114
	v_add_f32_e32 v61, v61, v62
	v_mul_f32_e32 v62, v80, v94
	v_fmac_f32_e32 v116, v74, v103
	v_add_f32_e32 v60, v60, v115
	s_waitcnt vmcnt(4)
	v_fma_f32 v62, v79, v106, -v62
	v_mul_f32_e32 v118, v77, v93
	v_fmac_f32_e32 v117, v76, v104
	v_add_f32_e32 v60, v60, v116
	v_add_f32_e32 v61, v61, v62
	s_waitcnt lgkmcnt(0)
	v_mul_f32_e32 v62, v82, v95
	v_mul_f32_e32 v119, v79, v94
	v_fmac_f32_e32 v118, v78, v105
	v_add_f32_e32 v60, v60, v117
	s_waitcnt vmcnt(3)
	v_fma_f32 v62, v81, v107, -v62
	v_mul_f32_e32 v120, v81, v95
	v_fmac_f32_e32 v119, v80, v106
	v_add_f32_e32 v60, v60, v118
	v_add_f32_e32 v61, v61, v62
	v_mul_f32_e32 v62, v84, v96
	v_mul_f32_e32 v121, v83, v96
	v_fmac_f32_e32 v120, v82, v107
	v_add_f32_e32 v60, v60, v119
	s_waitcnt vmcnt(2)
	v_fma_f32 v62, v83, v108, -v62
	v_fmac_f32_e32 v121, v84, v108
	v_add_f32_e32 v60, v60, v120
	v_add_f32_e32 v61, v61, v62
	;; [unrolled: 1-line block ×3, first 2 shown]
	s_waitcnt vmcnt(1)
	v_sub_f32_e32 v61, v109, v61
	s_waitcnt vmcnt(0)
	v_sub_f32_e32 v60, v110, v60
	buffer_store_dword v61, off, s[0:3], 0 offset:128
	buffer_store_dword v60, off, s[0:3], 0 offset:132
	s_and_saveexec_b64 s[4:5], vcc
	s_cbranch_execz .LBB28_157
; %bb.156:
	buffer_load_dword v60, off, s[0:3], 0 offset:120
	buffer_load_dword v61, off, s[0:3], 0 offset:124
	v_mov_b32_e32 v62, 0
	buffer_store_dword v62, off, s[0:3], 0 offset:120
	buffer_store_dword v62, off, s[0:3], 0 offset:124
	s_waitcnt vmcnt(2)
	ds_write_b64 v59, v[60:61]
.LBB28_157:
	s_or_b64 exec, exec, s[4:5]
	v_mov_b32_e32 v60, 0
	s_waitcnt lgkmcnt(0)
	; wave barrier
	ds_read_b128 v[61:64], v60 offset:368
	ds_read_b128 v[65:68], v60 offset:384
	;; [unrolled: 1-line block ×4, first 2 shown]
	buffer_load_dword v87, off, s[0:3], 0 offset:120
	buffer_load_dword v88, off, s[0:3], 0 offset:124
	buffer_load_dword v89, off, s[0:3], 0 offset:128
	buffer_load_dword v90, off, s[0:3], 0 offset:132
	buffer_load_dword v91, off, s[0:3], 0 offset:136
	buffer_load_dword v92, off, s[0:3], 0 offset:140
	buffer_load_dword v93, off, s[0:3], 0 offset:144
	buffer_load_dword v94, off, s[0:3], 0 offset:148
	buffer_load_dword v95, off, s[0:3], 0 offset:152
	buffer_load_dword v96, off, s[0:3], 0 offset:156
	buffer_load_dword v97, off, s[0:3], 0 offset:160
	buffer_load_dword v98, off, s[0:3], 0 offset:164
	buffer_load_dword v99, off, s[0:3], 0 offset:168
	buffer_load_dword v100, off, s[0:3], 0 offset:172
	buffer_load_dword v101, off, s[0:3], 0 offset:176
	buffer_load_dword v102, off, s[0:3], 0 offset:180
	buffer_load_dword v103, off, s[0:3], 0 offset:184
	buffer_load_dword v104, off, s[0:3], 0 offset:188
	v_cmp_lt_u32_e32 vcc, 14, v0
	s_waitcnt vmcnt(14) lgkmcnt(3)
	v_mul_f32_e32 v77, v61, v90
	v_fmac_f32_e32 v77, v62, v89
	s_waitcnt vmcnt(12)
	v_mul_f32_e32 v78, v63, v92
	v_add_f32_e32 v77, 0, v77
	v_fmac_f32_e32 v78, v64, v91
	v_add_f32_e32 v77, v77, v78
	s_waitcnt vmcnt(10) lgkmcnt(2)
	v_mul_f32_e32 v78, v65, v94
	v_fmac_f32_e32 v78, v66, v93
	v_add_f32_e32 v77, v77, v78
	s_waitcnt vmcnt(8)
	v_mul_f32_e32 v78, v67, v96
	v_fmac_f32_e32 v78, v68, v95
	v_add_f32_e32 v77, v77, v78
	s_waitcnt vmcnt(6) lgkmcnt(1)
	v_mul_f32_e32 v78, v69, v98
	v_fmac_f32_e32 v78, v70, v97
	v_add_f32_e32 v77, v77, v78
	s_waitcnt vmcnt(4)
	v_mul_f32_e32 v78, v71, v100
	;; [unrolled: 8-line block ×3, first 2 shown]
	v_fmac_f32_e32 v78, v76, v103
	v_add_f32_e32 v81, v77, v78
	ds_read_b128 v[77:80], v60 offset:432
	buffer_load_dword v105, off, s[0:3], 0 offset:192
	buffer_load_dword v106, off, s[0:3], 0 offset:196
	;; [unrolled: 1-line block ×4, first 2 shown]
	v_mul_f32_e32 v62, v62, v90
	v_fma_f32 v61, v61, v89, -v62
	v_mul_f32_e32 v62, v64, v92
	v_add_f32_e32 v61, 0, v61
	v_fma_f32 v62, v63, v91, -v62
	v_add_f32_e32 v61, v61, v62
	v_mul_f32_e32 v62, v66, v94
	v_fma_f32 v62, v65, v93, -v62
	v_add_f32_e32 v61, v61, v62
	v_mul_f32_e32 v62, v68, v96
	;; [unrolled: 3-line block ×6, first 2 shown]
	v_fma_f32 v62, v75, v103, -v62
	v_add_f32_e32 v61, v61, v62
	s_waitcnt vmcnt(2) lgkmcnt(0)
	v_mul_f32_e32 v82, v77, v106
	v_fmac_f32_e32 v82, v78, v105
	v_add_f32_e32 v81, v81, v82
	s_waitcnt vmcnt(0)
	v_mul_f32_e32 v82, v79, v108
	v_fmac_f32_e32 v82, v80, v107
	v_add_f32_e32 v85, v81, v82
	ds_read_b128 v[81:84], v60 offset:448
	buffer_load_dword v109, off, s[0:3], 0 offset:208
	buffer_load_dword v110, off, s[0:3], 0 offset:212
	;; [unrolled: 1-line block ×4, first 2 shown]
	v_mul_f32_e32 v62, v78, v106
	v_fma_f32 v62, v77, v105, -v62
	v_add_f32_e32 v61, v61, v62
	v_mul_f32_e32 v62, v80, v108
	v_fma_f32 v62, v79, v107, -v62
	v_add_f32_e32 v61, v61, v62
	s_waitcnt vmcnt(2) lgkmcnt(0)
	v_mul_f32_e32 v86, v81, v110
	v_fmac_f32_e32 v86, v82, v109
	v_add_f32_e32 v85, v85, v86
	s_waitcnt vmcnt(0)
	v_mul_f32_e32 v86, v83, v112
	v_fmac_f32_e32 v86, v84, v111
	v_add_f32_e32 v113, v85, v86
	ds_read_b64 v[85:86], v60 offset:464
	buffer_load_dword v114, off, s[0:3], 0 offset:224
	buffer_load_dword v115, off, s[0:3], 0 offset:228
	v_mul_f32_e32 v62, v82, v110
	v_fma_f32 v62, v81, v109, -v62
	v_add_f32_e32 v61, v61, v62
	v_mul_f32_e32 v62, v84, v112
	v_fma_f32 v62, v83, v111, -v62
	v_add_f32_e32 v61, v61, v62
	s_waitcnt vmcnt(0) lgkmcnt(0)
	v_mul_f32_e32 v62, v86, v115
	v_mul_f32_e32 v116, v85, v115
	v_fma_f32 v62, v85, v114, -v62
	v_fmac_f32_e32 v116, v86, v114
	v_add_f32_e32 v61, v61, v62
	v_add_f32_e32 v113, v113, v116
	v_sub_f32_e32 v61, v87, v61
	v_sub_f32_e32 v62, v88, v113
	buffer_store_dword v61, off, s[0:3], 0 offset:120
	buffer_store_dword v62, off, s[0:3], 0 offset:124
	s_and_saveexec_b64 s[4:5], vcc
	s_cbranch_execz .LBB28_159
; %bb.158:
	buffer_load_dword v61, off, s[0:3], 0 offset:112
	buffer_load_dword v62, off, s[0:3], 0 offset:116
	s_waitcnt vmcnt(0)
	ds_write_b64 v59, v[61:62]
	buffer_store_dword v60, off, s[0:3], 0 offset:112
	buffer_store_dword v60, off, s[0:3], 0 offset:116
.LBB28_159:
	s_or_b64 exec, exec, s[4:5]
	s_waitcnt lgkmcnt(0)
	; wave barrier
	ds_read2_b64 v[61:64], v60 offset0:45 offset1:46
	buffer_load_dword v89, off, s[0:3], 0 offset:112
	buffer_load_dword v90, off, s[0:3], 0 offset:116
	;; [unrolled: 1-line block ×16, first 2 shown]
	v_cmp_lt_u32_e32 vcc, 13, v0
	s_waitcnt vmcnt(12) lgkmcnt(0)
	v_mul_f32_e32 v65, v61, v92
	v_fmac_f32_e32 v65, v62, v91
	s_waitcnt vmcnt(10)
	v_mul_f32_e32 v66, v63, v94
	v_add_f32_e32 v65, 0, v65
	v_fmac_f32_e32 v66, v64, v93
	v_add_f32_e32 v69, v65, v66
	ds_read2_b64 v[65:68], v60 offset0:47 offset1:48
	v_mul_f32_e32 v62, v62, v92
	v_fma_f32 v61, v61, v91, -v62
	v_mul_f32_e32 v62, v64, v94
	v_add_f32_e32 v61, 0, v61
	s_waitcnt vmcnt(8) lgkmcnt(0)
	v_mul_f32_e32 v70, v65, v96
	v_fmac_f32_e32 v70, v66, v95
	v_add_f32_e32 v69, v69, v70
	s_waitcnt vmcnt(6)
	v_mul_f32_e32 v70, v67, v98
	v_fmac_f32_e32 v70, v68, v97
	v_add_f32_e32 v73, v69, v70
	ds_read2_b64 v[69:72], v60 offset0:49 offset1:50
	v_fma_f32 v62, v63, v93, -v62
	v_add_f32_e32 v61, v61, v62
	v_mul_f32_e32 v62, v66, v96
	v_fma_f32 v62, v65, v95, -v62
	s_waitcnt vmcnt(4) lgkmcnt(0)
	v_mul_f32_e32 v74, v69, v100
	v_fmac_f32_e32 v74, v70, v99
	v_add_f32_e32 v73, v73, v74
	s_waitcnt vmcnt(2)
	v_mul_f32_e32 v74, v71, v102
	v_fmac_f32_e32 v74, v72, v101
	v_add_f32_e32 v77, v73, v74
	ds_read2_b64 v[73:76], v60 offset0:51 offset1:52
	buffer_load_dword v105, off, s[0:3], 0 offset:176
	buffer_load_dword v106, off, s[0:3], 0 offset:180
	v_add_f32_e32 v61, v61, v62
	v_mul_f32_e32 v62, v68, v98
	v_fma_f32 v62, v67, v97, -v62
	s_waitcnt vmcnt(2) lgkmcnt(0)
	v_mul_f32_e32 v78, v73, v104
	v_fmac_f32_e32 v78, v74, v103
	v_add_f32_e32 v77, v77, v78
	v_add_f32_e32 v61, v61, v62
	v_mul_f32_e32 v62, v70, v100
	v_fma_f32 v62, v69, v99, -v62
	v_add_f32_e32 v61, v61, v62
	v_mul_f32_e32 v62, v72, v102
	v_fma_f32 v62, v71, v101, -v62
	;; [unrolled: 3-line block ×3, first 2 shown]
	v_add_f32_e32 v61, v61, v62
	s_waitcnt vmcnt(0)
	v_mul_f32_e32 v78, v75, v106
	v_fmac_f32_e32 v78, v76, v105
	v_add_f32_e32 v81, v77, v78
	ds_read2_b64 v[77:80], v60 offset0:53 offset1:54
	buffer_load_dword v107, off, s[0:3], 0 offset:184
	buffer_load_dword v108, off, s[0:3], 0 offset:188
	;; [unrolled: 1-line block ×4, first 2 shown]
	v_mul_f32_e32 v62, v76, v106
	v_fma_f32 v62, v75, v105, -v62
	v_add_f32_e32 v61, v61, v62
	s_waitcnt vmcnt(2) lgkmcnt(0)
	v_mul_f32_e32 v82, v77, v108
	v_fmac_f32_e32 v82, v78, v107
	v_add_f32_e32 v81, v81, v82
	s_waitcnt vmcnt(0)
	v_mul_f32_e32 v82, v79, v110
	v_fmac_f32_e32 v82, v80, v109
	v_add_f32_e32 v85, v81, v82
	ds_read2_b64 v[81:84], v60 offset0:55 offset1:56
	buffer_load_dword v111, off, s[0:3], 0 offset:200
	buffer_load_dword v112, off, s[0:3], 0 offset:204
	;; [unrolled: 1-line block ×4, first 2 shown]
	v_mul_f32_e32 v62, v78, v108
	v_fma_f32 v62, v77, v107, -v62
	v_add_f32_e32 v61, v61, v62
	v_mul_f32_e32 v62, v80, v110
	v_fma_f32 v62, v79, v109, -v62
	v_add_f32_e32 v61, v61, v62
	s_waitcnt vmcnt(2) lgkmcnt(0)
	v_mul_f32_e32 v86, v81, v112
	v_fmac_f32_e32 v86, v82, v111
	v_add_f32_e32 v85, v85, v86
	s_waitcnt vmcnt(0)
	v_mul_f32_e32 v86, v83, v114
	v_fmac_f32_e32 v86, v84, v113
	v_add_f32_e32 v115, v85, v86
	ds_read2_b64 v[85:88], v60 offset0:57 offset1:58
	buffer_load_dword v60, off, s[0:3], 0 offset:216
	buffer_load_dword v116, off, s[0:3], 0 offset:220
	v_mul_f32_e32 v62, v82, v112
	v_fma_f32 v62, v81, v111, -v62
	v_add_f32_e32 v61, v61, v62
	v_mul_f32_e32 v62, v84, v114
	v_fma_f32 v62, v83, v113, -v62
	v_add_f32_e32 v61, v61, v62
	s_waitcnt vmcnt(0) lgkmcnt(0)
	v_mul_f32_e32 v117, v85, v116
	v_fmac_f32_e32 v117, v86, v60
	v_add_f32_e32 v115, v115, v117
	buffer_load_dword v117, off, s[0:3], 0 offset:224
	buffer_load_dword v118, off, s[0:3], 0 offset:228
	v_mul_f32_e32 v62, v86, v116
	v_fma_f32 v60, v85, v60, -v62
	v_add_f32_e32 v60, v61, v60
	s_waitcnt vmcnt(0)
	v_mul_f32_e32 v61, v88, v118
	v_mul_f32_e32 v119, v87, v118
	v_fma_f32 v61, v87, v117, -v61
	v_fmac_f32_e32 v119, v88, v117
	v_add_f32_e32 v60, v60, v61
	v_add_f32_e32 v115, v115, v119
	v_sub_f32_e32 v60, v89, v60
	v_sub_f32_e32 v61, v90, v115
	buffer_store_dword v60, off, s[0:3], 0 offset:112
	buffer_store_dword v61, off, s[0:3], 0 offset:116
	s_and_saveexec_b64 s[4:5], vcc
	s_cbranch_execz .LBB28_161
; %bb.160:
	buffer_load_dword v60, off, s[0:3], 0 offset:104
	buffer_load_dword v61, off, s[0:3], 0 offset:108
	v_mov_b32_e32 v62, 0
	buffer_store_dword v62, off, s[0:3], 0 offset:104
	buffer_store_dword v62, off, s[0:3], 0 offset:108
	s_waitcnt vmcnt(2)
	ds_write_b64 v59, v[60:61]
.LBB28_161:
	s_or_b64 exec, exec, s[4:5]
	v_mov_b32_e32 v60, 0
	s_waitcnt lgkmcnt(0)
	; wave barrier
	ds_read_b128 v[61:64], v60 offset:352
	ds_read_b128 v[65:68], v60 offset:368
	;; [unrolled: 1-line block ×4, first 2 shown]
	buffer_load_dword v91, off, s[0:3], 0 offset:104
	buffer_load_dword v92, off, s[0:3], 0 offset:108
	;; [unrolled: 1-line block ×18, first 2 shown]
	v_cmp_lt_u32_e32 vcc, 12, v0
	s_waitcnt vmcnt(14) lgkmcnt(3)
	v_mul_f32_e32 v77, v61, v94
	v_fmac_f32_e32 v77, v62, v93
	s_waitcnt vmcnt(12)
	v_mul_f32_e32 v78, v63, v96
	v_add_f32_e32 v77, 0, v77
	v_fmac_f32_e32 v78, v64, v95
	v_add_f32_e32 v77, v77, v78
	s_waitcnt vmcnt(10) lgkmcnt(2)
	v_mul_f32_e32 v78, v65, v98
	v_fmac_f32_e32 v78, v66, v97
	v_add_f32_e32 v77, v77, v78
	s_waitcnt vmcnt(8)
	v_mul_f32_e32 v78, v67, v100
	v_fmac_f32_e32 v78, v68, v99
	v_add_f32_e32 v77, v77, v78
	s_waitcnt vmcnt(6) lgkmcnt(1)
	v_mul_f32_e32 v78, v69, v102
	v_fmac_f32_e32 v78, v70, v101
	v_add_f32_e32 v77, v77, v78
	s_waitcnt vmcnt(4)
	v_mul_f32_e32 v78, v71, v104
	;; [unrolled: 8-line block ×3, first 2 shown]
	v_fmac_f32_e32 v78, v76, v107
	v_add_f32_e32 v81, v77, v78
	ds_read_b128 v[77:80], v60 offset:416
	buffer_load_dword v109, off, s[0:3], 0 offset:176
	buffer_load_dword v110, off, s[0:3], 0 offset:180
	;; [unrolled: 1-line block ×4, first 2 shown]
	v_mul_f32_e32 v62, v62, v94
	v_fma_f32 v61, v61, v93, -v62
	v_mul_f32_e32 v62, v64, v96
	v_add_f32_e32 v61, 0, v61
	v_fma_f32 v62, v63, v95, -v62
	v_add_f32_e32 v61, v61, v62
	v_mul_f32_e32 v62, v66, v98
	v_fma_f32 v62, v65, v97, -v62
	v_add_f32_e32 v61, v61, v62
	v_mul_f32_e32 v62, v68, v100
	;; [unrolled: 3-line block ×6, first 2 shown]
	v_fma_f32 v62, v75, v107, -v62
	v_add_f32_e32 v61, v61, v62
	s_waitcnt vmcnt(2) lgkmcnt(0)
	v_mul_f32_e32 v82, v77, v110
	v_fmac_f32_e32 v82, v78, v109
	v_add_f32_e32 v81, v81, v82
	s_waitcnt vmcnt(0)
	v_mul_f32_e32 v82, v79, v112
	v_fmac_f32_e32 v82, v80, v111
	v_add_f32_e32 v85, v81, v82
	ds_read_b128 v[81:84], v60 offset:432
	buffer_load_dword v113, off, s[0:3], 0 offset:192
	buffer_load_dword v114, off, s[0:3], 0 offset:196
	;; [unrolled: 1-line block ×4, first 2 shown]
	v_mul_f32_e32 v62, v78, v110
	v_fma_f32 v62, v77, v109, -v62
	v_add_f32_e32 v61, v61, v62
	v_mul_f32_e32 v62, v80, v112
	v_fma_f32 v62, v79, v111, -v62
	v_add_f32_e32 v61, v61, v62
	s_waitcnt vmcnt(2) lgkmcnt(0)
	v_mul_f32_e32 v86, v81, v114
	v_fmac_f32_e32 v86, v82, v113
	v_add_f32_e32 v85, v85, v86
	s_waitcnt vmcnt(0)
	v_mul_f32_e32 v86, v83, v116
	v_fmac_f32_e32 v86, v84, v115
	v_add_f32_e32 v89, v85, v86
	ds_read_b128 v[85:88], v60 offset:448
	buffer_load_dword v117, off, s[0:3], 0 offset:208
	buffer_load_dword v118, off, s[0:3], 0 offset:212
	;; [unrolled: 1-line block ×4, first 2 shown]
	v_mul_f32_e32 v62, v82, v114
	v_fma_f32 v62, v81, v113, -v62
	v_add_f32_e32 v61, v61, v62
	v_mul_f32_e32 v62, v84, v116
	v_fma_f32 v62, v83, v115, -v62
	v_add_f32_e32 v61, v61, v62
	s_waitcnt vmcnt(2) lgkmcnt(0)
	v_mul_f32_e32 v90, v85, v118
	v_fmac_f32_e32 v90, v86, v117
	v_add_f32_e32 v89, v89, v90
	s_waitcnt vmcnt(0)
	v_mul_f32_e32 v90, v87, v120
	v_fmac_f32_e32 v90, v88, v119
	v_add_f32_e32 v121, v89, v90
	ds_read_b64 v[89:90], v60 offset:464
	buffer_load_dword v122, off, s[0:3], 0 offset:224
	buffer_load_dword v123, off, s[0:3], 0 offset:228
	v_mul_f32_e32 v62, v86, v118
	v_fma_f32 v62, v85, v117, -v62
	v_add_f32_e32 v61, v61, v62
	v_mul_f32_e32 v62, v88, v120
	v_fma_f32 v62, v87, v119, -v62
	v_add_f32_e32 v61, v61, v62
	s_waitcnt vmcnt(0) lgkmcnt(0)
	v_mul_f32_e32 v62, v90, v123
	v_mul_f32_e32 v124, v89, v123
	v_fma_f32 v62, v89, v122, -v62
	v_fmac_f32_e32 v124, v90, v122
	v_add_f32_e32 v61, v61, v62
	v_add_f32_e32 v121, v121, v124
	v_sub_f32_e32 v61, v91, v61
	v_sub_f32_e32 v62, v92, v121
	buffer_store_dword v61, off, s[0:3], 0 offset:104
	buffer_store_dword v62, off, s[0:3], 0 offset:108
	s_and_saveexec_b64 s[4:5], vcc
	s_cbranch_execz .LBB28_163
; %bb.162:
	buffer_load_dword v61, off, s[0:3], 0 offset:96
	buffer_load_dword v62, off, s[0:3], 0 offset:100
	s_waitcnt vmcnt(0)
	ds_write_b64 v59, v[61:62]
	buffer_store_dword v60, off, s[0:3], 0 offset:96
	buffer_store_dword v60, off, s[0:3], 0 offset:100
.LBB28_163:
	s_or_b64 exec, exec, s[4:5]
	s_waitcnt lgkmcnt(0)
	; wave barrier
	buffer_load_dword v93, off, s[0:3], 0 offset:108
	buffer_load_dword v94, off, s[0:3], 0 offset:116
	buffer_load_dword v95, off, s[0:3], 0 offset:124
	buffer_load_dword v96, off, s[0:3], 0 offset:132
	buffer_load_dword v97, off, s[0:3], 0 offset:140
	buffer_load_dword v98, off, s[0:3], 0 offset:148
	buffer_load_dword v99, off, s[0:3], 0 offset:156
	buffer_load_dword v100, off, s[0:3], 0 offset:164
	buffer_load_dword v101, off, s[0:3], 0 offset:172
	buffer_load_dword v102, off, s[0:3], 0 offset:180
	buffer_load_dword v103, off, s[0:3], 0 offset:188
	buffer_load_dword v104, off, s[0:3], 0 offset:196
	buffer_load_dword v105, off, s[0:3], 0 offset:204
	buffer_load_dword v106, off, s[0:3], 0 offset:212
	buffer_load_dword v107, off, s[0:3], 0 offset:220
	buffer_load_dword v108, off, s[0:3], 0 offset:228
	buffer_load_dword v109, off, s[0:3], 0 offset:104
	buffer_load_dword v110, off, s[0:3], 0 offset:112
	buffer_load_dword v111, off, s[0:3], 0 offset:120
	buffer_load_dword v112, off, s[0:3], 0 offset:128
	buffer_load_dword v113, off, s[0:3], 0 offset:136
	buffer_load_dword v114, off, s[0:3], 0 offset:144
	buffer_load_dword v115, off, s[0:3], 0 offset:152
	buffer_load_dword v116, off, s[0:3], 0 offset:160
	buffer_load_dword v117, off, s[0:3], 0 offset:168
	buffer_load_dword v118, off, s[0:3], 0 offset:176
	buffer_load_dword v119, off, s[0:3], 0 offset:184
	buffer_load_dword v120, off, s[0:3], 0 offset:192
	buffer_load_dword v121, off, s[0:3], 0 offset:200
	buffer_load_dword v122, off, s[0:3], 0 offset:208
	buffer_load_dword v123, off, s[0:3], 0 offset:216
	buffer_load_dword v124, off, s[0:3], 0 offset:224
	buffer_load_dword v125, off, s[0:3], 0 offset:96
	buffer_load_dword v126, off, s[0:3], 0 offset:100
	ds_read2_b64 v[61:64], v60 offset0:43 offset1:44
	ds_read2_b64 v[65:68], v60 offset0:45 offset1:46
	;; [unrolled: 1-line block ×8, first 2 shown]
	v_cmp_lt_u32_e32 vcc, 11, v0
	s_waitcnt vmcnt(33) lgkmcnt(7)
	v_mul_f32_e32 v60, v61, v93
	v_mul_f32_e32 v93, v62, v93
	s_waitcnt vmcnt(32)
	v_mul_f32_e32 v127, v63, v94
	v_mul_f32_e32 v94, v64, v94
	s_waitcnt vmcnt(31) lgkmcnt(6)
	v_mul_f32_e32 v128, v65, v95
	s_waitcnt vmcnt(30)
	v_mul_f32_e32 v129, v67, v96
	s_waitcnt vmcnt(29) lgkmcnt(5)
	v_mul_f32_e32 v130, v69, v97
	s_waitcnt vmcnt(28)
	;; [unrolled: 4-line block ×6, first 2 shown]
	v_mul_f32_e32 v139, v87, v106
	s_waitcnt vmcnt(17)
	v_fma_f32 v61, v61, v109, -v93
	v_fmac_f32_e32 v60, v62, v109
	s_waitcnt vmcnt(16)
	v_fma_f32 v62, v63, v110, -v94
	v_add_f32_e32 v61, 0, v61
	v_add_f32_e32 v61, v61, v62
	v_mul_f32_e32 v62, v66, v95
	s_waitcnt vmcnt(15)
	v_fma_f32 v62, v65, v111, -v62
	v_add_f32_e32 v61, v61, v62
	v_mul_f32_e32 v62, v68, v96
	s_waitcnt vmcnt(14)
	v_fma_f32 v62, v67, v112, -v62
	;; [unrolled: 4-line block ×7, first 2 shown]
	v_fmac_f32_e32 v127, v64, v110
	v_add_f32_e32 v60, 0, v60
	v_add_f32_e32 v61, v61, v62
	v_mul_f32_e32 v62, v80, v102
	v_fmac_f32_e32 v128, v66, v111
	v_add_f32_e32 v60, v60, v127
	s_waitcnt vmcnt(8)
	v_fma_f32 v62, v79, v118, -v62
	v_fmac_f32_e32 v129, v68, v112
	v_add_f32_e32 v60, v60, v128
	v_add_f32_e32 v61, v61, v62
	v_mul_f32_e32 v62, v82, v103
	v_fmac_f32_e32 v130, v70, v113
	v_add_f32_e32 v60, v60, v129
	s_waitcnt vmcnt(7)
	v_fma_f32 v62, v81, v119, -v62
	v_fmac_f32_e32 v131, v72, v114
	v_add_f32_e32 v60, v60, v130
	v_add_f32_e32 v61, v61, v62
	v_mul_f32_e32 v62, v84, v104
	v_fmac_f32_e32 v132, v74, v115
	v_add_f32_e32 v60, v60, v131
	s_waitcnt vmcnt(6)
	v_fma_f32 v62, v83, v120, -v62
	v_fmac_f32_e32 v133, v76, v116
	v_add_f32_e32 v60, v60, v132
	v_add_f32_e32 v61, v61, v62
	v_mul_f32_e32 v62, v86, v105
	v_fmac_f32_e32 v134, v78, v117
	v_add_f32_e32 v60, v60, v133
	s_waitcnt vmcnt(5)
	v_fma_f32 v62, v85, v121, -v62
	v_fmac_f32_e32 v135, v80, v118
	v_add_f32_e32 v60, v60, v134
	v_add_f32_e32 v61, v61, v62
	v_mul_f32_e32 v62, v88, v106
	v_fmac_f32_e32 v136, v82, v119
	v_add_f32_e32 v60, v60, v135
	s_waitcnt vmcnt(4)
	v_fma_f32 v62, v87, v122, -v62
	v_fmac_f32_e32 v137, v84, v120
	v_add_f32_e32 v60, v60, v136
	v_add_f32_e32 v61, v61, v62
	s_waitcnt lgkmcnt(0)
	v_mul_f32_e32 v62, v90, v107
	v_fmac_f32_e32 v138, v86, v121
	v_add_f32_e32 v60, v60, v137
	s_waitcnt vmcnt(3)
	v_fma_f32 v62, v89, v123, -v62
	v_mul_f32_e32 v140, v89, v107
	v_fmac_f32_e32 v139, v88, v122
	v_add_f32_e32 v60, v60, v138
	v_add_f32_e32 v61, v61, v62
	v_mul_f32_e32 v62, v92, v108
	v_mul_f32_e32 v141, v91, v108
	v_fmac_f32_e32 v140, v90, v123
	v_add_f32_e32 v60, v60, v139
	s_waitcnt vmcnt(2)
	v_fma_f32 v62, v91, v124, -v62
	v_fmac_f32_e32 v141, v92, v124
	v_add_f32_e32 v60, v60, v140
	v_add_f32_e32 v61, v61, v62
	;; [unrolled: 1-line block ×3, first 2 shown]
	s_waitcnt vmcnt(1)
	v_sub_f32_e32 v61, v125, v61
	s_waitcnt vmcnt(0)
	v_sub_f32_e32 v60, v126, v60
	buffer_store_dword v61, off, s[0:3], 0 offset:96
	buffer_store_dword v60, off, s[0:3], 0 offset:100
	s_and_saveexec_b64 s[4:5], vcc
	s_cbranch_execz .LBB28_165
; %bb.164:
	buffer_load_dword v60, off, s[0:3], 0 offset:88
	buffer_load_dword v61, off, s[0:3], 0 offset:92
	v_mov_b32_e32 v62, 0
	buffer_store_dword v62, off, s[0:3], 0 offset:88
	buffer_store_dword v62, off, s[0:3], 0 offset:92
	s_waitcnt vmcnt(2)
	ds_write_b64 v59, v[60:61]
.LBB28_165:
	s_or_b64 exec, exec, s[4:5]
	s_waitcnt lgkmcnt(0)
	; wave barrier
	buffer_load_dword v95, off, s[0:3], 0 offset:100
	buffer_load_dword v96, off, s[0:3], 0 offset:108
	;; [unrolled: 1-line block ×36, first 2 shown]
	v_mov_b32_e32 v60, 0
	ds_read_b128 v[61:64], v60 offset:336
	ds_read_b128 v[65:68], v60 offset:352
	;; [unrolled: 1-line block ×8, first 2 shown]
	ds_read_b64 v[93:94], v60 offset:464
	v_cmp_lt_u32_e32 vcc, 10, v0
	s_waitcnt vmcnt(35) lgkmcnt(8)
	v_mul_f32_e32 v131, v61, v95
	s_waitcnt vmcnt(34)
	v_mul_f32_e32 v132, v63, v96
	s_waitcnt vmcnt(33) lgkmcnt(7)
	v_mul_f32_e32 v133, v65, v97
	s_waitcnt vmcnt(32)
	v_mul_f32_e32 v134, v67, v98
	;; [unrolled: 4-line block ×8, first 2 shown]
	s_waitcnt vmcnt(19) lgkmcnt(0)
	v_mul_f32_e32 v147, v93, v111
	s_waitcnt vmcnt(18)
	v_fmac_f32_e32 v131, v62, v112
	v_mul_f32_e32 v62, v62, v95
	v_fma_f32 v61, v61, v112, -v62
	v_mul_f32_e32 v62, v64, v96
	v_add_f32_e32 v61, 0, v61
	s_waitcnt vmcnt(17)
	v_fma_f32 v62, v63, v113, -v62
	v_add_f32_e32 v61, v61, v62
	v_mul_f32_e32 v62, v66, v97
	s_waitcnt vmcnt(16)
	v_fma_f32 v62, v65, v114, -v62
	v_add_f32_e32 v61, v61, v62
	v_mul_f32_e32 v62, v68, v98
	;; [unrolled: 4-line block ×8, first 2 shown]
	v_fmac_f32_e32 v132, v64, v113
	v_add_f32_e32 v131, 0, v131
	s_waitcnt vmcnt(9)
	v_fma_f32 v62, v79, v121, -v62
	v_fmac_f32_e32 v133, v66, v114
	v_add_f32_e32 v131, v131, v132
	v_add_f32_e32 v61, v61, v62
	v_mul_f32_e32 v62, v82, v105
	v_fmac_f32_e32 v134, v68, v115
	v_add_f32_e32 v131, v131, v133
	s_waitcnt vmcnt(8)
	v_fma_f32 v62, v81, v122, -v62
	v_fmac_f32_e32 v135, v70, v116
	v_add_f32_e32 v131, v131, v134
	v_add_f32_e32 v61, v61, v62
	v_mul_f32_e32 v62, v84, v106
	;; [unrolled: 8-line block ×7, first 2 shown]
	v_fmac_f32_e32 v146, v92, v127
	v_add_f32_e32 v131, v131, v145
	s_waitcnt vmcnt(2)
	v_fma_f32 v62, v93, v128, -v62
	v_fmac_f32_e32 v147, v94, v128
	v_add_f32_e32 v131, v131, v146
	v_add_f32_e32 v61, v61, v62
	;; [unrolled: 1-line block ×3, first 2 shown]
	s_waitcnt vmcnt(1)
	v_sub_f32_e32 v61, v129, v61
	s_waitcnt vmcnt(0)
	v_sub_f32_e32 v62, v130, v131
	buffer_store_dword v61, off, s[0:3], 0 offset:88
	buffer_store_dword v62, off, s[0:3], 0 offset:92
	s_and_saveexec_b64 s[4:5], vcc
	s_cbranch_execz .LBB28_167
; %bb.166:
	buffer_load_dword v61, off, s[0:3], 0 offset:80
	buffer_load_dword v62, off, s[0:3], 0 offset:84
	s_waitcnt vmcnt(0)
	ds_write_b64 v59, v[61:62]
	buffer_store_dword v60, off, s[0:3], 0 offset:80
	buffer_store_dword v60, off, s[0:3], 0 offset:84
.LBB28_167:
	s_or_b64 exec, exec, s[4:5]
	s_waitcnt lgkmcnt(0)
	; wave barrier
	buffer_load_dword v97, off, s[0:3], 0 offset:92
	buffer_load_dword v98, off, s[0:3], 0 offset:100
	;; [unrolled: 1-line block ×38, first 2 shown]
	ds_read2_b64 v[61:64], v60 offset0:41 offset1:42
	ds_read2_b64 v[65:68], v60 offset0:43 offset1:44
	;; [unrolled: 1-line block ×9, first 2 shown]
	v_cmp_lt_u32_e32 vcc, 9, v0
	s_waitcnt vmcnt(37) lgkmcnt(8)
	v_mul_f32_e32 v60, v61, v97
	s_waitcnt vmcnt(36)
	v_mul_f32_e32 v135, v63, v98
	s_waitcnt vmcnt(35) lgkmcnt(7)
	v_mul_f32_e32 v136, v65, v99
	s_waitcnt vmcnt(34)
	v_mul_f32_e32 v137, v67, v100
	;; [unrolled: 4-line block ×8, first 2 shown]
	s_waitcnt vmcnt(21) lgkmcnt(0)
	v_mul_f32_e32 v150, v93, v113
	s_waitcnt vmcnt(20)
	v_fmac_f32_e32 v60, v62, v114
	v_mul_f32_e32 v62, v62, v97
	v_fma_f32 v61, v61, v114, -v62
	v_mul_f32_e32 v62, v64, v98
	v_add_f32_e32 v61, 0, v61
	s_waitcnt vmcnt(19)
	v_fma_f32 v62, v63, v115, -v62
	v_add_f32_e32 v61, v61, v62
	v_mul_f32_e32 v62, v66, v99
	s_waitcnt vmcnt(18)
	v_fma_f32 v62, v65, v116, -v62
	v_add_f32_e32 v61, v61, v62
	v_mul_f32_e32 v62, v68, v100
	;; [unrolled: 4-line block ×8, first 2 shown]
	s_waitcnt vmcnt(11)
	v_fma_f32 v62, v79, v123, -v62
	v_fmac_f32_e32 v135, v64, v115
	v_add_f32_e32 v60, 0, v60
	v_add_f32_e32 v61, v61, v62
	v_mul_f32_e32 v62, v82, v107
	v_fmac_f32_e32 v136, v66, v116
	v_add_f32_e32 v60, v60, v135
	s_waitcnt vmcnt(10)
	v_fma_f32 v62, v81, v124, -v62
	v_fmac_f32_e32 v137, v68, v117
	v_add_f32_e32 v60, v60, v136
	v_add_f32_e32 v61, v61, v62
	v_mul_f32_e32 v62, v84, v108
	v_fmac_f32_e32 v138, v70, v118
	v_add_f32_e32 v60, v60, v137
	;; [unrolled: 8-line block ×7, first 2 shown]
	s_waitcnt vmcnt(4)
	v_fma_f32 v62, v93, v130, -v62
	v_fmac_f32_e32 v149, v92, v129
	v_add_f32_e32 v60, v60, v148
	v_add_f32_e32 v61, v61, v62
	s_waitcnt vmcnt(3)
	v_mul_f32_e32 v62, v96, v131
	v_add_f32_e32 v60, v60, v149
	v_fmac_f32_e32 v150, v94, v130
	v_mul_f32_e32 v135, v95, v131
	s_waitcnt vmcnt(2)
	v_fma_f32 v62, v95, v132, -v62
	v_add_f32_e32 v60, v60, v150
	v_fmac_f32_e32 v135, v96, v132
	v_add_f32_e32 v61, v61, v62
	v_add_f32_e32 v60, v60, v135
	s_waitcnt vmcnt(1)
	v_sub_f32_e32 v61, v133, v61
	s_waitcnt vmcnt(0)
	v_sub_f32_e32 v60, v134, v60
	buffer_store_dword v61, off, s[0:3], 0 offset:80
	buffer_store_dword v60, off, s[0:3], 0 offset:84
	s_and_saveexec_b64 s[4:5], vcc
	s_cbranch_execz .LBB28_169
; %bb.168:
	buffer_load_dword v60, off, s[0:3], 0 offset:72
	buffer_load_dword v61, off, s[0:3], 0 offset:76
	v_mov_b32_e32 v62, 0
	buffer_store_dword v62, off, s[0:3], 0 offset:72
	buffer_store_dword v62, off, s[0:3], 0 offset:76
	s_waitcnt vmcnt(2)
	ds_write_b64 v59, v[60:61]
.LBB28_169:
	s_or_b64 exec, exec, s[4:5]
	s_waitcnt lgkmcnt(0)
	; wave barrier
	buffer_load_dword v99, off, s[0:3], 0 offset:84
	buffer_load_dword v100, off, s[0:3], 0 offset:92
	;; [unrolled: 1-line block ×40, first 2 shown]
	v_mov_b32_e32 v60, 0
	ds_read_b128 v[61:64], v60 offset:320
	ds_read_b128 v[65:68], v60 offset:336
	;; [unrolled: 1-line block ×9, first 2 shown]
	v_cmp_lt_u32_e32 vcc, 8, v0
	s_waitcnt vmcnt(39) lgkmcnt(8)
	v_mul_f32_e32 v97, v61, v99
	s_waitcnt vmcnt(38)
	v_mul_f32_e32 v98, v63, v100
	s_waitcnt vmcnt(37) lgkmcnt(7)
	v_mul_f32_e32 v139, v65, v101
	s_waitcnt vmcnt(36)
	v_mul_f32_e32 v140, v67, v102
	;; [unrolled: 4-line block ×7, first 2 shown]
	s_waitcnt vmcnt(25) lgkmcnt(1)
	v_mul_f32_e32 v151, v89, v113
	s_waitcnt vmcnt(24)
	v_fmac_f32_e32 v97, v62, v114
	v_mul_f32_e32 v62, v62, v99
	v_fma_f32 v61, v61, v114, -v62
	v_mul_f32_e32 v62, v64, v100
	v_add_f32_e32 v61, 0, v61
	s_waitcnt vmcnt(23)
	v_fma_f32 v62, v63, v115, -v62
	v_add_f32_e32 v61, v61, v62
	v_mul_f32_e32 v62, v66, v101
	s_waitcnt vmcnt(22)
	v_fma_f32 v62, v65, v116, -v62
	v_add_f32_e32 v61, v61, v62
	v_mul_f32_e32 v62, v68, v102
	;; [unrolled: 4-line block ×6, first 2 shown]
	s_waitcnt vmcnt(17)
	v_fma_f32 v62, v75, v121, -v62
	v_fmac_f32_e32 v98, v64, v115
	v_add_f32_e32 v97, 0, v97
	v_add_f32_e32 v61, v61, v62
	v_mul_f32_e32 v62, v78, v107
	v_fmac_f32_e32 v139, v66, v116
	v_add_f32_e32 v97, v97, v98
	s_waitcnt vmcnt(16)
	v_fma_f32 v62, v77, v122, -v62
	v_fmac_f32_e32 v140, v68, v117
	v_add_f32_e32 v97, v97, v139
	v_add_f32_e32 v61, v61, v62
	v_mul_f32_e32 v62, v80, v108
	v_fmac_f32_e32 v141, v70, v118
	v_add_f32_e32 v97, v97, v140
	;; [unrolled: 8-line block ×6, first 2 shown]
	s_waitcnt vmcnt(11)
	v_fma_f32 v62, v87, v127, -v62
	v_fmac_f32_e32 v150, v88, v127
	v_add_f32_e32 v97, v97, v149
	v_add_f32_e32 v61, v61, v62
	v_mul_f32_e32 v62, v90, v113
	s_waitcnt vmcnt(10)
	v_fmac_f32_e32 v151, v90, v128
	v_add_f32_e32 v97, v97, v150
	s_waitcnt vmcnt(9)
	v_mul_f32_e32 v98, v91, v129
	v_fma_f32 v62, v89, v128, -v62
	v_add_f32_e32 v97, v97, v151
	s_waitcnt vmcnt(8)
	v_fmac_f32_e32 v98, v92, v130
	v_add_f32_e32 v61, v61, v62
	v_mul_f32_e32 v62, v92, v129
	v_add_f32_e32 v139, v97, v98
	ds_read_b64 v[97:98], v60 offset:464
	v_fma_f32 v62, v91, v130, -v62
	v_add_f32_e32 v61, v61, v62
	s_waitcnt vmcnt(7) lgkmcnt(1)
	v_mul_f32_e32 v62, v94, v131
	v_mul_f32_e32 v140, v93, v131
	s_waitcnt vmcnt(6)
	v_fma_f32 v62, v93, v132, -v62
	v_fmac_f32_e32 v140, v94, v132
	v_add_f32_e32 v61, v61, v62
	s_waitcnt vmcnt(5)
	v_mul_f32_e32 v62, v96, v133
	v_add_f32_e32 v139, v139, v140
	v_mul_f32_e32 v140, v95, v133
	s_waitcnt vmcnt(4)
	v_fma_f32 v62, v95, v134, -v62
	v_fmac_f32_e32 v140, v96, v134
	v_add_f32_e32 v61, v61, v62
	s_waitcnt vmcnt(3) lgkmcnt(0)
	v_mul_f32_e32 v62, v98, v135
	v_add_f32_e32 v139, v139, v140
	v_mul_f32_e32 v140, v97, v135
	s_waitcnt vmcnt(2)
	v_fma_f32 v62, v97, v136, -v62
	v_fmac_f32_e32 v140, v98, v136
	v_add_f32_e32 v61, v61, v62
	v_add_f32_e32 v139, v139, v140
	s_waitcnt vmcnt(1)
	v_sub_f32_e32 v61, v137, v61
	s_waitcnt vmcnt(0)
	v_sub_f32_e32 v62, v138, v139
	buffer_store_dword v61, off, s[0:3], 0 offset:72
	buffer_store_dword v62, off, s[0:3], 0 offset:76
	s_and_saveexec_b64 s[4:5], vcc
	s_cbranch_execz .LBB28_171
; %bb.170:
	buffer_load_dword v61, off, s[0:3], 0 offset:64
	buffer_load_dword v62, off, s[0:3], 0 offset:68
	s_waitcnt vmcnt(0)
	ds_write_b64 v59, v[61:62]
	buffer_store_dword v60, off, s[0:3], 0 offset:64
	buffer_store_dword v60, off, s[0:3], 0 offset:68
.LBB28_171:
	s_or_b64 exec, exec, s[4:5]
	s_waitcnt lgkmcnt(0)
	; wave barrier
	buffer_load_dword v101, off, s[0:3], 0 offset:76
	buffer_load_dword v102, off, s[0:3], 0 offset:84
	;; [unrolled: 1-line block ×42, first 2 shown]
	ds_read2_b64 v[61:64], v60 offset0:39 offset1:40
	ds_read2_b64 v[65:68], v60 offset0:41 offset1:42
	;; [unrolled: 1-line block ×8, first 2 shown]
	v_cmp_lt_u32_e32 vcc, 7, v0
	s_waitcnt vmcnt(41) lgkmcnt(7)
	v_mul_f32_e32 v93, v61, v101
	s_waitcnt vmcnt(40)
	v_mul_f32_e32 v94, v63, v102
	s_waitcnt vmcnt(39) lgkmcnt(6)
	v_mul_f32_e32 v95, v65, v103
	s_waitcnt vmcnt(38)
	v_mul_f32_e32 v96, v67, v104
	;; [unrolled: 4-line block ×7, first 2 shown]
	s_waitcnt vmcnt(27) lgkmcnt(0)
	v_mul_f32_e32 v149, v89, v115
	s_waitcnt vmcnt(26)
	v_fmac_f32_e32 v93, v62, v116
	v_mul_f32_e32 v62, v62, v101
	v_fma_f32 v61, v61, v116, -v62
	v_mul_f32_e32 v62, v64, v102
	v_add_f32_e32 v61, 0, v61
	s_waitcnt vmcnt(25)
	v_fma_f32 v62, v63, v117, -v62
	v_add_f32_e32 v61, v61, v62
	v_mul_f32_e32 v62, v66, v103
	s_waitcnt vmcnt(24)
	v_fma_f32 v62, v65, v118, -v62
	v_add_f32_e32 v61, v61, v62
	v_mul_f32_e32 v62, v68, v104
	;; [unrolled: 4-line block ×5, first 2 shown]
	v_fmac_f32_e32 v94, v64, v117
	v_add_f32_e32 v93, 0, v93
	s_waitcnt vmcnt(20)
	v_fma_f32 v62, v73, v122, -v62
	v_fmac_f32_e32 v95, v66, v118
	v_add_f32_e32 v93, v93, v94
	v_add_f32_e32 v61, v61, v62
	v_mul_f32_e32 v62, v76, v108
	v_fmac_f32_e32 v96, v68, v119
	v_add_f32_e32 v93, v93, v95
	s_waitcnt vmcnt(19)
	v_fma_f32 v62, v75, v123, -v62
	v_fmac_f32_e32 v97, v70, v120
	v_add_f32_e32 v93, v93, v96
	v_add_f32_e32 v61, v61, v62
	v_mul_f32_e32 v62, v78, v109
	;; [unrolled: 8-line block ×5, first 2 shown]
	s_waitcnt vmcnt(15)
	v_fmac_f32_e32 v146, v84, v127
	v_add_f32_e32 v93, v93, v145
	v_fma_f32 v62, v83, v127, -v62
	s_waitcnt vmcnt(14)
	v_fmac_f32_e32 v147, v86, v128
	v_add_f32_e32 v93, v93, v146
	v_add_f32_e32 v61, v61, v62
	v_mul_f32_e32 v62, v86, v113
	s_waitcnt vmcnt(13)
	v_fmac_f32_e32 v148, v88, v129
	v_add_f32_e32 v93, v93, v147
	v_fma_f32 v62, v85, v128, -v62
	s_waitcnt vmcnt(12)
	v_fmac_f32_e32 v149, v90, v130
	v_add_f32_e32 v93, v93, v148
	v_add_f32_e32 v61, v61, v62
	v_mul_f32_e32 v62, v88, v114
	v_add_f32_e32 v97, v93, v149
	ds_read2_b64 v[93:96], v60 offset0:55 offset1:56
	v_fma_f32 v62, v87, v129, -v62
	v_add_f32_e32 v61, v61, v62
	v_mul_f32_e32 v62, v90, v115
	s_waitcnt vmcnt(11)
	v_mul_f32_e32 v98, v91, v131
	v_fma_f32 v62, v89, v130, -v62
	s_waitcnt vmcnt(10)
	v_fmac_f32_e32 v98, v92, v132
	v_add_f32_e32 v61, v61, v62
	v_mul_f32_e32 v62, v92, v131
	v_add_f32_e32 v143, v97, v98
	ds_read2_b64 v[97:100], v60 offset0:57 offset1:58
	v_fma_f32 v62, v91, v132, -v62
	v_add_f32_e32 v61, v61, v62
	s_waitcnt vmcnt(9) lgkmcnt(1)
	v_mul_f32_e32 v62, v94, v133
	v_mul_f32_e32 v60, v93, v133
	s_waitcnt vmcnt(8)
	v_fma_f32 v62, v93, v134, -v62
	v_fmac_f32_e32 v60, v94, v134
	v_add_f32_e32 v61, v61, v62
	s_waitcnt vmcnt(7)
	v_mul_f32_e32 v62, v96, v135
	v_add_f32_e32 v60, v143, v60
	v_mul_f32_e32 v143, v95, v135
	s_waitcnt vmcnt(6)
	v_fma_f32 v62, v95, v136, -v62
	v_fmac_f32_e32 v143, v96, v136
	v_add_f32_e32 v61, v61, v62
	s_waitcnt vmcnt(5) lgkmcnt(0)
	v_mul_f32_e32 v62, v98, v137
	v_add_f32_e32 v60, v60, v143
	v_mul_f32_e32 v143, v97, v137
	s_waitcnt vmcnt(4)
	v_fma_f32 v62, v97, v138, -v62
	v_fmac_f32_e32 v143, v98, v138
	v_add_f32_e32 v61, v61, v62
	s_waitcnt vmcnt(3)
	v_mul_f32_e32 v62, v100, v139
	v_add_f32_e32 v60, v60, v143
	v_mul_f32_e32 v143, v99, v139
	s_waitcnt vmcnt(2)
	v_fma_f32 v62, v99, v140, -v62
	v_fmac_f32_e32 v143, v100, v140
	v_add_f32_e32 v61, v61, v62
	v_add_f32_e32 v60, v60, v143
	s_waitcnt vmcnt(1)
	v_sub_f32_e32 v61, v141, v61
	s_waitcnt vmcnt(0)
	v_sub_f32_e32 v60, v142, v60
	buffer_store_dword v61, off, s[0:3], 0 offset:64
	buffer_store_dword v60, off, s[0:3], 0 offset:68
	s_and_saveexec_b64 s[4:5], vcc
	s_cbranch_execz .LBB28_173
; %bb.172:
	buffer_load_dword v60, off, s[0:3], 0 offset:56
	buffer_load_dword v61, off, s[0:3], 0 offset:60
	v_mov_b32_e32 v62, 0
	buffer_store_dword v62, off, s[0:3], 0 offset:56
	buffer_store_dword v62, off, s[0:3], 0 offset:60
	s_waitcnt vmcnt(2)
	ds_write_b64 v59, v[60:61]
.LBB28_173:
	s_or_b64 exec, exec, s[4:5]
	s_waitcnt lgkmcnt(0)
	; wave barrier
	buffer_load_dword v103, off, s[0:3], 0 offset:68
	buffer_load_dword v104, off, s[0:3], 0 offset:76
	;; [unrolled: 1-line block ×44, first 2 shown]
	v_mov_b32_e32 v60, 0
	ds_read_b128 v[61:64], v60 offset:304
	ds_read_b128 v[65:68], v60 offset:320
	;; [unrolled: 1-line block ×8, first 2 shown]
	v_cmp_lt_u32_e32 vcc, 6, v0
	s_waitcnt vmcnt(43) lgkmcnt(7)
	v_mul_f32_e32 v93, v61, v103
	s_waitcnt vmcnt(42)
	v_mul_f32_e32 v94, v63, v104
	s_waitcnt vmcnt(41) lgkmcnt(6)
	v_mul_f32_e32 v95, v65, v105
	s_waitcnt vmcnt(40)
	v_mul_f32_e32 v96, v67, v106
	;; [unrolled: 4-line block ×7, first 2 shown]
	s_waitcnt vmcnt(29)
	v_fmac_f32_e32 v93, v62, v117
	v_mul_f32_e32 v62, v62, v103
	v_fma_f32 v61, v61, v117, -v62
	v_mul_f32_e32 v62, v64, v104
	v_add_f32_e32 v61, 0, v61
	s_waitcnt vmcnt(28)
	v_fma_f32 v62, v63, v118, -v62
	v_add_f32_e32 v61, v61, v62
	v_mul_f32_e32 v62, v66, v105
	s_waitcnt vmcnt(27)
	v_fma_f32 v62, v65, v119, -v62
	v_add_f32_e32 v61, v61, v62
	v_mul_f32_e32 v62, v68, v106
	;; [unrolled: 4-line block ×4, first 2 shown]
	s_waitcnt vmcnt(24)
	v_fma_f32 v62, v71, v122, -v62
	v_fmac_f32_e32 v94, v64, v118
	v_add_f32_e32 v93, 0, v93
	v_add_f32_e32 v61, v61, v62
	v_mul_f32_e32 v62, v74, v109
	v_fmac_f32_e32 v95, v66, v119
	v_add_f32_e32 v93, v93, v94
	s_waitcnt vmcnt(23)
	v_fma_f32 v62, v73, v123, -v62
	v_fmac_f32_e32 v96, v68, v120
	v_add_f32_e32 v93, v93, v95
	v_add_f32_e32 v61, v61, v62
	v_mul_f32_e32 v62, v76, v110
	v_fmac_f32_e32 v97, v70, v121
	v_add_f32_e32 v93, v93, v96
	;; [unrolled: 8-line block ×4, first 2 shown]
	s_waitcnt vmcnt(20)
	v_fma_f32 v62, v79, v126, -v62
	v_fmac_f32_e32 v102, v80, v126
	v_add_f32_e32 v93, v93, v101
	v_add_f32_e32 v61, v61, v62
	v_mul_f32_e32 v62, v82, v113
	s_waitcnt vmcnt(19)
	v_fmac_f32_e32 v147, v82, v127
	v_add_f32_e32 v93, v93, v102
	v_fma_f32 v62, v81, v127, -v62
	s_waitcnt vmcnt(18)
	v_fmac_f32_e32 v148, v84, v128
	v_add_f32_e32 v93, v93, v147
	v_add_f32_e32 v61, v61, v62
	v_mul_f32_e32 v62, v84, v114
	s_waitcnt vmcnt(17)
	v_fmac_f32_e32 v149, v86, v129
	v_add_f32_e32 v93, v93, v148
	v_fma_f32 v62, v83, v128, -v62
	v_add_f32_e32 v93, v93, v149
	s_waitcnt vmcnt(16)
	v_fmac_f32_e32 v150, v88, v130
	s_waitcnt vmcnt(15) lgkmcnt(0)
	v_mul_f32_e32 v94, v89, v131
	v_add_f32_e32 v61, v61, v62
	v_mul_f32_e32 v62, v86, v115
	v_add_f32_e32 v93, v93, v150
	s_waitcnt vmcnt(14)
	v_fmac_f32_e32 v94, v90, v132
	v_fma_f32 v62, v85, v129, -v62
	v_add_f32_e32 v97, v93, v94
	ds_read_b128 v[93:96], v60 offset:432
	v_add_f32_e32 v61, v61, v62
	v_mul_f32_e32 v62, v88, v116
	v_fma_f32 v62, v87, v130, -v62
	v_add_f32_e32 v61, v61, v62
	v_mul_f32_e32 v62, v90, v131
	s_waitcnt vmcnt(13)
	v_mul_f32_e32 v98, v91, v133
	v_fma_f32 v62, v89, v132, -v62
	s_waitcnt vmcnt(12)
	v_fmac_f32_e32 v98, v92, v134
	v_add_f32_e32 v61, v61, v62
	v_mul_f32_e32 v62, v92, v133
	v_add_f32_e32 v101, v97, v98
	ds_read_b128 v[97:100], v60 offset:448
	s_waitcnt vmcnt(11) lgkmcnt(1)
	v_mul_f32_e32 v102, v93, v135
	v_fma_f32 v62, v91, v134, -v62
	s_waitcnt vmcnt(10)
	v_fmac_f32_e32 v102, v94, v136
	v_add_f32_e32 v61, v61, v62
	v_mul_f32_e32 v62, v94, v135
	v_add_f32_e32 v101, v101, v102
	s_waitcnt vmcnt(9)
	v_mul_f32_e32 v102, v95, v137
	v_fma_f32 v62, v93, v136, -v62
	s_waitcnt vmcnt(8)
	v_fmac_f32_e32 v102, v96, v138
	v_add_f32_e32 v61, v61, v62
	v_mul_f32_e32 v62, v96, v137
	v_add_f32_e32 v147, v101, v102
	ds_read_b64 v[101:102], v60 offset:464
	v_fma_f32 v62, v95, v138, -v62
	v_add_f32_e32 v61, v61, v62
	s_waitcnt vmcnt(7) lgkmcnt(1)
	v_mul_f32_e32 v62, v98, v139
	v_mul_f32_e32 v148, v97, v139
	s_waitcnt vmcnt(6)
	v_fma_f32 v62, v97, v140, -v62
	v_fmac_f32_e32 v148, v98, v140
	v_add_f32_e32 v61, v61, v62
	s_waitcnt vmcnt(5)
	v_mul_f32_e32 v62, v100, v141
	v_add_f32_e32 v147, v147, v148
	v_mul_f32_e32 v148, v99, v141
	s_waitcnt vmcnt(4)
	v_fma_f32 v62, v99, v142, -v62
	v_fmac_f32_e32 v148, v100, v142
	v_add_f32_e32 v61, v61, v62
	s_waitcnt vmcnt(3) lgkmcnt(0)
	v_mul_f32_e32 v62, v102, v143
	v_add_f32_e32 v147, v147, v148
	v_mul_f32_e32 v148, v101, v143
	s_waitcnt vmcnt(2)
	v_fma_f32 v62, v101, v144, -v62
	v_fmac_f32_e32 v148, v102, v144
	v_add_f32_e32 v61, v61, v62
	v_add_f32_e32 v147, v147, v148
	s_waitcnt vmcnt(1)
	v_sub_f32_e32 v61, v145, v61
	s_waitcnt vmcnt(0)
	v_sub_f32_e32 v62, v146, v147
	buffer_store_dword v61, off, s[0:3], 0 offset:56
	buffer_store_dword v62, off, s[0:3], 0 offset:60
	s_and_saveexec_b64 s[4:5], vcc
	s_cbranch_execz .LBB28_175
; %bb.174:
	buffer_load_dword v61, off, s[0:3], 0 offset:48
	buffer_load_dword v62, off, s[0:3], 0 offset:52
	s_waitcnt vmcnt(0)
	ds_write_b64 v59, v[61:62]
	buffer_store_dword v60, off, s[0:3], 0 offset:48
	buffer_store_dword v60, off, s[0:3], 0 offset:52
.LBB28_175:
	s_or_b64 exec, exec, s[4:5]
	s_waitcnt lgkmcnt(0)
	; wave barrier
	buffer_load_dword v105, off, s[0:3], 0 offset:60
	buffer_load_dword v106, off, s[0:3], 0 offset:68
	;; [unrolled: 1-line block ×46, first 2 shown]
	ds_read2_b64 v[61:64], v60 offset0:37 offset1:38
	ds_read2_b64 v[65:68], v60 offset0:39 offset1:40
	ds_read2_b64 v[69:72], v60 offset0:41 offset1:42
	ds_read2_b64 v[73:76], v60 offset0:43 offset1:44
	ds_read2_b64 v[77:80], v60 offset0:45 offset1:46
	ds_read2_b64 v[81:84], v60 offset0:47 offset1:48
	ds_read2_b64 v[85:88], v60 offset0:49 offset1:50
	ds_read2_b64 v[89:92], v60 offset0:51 offset1:52
	v_cmp_lt_u32_e32 vcc, 5, v0
	s_waitcnt vmcnt(45) lgkmcnt(7)
	v_mul_f32_e32 v93, v61, v105
	s_waitcnt vmcnt(44)
	v_mul_f32_e32 v94, v63, v106
	s_waitcnt vmcnt(43) lgkmcnt(6)
	v_mul_f32_e32 v95, v65, v107
	s_waitcnt vmcnt(42)
	v_mul_f32_e32 v96, v67, v108
	;; [unrolled: 4-line block ×6, first 2 shown]
	s_waitcnt vmcnt(33) lgkmcnt(1)
	v_mul_f32_e32 v151, v85, v117
	s_waitcnt vmcnt(32)
	v_fmac_f32_e32 v93, v62, v118
	v_mul_f32_e32 v62, v62, v105
	v_fma_f32 v61, v61, v118, -v62
	v_mul_f32_e32 v62, v64, v106
	v_add_f32_e32 v61, 0, v61
	s_waitcnt vmcnt(31)
	v_fma_f32 v62, v63, v119, -v62
	v_add_f32_e32 v61, v61, v62
	v_mul_f32_e32 v62, v66, v107
	s_waitcnt vmcnt(30)
	v_fma_f32 v62, v65, v120, -v62
	v_add_f32_e32 v61, v61, v62
	v_mul_f32_e32 v62, v68, v108
	;; [unrolled: 4-line block ×4, first 2 shown]
	v_fmac_f32_e32 v94, v64, v119
	v_add_f32_e32 v93, 0, v93
	s_waitcnt vmcnt(27)
	v_fma_f32 v62, v71, v123, -v62
	v_fmac_f32_e32 v95, v66, v120
	v_add_f32_e32 v93, v93, v94
	v_add_f32_e32 v61, v61, v62
	v_mul_f32_e32 v62, v74, v111
	v_fmac_f32_e32 v96, v68, v121
	v_add_f32_e32 v93, v93, v95
	s_waitcnt vmcnt(26)
	v_fma_f32 v62, v73, v124, -v62
	v_fmac_f32_e32 v97, v70, v122
	v_add_f32_e32 v93, v93, v96
	v_add_f32_e32 v61, v61, v62
	v_mul_f32_e32 v62, v76, v112
	;; [unrolled: 8-line block ×4, first 2 shown]
	s_waitcnt vmcnt(23)
	v_fmac_f32_e32 v102, v80, v127
	v_add_f32_e32 v93, v93, v101
	v_fma_f32 v62, v79, v127, -v62
	s_waitcnt vmcnt(22)
	v_fmac_f32_e32 v103, v82, v128
	v_add_f32_e32 v93, v93, v102
	v_add_f32_e32 v61, v61, v62
	v_mul_f32_e32 v62, v82, v115
	s_waitcnt vmcnt(21)
	v_fmac_f32_e32 v104, v84, v129
	v_add_f32_e32 v93, v93, v103
	v_fma_f32 v62, v81, v128, -v62
	s_waitcnt vmcnt(20)
	v_fmac_f32_e32 v151, v86, v130
	v_add_f32_e32 v93, v93, v104
	s_waitcnt vmcnt(19)
	v_mul_f32_e32 v94, v87, v131
	v_add_f32_e32 v61, v61, v62
	v_mul_f32_e32 v62, v84, v116
	v_add_f32_e32 v93, v93, v151
	s_waitcnt vmcnt(18)
	v_fmac_f32_e32 v94, v88, v132
	v_fma_f32 v62, v83, v129, -v62
	v_add_f32_e32 v93, v93, v94
	s_waitcnt vmcnt(17) lgkmcnt(0)
	v_mul_f32_e32 v94, v89, v133
	v_add_f32_e32 v61, v61, v62
	v_mul_f32_e32 v62, v86, v117
	s_waitcnt vmcnt(16)
	v_fmac_f32_e32 v94, v90, v134
	v_fma_f32 v62, v85, v130, -v62
	v_add_f32_e32 v97, v93, v94
	ds_read2_b64 v[93:96], v60 offset0:53 offset1:54
	v_add_f32_e32 v61, v61, v62
	v_mul_f32_e32 v62, v88, v131
	v_fma_f32 v62, v87, v132, -v62
	v_add_f32_e32 v61, v61, v62
	v_mul_f32_e32 v62, v90, v133
	s_waitcnt vmcnt(15)
	v_mul_f32_e32 v98, v91, v135
	v_fma_f32 v62, v89, v134, -v62
	s_waitcnt vmcnt(14)
	v_fmac_f32_e32 v98, v92, v136
	v_add_f32_e32 v61, v61, v62
	v_mul_f32_e32 v62, v92, v135
	v_add_f32_e32 v101, v97, v98
	ds_read2_b64 v[97:100], v60 offset0:55 offset1:56
	s_waitcnt vmcnt(13) lgkmcnt(1)
	v_mul_f32_e32 v102, v93, v137
	v_fma_f32 v62, v91, v136, -v62
	s_waitcnt vmcnt(12)
	v_fmac_f32_e32 v102, v94, v138
	v_add_f32_e32 v61, v61, v62
	v_mul_f32_e32 v62, v94, v137
	v_add_f32_e32 v101, v101, v102
	s_waitcnt vmcnt(11)
	v_mul_f32_e32 v102, v95, v139
	v_fma_f32 v62, v93, v138, -v62
	s_waitcnt vmcnt(10)
	v_fmac_f32_e32 v102, v96, v140
	v_add_f32_e32 v61, v61, v62
	v_mul_f32_e32 v62, v96, v139
	v_add_f32_e32 v151, v101, v102
	ds_read2_b64 v[101:104], v60 offset0:57 offset1:58
	v_fma_f32 v62, v95, v140, -v62
	v_add_f32_e32 v61, v61, v62
	s_waitcnt vmcnt(9) lgkmcnt(1)
	v_mul_f32_e32 v62, v98, v141
	v_mul_f32_e32 v152, v97, v141
	s_waitcnt vmcnt(8)
	v_fma_f32 v62, v97, v142, -v62
	v_fmac_f32_e32 v152, v98, v142
	v_add_f32_e32 v61, v61, v62
	s_waitcnt vmcnt(7)
	v_mul_f32_e32 v62, v100, v143
	v_add_f32_e32 v60, v151, v152
	v_mul_f32_e32 v151, v99, v143
	s_waitcnt vmcnt(6)
	v_fma_f32 v62, v99, v144, -v62
	v_fmac_f32_e32 v151, v100, v144
	v_add_f32_e32 v61, v61, v62
	s_waitcnt vmcnt(5) lgkmcnt(0)
	v_mul_f32_e32 v62, v102, v145
	v_add_f32_e32 v60, v60, v151
	v_mul_f32_e32 v151, v101, v145
	s_waitcnt vmcnt(4)
	v_fma_f32 v62, v101, v146, -v62
	v_fmac_f32_e32 v151, v102, v146
	v_add_f32_e32 v61, v61, v62
	s_waitcnt vmcnt(3)
	v_mul_f32_e32 v62, v104, v147
	v_add_f32_e32 v60, v60, v151
	v_mul_f32_e32 v151, v103, v147
	s_waitcnt vmcnt(2)
	v_fma_f32 v62, v103, v148, -v62
	v_fmac_f32_e32 v151, v104, v148
	v_add_f32_e32 v61, v61, v62
	v_add_f32_e32 v60, v60, v151
	s_waitcnt vmcnt(1)
	v_sub_f32_e32 v61, v149, v61
	s_waitcnt vmcnt(0)
	v_sub_f32_e32 v60, v150, v60
	buffer_store_dword v61, off, s[0:3], 0 offset:48
	buffer_store_dword v60, off, s[0:3], 0 offset:52
	s_and_saveexec_b64 s[4:5], vcc
	s_cbranch_execz .LBB28_177
; %bb.176:
	buffer_load_dword v60, off, s[0:3], 0 offset:40
	buffer_load_dword v61, off, s[0:3], 0 offset:44
	v_mov_b32_e32 v62, 0
	buffer_store_dword v62, off, s[0:3], 0 offset:40
	buffer_store_dword v62, off, s[0:3], 0 offset:44
	s_waitcnt vmcnt(2)
	ds_write_b64 v59, v[60:61]
.LBB28_177:
	s_or_b64 exec, exec, s[4:5]
	s_waitcnt lgkmcnt(0)
	; wave barrier
	buffer_load_dword v107, off, s[0:3], 0 offset:52
	buffer_load_dword v108, off, s[0:3], 0 offset:60
	;; [unrolled: 1-line block ×48, first 2 shown]
	v_mov_b32_e32 v60, 0
	ds_read_b128 v[61:64], v60 offset:288
	ds_read_b128 v[65:68], v60 offset:304
	;; [unrolled: 1-line block ×7, first 2 shown]
	v_cmp_lt_u32_e32 vcc, 4, v0
	s_waitcnt vmcnt(47) lgkmcnt(6)
	v_mul_f32_e32 v89, v61, v107
	s_waitcnt vmcnt(46)
	v_mul_f32_e32 v90, v63, v108
	s_waitcnt vmcnt(45) lgkmcnt(5)
	v_mul_f32_e32 v91, v65, v109
	s_waitcnt vmcnt(44)
	v_mul_f32_e32 v92, v67, v110
	;; [unrolled: 4-line block ×6, first 2 shown]
	s_waitcnt vmcnt(35)
	v_fmac_f32_e32 v89, v62, v119
	v_mul_f32_e32 v62, v62, v107
	v_fma_f32 v61, v61, v119, -v62
	v_mul_f32_e32 v62, v64, v108
	v_add_f32_e32 v61, 0, v61
	s_waitcnt vmcnt(34)
	v_fma_f32 v62, v63, v120, -v62
	v_add_f32_e32 v61, v61, v62
	v_mul_f32_e32 v62, v66, v109
	s_waitcnt vmcnt(33)
	v_fma_f32 v62, v65, v121, -v62
	v_fmac_f32_e32 v90, v64, v120
	v_add_f32_e32 v89, 0, v89
	v_add_f32_e32 v61, v61, v62
	v_mul_f32_e32 v62, v68, v110
	v_fmac_f32_e32 v91, v66, v121
	v_add_f32_e32 v89, v89, v90
	s_waitcnt vmcnt(32)
	v_fma_f32 v62, v67, v122, -v62
	v_fmac_f32_e32 v92, v68, v122
	v_add_f32_e32 v89, v89, v91
	v_add_f32_e32 v61, v61, v62
	v_mul_f32_e32 v62, v70, v111
	s_waitcnt vmcnt(31)
	v_fmac_f32_e32 v93, v70, v123
	v_add_f32_e32 v89, v89, v92
	v_fma_f32 v62, v69, v123, -v62
	s_waitcnt vmcnt(30)
	v_fmac_f32_e32 v94, v72, v124
	v_add_f32_e32 v89, v89, v93
	v_add_f32_e32 v61, v61, v62
	v_mul_f32_e32 v62, v72, v112
	s_waitcnt vmcnt(29)
	v_fmac_f32_e32 v95, v74, v125
	v_add_f32_e32 v89, v89, v94
	v_fma_f32 v62, v71, v124, -v62
	s_waitcnt vmcnt(28)
	;; [unrolled: 9-line block ×4, first 2 shown]
	v_fmac_f32_e32 v100, v84, v130
	v_add_f32_e32 v89, v89, v99
	v_add_f32_e32 v61, v61, v62
	v_mul_f32_e32 v62, v78, v115
	v_add_f32_e32 v93, v89, v100
	ds_read_b128 v[89:92], v60 offset:400
	v_fma_f32 v62, v77, v127, -v62
	s_waitcnt vmcnt(23) lgkmcnt(1)
	v_mul_f32_e32 v94, v85, v131
	v_add_f32_e32 v61, v61, v62
	v_mul_f32_e32 v62, v80, v116
	s_waitcnt vmcnt(22)
	v_fmac_f32_e32 v94, v86, v132
	v_fma_f32 v62, v79, v128, -v62
	v_add_f32_e32 v93, v93, v94
	s_waitcnt vmcnt(21)
	v_mul_f32_e32 v94, v87, v133
	v_add_f32_e32 v61, v61, v62
	v_mul_f32_e32 v62, v82, v117
	s_waitcnt vmcnt(20)
	v_fmac_f32_e32 v94, v88, v134
	v_fma_f32 v62, v81, v129, -v62
	v_add_f32_e32 v93, v93, v94
	s_waitcnt vmcnt(19) lgkmcnt(0)
	v_mul_f32_e32 v94, v89, v135
	v_add_f32_e32 v61, v61, v62
	v_mul_f32_e32 v62, v84, v118
	s_waitcnt vmcnt(18)
	v_fmac_f32_e32 v94, v90, v136
	v_fma_f32 v62, v83, v130, -v62
	v_add_f32_e32 v97, v93, v94
	ds_read_b128 v[93:96], v60 offset:416
	v_add_f32_e32 v61, v61, v62
	v_mul_f32_e32 v62, v86, v131
	v_fma_f32 v62, v85, v132, -v62
	s_waitcnt vmcnt(17)
	v_mul_f32_e32 v98, v91, v137
	v_add_f32_e32 v61, v61, v62
	v_mul_f32_e32 v62, v88, v133
	s_waitcnt vmcnt(16)
	v_fmac_f32_e32 v98, v92, v138
	v_fma_f32 v62, v87, v134, -v62
	v_add_f32_e32 v101, v97, v98
	ds_read_b128 v[97:100], v60 offset:432
	v_add_f32_e32 v61, v61, v62
	v_mul_f32_e32 v62, v90, v135
	s_waitcnt vmcnt(15) lgkmcnt(1)
	v_mul_f32_e32 v102, v93, v139
	v_fma_f32 v62, v89, v136, -v62
	s_waitcnt vmcnt(14)
	v_fmac_f32_e32 v102, v94, v140
	v_add_f32_e32 v61, v61, v62
	v_mul_f32_e32 v62, v92, v137
	v_add_f32_e32 v101, v101, v102
	s_waitcnt vmcnt(13)
	v_mul_f32_e32 v102, v95, v141
	v_fma_f32 v62, v91, v138, -v62
	s_waitcnt vmcnt(12)
	v_fmac_f32_e32 v102, v96, v142
	v_add_f32_e32 v61, v61, v62
	v_mul_f32_e32 v62, v94, v139
	v_add_f32_e32 v101, v101, v102
	s_waitcnt vmcnt(11) lgkmcnt(0)
	v_mul_f32_e32 v102, v97, v143
	v_fma_f32 v62, v93, v140, -v62
	s_waitcnt vmcnt(10)
	v_fmac_f32_e32 v102, v98, v144
	v_add_f32_e32 v61, v61, v62
	v_mul_f32_e32 v62, v96, v141
	v_add_f32_e32 v105, v101, v102
	ds_read_b128 v[101:104], v60 offset:448
	v_fma_f32 v62, v95, v142, -v62
	v_add_f32_e32 v61, v61, v62
	v_mul_f32_e32 v62, v98, v143
	s_waitcnt vmcnt(9)
	v_mul_f32_e32 v106, v99, v145
	v_fma_f32 v62, v97, v144, -v62
	s_waitcnt vmcnt(8)
	v_fmac_f32_e32 v106, v100, v146
	v_add_f32_e32 v61, v61, v62
	v_mul_f32_e32 v62, v100, v145
	v_add_f32_e32 v155, v105, v106
	ds_read_b64 v[105:106], v60 offset:464
	v_fma_f32 v62, v99, v146, -v62
	v_add_f32_e32 v61, v61, v62
	s_waitcnt vmcnt(6) lgkmcnt(1)
	v_mul_f32_e32 v62, v102, v148
	v_mul_f32_e32 v156, v101, v148
	v_fma_f32 v62, v101, v147, -v62
	v_fmac_f32_e32 v156, v102, v147
	v_add_f32_e32 v61, v61, v62
	s_waitcnt vmcnt(3)
	v_mul_f32_e32 v62, v104, v151
	v_add_f32_e32 v155, v155, v156
	v_mul_f32_e32 v156, v103, v151
	s_waitcnt vmcnt(2)
	v_fma_f32 v62, v103, v152, -v62
	v_fmac_f32_e32 v156, v104, v152
	v_add_f32_e32 v61, v61, v62
	s_waitcnt vmcnt(0) lgkmcnt(0)
	v_mul_f32_e32 v62, v106, v154
	v_add_f32_e32 v155, v155, v156
	v_mul_f32_e32 v156, v105, v154
	v_fma_f32 v62, v105, v153, -v62
	v_fmac_f32_e32 v156, v106, v153
	v_add_f32_e32 v61, v61, v62
	v_add_f32_e32 v155, v155, v156
	v_sub_f32_e32 v61, v149, v61
	v_sub_f32_e32 v62, v150, v155
	buffer_store_dword v61, off, s[0:3], 0 offset:40
	buffer_store_dword v62, off, s[0:3], 0 offset:44
	s_and_saveexec_b64 s[4:5], vcc
	s_cbranch_execz .LBB28_179
; %bb.178:
	buffer_load_dword v61, off, s[0:3], 0 offset:32
	buffer_load_dword v62, off, s[0:3], 0 offset:36
	s_waitcnt vmcnt(0)
	ds_write_b64 v59, v[61:62]
	buffer_store_dword v60, off, s[0:3], 0 offset:32
	buffer_store_dword v60, off, s[0:3], 0 offset:36
.LBB28_179:
	s_or_b64 exec, exec, s[4:5]
	s_waitcnt lgkmcnt(0)
	; wave barrier
	buffer_load_dword v109, off, s[0:3], 0 offset:44
	buffer_load_dword v110, off, s[0:3], 0 offset:52
	buffer_load_dword v111, off, s[0:3], 0 offset:60
	buffer_load_dword v112, off, s[0:3], 0 offset:68
	buffer_load_dword v113, off, s[0:3], 0 offset:76
	buffer_load_dword v114, off, s[0:3], 0 offset:84
	buffer_load_dword v115, off, s[0:3], 0 offset:92
	buffer_load_dword v116, off, s[0:3], 0 offset:100
	buffer_load_dword v117, off, s[0:3], 0 offset:108
	buffer_load_dword v118, off, s[0:3], 0 offset:116
	buffer_load_dword v119, off, s[0:3], 0 offset:124
	buffer_load_dword v120, off, s[0:3], 0 offset:132
	buffer_load_dword v121, off, s[0:3], 0 offset:40
	buffer_load_dword v122, off, s[0:3], 0 offset:48
	buffer_load_dword v123, off, s[0:3], 0 offset:56
	buffer_load_dword v124, off, s[0:3], 0 offset:64
	buffer_load_dword v125, off, s[0:3], 0 offset:72
	buffer_load_dword v126, off, s[0:3], 0 offset:80
	buffer_load_dword v127, off, s[0:3], 0 offset:88
	buffer_load_dword v128, off, s[0:3], 0 offset:96
	buffer_load_dword v129, off, s[0:3], 0 offset:104
	buffer_load_dword v130, off, s[0:3], 0 offset:112
	buffer_load_dword v131, off, s[0:3], 0 offset:120
	buffer_load_dword v132, off, s[0:3], 0 offset:128
	buffer_load_dword v133, off, s[0:3], 0 offset:140
	buffer_load_dword v134, off, s[0:3], 0 offset:136
	buffer_load_dword v135, off, s[0:3], 0 offset:148
	buffer_load_dword v136, off, s[0:3], 0 offset:144
	buffer_load_dword v137, off, s[0:3], 0 offset:156
	buffer_load_dword v138, off, s[0:3], 0 offset:152
	buffer_load_dword v139, off, s[0:3], 0 offset:164
	buffer_load_dword v140, off, s[0:3], 0 offset:160
	buffer_load_dword v141, off, s[0:3], 0 offset:172
	buffer_load_dword v142, off, s[0:3], 0 offset:168
	buffer_load_dword v143, off, s[0:3], 0 offset:180
	buffer_load_dword v144, off, s[0:3], 0 offset:176
	buffer_load_dword v145, off, s[0:3], 0 offset:188
	buffer_load_dword v146, off, s[0:3], 0 offset:184
	buffer_load_dword v147, off, s[0:3], 0 offset:196
	buffer_load_dword v148, off, s[0:3], 0 offset:192
	buffer_load_dword v149, off, s[0:3], 0 offset:32
	buffer_load_dword v150, off, s[0:3], 0 offset:36
	buffer_load_dword v151, off, s[0:3], 0 offset:204
	buffer_load_dword v152, off, s[0:3], 0 offset:200
	buffer_load_dword v153, off, s[0:3], 0 offset:208
	buffer_load_dword v154, off, s[0:3], 0 offset:212
	buffer_load_dword v155, off, s[0:3], 0 offset:216
	buffer_load_dword v156, off, s[0:3], 0 offset:220
	ds_read2_b64 v[61:64], v60 offset0:35 offset1:36
	ds_read2_b64 v[65:68], v60 offset0:37 offset1:38
	buffer_load_dword v157, off, s[0:3], 0 offset:224
	buffer_load_dword v158, off, s[0:3], 0 offset:228
	ds_read2_b64 v[69:72], v60 offset0:39 offset1:40
	ds_read2_b64 v[73:76], v60 offset0:41 offset1:42
	;; [unrolled: 1-line block ×5, first 2 shown]
	v_cmp_lt_u32_e32 vcc, 3, v0
	s_waitcnt vmcnt(49) lgkmcnt(6)
	v_mul_f32_e32 v89, v61, v109
	s_waitcnt vmcnt(48)
	v_mul_f32_e32 v90, v63, v110
	s_waitcnt vmcnt(47) lgkmcnt(5)
	v_mul_f32_e32 v91, v65, v111
	s_waitcnt vmcnt(46)
	v_mul_f32_e32 v92, v67, v112
	;; [unrolled: 4-line block ×6, first 2 shown]
	s_waitcnt vmcnt(37)
	v_fmac_f32_e32 v89, v62, v121
	v_mul_f32_e32 v62, v62, v109
	v_fma_f32 v61, v61, v121, -v62
	v_mul_f32_e32 v62, v64, v110
	v_add_f32_e32 v61, 0, v61
	s_waitcnt vmcnt(36)
	v_fma_f32 v62, v63, v122, -v62
	v_add_f32_e32 v61, v61, v62
	v_mul_f32_e32 v62, v66, v111
	s_waitcnt vmcnt(35)
	v_fma_f32 v62, v65, v123, -v62
	v_fmac_f32_e32 v90, v64, v122
	v_add_f32_e32 v89, 0, v89
	v_add_f32_e32 v61, v61, v62
	v_mul_f32_e32 v62, v68, v112
	v_fmac_f32_e32 v91, v66, v123
	v_add_f32_e32 v89, v89, v90
	s_waitcnt vmcnt(34)
	v_fma_f32 v62, v67, v124, -v62
	v_fmac_f32_e32 v92, v68, v124
	v_add_f32_e32 v89, v89, v91
	v_add_f32_e32 v61, v61, v62
	v_mul_f32_e32 v62, v70, v113
	s_waitcnt vmcnt(33)
	v_fmac_f32_e32 v93, v70, v125
	v_add_f32_e32 v89, v89, v92
	v_fma_f32 v62, v69, v125, -v62
	s_waitcnt vmcnt(32)
	v_fmac_f32_e32 v94, v72, v126
	v_add_f32_e32 v89, v89, v93
	v_add_f32_e32 v61, v61, v62
	v_mul_f32_e32 v62, v72, v114
	s_waitcnt vmcnt(31)
	v_fmac_f32_e32 v95, v74, v127
	v_add_f32_e32 v89, v89, v94
	v_fma_f32 v62, v71, v126, -v62
	s_waitcnt vmcnt(30)
	;; [unrolled: 9-line block ×3, first 2 shown]
	v_fmac_f32_e32 v98, v80, v130
	v_add_f32_e32 v89, v89, v97
	v_add_f32_e32 v61, v61, v62
	v_mul_f32_e32 v62, v76, v116
	s_waitcnt vmcnt(27)
	v_fmac_f32_e32 v99, v82, v131
	v_add_f32_e32 v89, v89, v98
	v_fma_f32 v62, v75, v128, -v62
	v_add_f32_e32 v89, v89, v99
	s_waitcnt vmcnt(26)
	v_fmac_f32_e32 v100, v84, v132
	v_add_f32_e32 v61, v61, v62
	v_mul_f32_e32 v62, v78, v117
	v_add_f32_e32 v93, v89, v100
	ds_read2_b64 v[89:92], v60 offset0:49 offset1:50
	v_fma_f32 v62, v77, v129, -v62
	s_waitcnt vmcnt(25) lgkmcnt(1)
	v_mul_f32_e32 v94, v85, v133
	v_add_f32_e32 v61, v61, v62
	v_mul_f32_e32 v62, v80, v118
	s_waitcnt vmcnt(24)
	v_fmac_f32_e32 v94, v86, v134
	v_fma_f32 v62, v79, v130, -v62
	v_add_f32_e32 v93, v93, v94
	s_waitcnt vmcnt(23)
	v_mul_f32_e32 v94, v87, v135
	v_add_f32_e32 v61, v61, v62
	v_mul_f32_e32 v62, v82, v119
	s_waitcnt vmcnt(22)
	v_fmac_f32_e32 v94, v88, v136
	v_fma_f32 v62, v81, v131, -v62
	v_add_f32_e32 v93, v93, v94
	s_waitcnt vmcnt(21) lgkmcnt(0)
	v_mul_f32_e32 v94, v89, v137
	v_add_f32_e32 v61, v61, v62
	v_mul_f32_e32 v62, v84, v120
	s_waitcnt vmcnt(20)
	v_fmac_f32_e32 v94, v90, v138
	v_fma_f32 v62, v83, v132, -v62
	v_add_f32_e32 v97, v93, v94
	ds_read2_b64 v[93:96], v60 offset0:51 offset1:52
	v_add_f32_e32 v61, v61, v62
	v_mul_f32_e32 v62, v86, v133
	v_fma_f32 v62, v85, v134, -v62
	s_waitcnt vmcnt(19)
	v_mul_f32_e32 v98, v91, v139
	v_add_f32_e32 v61, v61, v62
	v_mul_f32_e32 v62, v88, v135
	s_waitcnt vmcnt(18)
	v_fmac_f32_e32 v98, v92, v140
	v_fma_f32 v62, v87, v136, -v62
	v_add_f32_e32 v101, v97, v98
	ds_read2_b64 v[97:100], v60 offset0:53 offset1:54
	v_add_f32_e32 v61, v61, v62
	v_mul_f32_e32 v62, v90, v137
	s_waitcnt vmcnt(17) lgkmcnt(1)
	v_mul_f32_e32 v102, v93, v141
	v_fma_f32 v62, v89, v138, -v62
	s_waitcnt vmcnt(16)
	v_fmac_f32_e32 v102, v94, v142
	v_add_f32_e32 v61, v61, v62
	v_mul_f32_e32 v62, v92, v139
	v_add_f32_e32 v101, v101, v102
	s_waitcnt vmcnt(15)
	v_mul_f32_e32 v102, v95, v143
	v_fma_f32 v62, v91, v140, -v62
	s_waitcnt vmcnt(14)
	v_fmac_f32_e32 v102, v96, v144
	v_add_f32_e32 v61, v61, v62
	v_mul_f32_e32 v62, v94, v141
	v_add_f32_e32 v101, v101, v102
	s_waitcnt vmcnt(13) lgkmcnt(0)
	v_mul_f32_e32 v102, v97, v145
	v_fma_f32 v62, v93, v142, -v62
	s_waitcnt vmcnt(12)
	v_fmac_f32_e32 v102, v98, v146
	v_add_f32_e32 v61, v61, v62
	v_mul_f32_e32 v62, v96, v143
	v_add_f32_e32 v105, v101, v102
	ds_read2_b64 v[101:104], v60 offset0:55 offset1:56
	v_fma_f32 v62, v95, v144, -v62
	v_add_f32_e32 v61, v61, v62
	v_mul_f32_e32 v62, v98, v145
	s_waitcnt vmcnt(11)
	v_mul_f32_e32 v106, v99, v147
	v_fma_f32 v62, v97, v146, -v62
	s_waitcnt vmcnt(10)
	v_fmac_f32_e32 v106, v100, v148
	v_add_f32_e32 v61, v61, v62
	v_mul_f32_e32 v62, v100, v147
	v_add_f32_e32 v159, v105, v106
	ds_read2_b64 v[105:108], v60 offset0:57 offset1:58
	v_fma_f32 v62, v99, v148, -v62
	v_add_f32_e32 v61, v61, v62
	s_waitcnt vmcnt(7) lgkmcnt(1)
	v_mul_f32_e32 v62, v102, v151
	v_mul_f32_e32 v60, v101, v151
	s_waitcnt vmcnt(6)
	v_fma_f32 v62, v101, v152, -v62
	v_fmac_f32_e32 v60, v102, v152
	v_add_f32_e32 v61, v61, v62
	s_waitcnt vmcnt(4)
	v_mul_f32_e32 v62, v104, v154
	v_add_f32_e32 v60, v159, v60
	v_mul_f32_e32 v159, v103, v154
	v_fma_f32 v62, v103, v153, -v62
	v_fmac_f32_e32 v159, v104, v153
	v_add_f32_e32 v61, v61, v62
	s_waitcnt vmcnt(2) lgkmcnt(0)
	v_mul_f32_e32 v62, v106, v156
	v_add_f32_e32 v60, v60, v159
	v_mul_f32_e32 v159, v105, v156
	v_fma_f32 v62, v105, v155, -v62
	v_fmac_f32_e32 v159, v106, v155
	v_add_f32_e32 v61, v61, v62
	s_waitcnt vmcnt(0)
	v_mul_f32_e32 v62, v108, v158
	v_add_f32_e32 v60, v60, v159
	v_mul_f32_e32 v159, v107, v158
	v_fma_f32 v62, v107, v157, -v62
	v_fmac_f32_e32 v159, v108, v157
	v_add_f32_e32 v61, v61, v62
	v_add_f32_e32 v60, v60, v159
	v_sub_f32_e32 v61, v149, v61
	v_sub_f32_e32 v60, v150, v60
	buffer_store_dword v61, off, s[0:3], 0 offset:32
	buffer_store_dword v60, off, s[0:3], 0 offset:36
	s_and_saveexec_b64 s[4:5], vcc
	s_cbranch_execz .LBB28_181
; %bb.180:
	buffer_load_dword v60, off, s[0:3], 0 offset:24
	buffer_load_dword v61, off, s[0:3], 0 offset:28
	v_mov_b32_e32 v62, 0
	buffer_store_dword v62, off, s[0:3], 0 offset:24
	buffer_store_dword v62, off, s[0:3], 0 offset:28
	s_waitcnt vmcnt(2)
	ds_write_b64 v59, v[60:61]
.LBB28_181:
	s_or_b64 exec, exec, s[4:5]
	s_waitcnt lgkmcnt(0)
	; wave barrier
	buffer_load_dword v111, off, s[0:3], 0 offset:36
	buffer_load_dword v112, off, s[0:3], 0 offset:44
	;; [unrolled: 1-line block ×52, first 2 shown]
	v_mov_b32_e32 v60, 0
	ds_read_b128 v[61:64], v60 offset:272
	ds_read_b128 v[65:68], v60 offset:288
	;; [unrolled: 1-line block ×6, first 2 shown]
	v_cmp_lt_u32_e32 vcc, 2, v0
	s_waitcnt vmcnt(51) lgkmcnt(5)
	v_mul_f32_e32 v85, v61, v111
	s_waitcnt vmcnt(50)
	v_mul_f32_e32 v86, v63, v112
	s_waitcnt vmcnt(49) lgkmcnt(4)
	v_mul_f32_e32 v87, v65, v113
	s_waitcnt vmcnt(48)
	v_mul_f32_e32 v88, v67, v114
	;; [unrolled: 4-line block ×5, first 2 shown]
	s_waitcnt vmcnt(41) lgkmcnt(0)
	v_mul_f32_e32 v95, v81, v121
	s_waitcnt vmcnt(40)
	v_fmac_f32_e32 v85, v62, v122
	v_mul_f32_e32 v62, v62, v111
	s_waitcnt vmcnt(39)
	v_fmac_f32_e32 v86, v64, v123
	v_add_f32_e32 v85, 0, v85
	v_fma_f32 v61, v61, v122, -v62
	v_mul_f32_e32 v62, v64, v112
	s_waitcnt vmcnt(38)
	v_fmac_f32_e32 v87, v66, v124
	v_add_f32_e32 v85, v85, v86
	v_add_f32_e32 v61, 0, v61
	v_fma_f32 v62, v63, v123, -v62
	s_waitcnt vmcnt(37)
	v_fmac_f32_e32 v88, v68, v125
	v_add_f32_e32 v85, v85, v87
	v_add_f32_e32 v61, v61, v62
	v_mul_f32_e32 v62, v66, v113
	s_waitcnt vmcnt(36)
	v_fmac_f32_e32 v89, v70, v126
	v_add_f32_e32 v85, v85, v88
	v_fma_f32 v62, v65, v124, -v62
	s_waitcnt vmcnt(35)
	v_fmac_f32_e32 v90, v72, v127
	v_add_f32_e32 v85, v85, v89
	v_add_f32_e32 v61, v61, v62
	v_mul_f32_e32 v62, v68, v114
	s_waitcnt vmcnt(34)
	v_fmac_f32_e32 v91, v74, v128
	v_add_f32_e32 v85, v85, v90
	v_fma_f32 v62, v67, v125, -v62
	s_waitcnt vmcnt(33)
	v_fmac_f32_e32 v92, v76, v129
	v_add_f32_e32 v85, v85, v91
	v_add_f32_e32 v61, v61, v62
	v_mul_f32_e32 v62, v70, v115
	s_waitcnt vmcnt(32)
	v_fmac_f32_e32 v93, v78, v130
	v_add_f32_e32 v85, v85, v92
	v_fma_f32 v62, v69, v126, -v62
	s_waitcnt vmcnt(31)
	v_fmac_f32_e32 v94, v80, v131
	v_add_f32_e32 v85, v85, v93
	v_add_f32_e32 v61, v61, v62
	v_mul_f32_e32 v62, v72, v116
	v_add_f32_e32 v85, v85, v94
	s_waitcnt vmcnt(30)
	v_fmac_f32_e32 v95, v82, v132
	v_fma_f32 v62, v71, v127, -v62
	v_add_f32_e32 v89, v85, v95
	ds_read_b128 v[85:88], v60 offset:368
	v_add_f32_e32 v61, v61, v62
	v_mul_f32_e32 v62, v74, v117
	v_fma_f32 v62, v73, v128, -v62
	s_waitcnt vmcnt(29)
	v_mul_f32_e32 v90, v83, v133
	v_add_f32_e32 v61, v61, v62
	v_mul_f32_e32 v62, v76, v118
	s_waitcnt vmcnt(28)
	v_fmac_f32_e32 v90, v84, v134
	v_fma_f32 v62, v75, v129, -v62
	v_add_f32_e32 v93, v89, v90
	ds_read_b128 v[89:92], v60 offset:384
	v_add_f32_e32 v61, v61, v62
	v_mul_f32_e32 v62, v78, v119
	s_waitcnt vmcnt(27) lgkmcnt(1)
	v_mul_f32_e32 v94, v85, v135
	v_fma_f32 v62, v77, v130, -v62
	s_waitcnt vmcnt(26)
	v_fmac_f32_e32 v94, v86, v136
	v_add_f32_e32 v61, v61, v62
	v_mul_f32_e32 v62, v80, v120
	v_add_f32_e32 v93, v93, v94
	s_waitcnt vmcnt(25)
	v_mul_f32_e32 v94, v87, v137
	v_fma_f32 v62, v79, v131, -v62
	s_waitcnt vmcnt(24)
	v_fmac_f32_e32 v94, v88, v138
	v_add_f32_e32 v61, v61, v62
	v_mul_f32_e32 v62, v82, v121
	v_add_f32_e32 v93, v93, v94
	s_waitcnt vmcnt(23) lgkmcnt(0)
	v_mul_f32_e32 v94, v89, v139
	v_fma_f32 v62, v81, v132, -v62
	s_waitcnt vmcnt(22)
	v_fmac_f32_e32 v94, v90, v140
	v_add_f32_e32 v61, v61, v62
	v_mul_f32_e32 v62, v84, v133
	v_add_f32_e32 v97, v93, v94
	ds_read_b128 v[93:96], v60 offset:400
	v_fma_f32 v62, v83, v134, -v62
	v_add_f32_e32 v61, v61, v62
	v_mul_f32_e32 v62, v86, v135
	s_waitcnt vmcnt(21)
	v_mul_f32_e32 v98, v91, v141
	v_fma_f32 v62, v85, v136, -v62
	s_waitcnt vmcnt(20)
	v_fmac_f32_e32 v98, v92, v142
	v_add_f32_e32 v61, v61, v62
	v_mul_f32_e32 v62, v88, v137
	v_add_f32_e32 v101, v97, v98
	ds_read_b128 v[97:100], v60 offset:416
	v_fma_f32 v62, v87, v138, -v62
	s_waitcnt vmcnt(19) lgkmcnt(1)
	v_mul_f32_e32 v102, v93, v143
	v_add_f32_e32 v61, v61, v62
	v_mul_f32_e32 v62, v90, v139
	s_waitcnt vmcnt(18)
	v_fmac_f32_e32 v102, v94, v144
	v_fma_f32 v62, v89, v140, -v62
	v_add_f32_e32 v101, v101, v102
	s_waitcnt vmcnt(17)
	v_mul_f32_e32 v102, v95, v145
	v_add_f32_e32 v61, v61, v62
	v_mul_f32_e32 v62, v92, v141
	s_waitcnt vmcnt(16)
	v_fmac_f32_e32 v102, v96, v146
	v_fma_f32 v62, v91, v142, -v62
	v_add_f32_e32 v101, v101, v102
	s_waitcnt vmcnt(14) lgkmcnt(0)
	v_mul_f32_e32 v102, v97, v148
	v_add_f32_e32 v61, v61, v62
	v_mul_f32_e32 v62, v94, v143
	v_fmac_f32_e32 v102, v98, v147
	v_fma_f32 v62, v93, v144, -v62
	v_add_f32_e32 v105, v101, v102
	ds_read_b128 v[101:104], v60 offset:432
	v_add_f32_e32 v61, v61, v62
	v_mul_f32_e32 v62, v96, v145
	v_fma_f32 v62, v95, v146, -v62
	v_add_f32_e32 v61, v61, v62
	v_mul_f32_e32 v62, v98, v148
	s_waitcnt vmcnt(11)
	v_mul_f32_e32 v106, v99, v151
	v_fma_f32 v62, v97, v147, -v62
	s_waitcnt vmcnt(10)
	v_fmac_f32_e32 v106, v100, v152
	v_add_f32_e32 v61, v61, v62
	v_mul_f32_e32 v62, v100, v151
	v_add_f32_e32 v109, v105, v106
	ds_read_b128 v[105:108], v60 offset:448
	s_waitcnt vmcnt(8) lgkmcnt(1)
	v_mul_f32_e32 v110, v101, v154
	v_fma_f32 v62, v99, v152, -v62
	v_fmac_f32_e32 v110, v102, v153
	v_add_f32_e32 v61, v61, v62
	v_mul_f32_e32 v62, v102, v154
	v_add_f32_e32 v109, v109, v110
	s_waitcnt vmcnt(6)
	v_mul_f32_e32 v110, v103, v156
	v_fma_f32 v62, v101, v153, -v62
	v_fmac_f32_e32 v110, v104, v155
	v_add_f32_e32 v61, v61, v62
	v_mul_f32_e32 v62, v104, v156
	v_add_f32_e32 v163, v109, v110
	ds_read_b64 v[109:110], v60 offset:464
	v_fma_f32 v62, v103, v155, -v62
	v_add_f32_e32 v61, v61, v62
	s_waitcnt vmcnt(4) lgkmcnt(1)
	v_mul_f32_e32 v62, v106, v158
	v_mul_f32_e32 v164, v105, v158
	v_fma_f32 v62, v105, v157, -v62
	v_fmac_f32_e32 v164, v106, v157
	v_add_f32_e32 v61, v61, v62
	s_waitcnt vmcnt(2)
	v_mul_f32_e32 v62, v108, v160
	v_add_f32_e32 v163, v163, v164
	v_mul_f32_e32 v164, v107, v160
	v_fma_f32 v62, v107, v159, -v62
	v_fmac_f32_e32 v164, v108, v159
	v_add_f32_e32 v61, v61, v62
	s_waitcnt vmcnt(0) lgkmcnt(0)
	v_mul_f32_e32 v62, v110, v162
	v_add_f32_e32 v163, v163, v164
	v_mul_f32_e32 v164, v109, v162
	v_fma_f32 v62, v109, v161, -v62
	v_fmac_f32_e32 v164, v110, v161
	v_add_f32_e32 v61, v61, v62
	v_add_f32_e32 v163, v163, v164
	v_sub_f32_e32 v61, v149, v61
	v_sub_f32_e32 v62, v150, v163
	buffer_store_dword v61, off, s[0:3], 0 offset:24
	buffer_store_dword v62, off, s[0:3], 0 offset:28
	s_and_saveexec_b64 s[4:5], vcc
	s_cbranch_execz .LBB28_183
; %bb.182:
	buffer_load_dword v61, off, s[0:3], 0 offset:16
	buffer_load_dword v62, off, s[0:3], 0 offset:20
	s_waitcnt vmcnt(0)
	ds_write_b64 v59, v[61:62]
	buffer_store_dword v60, off, s[0:3], 0 offset:16
	buffer_store_dword v60, off, s[0:3], 0 offset:20
.LBB28_183:
	s_or_b64 exec, exec, s[4:5]
	s_waitcnt lgkmcnt(0)
	; wave barrier
	buffer_load_dword v113, off, s[0:3], 0 offset:28
	buffer_load_dword v114, off, s[0:3], 0 offset:36
	;; [unrolled: 1-line block ×42, first 2 shown]
	ds_read2_b64 v[61:64], v60 offset0:33 offset1:34
	ds_read2_b64 v[65:68], v60 offset0:35 offset1:36
	;; [unrolled: 1-line block ×4, first 2 shown]
	buffer_load_dword v155, off, s[0:3], 0 offset:188
	buffer_load_dword v156, off, s[0:3], 0 offset:184
	;; [unrolled: 1-line block ×6, first 2 shown]
	ds_read2_b64 v[77:80], v60 offset0:41 offset1:42
	ds_read2_b64 v[81:84], v60 offset0:43 offset1:44
	buffer_load_dword v161, off, s[0:3], 0 offset:208
	buffer_load_dword v162, off, s[0:3], 0 offset:212
	;; [unrolled: 1-line block ×6, first 2 shown]
	v_cmp_lt_u32_e32 vcc, 1, v0
	s_waitcnt vmcnt(53) lgkmcnt(5)
	v_mul_f32_e32 v85, v61, v113
	s_waitcnt vmcnt(52)
	v_mul_f32_e32 v86, v63, v114
	s_waitcnt vmcnt(51) lgkmcnt(4)
	v_mul_f32_e32 v87, v65, v115
	s_waitcnt vmcnt(50)
	v_mul_f32_e32 v88, v67, v116
	;; [unrolled: 4-line block ×5, first 2 shown]
	s_waitcnt vmcnt(43)
	v_fmac_f32_e32 v85, v62, v123
	v_mul_f32_e32 v62, v62, v113
	s_waitcnt vmcnt(42)
	v_fmac_f32_e32 v86, v64, v124
	v_add_f32_e32 v85, 0, v85
	v_fma_f32 v61, v61, v123, -v62
	v_mul_f32_e32 v62, v64, v114
	s_waitcnt vmcnt(41)
	v_fmac_f32_e32 v87, v66, v125
	v_add_f32_e32 v85, v85, v86
	v_add_f32_e32 v61, 0, v61
	v_fma_f32 v62, v63, v124, -v62
	s_waitcnt vmcnt(40)
	v_fmac_f32_e32 v88, v68, v126
	v_add_f32_e32 v85, v85, v87
	v_add_f32_e32 v61, v61, v62
	v_mul_f32_e32 v62, v66, v115
	s_waitcnt vmcnt(39)
	v_fmac_f32_e32 v89, v70, v127
	v_add_f32_e32 v85, v85, v88
	v_fma_f32 v62, v65, v125, -v62
	s_waitcnt vmcnt(38)
	v_fmac_f32_e32 v90, v72, v128
	v_add_f32_e32 v85, v85, v89
	v_add_f32_e32 v61, v61, v62
	v_mul_f32_e32 v62, v68, v116
	s_waitcnt vmcnt(37)
	v_fmac_f32_e32 v91, v74, v129
	v_add_f32_e32 v85, v85, v90
	v_fma_f32 v62, v67, v126, -v62
	s_waitcnt vmcnt(36)
	v_fmac_f32_e32 v92, v76, v130
	v_add_f32_e32 v85, v85, v91
	v_add_f32_e32 v61, v61, v62
	v_mul_f32_e32 v62, v70, v117
	s_waitcnt vmcnt(35)
	v_fmac_f32_e32 v93, v78, v131
	v_add_f32_e32 v85, v85, v92
	v_fma_f32 v62, v69, v127, -v62
	s_waitcnt vmcnt(34)
	v_fmac_f32_e32 v94, v80, v132
	v_add_f32_e32 v85, v85, v93
	s_waitcnt vmcnt(33) lgkmcnt(0)
	v_mul_f32_e32 v86, v81, v133
	v_add_f32_e32 v61, v61, v62
	v_mul_f32_e32 v62, v72, v118
	v_add_f32_e32 v85, v85, v94
	s_waitcnt vmcnt(32)
	v_fmac_f32_e32 v86, v82, v134
	v_fma_f32 v62, v71, v128, -v62
	v_add_f32_e32 v89, v85, v86
	ds_read2_b64 v[85:88], v60 offset0:45 offset1:46
	v_add_f32_e32 v61, v61, v62
	v_mul_f32_e32 v62, v74, v119
	v_fma_f32 v62, v73, v129, -v62
	s_waitcnt vmcnt(31)
	v_mul_f32_e32 v90, v83, v135
	v_add_f32_e32 v61, v61, v62
	v_mul_f32_e32 v62, v76, v120
	s_waitcnt vmcnt(30)
	v_fmac_f32_e32 v90, v84, v136
	v_fma_f32 v62, v75, v130, -v62
	v_add_f32_e32 v93, v89, v90
	ds_read2_b64 v[89:92], v60 offset0:47 offset1:48
	v_add_f32_e32 v61, v61, v62
	v_mul_f32_e32 v62, v78, v121
	s_waitcnt vmcnt(29) lgkmcnt(1)
	v_mul_f32_e32 v94, v85, v137
	v_fma_f32 v62, v77, v131, -v62
	s_waitcnt vmcnt(28)
	v_fmac_f32_e32 v94, v86, v138
	v_add_f32_e32 v61, v61, v62
	v_mul_f32_e32 v62, v80, v122
	v_add_f32_e32 v93, v93, v94
	s_waitcnt vmcnt(27)
	v_mul_f32_e32 v94, v87, v139
	v_fma_f32 v62, v79, v132, -v62
	s_waitcnt vmcnt(26)
	v_fmac_f32_e32 v94, v88, v140
	v_add_f32_e32 v61, v61, v62
	v_mul_f32_e32 v62, v82, v133
	v_add_f32_e32 v93, v93, v94
	s_waitcnt vmcnt(25) lgkmcnt(0)
	v_mul_f32_e32 v94, v89, v141
	v_fma_f32 v62, v81, v134, -v62
	s_waitcnt vmcnt(24)
	v_fmac_f32_e32 v94, v90, v142
	v_add_f32_e32 v61, v61, v62
	v_mul_f32_e32 v62, v84, v135
	v_add_f32_e32 v97, v93, v94
	ds_read2_b64 v[93:96], v60 offset0:49 offset1:50
	v_fma_f32 v62, v83, v136, -v62
	v_add_f32_e32 v61, v61, v62
	v_mul_f32_e32 v62, v86, v137
	s_waitcnt vmcnt(23)
	v_mul_f32_e32 v98, v91, v143
	v_fma_f32 v62, v85, v138, -v62
	s_waitcnt vmcnt(22)
	v_fmac_f32_e32 v98, v92, v144
	v_add_f32_e32 v61, v61, v62
	v_mul_f32_e32 v62, v88, v139
	v_add_f32_e32 v101, v97, v98
	ds_read2_b64 v[97:100], v60 offset0:51 offset1:52
	v_fma_f32 v62, v87, v140, -v62
	s_waitcnt vmcnt(21) lgkmcnt(1)
	v_mul_f32_e32 v102, v93, v145
	v_add_f32_e32 v61, v61, v62
	v_mul_f32_e32 v62, v90, v141
	s_waitcnt vmcnt(20)
	v_fmac_f32_e32 v102, v94, v146
	v_fma_f32 v62, v89, v142, -v62
	v_add_f32_e32 v101, v101, v102
	s_waitcnt vmcnt(18)
	v_mul_f32_e32 v102, v95, v148
	v_add_f32_e32 v61, v61, v62
	v_mul_f32_e32 v62, v92, v143
	v_fmac_f32_e32 v102, v96, v147
	v_fma_f32 v62, v91, v144, -v62
	v_add_f32_e32 v101, v101, v102
	s_waitcnt vmcnt(15) lgkmcnt(0)
	v_mul_f32_e32 v102, v97, v151
	v_add_f32_e32 v61, v61, v62
	v_mul_f32_e32 v62, v94, v145
	s_waitcnt vmcnt(14)
	v_fmac_f32_e32 v102, v98, v152
	v_fma_f32 v62, v93, v146, -v62
	v_add_f32_e32 v105, v101, v102
	ds_read2_b64 v[101:104], v60 offset0:53 offset1:54
	v_add_f32_e32 v61, v61, v62
	v_mul_f32_e32 v62, v96, v148
	v_fma_f32 v62, v95, v147, -v62
	v_add_f32_e32 v61, v61, v62
	v_mul_f32_e32 v62, v98, v151
	s_waitcnt vmcnt(12)
	v_mul_f32_e32 v106, v99, v154
	v_fma_f32 v62, v97, v152, -v62
	v_fmac_f32_e32 v106, v100, v153
	v_add_f32_e32 v61, v61, v62
	v_mul_f32_e32 v62, v100, v154
	v_add_f32_e32 v109, v105, v106
	ds_read2_b64 v[105:108], v60 offset0:55 offset1:56
	s_waitcnt vmcnt(11) lgkmcnt(1)
	v_mul_f32_e32 v110, v101, v155
	v_fma_f32 v62, v99, v153, -v62
	s_waitcnt vmcnt(10)
	v_fmac_f32_e32 v110, v102, v156
	v_add_f32_e32 v61, v61, v62
	v_mul_f32_e32 v62, v102, v155
	v_add_f32_e32 v109, v109, v110
	s_waitcnt vmcnt(8)
	v_mul_f32_e32 v110, v103, v158
	v_fma_f32 v62, v101, v156, -v62
	v_fmac_f32_e32 v110, v104, v157
	v_add_f32_e32 v61, v61, v62
	v_mul_f32_e32 v62, v104, v158
	v_add_f32_e32 v167, v109, v110
	ds_read2_b64 v[109:112], v60 offset0:57 offset1:58
	v_fma_f32 v62, v103, v157, -v62
	v_add_f32_e32 v61, v61, v62
	s_waitcnt vmcnt(6) lgkmcnt(1)
	v_mul_f32_e32 v62, v106, v160
	v_mul_f32_e32 v168, v105, v160
	v_fma_f32 v62, v105, v159, -v62
	v_fmac_f32_e32 v168, v106, v159
	v_add_f32_e32 v61, v61, v62
	s_waitcnt vmcnt(4)
	v_mul_f32_e32 v62, v108, v162
	v_add_f32_e32 v60, v167, v168
	v_mul_f32_e32 v167, v107, v162
	v_fma_f32 v62, v107, v161, -v62
	v_fmac_f32_e32 v167, v108, v161
	v_add_f32_e32 v61, v61, v62
	s_waitcnt vmcnt(2) lgkmcnt(0)
	v_mul_f32_e32 v62, v110, v164
	v_add_f32_e32 v60, v60, v167
	v_mul_f32_e32 v167, v109, v164
	v_fma_f32 v62, v109, v163, -v62
	v_fmac_f32_e32 v167, v110, v163
	v_add_f32_e32 v61, v61, v62
	s_waitcnt vmcnt(0)
	v_mul_f32_e32 v62, v112, v166
	v_add_f32_e32 v60, v60, v167
	v_mul_f32_e32 v167, v111, v166
	v_fma_f32 v62, v111, v165, -v62
	v_fmac_f32_e32 v167, v112, v165
	v_add_f32_e32 v61, v61, v62
	v_add_f32_e32 v60, v60, v167
	v_sub_f32_e32 v61, v149, v61
	v_sub_f32_e32 v60, v150, v60
	buffer_store_dword v61, off, s[0:3], 0 offset:16
	buffer_store_dword v60, off, s[0:3], 0 offset:20
	s_and_saveexec_b64 s[4:5], vcc
	s_cbranch_execz .LBB28_185
; %bb.184:
	buffer_load_dword v60, off, s[0:3], 0 offset:8
	buffer_load_dword v61, off, s[0:3], 0 offset:12
	v_mov_b32_e32 v62, 0
	buffer_store_dword v62, off, s[0:3], 0 offset:8
	buffer_store_dword v62, off, s[0:3], 0 offset:12
	s_waitcnt vmcnt(2)
	ds_write_b64 v59, v[60:61]
.LBB28_185:
	s_or_b64 exec, exec, s[4:5]
	s_waitcnt lgkmcnt(0)
	; wave barrier
	buffer_load_dword v115, off, s[0:3], 0 offset:20
	buffer_load_dword v116, off, s[0:3], 0 offset:28
	;; [unrolled: 1-line block ×56, first 2 shown]
	v_mov_b32_e32 v60, 0
	ds_read_b128 v[61:64], v60 offset:256
	ds_read_b128 v[65:68], v60 offset:272
	;; [unrolled: 1-line block ×6, first 2 shown]
	v_cmp_ne_u32_e32 vcc, 0, v0
	s_waitcnt vmcnt(55) lgkmcnt(5)
	v_mul_f32_e32 v85, v61, v115
	s_waitcnt vmcnt(54)
	v_mul_f32_e32 v86, v63, v116
	s_waitcnt vmcnt(53) lgkmcnt(4)
	v_mul_f32_e32 v87, v65, v117
	s_waitcnt vmcnt(52)
	v_mul_f32_e32 v88, v67, v118
	;; [unrolled: 4-line block ×4, first 2 shown]
	s_waitcnt vmcnt(47) lgkmcnt(1)
	v_mul_f32_e32 v93, v77, v123
	s_waitcnt vmcnt(46)
	v_fmac_f32_e32 v85, v62, v124
	s_waitcnt vmcnt(45)
	v_fmac_f32_e32 v86, v64, v125
	v_add_f32_e32 v85, 0, v85
	s_waitcnt vmcnt(44)
	v_fmac_f32_e32 v87, v66, v126
	v_add_f32_e32 v85, v85, v86
	;; [unrolled: 3-line block ×3, first 2 shown]
	v_mul_f32_e32 v62, v62, v115
	s_waitcnt vmcnt(42)
	v_fmac_f32_e32 v89, v70, v128
	v_add_f32_e32 v85, v85, v88
	v_fma_f32 v61, v61, v124, -v62
	v_mul_f32_e32 v62, v64, v116
	s_waitcnt vmcnt(41)
	v_fmac_f32_e32 v90, v72, v129
	v_add_f32_e32 v85, v85, v89
	v_add_f32_e32 v61, 0, v61
	v_fma_f32 v62, v63, v125, -v62
	s_waitcnt vmcnt(40)
	v_fmac_f32_e32 v91, v74, v130
	v_add_f32_e32 v85, v85, v90
	v_add_f32_e32 v61, v61, v62
	v_mul_f32_e32 v62, v66, v117
	s_waitcnt vmcnt(39)
	v_fmac_f32_e32 v92, v76, v131
	v_add_f32_e32 v85, v85, v91
	v_fma_f32 v62, v65, v126, -v62
	v_add_f32_e32 v85, v85, v92
	s_waitcnt vmcnt(38)
	v_fmac_f32_e32 v93, v78, v132
	s_waitcnt vmcnt(37)
	v_mul_f32_e32 v86, v79, v133
	v_add_f32_e32 v61, v61, v62
	v_mul_f32_e32 v62, v68, v118
	v_add_f32_e32 v85, v85, v93
	s_waitcnt vmcnt(36)
	v_fmac_f32_e32 v86, v80, v134
	v_fma_f32 v62, v67, v127, -v62
	v_add_f32_e32 v85, v85, v86
	s_waitcnt vmcnt(35) lgkmcnt(0)
	v_mul_f32_e32 v86, v81, v135
	v_add_f32_e32 v61, v61, v62
	v_mul_f32_e32 v62, v70, v119
	s_waitcnt vmcnt(34)
	v_fmac_f32_e32 v86, v82, v136
	v_fma_f32 v62, v69, v128, -v62
	v_add_f32_e32 v89, v85, v86
	ds_read_b128 v[85:88], v60 offset:352
	v_add_f32_e32 v61, v61, v62
	v_mul_f32_e32 v62, v72, v120
	v_fma_f32 v62, v71, v129, -v62
	s_waitcnt vmcnt(33)
	v_mul_f32_e32 v90, v83, v137
	v_add_f32_e32 v61, v61, v62
	v_mul_f32_e32 v62, v74, v121
	s_waitcnt vmcnt(32)
	v_fmac_f32_e32 v90, v84, v138
	v_fma_f32 v62, v73, v130, -v62
	v_add_f32_e32 v93, v89, v90
	ds_read_b128 v[89:92], v60 offset:368
	v_add_f32_e32 v61, v61, v62
	v_mul_f32_e32 v62, v76, v122
	s_waitcnt vmcnt(31) lgkmcnt(1)
	v_mul_f32_e32 v94, v85, v139
	v_fma_f32 v62, v75, v131, -v62
	s_waitcnt vmcnt(30)
	v_fmac_f32_e32 v94, v86, v140
	v_add_f32_e32 v61, v61, v62
	v_mul_f32_e32 v62, v78, v123
	v_add_f32_e32 v93, v93, v94
	s_waitcnt vmcnt(29)
	v_mul_f32_e32 v94, v87, v141
	v_fma_f32 v62, v77, v132, -v62
	s_waitcnt vmcnt(28)
	v_fmac_f32_e32 v94, v88, v142
	v_add_f32_e32 v61, v61, v62
	v_mul_f32_e32 v62, v80, v133
	v_add_f32_e32 v93, v93, v94
	s_waitcnt vmcnt(27) lgkmcnt(0)
	v_mul_f32_e32 v94, v89, v143
	v_fma_f32 v62, v79, v134, -v62
	s_waitcnt vmcnt(26)
	v_fmac_f32_e32 v94, v90, v144
	v_add_f32_e32 v61, v61, v62
	v_mul_f32_e32 v62, v82, v135
	v_add_f32_e32 v97, v93, v94
	ds_read_b128 v[93:96], v60 offset:384
	v_fma_f32 v62, v81, v136, -v62
	v_add_f32_e32 v61, v61, v62
	v_mul_f32_e32 v62, v84, v137
	s_waitcnt vmcnt(24)
	v_mul_f32_e32 v98, v91, v146
	v_fma_f32 v62, v83, v138, -v62
	v_fmac_f32_e32 v98, v92, v145
	v_add_f32_e32 v61, v61, v62
	v_mul_f32_e32 v62, v86, v139
	v_add_f32_e32 v101, v97, v98
	ds_read_b128 v[97:100], v60 offset:400
	v_fma_f32 v62, v85, v140, -v62
	s_waitcnt vmcnt(21) lgkmcnt(1)
	v_mul_f32_e32 v102, v93, v149
	v_add_f32_e32 v61, v61, v62
	v_mul_f32_e32 v62, v88, v141
	s_waitcnt vmcnt(20)
	v_fmac_f32_e32 v102, v94, v150
	v_fma_f32 v62, v87, v142, -v62
	v_add_f32_e32 v101, v101, v102
	s_waitcnt vmcnt(18)
	v_mul_f32_e32 v102, v95, v152
	v_add_f32_e32 v61, v61, v62
	v_mul_f32_e32 v62, v90, v143
	v_fmac_f32_e32 v102, v96, v151
	v_fma_f32 v62, v89, v144, -v62
	v_add_f32_e32 v101, v101, v102
	s_waitcnt vmcnt(16) lgkmcnt(0)
	v_mul_f32_e32 v102, v97, v154
	v_add_f32_e32 v61, v61, v62
	v_mul_f32_e32 v62, v92, v146
	v_fmac_f32_e32 v102, v98, v153
	v_fma_f32 v62, v91, v145, -v62
	v_add_f32_e32 v105, v101, v102
	ds_read_b128 v[101:104], v60 offset:416
	v_add_f32_e32 v61, v61, v62
	v_mul_f32_e32 v62, v94, v149
	v_fma_f32 v62, v93, v150, -v62
	s_waitcnt vmcnt(14)
	v_mul_f32_e32 v106, v99, v156
	v_add_f32_e32 v61, v61, v62
	v_mul_f32_e32 v62, v96, v152
	v_fmac_f32_e32 v106, v100, v155
	v_fma_f32 v62, v95, v151, -v62
	v_add_f32_e32 v109, v105, v106
	ds_read_b128 v[105:108], v60 offset:432
	v_add_f32_e32 v61, v61, v62
	v_mul_f32_e32 v62, v98, v154
	s_waitcnt vmcnt(12) lgkmcnt(1)
	v_mul_f32_e32 v110, v101, v158
	v_fma_f32 v62, v97, v153, -v62
	v_fmac_f32_e32 v110, v102, v157
	v_add_f32_e32 v61, v61, v62
	v_mul_f32_e32 v62, v100, v156
	v_add_f32_e32 v109, v109, v110
	s_waitcnt vmcnt(10)
	v_mul_f32_e32 v110, v103, v160
	v_fma_f32 v62, v99, v155, -v62
	v_fmac_f32_e32 v110, v104, v159
	v_add_f32_e32 v61, v61, v62
	v_mul_f32_e32 v62, v102, v158
	v_add_f32_e32 v109, v109, v110
	s_waitcnt vmcnt(8) lgkmcnt(0)
	v_mul_f32_e32 v110, v105, v162
	v_fma_f32 v62, v101, v157, -v62
	v_fmac_f32_e32 v110, v106, v161
	v_add_f32_e32 v61, v61, v62
	v_mul_f32_e32 v62, v104, v160
	v_add_f32_e32 v113, v109, v110
	ds_read_b128 v[109:112], v60 offset:448
	v_fma_f32 v62, v103, v159, -v62
	v_add_f32_e32 v61, v61, v62
	v_mul_f32_e32 v62, v106, v162
	s_waitcnt vmcnt(6)
	v_mul_f32_e32 v114, v107, v164
	v_fma_f32 v62, v105, v161, -v62
	v_fmac_f32_e32 v114, v108, v163
	v_add_f32_e32 v61, v61, v62
	v_mul_f32_e32 v62, v108, v164
	v_add_f32_e32 v171, v113, v114
	ds_read_b64 v[113:114], v60 offset:464
	v_fma_f32 v62, v107, v163, -v62
	v_add_f32_e32 v61, v61, v62
	s_waitcnt vmcnt(4) lgkmcnt(1)
	v_mul_f32_e32 v62, v110, v166
	v_mul_f32_e32 v172, v109, v166
	v_fma_f32 v62, v109, v165, -v62
	v_fmac_f32_e32 v172, v110, v165
	v_add_f32_e32 v61, v61, v62
	s_waitcnt vmcnt(2)
	v_mul_f32_e32 v62, v112, v168
	v_add_f32_e32 v171, v171, v172
	v_mul_f32_e32 v172, v111, v168
	v_fma_f32 v62, v111, v167, -v62
	v_fmac_f32_e32 v172, v112, v167
	v_add_f32_e32 v61, v61, v62
	s_waitcnt vmcnt(0) lgkmcnt(0)
	v_mul_f32_e32 v62, v114, v170
	v_add_f32_e32 v171, v171, v172
	v_mul_f32_e32 v172, v113, v170
	v_fma_f32 v62, v113, v169, -v62
	v_fmac_f32_e32 v172, v114, v169
	v_add_f32_e32 v61, v61, v62
	v_add_f32_e32 v171, v171, v172
	v_sub_f32_e32 v61, v147, v61
	v_sub_f32_e32 v62, v148, v171
	buffer_store_dword v61, off, s[0:3], 0 offset:8
	buffer_store_dword v62, off, s[0:3], 0 offset:12
	s_and_saveexec_b64 s[4:5], vcc
	s_cbranch_execz .LBB28_187
; %bb.186:
	buffer_load_dword v61, off, s[0:3], 0
	buffer_load_dword v62, off, s[0:3], 0 offset:4
	s_waitcnt vmcnt(0)
	ds_write_b64 v59, v[61:62]
	buffer_store_dword v60, off, s[0:3], 0
	buffer_store_dword v60, off, s[0:3], 0 offset:4
.LBB28_187:
	s_or_b64 exec, exec, s[4:5]
	s_waitcnt lgkmcnt(0)
	; wave barrier
	buffer_load_dword v0, off, s[0:3], 0 offset:12
	buffer_load_dword v59, off, s[0:3], 0 offset:20
	;; [unrolled: 1-line block ×30, first 2 shown]
	buffer_load_dword v145, off, s[0:3], 0
	buffer_load_dword v146, off, s[0:3], 0 offset:4
	buffer_load_dword v147, off, s[0:3], 0 offset:132
	buffer_load_dword v148, off, s[0:3], 0 offset:128
	ds_read2_b64 v[61:64], v60 offset0:31 offset1:32
	ds_read2_b64 v[65:68], v60 offset0:33 offset1:34
	buffer_load_dword v149, off, s[0:3], 0 offset:140
	buffer_load_dword v150, off, s[0:3], 0 offset:136
	;; [unrolled: 1-line block ×6, first 2 shown]
	ds_read2_b64 v[69:72], v60 offset0:35 offset1:36
	ds_read2_b64 v[73:76], v60 offset0:37 offset1:38
	;; [unrolled: 1-line block ×4, first 2 shown]
	buffer_load_dword v155, off, s[0:3], 0 offset:164
	buffer_load_dword v156, off, s[0:3], 0 offset:160
	;; [unrolled: 1-line block ×18, first 2 shown]
	s_and_b64 vcc, exec, s[22:23]
	s_waitcnt vmcnt(57) lgkmcnt(5)
	v_mul_f32_e32 v85, v61, v0
	s_waitcnt vmcnt(56)
	v_mul_f32_e32 v86, v63, v59
	s_waitcnt vmcnt(55) lgkmcnt(4)
	v_mul_f32_e32 v87, v65, v117
	s_waitcnt vmcnt(54)
	v_mul_f32_e32 v88, v67, v118
	;; [unrolled: 4-line block ×3, first 2 shown]
	v_mul_f32_e32 v0, v62, v0
	s_waitcnt vmcnt(51) lgkmcnt(2)
	v_mul_f32_e32 v91, v73, v121
	s_waitcnt vmcnt(49)
	v_fmac_f32_e32 v85, v62, v123
	s_waitcnt vmcnt(48)
	v_fmac_f32_e32 v86, v64, v124
	v_add_f32_e32 v85, 0, v85
	s_waitcnt vmcnt(47)
	v_fmac_f32_e32 v87, v66, v125
	v_add_f32_e32 v85, v85, v86
	;; [unrolled: 3-line block ×5, first 2 shown]
	v_fma_f32 v0, v61, v123, -v0
	v_mul_f32_e32 v59, v64, v59
	v_mul_f32_e32 v92, v75, v122
	s_waitcnt vmcnt(43)
	v_fmac_f32_e32 v91, v74, v129
	v_add_f32_e32 v85, v85, v90
	v_add_f32_e32 v0, 0, v0
	v_fma_f32 v59, v63, v124, -v59
	s_waitcnt vmcnt(42)
	v_fmac_f32_e32 v92, v76, v130
	v_add_f32_e32 v85, v85, v91
	s_waitcnt vmcnt(41) lgkmcnt(1)
	v_mul_f32_e32 v86, v77, v131
	v_add_f32_e32 v0, v0, v59
	v_mul_f32_e32 v59, v66, v117
	v_add_f32_e32 v85, v85, v92
	s_waitcnt vmcnt(40)
	v_fmac_f32_e32 v86, v78, v132
	v_fma_f32 v59, v65, v125, -v59
	v_add_f32_e32 v85, v85, v86
	s_waitcnt vmcnt(39)
	v_mul_f32_e32 v86, v79, v133
	v_add_f32_e32 v0, v0, v59
	v_mul_f32_e32 v59, v68, v118
	s_waitcnt vmcnt(38)
	v_fmac_f32_e32 v86, v80, v134
	v_fma_f32 v59, v67, v126, -v59
	v_add_f32_e32 v85, v85, v86
	s_waitcnt vmcnt(37) lgkmcnt(0)
	v_mul_f32_e32 v86, v81, v135
	v_add_f32_e32 v0, v0, v59
	v_mul_f32_e32 v59, v70, v119
	s_waitcnt vmcnt(36)
	v_fmac_f32_e32 v86, v82, v136
	v_fma_f32 v59, v69, v127, -v59
	v_add_f32_e32 v89, v85, v86
	ds_read2_b64 v[85:88], v60 offset0:43 offset1:44
	v_add_f32_e32 v0, v0, v59
	v_mul_f32_e32 v59, v72, v120
	v_fma_f32 v59, v71, v128, -v59
	s_waitcnt vmcnt(35)
	v_mul_f32_e32 v90, v83, v137
	v_add_f32_e32 v0, v0, v59
	v_mul_f32_e32 v59, v74, v121
	s_waitcnt vmcnt(34)
	v_fmac_f32_e32 v90, v84, v138
	v_fma_f32 v59, v73, v129, -v59
	v_add_f32_e32 v93, v89, v90
	ds_read2_b64 v[89:92], v60 offset0:45 offset1:46
	v_add_f32_e32 v0, v0, v59
	v_mul_f32_e32 v59, v76, v122
	s_waitcnt vmcnt(33) lgkmcnt(1)
	v_mul_f32_e32 v94, v85, v139
	v_fma_f32 v59, v75, v130, -v59
	s_waitcnt vmcnt(32)
	v_fmac_f32_e32 v94, v86, v140
	v_add_f32_e32 v0, v0, v59
	v_mul_f32_e32 v59, v78, v131
	v_add_f32_e32 v93, v93, v94
	s_waitcnt vmcnt(31)
	v_mul_f32_e32 v94, v87, v141
	v_fma_f32 v59, v77, v132, -v59
	s_waitcnt vmcnt(30)
	v_fmac_f32_e32 v94, v88, v142
	v_add_f32_e32 v0, v0, v59
	v_mul_f32_e32 v59, v80, v133
	v_add_f32_e32 v93, v93, v94
	s_waitcnt vmcnt(29) lgkmcnt(0)
	v_mul_f32_e32 v94, v89, v143
	v_fma_f32 v59, v79, v134, -v59
	s_waitcnt vmcnt(28)
	v_fmac_f32_e32 v94, v90, v144
	v_add_f32_e32 v0, v0, v59
	v_mul_f32_e32 v59, v82, v135
	v_add_f32_e32 v97, v93, v94
	ds_read2_b64 v[93:96], v60 offset0:47 offset1:48
	v_fma_f32 v59, v81, v136, -v59
	v_add_f32_e32 v0, v0, v59
	v_mul_f32_e32 v59, v84, v137
	s_waitcnt vmcnt(25)
	v_mul_f32_e32 v98, v91, v147
	v_fma_f32 v59, v83, v138, -v59
	s_waitcnt vmcnt(24)
	v_fmac_f32_e32 v98, v92, v148
	v_add_f32_e32 v0, v0, v59
	v_mul_f32_e32 v59, v86, v139
	v_add_f32_e32 v101, v97, v98
	ds_read2_b64 v[97:100], v60 offset0:49 offset1:50
	v_fma_f32 v59, v85, v140, -v59
	s_waitcnt vmcnt(23) lgkmcnt(1)
	v_mul_f32_e32 v102, v93, v149
	v_add_f32_e32 v0, v0, v59
	v_mul_f32_e32 v59, v88, v141
	s_waitcnt vmcnt(22)
	v_fmac_f32_e32 v102, v94, v150
	v_fma_f32 v59, v87, v142, -v59
	v_add_f32_e32 v101, v101, v102
	s_waitcnt vmcnt(20)
	v_mul_f32_e32 v102, v95, v152
	v_add_f32_e32 v0, v0, v59
	v_mul_f32_e32 v59, v90, v143
	v_fmac_f32_e32 v102, v96, v151
	v_fma_f32 v59, v89, v144, -v59
	v_add_f32_e32 v101, v101, v102
	s_waitcnt vmcnt(18) lgkmcnt(0)
	v_mul_f32_e32 v102, v97, v154
	v_add_f32_e32 v0, v0, v59
	v_mul_f32_e32 v59, v92, v147
	v_fmac_f32_e32 v102, v98, v153
	v_fma_f32 v59, v91, v148, -v59
	v_add_f32_e32 v105, v101, v102
	ds_read2_b64 v[101:104], v60 offset0:51 offset1:52
	v_add_f32_e32 v0, v0, v59
	v_mul_f32_e32 v59, v94, v149
	v_fma_f32 v59, v93, v150, -v59
	s_waitcnt vmcnt(17)
	v_mul_f32_e32 v106, v99, v155
	v_add_f32_e32 v0, v0, v59
	v_mul_f32_e32 v59, v96, v152
	s_waitcnt vmcnt(16)
	v_fmac_f32_e32 v106, v100, v156
	v_fma_f32 v59, v95, v151, -v59
	v_add_f32_e32 v109, v105, v106
	ds_read2_b64 v[105:108], v60 offset0:53 offset1:54
	v_add_f32_e32 v0, v0, v59
	v_mul_f32_e32 v59, v98, v154
	s_waitcnt vmcnt(14) lgkmcnt(1)
	v_mul_f32_e32 v110, v101, v158
	v_fma_f32 v59, v97, v153, -v59
	v_fmac_f32_e32 v110, v102, v157
	v_add_f32_e32 v0, v0, v59
	v_mul_f32_e32 v59, v100, v155
	v_add_f32_e32 v109, v109, v110
	s_waitcnt vmcnt(12)
	v_mul_f32_e32 v110, v103, v160
	v_fma_f32 v59, v99, v156, -v59
	v_fmac_f32_e32 v110, v104, v159
	v_add_f32_e32 v0, v0, v59
	v_mul_f32_e32 v59, v102, v158
	v_add_f32_e32 v109, v109, v110
	s_waitcnt vmcnt(10) lgkmcnt(0)
	v_mul_f32_e32 v110, v105, v162
	v_fma_f32 v59, v101, v157, -v59
	v_fmac_f32_e32 v110, v106, v161
	v_add_f32_e32 v0, v0, v59
	v_mul_f32_e32 v59, v104, v160
	v_add_f32_e32 v113, v109, v110
	ds_read2_b64 v[109:112], v60 offset0:55 offset1:56
	v_fma_f32 v59, v103, v159, -v59
	v_add_f32_e32 v0, v0, v59
	v_mul_f32_e32 v59, v106, v162
	s_waitcnt vmcnt(8)
	v_mul_f32_e32 v114, v107, v164
	v_fma_f32 v59, v105, v161, -v59
	v_fmac_f32_e32 v114, v108, v163
	v_add_f32_e32 v0, v0, v59
	v_mul_f32_e32 v59, v108, v164
	v_add_f32_e32 v173, v113, v114
	ds_read2_b64 v[113:116], v60 offset0:57 offset1:58
	v_fma_f32 v59, v107, v163, -v59
	v_add_f32_e32 v0, v0, v59
	s_waitcnt vmcnt(6) lgkmcnt(1)
	v_mul_f32_e32 v59, v110, v166
	v_mul_f32_e32 v60, v109, v166
	v_fma_f32 v59, v109, v165, -v59
	v_fmac_f32_e32 v60, v110, v165
	v_add_f32_e32 v0, v0, v59
	s_waitcnt vmcnt(4)
	v_mul_f32_e32 v59, v112, v168
	v_add_f32_e32 v60, v173, v60
	v_mul_f32_e32 v173, v111, v168
	v_fma_f32 v59, v111, v167, -v59
	v_fmac_f32_e32 v173, v112, v167
	v_add_f32_e32 v0, v0, v59
	s_waitcnt vmcnt(2) lgkmcnt(0)
	v_mul_f32_e32 v59, v114, v170
	v_add_f32_e32 v60, v60, v173
	v_mul_f32_e32 v173, v113, v170
	v_fma_f32 v59, v113, v169, -v59
	v_fmac_f32_e32 v173, v114, v169
	v_add_f32_e32 v0, v0, v59
	s_waitcnt vmcnt(0)
	v_mul_f32_e32 v59, v116, v172
	v_add_f32_e32 v60, v60, v173
	v_mul_f32_e32 v173, v115, v172
	v_fma_f32 v59, v115, v171, -v59
	v_fmac_f32_e32 v173, v116, v171
	v_add_f32_e32 v0, v0, v59
	v_add_f32_e32 v60, v60, v173
	v_sub_f32_e32 v0, v145, v0
	v_sub_f32_e32 v59, v146, v60
	buffer_store_dword v0, off, s[0:3], 0
	buffer_store_dword v59, off, s[0:3], 0 offset:4
	s_cbranch_vccz .LBB28_244
; %bb.188:
	v_mov_b32_e32 v0, 0
	global_load_dword v59, v0, s[20:21] offset:108
	s_waitcnt vmcnt(0)
	v_add_u32_e32 v59, -1, v59
	v_cmp_ne_u32_e32 vcc, 27, v59
	s_cbranch_vccz .LBB28_190
; %bb.189:
	v_lshlrev_b32_e32 v59, 3, v59
	buffer_load_dword v60, v59, s[0:3], 0 offen
	buffer_load_dword v61, v59, s[0:3], 0 offen offset:4
	buffer_load_dword v62, off, s[0:3], 0 offset:216
	buffer_load_dword v63, off, s[0:3], 0 offset:220
	s_waitcnt vmcnt(3)
	buffer_store_dword v60, off, s[0:3], 0 offset:216
	s_waitcnt vmcnt(3)
	buffer_store_dword v61, off, s[0:3], 0 offset:220
	s_waitcnt vmcnt(3)
	buffer_store_dword v62, v59, s[0:3], 0 offen
	s_waitcnt vmcnt(3)
	buffer_store_dword v63, v59, s[0:3], 0 offen offset:4
.LBB28_190:
	global_load_dword v0, v0, s[20:21] offset:104
	s_waitcnt vmcnt(0)
	v_add_u32_e32 v0, -1, v0
	v_cmp_eq_u32_e32 vcc, 26, v0
	s_cbranch_vccnz .LBB28_192
; %bb.191:
	v_lshlrev_b32_e32 v0, 3, v0
	buffer_load_dword v59, v0, s[0:3], 0 offen
	buffer_load_dword v60, v0, s[0:3], 0 offen offset:4
	buffer_load_dword v61, off, s[0:3], 0 offset:212
	buffer_load_dword v62, off, s[0:3], 0 offset:208
	s_waitcnt vmcnt(3)
	buffer_store_dword v59, off, s[0:3], 0 offset:208
	s_waitcnt vmcnt(3)
	buffer_store_dword v60, off, s[0:3], 0 offset:212
	s_waitcnt vmcnt(3)
	buffer_store_dword v61, v0, s[0:3], 0 offen offset:4
	s_waitcnt vmcnt(3)
	buffer_store_dword v62, v0, s[0:3], 0 offen
.LBB28_192:
	v_mov_b32_e32 v0, 0
	global_load_dword v59, v0, s[20:21] offset:100
	s_waitcnt vmcnt(0)
	v_add_u32_e32 v59, -1, v59
	v_cmp_eq_u32_e32 vcc, 25, v59
	s_cbranch_vccnz .LBB28_194
; %bb.193:
	v_lshlrev_b32_e32 v59, 3, v59
	buffer_load_dword v60, v59, s[0:3], 0 offen
	buffer_load_dword v61, v59, s[0:3], 0 offen offset:4
	buffer_load_dword v62, off, s[0:3], 0 offset:200
	buffer_load_dword v63, off, s[0:3], 0 offset:204
	s_waitcnt vmcnt(3)
	buffer_store_dword v60, off, s[0:3], 0 offset:200
	s_waitcnt vmcnt(3)
	buffer_store_dword v61, off, s[0:3], 0 offset:204
	s_waitcnt vmcnt(3)
	buffer_store_dword v62, v59, s[0:3], 0 offen
	s_waitcnt vmcnt(3)
	buffer_store_dword v63, v59, s[0:3], 0 offen offset:4
.LBB28_194:
	global_load_dword v0, v0, s[20:21] offset:96
	s_waitcnt vmcnt(0)
	v_add_u32_e32 v0, -1, v0
	v_cmp_eq_u32_e32 vcc, 24, v0
	s_cbranch_vccnz .LBB28_196
; %bb.195:
	v_lshlrev_b32_e32 v0, 3, v0
	buffer_load_dword v59, v0, s[0:3], 0 offen
	buffer_load_dword v60, v0, s[0:3], 0 offen offset:4
	buffer_load_dword v61, off, s[0:3], 0 offset:196
	buffer_load_dword v62, off, s[0:3], 0 offset:192
	s_waitcnt vmcnt(3)
	buffer_store_dword v59, off, s[0:3], 0 offset:192
	s_waitcnt vmcnt(3)
	buffer_store_dword v60, off, s[0:3], 0 offset:196
	s_waitcnt vmcnt(3)
	buffer_store_dword v61, v0, s[0:3], 0 offen offset:4
	s_waitcnt vmcnt(3)
	buffer_store_dword v62, v0, s[0:3], 0 offen
.LBB28_196:
	v_mov_b32_e32 v0, 0
	global_load_dword v59, v0, s[20:21] offset:92
	s_waitcnt vmcnt(0)
	v_add_u32_e32 v59, -1, v59
	v_cmp_eq_u32_e32 vcc, 23, v59
	s_cbranch_vccnz .LBB28_198
; %bb.197:
	v_lshlrev_b32_e32 v59, 3, v59
	buffer_load_dword v60, v59, s[0:3], 0 offen
	buffer_load_dword v61, v59, s[0:3], 0 offen offset:4
	buffer_load_dword v62, off, s[0:3], 0 offset:184
	buffer_load_dword v63, off, s[0:3], 0 offset:188
	s_waitcnt vmcnt(3)
	buffer_store_dword v60, off, s[0:3], 0 offset:184
	s_waitcnt vmcnt(3)
	buffer_store_dword v61, off, s[0:3], 0 offset:188
	s_waitcnt vmcnt(3)
	buffer_store_dword v62, v59, s[0:3], 0 offen
	s_waitcnt vmcnt(3)
	buffer_store_dword v63, v59, s[0:3], 0 offen offset:4
.LBB28_198:
	;; [unrolled: 41-line block ×13, first 2 shown]
	global_load_dword v0, v0, s[20:21]
	s_waitcnt vmcnt(0)
	v_add_u32_e32 v0, -1, v0
	v_cmp_eq_u32_e32 vcc, 0, v0
	s_cbranch_vccnz .LBB28_244
; %bb.243:
	v_lshlrev_b32_e32 v0, 3, v0
	buffer_load_dword v59, v0, s[0:3], 0 offen
	buffer_load_dword v60, v0, s[0:3], 0 offen offset:4
	buffer_load_dword v61, off, s[0:3], 0 offset:4
	buffer_load_dword v62, off, s[0:3], 0
	s_waitcnt vmcnt(3)
	buffer_store_dword v59, off, s[0:3], 0
	s_waitcnt vmcnt(3)
	buffer_store_dword v60, off, s[0:3], 0 offset:4
	s_waitcnt vmcnt(3)
	buffer_store_dword v61, v0, s[0:3], 0 offen offset:4
	s_waitcnt vmcnt(3)
	buffer_store_dword v62, v0, s[0:3], 0 offen
.LBB28_244:
	buffer_load_dword v59, off, s[0:3], 0
	buffer_load_dword v60, off, s[0:3], 0 offset:4
	buffer_load_dword v61, off, s[0:3], 0 offset:8
	s_nop 0
	buffer_load_dword v62, off, s[0:3], 0 offset:12
	buffer_load_dword v63, off, s[0:3], 0 offset:16
	;; [unrolled: 1-line block ×55, first 2 shown]
	s_waitcnt vmcnt(56)
	global_store_dwordx2 v[1:2], v[59:60], off
	s_waitcnt vmcnt(55)
	global_store_dwordx2 v[3:4], v[61:62], off
	;; [unrolled: 2-line block ×9, first 2 shown]
	global_store_dwordx2 v[19:20], v[77:78], off
	global_store_dwordx2 v[21:22], v[79:80], off
	;; [unrolled: 1-line block ×3, first 2 shown]
	s_waitcnt vmcnt(44)
	global_store_dwordx2 v[25:26], v[83:84], off
	s_waitcnt vmcnt(43)
	global_store_dwordx2 v[27:28], v[85:86], off
	;; [unrolled: 2-line block ×17, first 2 shown]
	s_endpgm
	.section	.rodata,"a",@progbits
	.p2align	6, 0x0
	.amdhsa_kernel _ZN9rocsolver6v33100L18getri_kernel_smallILi29E19rocblas_complex_numIfEPS3_EEvT1_iilPiilS6_bb
		.amdhsa_group_segment_fixed_size 472
		.amdhsa_private_segment_fixed_size 240
		.amdhsa_kernarg_size 60
		.amdhsa_user_sgpr_count 6
		.amdhsa_user_sgpr_private_segment_buffer 1
		.amdhsa_user_sgpr_dispatch_ptr 0
		.amdhsa_user_sgpr_queue_ptr 0
		.amdhsa_user_sgpr_kernarg_segment_ptr 1
		.amdhsa_user_sgpr_dispatch_id 0
		.amdhsa_user_sgpr_flat_scratch_init 0
		.amdhsa_user_sgpr_private_segment_size 0
		.amdhsa_uses_dynamic_stack 0
		.amdhsa_system_sgpr_private_segment_wavefront_offset 1
		.amdhsa_system_sgpr_workgroup_id_x 1
		.amdhsa_system_sgpr_workgroup_id_y 0
		.amdhsa_system_sgpr_workgroup_id_z 0
		.amdhsa_system_sgpr_workgroup_info 0
		.amdhsa_system_vgpr_workitem_id 0
		.amdhsa_next_free_vgpr 174
		.amdhsa_next_free_sgpr 24
		.amdhsa_reserve_vcc 1
		.amdhsa_reserve_flat_scratch 0
		.amdhsa_float_round_mode_32 0
		.amdhsa_float_round_mode_16_64 0
		.amdhsa_float_denorm_mode_32 3
		.amdhsa_float_denorm_mode_16_64 3
		.amdhsa_dx10_clamp 1
		.amdhsa_ieee_mode 1
		.amdhsa_fp16_overflow 0
		.amdhsa_exception_fp_ieee_invalid_op 0
		.amdhsa_exception_fp_denorm_src 0
		.amdhsa_exception_fp_ieee_div_zero 0
		.amdhsa_exception_fp_ieee_overflow 0
		.amdhsa_exception_fp_ieee_underflow 0
		.amdhsa_exception_fp_ieee_inexact 0
		.amdhsa_exception_int_div_zero 0
	.end_amdhsa_kernel
	.section	.text._ZN9rocsolver6v33100L18getri_kernel_smallILi29E19rocblas_complex_numIfEPS3_EEvT1_iilPiilS6_bb,"axG",@progbits,_ZN9rocsolver6v33100L18getri_kernel_smallILi29E19rocblas_complex_numIfEPS3_EEvT1_iilPiilS6_bb,comdat
.Lfunc_end28:
	.size	_ZN9rocsolver6v33100L18getri_kernel_smallILi29E19rocblas_complex_numIfEPS3_EEvT1_iilPiilS6_bb, .Lfunc_end28-_ZN9rocsolver6v33100L18getri_kernel_smallILi29E19rocblas_complex_numIfEPS3_EEvT1_iilPiilS6_bb
                                        ; -- End function
	.set _ZN9rocsolver6v33100L18getri_kernel_smallILi29E19rocblas_complex_numIfEPS3_EEvT1_iilPiilS6_bb.num_vgpr, 174
	.set _ZN9rocsolver6v33100L18getri_kernel_smallILi29E19rocblas_complex_numIfEPS3_EEvT1_iilPiilS6_bb.num_agpr, 0
	.set _ZN9rocsolver6v33100L18getri_kernel_smallILi29E19rocblas_complex_numIfEPS3_EEvT1_iilPiilS6_bb.numbered_sgpr, 24
	.set _ZN9rocsolver6v33100L18getri_kernel_smallILi29E19rocblas_complex_numIfEPS3_EEvT1_iilPiilS6_bb.num_named_barrier, 0
	.set _ZN9rocsolver6v33100L18getri_kernel_smallILi29E19rocblas_complex_numIfEPS3_EEvT1_iilPiilS6_bb.private_seg_size, 240
	.set _ZN9rocsolver6v33100L18getri_kernel_smallILi29E19rocblas_complex_numIfEPS3_EEvT1_iilPiilS6_bb.uses_vcc, 1
	.set _ZN9rocsolver6v33100L18getri_kernel_smallILi29E19rocblas_complex_numIfEPS3_EEvT1_iilPiilS6_bb.uses_flat_scratch, 0
	.set _ZN9rocsolver6v33100L18getri_kernel_smallILi29E19rocblas_complex_numIfEPS3_EEvT1_iilPiilS6_bb.has_dyn_sized_stack, 0
	.set _ZN9rocsolver6v33100L18getri_kernel_smallILi29E19rocblas_complex_numIfEPS3_EEvT1_iilPiilS6_bb.has_recursion, 0
	.set _ZN9rocsolver6v33100L18getri_kernel_smallILi29E19rocblas_complex_numIfEPS3_EEvT1_iilPiilS6_bb.has_indirect_call, 0
	.section	.AMDGPU.csdata,"",@progbits
; Kernel info:
; codeLenInByte = 38144
; TotalNumSgprs: 28
; NumVgprs: 174
; ScratchSize: 240
; MemoryBound: 0
; FloatMode: 240
; IeeeMode: 1
; LDSByteSize: 472 bytes/workgroup (compile time only)
; SGPRBlocks: 3
; VGPRBlocks: 43
; NumSGPRsForWavesPerEU: 28
; NumVGPRsForWavesPerEU: 174
; Occupancy: 1
; WaveLimiterHint : 1
; COMPUTE_PGM_RSRC2:SCRATCH_EN: 1
; COMPUTE_PGM_RSRC2:USER_SGPR: 6
; COMPUTE_PGM_RSRC2:TRAP_HANDLER: 0
; COMPUTE_PGM_RSRC2:TGID_X_EN: 1
; COMPUTE_PGM_RSRC2:TGID_Y_EN: 0
; COMPUTE_PGM_RSRC2:TGID_Z_EN: 0
; COMPUTE_PGM_RSRC2:TIDIG_COMP_CNT: 0
	.section	.text._ZN9rocsolver6v33100L18getri_kernel_smallILi30E19rocblas_complex_numIfEPS3_EEvT1_iilPiilS6_bb,"axG",@progbits,_ZN9rocsolver6v33100L18getri_kernel_smallILi30E19rocblas_complex_numIfEPS3_EEvT1_iilPiilS6_bb,comdat
	.globl	_ZN9rocsolver6v33100L18getri_kernel_smallILi30E19rocblas_complex_numIfEPS3_EEvT1_iilPiilS6_bb ; -- Begin function _ZN9rocsolver6v33100L18getri_kernel_smallILi30E19rocblas_complex_numIfEPS3_EEvT1_iilPiilS6_bb
	.p2align	8
	.type	_ZN9rocsolver6v33100L18getri_kernel_smallILi30E19rocblas_complex_numIfEPS3_EEvT1_iilPiilS6_bb,@function
_ZN9rocsolver6v33100L18getri_kernel_smallILi30E19rocblas_complex_numIfEPS3_EEvT1_iilPiilS6_bb: ; @_ZN9rocsolver6v33100L18getri_kernel_smallILi30E19rocblas_complex_numIfEPS3_EEvT1_iilPiilS6_bb
; %bb.0:
	s_add_u32 s0, s0, s7
	s_addc_u32 s1, s1, 0
	v_cmp_gt_u32_e32 vcc, 30, v0
	s_and_saveexec_b64 s[8:9], vcc
	s_cbranch_execz .LBB29_134
; %bb.1:
	s_load_dword s12, s[4:5], 0x38
	s_load_dwordx4 s[16:19], s[4:5], 0x10
	s_load_dwordx4 s[8:11], s[4:5], 0x28
                                        ; implicit-def: $sgpr20_sgpr21
	s_waitcnt lgkmcnt(0)
	s_bitcmp1_b32 s12, 8
	s_cselect_b64 s[22:23], -1, 0
	s_ashr_i32 s7, s6, 31
	s_bfe_u32 s12, s12, 0x10008
	s_cmp_eq_u32 s12, 0
	s_cbranch_scc1 .LBB29_3
; %bb.2:
	s_load_dword s12, s[4:5], 0x20
	s_mul_i32 s13, s8, s7
	s_mul_hi_u32 s14, s8, s6
	s_mul_i32 s9, s9, s6
	s_add_i32 s14, s14, s13
	s_add_i32 s9, s14, s9
	s_mul_i32 s8, s8, s6
	s_waitcnt lgkmcnt(0)
	s_ashr_i32 s13, s12, 31
	s_lshl_b64 s[8:9], s[8:9], 2
	s_add_u32 s14, s18, s8
	s_addc_u32 s15, s19, s9
	s_lshl_b64 s[8:9], s[12:13], 2
	s_add_u32 s20, s14, s8
	s_addc_u32 s21, s15, s9
.LBB29_3:
	s_load_dwordx4 s[12:15], s[4:5], 0x0
	s_load_dword s8, s[4:5], 0x38
	s_mul_i32 s9, s16, s7
	s_mul_hi_u32 s18, s16, s6
	s_add_i32 s9, s18, s9
	s_waitcnt lgkmcnt(0)
	s_ashr_i32 s5, s14, 31
	s_mov_b32 s4, s14
	s_mul_i32 s14, s17, s6
	s_add_i32 s17, s9, s14
	s_mul_i32 s16, s16, s6
	s_lshl_b64 s[16:17], s[16:17], 3
	s_add_u32 s9, s12, s16
	s_addc_u32 s12, s13, s17
	s_lshl_b64 s[4:5], s[4:5], 3
	s_add_u32 s4, s9, s4
	s_addc_u32 s5, s12, s5
	v_lshlrev_b32_e32 v79, 3, v0
	s_add_i32 s9, s15, s15
	v_mov_b32_e32 v2, s5
	v_add_co_u32_e32 v1, vcc, s4, v79
	s_ashr_i32 s13, s15, 31
	s_mov_b32 s12, s15
	v_add_u32_e32 v7, s9, v0
	v_addc_co_u32_e32 v2, vcc, 0, v2, vcc
	s_lshl_b64 s[12:13], s[12:13], 3
	v_ashrrev_i32_e32 v8, 31, v7
	v_mov_b32_e32 v4, s13
	v_add_co_u32_e32 v3, vcc, s12, v1
	v_lshlrev_b64 v[5:6], 3, v[7:8]
	v_addc_co_u32_e32 v4, vcc, v2, v4, vcc
	v_add_u32_e32 v9, s15, v7
	v_mov_b32_e32 v8, s5
	v_add_co_u32_e32 v5, vcc, s4, v5
	v_ashrrev_i32_e32 v10, 31, v9
	v_addc_co_u32_e32 v6, vcc, v8, v6, vcc
	v_lshlrev_b64 v[7:8], 3, v[9:10]
	v_add_u32_e32 v11, s15, v9
	v_mov_b32_e32 v10, s5
	v_add_co_u32_e32 v7, vcc, s4, v7
	v_ashrrev_i32_e32 v12, 31, v11
	v_addc_co_u32_e32 v8, vcc, v10, v8, vcc
	v_lshlrev_b64 v[9:10], 3, v[11:12]
	;; [unrolled: 6-line block ×26, first 2 shown]
	v_mov_b32_e32 v60, s5
	v_add_co_u32_e32 v57, vcc, s4, v57
	global_load_dwordx2 v[61:62], v79, s[4:5]
	global_load_dwordx2 v[69:70], v[3:4], off
	global_load_dwordx2 v[67:68], v[5:6], off
	global_load_dwordx2 v[65:66], v[7:8], off
	global_load_dwordx2 v[63:64], v[9:10], off
	global_load_dwordx2 v[77:78], v[11:12], off
	global_load_dwordx2 v[75:76], v[13:14], off
	global_load_dwordx2 v[73:74], v[15:16], off
	global_load_dwordx2 v[71:72], v[17:18], off
	global_load_dwordx2 v[80:81], v[19:20], off
	global_load_dwordx2 v[82:83], v[21:22], off
	global_load_dwordx2 v[84:85], v[23:24], off
	global_load_dwordx2 v[86:87], v[25:26], off
	global_load_dwordx2 v[88:89], v[27:28], off
	global_load_dwordx2 v[90:91], v[29:30], off
	global_load_dwordx2 v[92:93], v[31:32], off
	global_load_dwordx2 v[94:95], v[33:34], off
	global_load_dwordx2 v[96:97], v[35:36], off
	global_load_dwordx2 v[98:99], v[37:38], off
	global_load_dwordx2 v[100:101], v[39:40], off
	global_load_dwordx2 v[102:103], v[41:42], off
	global_load_dwordx2 v[104:105], v[43:44], off
	global_load_dwordx2 v[106:107], v[45:46], off
	global_load_dwordx2 v[108:109], v[47:48], off
	global_load_dwordx2 v[110:111], v[49:50], off
	v_addc_co_u32_e32 v58, vcc, v60, v58, vcc
	global_load_dwordx2 v[112:113], v[51:52], off
	global_load_dwordx2 v[114:115], v[53:54], off
	;; [unrolled: 1-line block ×4, first 2 shown]
	v_add_u32_e32 v59, s15, v59
	v_ashrrev_i32_e32 v60, 31, v59
	v_lshlrev_b64 v[59:60], 3, v[59:60]
	v_mov_b32_e32 v120, s5
	v_add_co_u32_e32 v59, vcc, s4, v59
	v_addc_co_u32_e32 v60, vcc, v120, v60, vcc
	global_load_dwordx2 v[120:121], v[59:60], off
	s_bitcmp0_b32 s8, 0
	s_mov_b64 s[8:9], -1
	s_waitcnt vmcnt(29)
	buffer_store_dword v62, off, s[0:3], 0 offset:4
	buffer_store_dword v61, off, s[0:3], 0
	s_waitcnt vmcnt(30)
	buffer_store_dword v70, off, s[0:3], 0 offset:12
	buffer_store_dword v69, off, s[0:3], 0 offset:8
	s_waitcnt vmcnt(31)
	buffer_store_dword v68, off, s[0:3], 0 offset:20
	buffer_store_dword v67, off, s[0:3], 0 offset:16
	;; [unrolled: 3-line block ×29, first 2 shown]
	s_cbranch_scc1 .LBB29_132
; %bb.4:
	v_cmp_eq_u32_e64 s[4:5], 0, v0
	s_and_saveexec_b64 s[8:9], s[4:5]
; %bb.5:
	v_mov_b32_e32 v61, 0
	ds_write_b32 v61, v61 offset:480
; %bb.6:
	s_or_b64 exec, exec, s[8:9]
	v_mov_b32_e32 v61, 0
	v_lshl_add_u32 v64, v0, 3, v61
	s_waitcnt lgkmcnt(0)
	; wave barrier
	buffer_load_dword v61, v64, s[0:3], 0 offen
	buffer_load_dword v62, v64, s[0:3], 0 offen offset:4
	s_waitcnt vmcnt(1)
	v_cmp_eq_f32_e32 vcc, 0, v61
	s_waitcnt vmcnt(0)
	v_cmp_eq_f32_e64 s[8:9], 0, v62
	s_and_b64 s[8:9], vcc, s[8:9]
	s_and_saveexec_b64 s[12:13], s[8:9]
	s_cbranch_execz .LBB29_10
; %bb.7:
	v_mov_b32_e32 v61, 0
	ds_read_b32 v63, v61 offset:480
	v_add_u32_e32 v62, 1, v0
	s_waitcnt lgkmcnt(0)
	v_readfirstlane_b32 s8, v63
	s_cmp_eq_u32 s8, 0
	s_cselect_b64 s[14:15], -1, 0
	v_cmp_gt_i32_e32 vcc, s8, v62
	s_or_b64 s[14:15], s[14:15], vcc
	s_and_b64 exec, exec, s[14:15]
	s_cbranch_execz .LBB29_10
; %bb.8:
	s_mov_b64 s[14:15], 0
	v_mov_b32_e32 v63, s8
.LBB29_9:                               ; =>This Inner Loop Header: Depth=1
	ds_cmpst_rtn_b32 v63, v61, v63, v62 offset:480
	s_waitcnt lgkmcnt(0)
	v_cmp_ne_u32_e32 vcc, 0, v63
	v_cmp_le_i32_e64 s[8:9], v63, v62
	s_and_b64 s[8:9], vcc, s[8:9]
	s_and_b64 s[8:9], exec, s[8:9]
	s_or_b64 s[14:15], s[8:9], s[14:15]
	s_andn2_b64 exec, exec, s[14:15]
	s_cbranch_execnz .LBB29_9
.LBB29_10:
	s_or_b64 exec, exec, s[12:13]
	v_mov_b32_e32 v62, 0
	; wave barrier
	ds_read_b32 v61, v62 offset:480
	s_and_saveexec_b64 s[8:9], s[4:5]
	s_cbranch_execz .LBB29_12
; %bb.11:
	s_lshl_b64 s[12:13], s[6:7], 2
	s_add_u32 s12, s10, s12
	s_addc_u32 s13, s11, s13
	s_waitcnt lgkmcnt(0)
	global_store_dword v62, v61, s[12:13]
.LBB29_12:
	s_or_b64 exec, exec, s[8:9]
	s_waitcnt lgkmcnt(0)
	v_cmp_ne_u32_e32 vcc, 0, v61
	s_mov_b64 s[8:9], 0
	s_cbranch_vccnz .LBB29_132
; %bb.13:
	buffer_load_dword v62, v64, s[0:3], 0 offen
	buffer_load_dword v63, v64, s[0:3], 0 offen offset:4
                                        ; implicit-def: $vgpr66
                                        ; implicit-def: $vgpr65
                                        ; implicit-def: $vgpr61
	s_waitcnt vmcnt(0)
	v_cmp_ngt_f32_e64 s[8:9], |v62|, |v63|
	s_and_saveexec_b64 s[12:13], s[8:9]
	s_xor_b64 s[8:9], exec, s[12:13]
	s_cbranch_execz .LBB29_15
; %bb.14:
	v_div_scale_f32 v61, s[12:13], v63, v63, v62
	v_div_scale_f32 v65, vcc, v62, v63, v62
	v_rcp_f32_e32 v66, v61
	v_fma_f32 v67, -v61, v66, 1.0
	v_fmac_f32_e32 v66, v67, v66
	v_mul_f32_e32 v67, v65, v66
	v_fma_f32 v68, -v61, v67, v65
	v_fmac_f32_e32 v67, v68, v66
	v_fma_f32 v61, -v61, v67, v65
	v_div_fmas_f32 v61, v61, v66, v67
	v_div_fixup_f32 v61, v61, v63, v62
	v_fmac_f32_e32 v63, v62, v61
	v_div_scale_f32 v62, s[12:13], v63, v63, 1.0
	v_div_scale_f32 v65, vcc, 1.0, v63, 1.0
	v_rcp_f32_e32 v66, v62
	v_fma_f32 v67, -v62, v66, 1.0
	v_fmac_f32_e32 v66, v67, v66
	v_mul_f32_e32 v67, v65, v66
	v_fma_f32 v68, -v62, v67, v65
	v_fmac_f32_e32 v67, v68, v66
	v_fma_f32 v62, -v62, v67, v65
	v_div_fmas_f32 v62, v62, v66, v67
	v_div_fixup_f32 v62, v62, v63, 1.0
	v_mul_f32_e32 v66, v61, v62
	v_xor_b32_e32 v65, 0x80000000, v62
	v_xor_b32_e32 v61, 0x80000000, v66
                                        ; implicit-def: $vgpr62
                                        ; implicit-def: $vgpr63
.LBB29_15:
	s_andn2_saveexec_b64 s[8:9], s[8:9]
	s_cbranch_execz .LBB29_17
; %bb.16:
	v_div_scale_f32 v61, s[12:13], v62, v62, v63
	v_div_scale_f32 v65, vcc, v63, v62, v63
	v_rcp_f32_e32 v66, v61
	v_fma_f32 v67, -v61, v66, 1.0
	v_fmac_f32_e32 v66, v67, v66
	v_mul_f32_e32 v67, v65, v66
	v_fma_f32 v68, -v61, v67, v65
	v_fmac_f32_e32 v67, v68, v66
	v_fma_f32 v61, -v61, v67, v65
	v_div_fmas_f32 v61, v61, v66, v67
	v_div_fixup_f32 v65, v61, v62, v63
	v_fmac_f32_e32 v62, v63, v65
	v_div_scale_f32 v61, s[12:13], v62, v62, 1.0
	v_div_scale_f32 v63, vcc, 1.0, v62, 1.0
	v_rcp_f32_e32 v66, v61
	v_fma_f32 v67, -v61, v66, 1.0
	v_fmac_f32_e32 v66, v67, v66
	v_mul_f32_e32 v67, v63, v66
	v_fma_f32 v68, -v61, v67, v63
	v_fmac_f32_e32 v67, v68, v66
	v_fma_f32 v61, -v61, v67, v63
	v_div_fmas_f32 v61, v61, v66, v67
	v_div_fixup_f32 v66, v61, v62, 1.0
	v_xor_b32_e32 v61, 0x80000000, v66
	v_mul_f32_e64 v65, v65, -v66
.LBB29_17:
	s_or_b64 exec, exec, s[8:9]
	buffer_store_dword v66, v64, s[0:3], 0 offen
	buffer_store_dword v65, v64, s[0:3], 0 offen offset:4
	buffer_load_dword v67, off, s[0:3], 0 offset:12
	s_nop 0
	buffer_load_dword v66, off, s[0:3], 0 offset:8
	v_xor_b32_e32 v62, 0x80000000, v65
	v_add_u32_e32 v63, 0xf0, v79
	s_waitcnt vmcnt(0)
	ds_write2_b64 v79, v[61:62], v[66:67] offset1:30
	s_waitcnt lgkmcnt(0)
	; wave barrier
	s_and_saveexec_b64 s[8:9], s[4:5]
	s_cbranch_execz .LBB29_19
; %bb.18:
	buffer_load_dword v67, v64, s[0:3], 0 offen offset:4
	buffer_load_dword v68, v64, s[0:3], 0 offen
	ds_read_b64 v[61:62], v63
	v_mov_b32_e32 v65, 0
	ds_read_b64 v[65:66], v65 offset:8
	s_waitcnt vmcnt(1) lgkmcnt(1)
	v_mul_f32_e32 v69, v62, v67
	v_mul_f32_e32 v67, v61, v67
	s_waitcnt vmcnt(0)
	v_fmac_f32_e32 v67, v62, v68
	v_fma_f32 v61, v61, v68, -v69
	v_add_f32_e32 v62, 0, v67
	v_add_f32_e32 v61, 0, v61
	s_waitcnt lgkmcnt(0)
	v_mul_f32_e32 v67, v62, v66
	v_mul_f32_e32 v66, v61, v66
	v_fma_f32 v61, v61, v65, -v67
	v_fmac_f32_e32 v66, v62, v65
	buffer_store_dword v61, off, s[0:3], 0 offset:8
	buffer_store_dword v66, off, s[0:3], 0 offset:12
.LBB29_19:
	s_or_b64 exec, exec, s[8:9]
	; wave barrier
	buffer_load_dword v61, off, s[0:3], 0 offset:16
	buffer_load_dword v62, off, s[0:3], 0 offset:20
	v_cmp_gt_u32_e32 vcc, 2, v0
	s_waitcnt vmcnt(0)
	ds_write_b64 v63, v[61:62]
	s_waitcnt lgkmcnt(0)
	; wave barrier
	s_and_saveexec_b64 s[8:9], vcc
	s_cbranch_execz .LBB29_23
; %bb.20:
	buffer_load_dword v65, v64, s[0:3], 0 offen offset:4
	buffer_load_dword v66, v64, s[0:3], 0 offen
	ds_read_b64 v[61:62], v63
	s_waitcnt vmcnt(1) lgkmcnt(0)
	v_mul_f32_e32 v64, v62, v65
	v_mul_f32_e32 v65, v61, v65
	s_waitcnt vmcnt(0)
	v_fma_f32 v61, v61, v66, -v64
	v_fmac_f32_e32 v65, v62, v66
	v_add_f32_e32 v62, 0, v61
	v_add_f32_e32 v61, 0, v65
	s_and_saveexec_b64 s[12:13], s[4:5]
	s_cbranch_execz .LBB29_22
; %bb.21:
	buffer_load_dword v66, off, s[0:3], 0 offset:12
	buffer_load_dword v67, off, s[0:3], 0 offset:8
	v_mov_b32_e32 v64, 0
	ds_read_b64 v[64:65], v64 offset:248
	s_waitcnt vmcnt(1) lgkmcnt(0)
	v_mul_f32_e32 v68, v64, v66
	v_mul_f32_e32 v66, v65, v66
	s_waitcnt vmcnt(0)
	v_fmac_f32_e32 v68, v65, v67
	v_fma_f32 v64, v64, v67, -v66
	v_add_f32_e32 v61, v61, v68
	v_add_f32_e32 v62, v62, v64
.LBB29_22:
	s_or_b64 exec, exec, s[12:13]
	v_mov_b32_e32 v64, 0
	ds_read_b64 v[64:65], v64 offset:16
	s_waitcnt lgkmcnt(0)
	v_mul_f32_e32 v66, v61, v65
	v_mul_f32_e32 v65, v62, v65
	v_fma_f32 v62, v62, v64, -v66
	v_fmac_f32_e32 v65, v61, v64
	buffer_store_dword v62, off, s[0:3], 0 offset:16
	buffer_store_dword v65, off, s[0:3], 0 offset:20
.LBB29_23:
	s_or_b64 exec, exec, s[8:9]
	; wave barrier
	buffer_load_dword v61, off, s[0:3], 0 offset:24
	buffer_load_dword v62, off, s[0:3], 0 offset:28
	v_cmp_gt_u32_e32 vcc, 3, v0
	s_waitcnt vmcnt(0)
	ds_write_b64 v63, v[61:62]
	v_add_u32_e32 v61, -1, v0
	s_waitcnt lgkmcnt(0)
	; wave barrier
	s_and_saveexec_b64 s[4:5], vcc
	s_cbranch_execz .LBB29_27
; %bb.24:
	v_add_u32_e32 v64, -1, v0
	v_add_u32_e32 v65, 0xf0, v79
	v_mov_b32_e32 v66, v79
	v_mov_b32_e32 v62, 0
	s_mov_b64 s[8:9], 0
	v_mov_b32_e32 v67, 0
.LBB29_25:                              ; =>This Inner Loop Header: Depth=1
	buffer_load_dword v70, v66, s[0:3], 0 offen offset:4
	buffer_load_dword v71, v66, s[0:3], 0 offen
	ds_read_b64 v[68:69], v65
	v_add_u32_e32 v64, 1, v64
	v_cmp_lt_u32_e32 vcc, 1, v64
	v_add_u32_e32 v65, 8, v65
	v_add_u32_e32 v66, 8, v66
	s_or_b64 s[8:9], vcc, s[8:9]
	s_waitcnt vmcnt(1) lgkmcnt(0)
	v_mul_f32_e32 v72, v69, v70
	v_mul_f32_e32 v70, v68, v70
	s_waitcnt vmcnt(0)
	v_fma_f32 v68, v68, v71, -v72
	v_fmac_f32_e32 v70, v69, v71
	v_add_f32_e32 v67, v67, v68
	v_add_f32_e32 v62, v62, v70
	s_andn2_b64 exec, exec, s[8:9]
	s_cbranch_execnz .LBB29_25
; %bb.26:
	s_or_b64 exec, exec, s[8:9]
	v_mov_b32_e32 v64, 0
	ds_read_b64 v[64:65], v64 offset:24
	s_waitcnt lgkmcnt(0)
	v_mul_f32_e32 v66, v62, v65
	v_mul_f32_e32 v65, v67, v65
	v_fma_f32 v66, v67, v64, -v66
	v_fmac_f32_e32 v65, v62, v64
	buffer_store_dword v66, off, s[0:3], 0 offset:24
	buffer_store_dword v65, off, s[0:3], 0 offset:28
.LBB29_27:
	s_or_b64 exec, exec, s[4:5]
	; wave barrier
	buffer_load_dword v64, off, s[0:3], 0 offset:32
	buffer_load_dword v65, off, s[0:3], 0 offset:36
	v_cmp_gt_u32_e32 vcc, 4, v0
	s_waitcnt vmcnt(0)
	ds_write_b64 v63, v[64:65]
	s_waitcnt lgkmcnt(0)
	; wave barrier
	s_and_saveexec_b64 s[4:5], vcc
	s_cbranch_execz .LBB29_31
; %bb.28:
	v_add_u32_e32 v64, -1, v0
	v_add_u32_e32 v65, 0xf0, v79
	v_mov_b32_e32 v66, v79
	v_mov_b32_e32 v62, 0
	s_mov_b64 s[8:9], 0
	v_mov_b32_e32 v67, 0
.LBB29_29:                              ; =>This Inner Loop Header: Depth=1
	buffer_load_dword v70, v66, s[0:3], 0 offen offset:4
	buffer_load_dword v71, v66, s[0:3], 0 offen
	ds_read_b64 v[68:69], v65
	v_add_u32_e32 v64, 1, v64
	v_cmp_lt_u32_e32 vcc, 2, v64
	v_add_u32_e32 v65, 8, v65
	v_add_u32_e32 v66, 8, v66
	s_or_b64 s[8:9], vcc, s[8:9]
	s_waitcnt vmcnt(1) lgkmcnt(0)
	v_mul_f32_e32 v72, v69, v70
	v_mul_f32_e32 v70, v68, v70
	s_waitcnt vmcnt(0)
	v_fma_f32 v68, v68, v71, -v72
	v_fmac_f32_e32 v70, v69, v71
	v_add_f32_e32 v67, v67, v68
	v_add_f32_e32 v62, v62, v70
	s_andn2_b64 exec, exec, s[8:9]
	s_cbranch_execnz .LBB29_29
; %bb.30:
	s_or_b64 exec, exec, s[8:9]
	v_mov_b32_e32 v64, 0
	ds_read_b64 v[64:65], v64 offset:32
	s_waitcnt lgkmcnt(0)
	v_mul_f32_e32 v66, v62, v65
	v_mul_f32_e32 v65, v67, v65
	v_fma_f32 v66, v67, v64, -v66
	v_fmac_f32_e32 v65, v62, v64
	buffer_store_dword v66, off, s[0:3], 0 offset:32
	buffer_store_dword v65, off, s[0:3], 0 offset:36
.LBB29_31:
	s_or_b64 exec, exec, s[4:5]
	; wave barrier
	buffer_load_dword v64, off, s[0:3], 0 offset:40
	buffer_load_dword v65, off, s[0:3], 0 offset:44
	v_cmp_gt_u32_e32 vcc, 5, v0
	s_waitcnt vmcnt(0)
	ds_write_b64 v63, v[64:65]
	;; [unrolled: 49-line block ×19, first 2 shown]
	s_waitcnt lgkmcnt(0)
	; wave barrier
	s_and_saveexec_b64 s[4:5], vcc
	s_cbranch_execz .LBB29_103
; %bb.100:
	v_add_u32_e32 v64, -1, v0
	v_add_u32_e32 v65, 0xf0, v79
	v_mov_b32_e32 v66, v79
	v_mov_b32_e32 v62, 0
	s_mov_b64 s[8:9], 0
	v_mov_b32_e32 v67, 0
.LBB29_101:                             ; =>This Inner Loop Header: Depth=1
	buffer_load_dword v70, v66, s[0:3], 0 offen offset:4
	buffer_load_dword v71, v66, s[0:3], 0 offen
	ds_read_b64 v[68:69], v65
	v_add_u32_e32 v64, 1, v64
	v_cmp_lt_u32_e32 vcc, 20, v64
	v_add_u32_e32 v65, 8, v65
	v_add_u32_e32 v66, 8, v66
	s_or_b64 s[8:9], vcc, s[8:9]
	s_waitcnt vmcnt(1) lgkmcnt(0)
	v_mul_f32_e32 v72, v69, v70
	v_mul_f32_e32 v70, v68, v70
	s_waitcnt vmcnt(0)
	v_fma_f32 v68, v68, v71, -v72
	v_fmac_f32_e32 v70, v69, v71
	v_add_f32_e32 v67, v67, v68
	v_add_f32_e32 v62, v62, v70
	s_andn2_b64 exec, exec, s[8:9]
	s_cbranch_execnz .LBB29_101
; %bb.102:
	s_or_b64 exec, exec, s[8:9]
	v_mov_b32_e32 v64, 0
	ds_read_b64 v[64:65], v64 offset:176
	s_waitcnt lgkmcnt(0)
	v_mul_f32_e32 v66, v62, v65
	v_mul_f32_e32 v65, v67, v65
	v_fma_f32 v66, v67, v64, -v66
	v_fmac_f32_e32 v65, v62, v64
	buffer_store_dword v66, off, s[0:3], 0 offset:176
	buffer_store_dword v65, off, s[0:3], 0 offset:180
.LBB29_103:
	s_or_b64 exec, exec, s[4:5]
	; wave barrier
	buffer_load_dword v64, off, s[0:3], 0 offset:184
	buffer_load_dword v65, off, s[0:3], 0 offset:188
	v_cmp_gt_u32_e32 vcc, 23, v0
	s_waitcnt vmcnt(0)
	ds_write_b64 v63, v[64:65]
	s_waitcnt lgkmcnt(0)
	; wave barrier
	s_and_saveexec_b64 s[4:5], vcc
	s_cbranch_execz .LBB29_107
; %bb.104:
	v_add_u32_e32 v64, -1, v0
	v_add_u32_e32 v65, 0xf0, v79
	v_mov_b32_e32 v66, v79
	v_mov_b32_e32 v62, 0
	s_mov_b64 s[8:9], 0
	v_mov_b32_e32 v67, 0
.LBB29_105:                             ; =>This Inner Loop Header: Depth=1
	buffer_load_dword v70, v66, s[0:3], 0 offen offset:4
	buffer_load_dword v71, v66, s[0:3], 0 offen
	ds_read_b64 v[68:69], v65
	v_add_u32_e32 v64, 1, v64
	v_cmp_lt_u32_e32 vcc, 21, v64
	v_add_u32_e32 v65, 8, v65
	v_add_u32_e32 v66, 8, v66
	s_or_b64 s[8:9], vcc, s[8:9]
	s_waitcnt vmcnt(1) lgkmcnt(0)
	v_mul_f32_e32 v72, v69, v70
	v_mul_f32_e32 v70, v68, v70
	s_waitcnt vmcnt(0)
	v_fma_f32 v68, v68, v71, -v72
	v_fmac_f32_e32 v70, v69, v71
	v_add_f32_e32 v67, v67, v68
	v_add_f32_e32 v62, v62, v70
	s_andn2_b64 exec, exec, s[8:9]
	s_cbranch_execnz .LBB29_105
; %bb.106:
	s_or_b64 exec, exec, s[8:9]
	v_mov_b32_e32 v64, 0
	ds_read_b64 v[64:65], v64 offset:184
	s_waitcnt lgkmcnt(0)
	v_mul_f32_e32 v66, v62, v65
	v_mul_f32_e32 v65, v67, v65
	v_fma_f32 v66, v67, v64, -v66
	v_fmac_f32_e32 v65, v62, v64
	buffer_store_dword v66, off, s[0:3], 0 offset:184
	buffer_store_dword v65, off, s[0:3], 0 offset:188
.LBB29_107:
	s_or_b64 exec, exec, s[4:5]
	; wave barrier
	buffer_load_dword v64, off, s[0:3], 0 offset:192
	buffer_load_dword v65, off, s[0:3], 0 offset:196
	v_cmp_gt_u32_e32 vcc, 24, v0
	s_waitcnt vmcnt(0)
	ds_write_b64 v63, v[64:65]
	;; [unrolled: 49-line block ×6, first 2 shown]
	s_waitcnt lgkmcnt(0)
	; wave barrier
	s_and_saveexec_b64 s[4:5], vcc
	s_cbranch_execz .LBB29_127
; %bb.124:
	v_add_u32_e32 v64, -1, v0
	v_add_u32_e32 v65, 0xf0, v79
	v_mov_b32_e32 v66, v79
	v_mov_b32_e32 v62, 0
	s_mov_b64 s[8:9], 0
	v_mov_b32_e32 v67, 0
.LBB29_125:                             ; =>This Inner Loop Header: Depth=1
	buffer_load_dword v70, v66, s[0:3], 0 offen offset:4
	buffer_load_dword v71, v66, s[0:3], 0 offen
	ds_read_b64 v[68:69], v65
	v_add_u32_e32 v64, 1, v64
	v_cmp_lt_u32_e32 vcc, 26, v64
	v_add_u32_e32 v65, 8, v65
	v_add_u32_e32 v66, 8, v66
	s_or_b64 s[8:9], vcc, s[8:9]
	s_waitcnt vmcnt(1) lgkmcnt(0)
	v_mul_f32_e32 v72, v69, v70
	v_mul_f32_e32 v70, v68, v70
	s_waitcnt vmcnt(0)
	v_fma_f32 v68, v68, v71, -v72
	v_fmac_f32_e32 v70, v69, v71
	v_add_f32_e32 v67, v67, v68
	v_add_f32_e32 v62, v62, v70
	s_andn2_b64 exec, exec, s[8:9]
	s_cbranch_execnz .LBB29_125
; %bb.126:
	s_or_b64 exec, exec, s[8:9]
	v_mov_b32_e32 v64, 0
	ds_read_b64 v[64:65], v64 offset:224
	s_waitcnt lgkmcnt(0)
	v_mul_f32_e32 v66, v62, v65
	v_mul_f32_e32 v65, v67, v65
	v_fma_f32 v66, v67, v64, -v66
	v_fmac_f32_e32 v65, v62, v64
	buffer_store_dword v66, off, s[0:3], 0 offset:224
	buffer_store_dword v65, off, s[0:3], 0 offset:228
.LBB29_127:
	s_or_b64 exec, exec, s[4:5]
	; wave barrier
	buffer_load_dword v64, off, s[0:3], 0 offset:232
	buffer_load_dword v65, off, s[0:3], 0 offset:236
	v_cmp_ne_u32_e32 vcc, 29, v0
	s_waitcnt vmcnt(0)
	ds_write_b64 v63, v[64:65]
	s_waitcnt lgkmcnt(0)
	; wave barrier
	s_and_saveexec_b64 s[4:5], vcc
	s_cbranch_execz .LBB29_131
; %bb.128:
	v_add_u32_e32 v63, 0xf0, v79
	v_mov_b32_e32 v64, v79
	v_mov_b32_e32 v62, 0
	s_mov_b64 s[8:9], 0
	v_mov_b32_e32 v65, 0
.LBB29_129:                             ; =>This Inner Loop Header: Depth=1
	buffer_load_dword v68, v64, s[0:3], 0 offen offset:4
	buffer_load_dword v69, v64, s[0:3], 0 offen
	ds_read_b64 v[66:67], v63
	v_add_u32_e32 v61, 1, v61
	v_cmp_lt_u32_e32 vcc, 27, v61
	v_add_u32_e32 v63, 8, v63
	v_add_u32_e32 v64, 8, v64
	s_or_b64 s[8:9], vcc, s[8:9]
	s_waitcnt vmcnt(1) lgkmcnt(0)
	v_mul_f32_e32 v70, v67, v68
	v_mul_f32_e32 v68, v66, v68
	s_waitcnt vmcnt(0)
	v_fma_f32 v66, v66, v69, -v70
	v_fmac_f32_e32 v68, v67, v69
	v_add_f32_e32 v65, v65, v66
	v_add_f32_e32 v62, v62, v68
	s_andn2_b64 exec, exec, s[8:9]
	s_cbranch_execnz .LBB29_129
; %bb.130:
	s_or_b64 exec, exec, s[8:9]
	v_mov_b32_e32 v61, 0
	ds_read_b64 v[63:64], v61 offset:232
	s_waitcnt lgkmcnt(0)
	v_mul_f32_e32 v61, v62, v64
	v_mul_f32_e32 v64, v65, v64
	v_fma_f32 v61, v65, v63, -v61
	v_fmac_f32_e32 v64, v62, v63
	buffer_store_dword v61, off, s[0:3], 0 offset:232
	buffer_store_dword v64, off, s[0:3], 0 offset:236
.LBB29_131:
	s_or_b64 exec, exec, s[4:5]
	s_mov_b64 s[8:9], -1
	; wave barrier
.LBB29_132:
	s_and_b64 vcc, exec, s[8:9]
	s_cbranch_vccz .LBB29_134
; %bb.133:
	s_lshl_b64 s[4:5], s[6:7], 2
	s_add_u32 s4, s10, s4
	s_addc_u32 s5, s11, s5
	v_mov_b32_e32 v61, 0
	global_load_dword v61, v61, s[4:5]
	s_waitcnt vmcnt(0)
	v_cmp_ne_u32_e32 vcc, 0, v61
	s_cbranch_vccz .LBB29_135
.LBB29_134:
	s_endpgm
.LBB29_135:
	v_mov_b32_e32 v61, 0xf0
	v_lshl_add_u32 v61, v0, 3, v61
	v_cmp_eq_u32_e32 vcc, 29, v0
	s_and_saveexec_b64 s[4:5], vcc
	s_cbranch_execz .LBB29_137
; %bb.136:
	buffer_load_dword v62, off, s[0:3], 0 offset:224
	buffer_load_dword v63, off, s[0:3], 0 offset:228
	v_mov_b32_e32 v64, 0
	buffer_store_dword v64, off, s[0:3], 0 offset:224
	buffer_store_dword v64, off, s[0:3], 0 offset:228
	s_waitcnt vmcnt(2)
	ds_write_b64 v61, v[62:63]
.LBB29_137:
	s_or_b64 exec, exec, s[4:5]
	s_waitcnt lgkmcnt(0)
	; wave barrier
	buffer_load_dword v65, off, s[0:3], 0 offset:236
	buffer_load_dword v66, off, s[0:3], 0 offset:232
	buffer_load_dword v67, off, s[0:3], 0 offset:224
	buffer_load_dword v68, off, s[0:3], 0 offset:228
	v_mov_b32_e32 v62, 0
	ds_read_b64 v[63:64], v62 offset:472
	v_cmp_lt_u32_e32 vcc, 27, v0
	s_waitcnt vmcnt(3) lgkmcnt(0)
	v_mul_f32_e32 v69, v63, v65
	v_mul_f32_e32 v65, v64, v65
	s_waitcnt vmcnt(2)
	v_fma_f32 v63, v63, v66, -v65
	v_fmac_f32_e32 v69, v64, v66
	v_add_f32_e32 v63, 0, v63
	v_add_f32_e32 v64, 0, v69
	s_waitcnt vmcnt(1)
	v_sub_f32_e32 v63, v67, v63
	s_waitcnt vmcnt(0)
	v_sub_f32_e32 v64, v68, v64
	buffer_store_dword v63, off, s[0:3], 0 offset:224
	buffer_store_dword v64, off, s[0:3], 0 offset:228
	s_and_saveexec_b64 s[4:5], vcc
	s_cbranch_execz .LBB29_139
; %bb.138:
	buffer_load_dword v63, off, s[0:3], 0 offset:216
	buffer_load_dword v64, off, s[0:3], 0 offset:220
	s_waitcnt vmcnt(0)
	ds_write_b64 v61, v[63:64]
	buffer_store_dword v62, off, s[0:3], 0 offset:216
	buffer_store_dword v62, off, s[0:3], 0 offset:220
.LBB29_139:
	s_or_b64 exec, exec, s[4:5]
	s_waitcnt lgkmcnt(0)
	; wave barrier
	buffer_load_dword v66, off, s[0:3], 0 offset:228
	buffer_load_dword v67, off, s[0:3], 0 offset:236
	;; [unrolled: 1-line block ×6, first 2 shown]
	ds_read_b128 v[62:65], v62 offset:464
	v_cmp_lt_u32_e32 vcc, 26, v0
	s_waitcnt vmcnt(5) lgkmcnt(0)
	v_mul_f32_e32 v72, v62, v66
	v_mul_f32_e32 v66, v63, v66
	s_waitcnt vmcnt(4)
	v_mul_f32_e32 v73, v64, v67
	v_mul_f32_e32 v67, v65, v67
	s_waitcnt vmcnt(3)
	v_fma_f32 v62, v62, v68, -v66
	v_fmac_f32_e32 v72, v63, v68
	s_waitcnt vmcnt(2)
	v_fma_f32 v63, v64, v69, -v67
	v_add_f32_e32 v62, 0, v62
	v_fmac_f32_e32 v73, v65, v69
	v_add_f32_e32 v64, 0, v72
	v_add_f32_e32 v62, v62, v63
	;; [unrolled: 1-line block ×3, first 2 shown]
	s_waitcnt vmcnt(1)
	v_sub_f32_e32 v62, v70, v62
	s_waitcnt vmcnt(0)
	v_sub_f32_e32 v63, v71, v64
	buffer_store_dword v62, off, s[0:3], 0 offset:216
	buffer_store_dword v63, off, s[0:3], 0 offset:220
	s_and_saveexec_b64 s[4:5], vcc
	s_cbranch_execz .LBB29_141
; %bb.140:
	buffer_load_dword v62, off, s[0:3], 0 offset:208
	buffer_load_dword v63, off, s[0:3], 0 offset:212
	v_mov_b32_e32 v64, 0
	buffer_store_dword v64, off, s[0:3], 0 offset:208
	buffer_store_dword v64, off, s[0:3], 0 offset:212
	s_waitcnt vmcnt(2)
	ds_write_b64 v61, v[62:63]
.LBB29_141:
	s_or_b64 exec, exec, s[4:5]
	s_waitcnt lgkmcnt(0)
	; wave barrier
	buffer_load_dword v69, off, s[0:3], 0 offset:220
	buffer_load_dword v70, off, s[0:3], 0 offset:228
	;; [unrolled: 1-line block ×8, first 2 shown]
	v_mov_b32_e32 v62, 0
	ds_read2_b64 v[63:66], v62 offset0:57 offset1:58
	ds_read_b64 v[67:68], v62 offset:472
	v_cmp_lt_u32_e32 vcc, 25, v0
	s_waitcnt vmcnt(7) lgkmcnt(1)
	v_mul_f32_e32 v77, v63, v69
	v_mul_f32_e32 v69, v64, v69
	s_waitcnt vmcnt(6)
	v_mul_f32_e32 v78, v65, v70
	v_mul_f32_e32 v70, v66, v70
	s_waitcnt vmcnt(4)
	v_fma_f32 v63, v63, v72, -v69
	s_waitcnt lgkmcnt(0)
	v_mul_f32_e32 v79, v67, v71
	v_mul_f32_e32 v71, v68, v71
	v_fmac_f32_e32 v77, v64, v72
	s_waitcnt vmcnt(3)
	v_fma_f32 v64, v65, v73, -v70
	v_add_f32_e32 v63, 0, v63
	v_fmac_f32_e32 v78, v66, v73
	s_waitcnt vmcnt(2)
	v_fma_f32 v65, v67, v74, -v71
	v_add_f32_e32 v66, 0, v77
	v_add_f32_e32 v63, v63, v64
	v_fmac_f32_e32 v79, v68, v74
	v_add_f32_e32 v66, v66, v78
	v_add_f32_e32 v63, v63, v65
	;; [unrolled: 1-line block ×3, first 2 shown]
	s_waitcnt vmcnt(1)
	v_sub_f32_e32 v63, v75, v63
	s_waitcnt vmcnt(0)
	v_sub_f32_e32 v64, v76, v64
	buffer_store_dword v63, off, s[0:3], 0 offset:208
	buffer_store_dword v64, off, s[0:3], 0 offset:212
	s_and_saveexec_b64 s[4:5], vcc
	s_cbranch_execz .LBB29_143
; %bb.142:
	buffer_load_dword v63, off, s[0:3], 0 offset:200
	buffer_load_dword v64, off, s[0:3], 0 offset:204
	s_waitcnt vmcnt(0)
	ds_write_b64 v61, v[63:64]
	buffer_store_dword v62, off, s[0:3], 0 offset:200
	buffer_store_dword v62, off, s[0:3], 0 offset:204
.LBB29_143:
	s_or_b64 exec, exec, s[4:5]
	s_waitcnt lgkmcnt(0)
	; wave barrier
	ds_read_b128 v[63:66], v62 offset:448
	ds_read_b128 v[67:70], v62 offset:464
	buffer_load_dword v62, off, s[0:3], 0 offset:200
	buffer_load_dword v71, off, s[0:3], 0 offset:204
	;; [unrolled: 1-line block ×10, first 2 shown]
	v_cmp_lt_u32_e32 vcc, 24, v0
	s_waitcnt vmcnt(6) lgkmcnt(1)
	v_mul_f32_e32 v80, v63, v73
	v_fmac_f32_e32 v80, v64, v72
	v_mul_f32_e32 v64, v64, v73
	v_fma_f32 v63, v63, v72, -v64
	s_waitcnt vmcnt(4)
	v_mul_f32_e32 v64, v66, v75
	v_mul_f32_e32 v81, v65, v75
	v_add_f32_e32 v63, 0, v63
	v_fma_f32 v64, v65, v74, -v64
	v_add_f32_e32 v80, 0, v80
	v_fmac_f32_e32 v81, v66, v74
	v_add_f32_e32 v63, v63, v64
	s_waitcnt vmcnt(2) lgkmcnt(0)
	v_mul_f32_e32 v64, v68, v77
	v_add_f32_e32 v80, v80, v81
	v_mul_f32_e32 v81, v67, v77
	v_fma_f32 v64, v67, v76, -v64
	v_fmac_f32_e32 v81, v68, v76
	v_add_f32_e32 v63, v63, v64
	s_waitcnt vmcnt(0)
	v_mul_f32_e32 v64, v70, v79
	v_add_f32_e32 v80, v80, v81
	v_mul_f32_e32 v81, v69, v79
	v_fma_f32 v64, v69, v78, -v64
	v_fmac_f32_e32 v81, v70, v78
	v_add_f32_e32 v63, v63, v64
	v_add_f32_e32 v80, v80, v81
	v_sub_f32_e32 v62, v62, v63
	v_sub_f32_e32 v63, v71, v80
	buffer_store_dword v62, off, s[0:3], 0 offset:200
	buffer_store_dword v63, off, s[0:3], 0 offset:204
	s_and_saveexec_b64 s[4:5], vcc
	s_cbranch_execz .LBB29_145
; %bb.144:
	buffer_load_dword v62, off, s[0:3], 0 offset:192
	buffer_load_dword v63, off, s[0:3], 0 offset:196
	v_mov_b32_e32 v64, 0
	buffer_store_dword v64, off, s[0:3], 0 offset:192
	buffer_store_dword v64, off, s[0:3], 0 offset:196
	s_waitcnt vmcnt(2)
	ds_write_b64 v61, v[62:63]
.LBB29_145:
	s_or_b64 exec, exec, s[4:5]
	s_waitcnt lgkmcnt(0)
	; wave barrier
	buffer_load_dword v73, off, s[0:3], 0 offset:204
	buffer_load_dword v74, off, s[0:3], 0 offset:212
	;; [unrolled: 1-line block ×12, first 2 shown]
	v_mov_b32_e32 v62, 0
	ds_read2_b64 v[63:66], v62 offset0:55 offset1:56
	ds_read2_b64 v[67:70], v62 offset0:57 offset1:58
	ds_read_b64 v[71:72], v62 offset:472
	v_cmp_lt_u32_e32 vcc, 23, v0
	s_waitcnt vmcnt(11) lgkmcnt(2)
	v_mul_f32_e32 v85, v63, v73
	v_mul_f32_e32 v73, v64, v73
	s_waitcnt vmcnt(10)
	v_mul_f32_e32 v86, v65, v74
	v_mul_f32_e32 v74, v66, v74
	s_waitcnt vmcnt(9) lgkmcnt(1)
	v_mul_f32_e32 v87, v67, v75
	s_waitcnt vmcnt(6)
	v_fma_f32 v63, v63, v78, -v73
	v_mul_f32_e32 v75, v68, v75
	v_fmac_f32_e32 v85, v64, v78
	s_waitcnt vmcnt(5)
	v_fma_f32 v64, v65, v79, -v74
	v_add_f32_e32 v63, 0, v63
	v_mul_f32_e32 v88, v69, v76
	v_mul_f32_e32 v76, v70, v76
	v_fmac_f32_e32 v86, v66, v79
	s_waitcnt vmcnt(4)
	v_fmac_f32_e32 v87, v68, v80
	v_fma_f32 v65, v67, v80, -v75
	v_add_f32_e32 v68, 0, v85
	v_add_f32_e32 v63, v63, v64
	s_waitcnt lgkmcnt(0)
	v_mul_f32_e32 v89, v71, v77
	v_mul_f32_e32 v77, v72, v77
	s_waitcnt vmcnt(3)
	v_fma_f32 v66, v69, v81, -v76
	v_add_f32_e32 v68, v68, v86
	v_add_f32_e32 v63, v63, v65
	v_fmac_f32_e32 v88, v70, v81
	s_waitcnt vmcnt(2)
	v_fma_f32 v67, v71, v82, -v77
	v_add_f32_e32 v64, v68, v87
	v_add_f32_e32 v63, v63, v66
	v_fmac_f32_e32 v89, v72, v82
	v_add_f32_e32 v64, v64, v88
	v_add_f32_e32 v63, v63, v67
	;; [unrolled: 1-line block ×3, first 2 shown]
	s_waitcnt vmcnt(1)
	v_sub_f32_e32 v63, v83, v63
	s_waitcnt vmcnt(0)
	v_sub_f32_e32 v64, v84, v64
	buffer_store_dword v63, off, s[0:3], 0 offset:192
	buffer_store_dword v64, off, s[0:3], 0 offset:196
	s_and_saveexec_b64 s[4:5], vcc
	s_cbranch_execz .LBB29_147
; %bb.146:
	buffer_load_dword v63, off, s[0:3], 0 offset:184
	buffer_load_dword v64, off, s[0:3], 0 offset:188
	s_waitcnt vmcnt(0)
	ds_write_b64 v61, v[63:64]
	buffer_store_dword v62, off, s[0:3], 0 offset:184
	buffer_store_dword v62, off, s[0:3], 0 offset:188
.LBB29_147:
	s_or_b64 exec, exec, s[4:5]
	s_waitcnt lgkmcnt(0)
	; wave barrier
	buffer_load_dword v75, off, s[0:3], 0 offset:196
	buffer_load_dword v76, off, s[0:3], 0 offset:204
	;; [unrolled: 1-line block ×14, first 2 shown]
	ds_read_b128 v[63:66], v62 offset:432
	ds_read_b128 v[67:70], v62 offset:448
	;; [unrolled: 1-line block ×3, first 2 shown]
	v_cmp_lt_u32_e32 vcc, 22, v0
	s_waitcnt vmcnt(13) lgkmcnt(2)
	v_mul_f32_e32 v62, v63, v75
	v_mul_f32_e32 v75, v64, v75
	s_waitcnt vmcnt(12)
	v_mul_f32_e32 v89, v65, v76
	v_mul_f32_e32 v76, v66, v76
	s_waitcnt vmcnt(11) lgkmcnt(1)
	v_mul_f32_e32 v90, v67, v77
	v_mul_f32_e32 v77, v68, v77
	s_waitcnt vmcnt(7)
	v_fma_f32 v63, v63, v81, -v75
	v_fmac_f32_e32 v62, v64, v81
	s_waitcnt vmcnt(6)
	v_fma_f32 v64, v65, v82, -v76
	v_add_f32_e32 v63, 0, v63
	v_mul_f32_e32 v91, v69, v78
	v_mul_f32_e32 v78, v70, v78
	v_fmac_f32_e32 v89, v66, v82
	s_waitcnt vmcnt(5)
	v_fma_f32 v65, v67, v83, -v77
	v_add_f32_e32 v62, 0, v62
	v_add_f32_e32 v63, v63, v64
	s_waitcnt lgkmcnt(0)
	v_mul_f32_e32 v92, v71, v79
	v_mul_f32_e32 v79, v72, v79
	v_fmac_f32_e32 v90, v68, v83
	s_waitcnt vmcnt(4)
	v_fma_f32 v66, v69, v84, -v78
	v_add_f32_e32 v62, v62, v89
	v_add_f32_e32 v63, v63, v65
	v_mul_f32_e32 v93, v73, v80
	v_mul_f32_e32 v80, v74, v80
	v_fmac_f32_e32 v91, v70, v84
	s_waitcnt vmcnt(3)
	v_fma_f32 v67, v71, v85, -v79
	v_add_f32_e32 v62, v62, v90
	v_add_f32_e32 v63, v63, v66
	v_fmac_f32_e32 v92, v72, v85
	s_waitcnt vmcnt(2)
	v_fma_f32 v68, v73, v86, -v80
	v_add_f32_e32 v62, v62, v91
	v_add_f32_e32 v63, v63, v67
	v_fmac_f32_e32 v93, v74, v86
	v_add_f32_e32 v62, v62, v92
	v_add_f32_e32 v63, v63, v68
	;; [unrolled: 1-line block ×3, first 2 shown]
	s_waitcnt vmcnt(1)
	v_sub_f32_e32 v63, v87, v63
	s_waitcnt vmcnt(0)
	v_sub_f32_e32 v62, v88, v62
	buffer_store_dword v63, off, s[0:3], 0 offset:184
	buffer_store_dword v62, off, s[0:3], 0 offset:188
	s_and_saveexec_b64 s[4:5], vcc
	s_cbranch_execz .LBB29_149
; %bb.148:
	buffer_load_dword v62, off, s[0:3], 0 offset:176
	buffer_load_dword v63, off, s[0:3], 0 offset:180
	v_mov_b32_e32 v64, 0
	buffer_store_dword v64, off, s[0:3], 0 offset:176
	buffer_store_dword v64, off, s[0:3], 0 offset:180
	s_waitcnt vmcnt(2)
	ds_write_b64 v61, v[62:63]
.LBB29_149:
	s_or_b64 exec, exec, s[4:5]
	s_waitcnt lgkmcnt(0)
	; wave barrier
	buffer_load_dword v77, off, s[0:3], 0 offset:188
	buffer_load_dword v78, off, s[0:3], 0 offset:196
	;; [unrolled: 1-line block ×16, first 2 shown]
	v_mov_b32_e32 v62, 0
	ds_read2_b64 v[63:66], v62 offset0:53 offset1:54
	ds_read2_b64 v[67:70], v62 offset0:55 offset1:56
	;; [unrolled: 1-line block ×3, first 2 shown]
	ds_read_b64 v[75:76], v62 offset:472
	v_cmp_lt_u32_e32 vcc, 21, v0
	s_waitcnt vmcnt(15) lgkmcnt(3)
	v_mul_f32_e32 v93, v63, v77
	v_mul_f32_e32 v77, v64, v77
	s_waitcnt vmcnt(14)
	v_mul_f32_e32 v94, v65, v78
	v_mul_f32_e32 v78, v66, v78
	s_waitcnt vmcnt(13) lgkmcnt(2)
	v_mul_f32_e32 v95, v67, v79
	s_waitcnt vmcnt(12)
	v_mul_f32_e32 v96, v69, v80
	v_mul_f32_e32 v79, v68, v79
	s_waitcnt vmcnt(8)
	v_fma_f32 v63, v63, v84, -v77
	v_fmac_f32_e32 v93, v64, v84
	s_waitcnt vmcnt(7)
	v_fma_f32 v64, v65, v85, -v78
	v_add_f32_e32 v63, 0, v63
	v_mul_f32_e32 v80, v70, v80
	v_fmac_f32_e32 v94, v66, v85
	s_waitcnt vmcnt(5)
	v_fmac_f32_e32 v96, v70, v87
	v_fma_f32 v65, v67, v86, -v79
	v_add_f32_e32 v70, 0, v93
	v_add_f32_e32 v63, v63, v64
	s_waitcnt lgkmcnt(1)
	v_mul_f32_e32 v97, v71, v81
	v_mul_f32_e32 v81, v72, v81
	v_fmac_f32_e32 v95, v68, v86
	v_fma_f32 v66, v69, v87, -v80
	v_add_f32_e32 v70, v70, v94
	v_add_f32_e32 v63, v63, v65
	v_mul_f32_e32 v98, v73, v82
	v_mul_f32_e32 v82, v74, v82
	s_waitcnt vmcnt(4)
	v_fma_f32 v67, v71, v88, -v81
	v_add_f32_e32 v64, v70, v95
	v_add_f32_e32 v63, v63, v66
	s_waitcnt lgkmcnt(0)
	v_mul_f32_e32 v99, v75, v83
	v_mul_f32_e32 v83, v76, v83
	v_fmac_f32_e32 v97, v72, v88
	s_waitcnt vmcnt(3)
	v_fma_f32 v68, v73, v89, -v82
	v_add_f32_e32 v64, v64, v96
	v_add_f32_e32 v63, v63, v67
	v_fmac_f32_e32 v98, v74, v89
	s_waitcnt vmcnt(2)
	v_fma_f32 v69, v75, v90, -v83
	v_add_f32_e32 v64, v64, v97
	v_add_f32_e32 v63, v63, v68
	v_fmac_f32_e32 v99, v76, v90
	v_add_f32_e32 v64, v64, v98
	v_add_f32_e32 v63, v63, v69
	;; [unrolled: 1-line block ×3, first 2 shown]
	s_waitcnt vmcnt(1)
	v_sub_f32_e32 v63, v91, v63
	s_waitcnt vmcnt(0)
	v_sub_f32_e32 v64, v92, v64
	buffer_store_dword v63, off, s[0:3], 0 offset:176
	buffer_store_dword v64, off, s[0:3], 0 offset:180
	s_and_saveexec_b64 s[4:5], vcc
	s_cbranch_execz .LBB29_151
; %bb.150:
	buffer_load_dword v63, off, s[0:3], 0 offset:168
	buffer_load_dword v64, off, s[0:3], 0 offset:172
	s_waitcnt vmcnt(0)
	ds_write_b64 v61, v[63:64]
	buffer_store_dword v62, off, s[0:3], 0 offset:168
	buffer_store_dword v62, off, s[0:3], 0 offset:172
.LBB29_151:
	s_or_b64 exec, exec, s[4:5]
	s_waitcnt lgkmcnt(0)
	; wave barrier
	buffer_load_dword v79, off, s[0:3], 0 offset:180
	buffer_load_dword v80, off, s[0:3], 0 offset:188
	;; [unrolled: 1-line block ×18, first 2 shown]
	ds_read_b128 v[63:66], v62 offset:416
	ds_read_b128 v[67:70], v62 offset:432
	;; [unrolled: 1-line block ×4, first 2 shown]
	v_cmp_lt_u32_e32 vcc, 20, v0
	s_waitcnt vmcnt(17) lgkmcnt(3)
	v_mul_f32_e32 v62, v63, v79
	v_mul_f32_e32 v79, v64, v79
	s_waitcnt vmcnt(16)
	v_mul_f32_e32 v97, v65, v80
	v_mul_f32_e32 v80, v66, v80
	s_waitcnt vmcnt(15) lgkmcnt(2)
	v_mul_f32_e32 v98, v67, v81
	v_mul_f32_e32 v81, v68, v81
	s_waitcnt vmcnt(14)
	v_mul_f32_e32 v99, v69, v82
	v_mul_f32_e32 v82, v70, v82
	s_waitcnt vmcnt(9)
	v_fma_f32 v63, v63, v87, -v79
	v_fmac_f32_e32 v62, v64, v87
	s_waitcnt vmcnt(8)
	v_fma_f32 v64, v65, v88, -v80
	v_add_f32_e32 v63, 0, v63
	v_fmac_f32_e32 v97, v66, v88
	s_waitcnt vmcnt(7)
	v_fma_f32 v65, v67, v89, -v81
	v_add_f32_e32 v62, 0, v62
	v_add_f32_e32 v63, v63, v64
	s_waitcnt lgkmcnt(1)
	v_mul_f32_e32 v100, v71, v83
	v_mul_f32_e32 v83, v72, v83
	v_fmac_f32_e32 v98, v68, v89
	s_waitcnt vmcnt(6)
	v_fma_f32 v66, v69, v90, -v82
	v_add_f32_e32 v62, v62, v97
	v_add_f32_e32 v63, v63, v65
	v_mul_f32_e32 v101, v73, v84
	v_mul_f32_e32 v84, v74, v84
	v_fmac_f32_e32 v99, v70, v90
	s_waitcnt vmcnt(5)
	v_fma_f32 v67, v71, v91, -v83
	v_add_f32_e32 v62, v62, v98
	v_add_f32_e32 v63, v63, v66
	s_waitcnt lgkmcnt(0)
	v_mul_f32_e32 v102, v75, v85
	v_mul_f32_e32 v85, v76, v85
	v_fmac_f32_e32 v100, v72, v91
	s_waitcnt vmcnt(4)
	v_fma_f32 v68, v73, v92, -v84
	v_add_f32_e32 v62, v62, v99
	v_add_f32_e32 v63, v63, v67
	v_mul_f32_e32 v103, v77, v86
	v_mul_f32_e32 v86, v78, v86
	v_fmac_f32_e32 v101, v74, v92
	s_waitcnt vmcnt(3)
	v_fma_f32 v69, v75, v93, -v85
	v_add_f32_e32 v62, v62, v100
	v_add_f32_e32 v63, v63, v68
	v_fmac_f32_e32 v102, v76, v93
	s_waitcnt vmcnt(2)
	v_fma_f32 v70, v77, v94, -v86
	v_add_f32_e32 v62, v62, v101
	v_add_f32_e32 v63, v63, v69
	v_fmac_f32_e32 v103, v78, v94
	v_add_f32_e32 v62, v62, v102
	v_add_f32_e32 v63, v63, v70
	v_add_f32_e32 v62, v62, v103
	s_waitcnt vmcnt(1)
	v_sub_f32_e32 v63, v95, v63
	s_waitcnt vmcnt(0)
	v_sub_f32_e32 v62, v96, v62
	buffer_store_dword v63, off, s[0:3], 0 offset:168
	buffer_store_dword v62, off, s[0:3], 0 offset:172
	s_and_saveexec_b64 s[4:5], vcc
	s_cbranch_execz .LBB29_153
; %bb.152:
	buffer_load_dword v62, off, s[0:3], 0 offset:160
	buffer_load_dword v63, off, s[0:3], 0 offset:164
	v_mov_b32_e32 v64, 0
	buffer_store_dword v64, off, s[0:3], 0 offset:160
	buffer_store_dword v64, off, s[0:3], 0 offset:164
	s_waitcnt vmcnt(2)
	ds_write_b64 v61, v[62:63]
.LBB29_153:
	s_or_b64 exec, exec, s[4:5]
	s_waitcnt lgkmcnt(0)
	; wave barrier
	buffer_load_dword v81, off, s[0:3], 0 offset:172
	buffer_load_dword v82, off, s[0:3], 0 offset:180
	;; [unrolled: 1-line block ×20, first 2 shown]
	v_mov_b32_e32 v62, 0
	ds_read2_b64 v[63:66], v62 offset0:51 offset1:52
	ds_read2_b64 v[67:70], v62 offset0:53 offset1:54
	;; [unrolled: 1-line block ×4, first 2 shown]
	ds_read_b64 v[79:80], v62 offset:472
	v_cmp_lt_u32_e32 vcc, 19, v0
	s_waitcnt vmcnt(19) lgkmcnt(4)
	v_mul_f32_e32 v101, v63, v81
	v_mul_f32_e32 v81, v64, v81
	s_waitcnt vmcnt(18)
	v_mul_f32_e32 v102, v65, v82
	v_mul_f32_e32 v82, v66, v82
	s_waitcnt vmcnt(17) lgkmcnt(3)
	v_mul_f32_e32 v103, v67, v83
	s_waitcnt vmcnt(15) lgkmcnt(2)
	v_mul_f32_e32 v105, v71, v85
	v_mul_f32_e32 v83, v68, v83
	;; [unrolled: 1-line block ×4, first 2 shown]
	s_waitcnt vmcnt(10)
	v_fma_f32 v63, v63, v90, -v81
	v_fmac_f32_e32 v101, v64, v90
	s_waitcnt vmcnt(9)
	v_fma_f32 v64, v65, v91, -v82
	v_add_f32_e32 v63, 0, v63
	v_mul_f32_e32 v85, v72, v85
	v_fmac_f32_e32 v102, v66, v91
	s_waitcnt vmcnt(6)
	v_fmac_f32_e32 v105, v72, v94
	v_fma_f32 v65, v67, v92, -v83
	v_add_f32_e32 v72, 0, v101
	v_add_f32_e32 v63, v63, v64
	v_fmac_f32_e32 v103, v68, v92
	v_fma_f32 v66, v69, v93, -v84
	v_add_f32_e32 v72, v72, v102
	v_add_f32_e32 v63, v63, v65
	v_mul_f32_e32 v106, v73, v86
	v_mul_f32_e32 v86, v74, v86
	v_fmac_f32_e32 v104, v70, v93
	v_fma_f32 v67, v71, v94, -v85
	v_add_f32_e32 v64, v72, v103
	v_add_f32_e32 v63, v63, v66
	s_waitcnt lgkmcnt(1)
	v_mul_f32_e32 v107, v75, v87
	v_mul_f32_e32 v87, v76, v87
	s_waitcnt vmcnt(5)
	v_fma_f32 v68, v73, v95, -v86
	v_add_f32_e32 v64, v64, v104
	v_add_f32_e32 v63, v63, v67
	v_mul_f32_e32 v108, v77, v88
	v_mul_f32_e32 v88, v78, v88
	v_fmac_f32_e32 v106, v74, v95
	s_waitcnt vmcnt(4)
	v_fma_f32 v69, v75, v96, -v87
	v_add_f32_e32 v64, v64, v105
	v_add_f32_e32 v63, v63, v68
	s_waitcnt lgkmcnt(0)
	v_mul_f32_e32 v109, v79, v89
	v_mul_f32_e32 v89, v80, v89
	v_fmac_f32_e32 v107, v76, v96
	s_waitcnt vmcnt(3)
	v_fma_f32 v70, v77, v97, -v88
	v_add_f32_e32 v64, v64, v106
	v_add_f32_e32 v63, v63, v69
	v_fmac_f32_e32 v108, v78, v97
	s_waitcnt vmcnt(2)
	v_fma_f32 v71, v79, v98, -v89
	v_add_f32_e32 v64, v64, v107
	v_add_f32_e32 v63, v63, v70
	v_fmac_f32_e32 v109, v80, v98
	v_add_f32_e32 v64, v64, v108
	v_add_f32_e32 v63, v63, v71
	;; [unrolled: 1-line block ×3, first 2 shown]
	s_waitcnt vmcnt(1)
	v_sub_f32_e32 v63, v99, v63
	s_waitcnt vmcnt(0)
	v_sub_f32_e32 v64, v100, v64
	buffer_store_dword v63, off, s[0:3], 0 offset:160
	buffer_store_dword v64, off, s[0:3], 0 offset:164
	s_and_saveexec_b64 s[4:5], vcc
	s_cbranch_execz .LBB29_155
; %bb.154:
	buffer_load_dword v63, off, s[0:3], 0 offset:152
	buffer_load_dword v64, off, s[0:3], 0 offset:156
	s_waitcnt vmcnt(0)
	ds_write_b64 v61, v[63:64]
	buffer_store_dword v62, off, s[0:3], 0 offset:152
	buffer_store_dword v62, off, s[0:3], 0 offset:156
.LBB29_155:
	s_or_b64 exec, exec, s[4:5]
	s_waitcnt lgkmcnt(0)
	; wave barrier
	buffer_load_dword v83, off, s[0:3], 0 offset:164
	buffer_load_dword v84, off, s[0:3], 0 offset:172
	;; [unrolled: 1-line block ×22, first 2 shown]
	ds_read_b128 v[63:66], v62 offset:400
	ds_read_b128 v[67:70], v62 offset:416
	;; [unrolled: 1-line block ×5, first 2 shown]
	v_cmp_lt_u32_e32 vcc, 18, v0
	s_waitcnt vmcnt(21) lgkmcnt(4)
	v_mul_f32_e32 v62, v63, v83
	v_mul_f32_e32 v83, v64, v83
	s_waitcnt vmcnt(20)
	v_mul_f32_e32 v105, v65, v84
	v_mul_f32_e32 v84, v66, v84
	s_waitcnt vmcnt(19) lgkmcnt(3)
	v_mul_f32_e32 v106, v67, v85
	v_mul_f32_e32 v85, v68, v85
	s_waitcnt vmcnt(18)
	v_mul_f32_e32 v107, v69, v86
	v_mul_f32_e32 v86, v70, v86
	s_waitcnt vmcnt(17) lgkmcnt(2)
	v_mul_f32_e32 v108, v71, v87
	v_mul_f32_e32 v87, v72, v87
	s_waitcnt vmcnt(11)
	v_fma_f32 v63, v63, v93, -v83
	v_fmac_f32_e32 v62, v64, v93
	s_waitcnt vmcnt(10)
	v_fma_f32 v64, v65, v94, -v84
	v_add_f32_e32 v63, 0, v63
	v_fmac_f32_e32 v105, v66, v94
	s_waitcnt vmcnt(9)
	v_fma_f32 v65, v67, v95, -v85
	v_add_f32_e32 v62, 0, v62
	v_add_f32_e32 v63, v63, v64
	v_fmac_f32_e32 v106, v68, v95
	s_waitcnt vmcnt(8)
	v_fma_f32 v66, v69, v96, -v86
	v_add_f32_e32 v62, v62, v105
	v_add_f32_e32 v63, v63, v65
	v_mul_f32_e32 v109, v73, v88
	v_mul_f32_e32 v88, v74, v88
	v_fmac_f32_e32 v107, v70, v96
	s_waitcnt vmcnt(7)
	v_fma_f32 v67, v71, v97, -v87
	v_add_f32_e32 v62, v62, v106
	v_add_f32_e32 v63, v63, v66
	s_waitcnt lgkmcnt(1)
	v_mul_f32_e32 v110, v75, v89
	v_mul_f32_e32 v89, v76, v89
	v_fmac_f32_e32 v108, v72, v97
	s_waitcnt vmcnt(6)
	v_fma_f32 v68, v73, v98, -v88
	v_add_f32_e32 v62, v62, v107
	v_add_f32_e32 v63, v63, v67
	v_mul_f32_e32 v111, v77, v90
	v_mul_f32_e32 v90, v78, v90
	v_fmac_f32_e32 v109, v74, v98
	s_waitcnt vmcnt(5)
	v_fma_f32 v69, v75, v99, -v89
	v_add_f32_e32 v62, v62, v108
	v_add_f32_e32 v63, v63, v68
	s_waitcnt lgkmcnt(0)
	v_mul_f32_e32 v112, v79, v91
	v_mul_f32_e32 v91, v80, v91
	v_fmac_f32_e32 v110, v76, v99
	s_waitcnt vmcnt(4)
	v_fma_f32 v70, v77, v100, -v90
	v_add_f32_e32 v62, v62, v109
	v_add_f32_e32 v63, v63, v69
	v_mul_f32_e32 v113, v81, v92
	v_mul_f32_e32 v92, v82, v92
	v_fmac_f32_e32 v111, v78, v100
	s_waitcnt vmcnt(3)
	v_fma_f32 v71, v79, v101, -v91
	v_add_f32_e32 v62, v62, v110
	v_add_f32_e32 v63, v63, v70
	v_fmac_f32_e32 v112, v80, v101
	s_waitcnt vmcnt(2)
	v_fma_f32 v72, v81, v102, -v92
	v_add_f32_e32 v62, v62, v111
	v_add_f32_e32 v63, v63, v71
	v_fmac_f32_e32 v113, v82, v102
	v_add_f32_e32 v62, v62, v112
	v_add_f32_e32 v63, v63, v72
	;; [unrolled: 1-line block ×3, first 2 shown]
	s_waitcnt vmcnt(1)
	v_sub_f32_e32 v63, v103, v63
	s_waitcnt vmcnt(0)
	v_sub_f32_e32 v62, v104, v62
	buffer_store_dword v63, off, s[0:3], 0 offset:152
	buffer_store_dword v62, off, s[0:3], 0 offset:156
	s_and_saveexec_b64 s[4:5], vcc
	s_cbranch_execz .LBB29_157
; %bb.156:
	buffer_load_dword v62, off, s[0:3], 0 offset:144
	buffer_load_dword v63, off, s[0:3], 0 offset:148
	v_mov_b32_e32 v64, 0
	buffer_store_dword v64, off, s[0:3], 0 offset:144
	buffer_store_dword v64, off, s[0:3], 0 offset:148
	s_waitcnt vmcnt(2)
	ds_write_b64 v61, v[62:63]
.LBB29_157:
	s_or_b64 exec, exec, s[4:5]
	s_waitcnt lgkmcnt(0)
	; wave barrier
	buffer_load_dword v85, off, s[0:3], 0 offset:156
	buffer_load_dword v86, off, s[0:3], 0 offset:164
	;; [unrolled: 1-line block ×24, first 2 shown]
	v_mov_b32_e32 v62, 0
	ds_read2_b64 v[63:66], v62 offset0:49 offset1:50
	ds_read2_b64 v[67:70], v62 offset0:51 offset1:52
	;; [unrolled: 1-line block ×5, first 2 shown]
	ds_read_b64 v[83:84], v62 offset:472
	v_cmp_lt_u32_e32 vcc, 17, v0
	s_waitcnt vmcnt(23) lgkmcnt(5)
	v_mul_f32_e32 v109, v63, v85
	v_mul_f32_e32 v85, v64, v85
	s_waitcnt vmcnt(22)
	v_mul_f32_e32 v110, v65, v86
	v_mul_f32_e32 v86, v66, v86
	s_waitcnt vmcnt(21) lgkmcnt(4)
	v_mul_f32_e32 v111, v67, v87
	v_mul_f32_e32 v87, v68, v87
	s_waitcnt vmcnt(20)
	v_mul_f32_e32 v112, v69, v88
	s_waitcnt vmcnt(19) lgkmcnt(3)
	v_mul_f32_e32 v113, v71, v89
	v_mul_f32_e32 v88, v70, v88
	;; [unrolled: 1-line block ×3, first 2 shown]
	s_waitcnt vmcnt(18)
	v_mul_f32_e32 v114, v73, v90
	s_waitcnt vmcnt(12)
	v_fma_f32 v63, v63, v96, -v85
	v_fmac_f32_e32 v109, v64, v96
	s_waitcnt vmcnt(11)
	v_fma_f32 v64, v65, v97, -v86
	v_add_f32_e32 v63, 0, v63
	s_waitcnt vmcnt(10)
	v_fma_f32 v65, v67, v98, -v87
	v_add_f32_e32 v63, v63, v64
	v_fmac_f32_e32 v110, v66, v97
	s_waitcnt vmcnt(8)
	v_fmac_f32_e32 v113, v72, v100
	v_fma_f32 v66, v69, v99, -v88
	v_add_f32_e32 v72, 0, v109
	v_add_f32_e32 v63, v63, v65
	v_mul_f32_e32 v90, v74, v90
	v_fmac_f32_e32 v111, v68, v98
	v_fma_f32 v67, v71, v100, -v89
	v_add_f32_e32 v72, v72, v110
	v_add_f32_e32 v63, v63, v66
	s_waitcnt lgkmcnt(2)
	v_mul_f32_e32 v115, v75, v91
	v_mul_f32_e32 v91, v76, v91
	v_fmac_f32_e32 v112, v70, v99
	s_waitcnt vmcnt(7)
	v_fma_f32 v68, v73, v101, -v90
	v_add_f32_e32 v64, v72, v111
	v_add_f32_e32 v63, v63, v67
	v_mul_f32_e32 v116, v77, v92
	v_mul_f32_e32 v92, v78, v92
	s_waitcnt vmcnt(6)
	v_fma_f32 v69, v75, v102, -v91
	v_add_f32_e32 v64, v64, v112
	v_add_f32_e32 v63, v63, v68
	s_waitcnt lgkmcnt(1)
	v_mul_f32_e32 v117, v79, v93
	v_mul_f32_e32 v93, v80, v93
	v_fmac_f32_e32 v114, v74, v101
	s_waitcnt vmcnt(5)
	v_fma_f32 v70, v77, v103, -v92
	v_add_f32_e32 v64, v64, v113
	v_add_f32_e32 v63, v63, v69
	v_fmac_f32_e32 v115, v76, v102
	s_waitcnt vmcnt(4)
	v_fma_f32 v71, v79, v104, -v93
	v_add_f32_e32 v64, v64, v114
	v_add_f32_e32 v63, v63, v70
	v_mul_f32_e32 v65, v82, v94
	v_fmac_f32_e32 v116, v78, v103
	v_add_f32_e32 v64, v64, v115
	v_add_f32_e32 v63, v63, v71
	s_waitcnt vmcnt(3)
	v_fma_f32 v65, v81, v105, -v65
	v_mul_f32_e32 v118, v81, v94
	v_fmac_f32_e32 v117, v80, v104
	v_add_f32_e32 v64, v64, v116
	v_add_f32_e32 v63, v63, v65
	s_waitcnt lgkmcnt(0)
	v_mul_f32_e32 v65, v84, v95
	v_mul_f32_e32 v119, v83, v95
	v_fmac_f32_e32 v118, v82, v105
	v_add_f32_e32 v64, v64, v117
	s_waitcnt vmcnt(2)
	v_fma_f32 v65, v83, v106, -v65
	v_fmac_f32_e32 v119, v84, v106
	v_add_f32_e32 v64, v64, v118
	v_add_f32_e32 v63, v63, v65
	;; [unrolled: 1-line block ×3, first 2 shown]
	s_waitcnt vmcnt(1)
	v_sub_f32_e32 v63, v107, v63
	s_waitcnt vmcnt(0)
	v_sub_f32_e32 v64, v108, v64
	buffer_store_dword v63, off, s[0:3], 0 offset:144
	buffer_store_dword v64, off, s[0:3], 0 offset:148
	s_and_saveexec_b64 s[4:5], vcc
	s_cbranch_execz .LBB29_159
; %bb.158:
	buffer_load_dword v63, off, s[0:3], 0 offset:136
	buffer_load_dword v64, off, s[0:3], 0 offset:140
	s_waitcnt vmcnt(0)
	ds_write_b64 v61, v[63:64]
	buffer_store_dword v62, off, s[0:3], 0 offset:136
	buffer_store_dword v62, off, s[0:3], 0 offset:140
.LBB29_159:
	s_or_b64 exec, exec, s[4:5]
	s_waitcnt lgkmcnt(0)
	; wave barrier
	buffer_load_dword v87, off, s[0:3], 0 offset:148
	buffer_load_dword v88, off, s[0:3], 0 offset:156
	;; [unrolled: 1-line block ×26, first 2 shown]
	ds_read_b128 v[63:66], v62 offset:384
	ds_read_b128 v[67:70], v62 offset:400
	ds_read_b128 v[71:74], v62 offset:416
	ds_read_b128 v[75:78], v62 offset:432
	ds_read_b128 v[79:82], v62 offset:448
	ds_read_b128 v[83:86], v62 offset:464
	v_cmp_lt_u32_e32 vcc, 16, v0
	s_waitcnt vmcnt(25) lgkmcnt(5)
	v_mul_f32_e32 v62, v63, v87
	v_mul_f32_e32 v87, v64, v87
	s_waitcnt vmcnt(24)
	v_mul_f32_e32 v113, v65, v88
	v_mul_f32_e32 v88, v66, v88
	s_waitcnt vmcnt(23) lgkmcnt(4)
	v_mul_f32_e32 v114, v67, v89
	v_mul_f32_e32 v89, v68, v89
	s_waitcnt vmcnt(22)
	v_mul_f32_e32 v115, v69, v90
	v_mul_f32_e32 v90, v70, v90
	;; [unrolled: 6-line block ×3, first 2 shown]
	s_waitcnt vmcnt(13)
	v_fma_f32 v63, v63, v99, -v87
	v_fmac_f32_e32 v62, v64, v99
	s_waitcnt vmcnt(12)
	v_fma_f32 v64, v65, v100, -v88
	v_add_f32_e32 v63, 0, v63
	s_waitcnt vmcnt(11)
	v_fma_f32 v65, v67, v101, -v89
	v_add_f32_e32 v63, v63, v64
	v_fmac_f32_e32 v113, v66, v100
	s_waitcnt vmcnt(10)
	v_fma_f32 v66, v69, v102, -v90
	v_add_f32_e32 v63, v63, v65
	s_waitcnt vmcnt(9)
	v_fma_f32 v67, v71, v103, -v91
	v_add_f32_e32 v63, v63, v66
	s_waitcnt lgkmcnt(2)
	v_mul_f32_e32 v118, v75, v93
	v_mul_f32_e32 v93, v76, v93
	v_fmac_f32_e32 v114, v68, v101
	s_waitcnt vmcnt(8)
	v_fma_f32 v68, v73, v104, -v92
	v_add_f32_e32 v62, 0, v62
	v_add_f32_e32 v63, v63, v67
	v_mul_f32_e32 v119, v77, v94
	v_mul_f32_e32 v94, v78, v94
	s_waitcnt vmcnt(7)
	v_fma_f32 v69, v75, v105, -v93
	v_add_f32_e32 v62, v62, v113
	v_add_f32_e32 v63, v63, v68
	v_fmac_f32_e32 v115, v70, v102
	s_waitcnt vmcnt(6)
	v_fma_f32 v70, v77, v106, -v94
	v_add_f32_e32 v62, v62, v114
	v_add_f32_e32 v63, v63, v69
	s_waitcnt lgkmcnt(1)
	v_mul_f32_e32 v64, v80, v95
	v_fmac_f32_e32 v116, v72, v103
	v_add_f32_e32 v62, v62, v115
	v_add_f32_e32 v63, v63, v70
	s_waitcnt vmcnt(5)
	v_fma_f32 v64, v79, v107, -v64
	v_fmac_f32_e32 v117, v74, v104
	v_add_f32_e32 v62, v62, v116
	v_add_f32_e32 v63, v63, v64
	v_mul_f32_e32 v64, v82, v96
	v_fmac_f32_e32 v118, v76, v105
	v_add_f32_e32 v62, v62, v117
	s_waitcnt vmcnt(4)
	v_fma_f32 v64, v81, v108, -v64
	v_mul_f32_e32 v120, v79, v95
	v_fmac_f32_e32 v119, v78, v106
	v_add_f32_e32 v62, v62, v118
	v_add_f32_e32 v63, v63, v64
	s_waitcnt lgkmcnt(0)
	v_mul_f32_e32 v64, v84, v97
	v_mul_f32_e32 v121, v81, v96
	v_fmac_f32_e32 v120, v80, v107
	v_add_f32_e32 v62, v62, v119
	s_waitcnt vmcnt(3)
	v_fma_f32 v64, v83, v109, -v64
	v_mul_f32_e32 v122, v83, v97
	v_fmac_f32_e32 v121, v82, v108
	v_add_f32_e32 v62, v62, v120
	v_add_f32_e32 v63, v63, v64
	v_mul_f32_e32 v64, v86, v98
	v_mul_f32_e32 v123, v85, v98
	v_fmac_f32_e32 v122, v84, v109
	v_add_f32_e32 v62, v62, v121
	s_waitcnt vmcnt(2)
	v_fma_f32 v64, v85, v110, -v64
	v_fmac_f32_e32 v123, v86, v110
	v_add_f32_e32 v62, v62, v122
	v_add_f32_e32 v63, v63, v64
	;; [unrolled: 1-line block ×3, first 2 shown]
	s_waitcnt vmcnt(1)
	v_sub_f32_e32 v63, v111, v63
	s_waitcnt vmcnt(0)
	v_sub_f32_e32 v62, v112, v62
	buffer_store_dword v63, off, s[0:3], 0 offset:136
	buffer_store_dword v62, off, s[0:3], 0 offset:140
	s_and_saveexec_b64 s[4:5], vcc
	s_cbranch_execz .LBB29_161
; %bb.160:
	buffer_load_dword v62, off, s[0:3], 0 offset:128
	buffer_load_dword v63, off, s[0:3], 0 offset:132
	v_mov_b32_e32 v64, 0
	buffer_store_dword v64, off, s[0:3], 0 offset:128
	buffer_store_dword v64, off, s[0:3], 0 offset:132
	s_waitcnt vmcnt(2)
	ds_write_b64 v61, v[62:63]
.LBB29_161:
	s_or_b64 exec, exec, s[4:5]
	v_mov_b32_e32 v62, 0
	s_waitcnt lgkmcnt(0)
	; wave barrier
	ds_read2_b64 v[63:66], v62 offset0:47 offset1:48
	buffer_load_dword v89, off, s[0:3], 0 offset:128
	buffer_load_dword v90, off, s[0:3], 0 offset:132
	;; [unrolled: 1-line block ×16, first 2 shown]
	v_cmp_lt_u32_e32 vcc, 15, v0
	s_waitcnt vmcnt(12) lgkmcnt(0)
	v_mul_f32_e32 v67, v63, v92
	v_fmac_f32_e32 v67, v64, v91
	s_waitcnt vmcnt(10)
	v_mul_f32_e32 v68, v65, v94
	v_add_f32_e32 v67, 0, v67
	v_fmac_f32_e32 v68, v66, v93
	v_add_f32_e32 v71, v67, v68
	ds_read2_b64 v[67:70], v62 offset0:49 offset1:50
	v_mul_f32_e32 v64, v64, v92
	v_fma_f32 v63, v63, v91, -v64
	v_mul_f32_e32 v64, v66, v94
	v_add_f32_e32 v63, 0, v63
	s_waitcnt vmcnt(8) lgkmcnt(0)
	v_mul_f32_e32 v72, v67, v96
	v_fmac_f32_e32 v72, v68, v95
	v_add_f32_e32 v71, v71, v72
	s_waitcnt vmcnt(6)
	v_mul_f32_e32 v72, v69, v98
	v_fmac_f32_e32 v72, v70, v97
	v_add_f32_e32 v75, v71, v72
	ds_read2_b64 v[71:74], v62 offset0:51 offset1:52
	v_fma_f32 v64, v65, v93, -v64
	v_add_f32_e32 v63, v63, v64
	v_mul_f32_e32 v64, v68, v96
	v_fma_f32 v64, v67, v95, -v64
	s_waitcnt vmcnt(4) lgkmcnt(0)
	v_mul_f32_e32 v76, v71, v100
	v_fmac_f32_e32 v76, v72, v99
	v_add_f32_e32 v75, v75, v76
	s_waitcnt vmcnt(2)
	v_mul_f32_e32 v76, v73, v102
	v_fmac_f32_e32 v76, v74, v101
	v_add_f32_e32 v79, v75, v76
	ds_read2_b64 v[75:78], v62 offset0:53 offset1:54
	buffer_load_dword v105, off, s[0:3], 0 offset:192
	buffer_load_dword v106, off, s[0:3], 0 offset:196
	v_add_f32_e32 v63, v63, v64
	v_mul_f32_e32 v64, v70, v98
	v_fma_f32 v64, v69, v97, -v64
	s_waitcnt vmcnt(2) lgkmcnt(0)
	v_mul_f32_e32 v80, v75, v104
	v_fmac_f32_e32 v80, v76, v103
	v_add_f32_e32 v79, v79, v80
	v_add_f32_e32 v63, v63, v64
	v_mul_f32_e32 v64, v72, v100
	v_fma_f32 v64, v71, v99, -v64
	v_add_f32_e32 v63, v63, v64
	v_mul_f32_e32 v64, v74, v102
	v_fma_f32 v64, v73, v101, -v64
	v_add_f32_e32 v63, v63, v64
	v_mul_f32_e32 v64, v76, v104
	v_fma_f32 v64, v75, v103, -v64
	v_add_f32_e32 v63, v63, v64
	s_waitcnt vmcnt(0)
	v_mul_f32_e32 v80, v77, v106
	v_fmac_f32_e32 v80, v78, v105
	v_add_f32_e32 v83, v79, v80
	ds_read2_b64 v[79:82], v62 offset0:55 offset1:56
	buffer_load_dword v107, off, s[0:3], 0 offset:200
	buffer_load_dword v108, off, s[0:3], 0 offset:204
	;; [unrolled: 1-line block ×4, first 2 shown]
	v_mul_f32_e32 v64, v78, v106
	v_fma_f32 v64, v77, v105, -v64
	v_add_f32_e32 v63, v63, v64
	s_waitcnt vmcnt(2) lgkmcnt(0)
	v_mul_f32_e32 v84, v79, v108
	v_fmac_f32_e32 v84, v80, v107
	v_add_f32_e32 v83, v83, v84
	s_waitcnt vmcnt(0)
	v_mul_f32_e32 v84, v81, v110
	v_fmac_f32_e32 v84, v82, v109
	v_add_f32_e32 v87, v83, v84
	ds_read2_b64 v[83:86], v62 offset0:57 offset1:58
	buffer_load_dword v111, off, s[0:3], 0 offset:216
	buffer_load_dword v112, off, s[0:3], 0 offset:220
	;; [unrolled: 1-line block ×4, first 2 shown]
	v_mul_f32_e32 v64, v80, v108
	v_fma_f32 v64, v79, v107, -v64
	v_add_f32_e32 v63, v63, v64
	v_mul_f32_e32 v64, v82, v110
	v_fma_f32 v64, v81, v109, -v64
	v_add_f32_e32 v63, v63, v64
	s_waitcnt vmcnt(2) lgkmcnt(0)
	v_mul_f32_e32 v88, v83, v112
	v_fmac_f32_e32 v88, v84, v111
	v_add_f32_e32 v87, v87, v88
	s_waitcnt vmcnt(0)
	v_mul_f32_e32 v88, v85, v114
	v_fmac_f32_e32 v88, v86, v113
	v_add_f32_e32 v115, v87, v88
	ds_read_b64 v[87:88], v62 offset:472
	buffer_load_dword v116, off, s[0:3], 0 offset:232
	buffer_load_dword v117, off, s[0:3], 0 offset:236
	v_mul_f32_e32 v64, v84, v112
	v_fma_f32 v64, v83, v111, -v64
	v_add_f32_e32 v63, v63, v64
	v_mul_f32_e32 v64, v86, v114
	v_fma_f32 v64, v85, v113, -v64
	v_add_f32_e32 v63, v63, v64
	s_waitcnt vmcnt(0) lgkmcnt(0)
	v_mul_f32_e32 v64, v88, v117
	v_mul_f32_e32 v118, v87, v117
	v_fma_f32 v64, v87, v116, -v64
	v_fmac_f32_e32 v118, v88, v116
	v_add_f32_e32 v63, v63, v64
	v_add_f32_e32 v115, v115, v118
	v_sub_f32_e32 v63, v89, v63
	v_sub_f32_e32 v64, v90, v115
	buffer_store_dword v63, off, s[0:3], 0 offset:128
	buffer_store_dword v64, off, s[0:3], 0 offset:132
	s_and_saveexec_b64 s[4:5], vcc
	s_cbranch_execz .LBB29_163
; %bb.162:
	buffer_load_dword v63, off, s[0:3], 0 offset:120
	buffer_load_dword v64, off, s[0:3], 0 offset:124
	s_waitcnt vmcnt(0)
	ds_write_b64 v61, v[63:64]
	buffer_store_dword v62, off, s[0:3], 0 offset:120
	buffer_store_dword v62, off, s[0:3], 0 offset:124
.LBB29_163:
	s_or_b64 exec, exec, s[4:5]
	s_waitcnt lgkmcnt(0)
	; wave barrier
	ds_read_b128 v[63:66], v62 offset:368
	ds_read_b128 v[67:70], v62 offset:384
	;; [unrolled: 1-line block ×4, first 2 shown]
	buffer_load_dword v91, off, s[0:3], 0 offset:120
	buffer_load_dword v92, off, s[0:3], 0 offset:124
	;; [unrolled: 1-line block ×18, first 2 shown]
	v_cmp_lt_u32_e32 vcc, 14, v0
	s_waitcnt vmcnt(14) lgkmcnt(3)
	v_mul_f32_e32 v79, v63, v94
	v_fmac_f32_e32 v79, v64, v93
	s_waitcnt vmcnt(12)
	v_mul_f32_e32 v80, v65, v96
	v_add_f32_e32 v79, 0, v79
	v_fmac_f32_e32 v80, v66, v95
	v_add_f32_e32 v79, v79, v80
	s_waitcnt vmcnt(10) lgkmcnt(2)
	v_mul_f32_e32 v80, v67, v98
	v_fmac_f32_e32 v80, v68, v97
	v_add_f32_e32 v79, v79, v80
	s_waitcnt vmcnt(8)
	v_mul_f32_e32 v80, v69, v100
	v_fmac_f32_e32 v80, v70, v99
	v_add_f32_e32 v79, v79, v80
	s_waitcnt vmcnt(6) lgkmcnt(1)
	v_mul_f32_e32 v80, v71, v102
	v_fmac_f32_e32 v80, v72, v101
	v_add_f32_e32 v79, v79, v80
	s_waitcnt vmcnt(4)
	v_mul_f32_e32 v80, v73, v104
	v_fmac_f32_e32 v80, v74, v103
	v_add_f32_e32 v79, v79, v80
	s_waitcnt vmcnt(2) lgkmcnt(0)
	v_mul_f32_e32 v80, v75, v106
	v_fmac_f32_e32 v80, v76, v105
	v_add_f32_e32 v79, v79, v80
	s_waitcnt vmcnt(0)
	v_mul_f32_e32 v80, v77, v108
	v_fmac_f32_e32 v80, v78, v107
	v_add_f32_e32 v83, v79, v80
	ds_read_b128 v[79:82], v62 offset:432
	buffer_load_dword v109, off, s[0:3], 0 offset:192
	buffer_load_dword v110, off, s[0:3], 0 offset:196
	;; [unrolled: 1-line block ×4, first 2 shown]
	v_mul_f32_e32 v64, v64, v94
	v_fma_f32 v63, v63, v93, -v64
	v_mul_f32_e32 v64, v66, v96
	v_add_f32_e32 v63, 0, v63
	v_fma_f32 v64, v65, v95, -v64
	v_add_f32_e32 v63, v63, v64
	v_mul_f32_e32 v64, v68, v98
	v_fma_f32 v64, v67, v97, -v64
	v_add_f32_e32 v63, v63, v64
	v_mul_f32_e32 v64, v70, v100
	;; [unrolled: 3-line block ×6, first 2 shown]
	v_fma_f32 v64, v77, v107, -v64
	v_add_f32_e32 v63, v63, v64
	s_waitcnt vmcnt(2) lgkmcnt(0)
	v_mul_f32_e32 v84, v79, v110
	v_fmac_f32_e32 v84, v80, v109
	v_add_f32_e32 v83, v83, v84
	s_waitcnt vmcnt(0)
	v_mul_f32_e32 v84, v81, v112
	v_fmac_f32_e32 v84, v82, v111
	v_add_f32_e32 v87, v83, v84
	ds_read_b128 v[83:86], v62 offset:448
	buffer_load_dword v113, off, s[0:3], 0 offset:208
	buffer_load_dword v114, off, s[0:3], 0 offset:212
	;; [unrolled: 1-line block ×4, first 2 shown]
	v_mul_f32_e32 v64, v80, v110
	v_fma_f32 v64, v79, v109, -v64
	v_add_f32_e32 v63, v63, v64
	v_mul_f32_e32 v64, v82, v112
	v_fma_f32 v64, v81, v111, -v64
	v_add_f32_e32 v63, v63, v64
	s_waitcnt vmcnt(2) lgkmcnt(0)
	v_mul_f32_e32 v88, v83, v114
	v_fmac_f32_e32 v88, v84, v113
	v_add_f32_e32 v87, v87, v88
	s_waitcnt vmcnt(0)
	v_mul_f32_e32 v88, v85, v116
	v_fmac_f32_e32 v88, v86, v115
	v_add_f32_e32 v117, v87, v88
	ds_read_b128 v[87:90], v62 offset:464
	buffer_load_dword v62, off, s[0:3], 0 offset:224
	buffer_load_dword v118, off, s[0:3], 0 offset:228
	v_mul_f32_e32 v64, v84, v114
	v_fma_f32 v64, v83, v113, -v64
	v_add_f32_e32 v63, v63, v64
	v_mul_f32_e32 v64, v86, v116
	v_fma_f32 v64, v85, v115, -v64
	v_add_f32_e32 v63, v63, v64
	s_waitcnt vmcnt(0) lgkmcnt(0)
	v_mul_f32_e32 v119, v87, v118
	v_fmac_f32_e32 v119, v88, v62
	v_add_f32_e32 v117, v117, v119
	buffer_load_dword v119, off, s[0:3], 0 offset:232
	buffer_load_dword v120, off, s[0:3], 0 offset:236
	v_mul_f32_e32 v64, v88, v118
	v_fma_f32 v62, v87, v62, -v64
	v_add_f32_e32 v62, v63, v62
	s_waitcnt vmcnt(0)
	v_mul_f32_e32 v63, v90, v120
	v_mul_f32_e32 v121, v89, v120
	v_fma_f32 v63, v89, v119, -v63
	v_fmac_f32_e32 v121, v90, v119
	v_add_f32_e32 v62, v62, v63
	v_add_f32_e32 v117, v117, v121
	v_sub_f32_e32 v62, v91, v62
	v_sub_f32_e32 v63, v92, v117
	buffer_store_dword v62, off, s[0:3], 0 offset:120
	buffer_store_dword v63, off, s[0:3], 0 offset:124
	s_and_saveexec_b64 s[4:5], vcc
	s_cbranch_execz .LBB29_165
; %bb.164:
	buffer_load_dword v62, off, s[0:3], 0 offset:112
	buffer_load_dword v63, off, s[0:3], 0 offset:116
	v_mov_b32_e32 v64, 0
	buffer_store_dword v64, off, s[0:3], 0 offset:112
	buffer_store_dword v64, off, s[0:3], 0 offset:116
	s_waitcnt vmcnt(2)
	ds_write_b64 v61, v[62:63]
.LBB29_165:
	s_or_b64 exec, exec, s[4:5]
	v_mov_b32_e32 v62, 0
	s_waitcnt lgkmcnt(0)
	; wave barrier
	ds_read2_b64 v[63:66], v62 offset0:45 offset1:46
	buffer_load_dword v93, off, s[0:3], 0 offset:112
	buffer_load_dword v94, off, s[0:3], 0 offset:116
	buffer_load_dword v95, off, s[0:3], 0 offset:120
	buffer_load_dword v96, off, s[0:3], 0 offset:124
	buffer_load_dword v97, off, s[0:3], 0 offset:128
	buffer_load_dword v98, off, s[0:3], 0 offset:132
	buffer_load_dword v99, off, s[0:3], 0 offset:136
	buffer_load_dword v100, off, s[0:3], 0 offset:140
	buffer_load_dword v101, off, s[0:3], 0 offset:144
	buffer_load_dword v102, off, s[0:3], 0 offset:148
	buffer_load_dword v103, off, s[0:3], 0 offset:152
	buffer_load_dword v104, off, s[0:3], 0 offset:156
	buffer_load_dword v105, off, s[0:3], 0 offset:160
	buffer_load_dword v106, off, s[0:3], 0 offset:164
	buffer_load_dword v107, off, s[0:3], 0 offset:168
	buffer_load_dword v108, off, s[0:3], 0 offset:172
	v_cmp_lt_u32_e32 vcc, 13, v0
	s_waitcnt vmcnt(12) lgkmcnt(0)
	v_mul_f32_e32 v67, v63, v96
	v_fmac_f32_e32 v67, v64, v95
	s_waitcnt vmcnt(10)
	v_mul_f32_e32 v68, v65, v98
	v_add_f32_e32 v67, 0, v67
	v_fmac_f32_e32 v68, v66, v97
	v_add_f32_e32 v71, v67, v68
	ds_read2_b64 v[67:70], v62 offset0:47 offset1:48
	v_mul_f32_e32 v64, v64, v96
	v_fma_f32 v63, v63, v95, -v64
	v_mul_f32_e32 v64, v66, v98
	v_add_f32_e32 v63, 0, v63
	s_waitcnt vmcnt(8) lgkmcnt(0)
	v_mul_f32_e32 v72, v67, v100
	v_fmac_f32_e32 v72, v68, v99
	v_add_f32_e32 v71, v71, v72
	s_waitcnt vmcnt(6)
	v_mul_f32_e32 v72, v69, v102
	v_fmac_f32_e32 v72, v70, v101
	v_add_f32_e32 v75, v71, v72
	ds_read2_b64 v[71:74], v62 offset0:49 offset1:50
	v_fma_f32 v64, v65, v97, -v64
	v_add_f32_e32 v63, v63, v64
	v_mul_f32_e32 v64, v68, v100
	v_fma_f32 v64, v67, v99, -v64
	s_waitcnt vmcnt(4) lgkmcnt(0)
	v_mul_f32_e32 v76, v71, v104
	v_fmac_f32_e32 v76, v72, v103
	v_add_f32_e32 v75, v75, v76
	s_waitcnt vmcnt(2)
	v_mul_f32_e32 v76, v73, v106
	v_fmac_f32_e32 v76, v74, v105
	v_add_f32_e32 v79, v75, v76
	ds_read2_b64 v[75:78], v62 offset0:51 offset1:52
	buffer_load_dword v109, off, s[0:3], 0 offset:176
	buffer_load_dword v110, off, s[0:3], 0 offset:180
	v_add_f32_e32 v63, v63, v64
	v_mul_f32_e32 v64, v70, v102
	v_fma_f32 v64, v69, v101, -v64
	s_waitcnt vmcnt(2) lgkmcnt(0)
	v_mul_f32_e32 v80, v75, v108
	v_fmac_f32_e32 v80, v76, v107
	v_add_f32_e32 v79, v79, v80
	v_add_f32_e32 v63, v63, v64
	v_mul_f32_e32 v64, v72, v104
	v_fma_f32 v64, v71, v103, -v64
	v_add_f32_e32 v63, v63, v64
	v_mul_f32_e32 v64, v74, v106
	v_fma_f32 v64, v73, v105, -v64
	;; [unrolled: 3-line block ×3, first 2 shown]
	v_add_f32_e32 v63, v63, v64
	s_waitcnt vmcnt(0)
	v_mul_f32_e32 v80, v77, v110
	v_fmac_f32_e32 v80, v78, v109
	v_add_f32_e32 v83, v79, v80
	ds_read2_b64 v[79:82], v62 offset0:53 offset1:54
	buffer_load_dword v111, off, s[0:3], 0 offset:184
	buffer_load_dword v112, off, s[0:3], 0 offset:188
	;; [unrolled: 1-line block ×4, first 2 shown]
	v_mul_f32_e32 v64, v78, v110
	v_fma_f32 v64, v77, v109, -v64
	v_add_f32_e32 v63, v63, v64
	s_waitcnt vmcnt(2) lgkmcnt(0)
	v_mul_f32_e32 v84, v79, v112
	v_fmac_f32_e32 v84, v80, v111
	v_add_f32_e32 v83, v83, v84
	s_waitcnt vmcnt(0)
	v_mul_f32_e32 v84, v81, v114
	v_fmac_f32_e32 v84, v82, v113
	v_add_f32_e32 v87, v83, v84
	ds_read2_b64 v[83:86], v62 offset0:55 offset1:56
	buffer_load_dword v115, off, s[0:3], 0 offset:200
	buffer_load_dword v116, off, s[0:3], 0 offset:204
	;; [unrolled: 1-line block ×4, first 2 shown]
	v_mul_f32_e32 v64, v80, v112
	v_fma_f32 v64, v79, v111, -v64
	v_add_f32_e32 v63, v63, v64
	v_mul_f32_e32 v64, v82, v114
	v_fma_f32 v64, v81, v113, -v64
	v_add_f32_e32 v63, v63, v64
	s_waitcnt vmcnt(2) lgkmcnt(0)
	v_mul_f32_e32 v88, v83, v116
	v_fmac_f32_e32 v88, v84, v115
	v_add_f32_e32 v87, v87, v88
	s_waitcnt vmcnt(0)
	v_mul_f32_e32 v88, v85, v118
	v_fmac_f32_e32 v88, v86, v117
	v_add_f32_e32 v91, v87, v88
	ds_read2_b64 v[87:90], v62 offset0:57 offset1:58
	buffer_load_dword v119, off, s[0:3], 0 offset:216
	buffer_load_dword v120, off, s[0:3], 0 offset:220
	buffer_load_dword v121, off, s[0:3], 0 offset:224
	buffer_load_dword v122, off, s[0:3], 0 offset:228
	v_mul_f32_e32 v64, v84, v116
	v_fma_f32 v64, v83, v115, -v64
	v_add_f32_e32 v63, v63, v64
	v_mul_f32_e32 v64, v86, v118
	v_fma_f32 v64, v85, v117, -v64
	v_add_f32_e32 v63, v63, v64
	s_waitcnt vmcnt(2) lgkmcnt(0)
	v_mul_f32_e32 v92, v87, v120
	v_fmac_f32_e32 v92, v88, v119
	v_add_f32_e32 v91, v91, v92
	s_waitcnt vmcnt(0)
	v_mul_f32_e32 v92, v89, v122
	v_fmac_f32_e32 v92, v90, v121
	v_add_f32_e32 v123, v91, v92
	ds_read_b64 v[91:92], v62 offset:472
	buffer_load_dword v124, off, s[0:3], 0 offset:232
	buffer_load_dword v125, off, s[0:3], 0 offset:236
	v_mul_f32_e32 v64, v88, v120
	v_fma_f32 v64, v87, v119, -v64
	v_add_f32_e32 v63, v63, v64
	v_mul_f32_e32 v64, v90, v122
	v_fma_f32 v64, v89, v121, -v64
	v_add_f32_e32 v63, v63, v64
	s_waitcnt vmcnt(0) lgkmcnt(0)
	v_mul_f32_e32 v64, v92, v125
	v_mul_f32_e32 v126, v91, v125
	v_fma_f32 v64, v91, v124, -v64
	v_fmac_f32_e32 v126, v92, v124
	v_add_f32_e32 v63, v63, v64
	v_add_f32_e32 v123, v123, v126
	v_sub_f32_e32 v63, v93, v63
	v_sub_f32_e32 v64, v94, v123
	buffer_store_dword v63, off, s[0:3], 0 offset:112
	buffer_store_dword v64, off, s[0:3], 0 offset:116
	s_and_saveexec_b64 s[4:5], vcc
	s_cbranch_execz .LBB29_167
; %bb.166:
	buffer_load_dword v63, off, s[0:3], 0 offset:104
	buffer_load_dword v64, off, s[0:3], 0 offset:108
	s_waitcnt vmcnt(0)
	ds_write_b64 v61, v[63:64]
	buffer_store_dword v62, off, s[0:3], 0 offset:104
	buffer_store_dword v62, off, s[0:3], 0 offset:108
.LBB29_167:
	s_or_b64 exec, exec, s[4:5]
	s_waitcnt lgkmcnt(0)
	; wave barrier
	buffer_load_dword v95, off, s[0:3], 0 offset:116
	buffer_load_dword v96, off, s[0:3], 0 offset:124
	;; [unrolled: 1-line block ×34, first 2 shown]
	ds_read_b128 v[63:66], v62 offset:352
	ds_read_b128 v[67:70], v62 offset:368
	;; [unrolled: 1-line block ×8, first 2 shown]
	v_cmp_lt_u32_e32 vcc, 12, v0
	s_waitcnt vmcnt(33) lgkmcnt(7)
	v_mul_f32_e32 v62, v63, v95
	v_mul_f32_e32 v95, v64, v95
	s_waitcnt vmcnt(32)
	v_mul_f32_e32 v129, v65, v96
	v_mul_f32_e32 v96, v66, v96
	s_waitcnt vmcnt(31) lgkmcnt(6)
	v_mul_f32_e32 v130, v67, v97
	s_waitcnt vmcnt(30)
	v_mul_f32_e32 v131, v69, v98
	s_waitcnt vmcnt(29) lgkmcnt(5)
	v_mul_f32_e32 v132, v71, v99
	s_waitcnt vmcnt(28)
	;; [unrolled: 4-line block ×6, first 2 shown]
	v_mul_f32_e32 v141, v89, v108
	s_waitcnt vmcnt(17)
	v_fma_f32 v63, v63, v111, -v95
	v_fmac_f32_e32 v62, v64, v111
	s_waitcnt vmcnt(16)
	v_fma_f32 v64, v65, v112, -v96
	v_add_f32_e32 v63, 0, v63
	v_add_f32_e32 v63, v63, v64
	v_mul_f32_e32 v64, v68, v97
	s_waitcnt vmcnt(15)
	v_fma_f32 v64, v67, v113, -v64
	v_add_f32_e32 v63, v63, v64
	v_mul_f32_e32 v64, v70, v98
	s_waitcnt vmcnt(14)
	v_fma_f32 v64, v69, v114, -v64
	;; [unrolled: 4-line block ×7, first 2 shown]
	v_fmac_f32_e32 v129, v66, v112
	v_add_f32_e32 v62, 0, v62
	v_add_f32_e32 v63, v63, v64
	v_mul_f32_e32 v64, v82, v104
	v_fmac_f32_e32 v130, v68, v113
	v_add_f32_e32 v62, v62, v129
	s_waitcnt vmcnt(8)
	v_fma_f32 v64, v81, v120, -v64
	v_fmac_f32_e32 v131, v70, v114
	v_add_f32_e32 v62, v62, v130
	v_add_f32_e32 v63, v63, v64
	v_mul_f32_e32 v64, v84, v105
	v_fmac_f32_e32 v132, v72, v115
	v_add_f32_e32 v62, v62, v131
	s_waitcnt vmcnt(7)
	v_fma_f32 v64, v83, v121, -v64
	;; [unrolled: 8-line block ×5, first 2 shown]
	v_fmac_f32_e32 v139, v86, v122
	v_add_f32_e32 v62, v62, v138
	v_add_f32_e32 v63, v63, v64
	s_waitcnt lgkmcnt(0)
	v_mul_f32_e32 v64, v92, v109
	v_fmac_f32_e32 v140, v88, v123
	v_add_f32_e32 v62, v62, v139
	s_waitcnt vmcnt(3)
	v_fma_f32 v64, v91, v125, -v64
	v_mul_f32_e32 v142, v91, v109
	v_fmac_f32_e32 v141, v90, v124
	v_add_f32_e32 v62, v62, v140
	v_add_f32_e32 v63, v63, v64
	v_mul_f32_e32 v64, v94, v110
	v_mul_f32_e32 v143, v93, v110
	v_fmac_f32_e32 v142, v92, v125
	v_add_f32_e32 v62, v62, v141
	s_waitcnt vmcnt(2)
	v_fma_f32 v64, v93, v126, -v64
	v_fmac_f32_e32 v143, v94, v126
	v_add_f32_e32 v62, v62, v142
	v_add_f32_e32 v63, v63, v64
	;; [unrolled: 1-line block ×3, first 2 shown]
	s_waitcnt vmcnt(1)
	v_sub_f32_e32 v63, v127, v63
	s_waitcnt vmcnt(0)
	v_sub_f32_e32 v62, v128, v62
	buffer_store_dword v63, off, s[0:3], 0 offset:104
	buffer_store_dword v62, off, s[0:3], 0 offset:108
	s_and_saveexec_b64 s[4:5], vcc
	s_cbranch_execz .LBB29_169
; %bb.168:
	buffer_load_dword v62, off, s[0:3], 0 offset:96
	buffer_load_dword v63, off, s[0:3], 0 offset:100
	v_mov_b32_e32 v64, 0
	buffer_store_dword v64, off, s[0:3], 0 offset:96
	buffer_store_dword v64, off, s[0:3], 0 offset:100
	s_waitcnt vmcnt(2)
	ds_write_b64 v61, v[62:63]
.LBB29_169:
	s_or_b64 exec, exec, s[4:5]
	s_waitcnt lgkmcnt(0)
	; wave barrier
	buffer_load_dword v97, off, s[0:3], 0 offset:108
	buffer_load_dword v98, off, s[0:3], 0 offset:116
	;; [unrolled: 1-line block ×36, first 2 shown]
	v_mov_b32_e32 v62, 0
	ds_read2_b64 v[63:66], v62 offset0:43 offset1:44
	ds_read2_b64 v[67:70], v62 offset0:45 offset1:46
	;; [unrolled: 1-line block ×8, first 2 shown]
	ds_read_b64 v[95:96], v62 offset:472
	v_cmp_lt_u32_e32 vcc, 11, v0
	s_waitcnt vmcnt(35) lgkmcnt(8)
	v_mul_f32_e32 v133, v63, v97
	s_waitcnt vmcnt(34)
	v_mul_f32_e32 v134, v65, v98
	s_waitcnt vmcnt(33) lgkmcnt(7)
	v_mul_f32_e32 v135, v67, v99
	s_waitcnt vmcnt(32)
	v_mul_f32_e32 v136, v69, v100
	;; [unrolled: 4-line block ×8, first 2 shown]
	s_waitcnt vmcnt(19) lgkmcnt(0)
	v_mul_f32_e32 v149, v95, v113
	s_waitcnt vmcnt(18)
	v_fmac_f32_e32 v133, v64, v114
	v_mul_f32_e32 v64, v64, v97
	v_fma_f32 v63, v63, v114, -v64
	v_mul_f32_e32 v64, v66, v98
	v_add_f32_e32 v63, 0, v63
	s_waitcnt vmcnt(17)
	v_fma_f32 v64, v65, v115, -v64
	v_add_f32_e32 v63, v63, v64
	v_mul_f32_e32 v64, v68, v99
	s_waitcnt vmcnt(16)
	v_fma_f32 v64, v67, v116, -v64
	v_add_f32_e32 v63, v63, v64
	v_mul_f32_e32 v64, v70, v100
	;; [unrolled: 4-line block ×8, first 2 shown]
	v_fmac_f32_e32 v134, v66, v115
	v_add_f32_e32 v133, 0, v133
	s_waitcnt vmcnt(9)
	v_fma_f32 v64, v81, v123, -v64
	v_fmac_f32_e32 v135, v68, v116
	v_add_f32_e32 v133, v133, v134
	v_add_f32_e32 v63, v63, v64
	v_mul_f32_e32 v64, v84, v107
	v_fmac_f32_e32 v136, v70, v117
	v_add_f32_e32 v133, v133, v135
	s_waitcnt vmcnt(8)
	v_fma_f32 v64, v83, v124, -v64
	v_fmac_f32_e32 v137, v72, v118
	v_add_f32_e32 v133, v133, v136
	v_add_f32_e32 v63, v63, v64
	v_mul_f32_e32 v64, v86, v108
	;; [unrolled: 8-line block ×7, first 2 shown]
	v_fmac_f32_e32 v148, v94, v129
	v_add_f32_e32 v133, v133, v147
	s_waitcnt vmcnt(2)
	v_fma_f32 v64, v95, v130, -v64
	v_fmac_f32_e32 v149, v96, v130
	v_add_f32_e32 v133, v133, v148
	v_add_f32_e32 v63, v63, v64
	;; [unrolled: 1-line block ×3, first 2 shown]
	s_waitcnt vmcnt(1)
	v_sub_f32_e32 v63, v131, v63
	s_waitcnt vmcnt(0)
	v_sub_f32_e32 v64, v132, v133
	buffer_store_dword v63, off, s[0:3], 0 offset:96
	buffer_store_dword v64, off, s[0:3], 0 offset:100
	s_and_saveexec_b64 s[4:5], vcc
	s_cbranch_execz .LBB29_171
; %bb.170:
	buffer_load_dword v63, off, s[0:3], 0 offset:88
	buffer_load_dword v64, off, s[0:3], 0 offset:92
	s_waitcnt vmcnt(0)
	ds_write_b64 v61, v[63:64]
	buffer_store_dword v62, off, s[0:3], 0 offset:88
	buffer_store_dword v62, off, s[0:3], 0 offset:92
.LBB29_171:
	s_or_b64 exec, exec, s[4:5]
	s_waitcnt lgkmcnt(0)
	; wave barrier
	buffer_load_dword v99, off, s[0:3], 0 offset:100
	buffer_load_dword v100, off, s[0:3], 0 offset:108
	;; [unrolled: 1-line block ×38, first 2 shown]
	ds_read_b128 v[63:66], v62 offset:336
	ds_read_b128 v[67:70], v62 offset:352
	;; [unrolled: 1-line block ×9, first 2 shown]
	v_cmp_lt_u32_e32 vcc, 10, v0
	s_waitcnt vmcnt(37) lgkmcnt(8)
	v_mul_f32_e32 v62, v63, v99
	s_waitcnt vmcnt(36)
	v_mul_f32_e32 v137, v65, v100
	s_waitcnt vmcnt(35) lgkmcnt(7)
	v_mul_f32_e32 v138, v67, v101
	s_waitcnt vmcnt(34)
	v_mul_f32_e32 v139, v69, v102
	;; [unrolled: 4-line block ×8, first 2 shown]
	s_waitcnt vmcnt(21) lgkmcnt(0)
	v_mul_f32_e32 v152, v95, v115
	s_waitcnt vmcnt(20)
	v_fmac_f32_e32 v62, v64, v116
	v_mul_f32_e32 v64, v64, v99
	v_fma_f32 v63, v63, v116, -v64
	v_mul_f32_e32 v64, v66, v100
	v_add_f32_e32 v63, 0, v63
	s_waitcnt vmcnt(19)
	v_fma_f32 v64, v65, v117, -v64
	v_add_f32_e32 v63, v63, v64
	v_mul_f32_e32 v64, v68, v101
	s_waitcnt vmcnt(18)
	v_fma_f32 v64, v67, v118, -v64
	v_add_f32_e32 v63, v63, v64
	v_mul_f32_e32 v64, v70, v102
	s_waitcnt vmcnt(17)
	v_fma_f32 v64, v69, v119, -v64
	v_add_f32_e32 v63, v63, v64
	v_mul_f32_e32 v64, v72, v103
	s_waitcnt vmcnt(16)
	v_fma_f32 v64, v71, v120, -v64
	v_add_f32_e32 v63, v63, v64
	v_mul_f32_e32 v64, v74, v104
	s_waitcnt vmcnt(15)
	v_fma_f32 v64, v73, v121, -v64
	v_add_f32_e32 v63, v63, v64
	v_mul_f32_e32 v64, v76, v105
	s_waitcnt vmcnt(14)
	v_fma_f32 v64, v75, v122, -v64
	v_add_f32_e32 v63, v63, v64
	v_mul_f32_e32 v64, v78, v106
	s_waitcnt vmcnt(13)
	v_fma_f32 v64, v77, v123, -v64
	v_add_f32_e32 v63, v63, v64
	v_mul_f32_e32 v64, v80, v107
	s_waitcnt vmcnt(12)
	v_fma_f32 v64, v79, v124, -v64
	v_add_f32_e32 v63, v63, v64
	v_mul_f32_e32 v64, v82, v108
	s_waitcnt vmcnt(11)
	v_fma_f32 v64, v81, v125, -v64
	v_fmac_f32_e32 v137, v66, v117
	v_add_f32_e32 v62, 0, v62
	v_add_f32_e32 v63, v63, v64
	v_mul_f32_e32 v64, v84, v109
	v_fmac_f32_e32 v138, v68, v118
	v_add_f32_e32 v62, v62, v137
	s_waitcnt vmcnt(10)
	v_fma_f32 v64, v83, v126, -v64
	v_fmac_f32_e32 v139, v70, v119
	v_add_f32_e32 v62, v62, v138
	v_add_f32_e32 v63, v63, v64
	v_mul_f32_e32 v64, v86, v110
	v_fmac_f32_e32 v140, v72, v120
	v_add_f32_e32 v62, v62, v139
	;; [unrolled: 8-line block ×7, first 2 shown]
	s_waitcnt vmcnt(4)
	v_fma_f32 v64, v95, v132, -v64
	v_fmac_f32_e32 v151, v94, v131
	v_add_f32_e32 v62, v62, v150
	v_add_f32_e32 v63, v63, v64
	s_waitcnt vmcnt(3)
	v_mul_f32_e32 v64, v98, v133
	v_add_f32_e32 v62, v62, v151
	v_fmac_f32_e32 v152, v96, v132
	v_mul_f32_e32 v137, v97, v133
	s_waitcnt vmcnt(2)
	v_fma_f32 v64, v97, v134, -v64
	v_add_f32_e32 v62, v62, v152
	v_fmac_f32_e32 v137, v98, v134
	v_add_f32_e32 v63, v63, v64
	v_add_f32_e32 v62, v62, v137
	s_waitcnt vmcnt(1)
	v_sub_f32_e32 v63, v135, v63
	s_waitcnt vmcnt(0)
	v_sub_f32_e32 v62, v136, v62
	buffer_store_dword v63, off, s[0:3], 0 offset:88
	buffer_store_dword v62, off, s[0:3], 0 offset:92
	s_and_saveexec_b64 s[4:5], vcc
	s_cbranch_execz .LBB29_173
; %bb.172:
	buffer_load_dword v62, off, s[0:3], 0 offset:80
	buffer_load_dword v63, off, s[0:3], 0 offset:84
	v_mov_b32_e32 v64, 0
	buffer_store_dword v64, off, s[0:3], 0 offset:80
	buffer_store_dword v64, off, s[0:3], 0 offset:84
	s_waitcnt vmcnt(2)
	ds_write_b64 v61, v[62:63]
.LBB29_173:
	s_or_b64 exec, exec, s[4:5]
	s_waitcnt lgkmcnt(0)
	; wave barrier
	buffer_load_dword v101, off, s[0:3], 0 offset:92
	buffer_load_dword v102, off, s[0:3], 0 offset:100
	;; [unrolled: 1-line block ×40, first 2 shown]
	v_mov_b32_e32 v62, 0
	ds_read2_b64 v[63:66], v62 offset0:41 offset1:42
	ds_read2_b64 v[67:70], v62 offset0:43 offset1:44
	;; [unrolled: 1-line block ×9, first 2 shown]
	v_cmp_lt_u32_e32 vcc, 9, v0
	s_waitcnt vmcnt(39) lgkmcnt(8)
	v_mul_f32_e32 v99, v63, v101
	s_waitcnt vmcnt(38)
	v_mul_f32_e32 v100, v65, v102
	s_waitcnt vmcnt(37) lgkmcnt(7)
	v_mul_f32_e32 v141, v67, v103
	s_waitcnt vmcnt(36)
	v_mul_f32_e32 v142, v69, v104
	;; [unrolled: 4-line block ×7, first 2 shown]
	s_waitcnt vmcnt(25) lgkmcnt(1)
	v_mul_f32_e32 v153, v91, v115
	s_waitcnt vmcnt(24)
	v_fmac_f32_e32 v99, v64, v116
	v_mul_f32_e32 v64, v64, v101
	v_fma_f32 v63, v63, v116, -v64
	v_mul_f32_e32 v64, v66, v102
	v_add_f32_e32 v63, 0, v63
	s_waitcnt vmcnt(23)
	v_fma_f32 v64, v65, v117, -v64
	v_add_f32_e32 v63, v63, v64
	v_mul_f32_e32 v64, v68, v103
	s_waitcnt vmcnt(22)
	v_fma_f32 v64, v67, v118, -v64
	v_add_f32_e32 v63, v63, v64
	v_mul_f32_e32 v64, v70, v104
	;; [unrolled: 4-line block ×6, first 2 shown]
	s_waitcnt vmcnt(17)
	v_fma_f32 v64, v77, v123, -v64
	v_fmac_f32_e32 v100, v66, v117
	v_add_f32_e32 v99, 0, v99
	v_add_f32_e32 v63, v63, v64
	v_mul_f32_e32 v64, v80, v109
	v_fmac_f32_e32 v141, v68, v118
	v_add_f32_e32 v99, v99, v100
	s_waitcnt vmcnt(16)
	v_fma_f32 v64, v79, v124, -v64
	v_fmac_f32_e32 v142, v70, v119
	v_add_f32_e32 v99, v99, v141
	v_add_f32_e32 v63, v63, v64
	v_mul_f32_e32 v64, v82, v110
	v_fmac_f32_e32 v143, v72, v120
	v_add_f32_e32 v99, v99, v142
	;; [unrolled: 8-line block ×6, first 2 shown]
	s_waitcnt vmcnt(11)
	v_fma_f32 v64, v89, v129, -v64
	v_fmac_f32_e32 v152, v90, v129
	v_add_f32_e32 v99, v99, v151
	v_add_f32_e32 v63, v63, v64
	v_mul_f32_e32 v64, v92, v115
	s_waitcnt vmcnt(10)
	v_fmac_f32_e32 v153, v92, v130
	v_add_f32_e32 v99, v99, v152
	s_waitcnt vmcnt(9)
	v_mul_f32_e32 v100, v93, v131
	v_fma_f32 v64, v91, v130, -v64
	v_add_f32_e32 v99, v99, v153
	s_waitcnt vmcnt(8)
	v_fmac_f32_e32 v100, v94, v132
	v_add_f32_e32 v63, v63, v64
	v_mul_f32_e32 v64, v94, v131
	v_add_f32_e32 v141, v99, v100
	ds_read_b64 v[99:100], v62 offset:472
	v_fma_f32 v64, v93, v132, -v64
	v_add_f32_e32 v63, v63, v64
	s_waitcnt vmcnt(7) lgkmcnt(1)
	v_mul_f32_e32 v64, v96, v133
	v_mul_f32_e32 v142, v95, v133
	s_waitcnt vmcnt(6)
	v_fma_f32 v64, v95, v134, -v64
	v_fmac_f32_e32 v142, v96, v134
	v_add_f32_e32 v63, v63, v64
	s_waitcnt vmcnt(5)
	v_mul_f32_e32 v64, v98, v135
	v_add_f32_e32 v141, v141, v142
	v_mul_f32_e32 v142, v97, v135
	s_waitcnt vmcnt(4)
	v_fma_f32 v64, v97, v136, -v64
	v_fmac_f32_e32 v142, v98, v136
	v_add_f32_e32 v63, v63, v64
	s_waitcnt vmcnt(3) lgkmcnt(0)
	v_mul_f32_e32 v64, v100, v137
	v_add_f32_e32 v141, v141, v142
	v_mul_f32_e32 v142, v99, v137
	s_waitcnt vmcnt(2)
	v_fma_f32 v64, v99, v138, -v64
	v_fmac_f32_e32 v142, v100, v138
	v_add_f32_e32 v63, v63, v64
	v_add_f32_e32 v141, v141, v142
	s_waitcnt vmcnt(1)
	v_sub_f32_e32 v63, v139, v63
	s_waitcnt vmcnt(0)
	v_sub_f32_e32 v64, v140, v141
	buffer_store_dword v63, off, s[0:3], 0 offset:80
	buffer_store_dword v64, off, s[0:3], 0 offset:84
	s_and_saveexec_b64 s[4:5], vcc
	s_cbranch_execz .LBB29_175
; %bb.174:
	buffer_load_dword v63, off, s[0:3], 0 offset:72
	buffer_load_dword v64, off, s[0:3], 0 offset:76
	s_waitcnt vmcnt(0)
	ds_write_b64 v61, v[63:64]
	buffer_store_dword v62, off, s[0:3], 0 offset:72
	buffer_store_dword v62, off, s[0:3], 0 offset:76
.LBB29_175:
	s_or_b64 exec, exec, s[4:5]
	s_waitcnt lgkmcnt(0)
	; wave barrier
	buffer_load_dword v103, off, s[0:3], 0 offset:84
	buffer_load_dword v104, off, s[0:3], 0 offset:92
	;; [unrolled: 1-line block ×42, first 2 shown]
	ds_read_b128 v[63:66], v62 offset:320
	ds_read_b128 v[67:70], v62 offset:336
	;; [unrolled: 1-line block ×8, first 2 shown]
	v_cmp_lt_u32_e32 vcc, 8, v0
	s_waitcnt vmcnt(41) lgkmcnt(7)
	v_mul_f32_e32 v95, v63, v103
	s_waitcnt vmcnt(40)
	v_mul_f32_e32 v96, v65, v104
	s_waitcnt vmcnt(39) lgkmcnt(6)
	v_mul_f32_e32 v97, v67, v105
	s_waitcnt vmcnt(38)
	v_mul_f32_e32 v98, v69, v106
	;; [unrolled: 4-line block ×7, first 2 shown]
	s_waitcnt vmcnt(27) lgkmcnt(0)
	v_mul_f32_e32 v151, v91, v117
	s_waitcnt vmcnt(26)
	v_fmac_f32_e32 v95, v64, v118
	v_mul_f32_e32 v64, v64, v103
	v_fma_f32 v63, v63, v118, -v64
	v_mul_f32_e32 v64, v66, v104
	v_add_f32_e32 v63, 0, v63
	s_waitcnt vmcnt(25)
	v_fma_f32 v64, v65, v119, -v64
	v_add_f32_e32 v63, v63, v64
	v_mul_f32_e32 v64, v68, v105
	s_waitcnt vmcnt(24)
	v_fma_f32 v64, v67, v120, -v64
	v_add_f32_e32 v63, v63, v64
	v_mul_f32_e32 v64, v70, v106
	;; [unrolled: 4-line block ×5, first 2 shown]
	v_fmac_f32_e32 v96, v66, v119
	v_add_f32_e32 v95, 0, v95
	s_waitcnt vmcnt(20)
	v_fma_f32 v64, v75, v124, -v64
	v_fmac_f32_e32 v97, v68, v120
	v_add_f32_e32 v95, v95, v96
	v_add_f32_e32 v63, v63, v64
	v_mul_f32_e32 v64, v78, v110
	v_fmac_f32_e32 v98, v70, v121
	v_add_f32_e32 v95, v95, v97
	s_waitcnt vmcnt(19)
	v_fma_f32 v64, v77, v125, -v64
	v_fmac_f32_e32 v99, v72, v122
	v_add_f32_e32 v95, v95, v98
	v_add_f32_e32 v63, v63, v64
	v_mul_f32_e32 v64, v80, v111
	;; [unrolled: 8-line block ×5, first 2 shown]
	s_waitcnt vmcnt(15)
	v_fmac_f32_e32 v148, v86, v129
	v_add_f32_e32 v95, v95, v147
	v_fma_f32 v64, v85, v129, -v64
	s_waitcnt vmcnt(14)
	v_fmac_f32_e32 v149, v88, v130
	v_add_f32_e32 v95, v95, v148
	v_add_f32_e32 v63, v63, v64
	v_mul_f32_e32 v64, v88, v115
	s_waitcnt vmcnt(13)
	v_fmac_f32_e32 v150, v90, v131
	v_add_f32_e32 v95, v95, v149
	v_fma_f32 v64, v87, v130, -v64
	s_waitcnt vmcnt(12)
	v_fmac_f32_e32 v151, v92, v132
	v_add_f32_e32 v95, v95, v150
	v_add_f32_e32 v63, v63, v64
	v_mul_f32_e32 v64, v90, v116
	v_add_f32_e32 v99, v95, v151
	ds_read_b128 v[95:98], v62 offset:448
	v_fma_f32 v64, v89, v131, -v64
	v_add_f32_e32 v63, v63, v64
	v_mul_f32_e32 v64, v92, v117
	s_waitcnt vmcnt(11)
	v_mul_f32_e32 v100, v93, v133
	v_fma_f32 v64, v91, v132, -v64
	s_waitcnt vmcnt(10)
	v_fmac_f32_e32 v100, v94, v134
	v_add_f32_e32 v63, v63, v64
	v_mul_f32_e32 v64, v94, v133
	v_add_f32_e32 v145, v99, v100
	ds_read_b128 v[99:102], v62 offset:464
	v_fma_f32 v64, v93, v134, -v64
	v_add_f32_e32 v63, v63, v64
	s_waitcnt vmcnt(9) lgkmcnt(1)
	v_mul_f32_e32 v64, v96, v135
	v_mul_f32_e32 v62, v95, v135
	s_waitcnt vmcnt(8)
	v_fma_f32 v64, v95, v136, -v64
	v_fmac_f32_e32 v62, v96, v136
	v_add_f32_e32 v63, v63, v64
	s_waitcnt vmcnt(7)
	v_mul_f32_e32 v64, v98, v137
	v_add_f32_e32 v62, v145, v62
	v_mul_f32_e32 v145, v97, v137
	s_waitcnt vmcnt(6)
	v_fma_f32 v64, v97, v138, -v64
	v_fmac_f32_e32 v145, v98, v138
	v_add_f32_e32 v63, v63, v64
	s_waitcnt vmcnt(5) lgkmcnt(0)
	v_mul_f32_e32 v64, v100, v139
	v_add_f32_e32 v62, v62, v145
	v_mul_f32_e32 v145, v99, v139
	s_waitcnt vmcnt(4)
	v_fma_f32 v64, v99, v140, -v64
	v_fmac_f32_e32 v145, v100, v140
	v_add_f32_e32 v63, v63, v64
	s_waitcnt vmcnt(3)
	v_mul_f32_e32 v64, v102, v141
	v_add_f32_e32 v62, v62, v145
	v_mul_f32_e32 v145, v101, v141
	s_waitcnt vmcnt(2)
	v_fma_f32 v64, v101, v142, -v64
	v_fmac_f32_e32 v145, v102, v142
	v_add_f32_e32 v63, v63, v64
	v_add_f32_e32 v62, v62, v145
	s_waitcnt vmcnt(1)
	v_sub_f32_e32 v63, v143, v63
	s_waitcnt vmcnt(0)
	v_sub_f32_e32 v62, v144, v62
	buffer_store_dword v63, off, s[0:3], 0 offset:72
	buffer_store_dword v62, off, s[0:3], 0 offset:76
	s_and_saveexec_b64 s[4:5], vcc
	s_cbranch_execz .LBB29_177
; %bb.176:
	buffer_load_dword v62, off, s[0:3], 0 offset:64
	buffer_load_dword v63, off, s[0:3], 0 offset:68
	v_mov_b32_e32 v64, 0
	buffer_store_dword v64, off, s[0:3], 0 offset:64
	buffer_store_dword v64, off, s[0:3], 0 offset:68
	s_waitcnt vmcnt(2)
	ds_write_b64 v61, v[62:63]
.LBB29_177:
	s_or_b64 exec, exec, s[4:5]
	s_waitcnt lgkmcnt(0)
	; wave barrier
	buffer_load_dword v105, off, s[0:3], 0 offset:76
	buffer_load_dword v106, off, s[0:3], 0 offset:84
	;; [unrolled: 1-line block ×44, first 2 shown]
	v_mov_b32_e32 v62, 0
	ds_read2_b64 v[63:66], v62 offset0:39 offset1:40
	ds_read2_b64 v[67:70], v62 offset0:41 offset1:42
	;; [unrolled: 1-line block ×8, first 2 shown]
	v_cmp_lt_u32_e32 vcc, 7, v0
	s_waitcnt vmcnt(43) lgkmcnt(7)
	v_mul_f32_e32 v95, v63, v105
	s_waitcnt vmcnt(42)
	v_mul_f32_e32 v96, v65, v106
	s_waitcnt vmcnt(41) lgkmcnt(6)
	v_mul_f32_e32 v97, v67, v107
	s_waitcnt vmcnt(40)
	v_mul_f32_e32 v98, v69, v108
	;; [unrolled: 4-line block ×7, first 2 shown]
	s_waitcnt vmcnt(29)
	v_fmac_f32_e32 v95, v64, v119
	v_mul_f32_e32 v64, v64, v105
	v_fma_f32 v63, v63, v119, -v64
	v_mul_f32_e32 v64, v66, v106
	v_add_f32_e32 v63, 0, v63
	s_waitcnt vmcnt(28)
	v_fma_f32 v64, v65, v120, -v64
	v_add_f32_e32 v63, v63, v64
	v_mul_f32_e32 v64, v68, v107
	s_waitcnt vmcnt(27)
	v_fma_f32 v64, v67, v121, -v64
	v_add_f32_e32 v63, v63, v64
	v_mul_f32_e32 v64, v70, v108
	;; [unrolled: 4-line block ×4, first 2 shown]
	s_waitcnt vmcnt(24)
	v_fma_f32 v64, v73, v124, -v64
	v_fmac_f32_e32 v96, v66, v120
	v_add_f32_e32 v95, 0, v95
	v_add_f32_e32 v63, v63, v64
	v_mul_f32_e32 v64, v76, v111
	v_fmac_f32_e32 v97, v68, v121
	v_add_f32_e32 v95, v95, v96
	s_waitcnt vmcnt(23)
	v_fma_f32 v64, v75, v125, -v64
	v_fmac_f32_e32 v98, v70, v122
	v_add_f32_e32 v95, v95, v97
	v_add_f32_e32 v63, v63, v64
	v_mul_f32_e32 v64, v78, v112
	v_fmac_f32_e32 v99, v72, v123
	v_add_f32_e32 v95, v95, v98
	;; [unrolled: 8-line block ×4, first 2 shown]
	s_waitcnt vmcnt(20)
	v_fma_f32 v64, v81, v128, -v64
	v_fmac_f32_e32 v104, v82, v128
	v_add_f32_e32 v95, v95, v103
	v_add_f32_e32 v63, v63, v64
	v_mul_f32_e32 v64, v84, v115
	s_waitcnt vmcnt(19)
	v_fmac_f32_e32 v149, v84, v129
	v_add_f32_e32 v95, v95, v104
	v_fma_f32 v64, v83, v129, -v64
	s_waitcnt vmcnt(18)
	v_fmac_f32_e32 v150, v86, v130
	v_add_f32_e32 v95, v95, v149
	v_add_f32_e32 v63, v63, v64
	v_mul_f32_e32 v64, v86, v116
	s_waitcnt vmcnt(17)
	v_fmac_f32_e32 v151, v88, v131
	v_add_f32_e32 v95, v95, v150
	v_fma_f32 v64, v85, v130, -v64
	v_add_f32_e32 v95, v95, v151
	s_waitcnt vmcnt(16)
	v_fmac_f32_e32 v152, v90, v132
	s_waitcnt vmcnt(15) lgkmcnt(0)
	v_mul_f32_e32 v96, v91, v133
	v_add_f32_e32 v63, v63, v64
	v_mul_f32_e32 v64, v88, v117
	v_add_f32_e32 v95, v95, v152
	s_waitcnt vmcnt(14)
	v_fmac_f32_e32 v96, v92, v134
	v_fma_f32 v64, v87, v131, -v64
	v_add_f32_e32 v99, v95, v96
	ds_read2_b64 v[95:98], v62 offset0:55 offset1:56
	v_add_f32_e32 v63, v63, v64
	v_mul_f32_e32 v64, v90, v118
	v_fma_f32 v64, v89, v132, -v64
	v_add_f32_e32 v63, v63, v64
	v_mul_f32_e32 v64, v92, v133
	s_waitcnt vmcnt(13)
	v_mul_f32_e32 v100, v93, v135
	v_fma_f32 v64, v91, v134, -v64
	s_waitcnt vmcnt(12)
	v_fmac_f32_e32 v100, v94, v136
	v_add_f32_e32 v63, v63, v64
	v_mul_f32_e32 v64, v94, v135
	v_add_f32_e32 v103, v99, v100
	ds_read2_b64 v[99:102], v62 offset0:57 offset1:58
	s_waitcnt vmcnt(11) lgkmcnt(1)
	v_mul_f32_e32 v104, v95, v137
	v_fma_f32 v64, v93, v136, -v64
	s_waitcnt vmcnt(10)
	v_fmac_f32_e32 v104, v96, v138
	v_add_f32_e32 v63, v63, v64
	v_mul_f32_e32 v64, v96, v137
	v_add_f32_e32 v103, v103, v104
	s_waitcnt vmcnt(9)
	v_mul_f32_e32 v104, v97, v139
	v_fma_f32 v64, v95, v138, -v64
	s_waitcnt vmcnt(8)
	v_fmac_f32_e32 v104, v98, v140
	v_add_f32_e32 v63, v63, v64
	v_mul_f32_e32 v64, v98, v139
	v_add_f32_e32 v149, v103, v104
	ds_read_b64 v[103:104], v62 offset:472
	v_fma_f32 v64, v97, v140, -v64
	v_add_f32_e32 v63, v63, v64
	s_waitcnt vmcnt(7) lgkmcnt(1)
	v_mul_f32_e32 v64, v100, v141
	v_mul_f32_e32 v150, v99, v141
	s_waitcnt vmcnt(6)
	v_fma_f32 v64, v99, v142, -v64
	v_fmac_f32_e32 v150, v100, v142
	v_add_f32_e32 v63, v63, v64
	s_waitcnt vmcnt(5)
	v_mul_f32_e32 v64, v102, v143
	v_add_f32_e32 v149, v149, v150
	v_mul_f32_e32 v150, v101, v143
	s_waitcnt vmcnt(4)
	v_fma_f32 v64, v101, v144, -v64
	v_fmac_f32_e32 v150, v102, v144
	v_add_f32_e32 v63, v63, v64
	s_waitcnt vmcnt(3) lgkmcnt(0)
	v_mul_f32_e32 v64, v104, v145
	v_add_f32_e32 v149, v149, v150
	v_mul_f32_e32 v150, v103, v145
	s_waitcnt vmcnt(2)
	v_fma_f32 v64, v103, v146, -v64
	v_fmac_f32_e32 v150, v104, v146
	v_add_f32_e32 v63, v63, v64
	v_add_f32_e32 v149, v149, v150
	s_waitcnt vmcnt(1)
	v_sub_f32_e32 v63, v147, v63
	s_waitcnt vmcnt(0)
	v_sub_f32_e32 v64, v148, v149
	buffer_store_dword v63, off, s[0:3], 0 offset:64
	buffer_store_dword v64, off, s[0:3], 0 offset:68
	s_and_saveexec_b64 s[4:5], vcc
	s_cbranch_execz .LBB29_179
; %bb.178:
	buffer_load_dword v63, off, s[0:3], 0 offset:56
	buffer_load_dword v64, off, s[0:3], 0 offset:60
	s_waitcnt vmcnt(0)
	ds_write_b64 v61, v[63:64]
	buffer_store_dword v62, off, s[0:3], 0 offset:56
	buffer_store_dword v62, off, s[0:3], 0 offset:60
.LBB29_179:
	s_or_b64 exec, exec, s[4:5]
	s_waitcnt lgkmcnt(0)
	; wave barrier
	buffer_load_dword v107, off, s[0:3], 0 offset:68
	buffer_load_dword v108, off, s[0:3], 0 offset:76
	buffer_load_dword v109, off, s[0:3], 0 offset:84
	buffer_load_dword v110, off, s[0:3], 0 offset:92
	buffer_load_dword v111, off, s[0:3], 0 offset:100
	buffer_load_dword v112, off, s[0:3], 0 offset:108
	buffer_load_dword v113, off, s[0:3], 0 offset:116
	buffer_load_dword v114, off, s[0:3], 0 offset:124
	buffer_load_dword v115, off, s[0:3], 0 offset:132
	buffer_load_dword v116, off, s[0:3], 0 offset:140
	buffer_load_dword v117, off, s[0:3], 0 offset:148
	buffer_load_dword v118, off, s[0:3], 0 offset:156
	buffer_load_dword v119, off, s[0:3], 0 offset:164
	buffer_load_dword v120, off, s[0:3], 0 offset:64
	buffer_load_dword v121, off, s[0:3], 0 offset:72
	buffer_load_dword v122, off, s[0:3], 0 offset:80
	buffer_load_dword v123, off, s[0:3], 0 offset:88
	buffer_load_dword v124, off, s[0:3], 0 offset:96
	buffer_load_dword v125, off, s[0:3], 0 offset:104
	buffer_load_dword v126, off, s[0:3], 0 offset:112
	buffer_load_dword v127, off, s[0:3], 0 offset:120
	buffer_load_dword v128, off, s[0:3], 0 offset:128
	buffer_load_dword v129, off, s[0:3], 0 offset:136
	buffer_load_dword v130, off, s[0:3], 0 offset:144
	buffer_load_dword v131, off, s[0:3], 0 offset:152
	buffer_load_dword v132, off, s[0:3], 0 offset:160
	buffer_load_dword v133, off, s[0:3], 0 offset:172
	buffer_load_dword v134, off, s[0:3], 0 offset:168
	buffer_load_dword v135, off, s[0:3], 0 offset:180
	buffer_load_dword v136, off, s[0:3], 0 offset:176
	buffer_load_dword v137, off, s[0:3], 0 offset:188
	buffer_load_dword v138, off, s[0:3], 0 offset:184
	buffer_load_dword v139, off, s[0:3], 0 offset:196
	buffer_load_dword v140, off, s[0:3], 0 offset:192
	buffer_load_dword v141, off, s[0:3], 0 offset:204
	buffer_load_dword v142, off, s[0:3], 0 offset:200
	buffer_load_dword v143, off, s[0:3], 0 offset:212
	buffer_load_dword v144, off, s[0:3], 0 offset:208
	buffer_load_dword v145, off, s[0:3], 0 offset:220
	buffer_load_dword v146, off, s[0:3], 0 offset:216
	buffer_load_dword v147, off, s[0:3], 0 offset:228
	buffer_load_dword v148, off, s[0:3], 0 offset:224
	buffer_load_dword v149, off, s[0:3], 0 offset:236
	buffer_load_dword v150, off, s[0:3], 0 offset:232
	buffer_load_dword v151, off, s[0:3], 0 offset:56
	buffer_load_dword v152, off, s[0:3], 0 offset:60
	ds_read_b128 v[63:66], v62 offset:304
	ds_read_b128 v[67:70], v62 offset:320
	ds_read_b128 v[71:74], v62 offset:336
	ds_read_b128 v[75:78], v62 offset:352
	ds_read_b128 v[79:82], v62 offset:368
	ds_read_b128 v[83:86], v62 offset:384
	ds_read_b128 v[87:90], v62 offset:400
	ds_read_b128 v[91:94], v62 offset:416
	v_cmp_lt_u32_e32 vcc, 6, v0
	s_waitcnt vmcnt(45) lgkmcnt(7)
	v_mul_f32_e32 v95, v63, v107
	s_waitcnt vmcnt(44)
	v_mul_f32_e32 v96, v65, v108
	s_waitcnt vmcnt(43) lgkmcnt(6)
	v_mul_f32_e32 v97, v67, v109
	s_waitcnt vmcnt(42)
	v_mul_f32_e32 v98, v69, v110
	;; [unrolled: 4-line block ×6, first 2 shown]
	s_waitcnt vmcnt(33) lgkmcnt(1)
	v_mul_f32_e32 v153, v87, v119
	s_waitcnt vmcnt(32)
	v_fmac_f32_e32 v95, v64, v120
	v_mul_f32_e32 v64, v64, v107
	v_fma_f32 v63, v63, v120, -v64
	v_mul_f32_e32 v64, v66, v108
	v_add_f32_e32 v63, 0, v63
	s_waitcnt vmcnt(31)
	v_fma_f32 v64, v65, v121, -v64
	v_add_f32_e32 v63, v63, v64
	v_mul_f32_e32 v64, v68, v109
	s_waitcnt vmcnt(30)
	v_fma_f32 v64, v67, v122, -v64
	v_add_f32_e32 v63, v63, v64
	v_mul_f32_e32 v64, v70, v110
	;; [unrolled: 4-line block ×4, first 2 shown]
	v_fmac_f32_e32 v96, v66, v121
	v_add_f32_e32 v95, 0, v95
	s_waitcnt vmcnt(27)
	v_fma_f32 v64, v73, v125, -v64
	v_fmac_f32_e32 v97, v68, v122
	v_add_f32_e32 v95, v95, v96
	v_add_f32_e32 v63, v63, v64
	v_mul_f32_e32 v64, v76, v113
	v_fmac_f32_e32 v98, v70, v123
	v_add_f32_e32 v95, v95, v97
	s_waitcnt vmcnt(26)
	v_fma_f32 v64, v75, v126, -v64
	v_fmac_f32_e32 v99, v72, v124
	v_add_f32_e32 v95, v95, v98
	v_add_f32_e32 v63, v63, v64
	v_mul_f32_e32 v64, v78, v114
	;; [unrolled: 8-line block ×4, first 2 shown]
	s_waitcnt vmcnt(23)
	v_fmac_f32_e32 v104, v82, v129
	v_add_f32_e32 v95, v95, v103
	v_fma_f32 v64, v81, v129, -v64
	s_waitcnt vmcnt(22)
	v_fmac_f32_e32 v105, v84, v130
	v_add_f32_e32 v95, v95, v104
	v_add_f32_e32 v63, v63, v64
	v_mul_f32_e32 v64, v84, v117
	s_waitcnt vmcnt(21)
	v_fmac_f32_e32 v106, v86, v131
	v_add_f32_e32 v95, v95, v105
	v_fma_f32 v64, v83, v130, -v64
	s_waitcnt vmcnt(20)
	v_fmac_f32_e32 v153, v88, v132
	v_add_f32_e32 v95, v95, v106
	s_waitcnt vmcnt(19)
	v_mul_f32_e32 v96, v89, v133
	v_add_f32_e32 v63, v63, v64
	v_mul_f32_e32 v64, v86, v118
	v_add_f32_e32 v95, v95, v153
	s_waitcnt vmcnt(18)
	v_fmac_f32_e32 v96, v90, v134
	v_fma_f32 v64, v85, v131, -v64
	v_add_f32_e32 v95, v95, v96
	s_waitcnt vmcnt(17) lgkmcnt(0)
	v_mul_f32_e32 v96, v91, v135
	v_add_f32_e32 v63, v63, v64
	v_mul_f32_e32 v64, v88, v119
	s_waitcnt vmcnt(16)
	v_fmac_f32_e32 v96, v92, v136
	v_fma_f32 v64, v87, v132, -v64
	v_add_f32_e32 v99, v95, v96
	ds_read_b128 v[95:98], v62 offset:432
	v_add_f32_e32 v63, v63, v64
	v_mul_f32_e32 v64, v90, v133
	v_fma_f32 v64, v89, v134, -v64
	v_add_f32_e32 v63, v63, v64
	v_mul_f32_e32 v64, v92, v135
	s_waitcnt vmcnt(15)
	v_mul_f32_e32 v100, v93, v137
	v_fma_f32 v64, v91, v136, -v64
	s_waitcnt vmcnt(14)
	v_fmac_f32_e32 v100, v94, v138
	v_add_f32_e32 v63, v63, v64
	v_mul_f32_e32 v64, v94, v137
	v_add_f32_e32 v103, v99, v100
	ds_read_b128 v[99:102], v62 offset:448
	s_waitcnt vmcnt(13) lgkmcnt(1)
	v_mul_f32_e32 v104, v95, v139
	v_fma_f32 v64, v93, v138, -v64
	s_waitcnt vmcnt(12)
	v_fmac_f32_e32 v104, v96, v140
	v_add_f32_e32 v63, v63, v64
	v_mul_f32_e32 v64, v96, v139
	v_add_f32_e32 v103, v103, v104
	s_waitcnt vmcnt(11)
	v_mul_f32_e32 v104, v97, v141
	v_fma_f32 v64, v95, v140, -v64
	s_waitcnt vmcnt(10)
	v_fmac_f32_e32 v104, v98, v142
	v_add_f32_e32 v63, v63, v64
	v_mul_f32_e32 v64, v98, v141
	v_add_f32_e32 v153, v103, v104
	ds_read_b128 v[103:106], v62 offset:464
	v_fma_f32 v64, v97, v142, -v64
	v_add_f32_e32 v63, v63, v64
	s_waitcnt vmcnt(9) lgkmcnt(1)
	v_mul_f32_e32 v64, v100, v143
	v_mul_f32_e32 v154, v99, v143
	s_waitcnt vmcnt(8)
	v_fma_f32 v64, v99, v144, -v64
	v_fmac_f32_e32 v154, v100, v144
	v_add_f32_e32 v63, v63, v64
	s_waitcnt vmcnt(7)
	v_mul_f32_e32 v64, v102, v145
	v_add_f32_e32 v62, v153, v154
	v_mul_f32_e32 v153, v101, v145
	s_waitcnt vmcnt(6)
	v_fma_f32 v64, v101, v146, -v64
	v_fmac_f32_e32 v153, v102, v146
	v_add_f32_e32 v63, v63, v64
	s_waitcnt vmcnt(5) lgkmcnt(0)
	v_mul_f32_e32 v64, v104, v147
	v_add_f32_e32 v62, v62, v153
	v_mul_f32_e32 v153, v103, v147
	s_waitcnt vmcnt(4)
	v_fma_f32 v64, v103, v148, -v64
	v_fmac_f32_e32 v153, v104, v148
	v_add_f32_e32 v63, v63, v64
	s_waitcnt vmcnt(3)
	v_mul_f32_e32 v64, v106, v149
	v_add_f32_e32 v62, v62, v153
	v_mul_f32_e32 v153, v105, v149
	s_waitcnt vmcnt(2)
	v_fma_f32 v64, v105, v150, -v64
	v_fmac_f32_e32 v153, v106, v150
	v_add_f32_e32 v63, v63, v64
	v_add_f32_e32 v62, v62, v153
	s_waitcnt vmcnt(1)
	v_sub_f32_e32 v63, v151, v63
	s_waitcnt vmcnt(0)
	v_sub_f32_e32 v62, v152, v62
	buffer_store_dword v63, off, s[0:3], 0 offset:56
	buffer_store_dword v62, off, s[0:3], 0 offset:60
	s_and_saveexec_b64 s[4:5], vcc
	s_cbranch_execz .LBB29_181
; %bb.180:
	buffer_load_dword v62, off, s[0:3], 0 offset:48
	buffer_load_dword v63, off, s[0:3], 0 offset:52
	v_mov_b32_e32 v64, 0
	buffer_store_dword v64, off, s[0:3], 0 offset:48
	buffer_store_dword v64, off, s[0:3], 0 offset:52
	s_waitcnt vmcnt(2)
	ds_write_b64 v61, v[62:63]
.LBB29_181:
	s_or_b64 exec, exec, s[4:5]
	s_waitcnt lgkmcnt(0)
	; wave barrier
	buffer_load_dword v109, off, s[0:3], 0 offset:60
	buffer_load_dword v110, off, s[0:3], 0 offset:68
	buffer_load_dword v111, off, s[0:3], 0 offset:76
	buffer_load_dword v112, off, s[0:3], 0 offset:84
	buffer_load_dword v113, off, s[0:3], 0 offset:92
	buffer_load_dword v114, off, s[0:3], 0 offset:100
	buffer_load_dword v115, off, s[0:3], 0 offset:108
	buffer_load_dword v116, off, s[0:3], 0 offset:116
	buffer_load_dword v117, off, s[0:3], 0 offset:124
	buffer_load_dword v118, off, s[0:3], 0 offset:132
	buffer_load_dword v119, off, s[0:3], 0 offset:140
	buffer_load_dword v120, off, s[0:3], 0 offset:148
	buffer_load_dword v121, off, s[0:3], 0 offset:56
	buffer_load_dword v122, off, s[0:3], 0 offset:64
	buffer_load_dword v123, off, s[0:3], 0 offset:72
	buffer_load_dword v124, off, s[0:3], 0 offset:80
	buffer_load_dword v125, off, s[0:3], 0 offset:88
	buffer_load_dword v126, off, s[0:3], 0 offset:96
	buffer_load_dword v127, off, s[0:3], 0 offset:104
	buffer_load_dword v128, off, s[0:3], 0 offset:112
	buffer_load_dword v129, off, s[0:3], 0 offset:120
	buffer_load_dword v130, off, s[0:3], 0 offset:128
	buffer_load_dword v131, off, s[0:3], 0 offset:136
	buffer_load_dword v132, off, s[0:3], 0 offset:144
	buffer_load_dword v133, off, s[0:3], 0 offset:156
	buffer_load_dword v134, off, s[0:3], 0 offset:152
	buffer_load_dword v135, off, s[0:3], 0 offset:164
	buffer_load_dword v136, off, s[0:3], 0 offset:160
	buffer_load_dword v137, off, s[0:3], 0 offset:172
	buffer_load_dword v138, off, s[0:3], 0 offset:168
	buffer_load_dword v139, off, s[0:3], 0 offset:180
	buffer_load_dword v140, off, s[0:3], 0 offset:176
	buffer_load_dword v141, off, s[0:3], 0 offset:188
	buffer_load_dword v142, off, s[0:3], 0 offset:184
	buffer_load_dword v143, off, s[0:3], 0 offset:196
	buffer_load_dword v144, off, s[0:3], 0 offset:192
	buffer_load_dword v145, off, s[0:3], 0 offset:204
	buffer_load_dword v146, off, s[0:3], 0 offset:200
	buffer_load_dword v147, off, s[0:3], 0 offset:212
	buffer_load_dword v148, off, s[0:3], 0 offset:208
	buffer_load_dword v149, off, s[0:3], 0 offset:216
	buffer_load_dword v150, off, s[0:3], 0 offset:220
	buffer_load_dword v151, off, s[0:3], 0 offset:48
	buffer_load_dword v152, off, s[0:3], 0 offset:52
	buffer_load_dword v153, off, s[0:3], 0 offset:228
	buffer_load_dword v154, off, s[0:3], 0 offset:224
	buffer_load_dword v155, off, s[0:3], 0 offset:232
	buffer_load_dword v156, off, s[0:3], 0 offset:236
	v_mov_b32_e32 v62, 0
	ds_read2_b64 v[63:66], v62 offset0:37 offset1:38
	ds_read2_b64 v[67:70], v62 offset0:39 offset1:40
	;; [unrolled: 1-line block ×7, first 2 shown]
	v_cmp_lt_u32_e32 vcc, 5, v0
	s_waitcnt vmcnt(47) lgkmcnt(6)
	v_mul_f32_e32 v91, v63, v109
	s_waitcnt vmcnt(46)
	v_mul_f32_e32 v92, v65, v110
	s_waitcnt vmcnt(45) lgkmcnt(5)
	v_mul_f32_e32 v93, v67, v111
	s_waitcnt vmcnt(44)
	v_mul_f32_e32 v94, v69, v112
	;; [unrolled: 4-line block ×6, first 2 shown]
	s_waitcnt vmcnt(35)
	v_fmac_f32_e32 v91, v64, v121
	v_mul_f32_e32 v64, v64, v109
	v_fma_f32 v63, v63, v121, -v64
	v_mul_f32_e32 v64, v66, v110
	v_add_f32_e32 v63, 0, v63
	s_waitcnt vmcnt(34)
	v_fma_f32 v64, v65, v122, -v64
	v_add_f32_e32 v63, v63, v64
	v_mul_f32_e32 v64, v68, v111
	s_waitcnt vmcnt(33)
	v_fma_f32 v64, v67, v123, -v64
	v_fmac_f32_e32 v92, v66, v122
	v_add_f32_e32 v91, 0, v91
	v_add_f32_e32 v63, v63, v64
	v_mul_f32_e32 v64, v70, v112
	v_fmac_f32_e32 v93, v68, v123
	v_add_f32_e32 v91, v91, v92
	s_waitcnt vmcnt(32)
	v_fma_f32 v64, v69, v124, -v64
	v_fmac_f32_e32 v94, v70, v124
	v_add_f32_e32 v91, v91, v93
	v_add_f32_e32 v63, v63, v64
	v_mul_f32_e32 v64, v72, v113
	s_waitcnt vmcnt(31)
	v_fmac_f32_e32 v95, v72, v125
	v_add_f32_e32 v91, v91, v94
	v_fma_f32 v64, v71, v125, -v64
	s_waitcnt vmcnt(30)
	v_fmac_f32_e32 v96, v74, v126
	v_add_f32_e32 v91, v91, v95
	v_add_f32_e32 v63, v63, v64
	v_mul_f32_e32 v64, v74, v114
	s_waitcnt vmcnt(29)
	v_fmac_f32_e32 v97, v76, v127
	v_add_f32_e32 v91, v91, v96
	v_fma_f32 v64, v73, v126, -v64
	s_waitcnt vmcnt(28)
	;; [unrolled: 9-line block ×4, first 2 shown]
	v_fmac_f32_e32 v102, v86, v132
	v_add_f32_e32 v91, v91, v101
	v_add_f32_e32 v63, v63, v64
	v_mul_f32_e32 v64, v80, v117
	v_add_f32_e32 v95, v91, v102
	ds_read2_b64 v[91:94], v62 offset0:51 offset1:52
	v_fma_f32 v64, v79, v129, -v64
	s_waitcnt vmcnt(23) lgkmcnt(1)
	v_mul_f32_e32 v96, v87, v133
	v_add_f32_e32 v63, v63, v64
	v_mul_f32_e32 v64, v82, v118
	s_waitcnt vmcnt(22)
	v_fmac_f32_e32 v96, v88, v134
	v_fma_f32 v64, v81, v130, -v64
	v_add_f32_e32 v95, v95, v96
	s_waitcnt vmcnt(21)
	v_mul_f32_e32 v96, v89, v135
	v_add_f32_e32 v63, v63, v64
	v_mul_f32_e32 v64, v84, v119
	s_waitcnt vmcnt(20)
	v_fmac_f32_e32 v96, v90, v136
	v_fma_f32 v64, v83, v131, -v64
	v_add_f32_e32 v95, v95, v96
	s_waitcnt vmcnt(19) lgkmcnt(0)
	v_mul_f32_e32 v96, v91, v137
	v_add_f32_e32 v63, v63, v64
	v_mul_f32_e32 v64, v86, v120
	s_waitcnt vmcnt(18)
	v_fmac_f32_e32 v96, v92, v138
	v_fma_f32 v64, v85, v132, -v64
	v_add_f32_e32 v99, v95, v96
	ds_read2_b64 v[95:98], v62 offset0:53 offset1:54
	v_add_f32_e32 v63, v63, v64
	v_mul_f32_e32 v64, v88, v133
	v_fma_f32 v64, v87, v134, -v64
	s_waitcnt vmcnt(17)
	v_mul_f32_e32 v100, v93, v139
	v_add_f32_e32 v63, v63, v64
	v_mul_f32_e32 v64, v90, v135
	s_waitcnt vmcnt(16)
	v_fmac_f32_e32 v100, v94, v140
	v_fma_f32 v64, v89, v136, -v64
	v_add_f32_e32 v103, v99, v100
	ds_read2_b64 v[99:102], v62 offset0:55 offset1:56
	v_add_f32_e32 v63, v63, v64
	v_mul_f32_e32 v64, v92, v137
	s_waitcnt vmcnt(15) lgkmcnt(1)
	v_mul_f32_e32 v104, v95, v141
	v_fma_f32 v64, v91, v138, -v64
	s_waitcnt vmcnt(14)
	v_fmac_f32_e32 v104, v96, v142
	v_add_f32_e32 v63, v63, v64
	v_mul_f32_e32 v64, v94, v139
	v_add_f32_e32 v103, v103, v104
	s_waitcnt vmcnt(13)
	v_mul_f32_e32 v104, v97, v143
	v_fma_f32 v64, v93, v140, -v64
	s_waitcnt vmcnt(12)
	v_fmac_f32_e32 v104, v98, v144
	v_add_f32_e32 v63, v63, v64
	v_mul_f32_e32 v64, v96, v141
	v_add_f32_e32 v103, v103, v104
	s_waitcnt vmcnt(11) lgkmcnt(0)
	v_mul_f32_e32 v104, v99, v145
	v_fma_f32 v64, v95, v142, -v64
	s_waitcnt vmcnt(10)
	v_fmac_f32_e32 v104, v100, v146
	v_add_f32_e32 v63, v63, v64
	v_mul_f32_e32 v64, v98, v143
	v_add_f32_e32 v107, v103, v104
	ds_read2_b64 v[103:106], v62 offset0:57 offset1:58
	v_fma_f32 v64, v97, v144, -v64
	v_add_f32_e32 v63, v63, v64
	v_mul_f32_e32 v64, v100, v145
	s_waitcnt vmcnt(9)
	v_mul_f32_e32 v108, v101, v147
	v_fma_f32 v64, v99, v146, -v64
	s_waitcnt vmcnt(8)
	v_fmac_f32_e32 v108, v102, v148
	v_add_f32_e32 v63, v63, v64
	v_mul_f32_e32 v64, v102, v147
	v_add_f32_e32 v157, v107, v108
	ds_read_b64 v[107:108], v62 offset:472
	v_fma_f32 v64, v101, v148, -v64
	v_add_f32_e32 v63, v63, v64
	s_waitcnt vmcnt(6) lgkmcnt(1)
	v_mul_f32_e32 v64, v104, v150
	v_mul_f32_e32 v158, v103, v150
	v_fma_f32 v64, v103, v149, -v64
	v_fmac_f32_e32 v158, v104, v149
	v_add_f32_e32 v63, v63, v64
	s_waitcnt vmcnt(3)
	v_mul_f32_e32 v64, v106, v153
	v_add_f32_e32 v157, v157, v158
	v_mul_f32_e32 v158, v105, v153
	s_waitcnt vmcnt(2)
	v_fma_f32 v64, v105, v154, -v64
	v_fmac_f32_e32 v158, v106, v154
	v_add_f32_e32 v63, v63, v64
	s_waitcnt vmcnt(0) lgkmcnt(0)
	v_mul_f32_e32 v64, v108, v156
	v_add_f32_e32 v157, v157, v158
	v_mul_f32_e32 v158, v107, v156
	v_fma_f32 v64, v107, v155, -v64
	v_fmac_f32_e32 v158, v108, v155
	v_add_f32_e32 v63, v63, v64
	v_add_f32_e32 v157, v157, v158
	v_sub_f32_e32 v63, v151, v63
	v_sub_f32_e32 v64, v152, v157
	buffer_store_dword v63, off, s[0:3], 0 offset:48
	buffer_store_dword v64, off, s[0:3], 0 offset:52
	s_and_saveexec_b64 s[4:5], vcc
	s_cbranch_execz .LBB29_183
; %bb.182:
	buffer_load_dword v63, off, s[0:3], 0 offset:40
	buffer_load_dword v64, off, s[0:3], 0 offset:44
	s_waitcnt vmcnt(0)
	ds_write_b64 v61, v[63:64]
	buffer_store_dword v62, off, s[0:3], 0 offset:40
	buffer_store_dword v62, off, s[0:3], 0 offset:44
.LBB29_183:
	s_or_b64 exec, exec, s[4:5]
	s_waitcnt lgkmcnt(0)
	; wave barrier
	buffer_load_dword v111, off, s[0:3], 0 offset:52
	buffer_load_dword v112, off, s[0:3], 0 offset:60
	;; [unrolled: 1-line block ×48, first 2 shown]
	ds_read_b128 v[63:66], v62 offset:288
	ds_read_b128 v[67:70], v62 offset:304
	buffer_load_dword v159, off, s[0:3], 0 offset:232
	buffer_load_dword v160, off, s[0:3], 0 offset:236
	ds_read_b128 v[71:74], v62 offset:320
	ds_read_b128 v[75:78], v62 offset:336
	;; [unrolled: 1-line block ×5, first 2 shown]
	v_cmp_lt_u32_e32 vcc, 4, v0
	s_waitcnt vmcnt(49) lgkmcnt(6)
	v_mul_f32_e32 v91, v63, v111
	s_waitcnt vmcnt(48)
	v_mul_f32_e32 v92, v65, v112
	s_waitcnt vmcnt(47) lgkmcnt(5)
	v_mul_f32_e32 v93, v67, v113
	s_waitcnt vmcnt(46)
	v_mul_f32_e32 v94, v69, v114
	s_waitcnt vmcnt(45) lgkmcnt(4)
	v_mul_f32_e32 v95, v71, v115
	s_waitcnt vmcnt(44)
	v_mul_f32_e32 v96, v73, v116
	s_waitcnt vmcnt(43) lgkmcnt(3)
	v_mul_f32_e32 v97, v75, v117
	s_waitcnt vmcnt(42)
	v_mul_f32_e32 v98, v77, v118
	s_waitcnt vmcnt(41) lgkmcnt(2)
	v_mul_f32_e32 v99, v79, v119
	s_waitcnt vmcnt(40)
	v_mul_f32_e32 v100, v81, v120
	s_waitcnt vmcnt(39) lgkmcnt(1)
	v_mul_f32_e32 v101, v83, v121
	s_waitcnt vmcnt(38)
	v_mul_f32_e32 v102, v85, v122
	s_waitcnt vmcnt(37)
	v_fmac_f32_e32 v91, v64, v123
	v_mul_f32_e32 v64, v64, v111
	v_fma_f32 v63, v63, v123, -v64
	v_mul_f32_e32 v64, v66, v112
	v_add_f32_e32 v63, 0, v63
	s_waitcnt vmcnt(36)
	v_fma_f32 v64, v65, v124, -v64
	v_add_f32_e32 v63, v63, v64
	v_mul_f32_e32 v64, v68, v113
	s_waitcnt vmcnt(35)
	v_fma_f32 v64, v67, v125, -v64
	v_fmac_f32_e32 v92, v66, v124
	v_add_f32_e32 v91, 0, v91
	v_add_f32_e32 v63, v63, v64
	v_mul_f32_e32 v64, v70, v114
	v_fmac_f32_e32 v93, v68, v125
	v_add_f32_e32 v91, v91, v92
	s_waitcnt vmcnt(34)
	v_fma_f32 v64, v69, v126, -v64
	v_fmac_f32_e32 v94, v70, v126
	v_add_f32_e32 v91, v91, v93
	v_add_f32_e32 v63, v63, v64
	v_mul_f32_e32 v64, v72, v115
	s_waitcnt vmcnt(33)
	v_fmac_f32_e32 v95, v72, v127
	v_add_f32_e32 v91, v91, v94
	v_fma_f32 v64, v71, v127, -v64
	s_waitcnt vmcnt(32)
	v_fmac_f32_e32 v96, v74, v128
	v_add_f32_e32 v91, v91, v95
	v_add_f32_e32 v63, v63, v64
	v_mul_f32_e32 v64, v74, v116
	s_waitcnt vmcnt(31)
	v_fmac_f32_e32 v97, v76, v129
	v_add_f32_e32 v91, v91, v96
	v_fma_f32 v64, v73, v128, -v64
	s_waitcnt vmcnt(30)
	;; [unrolled: 9-line block ×3, first 2 shown]
	v_fmac_f32_e32 v100, v82, v132
	v_add_f32_e32 v91, v91, v99
	v_add_f32_e32 v63, v63, v64
	v_mul_f32_e32 v64, v78, v118
	s_waitcnt vmcnt(27)
	v_fmac_f32_e32 v101, v84, v133
	v_add_f32_e32 v91, v91, v100
	v_fma_f32 v64, v77, v130, -v64
	v_add_f32_e32 v91, v91, v101
	s_waitcnt vmcnt(26)
	v_fmac_f32_e32 v102, v86, v134
	v_add_f32_e32 v63, v63, v64
	v_mul_f32_e32 v64, v80, v119
	v_add_f32_e32 v95, v91, v102
	ds_read_b128 v[91:94], v62 offset:400
	v_fma_f32 v64, v79, v131, -v64
	s_waitcnt vmcnt(25) lgkmcnt(1)
	v_mul_f32_e32 v96, v87, v135
	v_add_f32_e32 v63, v63, v64
	v_mul_f32_e32 v64, v82, v120
	s_waitcnt vmcnt(24)
	v_fmac_f32_e32 v96, v88, v136
	v_fma_f32 v64, v81, v132, -v64
	v_add_f32_e32 v95, v95, v96
	s_waitcnt vmcnt(23)
	v_mul_f32_e32 v96, v89, v137
	v_add_f32_e32 v63, v63, v64
	v_mul_f32_e32 v64, v84, v121
	s_waitcnt vmcnt(22)
	v_fmac_f32_e32 v96, v90, v138
	v_fma_f32 v64, v83, v133, -v64
	v_add_f32_e32 v95, v95, v96
	s_waitcnt vmcnt(21) lgkmcnt(0)
	v_mul_f32_e32 v96, v91, v139
	v_add_f32_e32 v63, v63, v64
	v_mul_f32_e32 v64, v86, v122
	s_waitcnt vmcnt(20)
	v_fmac_f32_e32 v96, v92, v140
	v_fma_f32 v64, v85, v134, -v64
	v_add_f32_e32 v99, v95, v96
	ds_read_b128 v[95:98], v62 offset:416
	v_add_f32_e32 v63, v63, v64
	v_mul_f32_e32 v64, v88, v135
	v_fma_f32 v64, v87, v136, -v64
	s_waitcnt vmcnt(19)
	v_mul_f32_e32 v100, v93, v141
	v_add_f32_e32 v63, v63, v64
	v_mul_f32_e32 v64, v90, v137
	s_waitcnt vmcnt(18)
	v_fmac_f32_e32 v100, v94, v142
	v_fma_f32 v64, v89, v138, -v64
	v_add_f32_e32 v103, v99, v100
	ds_read_b128 v[99:102], v62 offset:432
	v_add_f32_e32 v63, v63, v64
	v_mul_f32_e32 v64, v92, v139
	s_waitcnt vmcnt(17) lgkmcnt(1)
	v_mul_f32_e32 v104, v95, v143
	v_fma_f32 v64, v91, v140, -v64
	s_waitcnt vmcnt(16)
	v_fmac_f32_e32 v104, v96, v144
	v_add_f32_e32 v63, v63, v64
	v_mul_f32_e32 v64, v94, v141
	v_add_f32_e32 v103, v103, v104
	s_waitcnt vmcnt(15)
	v_mul_f32_e32 v104, v97, v145
	v_fma_f32 v64, v93, v142, -v64
	s_waitcnt vmcnt(14)
	v_fmac_f32_e32 v104, v98, v146
	v_add_f32_e32 v63, v63, v64
	v_mul_f32_e32 v64, v96, v143
	v_add_f32_e32 v103, v103, v104
	s_waitcnt vmcnt(13) lgkmcnt(0)
	v_mul_f32_e32 v104, v99, v147
	v_fma_f32 v64, v95, v144, -v64
	s_waitcnt vmcnt(12)
	v_fmac_f32_e32 v104, v100, v148
	v_add_f32_e32 v63, v63, v64
	v_mul_f32_e32 v64, v98, v145
	v_add_f32_e32 v107, v103, v104
	ds_read_b128 v[103:106], v62 offset:448
	v_fma_f32 v64, v97, v146, -v64
	v_add_f32_e32 v63, v63, v64
	v_mul_f32_e32 v64, v100, v147
	s_waitcnt vmcnt(11)
	v_mul_f32_e32 v108, v101, v149
	v_fma_f32 v64, v99, v148, -v64
	s_waitcnt vmcnt(10)
	v_fmac_f32_e32 v108, v102, v150
	v_add_f32_e32 v63, v63, v64
	v_mul_f32_e32 v64, v102, v149
	v_add_f32_e32 v161, v107, v108
	ds_read_b128 v[107:110], v62 offset:464
	v_fma_f32 v64, v101, v150, -v64
	v_add_f32_e32 v63, v63, v64
	s_waitcnt vmcnt(7) lgkmcnt(1)
	v_mul_f32_e32 v64, v104, v153
	v_mul_f32_e32 v62, v103, v153
	s_waitcnt vmcnt(6)
	v_fma_f32 v64, v103, v154, -v64
	v_fmac_f32_e32 v62, v104, v154
	v_add_f32_e32 v63, v63, v64
	s_waitcnt vmcnt(4)
	v_mul_f32_e32 v64, v106, v156
	v_add_f32_e32 v62, v161, v62
	v_mul_f32_e32 v161, v105, v156
	v_fma_f32 v64, v105, v155, -v64
	v_fmac_f32_e32 v161, v106, v155
	v_add_f32_e32 v63, v63, v64
	s_waitcnt vmcnt(2) lgkmcnt(0)
	v_mul_f32_e32 v64, v108, v158
	v_add_f32_e32 v62, v62, v161
	v_mul_f32_e32 v161, v107, v158
	v_fma_f32 v64, v107, v157, -v64
	v_fmac_f32_e32 v161, v108, v157
	v_add_f32_e32 v63, v63, v64
	s_waitcnt vmcnt(0)
	v_mul_f32_e32 v64, v110, v160
	v_add_f32_e32 v62, v62, v161
	v_mul_f32_e32 v161, v109, v160
	v_fma_f32 v64, v109, v159, -v64
	v_fmac_f32_e32 v161, v110, v159
	v_add_f32_e32 v63, v63, v64
	v_add_f32_e32 v62, v62, v161
	v_sub_f32_e32 v63, v151, v63
	v_sub_f32_e32 v62, v152, v62
	buffer_store_dword v63, off, s[0:3], 0 offset:40
	buffer_store_dword v62, off, s[0:3], 0 offset:44
	s_and_saveexec_b64 s[4:5], vcc
	s_cbranch_execz .LBB29_185
; %bb.184:
	buffer_load_dword v62, off, s[0:3], 0 offset:32
	buffer_load_dword v63, off, s[0:3], 0 offset:36
	v_mov_b32_e32 v64, 0
	buffer_store_dword v64, off, s[0:3], 0 offset:32
	buffer_store_dword v64, off, s[0:3], 0 offset:36
	s_waitcnt vmcnt(2)
	ds_write_b64 v61, v[62:63]
.LBB29_185:
	s_or_b64 exec, exec, s[4:5]
	s_waitcnt lgkmcnt(0)
	; wave barrier
	buffer_load_dword v113, off, s[0:3], 0 offset:44
	buffer_load_dword v114, off, s[0:3], 0 offset:52
	;; [unrolled: 1-line block ×52, first 2 shown]
	v_mov_b32_e32 v62, 0
	ds_read2_b64 v[63:66], v62 offset0:35 offset1:36
	ds_read2_b64 v[67:70], v62 offset0:37 offset1:38
	;; [unrolled: 1-line block ×6, first 2 shown]
	v_cmp_lt_u32_e32 vcc, 3, v0
	s_waitcnt vmcnt(51) lgkmcnt(5)
	v_mul_f32_e32 v87, v63, v113
	s_waitcnt vmcnt(50)
	v_mul_f32_e32 v88, v65, v114
	s_waitcnt vmcnt(49) lgkmcnt(4)
	v_mul_f32_e32 v89, v67, v115
	s_waitcnt vmcnt(48)
	v_mul_f32_e32 v90, v69, v116
	;; [unrolled: 4-line block ×5, first 2 shown]
	s_waitcnt vmcnt(41) lgkmcnt(0)
	v_mul_f32_e32 v97, v83, v123
	s_waitcnt vmcnt(40)
	v_fmac_f32_e32 v87, v64, v124
	v_mul_f32_e32 v64, v64, v113
	s_waitcnt vmcnt(39)
	v_fmac_f32_e32 v88, v66, v125
	v_add_f32_e32 v87, 0, v87
	v_fma_f32 v63, v63, v124, -v64
	v_mul_f32_e32 v64, v66, v114
	s_waitcnt vmcnt(38)
	v_fmac_f32_e32 v89, v68, v126
	v_add_f32_e32 v87, v87, v88
	v_add_f32_e32 v63, 0, v63
	v_fma_f32 v64, v65, v125, -v64
	s_waitcnt vmcnt(37)
	v_fmac_f32_e32 v90, v70, v127
	v_add_f32_e32 v87, v87, v89
	v_add_f32_e32 v63, v63, v64
	v_mul_f32_e32 v64, v68, v115
	s_waitcnt vmcnt(36)
	v_fmac_f32_e32 v91, v72, v128
	v_add_f32_e32 v87, v87, v90
	v_fma_f32 v64, v67, v126, -v64
	s_waitcnt vmcnt(35)
	v_fmac_f32_e32 v92, v74, v129
	v_add_f32_e32 v87, v87, v91
	v_add_f32_e32 v63, v63, v64
	v_mul_f32_e32 v64, v70, v116
	s_waitcnt vmcnt(34)
	v_fmac_f32_e32 v93, v76, v130
	;; [unrolled: 9-line block ×3, first 2 shown]
	v_add_f32_e32 v87, v87, v94
	v_fma_f32 v64, v71, v128, -v64
	s_waitcnt vmcnt(31)
	v_fmac_f32_e32 v96, v82, v133
	v_add_f32_e32 v87, v87, v95
	v_add_f32_e32 v63, v63, v64
	v_mul_f32_e32 v64, v74, v118
	v_add_f32_e32 v87, v87, v96
	s_waitcnt vmcnt(30)
	v_fmac_f32_e32 v97, v84, v134
	v_fma_f32 v64, v73, v129, -v64
	v_add_f32_e32 v91, v87, v97
	ds_read2_b64 v[87:90], v62 offset0:47 offset1:48
	v_add_f32_e32 v63, v63, v64
	v_mul_f32_e32 v64, v76, v119
	v_fma_f32 v64, v75, v130, -v64
	s_waitcnt vmcnt(29)
	v_mul_f32_e32 v92, v85, v135
	v_add_f32_e32 v63, v63, v64
	v_mul_f32_e32 v64, v78, v120
	s_waitcnt vmcnt(28)
	v_fmac_f32_e32 v92, v86, v136
	v_fma_f32 v64, v77, v131, -v64
	v_add_f32_e32 v95, v91, v92
	ds_read2_b64 v[91:94], v62 offset0:49 offset1:50
	v_add_f32_e32 v63, v63, v64
	v_mul_f32_e32 v64, v80, v121
	s_waitcnt vmcnt(27) lgkmcnt(1)
	v_mul_f32_e32 v96, v87, v137
	v_fma_f32 v64, v79, v132, -v64
	s_waitcnt vmcnt(26)
	v_fmac_f32_e32 v96, v88, v138
	v_add_f32_e32 v63, v63, v64
	v_mul_f32_e32 v64, v82, v122
	v_add_f32_e32 v95, v95, v96
	s_waitcnt vmcnt(25)
	v_mul_f32_e32 v96, v89, v139
	v_fma_f32 v64, v81, v133, -v64
	s_waitcnt vmcnt(24)
	v_fmac_f32_e32 v96, v90, v140
	v_add_f32_e32 v63, v63, v64
	v_mul_f32_e32 v64, v84, v123
	v_add_f32_e32 v95, v95, v96
	s_waitcnt vmcnt(23) lgkmcnt(0)
	v_mul_f32_e32 v96, v91, v141
	v_fma_f32 v64, v83, v134, -v64
	s_waitcnt vmcnt(22)
	v_fmac_f32_e32 v96, v92, v142
	v_add_f32_e32 v63, v63, v64
	v_mul_f32_e32 v64, v86, v135
	v_add_f32_e32 v99, v95, v96
	ds_read2_b64 v[95:98], v62 offset0:51 offset1:52
	v_fma_f32 v64, v85, v136, -v64
	v_add_f32_e32 v63, v63, v64
	v_mul_f32_e32 v64, v88, v137
	s_waitcnt vmcnt(21)
	v_mul_f32_e32 v100, v93, v143
	v_fma_f32 v64, v87, v138, -v64
	s_waitcnt vmcnt(20)
	v_fmac_f32_e32 v100, v94, v144
	v_add_f32_e32 v63, v63, v64
	v_mul_f32_e32 v64, v90, v139
	v_add_f32_e32 v103, v99, v100
	ds_read2_b64 v[99:102], v62 offset0:53 offset1:54
	v_fma_f32 v64, v89, v140, -v64
	s_waitcnt vmcnt(19) lgkmcnt(1)
	v_mul_f32_e32 v104, v95, v145
	v_add_f32_e32 v63, v63, v64
	v_mul_f32_e32 v64, v92, v141
	s_waitcnt vmcnt(18)
	v_fmac_f32_e32 v104, v96, v146
	v_fma_f32 v64, v91, v142, -v64
	v_add_f32_e32 v103, v103, v104
	s_waitcnt vmcnt(17)
	v_mul_f32_e32 v104, v97, v147
	v_add_f32_e32 v63, v63, v64
	v_mul_f32_e32 v64, v94, v143
	s_waitcnt vmcnt(16)
	v_fmac_f32_e32 v104, v98, v148
	v_fma_f32 v64, v93, v144, -v64
	v_add_f32_e32 v103, v103, v104
	s_waitcnt vmcnt(14) lgkmcnt(0)
	v_mul_f32_e32 v104, v99, v150
	v_add_f32_e32 v63, v63, v64
	v_mul_f32_e32 v64, v96, v145
	v_fmac_f32_e32 v104, v100, v149
	v_fma_f32 v64, v95, v146, -v64
	v_add_f32_e32 v107, v103, v104
	ds_read2_b64 v[103:106], v62 offset0:55 offset1:56
	v_add_f32_e32 v63, v63, v64
	v_mul_f32_e32 v64, v98, v147
	v_fma_f32 v64, v97, v148, -v64
	v_add_f32_e32 v63, v63, v64
	v_mul_f32_e32 v64, v100, v150
	s_waitcnt vmcnt(11)
	v_mul_f32_e32 v108, v101, v153
	v_fma_f32 v64, v99, v149, -v64
	s_waitcnt vmcnt(10)
	v_fmac_f32_e32 v108, v102, v154
	v_add_f32_e32 v63, v63, v64
	v_mul_f32_e32 v64, v102, v153
	v_add_f32_e32 v111, v107, v108
	ds_read2_b64 v[107:110], v62 offset0:57 offset1:58
	s_waitcnt vmcnt(8) lgkmcnt(1)
	v_mul_f32_e32 v112, v103, v156
	v_fma_f32 v64, v101, v154, -v64
	v_fmac_f32_e32 v112, v104, v155
	v_add_f32_e32 v63, v63, v64
	v_mul_f32_e32 v64, v104, v156
	v_add_f32_e32 v111, v111, v112
	s_waitcnt vmcnt(6)
	v_mul_f32_e32 v112, v105, v158
	v_fma_f32 v64, v103, v155, -v64
	v_fmac_f32_e32 v112, v106, v157
	v_add_f32_e32 v63, v63, v64
	v_mul_f32_e32 v64, v106, v158
	v_add_f32_e32 v165, v111, v112
	ds_read_b64 v[111:112], v62 offset:472
	v_fma_f32 v64, v105, v157, -v64
	v_add_f32_e32 v63, v63, v64
	s_waitcnt vmcnt(4) lgkmcnt(1)
	v_mul_f32_e32 v64, v108, v160
	v_mul_f32_e32 v166, v107, v160
	v_fma_f32 v64, v107, v159, -v64
	v_fmac_f32_e32 v166, v108, v159
	v_add_f32_e32 v63, v63, v64
	s_waitcnt vmcnt(2)
	v_mul_f32_e32 v64, v110, v162
	v_add_f32_e32 v165, v165, v166
	v_mul_f32_e32 v166, v109, v162
	v_fma_f32 v64, v109, v161, -v64
	v_fmac_f32_e32 v166, v110, v161
	v_add_f32_e32 v63, v63, v64
	s_waitcnt vmcnt(0) lgkmcnt(0)
	v_mul_f32_e32 v64, v112, v164
	v_add_f32_e32 v165, v165, v166
	v_mul_f32_e32 v166, v111, v164
	v_fma_f32 v64, v111, v163, -v64
	v_fmac_f32_e32 v166, v112, v163
	v_add_f32_e32 v63, v63, v64
	v_add_f32_e32 v165, v165, v166
	v_sub_f32_e32 v63, v151, v63
	v_sub_f32_e32 v64, v152, v165
	buffer_store_dword v63, off, s[0:3], 0 offset:32
	buffer_store_dword v64, off, s[0:3], 0 offset:36
	s_and_saveexec_b64 s[4:5], vcc
	s_cbranch_execz .LBB29_187
; %bb.186:
	buffer_load_dword v63, off, s[0:3], 0 offset:24
	buffer_load_dword v64, off, s[0:3], 0 offset:28
	s_waitcnt vmcnt(0)
	ds_write_b64 v61, v[63:64]
	buffer_store_dword v62, off, s[0:3], 0 offset:24
	buffer_store_dword v62, off, s[0:3], 0 offset:28
.LBB29_187:
	s_or_b64 exec, exec, s[4:5]
	s_waitcnt lgkmcnt(0)
	; wave barrier
	buffer_load_dword v115, off, s[0:3], 0 offset:36
	buffer_load_dword v116, off, s[0:3], 0 offset:44
	;; [unrolled: 1-line block ×42, first 2 shown]
	ds_read_b128 v[63:66], v62 offset:272
	ds_read_b128 v[67:70], v62 offset:288
	;; [unrolled: 1-line block ×4, first 2 shown]
	buffer_load_dword v157, off, s[0:3], 0 offset:196
	buffer_load_dword v158, off, s[0:3], 0 offset:192
	;; [unrolled: 1-line block ×6, first 2 shown]
	ds_read_b128 v[79:82], v62 offset:336
	ds_read_b128 v[83:86], v62 offset:352
	buffer_load_dword v163, off, s[0:3], 0 offset:216
	buffer_load_dword v164, off, s[0:3], 0 offset:220
	;; [unrolled: 1-line block ×6, first 2 shown]
	v_cmp_lt_u32_e32 vcc, 2, v0
	s_waitcnt vmcnt(53) lgkmcnt(5)
	v_mul_f32_e32 v87, v63, v115
	s_waitcnt vmcnt(52)
	v_mul_f32_e32 v88, v65, v116
	s_waitcnt vmcnt(51) lgkmcnt(4)
	v_mul_f32_e32 v89, v67, v117
	s_waitcnt vmcnt(50)
	v_mul_f32_e32 v90, v69, v118
	;; [unrolled: 4-line block ×5, first 2 shown]
	s_waitcnt vmcnt(43)
	v_fmac_f32_e32 v87, v64, v125
	v_mul_f32_e32 v64, v64, v115
	s_waitcnt vmcnt(42)
	v_fmac_f32_e32 v88, v66, v126
	v_add_f32_e32 v87, 0, v87
	v_fma_f32 v63, v63, v125, -v64
	v_mul_f32_e32 v64, v66, v116
	s_waitcnt vmcnt(41)
	v_fmac_f32_e32 v89, v68, v127
	v_add_f32_e32 v87, v87, v88
	v_add_f32_e32 v63, 0, v63
	v_fma_f32 v64, v65, v126, -v64
	s_waitcnt vmcnt(40)
	v_fmac_f32_e32 v90, v70, v128
	v_add_f32_e32 v87, v87, v89
	v_add_f32_e32 v63, v63, v64
	v_mul_f32_e32 v64, v68, v117
	s_waitcnt vmcnt(39)
	v_fmac_f32_e32 v91, v72, v129
	v_add_f32_e32 v87, v87, v90
	v_fma_f32 v64, v67, v127, -v64
	s_waitcnt vmcnt(38)
	v_fmac_f32_e32 v92, v74, v130
	v_add_f32_e32 v87, v87, v91
	v_add_f32_e32 v63, v63, v64
	v_mul_f32_e32 v64, v70, v118
	s_waitcnt vmcnt(37)
	v_fmac_f32_e32 v93, v76, v131
	;; [unrolled: 9-line block ×3, first 2 shown]
	v_add_f32_e32 v87, v87, v94
	v_fma_f32 v64, v71, v129, -v64
	s_waitcnt vmcnt(34)
	v_fmac_f32_e32 v96, v82, v134
	v_add_f32_e32 v87, v87, v95
	s_waitcnt vmcnt(33) lgkmcnt(0)
	v_mul_f32_e32 v88, v83, v135
	v_add_f32_e32 v63, v63, v64
	v_mul_f32_e32 v64, v74, v120
	v_add_f32_e32 v87, v87, v96
	s_waitcnt vmcnt(32)
	v_fmac_f32_e32 v88, v84, v136
	v_fma_f32 v64, v73, v130, -v64
	v_add_f32_e32 v91, v87, v88
	ds_read_b128 v[87:90], v62 offset:368
	v_add_f32_e32 v63, v63, v64
	v_mul_f32_e32 v64, v76, v121
	v_fma_f32 v64, v75, v131, -v64
	s_waitcnt vmcnt(31)
	v_mul_f32_e32 v92, v85, v137
	v_add_f32_e32 v63, v63, v64
	v_mul_f32_e32 v64, v78, v122
	s_waitcnt vmcnt(30)
	v_fmac_f32_e32 v92, v86, v138
	v_fma_f32 v64, v77, v132, -v64
	v_add_f32_e32 v95, v91, v92
	ds_read_b128 v[91:94], v62 offset:384
	v_add_f32_e32 v63, v63, v64
	v_mul_f32_e32 v64, v80, v123
	s_waitcnt vmcnt(29) lgkmcnt(1)
	v_mul_f32_e32 v96, v87, v139
	v_fma_f32 v64, v79, v133, -v64
	s_waitcnt vmcnt(28)
	v_fmac_f32_e32 v96, v88, v140
	v_add_f32_e32 v63, v63, v64
	v_mul_f32_e32 v64, v82, v124
	v_add_f32_e32 v95, v95, v96
	s_waitcnt vmcnt(27)
	v_mul_f32_e32 v96, v89, v141
	v_fma_f32 v64, v81, v134, -v64
	s_waitcnt vmcnt(26)
	v_fmac_f32_e32 v96, v90, v142
	v_add_f32_e32 v63, v63, v64
	v_mul_f32_e32 v64, v84, v135
	v_add_f32_e32 v95, v95, v96
	s_waitcnt vmcnt(25) lgkmcnt(0)
	v_mul_f32_e32 v96, v91, v143
	v_fma_f32 v64, v83, v136, -v64
	s_waitcnt vmcnt(24)
	v_fmac_f32_e32 v96, v92, v144
	v_add_f32_e32 v63, v63, v64
	v_mul_f32_e32 v64, v86, v137
	v_add_f32_e32 v99, v95, v96
	ds_read_b128 v[95:98], v62 offset:400
	v_fma_f32 v64, v85, v138, -v64
	v_add_f32_e32 v63, v63, v64
	v_mul_f32_e32 v64, v88, v139
	s_waitcnt vmcnt(23)
	v_mul_f32_e32 v100, v93, v145
	v_fma_f32 v64, v87, v140, -v64
	s_waitcnt vmcnt(22)
	v_fmac_f32_e32 v100, v94, v146
	v_add_f32_e32 v63, v63, v64
	v_mul_f32_e32 v64, v90, v141
	v_add_f32_e32 v103, v99, v100
	ds_read_b128 v[99:102], v62 offset:416
	v_fma_f32 v64, v89, v142, -v64
	s_waitcnt vmcnt(21) lgkmcnt(1)
	v_mul_f32_e32 v104, v95, v147
	v_add_f32_e32 v63, v63, v64
	v_mul_f32_e32 v64, v92, v143
	s_waitcnt vmcnt(20)
	v_fmac_f32_e32 v104, v96, v148
	v_fma_f32 v64, v91, v144, -v64
	v_add_f32_e32 v103, v103, v104
	s_waitcnt vmcnt(18)
	v_mul_f32_e32 v104, v97, v150
	v_add_f32_e32 v63, v63, v64
	v_mul_f32_e32 v64, v94, v145
	v_fmac_f32_e32 v104, v98, v149
	v_fma_f32 v64, v93, v146, -v64
	v_add_f32_e32 v103, v103, v104
	s_waitcnt vmcnt(15) lgkmcnt(0)
	v_mul_f32_e32 v104, v99, v153
	v_add_f32_e32 v63, v63, v64
	v_mul_f32_e32 v64, v96, v147
	s_waitcnt vmcnt(14)
	v_fmac_f32_e32 v104, v100, v154
	v_fma_f32 v64, v95, v148, -v64
	v_add_f32_e32 v107, v103, v104
	ds_read_b128 v[103:106], v62 offset:432
	v_add_f32_e32 v63, v63, v64
	v_mul_f32_e32 v64, v98, v150
	v_fma_f32 v64, v97, v149, -v64
	v_add_f32_e32 v63, v63, v64
	v_mul_f32_e32 v64, v100, v153
	s_waitcnt vmcnt(12)
	v_mul_f32_e32 v108, v101, v156
	v_fma_f32 v64, v99, v154, -v64
	v_fmac_f32_e32 v108, v102, v155
	v_add_f32_e32 v63, v63, v64
	v_mul_f32_e32 v64, v102, v156
	v_add_f32_e32 v111, v107, v108
	ds_read_b128 v[107:110], v62 offset:448
	s_waitcnt vmcnt(11) lgkmcnt(1)
	v_mul_f32_e32 v112, v103, v157
	v_fma_f32 v64, v101, v155, -v64
	s_waitcnt vmcnt(10)
	v_fmac_f32_e32 v112, v104, v158
	v_add_f32_e32 v63, v63, v64
	v_mul_f32_e32 v64, v104, v157
	v_add_f32_e32 v111, v111, v112
	s_waitcnt vmcnt(8)
	v_mul_f32_e32 v112, v105, v160
	v_fma_f32 v64, v103, v158, -v64
	v_fmac_f32_e32 v112, v106, v159
	v_add_f32_e32 v63, v63, v64
	v_mul_f32_e32 v64, v106, v160
	v_add_f32_e32 v169, v111, v112
	ds_read_b128 v[111:114], v62 offset:464
	v_fma_f32 v64, v105, v159, -v64
	v_add_f32_e32 v63, v63, v64
	s_waitcnt vmcnt(6) lgkmcnt(1)
	v_mul_f32_e32 v64, v108, v162
	v_mul_f32_e32 v170, v107, v162
	v_fma_f32 v64, v107, v161, -v64
	v_fmac_f32_e32 v170, v108, v161
	v_add_f32_e32 v63, v63, v64
	s_waitcnt vmcnt(4)
	v_mul_f32_e32 v64, v110, v164
	v_add_f32_e32 v62, v169, v170
	v_mul_f32_e32 v169, v109, v164
	v_fma_f32 v64, v109, v163, -v64
	v_fmac_f32_e32 v169, v110, v163
	v_add_f32_e32 v63, v63, v64
	s_waitcnt vmcnt(2) lgkmcnt(0)
	v_mul_f32_e32 v64, v112, v166
	v_add_f32_e32 v62, v62, v169
	v_mul_f32_e32 v169, v111, v166
	v_fma_f32 v64, v111, v165, -v64
	v_fmac_f32_e32 v169, v112, v165
	v_add_f32_e32 v63, v63, v64
	s_waitcnt vmcnt(0)
	v_mul_f32_e32 v64, v114, v168
	v_add_f32_e32 v62, v62, v169
	v_mul_f32_e32 v169, v113, v168
	v_fma_f32 v64, v113, v167, -v64
	v_fmac_f32_e32 v169, v114, v167
	v_add_f32_e32 v63, v63, v64
	v_add_f32_e32 v62, v62, v169
	v_sub_f32_e32 v63, v151, v63
	v_sub_f32_e32 v62, v152, v62
	buffer_store_dword v63, off, s[0:3], 0 offset:24
	buffer_store_dword v62, off, s[0:3], 0 offset:28
	s_and_saveexec_b64 s[4:5], vcc
	s_cbranch_execz .LBB29_189
; %bb.188:
	buffer_load_dword v62, off, s[0:3], 0 offset:16
	buffer_load_dword v63, off, s[0:3], 0 offset:20
	v_mov_b32_e32 v64, 0
	buffer_store_dword v64, off, s[0:3], 0 offset:16
	buffer_store_dword v64, off, s[0:3], 0 offset:20
	s_waitcnt vmcnt(2)
	ds_write_b64 v61, v[62:63]
.LBB29_189:
	s_or_b64 exec, exec, s[4:5]
	s_waitcnt lgkmcnt(0)
	; wave barrier
	buffer_load_dword v117, off, s[0:3], 0 offset:28
	buffer_load_dword v118, off, s[0:3], 0 offset:36
	;; [unrolled: 1-line block ×56, first 2 shown]
	v_mov_b32_e32 v62, 0
	ds_read2_b64 v[63:66], v62 offset0:33 offset1:34
	ds_read2_b64 v[67:70], v62 offset0:35 offset1:36
	;; [unrolled: 1-line block ×6, first 2 shown]
	v_cmp_lt_u32_e32 vcc, 1, v0
	s_waitcnt vmcnt(55) lgkmcnt(5)
	v_mul_f32_e32 v87, v63, v117
	s_waitcnt vmcnt(54)
	v_mul_f32_e32 v88, v65, v118
	s_waitcnt vmcnt(53) lgkmcnt(4)
	v_mul_f32_e32 v89, v67, v119
	s_waitcnt vmcnt(52)
	v_mul_f32_e32 v90, v69, v120
	s_waitcnt vmcnt(51) lgkmcnt(3)
	v_mul_f32_e32 v91, v71, v121
	s_waitcnt vmcnt(50)
	v_mul_f32_e32 v92, v73, v122
	s_waitcnt vmcnt(49) lgkmcnt(2)
	v_mul_f32_e32 v93, v75, v123
	s_waitcnt vmcnt(48)
	v_mul_f32_e32 v94, v77, v124
	s_waitcnt vmcnt(47) lgkmcnt(1)
	v_mul_f32_e32 v95, v79, v125
	s_waitcnt vmcnt(46)
	v_fmac_f32_e32 v87, v64, v126
	s_waitcnt vmcnt(45)
	v_fmac_f32_e32 v88, v66, v127
	v_add_f32_e32 v87, 0, v87
	s_waitcnt vmcnt(44)
	v_fmac_f32_e32 v89, v68, v128
	v_add_f32_e32 v87, v87, v88
	;; [unrolled: 3-line block ×3, first 2 shown]
	v_mul_f32_e32 v64, v64, v117
	s_waitcnt vmcnt(42)
	v_fmac_f32_e32 v91, v72, v130
	v_add_f32_e32 v87, v87, v90
	v_fma_f32 v63, v63, v126, -v64
	v_mul_f32_e32 v64, v66, v118
	s_waitcnt vmcnt(41)
	v_fmac_f32_e32 v92, v74, v131
	v_add_f32_e32 v87, v87, v91
	v_add_f32_e32 v63, 0, v63
	v_fma_f32 v64, v65, v127, -v64
	s_waitcnt vmcnt(40)
	v_fmac_f32_e32 v93, v76, v132
	v_add_f32_e32 v87, v87, v92
	v_add_f32_e32 v63, v63, v64
	v_mul_f32_e32 v64, v68, v119
	s_waitcnt vmcnt(39)
	v_fmac_f32_e32 v94, v78, v133
	v_add_f32_e32 v87, v87, v93
	v_fma_f32 v64, v67, v128, -v64
	v_add_f32_e32 v87, v87, v94
	s_waitcnt vmcnt(38)
	v_fmac_f32_e32 v95, v80, v134
	s_waitcnt vmcnt(37)
	v_mul_f32_e32 v88, v81, v135
	v_add_f32_e32 v63, v63, v64
	v_mul_f32_e32 v64, v70, v120
	v_add_f32_e32 v87, v87, v95
	s_waitcnt vmcnt(36)
	v_fmac_f32_e32 v88, v82, v136
	v_fma_f32 v64, v69, v129, -v64
	v_add_f32_e32 v87, v87, v88
	s_waitcnt vmcnt(35) lgkmcnt(0)
	v_mul_f32_e32 v88, v83, v137
	v_add_f32_e32 v63, v63, v64
	v_mul_f32_e32 v64, v72, v121
	s_waitcnt vmcnt(34)
	v_fmac_f32_e32 v88, v84, v138
	v_fma_f32 v64, v71, v130, -v64
	v_add_f32_e32 v91, v87, v88
	ds_read2_b64 v[87:90], v62 offset0:45 offset1:46
	v_add_f32_e32 v63, v63, v64
	v_mul_f32_e32 v64, v74, v122
	v_fma_f32 v64, v73, v131, -v64
	s_waitcnt vmcnt(33)
	v_mul_f32_e32 v92, v85, v139
	v_add_f32_e32 v63, v63, v64
	v_mul_f32_e32 v64, v76, v123
	s_waitcnt vmcnt(32)
	v_fmac_f32_e32 v92, v86, v140
	v_fma_f32 v64, v75, v132, -v64
	v_add_f32_e32 v95, v91, v92
	ds_read2_b64 v[91:94], v62 offset0:47 offset1:48
	v_add_f32_e32 v63, v63, v64
	v_mul_f32_e32 v64, v78, v124
	s_waitcnt vmcnt(31) lgkmcnt(1)
	v_mul_f32_e32 v96, v87, v141
	v_fma_f32 v64, v77, v133, -v64
	s_waitcnt vmcnt(30)
	v_fmac_f32_e32 v96, v88, v142
	v_add_f32_e32 v63, v63, v64
	v_mul_f32_e32 v64, v80, v125
	v_add_f32_e32 v95, v95, v96
	s_waitcnt vmcnt(29)
	v_mul_f32_e32 v96, v89, v143
	v_fma_f32 v64, v79, v134, -v64
	s_waitcnt vmcnt(28)
	v_fmac_f32_e32 v96, v90, v144
	v_add_f32_e32 v63, v63, v64
	v_mul_f32_e32 v64, v82, v135
	v_add_f32_e32 v95, v95, v96
	s_waitcnt vmcnt(27) lgkmcnt(0)
	v_mul_f32_e32 v96, v91, v145
	v_fma_f32 v64, v81, v136, -v64
	s_waitcnt vmcnt(26)
	v_fmac_f32_e32 v96, v92, v146
	v_add_f32_e32 v63, v63, v64
	v_mul_f32_e32 v64, v84, v137
	v_add_f32_e32 v99, v95, v96
	ds_read2_b64 v[95:98], v62 offset0:49 offset1:50
	v_fma_f32 v64, v83, v138, -v64
	v_add_f32_e32 v63, v63, v64
	v_mul_f32_e32 v64, v86, v139
	s_waitcnt vmcnt(24)
	v_mul_f32_e32 v100, v93, v148
	v_fma_f32 v64, v85, v140, -v64
	v_fmac_f32_e32 v100, v94, v147
	v_add_f32_e32 v63, v63, v64
	v_mul_f32_e32 v64, v88, v141
	v_add_f32_e32 v103, v99, v100
	ds_read2_b64 v[99:102], v62 offset0:51 offset1:52
	v_fma_f32 v64, v87, v142, -v64
	s_waitcnt vmcnt(21) lgkmcnt(1)
	v_mul_f32_e32 v104, v95, v151
	v_add_f32_e32 v63, v63, v64
	v_mul_f32_e32 v64, v90, v143
	s_waitcnt vmcnt(20)
	v_fmac_f32_e32 v104, v96, v152
	v_fma_f32 v64, v89, v144, -v64
	v_add_f32_e32 v103, v103, v104
	s_waitcnt vmcnt(18)
	v_mul_f32_e32 v104, v97, v154
	v_add_f32_e32 v63, v63, v64
	v_mul_f32_e32 v64, v92, v145
	v_fmac_f32_e32 v104, v98, v153
	v_fma_f32 v64, v91, v146, -v64
	v_add_f32_e32 v103, v103, v104
	s_waitcnt vmcnt(16) lgkmcnt(0)
	v_mul_f32_e32 v104, v99, v156
	v_add_f32_e32 v63, v63, v64
	v_mul_f32_e32 v64, v94, v148
	v_fmac_f32_e32 v104, v100, v155
	v_fma_f32 v64, v93, v147, -v64
	v_add_f32_e32 v107, v103, v104
	ds_read2_b64 v[103:106], v62 offset0:53 offset1:54
	v_add_f32_e32 v63, v63, v64
	v_mul_f32_e32 v64, v96, v151
	v_fma_f32 v64, v95, v152, -v64
	s_waitcnt vmcnt(14)
	v_mul_f32_e32 v108, v101, v158
	v_add_f32_e32 v63, v63, v64
	v_mul_f32_e32 v64, v98, v154
	v_fmac_f32_e32 v108, v102, v157
	v_fma_f32 v64, v97, v153, -v64
	v_add_f32_e32 v111, v107, v108
	ds_read2_b64 v[107:110], v62 offset0:55 offset1:56
	v_add_f32_e32 v63, v63, v64
	v_mul_f32_e32 v64, v100, v156
	s_waitcnt vmcnt(12) lgkmcnt(1)
	v_mul_f32_e32 v112, v103, v160
	v_fma_f32 v64, v99, v155, -v64
	v_fmac_f32_e32 v112, v104, v159
	v_add_f32_e32 v63, v63, v64
	v_mul_f32_e32 v64, v102, v158
	v_add_f32_e32 v111, v111, v112
	s_waitcnt vmcnt(10)
	v_mul_f32_e32 v112, v105, v162
	v_fma_f32 v64, v101, v157, -v64
	v_fmac_f32_e32 v112, v106, v161
	v_add_f32_e32 v63, v63, v64
	v_mul_f32_e32 v64, v104, v160
	v_add_f32_e32 v111, v111, v112
	s_waitcnt vmcnt(8) lgkmcnt(0)
	v_mul_f32_e32 v112, v107, v164
	v_fma_f32 v64, v103, v159, -v64
	v_fmac_f32_e32 v112, v108, v163
	v_add_f32_e32 v63, v63, v64
	v_mul_f32_e32 v64, v106, v162
	v_add_f32_e32 v115, v111, v112
	ds_read2_b64 v[111:114], v62 offset0:57 offset1:58
	v_fma_f32 v64, v105, v161, -v64
	v_add_f32_e32 v63, v63, v64
	v_mul_f32_e32 v64, v108, v164
	s_waitcnt vmcnt(6)
	v_mul_f32_e32 v116, v109, v166
	v_fma_f32 v64, v107, v163, -v64
	v_fmac_f32_e32 v116, v110, v165
	v_add_f32_e32 v63, v63, v64
	v_mul_f32_e32 v64, v110, v166
	v_add_f32_e32 v173, v115, v116
	ds_read_b64 v[115:116], v62 offset:472
	v_fma_f32 v64, v109, v165, -v64
	v_add_f32_e32 v63, v63, v64
	s_waitcnt vmcnt(4) lgkmcnt(1)
	v_mul_f32_e32 v64, v112, v168
	v_mul_f32_e32 v174, v111, v168
	v_fma_f32 v64, v111, v167, -v64
	v_fmac_f32_e32 v174, v112, v167
	v_add_f32_e32 v63, v63, v64
	s_waitcnt vmcnt(2)
	v_mul_f32_e32 v64, v114, v170
	v_add_f32_e32 v173, v173, v174
	v_mul_f32_e32 v174, v113, v170
	v_fma_f32 v64, v113, v169, -v64
	v_fmac_f32_e32 v174, v114, v169
	v_add_f32_e32 v63, v63, v64
	s_waitcnt vmcnt(0) lgkmcnt(0)
	v_mul_f32_e32 v64, v116, v172
	v_add_f32_e32 v173, v173, v174
	v_mul_f32_e32 v174, v115, v172
	v_fma_f32 v64, v115, v171, -v64
	v_fmac_f32_e32 v174, v116, v171
	v_add_f32_e32 v63, v63, v64
	v_add_f32_e32 v173, v173, v174
	v_sub_f32_e32 v63, v149, v63
	v_sub_f32_e32 v64, v150, v173
	buffer_store_dword v63, off, s[0:3], 0 offset:16
	buffer_store_dword v64, off, s[0:3], 0 offset:20
	s_and_saveexec_b64 s[4:5], vcc
	s_cbranch_execz .LBB29_191
; %bb.190:
	buffer_load_dword v63, off, s[0:3], 0 offset:8
	buffer_load_dword v64, off, s[0:3], 0 offset:12
	s_waitcnt vmcnt(0)
	ds_write_b64 v61, v[63:64]
	buffer_store_dword v62, off, s[0:3], 0 offset:8
	buffer_store_dword v62, off, s[0:3], 0 offset:12
.LBB29_191:
	s_or_b64 exec, exec, s[4:5]
	s_waitcnt lgkmcnt(0)
	; wave barrier
	buffer_load_dword v119, off, s[0:3], 0 offset:20
	buffer_load_dword v120, off, s[0:3], 0 offset:28
	;; [unrolled: 1-line block ×34, first 2 shown]
	ds_read_b128 v[63:66], v62 offset:256
	ds_read_b128 v[67:70], v62 offset:272
	buffer_load_dword v153, off, s[0:3], 0 offset:148
	buffer_load_dword v154, off, s[0:3], 0 offset:144
	;; [unrolled: 1-line block ×6, first 2 shown]
	ds_read_b128 v[71:74], v62 offset:288
	ds_read_b128 v[75:78], v62 offset:304
	;; [unrolled: 1-line block ×4, first 2 shown]
	buffer_load_dword v159, off, s[0:3], 0 offset:172
	buffer_load_dword v160, off, s[0:3], 0 offset:168
	;; [unrolled: 1-line block ×18, first 2 shown]
	v_cmp_ne_u32_e32 vcc, 0, v0
	s_waitcnt vmcnt(57) lgkmcnt(5)
	v_mul_f32_e32 v87, v63, v119
	s_waitcnt vmcnt(56)
	v_mul_f32_e32 v88, v65, v120
	s_waitcnt vmcnt(55) lgkmcnt(4)
	v_mul_f32_e32 v89, v67, v121
	s_waitcnt vmcnt(54)
	v_mul_f32_e32 v90, v69, v122
	;; [unrolled: 4-line block ×4, first 2 shown]
	s_waitcnt vmcnt(49)
	v_fmac_f32_e32 v87, v64, v127
	s_waitcnt vmcnt(48)
	v_fmac_f32_e32 v88, v66, v128
	v_add_f32_e32 v87, 0, v87
	s_waitcnt vmcnt(47)
	v_fmac_f32_e32 v89, v68, v129
	v_add_f32_e32 v87, v87, v88
	;; [unrolled: 3-line block ×4, first 2 shown]
	v_mul_f32_e32 v64, v64, v119
	s_waitcnt vmcnt(44)
	v_fmac_f32_e32 v92, v74, v132
	v_add_f32_e32 v87, v87, v91
	v_fma_f32 v63, v63, v127, -v64
	v_mul_f32_e32 v64, v66, v120
	s_waitcnt vmcnt(43)
	v_fmac_f32_e32 v93, v76, v133
	v_add_f32_e32 v87, v87, v92
	v_add_f32_e32 v63, 0, v63
	v_fma_f32 v64, v65, v128, -v64
	s_waitcnt vmcnt(42)
	v_fmac_f32_e32 v94, v78, v134
	v_add_f32_e32 v87, v87, v93
	s_waitcnt vmcnt(41) lgkmcnt(1)
	v_mul_f32_e32 v88, v79, v135
	v_add_f32_e32 v63, v63, v64
	v_mul_f32_e32 v64, v68, v121
	v_add_f32_e32 v87, v87, v94
	s_waitcnt vmcnt(40)
	v_fmac_f32_e32 v88, v80, v136
	v_fma_f32 v64, v67, v129, -v64
	v_add_f32_e32 v87, v87, v88
	s_waitcnt vmcnt(39)
	v_mul_f32_e32 v88, v81, v137
	v_add_f32_e32 v63, v63, v64
	v_mul_f32_e32 v64, v70, v122
	s_waitcnt vmcnt(38)
	v_fmac_f32_e32 v88, v82, v138
	v_fma_f32 v64, v69, v130, -v64
	v_add_f32_e32 v87, v87, v88
	s_waitcnt vmcnt(37) lgkmcnt(0)
	v_mul_f32_e32 v88, v83, v139
	v_add_f32_e32 v63, v63, v64
	v_mul_f32_e32 v64, v72, v123
	s_waitcnt vmcnt(36)
	v_fmac_f32_e32 v88, v84, v140
	v_fma_f32 v64, v71, v131, -v64
	v_add_f32_e32 v91, v87, v88
	ds_read_b128 v[87:90], v62 offset:352
	v_add_f32_e32 v63, v63, v64
	v_mul_f32_e32 v64, v74, v124
	v_fma_f32 v64, v73, v132, -v64
	s_waitcnt vmcnt(35)
	v_mul_f32_e32 v92, v85, v141
	v_add_f32_e32 v63, v63, v64
	v_mul_f32_e32 v64, v76, v125
	s_waitcnt vmcnt(34)
	v_fmac_f32_e32 v92, v86, v142
	v_fma_f32 v64, v75, v133, -v64
	v_add_f32_e32 v95, v91, v92
	ds_read_b128 v[91:94], v62 offset:368
	v_add_f32_e32 v63, v63, v64
	v_mul_f32_e32 v64, v78, v126
	s_waitcnt vmcnt(33) lgkmcnt(1)
	v_mul_f32_e32 v96, v87, v143
	v_fma_f32 v64, v77, v134, -v64
	s_waitcnt vmcnt(32)
	v_fmac_f32_e32 v96, v88, v144
	v_add_f32_e32 v63, v63, v64
	v_mul_f32_e32 v64, v80, v135
	v_add_f32_e32 v95, v95, v96
	s_waitcnt vmcnt(31)
	v_mul_f32_e32 v96, v89, v145
	v_fma_f32 v64, v79, v136, -v64
	s_waitcnt vmcnt(30)
	v_fmac_f32_e32 v96, v90, v146
	v_add_f32_e32 v63, v63, v64
	v_mul_f32_e32 v64, v82, v137
	v_add_f32_e32 v95, v95, v96
	s_waitcnt vmcnt(29) lgkmcnt(0)
	v_mul_f32_e32 v96, v91, v147
	v_fma_f32 v64, v81, v138, -v64
	s_waitcnt vmcnt(28)
	v_fmac_f32_e32 v96, v92, v148
	v_add_f32_e32 v63, v63, v64
	v_mul_f32_e32 v64, v84, v139
	v_add_f32_e32 v99, v95, v96
	ds_read_b128 v[95:98], v62 offset:384
	v_fma_f32 v64, v83, v140, -v64
	v_add_f32_e32 v63, v63, v64
	v_mul_f32_e32 v64, v86, v141
	s_waitcnt vmcnt(25)
	v_mul_f32_e32 v100, v93, v151
	v_fma_f32 v64, v85, v142, -v64
	s_waitcnt vmcnt(24)
	v_fmac_f32_e32 v100, v94, v152
	v_add_f32_e32 v63, v63, v64
	v_mul_f32_e32 v64, v88, v143
	v_add_f32_e32 v103, v99, v100
	ds_read_b128 v[99:102], v62 offset:400
	v_fma_f32 v64, v87, v144, -v64
	s_waitcnt vmcnt(23) lgkmcnt(1)
	v_mul_f32_e32 v104, v95, v153
	v_add_f32_e32 v63, v63, v64
	v_mul_f32_e32 v64, v90, v145
	s_waitcnt vmcnt(22)
	v_fmac_f32_e32 v104, v96, v154
	v_fma_f32 v64, v89, v146, -v64
	v_add_f32_e32 v103, v103, v104
	s_waitcnt vmcnt(20)
	v_mul_f32_e32 v104, v97, v156
	v_add_f32_e32 v63, v63, v64
	v_mul_f32_e32 v64, v92, v147
	v_fmac_f32_e32 v104, v98, v155
	v_fma_f32 v64, v91, v148, -v64
	v_add_f32_e32 v103, v103, v104
	s_waitcnt vmcnt(18) lgkmcnt(0)
	v_mul_f32_e32 v104, v99, v158
	v_add_f32_e32 v63, v63, v64
	v_mul_f32_e32 v64, v94, v151
	v_fmac_f32_e32 v104, v100, v157
	v_fma_f32 v64, v93, v152, -v64
	v_add_f32_e32 v107, v103, v104
	ds_read_b128 v[103:106], v62 offset:416
	v_add_f32_e32 v63, v63, v64
	v_mul_f32_e32 v64, v96, v153
	v_fma_f32 v64, v95, v154, -v64
	s_waitcnt vmcnt(17)
	v_mul_f32_e32 v108, v101, v159
	v_add_f32_e32 v63, v63, v64
	v_mul_f32_e32 v64, v98, v156
	s_waitcnt vmcnt(16)
	v_fmac_f32_e32 v108, v102, v160
	v_fma_f32 v64, v97, v155, -v64
	v_add_f32_e32 v111, v107, v108
	ds_read_b128 v[107:110], v62 offset:432
	v_add_f32_e32 v63, v63, v64
	v_mul_f32_e32 v64, v100, v158
	s_waitcnt vmcnt(14) lgkmcnt(1)
	v_mul_f32_e32 v112, v103, v162
	v_fma_f32 v64, v99, v157, -v64
	v_fmac_f32_e32 v112, v104, v161
	v_add_f32_e32 v63, v63, v64
	v_mul_f32_e32 v64, v102, v159
	v_add_f32_e32 v111, v111, v112
	s_waitcnt vmcnt(12)
	v_mul_f32_e32 v112, v105, v164
	v_fma_f32 v64, v101, v160, -v64
	v_fmac_f32_e32 v112, v106, v163
	v_add_f32_e32 v63, v63, v64
	v_mul_f32_e32 v64, v104, v162
	v_add_f32_e32 v111, v111, v112
	s_waitcnt vmcnt(10) lgkmcnt(0)
	v_mul_f32_e32 v112, v107, v166
	v_fma_f32 v64, v103, v161, -v64
	v_fmac_f32_e32 v112, v108, v165
	v_add_f32_e32 v63, v63, v64
	v_mul_f32_e32 v64, v106, v164
	v_add_f32_e32 v115, v111, v112
	ds_read_b128 v[111:114], v62 offset:448
	v_fma_f32 v64, v105, v163, -v64
	v_add_f32_e32 v63, v63, v64
	v_mul_f32_e32 v64, v108, v166
	s_waitcnt vmcnt(8)
	v_mul_f32_e32 v116, v109, v168
	v_fma_f32 v64, v107, v165, -v64
	v_fmac_f32_e32 v116, v110, v167
	v_add_f32_e32 v63, v63, v64
	v_mul_f32_e32 v64, v110, v168
	v_add_f32_e32 v177, v115, v116
	ds_read_b128 v[115:118], v62 offset:464
	v_fma_f32 v64, v109, v167, -v64
	v_add_f32_e32 v63, v63, v64
	s_waitcnt vmcnt(6) lgkmcnt(1)
	v_mul_f32_e32 v64, v112, v170
	v_mul_f32_e32 v62, v111, v170
	v_fma_f32 v64, v111, v169, -v64
	v_fmac_f32_e32 v62, v112, v169
	v_add_f32_e32 v63, v63, v64
	s_waitcnt vmcnt(4)
	v_mul_f32_e32 v64, v114, v172
	v_add_f32_e32 v62, v177, v62
	v_mul_f32_e32 v177, v113, v172
	v_fma_f32 v64, v113, v171, -v64
	v_fmac_f32_e32 v177, v114, v171
	v_add_f32_e32 v63, v63, v64
	s_waitcnt vmcnt(2) lgkmcnt(0)
	v_mul_f32_e32 v64, v116, v174
	v_add_f32_e32 v62, v62, v177
	v_mul_f32_e32 v177, v115, v174
	v_fma_f32 v64, v115, v173, -v64
	v_fmac_f32_e32 v177, v116, v173
	v_add_f32_e32 v63, v63, v64
	s_waitcnt vmcnt(0)
	v_mul_f32_e32 v64, v118, v176
	v_add_f32_e32 v62, v62, v177
	v_mul_f32_e32 v177, v117, v176
	v_fma_f32 v64, v117, v175, -v64
	v_fmac_f32_e32 v177, v118, v175
	v_add_f32_e32 v63, v63, v64
	v_add_f32_e32 v62, v62, v177
	v_sub_f32_e32 v63, v149, v63
	v_sub_f32_e32 v62, v150, v62
	buffer_store_dword v63, off, s[0:3], 0 offset:8
	buffer_store_dword v62, off, s[0:3], 0 offset:12
	s_and_saveexec_b64 s[4:5], vcc
	s_cbranch_execz .LBB29_193
; %bb.192:
	buffer_load_dword v62, off, s[0:3], 0
	buffer_load_dword v63, off, s[0:3], 0 offset:4
	v_mov_b32_e32 v0, 0
	buffer_store_dword v0, off, s[0:3], 0
	buffer_store_dword v0, off, s[0:3], 0 offset:4
	s_waitcnt vmcnt(2)
	ds_write_b64 v61, v[62:63]
.LBB29_193:
	s_or_b64 exec, exec, s[4:5]
	s_waitcnt lgkmcnt(0)
	; wave barrier
	buffer_load_dword v119, off, s[0:3], 0 offset:12
	buffer_load_dword v120, off, s[0:3], 0 offset:20
	;; [unrolled: 1-line block ×26, first 2 shown]
	buffer_load_dword v145, off, s[0:3], 0
	buffer_load_dword v146, off, s[0:3], 0 offset:4
	buffer_load_dword v147, off, s[0:3], 0 offset:116
	;; [unrolled: 1-line block ×33, first 2 shown]
	v_mov_b32_e32 v0, 0
	ds_read2_b64 v[61:64], v0 offset0:31 offset1:32
	ds_read2_b64 v[65:68], v0 offset0:33 offset1:34
	;; [unrolled: 1-line block ×5, first 2 shown]
	s_and_b64 vcc, exec, s[22:23]
	s_waitcnt vmcnt(59) lgkmcnt(4)
	v_mul_f32_e32 v81, v61, v119
	s_waitcnt vmcnt(58)
	v_mul_f32_e32 v82, v63, v120
	s_waitcnt vmcnt(57) lgkmcnt(3)
	v_mul_f32_e32 v83, v65, v121
	s_waitcnt vmcnt(56)
	v_mul_f32_e32 v84, v67, v122
	;; [unrolled: 4-line block ×3, first 2 shown]
	s_waitcnt vmcnt(53) lgkmcnt(1)
	v_mul_f32_e32 v87, v73, v125
	s_waitcnt vmcnt(52)
	v_fmac_f32_e32 v81, v62, v126
	s_waitcnt vmcnt(51)
	v_fmac_f32_e32 v82, v64, v127
	v_add_f32_e32 v81, 0, v81
	s_waitcnt vmcnt(50)
	v_fmac_f32_e32 v83, v66, v128
	v_add_f32_e32 v81, v81, v82
	s_waitcnt vmcnt(49)
	v_fmac_f32_e32 v84, v68, v129
	v_add_f32_e32 v81, v81, v83
	s_waitcnt vmcnt(48)
	v_fmac_f32_e32 v85, v70, v130
	v_add_f32_e32 v81, v81, v84
	s_waitcnt vmcnt(47)
	v_fmac_f32_e32 v86, v72, v131
	v_add_f32_e32 v81, v81, v85
	s_waitcnt vmcnt(46)
	v_fmac_f32_e32 v87, v74, v132
	v_add_f32_e32 v81, v81, v86
	s_waitcnt vmcnt(45)
	v_mul_f32_e32 v82, v75, v133
	v_add_f32_e32 v81, v81, v87
	s_waitcnt vmcnt(44)
	v_fmac_f32_e32 v82, v76, v134
	v_mul_f32_e32 v62, v62, v119
	v_add_f32_e32 v85, v81, v82
	ds_read2_b64 v[81:84], v0 offset0:41 offset1:42
	v_fma_f32 v61, v61, v126, -v62
	v_mul_f32_e32 v62, v64, v120
	s_waitcnt vmcnt(43) lgkmcnt(1)
	v_mul_f32_e32 v86, v77, v135
	v_add_f32_e32 v61, 0, v61
	v_fma_f32 v62, v63, v127, -v62
	s_waitcnt vmcnt(42)
	v_fmac_f32_e32 v86, v78, v136
	v_add_f32_e32 v61, v61, v62
	v_mul_f32_e32 v62, v66, v121
	v_add_f32_e32 v85, v85, v86
	s_waitcnt vmcnt(41)
	v_mul_f32_e32 v86, v79, v137
	v_fma_f32 v62, v65, v128, -v62
	s_waitcnt vmcnt(40)
	v_fmac_f32_e32 v86, v80, v138
	v_add_f32_e32 v61, v61, v62
	v_mul_f32_e32 v62, v68, v122
	v_add_f32_e32 v85, v85, v86
	s_waitcnt vmcnt(39) lgkmcnt(0)
	v_mul_f32_e32 v86, v81, v139
	v_fma_f32 v62, v67, v129, -v62
	s_waitcnt vmcnt(38)
	v_fmac_f32_e32 v86, v82, v140
	v_add_f32_e32 v61, v61, v62
	v_mul_f32_e32 v62, v70, v123
	v_add_f32_e32 v89, v85, v86
	ds_read2_b64 v[85:88], v0 offset0:43 offset1:44
	v_fma_f32 v62, v69, v130, -v62
	v_add_f32_e32 v61, v61, v62
	v_mul_f32_e32 v62, v72, v124
	s_waitcnt vmcnt(37)
	v_mul_f32_e32 v90, v83, v141
	v_fma_f32 v62, v71, v131, -v62
	s_waitcnt vmcnt(36)
	v_fmac_f32_e32 v90, v84, v142
	v_add_f32_e32 v61, v61, v62
	v_mul_f32_e32 v62, v74, v125
	v_add_f32_e32 v93, v89, v90
	ds_read2_b64 v[89:92], v0 offset0:45 offset1:46
	v_fma_f32 v62, v73, v132, -v62
	s_waitcnt vmcnt(34) lgkmcnt(1)
	v_mul_f32_e32 v94, v85, v144
	v_add_f32_e32 v61, v61, v62
	v_mul_f32_e32 v62, v76, v133
	v_fmac_f32_e32 v94, v86, v143
	v_fma_f32 v62, v75, v134, -v62
	v_add_f32_e32 v93, v93, v94
	s_waitcnt vmcnt(31)
	v_mul_f32_e32 v94, v87, v147
	v_add_f32_e32 v61, v61, v62
	v_mul_f32_e32 v62, v78, v135
	s_waitcnt vmcnt(30)
	v_fmac_f32_e32 v94, v88, v148
	v_fma_f32 v62, v77, v136, -v62
	v_add_f32_e32 v93, v93, v94
	s_waitcnt vmcnt(28) lgkmcnt(0)
	v_mul_f32_e32 v94, v89, v150
	v_add_f32_e32 v61, v61, v62
	v_mul_f32_e32 v62, v80, v137
	v_fmac_f32_e32 v94, v90, v149
	v_fma_f32 v62, v79, v138, -v62
	v_add_f32_e32 v97, v93, v94
	ds_read2_b64 v[93:96], v0 offset0:47 offset1:48
	v_add_f32_e32 v61, v61, v62
	v_mul_f32_e32 v62, v82, v139
	v_fma_f32 v62, v81, v140, -v62
	s_waitcnt vmcnt(26)
	v_mul_f32_e32 v98, v91, v152
	v_add_f32_e32 v61, v61, v62
	v_mul_f32_e32 v62, v84, v141
	v_fmac_f32_e32 v98, v92, v151
	v_fma_f32 v62, v83, v142, -v62
	v_add_f32_e32 v101, v97, v98
	ds_read2_b64 v[97:100], v0 offset0:49 offset1:50
	v_add_f32_e32 v61, v61, v62
	v_mul_f32_e32 v62, v86, v144
	s_waitcnt vmcnt(24) lgkmcnt(1)
	v_mul_f32_e32 v102, v93, v154
	v_fma_f32 v62, v85, v143, -v62
	v_fmac_f32_e32 v102, v94, v153
	v_add_f32_e32 v61, v61, v62
	v_mul_f32_e32 v62, v88, v147
	v_add_f32_e32 v101, v101, v102
	s_waitcnt vmcnt(22)
	v_mul_f32_e32 v102, v95, v156
	v_fma_f32 v62, v87, v148, -v62
	v_fmac_f32_e32 v102, v96, v155
	v_add_f32_e32 v61, v61, v62
	v_mul_f32_e32 v62, v90, v150
	v_add_f32_e32 v101, v101, v102
	s_waitcnt vmcnt(20) lgkmcnt(0)
	v_mul_f32_e32 v102, v97, v158
	v_fma_f32 v62, v89, v149, -v62
	v_fmac_f32_e32 v102, v98, v157
	v_add_f32_e32 v61, v61, v62
	v_mul_f32_e32 v62, v92, v152
	v_add_f32_e32 v105, v101, v102
	ds_read2_b64 v[101:104], v0 offset0:51 offset1:52
	v_fma_f32 v62, v91, v151, -v62
	v_add_f32_e32 v61, v61, v62
	v_mul_f32_e32 v62, v94, v154
	s_waitcnt vmcnt(18)
	v_mul_f32_e32 v106, v99, v160
	v_fma_f32 v62, v93, v153, -v62
	v_fmac_f32_e32 v106, v100, v159
	v_add_f32_e32 v61, v61, v62
	v_mul_f32_e32 v62, v96, v156
	v_add_f32_e32 v109, v105, v106
	ds_read2_b64 v[105:108], v0 offset0:53 offset1:54
	v_fma_f32 v62, v95, v155, -v62
	s_waitcnt vmcnt(16) lgkmcnt(1)
	v_mul_f32_e32 v110, v101, v162
	v_add_f32_e32 v61, v61, v62
	v_mul_f32_e32 v62, v98, v158
	v_fmac_f32_e32 v110, v102, v161
	v_fma_f32 v62, v97, v157, -v62
	v_add_f32_e32 v109, v109, v110
	s_waitcnt vmcnt(14)
	v_mul_f32_e32 v110, v103, v164
	v_add_f32_e32 v61, v61, v62
	v_mul_f32_e32 v62, v100, v160
	v_fmac_f32_e32 v110, v104, v163
	v_fma_f32 v62, v99, v159, -v62
	v_add_f32_e32 v109, v109, v110
	s_waitcnt vmcnt(12) lgkmcnt(0)
	v_mul_f32_e32 v110, v105, v166
	v_add_f32_e32 v61, v61, v62
	v_mul_f32_e32 v62, v102, v162
	v_fmac_f32_e32 v110, v106, v165
	v_fma_f32 v62, v101, v161, -v62
	v_add_f32_e32 v113, v109, v110
	ds_read2_b64 v[109:112], v0 offset0:55 offset1:56
	v_add_f32_e32 v61, v61, v62
	v_mul_f32_e32 v62, v104, v164
	v_fma_f32 v62, v103, v163, -v62
	v_add_f32_e32 v61, v61, v62
	v_mul_f32_e32 v62, v106, v166
	s_waitcnt vmcnt(10)
	v_mul_f32_e32 v114, v107, v168
	v_fma_f32 v62, v105, v165, -v62
	v_fmac_f32_e32 v114, v108, v167
	v_add_f32_e32 v61, v61, v62
	v_mul_f32_e32 v62, v108, v168
	v_add_f32_e32 v117, v113, v114
	ds_read2_b64 v[113:116], v0 offset0:57 offset1:58
	s_waitcnt vmcnt(8) lgkmcnt(1)
	v_mul_f32_e32 v118, v109, v170
	v_fma_f32 v62, v107, v167, -v62
	v_fmac_f32_e32 v118, v110, v169
	v_add_f32_e32 v61, v61, v62
	v_mul_f32_e32 v62, v110, v170
	v_add_f32_e32 v117, v117, v118
	s_waitcnt vmcnt(6)
	v_mul_f32_e32 v118, v111, v172
	v_fma_f32 v62, v109, v169, -v62
	v_fmac_f32_e32 v118, v112, v171
	v_add_f32_e32 v61, v61, v62
	v_mul_f32_e32 v62, v112, v172
	v_add_f32_e32 v179, v117, v118
	ds_read_b64 v[117:118], v0 offset:472
	v_fma_f32 v62, v111, v171, -v62
	v_add_f32_e32 v61, v61, v62
	s_waitcnt vmcnt(4) lgkmcnt(1)
	v_mul_f32_e32 v62, v114, v174
	v_mul_f32_e32 v180, v113, v174
	v_fma_f32 v62, v113, v173, -v62
	v_fmac_f32_e32 v180, v114, v173
	v_add_f32_e32 v61, v61, v62
	s_waitcnt vmcnt(2)
	v_mul_f32_e32 v62, v116, v176
	v_add_f32_e32 v179, v179, v180
	v_mul_f32_e32 v180, v115, v176
	v_fma_f32 v62, v115, v175, -v62
	v_fmac_f32_e32 v180, v116, v175
	v_add_f32_e32 v61, v61, v62
	s_waitcnt vmcnt(0) lgkmcnt(0)
	v_mul_f32_e32 v62, v118, v178
	v_add_f32_e32 v179, v179, v180
	v_mul_f32_e32 v180, v117, v178
	v_fma_f32 v62, v117, v177, -v62
	v_fmac_f32_e32 v180, v118, v177
	v_add_f32_e32 v61, v61, v62
	v_add_f32_e32 v179, v179, v180
	v_sub_f32_e32 v61, v145, v61
	v_sub_f32_e32 v62, v146, v179
	buffer_store_dword v61, off, s[0:3], 0
	buffer_store_dword v62, off, s[0:3], 0 offset:4
	s_cbranch_vccz .LBB29_252
; %bb.194:
	global_load_dword v0, v0, s[20:21] offset:112
	s_waitcnt vmcnt(0)
	v_add_u32_e32 v0, -1, v0
	v_cmp_ne_u32_e32 vcc, 28, v0
	s_cbranch_vccz .LBB29_196
; %bb.195:
	v_lshlrev_b32_e32 v0, 3, v0
	buffer_load_dword v61, v0, s[0:3], 0 offen
	buffer_load_dword v62, v0, s[0:3], 0 offen offset:4
	buffer_load_dword v63, off, s[0:3], 0 offset:228
	buffer_load_dword v64, off, s[0:3], 0 offset:224
	s_waitcnt vmcnt(3)
	buffer_store_dword v61, off, s[0:3], 0 offset:224
	s_waitcnt vmcnt(3)
	buffer_store_dword v62, off, s[0:3], 0 offset:228
	s_waitcnt vmcnt(3)
	buffer_store_dword v63, v0, s[0:3], 0 offen offset:4
	s_waitcnt vmcnt(3)
	buffer_store_dword v64, v0, s[0:3], 0 offen
.LBB29_196:
	v_mov_b32_e32 v0, 0
	global_load_dword v61, v0, s[20:21] offset:108
	s_waitcnt vmcnt(0)
	v_add_u32_e32 v61, -1, v61
	v_cmp_eq_u32_e32 vcc, 27, v61
	s_cbranch_vccnz .LBB29_198
; %bb.197:
	v_lshlrev_b32_e32 v61, 3, v61
	buffer_load_dword v62, v61, s[0:3], 0 offen
	buffer_load_dword v63, v61, s[0:3], 0 offen offset:4
	buffer_load_dword v64, off, s[0:3], 0 offset:216
	buffer_load_dword v65, off, s[0:3], 0 offset:220
	s_waitcnt vmcnt(3)
	buffer_store_dword v62, off, s[0:3], 0 offset:216
	s_waitcnt vmcnt(3)
	buffer_store_dword v63, off, s[0:3], 0 offset:220
	s_waitcnt vmcnt(3)
	buffer_store_dword v64, v61, s[0:3], 0 offen
	s_waitcnt vmcnt(3)
	buffer_store_dword v65, v61, s[0:3], 0 offen offset:4
.LBB29_198:
	global_load_dword v0, v0, s[20:21] offset:104
	s_waitcnt vmcnt(0)
	v_add_u32_e32 v0, -1, v0
	v_cmp_eq_u32_e32 vcc, 26, v0
	s_cbranch_vccnz .LBB29_200
; %bb.199:
	v_lshlrev_b32_e32 v0, 3, v0
	buffer_load_dword v61, v0, s[0:3], 0 offen
	buffer_load_dword v62, v0, s[0:3], 0 offen offset:4
	buffer_load_dword v63, off, s[0:3], 0 offset:212
	buffer_load_dword v64, off, s[0:3], 0 offset:208
	s_waitcnt vmcnt(3)
	buffer_store_dword v61, off, s[0:3], 0 offset:208
	s_waitcnt vmcnt(3)
	buffer_store_dword v62, off, s[0:3], 0 offset:212
	s_waitcnt vmcnt(3)
	buffer_store_dword v63, v0, s[0:3], 0 offen offset:4
	s_waitcnt vmcnt(3)
	buffer_store_dword v64, v0, s[0:3], 0 offen
.LBB29_200:
	v_mov_b32_e32 v0, 0
	global_load_dword v61, v0, s[20:21] offset:100
	s_waitcnt vmcnt(0)
	v_add_u32_e32 v61, -1, v61
	v_cmp_eq_u32_e32 vcc, 25, v61
	s_cbranch_vccnz .LBB29_202
; %bb.201:
	v_lshlrev_b32_e32 v61, 3, v61
	buffer_load_dword v62, v61, s[0:3], 0 offen
	buffer_load_dword v63, v61, s[0:3], 0 offen offset:4
	buffer_load_dword v64, off, s[0:3], 0 offset:200
	buffer_load_dword v65, off, s[0:3], 0 offset:204
	s_waitcnt vmcnt(3)
	buffer_store_dword v62, off, s[0:3], 0 offset:200
	s_waitcnt vmcnt(3)
	buffer_store_dword v63, off, s[0:3], 0 offset:204
	s_waitcnt vmcnt(3)
	buffer_store_dword v64, v61, s[0:3], 0 offen
	s_waitcnt vmcnt(3)
	buffer_store_dword v65, v61, s[0:3], 0 offen offset:4
.LBB29_202:
	global_load_dword v0, v0, s[20:21] offset:96
	s_waitcnt vmcnt(0)
	v_add_u32_e32 v0, -1, v0
	v_cmp_eq_u32_e32 vcc, 24, v0
	s_cbranch_vccnz .LBB29_204
; %bb.203:
	v_lshlrev_b32_e32 v0, 3, v0
	buffer_load_dword v61, v0, s[0:3], 0 offen
	buffer_load_dword v62, v0, s[0:3], 0 offen offset:4
	buffer_load_dword v63, off, s[0:3], 0 offset:196
	buffer_load_dword v64, off, s[0:3], 0 offset:192
	s_waitcnt vmcnt(3)
	buffer_store_dword v61, off, s[0:3], 0 offset:192
	s_waitcnt vmcnt(3)
	buffer_store_dword v62, off, s[0:3], 0 offset:196
	s_waitcnt vmcnt(3)
	buffer_store_dword v63, v0, s[0:3], 0 offen offset:4
	s_waitcnt vmcnt(3)
	buffer_store_dword v64, v0, s[0:3], 0 offen
.LBB29_204:
	;; [unrolled: 41-line block ×13, first 2 shown]
	v_mov_b32_e32 v0, 0
	global_load_dword v61, v0, s[20:21] offset:4
	s_waitcnt vmcnt(0)
	v_add_u32_e32 v61, -1, v61
	v_cmp_eq_u32_e32 vcc, 1, v61
	s_cbranch_vccnz .LBB29_250
; %bb.249:
	v_lshlrev_b32_e32 v61, 3, v61
	buffer_load_dword v62, v61, s[0:3], 0 offen
	buffer_load_dword v63, v61, s[0:3], 0 offen offset:4
	buffer_load_dword v64, off, s[0:3], 0 offset:8
	buffer_load_dword v65, off, s[0:3], 0 offset:12
	s_waitcnt vmcnt(3)
	buffer_store_dword v62, off, s[0:3], 0 offset:8
	s_waitcnt vmcnt(3)
	buffer_store_dword v63, off, s[0:3], 0 offset:12
	s_waitcnt vmcnt(3)
	buffer_store_dword v64, v61, s[0:3], 0 offen
	s_waitcnt vmcnt(3)
	buffer_store_dword v65, v61, s[0:3], 0 offen offset:4
.LBB29_250:
	global_load_dword v0, v0, s[20:21]
	s_waitcnt vmcnt(0)
	v_add_u32_e32 v0, -1, v0
	v_cmp_eq_u32_e32 vcc, 0, v0
	s_cbranch_vccnz .LBB29_252
; %bb.251:
	v_lshlrev_b32_e32 v0, 3, v0
	buffer_load_dword v61, v0, s[0:3], 0 offen
	buffer_load_dword v62, v0, s[0:3], 0 offen offset:4
	buffer_load_dword v63, off, s[0:3], 0 offset:4
	buffer_load_dword v64, off, s[0:3], 0
	s_waitcnt vmcnt(3)
	buffer_store_dword v61, off, s[0:3], 0
	s_waitcnt vmcnt(3)
	buffer_store_dword v62, off, s[0:3], 0 offset:4
	s_waitcnt vmcnt(3)
	buffer_store_dword v63, v0, s[0:3], 0 offen offset:4
	s_waitcnt vmcnt(3)
	buffer_store_dword v64, v0, s[0:3], 0 offen
.LBB29_252:
	buffer_load_dword v61, off, s[0:3], 0
	buffer_load_dword v62, off, s[0:3], 0 offset:4
	buffer_load_dword v63, off, s[0:3], 0 offset:8
	s_nop 0
	buffer_load_dword v64, off, s[0:3], 0 offset:12
	buffer_load_dword v65, off, s[0:3], 0 offset:16
	buffer_load_dword v66, off, s[0:3], 0 offset:20
	buffer_load_dword v67, off, s[0:3], 0 offset:24
	buffer_load_dword v68, off, s[0:3], 0 offset:28
	buffer_load_dword v69, off, s[0:3], 0 offset:32
	buffer_load_dword v70, off, s[0:3], 0 offset:36
	buffer_load_dword v71, off, s[0:3], 0 offset:40
	buffer_load_dword v72, off, s[0:3], 0 offset:44
	buffer_load_dword v73, off, s[0:3], 0 offset:48
	buffer_load_dword v74, off, s[0:3], 0 offset:52
	buffer_load_dword v75, off, s[0:3], 0 offset:56
	buffer_load_dword v76, off, s[0:3], 0 offset:60
	buffer_load_dword v78, off, s[0:3], 0 offset:68
	buffer_load_dword v79, off, s[0:3], 0 offset:72
	buffer_load_dword v80, off, s[0:3], 0 offset:76
	buffer_load_dword v81, off, s[0:3], 0 offset:80
	buffer_load_dword v82, off, s[0:3], 0 offset:84
	buffer_load_dword v83, off, s[0:3], 0 offset:88
	buffer_load_dword v84, off, s[0:3], 0 offset:92
	buffer_load_dword v77, off, s[0:3], 0 offset:64
	buffer_load_dword v85, off, s[0:3], 0 offset:96
	buffer_load_dword v86, off, s[0:3], 0 offset:100
	buffer_load_dword v87, off, s[0:3], 0 offset:104
	buffer_load_dword v88, off, s[0:3], 0 offset:108
	buffer_load_dword v89, off, s[0:3], 0 offset:112
	buffer_load_dword v90, off, s[0:3], 0 offset:116
	buffer_load_dword v91, off, s[0:3], 0 offset:120
	buffer_load_dword v92, off, s[0:3], 0 offset:124
	buffer_load_dword v93, off, s[0:3], 0 offset:128
	buffer_load_dword v94, off, s[0:3], 0 offset:132
	buffer_load_dword v95, off, s[0:3], 0 offset:136
	buffer_load_dword v96, off, s[0:3], 0 offset:140
	buffer_load_dword v97, off, s[0:3], 0 offset:144
	buffer_load_dword v98, off, s[0:3], 0 offset:148
	buffer_load_dword v99, off, s[0:3], 0 offset:152
	buffer_load_dword v100, off, s[0:3], 0 offset:156
	buffer_load_dword v101, off, s[0:3], 0 offset:160
	buffer_load_dword v102, off, s[0:3], 0 offset:164
	buffer_load_dword v103, off, s[0:3], 0 offset:168
	buffer_load_dword v104, off, s[0:3], 0 offset:172
	buffer_load_dword v105, off, s[0:3], 0 offset:176
	buffer_load_dword v106, off, s[0:3], 0 offset:180
	buffer_load_dword v107, off, s[0:3], 0 offset:184
	buffer_load_dword v108, off, s[0:3], 0 offset:188
	buffer_load_dword v109, off, s[0:3], 0 offset:192
	buffer_load_dword v110, off, s[0:3], 0 offset:196
	buffer_load_dword v111, off, s[0:3], 0 offset:200
	buffer_load_dword v112, off, s[0:3], 0 offset:204
	buffer_load_dword v113, off, s[0:3], 0 offset:208
	buffer_load_dword v114, off, s[0:3], 0 offset:212
	buffer_load_dword v115, off, s[0:3], 0 offset:216
	buffer_load_dword v116, off, s[0:3], 0 offset:220
	buffer_load_dword v117, off, s[0:3], 0 offset:224
	buffer_load_dword v118, off, s[0:3], 0 offset:228
	buffer_load_dword v119, off, s[0:3], 0 offset:232
	buffer_load_dword v120, off, s[0:3], 0 offset:236
	s_waitcnt vmcnt(58)
	global_store_dwordx2 v[1:2], v[61:62], off
	s_waitcnt vmcnt(57)
	global_store_dwordx2 v[3:4], v[63:64], off
	;; [unrolled: 2-line block ×9, first 2 shown]
	global_store_dwordx2 v[19:20], v[79:80], off
	global_store_dwordx2 v[21:22], v[81:82], off
	;; [unrolled: 1-line block ×3, first 2 shown]
	s_waitcnt vmcnt(46)
	global_store_dwordx2 v[25:26], v[85:86], off
	s_waitcnt vmcnt(45)
	global_store_dwordx2 v[27:28], v[87:88], off
	;; [unrolled: 2-line block ×18, first 2 shown]
	s_endpgm
	.section	.rodata,"a",@progbits
	.p2align	6, 0x0
	.amdhsa_kernel _ZN9rocsolver6v33100L18getri_kernel_smallILi30E19rocblas_complex_numIfEPS3_EEvT1_iilPiilS6_bb
		.amdhsa_group_segment_fixed_size 484
		.amdhsa_private_segment_fixed_size 256
		.amdhsa_kernarg_size 60
		.amdhsa_user_sgpr_count 6
		.amdhsa_user_sgpr_private_segment_buffer 1
		.amdhsa_user_sgpr_dispatch_ptr 0
		.amdhsa_user_sgpr_queue_ptr 0
		.amdhsa_user_sgpr_kernarg_segment_ptr 1
		.amdhsa_user_sgpr_dispatch_id 0
		.amdhsa_user_sgpr_flat_scratch_init 0
		.amdhsa_user_sgpr_private_segment_size 0
		.amdhsa_uses_dynamic_stack 0
		.amdhsa_system_sgpr_private_segment_wavefront_offset 1
		.amdhsa_system_sgpr_workgroup_id_x 1
		.amdhsa_system_sgpr_workgroup_id_y 0
		.amdhsa_system_sgpr_workgroup_id_z 0
		.amdhsa_system_sgpr_workgroup_info 0
		.amdhsa_system_vgpr_workitem_id 0
		.amdhsa_next_free_vgpr 181
		.amdhsa_next_free_sgpr 24
		.amdhsa_reserve_vcc 1
		.amdhsa_reserve_flat_scratch 0
		.amdhsa_float_round_mode_32 0
		.amdhsa_float_round_mode_16_64 0
		.amdhsa_float_denorm_mode_32 3
		.amdhsa_float_denorm_mode_16_64 3
		.amdhsa_dx10_clamp 1
		.amdhsa_ieee_mode 1
		.amdhsa_fp16_overflow 0
		.amdhsa_exception_fp_ieee_invalid_op 0
		.amdhsa_exception_fp_denorm_src 0
		.amdhsa_exception_fp_ieee_div_zero 0
		.amdhsa_exception_fp_ieee_overflow 0
		.amdhsa_exception_fp_ieee_underflow 0
		.amdhsa_exception_fp_ieee_inexact 0
		.amdhsa_exception_int_div_zero 0
	.end_amdhsa_kernel
	.section	.text._ZN9rocsolver6v33100L18getri_kernel_smallILi30E19rocblas_complex_numIfEPS3_EEvT1_iilPiilS6_bb,"axG",@progbits,_ZN9rocsolver6v33100L18getri_kernel_smallILi30E19rocblas_complex_numIfEPS3_EEvT1_iilPiilS6_bb,comdat
.Lfunc_end29:
	.size	_ZN9rocsolver6v33100L18getri_kernel_smallILi30E19rocblas_complex_numIfEPS3_EEvT1_iilPiilS6_bb, .Lfunc_end29-_ZN9rocsolver6v33100L18getri_kernel_smallILi30E19rocblas_complex_numIfEPS3_EEvT1_iilPiilS6_bb
                                        ; -- End function
	.set _ZN9rocsolver6v33100L18getri_kernel_smallILi30E19rocblas_complex_numIfEPS3_EEvT1_iilPiilS6_bb.num_vgpr, 181
	.set _ZN9rocsolver6v33100L18getri_kernel_smallILi30E19rocblas_complex_numIfEPS3_EEvT1_iilPiilS6_bb.num_agpr, 0
	.set _ZN9rocsolver6v33100L18getri_kernel_smallILi30E19rocblas_complex_numIfEPS3_EEvT1_iilPiilS6_bb.numbered_sgpr, 24
	.set _ZN9rocsolver6v33100L18getri_kernel_smallILi30E19rocblas_complex_numIfEPS3_EEvT1_iilPiilS6_bb.num_named_barrier, 0
	.set _ZN9rocsolver6v33100L18getri_kernel_smallILi30E19rocblas_complex_numIfEPS3_EEvT1_iilPiilS6_bb.private_seg_size, 256
	.set _ZN9rocsolver6v33100L18getri_kernel_smallILi30E19rocblas_complex_numIfEPS3_EEvT1_iilPiilS6_bb.uses_vcc, 1
	.set _ZN9rocsolver6v33100L18getri_kernel_smallILi30E19rocblas_complex_numIfEPS3_EEvT1_iilPiilS6_bb.uses_flat_scratch, 0
	.set _ZN9rocsolver6v33100L18getri_kernel_smallILi30E19rocblas_complex_numIfEPS3_EEvT1_iilPiilS6_bb.has_dyn_sized_stack, 0
	.set _ZN9rocsolver6v33100L18getri_kernel_smallILi30E19rocblas_complex_numIfEPS3_EEvT1_iilPiilS6_bb.has_recursion, 0
	.set _ZN9rocsolver6v33100L18getri_kernel_smallILi30E19rocblas_complex_numIfEPS3_EEvT1_iilPiilS6_bb.has_indirect_call, 0
	.section	.AMDGPU.csdata,"",@progbits
; Kernel info:
; codeLenInByte = 40216
; TotalNumSgprs: 28
; NumVgprs: 181
; ScratchSize: 256
; MemoryBound: 0
; FloatMode: 240
; IeeeMode: 1
; LDSByteSize: 484 bytes/workgroup (compile time only)
; SGPRBlocks: 3
; VGPRBlocks: 45
; NumSGPRsForWavesPerEU: 28
; NumVGPRsForWavesPerEU: 181
; Occupancy: 1
; WaveLimiterHint : 1
; COMPUTE_PGM_RSRC2:SCRATCH_EN: 1
; COMPUTE_PGM_RSRC2:USER_SGPR: 6
; COMPUTE_PGM_RSRC2:TRAP_HANDLER: 0
; COMPUTE_PGM_RSRC2:TGID_X_EN: 1
; COMPUTE_PGM_RSRC2:TGID_Y_EN: 0
; COMPUTE_PGM_RSRC2:TGID_Z_EN: 0
; COMPUTE_PGM_RSRC2:TIDIG_COMP_CNT: 0
	.section	.text._ZN9rocsolver6v33100L18getri_kernel_smallILi31E19rocblas_complex_numIfEPS3_EEvT1_iilPiilS6_bb,"axG",@progbits,_ZN9rocsolver6v33100L18getri_kernel_smallILi31E19rocblas_complex_numIfEPS3_EEvT1_iilPiilS6_bb,comdat
	.globl	_ZN9rocsolver6v33100L18getri_kernel_smallILi31E19rocblas_complex_numIfEPS3_EEvT1_iilPiilS6_bb ; -- Begin function _ZN9rocsolver6v33100L18getri_kernel_smallILi31E19rocblas_complex_numIfEPS3_EEvT1_iilPiilS6_bb
	.p2align	8
	.type	_ZN9rocsolver6v33100L18getri_kernel_smallILi31E19rocblas_complex_numIfEPS3_EEvT1_iilPiilS6_bb,@function
_ZN9rocsolver6v33100L18getri_kernel_smallILi31E19rocblas_complex_numIfEPS3_EEvT1_iilPiilS6_bb: ; @_ZN9rocsolver6v33100L18getri_kernel_smallILi31E19rocblas_complex_numIfEPS3_EEvT1_iilPiilS6_bb
; %bb.0:
	s_add_u32 s0, s0, s7
	s_addc_u32 s1, s1, 0
	v_cmp_gt_u32_e32 vcc, 31, v0
	s_and_saveexec_b64 s[8:9], vcc
	s_cbranch_execz .LBB30_138
; %bb.1:
	s_load_dword s12, s[4:5], 0x38
	s_load_dwordx4 s[16:19], s[4:5], 0x10
	s_load_dwordx4 s[8:11], s[4:5], 0x28
                                        ; implicit-def: $sgpr20_sgpr21
	s_waitcnt lgkmcnt(0)
	s_bitcmp1_b32 s12, 8
	s_cselect_b64 s[22:23], -1, 0
	s_ashr_i32 s7, s6, 31
	s_bfe_u32 s12, s12, 0x10008
	s_cmp_eq_u32 s12, 0
	s_cbranch_scc1 .LBB30_3
; %bb.2:
	s_load_dword s12, s[4:5], 0x20
	s_mul_i32 s13, s8, s7
	s_mul_hi_u32 s14, s8, s6
	s_mul_i32 s9, s9, s6
	s_add_i32 s14, s14, s13
	s_add_i32 s9, s14, s9
	s_mul_i32 s8, s8, s6
	s_waitcnt lgkmcnt(0)
	s_ashr_i32 s13, s12, 31
	s_lshl_b64 s[8:9], s[8:9], 2
	s_add_u32 s14, s18, s8
	s_addc_u32 s15, s19, s9
	s_lshl_b64 s[8:9], s[12:13], 2
	s_add_u32 s20, s14, s8
	s_addc_u32 s21, s15, s9
.LBB30_3:
	s_load_dwordx4 s[12:15], s[4:5], 0x0
	s_load_dword s8, s[4:5], 0x38
	s_mul_i32 s9, s16, s7
	s_mul_hi_u32 s18, s16, s6
	s_add_i32 s9, s18, s9
	s_waitcnt lgkmcnt(0)
	s_ashr_i32 s5, s14, 31
	s_mov_b32 s4, s14
	s_mul_i32 s14, s17, s6
	s_add_i32 s17, s9, s14
	s_mul_i32 s16, s16, s6
	s_lshl_b64 s[16:17], s[16:17], 3
	s_add_u32 s9, s12, s16
	s_addc_u32 s12, s13, s17
	s_lshl_b64 s[4:5], s[4:5], 3
	s_add_u32 s4, s9, s4
	s_addc_u32 s5, s12, s5
	s_add_i32 s9, s15, s15
	v_add_u32_e32 v3, s9, v0
	v_ashrrev_i32_e32 v4, 31, v3
	v_lshlrev_b64 v[1:2], 3, v[3:4]
	v_add_u32_e32 v5, s15, v3
	v_mov_b32_e32 v4, s5
	v_add_co_u32_e32 v1, vcc, s4, v1
	v_ashrrev_i32_e32 v6, 31, v5
	v_addc_co_u32_e32 v2, vcc, v4, v2, vcc
	v_lshlrev_b64 v[3:4], 3, v[5:6]
	v_add_u32_e32 v7, s15, v5
	v_mov_b32_e32 v6, s5
	v_add_co_u32_e32 v3, vcc, s4, v3
	v_ashrrev_i32_e32 v8, 31, v7
	v_addc_co_u32_e32 v4, vcc, v6, v4, vcc
	;; [unrolled: 6-line block ×8, first 2 shown]
	v_lshlrev_b64 v[17:18], 3, v[19:20]
	v_mov_b32_e32 v21, s5
	v_add_co_u32_e32 v17, vcc, s4, v17
	v_addc_co_u32_e32 v18, vcc, v21, v18, vcc
	v_add_u32_e32 v21, s15, v19
	v_ashrrev_i32_e32 v22, 31, v21
	v_lshlrev_b64 v[19:20], 3, v[21:22]
	v_mov_b32_e32 v23, s5
	v_add_co_u32_e32 v19, vcc, s4, v19
	v_addc_co_u32_e32 v20, vcc, v23, v20, vcc
	v_add_u32_e32 v23, s15, v21
	v_ashrrev_i32_e32 v24, 31, v23
	;; [unrolled: 6-line block ×16, first 2 shown]
	v_lshlrev_b64 v[49:50], 3, v[51:52]
	v_mov_b32_e32 v53, s5
	v_add_co_u32_e32 v49, vcc, s4, v49
	v_addc_co_u32_e32 v50, vcc, v53, v50, vcc
	v_lshlrev_b32_e32 v65, 3, v0
	v_add_u32_e32 v57, s15, v51
	v_mov_b32_e32 v51, s5
	v_add_co_u32_e32 v53, vcc, s4, v65
	s_ashr_i32 s13, s15, 31
	s_mov_b32 s12, s15
	v_addc_co_u32_e32 v54, vcc, 0, v51, vcc
	s_lshl_b64 s[12:13], s[12:13], 3
	v_ashrrev_i32_e32 v58, 31, v57
	v_mov_b32_e32 v51, s13
	v_add_co_u32_e32 v55, vcc, s12, v53
	v_addc_co_u32_e32 v56, vcc, v54, v51, vcc
	v_lshlrev_b64 v[51:52], 3, v[57:58]
	v_mov_b32_e32 v59, s5
	v_add_co_u32_e32 v51, vcc, s4, v51
	v_addc_co_u32_e32 v52, vcc, v59, v52, vcc
	v_add_u32_e32 v59, s15, v57
	v_ashrrev_i32_e32 v60, 31, v59
	v_lshlrev_b64 v[57:58], 3, v[59:60]
	v_mov_b32_e32 v61, s5
	v_add_co_u32_e32 v57, vcc, s4, v57
	v_addc_co_u32_e32 v58, vcc, v61, v58, vcc
	v_add_u32_e32 v61, s15, v59
	v_ashrrev_i32_e32 v62, 31, v61
	v_lshlrev_b64 v[59:60], 3, v[61:62]
	v_mov_b32_e32 v108, s5
	v_add_co_u32_e32 v59, vcc, s4, v59
	global_load_dwordx2 v[63:64], v65, s[4:5]
	global_load_dwordx2 v[66:67], v[55:56], off
	global_load_dwordx2 v[68:69], v[1:2], off
	global_load_dwordx2 v[70:71], v[3:4], off
	global_load_dwordx2 v[72:73], v[5:6], off
	global_load_dwordx2 v[74:75], v[7:8], off
	global_load_dwordx2 v[76:77], v[9:10], off
	global_load_dwordx2 v[78:79], v[11:12], off
	global_load_dwordx2 v[80:81], v[13:14], off
	global_load_dwordx2 v[82:83], v[15:16], off
	global_load_dwordx2 v[84:85], v[17:18], off
	global_load_dwordx2 v[86:87], v[19:20], off
	global_load_dwordx2 v[88:89], v[21:22], off
	global_load_dwordx2 v[90:91], v[23:24], off
	global_load_dwordx2 v[92:93], v[25:26], off
	global_load_dwordx2 v[94:95], v[27:28], off
	global_load_dwordx2 v[96:97], v[29:30], off
	global_load_dwordx2 v[98:99], v[31:32], off
	global_load_dwordx2 v[100:101], v[33:34], off
	global_load_dwordx2 v[102:103], v[35:36], off
	global_load_dwordx2 v[104:105], v[37:38], off
	global_load_dwordx2 v[106:107], v[39:40], off
	v_addc_co_u32_e32 v60, vcc, v108, v60, vcc
	global_load_dwordx2 v[108:109], v[41:42], off
	global_load_dwordx2 v[110:111], v[43:44], off
	;; [unrolled: 1-line block ×8, first 2 shown]
	v_add_u32_e32 v61, s15, v61
	v_ashrrev_i32_e32 v62, 31, v61
	v_lshlrev_b64 v[61:62], 3, v[61:62]
	v_mov_b32_e32 v124, s5
	v_add_co_u32_e32 v61, vcc, s4, v61
	v_addc_co_u32_e32 v62, vcc, v124, v62, vcc
	global_load_dwordx2 v[124:125], v[61:62], off
	s_bitcmp0_b32 s8, 0
	s_mov_b64 s[8:9], -1
	s_waitcnt vmcnt(30)
	buffer_store_dword v64, off, s[0:3], 0 offset:4
	buffer_store_dword v63, off, s[0:3], 0
	s_waitcnt vmcnt(31)
	buffer_store_dword v67, off, s[0:3], 0 offset:12
	buffer_store_dword v66, off, s[0:3], 0 offset:8
	s_waitcnt vmcnt(32)
	buffer_store_dword v69, off, s[0:3], 0 offset:20
	buffer_store_dword v68, off, s[0:3], 0 offset:16
	;; [unrolled: 3-line block ×30, first 2 shown]
	s_cbranch_scc1 .LBB30_136
; %bb.4:
	v_cmp_eq_u32_e64 s[4:5], 0, v0
	s_and_saveexec_b64 s[8:9], s[4:5]
; %bb.5:
	v_mov_b32_e32 v63, 0
	ds_write_b32 v63, v63 offset:248
; %bb.6:
	s_or_b64 exec, exec, s[8:9]
	v_mov_b32_e32 v63, 0
	v_lshl_add_u32 v67, v0, 3, v63
	s_waitcnt lgkmcnt(0)
	; wave barrier
	buffer_load_dword v63, v67, s[0:3], 0 offen
	buffer_load_dword v64, v67, s[0:3], 0 offen offset:4
	s_waitcnt vmcnt(1)
	v_cmp_eq_f32_e32 vcc, 0, v63
	s_waitcnt vmcnt(0)
	v_cmp_eq_f32_e64 s[8:9], 0, v64
	s_and_b64 s[8:9], vcc, s[8:9]
	s_and_saveexec_b64 s[12:13], s[8:9]
	s_cbranch_execz .LBB30_10
; %bb.7:
	v_mov_b32_e32 v63, 0
	ds_read_b32 v66, v63 offset:248
	v_add_u32_e32 v64, 1, v0
	s_waitcnt lgkmcnt(0)
	v_readfirstlane_b32 s8, v66
	s_cmp_eq_u32 s8, 0
	s_cselect_b64 s[14:15], -1, 0
	v_cmp_gt_i32_e32 vcc, s8, v64
	s_or_b64 s[14:15], s[14:15], vcc
	s_and_b64 exec, exec, s[14:15]
	s_cbranch_execz .LBB30_10
; %bb.8:
	s_mov_b64 s[14:15], 0
	v_mov_b32_e32 v66, s8
.LBB30_9:                               ; =>This Inner Loop Header: Depth=1
	ds_cmpst_rtn_b32 v66, v63, v66, v64 offset:248
	s_waitcnt lgkmcnt(0)
	v_cmp_ne_u32_e32 vcc, 0, v66
	v_cmp_le_i32_e64 s[8:9], v66, v64
	s_and_b64 s[8:9], vcc, s[8:9]
	s_and_b64 s[8:9], exec, s[8:9]
	s_or_b64 s[14:15], s[8:9], s[14:15]
	s_andn2_b64 exec, exec, s[14:15]
	s_cbranch_execnz .LBB30_9
.LBB30_10:
	s_or_b64 exec, exec, s[12:13]
	v_mov_b32_e32 v64, 0
	; wave barrier
	ds_read_b32 v63, v64 offset:248
	s_and_saveexec_b64 s[8:9], s[4:5]
	s_cbranch_execz .LBB30_12
; %bb.11:
	s_lshl_b64 s[12:13], s[6:7], 2
	s_add_u32 s12, s10, s12
	s_addc_u32 s13, s11, s13
	s_waitcnt lgkmcnt(0)
	global_store_dword v64, v63, s[12:13]
.LBB30_12:
	s_or_b64 exec, exec, s[8:9]
	s_waitcnt lgkmcnt(0)
	v_cmp_ne_u32_e32 vcc, 0, v63
	s_mov_b64 s[8:9], 0
	s_cbranch_vccnz .LBB30_136
; %bb.13:
	buffer_load_dword v64, v67, s[0:3], 0 offen
	buffer_load_dword v66, v67, s[0:3], 0 offen offset:4
                                        ; implicit-def: $vgpr69
                                        ; implicit-def: $vgpr68
                                        ; implicit-def: $vgpr63
	s_waitcnt vmcnt(0)
	v_cmp_ngt_f32_e64 s[8:9], |v64|, |v66|
	s_and_saveexec_b64 s[12:13], s[8:9]
	s_xor_b64 s[8:9], exec, s[12:13]
	s_cbranch_execz .LBB30_15
; %bb.14:
	v_div_scale_f32 v63, s[12:13], v66, v66, v64
	v_div_scale_f32 v68, vcc, v64, v66, v64
	v_rcp_f32_e32 v69, v63
	v_fma_f32 v70, -v63, v69, 1.0
	v_fmac_f32_e32 v69, v70, v69
	v_mul_f32_e32 v70, v68, v69
	v_fma_f32 v71, -v63, v70, v68
	v_fmac_f32_e32 v70, v71, v69
	v_fma_f32 v63, -v63, v70, v68
	v_div_fmas_f32 v63, v63, v69, v70
	v_div_fixup_f32 v63, v63, v66, v64
	v_fmac_f32_e32 v66, v64, v63
	v_div_scale_f32 v64, s[12:13], v66, v66, 1.0
	v_div_scale_f32 v68, vcc, 1.0, v66, 1.0
	v_rcp_f32_e32 v69, v64
	v_fma_f32 v70, -v64, v69, 1.0
	v_fmac_f32_e32 v69, v70, v69
	v_mul_f32_e32 v70, v68, v69
	v_fma_f32 v71, -v64, v70, v68
	v_fmac_f32_e32 v70, v71, v69
	v_fma_f32 v64, -v64, v70, v68
	v_div_fmas_f32 v64, v64, v69, v70
	v_div_fixup_f32 v64, v64, v66, 1.0
	v_mul_f32_e32 v69, v63, v64
	v_xor_b32_e32 v68, 0x80000000, v64
	v_xor_b32_e32 v63, 0x80000000, v69
                                        ; implicit-def: $vgpr64
                                        ; implicit-def: $vgpr66
.LBB30_15:
	s_andn2_saveexec_b64 s[8:9], s[8:9]
	s_cbranch_execz .LBB30_17
; %bb.16:
	v_div_scale_f32 v63, s[12:13], v64, v64, v66
	v_div_scale_f32 v68, vcc, v66, v64, v66
	v_rcp_f32_e32 v69, v63
	v_fma_f32 v70, -v63, v69, 1.0
	v_fmac_f32_e32 v69, v70, v69
	v_mul_f32_e32 v70, v68, v69
	v_fma_f32 v71, -v63, v70, v68
	v_fmac_f32_e32 v70, v71, v69
	v_fma_f32 v63, -v63, v70, v68
	v_div_fmas_f32 v63, v63, v69, v70
	v_div_fixup_f32 v68, v63, v64, v66
	v_fmac_f32_e32 v64, v66, v68
	v_div_scale_f32 v63, s[12:13], v64, v64, 1.0
	v_div_scale_f32 v66, vcc, 1.0, v64, 1.0
	v_rcp_f32_e32 v69, v63
	v_fma_f32 v70, -v63, v69, 1.0
	v_fmac_f32_e32 v69, v70, v69
	v_mul_f32_e32 v70, v66, v69
	v_fma_f32 v71, -v63, v70, v66
	v_fmac_f32_e32 v70, v71, v69
	v_fma_f32 v63, -v63, v70, v66
	v_div_fmas_f32 v63, v63, v69, v70
	v_div_fixup_f32 v69, v63, v64, 1.0
	v_xor_b32_e32 v63, 0x80000000, v69
	v_mul_f32_e64 v68, v68, -v69
.LBB30_17:
	s_or_b64 exec, exec, s[8:9]
	buffer_store_dword v69, v67, s[0:3], 0 offen
	buffer_store_dword v68, v67, s[0:3], 0 offen offset:4
	buffer_load_dword v70, off, s[0:3], 0 offset:12
	s_nop 0
	buffer_load_dword v69, off, s[0:3], 0 offset:8
	v_xor_b32_e32 v64, 0x80000000, v68
	v_add_u32_e32 v66, 0x100, v65
	s_waitcnt vmcnt(0)
	ds_write2_b64 v65, v[63:64], v[69:70] offset1:32
	s_waitcnt lgkmcnt(0)
	; wave barrier
	s_and_saveexec_b64 s[8:9], s[4:5]
	s_cbranch_execz .LBB30_19
; %bb.18:
	buffer_load_dword v70, v67, s[0:3], 0 offen offset:4
	buffer_load_dword v71, v67, s[0:3], 0 offen
	ds_read_b64 v[63:64], v66
	v_mov_b32_e32 v68, 0
	ds_read_b64 v[68:69], v68 offset:8
	s_waitcnt vmcnt(1) lgkmcnt(1)
	v_mul_f32_e32 v72, v64, v70
	v_mul_f32_e32 v70, v63, v70
	s_waitcnt vmcnt(0)
	v_fmac_f32_e32 v70, v64, v71
	v_fma_f32 v63, v63, v71, -v72
	v_add_f32_e32 v64, 0, v70
	v_add_f32_e32 v63, 0, v63
	s_waitcnt lgkmcnt(0)
	v_mul_f32_e32 v70, v64, v69
	v_mul_f32_e32 v69, v63, v69
	v_fma_f32 v63, v63, v68, -v70
	v_fmac_f32_e32 v69, v64, v68
	buffer_store_dword v63, off, s[0:3], 0 offset:8
	buffer_store_dword v69, off, s[0:3], 0 offset:12
.LBB30_19:
	s_or_b64 exec, exec, s[8:9]
	; wave barrier
	buffer_load_dword v63, off, s[0:3], 0 offset:16
	buffer_load_dword v64, off, s[0:3], 0 offset:20
	v_cmp_gt_u32_e32 vcc, 2, v0
	s_waitcnt vmcnt(0)
	ds_write_b64 v66, v[63:64]
	s_waitcnt lgkmcnt(0)
	; wave barrier
	s_and_saveexec_b64 s[8:9], vcc
	s_cbranch_execz .LBB30_23
; %bb.20:
	buffer_load_dword v68, v67, s[0:3], 0 offen offset:4
	buffer_load_dword v69, v67, s[0:3], 0 offen
	ds_read_b64 v[63:64], v66
	s_waitcnt vmcnt(1) lgkmcnt(0)
	v_mul_f32_e32 v67, v64, v68
	v_mul_f32_e32 v68, v63, v68
	s_waitcnt vmcnt(0)
	v_fma_f32 v63, v63, v69, -v67
	v_fmac_f32_e32 v68, v64, v69
	v_add_f32_e32 v64, 0, v63
	v_add_f32_e32 v63, 0, v68
	s_and_saveexec_b64 s[12:13], s[4:5]
	s_cbranch_execz .LBB30_22
; %bb.21:
	buffer_load_dword v69, off, s[0:3], 0 offset:12
	buffer_load_dword v70, off, s[0:3], 0 offset:8
	v_mov_b32_e32 v67, 0
	ds_read_b64 v[67:68], v67 offset:264
	s_waitcnt vmcnt(1) lgkmcnt(0)
	v_mul_f32_e32 v71, v67, v69
	v_mul_f32_e32 v69, v68, v69
	s_waitcnt vmcnt(0)
	v_fmac_f32_e32 v71, v68, v70
	v_fma_f32 v67, v67, v70, -v69
	v_add_f32_e32 v63, v63, v71
	v_add_f32_e32 v64, v64, v67
.LBB30_22:
	s_or_b64 exec, exec, s[12:13]
	v_mov_b32_e32 v67, 0
	ds_read_b64 v[67:68], v67 offset:16
	s_waitcnt lgkmcnt(0)
	v_mul_f32_e32 v69, v63, v68
	v_mul_f32_e32 v68, v64, v68
	v_fma_f32 v64, v64, v67, -v69
	v_fmac_f32_e32 v68, v63, v67
	buffer_store_dword v64, off, s[0:3], 0 offset:16
	buffer_store_dword v68, off, s[0:3], 0 offset:20
.LBB30_23:
	s_or_b64 exec, exec, s[8:9]
	; wave barrier
	buffer_load_dword v63, off, s[0:3], 0 offset:24
	buffer_load_dword v64, off, s[0:3], 0 offset:28
	v_cmp_gt_u32_e32 vcc, 3, v0
	s_waitcnt vmcnt(0)
	ds_write_b64 v66, v[63:64]
	v_add_u32_e32 v63, -1, v0
	s_waitcnt lgkmcnt(0)
	; wave barrier
	s_and_saveexec_b64 s[4:5], vcc
	s_cbranch_execz .LBB30_27
; %bb.24:
	v_add_u32_e32 v67, -1, v0
	v_add_u32_e32 v68, 0x100, v65
	v_mov_b32_e32 v69, v65
	v_mov_b32_e32 v64, 0
	s_mov_b64 s[8:9], 0
	v_mov_b32_e32 v70, 0
.LBB30_25:                              ; =>This Inner Loop Header: Depth=1
	buffer_load_dword v73, v69, s[0:3], 0 offen offset:4
	buffer_load_dword v74, v69, s[0:3], 0 offen
	ds_read_b64 v[71:72], v68
	v_add_u32_e32 v67, 1, v67
	v_cmp_lt_u32_e32 vcc, 1, v67
	v_add_u32_e32 v68, 8, v68
	v_add_u32_e32 v69, 8, v69
	s_or_b64 s[8:9], vcc, s[8:9]
	s_waitcnt vmcnt(1) lgkmcnt(0)
	v_mul_f32_e32 v75, v72, v73
	v_mul_f32_e32 v73, v71, v73
	s_waitcnt vmcnt(0)
	v_fma_f32 v71, v71, v74, -v75
	v_fmac_f32_e32 v73, v72, v74
	v_add_f32_e32 v70, v70, v71
	v_add_f32_e32 v64, v64, v73
	s_andn2_b64 exec, exec, s[8:9]
	s_cbranch_execnz .LBB30_25
; %bb.26:
	s_or_b64 exec, exec, s[8:9]
	v_mov_b32_e32 v67, 0
	ds_read_b64 v[67:68], v67 offset:24
	s_waitcnt lgkmcnt(0)
	v_mul_f32_e32 v69, v64, v68
	v_mul_f32_e32 v68, v70, v68
	v_fma_f32 v69, v70, v67, -v69
	v_fmac_f32_e32 v68, v64, v67
	buffer_store_dword v69, off, s[0:3], 0 offset:24
	buffer_store_dword v68, off, s[0:3], 0 offset:28
.LBB30_27:
	s_or_b64 exec, exec, s[4:5]
	; wave barrier
	buffer_load_dword v67, off, s[0:3], 0 offset:32
	buffer_load_dword v68, off, s[0:3], 0 offset:36
	v_cmp_gt_u32_e32 vcc, 4, v0
	s_waitcnt vmcnt(0)
	ds_write_b64 v66, v[67:68]
	s_waitcnt lgkmcnt(0)
	; wave barrier
	s_and_saveexec_b64 s[4:5], vcc
	s_cbranch_execz .LBB30_31
; %bb.28:
	v_add_u32_e32 v67, -1, v0
	v_add_u32_e32 v68, 0x100, v65
	v_mov_b32_e32 v69, v65
	v_mov_b32_e32 v64, 0
	s_mov_b64 s[8:9], 0
	v_mov_b32_e32 v70, 0
.LBB30_29:                              ; =>This Inner Loop Header: Depth=1
	buffer_load_dword v73, v69, s[0:3], 0 offen offset:4
	buffer_load_dword v74, v69, s[0:3], 0 offen
	ds_read_b64 v[71:72], v68
	v_add_u32_e32 v67, 1, v67
	v_cmp_lt_u32_e32 vcc, 2, v67
	v_add_u32_e32 v68, 8, v68
	v_add_u32_e32 v69, 8, v69
	s_or_b64 s[8:9], vcc, s[8:9]
	s_waitcnt vmcnt(1) lgkmcnt(0)
	v_mul_f32_e32 v75, v72, v73
	v_mul_f32_e32 v73, v71, v73
	s_waitcnt vmcnt(0)
	v_fma_f32 v71, v71, v74, -v75
	v_fmac_f32_e32 v73, v72, v74
	v_add_f32_e32 v70, v70, v71
	v_add_f32_e32 v64, v64, v73
	s_andn2_b64 exec, exec, s[8:9]
	s_cbranch_execnz .LBB30_29
; %bb.30:
	s_or_b64 exec, exec, s[8:9]
	v_mov_b32_e32 v67, 0
	ds_read_b64 v[67:68], v67 offset:32
	s_waitcnt lgkmcnt(0)
	v_mul_f32_e32 v69, v64, v68
	v_mul_f32_e32 v68, v70, v68
	v_fma_f32 v69, v70, v67, -v69
	v_fmac_f32_e32 v68, v64, v67
	buffer_store_dword v69, off, s[0:3], 0 offset:32
	buffer_store_dword v68, off, s[0:3], 0 offset:36
.LBB30_31:
	s_or_b64 exec, exec, s[4:5]
	; wave barrier
	buffer_load_dword v67, off, s[0:3], 0 offset:40
	buffer_load_dword v68, off, s[0:3], 0 offset:44
	v_cmp_gt_u32_e32 vcc, 5, v0
	s_waitcnt vmcnt(0)
	ds_write_b64 v66, v[67:68]
	;; [unrolled: 49-line block ×19, first 2 shown]
	s_waitcnt lgkmcnt(0)
	; wave barrier
	s_and_saveexec_b64 s[4:5], vcc
	s_cbranch_execz .LBB30_103
; %bb.100:
	v_add_u32_e32 v67, -1, v0
	v_add_u32_e32 v68, 0x100, v65
	v_mov_b32_e32 v69, v65
	v_mov_b32_e32 v64, 0
	s_mov_b64 s[8:9], 0
	v_mov_b32_e32 v70, 0
.LBB30_101:                             ; =>This Inner Loop Header: Depth=1
	buffer_load_dword v73, v69, s[0:3], 0 offen offset:4
	buffer_load_dword v74, v69, s[0:3], 0 offen
	ds_read_b64 v[71:72], v68
	v_add_u32_e32 v67, 1, v67
	v_cmp_lt_u32_e32 vcc, 20, v67
	v_add_u32_e32 v68, 8, v68
	v_add_u32_e32 v69, 8, v69
	s_or_b64 s[8:9], vcc, s[8:9]
	s_waitcnt vmcnt(1) lgkmcnt(0)
	v_mul_f32_e32 v75, v72, v73
	v_mul_f32_e32 v73, v71, v73
	s_waitcnt vmcnt(0)
	v_fma_f32 v71, v71, v74, -v75
	v_fmac_f32_e32 v73, v72, v74
	v_add_f32_e32 v70, v70, v71
	v_add_f32_e32 v64, v64, v73
	s_andn2_b64 exec, exec, s[8:9]
	s_cbranch_execnz .LBB30_101
; %bb.102:
	s_or_b64 exec, exec, s[8:9]
	v_mov_b32_e32 v67, 0
	ds_read_b64 v[67:68], v67 offset:176
	s_waitcnt lgkmcnt(0)
	v_mul_f32_e32 v69, v64, v68
	v_mul_f32_e32 v68, v70, v68
	v_fma_f32 v69, v70, v67, -v69
	v_fmac_f32_e32 v68, v64, v67
	buffer_store_dword v69, off, s[0:3], 0 offset:176
	buffer_store_dword v68, off, s[0:3], 0 offset:180
.LBB30_103:
	s_or_b64 exec, exec, s[4:5]
	; wave barrier
	buffer_load_dword v67, off, s[0:3], 0 offset:184
	buffer_load_dword v68, off, s[0:3], 0 offset:188
	v_cmp_gt_u32_e32 vcc, 23, v0
	s_waitcnt vmcnt(0)
	ds_write_b64 v66, v[67:68]
	s_waitcnt lgkmcnt(0)
	; wave barrier
	s_and_saveexec_b64 s[4:5], vcc
	s_cbranch_execz .LBB30_107
; %bb.104:
	v_add_u32_e32 v67, -1, v0
	v_add_u32_e32 v68, 0x100, v65
	v_mov_b32_e32 v69, v65
	v_mov_b32_e32 v64, 0
	s_mov_b64 s[8:9], 0
	v_mov_b32_e32 v70, 0
.LBB30_105:                             ; =>This Inner Loop Header: Depth=1
	buffer_load_dword v73, v69, s[0:3], 0 offen offset:4
	buffer_load_dword v74, v69, s[0:3], 0 offen
	ds_read_b64 v[71:72], v68
	v_add_u32_e32 v67, 1, v67
	v_cmp_lt_u32_e32 vcc, 21, v67
	v_add_u32_e32 v68, 8, v68
	v_add_u32_e32 v69, 8, v69
	s_or_b64 s[8:9], vcc, s[8:9]
	s_waitcnt vmcnt(1) lgkmcnt(0)
	v_mul_f32_e32 v75, v72, v73
	v_mul_f32_e32 v73, v71, v73
	s_waitcnt vmcnt(0)
	v_fma_f32 v71, v71, v74, -v75
	v_fmac_f32_e32 v73, v72, v74
	v_add_f32_e32 v70, v70, v71
	v_add_f32_e32 v64, v64, v73
	s_andn2_b64 exec, exec, s[8:9]
	s_cbranch_execnz .LBB30_105
; %bb.106:
	s_or_b64 exec, exec, s[8:9]
	v_mov_b32_e32 v67, 0
	ds_read_b64 v[67:68], v67 offset:184
	s_waitcnt lgkmcnt(0)
	v_mul_f32_e32 v69, v64, v68
	v_mul_f32_e32 v68, v70, v68
	v_fma_f32 v69, v70, v67, -v69
	v_fmac_f32_e32 v68, v64, v67
	buffer_store_dword v69, off, s[0:3], 0 offset:184
	buffer_store_dword v68, off, s[0:3], 0 offset:188
.LBB30_107:
	s_or_b64 exec, exec, s[4:5]
	; wave barrier
	buffer_load_dword v67, off, s[0:3], 0 offset:192
	buffer_load_dword v68, off, s[0:3], 0 offset:196
	v_cmp_gt_u32_e32 vcc, 24, v0
	s_waitcnt vmcnt(0)
	ds_write_b64 v66, v[67:68]
	;; [unrolled: 49-line block ×7, first 2 shown]
	s_waitcnt lgkmcnt(0)
	; wave barrier
	s_and_saveexec_b64 s[4:5], vcc
	s_cbranch_execz .LBB30_131
; %bb.128:
	v_add_u32_e32 v67, -1, v0
	v_add_u32_e32 v68, 0x100, v65
	v_mov_b32_e32 v69, v65
	v_mov_b32_e32 v64, 0
	s_mov_b64 s[8:9], 0
	v_mov_b32_e32 v70, 0
.LBB30_129:                             ; =>This Inner Loop Header: Depth=1
	buffer_load_dword v73, v69, s[0:3], 0 offen offset:4
	buffer_load_dword v74, v69, s[0:3], 0 offen
	ds_read_b64 v[71:72], v68
	v_add_u32_e32 v67, 1, v67
	v_cmp_lt_u32_e32 vcc, 27, v67
	v_add_u32_e32 v68, 8, v68
	v_add_u32_e32 v69, 8, v69
	s_or_b64 s[8:9], vcc, s[8:9]
	s_waitcnt vmcnt(1) lgkmcnt(0)
	v_mul_f32_e32 v75, v72, v73
	v_mul_f32_e32 v73, v71, v73
	s_waitcnt vmcnt(0)
	v_fma_f32 v71, v71, v74, -v75
	v_fmac_f32_e32 v73, v72, v74
	v_add_f32_e32 v70, v70, v71
	v_add_f32_e32 v64, v64, v73
	s_andn2_b64 exec, exec, s[8:9]
	s_cbranch_execnz .LBB30_129
; %bb.130:
	s_or_b64 exec, exec, s[8:9]
	v_mov_b32_e32 v67, 0
	ds_read_b64 v[67:68], v67 offset:232
	s_waitcnt lgkmcnt(0)
	v_mul_f32_e32 v69, v64, v68
	v_mul_f32_e32 v68, v70, v68
	v_fma_f32 v69, v70, v67, -v69
	v_fmac_f32_e32 v68, v64, v67
	buffer_store_dword v69, off, s[0:3], 0 offset:232
	buffer_store_dword v68, off, s[0:3], 0 offset:236
.LBB30_131:
	s_or_b64 exec, exec, s[4:5]
	; wave barrier
	buffer_load_dword v67, off, s[0:3], 0 offset:240
	buffer_load_dword v68, off, s[0:3], 0 offset:244
	v_cmp_ne_u32_e32 vcc, 30, v0
	s_waitcnt vmcnt(0)
	ds_write_b64 v66, v[67:68]
	s_waitcnt lgkmcnt(0)
	; wave barrier
	s_and_saveexec_b64 s[4:5], vcc
	s_cbranch_execz .LBB30_135
; %bb.132:
	v_add_u32_e32 v66, 0x100, v65
	v_mov_b32_e32 v64, 0
	s_mov_b64 s[8:9], 0
	v_mov_b32_e32 v67, 0
.LBB30_133:                             ; =>This Inner Loop Header: Depth=1
	buffer_load_dword v70, v65, s[0:3], 0 offen offset:4
	buffer_load_dword v71, v65, s[0:3], 0 offen
	ds_read_b64 v[68:69], v66
	v_add_u32_e32 v63, 1, v63
	v_cmp_lt_u32_e32 vcc, 28, v63
	v_add_u32_e32 v66, 8, v66
	v_add_u32_e32 v65, 8, v65
	s_or_b64 s[8:9], vcc, s[8:9]
	s_waitcnt vmcnt(1) lgkmcnt(0)
	v_mul_f32_e32 v72, v69, v70
	v_mul_f32_e32 v70, v68, v70
	s_waitcnt vmcnt(0)
	v_fma_f32 v68, v68, v71, -v72
	v_fmac_f32_e32 v70, v69, v71
	v_add_f32_e32 v67, v67, v68
	v_add_f32_e32 v64, v64, v70
	s_andn2_b64 exec, exec, s[8:9]
	s_cbranch_execnz .LBB30_133
; %bb.134:
	s_or_b64 exec, exec, s[8:9]
	v_mov_b32_e32 v63, 0
	ds_read_b64 v[65:66], v63 offset:240
	s_waitcnt lgkmcnt(0)
	v_mul_f32_e32 v63, v64, v66
	v_mul_f32_e32 v66, v67, v66
	v_fma_f32 v63, v67, v65, -v63
	v_fmac_f32_e32 v66, v64, v65
	buffer_store_dword v63, off, s[0:3], 0 offset:240
	buffer_store_dword v66, off, s[0:3], 0 offset:244
.LBB30_135:
	s_or_b64 exec, exec, s[4:5]
	s_mov_b64 s[8:9], -1
	; wave barrier
.LBB30_136:
	s_and_b64 vcc, exec, s[8:9]
	s_cbranch_vccz .LBB30_138
; %bb.137:
	s_lshl_b64 s[4:5], s[6:7], 2
	s_add_u32 s4, s10, s4
	s_addc_u32 s5, s11, s5
	v_mov_b32_e32 v63, 0
	global_load_dword v63, v63, s[4:5]
	s_waitcnt vmcnt(0)
	v_cmp_ne_u32_e32 vcc, 0, v63
	s_cbranch_vccz .LBB30_139
.LBB30_138:
	s_endpgm
.LBB30_139:
	v_mov_b32_e32 v63, 0x100
	v_lshl_add_u32 v63, v0, 3, v63
	v_cmp_eq_u32_e32 vcc, 30, v0
	s_and_saveexec_b64 s[4:5], vcc
	s_cbranch_execz .LBB30_141
; %bb.140:
	buffer_load_dword v64, off, s[0:3], 0 offset:232
	buffer_load_dword v65, off, s[0:3], 0 offset:236
	v_mov_b32_e32 v66, 0
	buffer_store_dword v66, off, s[0:3], 0 offset:232
	buffer_store_dword v66, off, s[0:3], 0 offset:236
	s_waitcnt vmcnt(2)
	ds_write_b64 v63, v[64:65]
.LBB30_141:
	s_or_b64 exec, exec, s[4:5]
	s_waitcnt lgkmcnt(0)
	; wave barrier
	buffer_load_dword v67, off, s[0:3], 0 offset:244
	buffer_load_dword v68, off, s[0:3], 0 offset:240
	;; [unrolled: 1-line block ×4, first 2 shown]
	v_mov_b32_e32 v64, 0
	ds_read_b64 v[65:66], v64 offset:496
	v_cmp_lt_u32_e32 vcc, 28, v0
	s_waitcnt vmcnt(3) lgkmcnt(0)
	v_mul_f32_e32 v71, v65, v67
	v_mul_f32_e32 v67, v66, v67
	s_waitcnt vmcnt(2)
	v_fma_f32 v65, v65, v68, -v67
	v_fmac_f32_e32 v71, v66, v68
	v_add_f32_e32 v65, 0, v65
	v_add_f32_e32 v66, 0, v71
	s_waitcnt vmcnt(1)
	v_sub_f32_e32 v65, v69, v65
	s_waitcnt vmcnt(0)
	v_sub_f32_e32 v66, v70, v66
	buffer_store_dword v65, off, s[0:3], 0 offset:232
	buffer_store_dword v66, off, s[0:3], 0 offset:236
	s_and_saveexec_b64 s[4:5], vcc
	s_cbranch_execz .LBB30_143
; %bb.142:
	buffer_load_dword v65, off, s[0:3], 0 offset:224
	buffer_load_dword v66, off, s[0:3], 0 offset:228
	s_waitcnt vmcnt(0)
	ds_write_b64 v63, v[65:66]
	buffer_store_dword v64, off, s[0:3], 0 offset:224
	buffer_store_dword v64, off, s[0:3], 0 offset:228
.LBB30_143:
	s_or_b64 exec, exec, s[4:5]
	s_waitcnt lgkmcnt(0)
	; wave barrier
	buffer_load_dword v68, off, s[0:3], 0 offset:236
	buffer_load_dword v69, off, s[0:3], 0 offset:244
	;; [unrolled: 1-line block ×6, first 2 shown]
	ds_read2_b64 v[64:67], v64 offset0:61 offset1:62
	v_cmp_lt_u32_e32 vcc, 27, v0
	s_waitcnt vmcnt(5) lgkmcnt(0)
	v_mul_f32_e32 v74, v64, v68
	v_mul_f32_e32 v68, v65, v68
	s_waitcnt vmcnt(4)
	v_mul_f32_e32 v75, v66, v69
	v_mul_f32_e32 v69, v67, v69
	s_waitcnt vmcnt(3)
	v_fma_f32 v64, v64, v70, -v68
	v_fmac_f32_e32 v74, v65, v70
	s_waitcnt vmcnt(2)
	v_fma_f32 v65, v66, v71, -v69
	v_add_f32_e32 v64, 0, v64
	v_fmac_f32_e32 v75, v67, v71
	v_add_f32_e32 v66, 0, v74
	v_add_f32_e32 v64, v64, v65
	;; [unrolled: 1-line block ×3, first 2 shown]
	s_waitcnt vmcnt(1)
	v_sub_f32_e32 v64, v72, v64
	s_waitcnt vmcnt(0)
	v_sub_f32_e32 v65, v73, v66
	buffer_store_dword v64, off, s[0:3], 0 offset:224
	buffer_store_dword v65, off, s[0:3], 0 offset:228
	s_and_saveexec_b64 s[4:5], vcc
	s_cbranch_execz .LBB30_145
; %bb.144:
	buffer_load_dword v64, off, s[0:3], 0 offset:216
	buffer_load_dword v65, off, s[0:3], 0 offset:220
	v_mov_b32_e32 v66, 0
	buffer_store_dword v66, off, s[0:3], 0 offset:216
	buffer_store_dword v66, off, s[0:3], 0 offset:220
	s_waitcnt vmcnt(2)
	ds_write_b64 v63, v[64:65]
.LBB30_145:
	s_or_b64 exec, exec, s[4:5]
	s_waitcnt lgkmcnt(0)
	; wave barrier
	buffer_load_dword v71, off, s[0:3], 0 offset:228
	buffer_load_dword v72, off, s[0:3], 0 offset:236
	;; [unrolled: 1-line block ×8, first 2 shown]
	v_mov_b32_e32 v64, 0
	ds_read_b128 v[65:68], v64 offset:480
	ds_read_b64 v[69:70], v64 offset:496
	v_cmp_lt_u32_e32 vcc, 26, v0
	s_waitcnt vmcnt(7) lgkmcnt(1)
	v_mul_f32_e32 v79, v65, v71
	v_mul_f32_e32 v71, v66, v71
	s_waitcnt vmcnt(6)
	v_mul_f32_e32 v80, v67, v72
	v_mul_f32_e32 v72, v68, v72
	s_waitcnt vmcnt(4)
	v_fma_f32 v65, v65, v74, -v71
	s_waitcnt lgkmcnt(0)
	v_mul_f32_e32 v81, v69, v73
	v_mul_f32_e32 v73, v70, v73
	v_fmac_f32_e32 v79, v66, v74
	s_waitcnt vmcnt(3)
	v_fma_f32 v66, v67, v75, -v72
	v_add_f32_e32 v65, 0, v65
	v_fmac_f32_e32 v80, v68, v75
	s_waitcnt vmcnt(2)
	v_fma_f32 v67, v69, v76, -v73
	v_add_f32_e32 v68, 0, v79
	v_add_f32_e32 v65, v65, v66
	v_fmac_f32_e32 v81, v70, v76
	v_add_f32_e32 v68, v68, v80
	v_add_f32_e32 v65, v65, v67
	;; [unrolled: 1-line block ×3, first 2 shown]
	s_waitcnt vmcnt(1)
	v_sub_f32_e32 v65, v77, v65
	s_waitcnt vmcnt(0)
	v_sub_f32_e32 v66, v78, v66
	buffer_store_dword v65, off, s[0:3], 0 offset:216
	buffer_store_dword v66, off, s[0:3], 0 offset:220
	s_and_saveexec_b64 s[4:5], vcc
	s_cbranch_execz .LBB30_147
; %bb.146:
	buffer_load_dword v65, off, s[0:3], 0 offset:208
	buffer_load_dword v66, off, s[0:3], 0 offset:212
	s_waitcnt vmcnt(0)
	ds_write_b64 v63, v[65:66]
	buffer_store_dword v64, off, s[0:3], 0 offset:208
	buffer_store_dword v64, off, s[0:3], 0 offset:212
.LBB30_147:
	s_or_b64 exec, exec, s[4:5]
	s_waitcnt lgkmcnt(0)
	; wave barrier
	buffer_load_dword v73, off, s[0:3], 0 offset:220
	buffer_load_dword v74, off, s[0:3], 0 offset:228
	buffer_load_dword v75, off, s[0:3], 0 offset:236
	buffer_load_dword v76, off, s[0:3], 0 offset:244
	buffer_load_dword v77, off, s[0:3], 0 offset:216
	buffer_load_dword v78, off, s[0:3], 0 offset:224
	buffer_load_dword v79, off, s[0:3], 0 offset:232
	buffer_load_dword v80, off, s[0:3], 0 offset:240
	buffer_load_dword v81, off, s[0:3], 0 offset:208
	buffer_load_dword v82, off, s[0:3], 0 offset:212
	ds_read2_b64 v[65:68], v64 offset0:59 offset1:60
	ds_read2_b64 v[69:72], v64 offset0:61 offset1:62
	v_cmp_lt_u32_e32 vcc, 25, v0
	s_waitcnt vmcnt(9) lgkmcnt(1)
	v_mul_f32_e32 v64, v65, v73
	v_mul_f32_e32 v73, v66, v73
	s_waitcnt vmcnt(8)
	v_mul_f32_e32 v83, v67, v74
	v_mul_f32_e32 v74, v68, v74
	s_waitcnt vmcnt(5)
	v_fma_f32 v65, v65, v77, -v73
	s_waitcnt lgkmcnt(0)
	v_mul_f32_e32 v84, v69, v75
	v_mul_f32_e32 v75, v70, v75
	v_fmac_f32_e32 v64, v66, v77
	s_waitcnt vmcnt(4)
	v_fma_f32 v66, v67, v78, -v74
	v_add_f32_e32 v65, 0, v65
	v_mul_f32_e32 v85, v71, v76
	v_mul_f32_e32 v76, v72, v76
	v_fmac_f32_e32 v83, v68, v78
	s_waitcnt vmcnt(3)
	v_fma_f32 v67, v69, v79, -v75
	v_add_f32_e32 v64, 0, v64
	v_add_f32_e32 v65, v65, v66
	v_fmac_f32_e32 v84, v70, v79
	s_waitcnt vmcnt(2)
	v_fma_f32 v68, v71, v80, -v76
	v_add_f32_e32 v64, v64, v83
	v_add_f32_e32 v65, v65, v67
	v_fmac_f32_e32 v85, v72, v80
	v_add_f32_e32 v64, v64, v84
	v_add_f32_e32 v65, v65, v68
	;; [unrolled: 1-line block ×3, first 2 shown]
	s_waitcnt vmcnt(1)
	v_sub_f32_e32 v65, v81, v65
	s_waitcnt vmcnt(0)
	v_sub_f32_e32 v64, v82, v64
	buffer_store_dword v65, off, s[0:3], 0 offset:208
	buffer_store_dword v64, off, s[0:3], 0 offset:212
	s_and_saveexec_b64 s[4:5], vcc
	s_cbranch_execz .LBB30_149
; %bb.148:
	buffer_load_dword v64, off, s[0:3], 0 offset:200
	buffer_load_dword v65, off, s[0:3], 0 offset:204
	v_mov_b32_e32 v66, 0
	buffer_store_dword v66, off, s[0:3], 0 offset:200
	buffer_store_dword v66, off, s[0:3], 0 offset:204
	s_waitcnt vmcnt(2)
	ds_write_b64 v63, v[64:65]
.LBB30_149:
	s_or_b64 exec, exec, s[4:5]
	s_waitcnt lgkmcnt(0)
	; wave barrier
	buffer_load_dword v75, off, s[0:3], 0 offset:212
	buffer_load_dword v76, off, s[0:3], 0 offset:220
	;; [unrolled: 1-line block ×12, first 2 shown]
	v_mov_b32_e32 v64, 0
	ds_read_b128 v[65:68], v64 offset:464
	ds_read_b128 v[69:72], v64 offset:480
	ds_read_b64 v[73:74], v64 offset:496
	v_cmp_lt_u32_e32 vcc, 24, v0
	s_waitcnt vmcnt(11) lgkmcnt(2)
	v_mul_f32_e32 v87, v65, v75
	v_mul_f32_e32 v75, v66, v75
	s_waitcnt vmcnt(10)
	v_mul_f32_e32 v88, v67, v76
	v_mul_f32_e32 v76, v68, v76
	s_waitcnt vmcnt(9) lgkmcnt(1)
	v_mul_f32_e32 v89, v69, v77
	s_waitcnt vmcnt(6)
	v_fma_f32 v65, v65, v80, -v75
	v_mul_f32_e32 v77, v70, v77
	v_fmac_f32_e32 v87, v66, v80
	s_waitcnt vmcnt(5)
	v_fma_f32 v66, v67, v81, -v76
	v_add_f32_e32 v65, 0, v65
	v_mul_f32_e32 v90, v71, v78
	v_mul_f32_e32 v78, v72, v78
	v_fmac_f32_e32 v88, v68, v81
	s_waitcnt vmcnt(4)
	v_fmac_f32_e32 v89, v70, v82
	v_fma_f32 v67, v69, v82, -v77
	v_add_f32_e32 v70, 0, v87
	v_add_f32_e32 v65, v65, v66
	s_waitcnt lgkmcnt(0)
	v_mul_f32_e32 v91, v73, v79
	v_mul_f32_e32 v79, v74, v79
	s_waitcnt vmcnt(3)
	v_fma_f32 v68, v71, v83, -v78
	v_add_f32_e32 v70, v70, v88
	v_add_f32_e32 v65, v65, v67
	v_fmac_f32_e32 v90, v72, v83
	s_waitcnt vmcnt(2)
	v_fma_f32 v69, v73, v84, -v79
	v_add_f32_e32 v66, v70, v89
	v_add_f32_e32 v65, v65, v68
	v_fmac_f32_e32 v91, v74, v84
	v_add_f32_e32 v66, v66, v90
	v_add_f32_e32 v65, v65, v69
	;; [unrolled: 1-line block ×3, first 2 shown]
	s_waitcnt vmcnt(1)
	v_sub_f32_e32 v65, v85, v65
	s_waitcnt vmcnt(0)
	v_sub_f32_e32 v66, v86, v66
	buffer_store_dword v65, off, s[0:3], 0 offset:200
	buffer_store_dword v66, off, s[0:3], 0 offset:204
	s_and_saveexec_b64 s[4:5], vcc
	s_cbranch_execz .LBB30_151
; %bb.150:
	buffer_load_dword v65, off, s[0:3], 0 offset:192
	buffer_load_dword v66, off, s[0:3], 0 offset:196
	s_waitcnt vmcnt(0)
	ds_write_b64 v63, v[65:66]
	buffer_store_dword v64, off, s[0:3], 0 offset:192
	buffer_store_dword v64, off, s[0:3], 0 offset:196
.LBB30_151:
	s_or_b64 exec, exec, s[4:5]
	s_waitcnt lgkmcnt(0)
	; wave barrier
	buffer_load_dword v77, off, s[0:3], 0 offset:204
	buffer_load_dword v78, off, s[0:3], 0 offset:212
	;; [unrolled: 1-line block ×14, first 2 shown]
	ds_read2_b64 v[65:68], v64 offset0:57 offset1:58
	ds_read2_b64 v[69:72], v64 offset0:59 offset1:60
	ds_read2_b64 v[73:76], v64 offset0:61 offset1:62
	v_cmp_lt_u32_e32 vcc, 23, v0
	s_waitcnt vmcnt(13) lgkmcnt(2)
	v_mul_f32_e32 v64, v65, v77
	v_mul_f32_e32 v77, v66, v77
	s_waitcnt vmcnt(12)
	v_mul_f32_e32 v91, v67, v78
	v_mul_f32_e32 v78, v68, v78
	s_waitcnt vmcnt(11) lgkmcnt(1)
	v_mul_f32_e32 v92, v69, v79
	v_mul_f32_e32 v79, v70, v79
	s_waitcnt vmcnt(7)
	v_fma_f32 v65, v65, v83, -v77
	v_fmac_f32_e32 v64, v66, v83
	s_waitcnt vmcnt(6)
	v_fma_f32 v66, v67, v84, -v78
	v_add_f32_e32 v65, 0, v65
	v_mul_f32_e32 v93, v71, v80
	v_mul_f32_e32 v80, v72, v80
	v_fmac_f32_e32 v91, v68, v84
	s_waitcnt vmcnt(5)
	v_fma_f32 v67, v69, v85, -v79
	v_add_f32_e32 v64, 0, v64
	v_add_f32_e32 v65, v65, v66
	s_waitcnt lgkmcnt(0)
	v_mul_f32_e32 v94, v73, v81
	v_mul_f32_e32 v81, v74, v81
	v_fmac_f32_e32 v92, v70, v85
	s_waitcnt vmcnt(4)
	v_fma_f32 v68, v71, v86, -v80
	v_add_f32_e32 v64, v64, v91
	v_add_f32_e32 v65, v65, v67
	v_mul_f32_e32 v95, v75, v82
	v_mul_f32_e32 v82, v76, v82
	v_fmac_f32_e32 v93, v72, v86
	s_waitcnt vmcnt(3)
	v_fma_f32 v69, v73, v87, -v81
	v_add_f32_e32 v64, v64, v92
	v_add_f32_e32 v65, v65, v68
	v_fmac_f32_e32 v94, v74, v87
	s_waitcnt vmcnt(2)
	v_fma_f32 v70, v75, v88, -v82
	v_add_f32_e32 v64, v64, v93
	v_add_f32_e32 v65, v65, v69
	v_fmac_f32_e32 v95, v76, v88
	v_add_f32_e32 v64, v64, v94
	v_add_f32_e32 v65, v65, v70
	;; [unrolled: 1-line block ×3, first 2 shown]
	s_waitcnt vmcnt(1)
	v_sub_f32_e32 v65, v89, v65
	s_waitcnt vmcnt(0)
	v_sub_f32_e32 v64, v90, v64
	buffer_store_dword v65, off, s[0:3], 0 offset:192
	buffer_store_dword v64, off, s[0:3], 0 offset:196
	s_and_saveexec_b64 s[4:5], vcc
	s_cbranch_execz .LBB30_153
; %bb.152:
	buffer_load_dword v64, off, s[0:3], 0 offset:184
	buffer_load_dword v65, off, s[0:3], 0 offset:188
	v_mov_b32_e32 v66, 0
	buffer_store_dword v66, off, s[0:3], 0 offset:184
	buffer_store_dword v66, off, s[0:3], 0 offset:188
	s_waitcnt vmcnt(2)
	ds_write_b64 v63, v[64:65]
.LBB30_153:
	s_or_b64 exec, exec, s[4:5]
	s_waitcnt lgkmcnt(0)
	; wave barrier
	buffer_load_dword v79, off, s[0:3], 0 offset:196
	buffer_load_dword v80, off, s[0:3], 0 offset:204
	;; [unrolled: 1-line block ×16, first 2 shown]
	v_mov_b32_e32 v64, 0
	ds_read_b128 v[65:68], v64 offset:448
	ds_read_b128 v[69:72], v64 offset:464
	;; [unrolled: 1-line block ×3, first 2 shown]
	ds_read_b64 v[77:78], v64 offset:496
	v_cmp_lt_u32_e32 vcc, 22, v0
	s_waitcnt vmcnt(15) lgkmcnt(3)
	v_mul_f32_e32 v95, v65, v79
	v_mul_f32_e32 v79, v66, v79
	s_waitcnt vmcnt(14)
	v_mul_f32_e32 v96, v67, v80
	v_mul_f32_e32 v80, v68, v80
	s_waitcnt vmcnt(13) lgkmcnt(2)
	v_mul_f32_e32 v97, v69, v81
	s_waitcnt vmcnt(12)
	v_mul_f32_e32 v98, v71, v82
	v_mul_f32_e32 v81, v70, v81
	s_waitcnt vmcnt(8)
	v_fma_f32 v65, v65, v86, -v79
	v_fmac_f32_e32 v95, v66, v86
	s_waitcnt vmcnt(7)
	v_fma_f32 v66, v67, v87, -v80
	v_add_f32_e32 v65, 0, v65
	v_mul_f32_e32 v82, v72, v82
	v_fmac_f32_e32 v96, v68, v87
	s_waitcnt vmcnt(5)
	v_fmac_f32_e32 v98, v72, v89
	v_fma_f32 v67, v69, v88, -v81
	v_add_f32_e32 v72, 0, v95
	v_add_f32_e32 v65, v65, v66
	s_waitcnt lgkmcnt(1)
	v_mul_f32_e32 v99, v73, v83
	v_mul_f32_e32 v83, v74, v83
	v_fmac_f32_e32 v97, v70, v88
	v_fma_f32 v68, v71, v89, -v82
	v_add_f32_e32 v72, v72, v96
	v_add_f32_e32 v65, v65, v67
	v_mul_f32_e32 v100, v75, v84
	v_mul_f32_e32 v84, v76, v84
	s_waitcnt vmcnt(4)
	v_fma_f32 v69, v73, v90, -v83
	v_add_f32_e32 v66, v72, v97
	v_add_f32_e32 v65, v65, v68
	s_waitcnt lgkmcnt(0)
	v_mul_f32_e32 v101, v77, v85
	v_mul_f32_e32 v85, v78, v85
	v_fmac_f32_e32 v99, v74, v90
	s_waitcnt vmcnt(3)
	v_fma_f32 v70, v75, v91, -v84
	v_add_f32_e32 v66, v66, v98
	v_add_f32_e32 v65, v65, v69
	v_fmac_f32_e32 v100, v76, v91
	s_waitcnt vmcnt(2)
	v_fma_f32 v71, v77, v92, -v85
	v_add_f32_e32 v66, v66, v99
	v_add_f32_e32 v65, v65, v70
	v_fmac_f32_e32 v101, v78, v92
	v_add_f32_e32 v66, v66, v100
	v_add_f32_e32 v65, v65, v71
	;; [unrolled: 1-line block ×3, first 2 shown]
	s_waitcnt vmcnt(1)
	v_sub_f32_e32 v65, v93, v65
	s_waitcnt vmcnt(0)
	v_sub_f32_e32 v66, v94, v66
	buffer_store_dword v65, off, s[0:3], 0 offset:184
	buffer_store_dword v66, off, s[0:3], 0 offset:188
	s_and_saveexec_b64 s[4:5], vcc
	s_cbranch_execz .LBB30_155
; %bb.154:
	buffer_load_dword v65, off, s[0:3], 0 offset:176
	buffer_load_dword v66, off, s[0:3], 0 offset:180
	s_waitcnt vmcnt(0)
	ds_write_b64 v63, v[65:66]
	buffer_store_dword v64, off, s[0:3], 0 offset:176
	buffer_store_dword v64, off, s[0:3], 0 offset:180
.LBB30_155:
	s_or_b64 exec, exec, s[4:5]
	s_waitcnt lgkmcnt(0)
	; wave barrier
	buffer_load_dword v81, off, s[0:3], 0 offset:188
	buffer_load_dword v82, off, s[0:3], 0 offset:196
	;; [unrolled: 1-line block ×18, first 2 shown]
	ds_read2_b64 v[65:68], v64 offset0:55 offset1:56
	ds_read2_b64 v[69:72], v64 offset0:57 offset1:58
	;; [unrolled: 1-line block ×4, first 2 shown]
	v_cmp_lt_u32_e32 vcc, 21, v0
	s_waitcnt vmcnt(17) lgkmcnt(3)
	v_mul_f32_e32 v64, v65, v81
	v_mul_f32_e32 v81, v66, v81
	s_waitcnt vmcnt(16)
	v_mul_f32_e32 v99, v67, v82
	v_mul_f32_e32 v82, v68, v82
	s_waitcnt vmcnt(15) lgkmcnt(2)
	v_mul_f32_e32 v100, v69, v83
	v_mul_f32_e32 v83, v70, v83
	s_waitcnt vmcnt(14)
	v_mul_f32_e32 v101, v71, v84
	v_mul_f32_e32 v84, v72, v84
	s_waitcnt vmcnt(9)
	v_fma_f32 v65, v65, v89, -v81
	v_fmac_f32_e32 v64, v66, v89
	s_waitcnt vmcnt(8)
	v_fma_f32 v66, v67, v90, -v82
	v_add_f32_e32 v65, 0, v65
	v_fmac_f32_e32 v99, v68, v90
	s_waitcnt vmcnt(7)
	v_fma_f32 v67, v69, v91, -v83
	v_add_f32_e32 v64, 0, v64
	v_add_f32_e32 v65, v65, v66
	s_waitcnt lgkmcnt(1)
	v_mul_f32_e32 v102, v73, v85
	v_mul_f32_e32 v85, v74, v85
	v_fmac_f32_e32 v100, v70, v91
	s_waitcnt vmcnt(6)
	v_fma_f32 v68, v71, v92, -v84
	v_add_f32_e32 v64, v64, v99
	v_add_f32_e32 v65, v65, v67
	v_mul_f32_e32 v103, v75, v86
	v_mul_f32_e32 v86, v76, v86
	v_fmac_f32_e32 v101, v72, v92
	s_waitcnt vmcnt(5)
	v_fma_f32 v69, v73, v93, -v85
	v_add_f32_e32 v64, v64, v100
	v_add_f32_e32 v65, v65, v68
	s_waitcnt lgkmcnt(0)
	v_mul_f32_e32 v104, v77, v87
	v_mul_f32_e32 v87, v78, v87
	v_fmac_f32_e32 v102, v74, v93
	s_waitcnt vmcnt(4)
	v_fma_f32 v70, v75, v94, -v86
	v_add_f32_e32 v64, v64, v101
	v_add_f32_e32 v65, v65, v69
	v_mul_f32_e32 v105, v79, v88
	v_mul_f32_e32 v88, v80, v88
	v_fmac_f32_e32 v103, v76, v94
	s_waitcnt vmcnt(3)
	v_fma_f32 v71, v77, v95, -v87
	v_add_f32_e32 v64, v64, v102
	v_add_f32_e32 v65, v65, v70
	v_fmac_f32_e32 v104, v78, v95
	s_waitcnt vmcnt(2)
	v_fma_f32 v72, v79, v96, -v88
	v_add_f32_e32 v64, v64, v103
	v_add_f32_e32 v65, v65, v71
	v_fmac_f32_e32 v105, v80, v96
	v_add_f32_e32 v64, v64, v104
	v_add_f32_e32 v65, v65, v72
	;; [unrolled: 1-line block ×3, first 2 shown]
	s_waitcnt vmcnt(1)
	v_sub_f32_e32 v65, v97, v65
	s_waitcnt vmcnt(0)
	v_sub_f32_e32 v64, v98, v64
	buffer_store_dword v65, off, s[0:3], 0 offset:176
	buffer_store_dword v64, off, s[0:3], 0 offset:180
	s_and_saveexec_b64 s[4:5], vcc
	s_cbranch_execz .LBB30_157
; %bb.156:
	buffer_load_dword v64, off, s[0:3], 0 offset:168
	buffer_load_dword v65, off, s[0:3], 0 offset:172
	v_mov_b32_e32 v66, 0
	buffer_store_dword v66, off, s[0:3], 0 offset:168
	buffer_store_dword v66, off, s[0:3], 0 offset:172
	s_waitcnt vmcnt(2)
	ds_write_b64 v63, v[64:65]
.LBB30_157:
	s_or_b64 exec, exec, s[4:5]
	s_waitcnt lgkmcnt(0)
	; wave barrier
	buffer_load_dword v83, off, s[0:3], 0 offset:180
	buffer_load_dword v84, off, s[0:3], 0 offset:188
	;; [unrolled: 1-line block ×20, first 2 shown]
	v_mov_b32_e32 v64, 0
	ds_read_b128 v[65:68], v64 offset:432
	ds_read_b128 v[69:72], v64 offset:448
	;; [unrolled: 1-line block ×4, first 2 shown]
	ds_read_b64 v[81:82], v64 offset:496
	v_cmp_lt_u32_e32 vcc, 20, v0
	s_waitcnt vmcnt(19) lgkmcnt(4)
	v_mul_f32_e32 v103, v65, v83
	v_mul_f32_e32 v83, v66, v83
	s_waitcnt vmcnt(18)
	v_mul_f32_e32 v104, v67, v84
	v_mul_f32_e32 v84, v68, v84
	s_waitcnt vmcnt(17) lgkmcnt(3)
	v_mul_f32_e32 v105, v69, v85
	s_waitcnt vmcnt(15) lgkmcnt(2)
	v_mul_f32_e32 v107, v73, v87
	v_mul_f32_e32 v85, v70, v85
	;; [unrolled: 1-line block ×4, first 2 shown]
	s_waitcnt vmcnt(10)
	v_fma_f32 v65, v65, v92, -v83
	v_fmac_f32_e32 v103, v66, v92
	s_waitcnt vmcnt(9)
	v_fma_f32 v66, v67, v93, -v84
	v_add_f32_e32 v65, 0, v65
	v_mul_f32_e32 v87, v74, v87
	v_fmac_f32_e32 v104, v68, v93
	s_waitcnt vmcnt(6)
	v_fmac_f32_e32 v107, v74, v96
	v_fma_f32 v67, v69, v94, -v85
	v_add_f32_e32 v74, 0, v103
	v_add_f32_e32 v65, v65, v66
	v_fmac_f32_e32 v105, v70, v94
	v_fma_f32 v68, v71, v95, -v86
	v_add_f32_e32 v74, v74, v104
	v_add_f32_e32 v65, v65, v67
	v_mul_f32_e32 v108, v75, v88
	v_mul_f32_e32 v88, v76, v88
	v_fmac_f32_e32 v106, v72, v95
	v_fma_f32 v69, v73, v96, -v87
	v_add_f32_e32 v66, v74, v105
	v_add_f32_e32 v65, v65, v68
	s_waitcnt lgkmcnt(1)
	v_mul_f32_e32 v109, v77, v89
	v_mul_f32_e32 v89, v78, v89
	s_waitcnt vmcnt(5)
	v_fma_f32 v70, v75, v97, -v88
	v_add_f32_e32 v66, v66, v106
	v_add_f32_e32 v65, v65, v69
	v_mul_f32_e32 v110, v79, v90
	v_mul_f32_e32 v90, v80, v90
	v_fmac_f32_e32 v108, v76, v97
	s_waitcnt vmcnt(4)
	v_fma_f32 v71, v77, v98, -v89
	v_add_f32_e32 v66, v66, v107
	v_add_f32_e32 v65, v65, v70
	s_waitcnt lgkmcnt(0)
	v_mul_f32_e32 v111, v81, v91
	v_mul_f32_e32 v91, v82, v91
	v_fmac_f32_e32 v109, v78, v98
	s_waitcnt vmcnt(3)
	v_fma_f32 v72, v79, v99, -v90
	v_add_f32_e32 v66, v66, v108
	v_add_f32_e32 v65, v65, v71
	v_fmac_f32_e32 v110, v80, v99
	s_waitcnt vmcnt(2)
	v_fma_f32 v73, v81, v100, -v91
	v_add_f32_e32 v66, v66, v109
	v_add_f32_e32 v65, v65, v72
	v_fmac_f32_e32 v111, v82, v100
	v_add_f32_e32 v66, v66, v110
	v_add_f32_e32 v65, v65, v73
	;; [unrolled: 1-line block ×3, first 2 shown]
	s_waitcnt vmcnt(1)
	v_sub_f32_e32 v65, v101, v65
	s_waitcnt vmcnt(0)
	v_sub_f32_e32 v66, v102, v66
	buffer_store_dword v65, off, s[0:3], 0 offset:168
	buffer_store_dword v66, off, s[0:3], 0 offset:172
	s_and_saveexec_b64 s[4:5], vcc
	s_cbranch_execz .LBB30_159
; %bb.158:
	buffer_load_dword v65, off, s[0:3], 0 offset:160
	buffer_load_dword v66, off, s[0:3], 0 offset:164
	s_waitcnt vmcnt(0)
	ds_write_b64 v63, v[65:66]
	buffer_store_dword v64, off, s[0:3], 0 offset:160
	buffer_store_dword v64, off, s[0:3], 0 offset:164
.LBB30_159:
	s_or_b64 exec, exec, s[4:5]
	s_waitcnt lgkmcnt(0)
	; wave barrier
	buffer_load_dword v85, off, s[0:3], 0 offset:172
	buffer_load_dword v86, off, s[0:3], 0 offset:180
	;; [unrolled: 1-line block ×22, first 2 shown]
	ds_read2_b64 v[65:68], v64 offset0:53 offset1:54
	ds_read2_b64 v[69:72], v64 offset0:55 offset1:56
	;; [unrolled: 1-line block ×5, first 2 shown]
	v_cmp_lt_u32_e32 vcc, 19, v0
	s_waitcnt vmcnt(21) lgkmcnt(4)
	v_mul_f32_e32 v64, v65, v85
	v_mul_f32_e32 v85, v66, v85
	s_waitcnt vmcnt(20)
	v_mul_f32_e32 v107, v67, v86
	v_mul_f32_e32 v86, v68, v86
	s_waitcnt vmcnt(19) lgkmcnt(3)
	v_mul_f32_e32 v108, v69, v87
	v_mul_f32_e32 v87, v70, v87
	s_waitcnt vmcnt(18)
	v_mul_f32_e32 v109, v71, v88
	v_mul_f32_e32 v88, v72, v88
	s_waitcnt vmcnt(17) lgkmcnt(2)
	v_mul_f32_e32 v110, v73, v89
	v_mul_f32_e32 v89, v74, v89
	s_waitcnt vmcnt(11)
	v_fma_f32 v65, v65, v95, -v85
	v_fmac_f32_e32 v64, v66, v95
	s_waitcnt vmcnt(10)
	v_fma_f32 v66, v67, v96, -v86
	v_add_f32_e32 v65, 0, v65
	v_fmac_f32_e32 v107, v68, v96
	s_waitcnt vmcnt(9)
	v_fma_f32 v67, v69, v97, -v87
	v_add_f32_e32 v64, 0, v64
	v_add_f32_e32 v65, v65, v66
	v_fmac_f32_e32 v108, v70, v97
	s_waitcnt vmcnt(8)
	v_fma_f32 v68, v71, v98, -v88
	v_add_f32_e32 v64, v64, v107
	v_add_f32_e32 v65, v65, v67
	v_mul_f32_e32 v111, v75, v90
	v_mul_f32_e32 v90, v76, v90
	v_fmac_f32_e32 v109, v72, v98
	s_waitcnt vmcnt(7)
	v_fma_f32 v69, v73, v99, -v89
	v_add_f32_e32 v64, v64, v108
	v_add_f32_e32 v65, v65, v68
	s_waitcnt lgkmcnt(1)
	v_mul_f32_e32 v112, v77, v91
	v_mul_f32_e32 v91, v78, v91
	v_fmac_f32_e32 v110, v74, v99
	s_waitcnt vmcnt(6)
	v_fma_f32 v70, v75, v100, -v90
	v_add_f32_e32 v64, v64, v109
	v_add_f32_e32 v65, v65, v69
	v_mul_f32_e32 v113, v79, v92
	v_mul_f32_e32 v92, v80, v92
	v_fmac_f32_e32 v111, v76, v100
	s_waitcnt vmcnt(5)
	v_fma_f32 v71, v77, v101, -v91
	v_add_f32_e32 v64, v64, v110
	v_add_f32_e32 v65, v65, v70
	s_waitcnt lgkmcnt(0)
	v_mul_f32_e32 v114, v81, v93
	v_mul_f32_e32 v93, v82, v93
	v_fmac_f32_e32 v112, v78, v101
	s_waitcnt vmcnt(4)
	v_fma_f32 v72, v79, v102, -v92
	v_add_f32_e32 v64, v64, v111
	v_add_f32_e32 v65, v65, v71
	v_mul_f32_e32 v115, v83, v94
	v_mul_f32_e32 v94, v84, v94
	v_fmac_f32_e32 v113, v80, v102
	s_waitcnt vmcnt(3)
	v_fma_f32 v73, v81, v103, -v93
	v_add_f32_e32 v64, v64, v112
	v_add_f32_e32 v65, v65, v72
	v_fmac_f32_e32 v114, v82, v103
	s_waitcnt vmcnt(2)
	v_fma_f32 v74, v83, v104, -v94
	v_add_f32_e32 v64, v64, v113
	v_add_f32_e32 v65, v65, v73
	v_fmac_f32_e32 v115, v84, v104
	v_add_f32_e32 v64, v64, v114
	v_add_f32_e32 v65, v65, v74
	;; [unrolled: 1-line block ×3, first 2 shown]
	s_waitcnt vmcnt(1)
	v_sub_f32_e32 v65, v105, v65
	s_waitcnt vmcnt(0)
	v_sub_f32_e32 v64, v106, v64
	buffer_store_dword v65, off, s[0:3], 0 offset:160
	buffer_store_dword v64, off, s[0:3], 0 offset:164
	s_and_saveexec_b64 s[4:5], vcc
	s_cbranch_execz .LBB30_161
; %bb.160:
	buffer_load_dword v64, off, s[0:3], 0 offset:152
	buffer_load_dword v65, off, s[0:3], 0 offset:156
	v_mov_b32_e32 v66, 0
	buffer_store_dword v66, off, s[0:3], 0 offset:152
	buffer_store_dword v66, off, s[0:3], 0 offset:156
	s_waitcnt vmcnt(2)
	ds_write_b64 v63, v[64:65]
.LBB30_161:
	s_or_b64 exec, exec, s[4:5]
	s_waitcnt lgkmcnt(0)
	; wave barrier
	buffer_load_dword v87, off, s[0:3], 0 offset:164
	buffer_load_dword v88, off, s[0:3], 0 offset:172
	;; [unrolled: 1-line block ×24, first 2 shown]
	v_mov_b32_e32 v64, 0
	ds_read_b128 v[65:68], v64 offset:416
	ds_read_b128 v[69:72], v64 offset:432
	;; [unrolled: 1-line block ×5, first 2 shown]
	ds_read_b64 v[85:86], v64 offset:496
	v_cmp_lt_u32_e32 vcc, 18, v0
	s_waitcnt vmcnt(23) lgkmcnt(5)
	v_mul_f32_e32 v111, v65, v87
	v_mul_f32_e32 v87, v66, v87
	s_waitcnt vmcnt(22)
	v_mul_f32_e32 v112, v67, v88
	v_mul_f32_e32 v88, v68, v88
	s_waitcnt vmcnt(21) lgkmcnt(4)
	v_mul_f32_e32 v113, v69, v89
	v_mul_f32_e32 v89, v70, v89
	s_waitcnt vmcnt(20)
	v_mul_f32_e32 v114, v71, v90
	s_waitcnt vmcnt(19) lgkmcnt(3)
	v_mul_f32_e32 v115, v73, v91
	v_mul_f32_e32 v90, v72, v90
	;; [unrolled: 1-line block ×3, first 2 shown]
	s_waitcnt vmcnt(18)
	v_mul_f32_e32 v116, v75, v92
	s_waitcnt vmcnt(12)
	v_fma_f32 v65, v65, v98, -v87
	v_fmac_f32_e32 v111, v66, v98
	s_waitcnt vmcnt(11)
	v_fma_f32 v66, v67, v99, -v88
	v_add_f32_e32 v65, 0, v65
	s_waitcnt vmcnt(10)
	v_fma_f32 v67, v69, v100, -v89
	v_add_f32_e32 v65, v65, v66
	v_fmac_f32_e32 v112, v68, v99
	s_waitcnt vmcnt(8)
	v_fmac_f32_e32 v115, v74, v102
	v_fma_f32 v68, v71, v101, -v90
	v_add_f32_e32 v74, 0, v111
	v_add_f32_e32 v65, v65, v67
	v_mul_f32_e32 v92, v76, v92
	v_fmac_f32_e32 v113, v70, v100
	v_fma_f32 v69, v73, v102, -v91
	v_add_f32_e32 v74, v74, v112
	v_add_f32_e32 v65, v65, v68
	s_waitcnt lgkmcnt(2)
	v_mul_f32_e32 v117, v77, v93
	v_mul_f32_e32 v93, v78, v93
	v_fmac_f32_e32 v114, v72, v101
	s_waitcnt vmcnt(7)
	v_fma_f32 v70, v75, v103, -v92
	v_add_f32_e32 v66, v74, v113
	v_add_f32_e32 v65, v65, v69
	v_mul_f32_e32 v118, v79, v94
	v_mul_f32_e32 v94, v80, v94
	s_waitcnt vmcnt(6)
	v_fma_f32 v71, v77, v104, -v93
	v_add_f32_e32 v66, v66, v114
	v_add_f32_e32 v65, v65, v70
	s_waitcnt lgkmcnt(1)
	v_mul_f32_e32 v119, v81, v95
	v_mul_f32_e32 v95, v82, v95
	v_fmac_f32_e32 v116, v76, v103
	s_waitcnt vmcnt(5)
	v_fma_f32 v72, v79, v105, -v94
	v_add_f32_e32 v66, v66, v115
	v_add_f32_e32 v65, v65, v71
	v_fmac_f32_e32 v117, v78, v104
	s_waitcnt vmcnt(4)
	v_fma_f32 v73, v81, v106, -v95
	v_add_f32_e32 v66, v66, v116
	v_add_f32_e32 v65, v65, v72
	v_mul_f32_e32 v67, v84, v96
	v_fmac_f32_e32 v118, v80, v105
	v_add_f32_e32 v66, v66, v117
	v_add_f32_e32 v65, v65, v73
	s_waitcnt vmcnt(3)
	v_fma_f32 v67, v83, v107, -v67
	v_mul_f32_e32 v120, v83, v96
	v_fmac_f32_e32 v119, v82, v106
	v_add_f32_e32 v66, v66, v118
	v_add_f32_e32 v65, v65, v67
	s_waitcnt lgkmcnt(0)
	v_mul_f32_e32 v67, v86, v97
	v_mul_f32_e32 v121, v85, v97
	v_fmac_f32_e32 v120, v84, v107
	v_add_f32_e32 v66, v66, v119
	s_waitcnt vmcnt(2)
	v_fma_f32 v67, v85, v108, -v67
	v_fmac_f32_e32 v121, v86, v108
	v_add_f32_e32 v66, v66, v120
	v_add_f32_e32 v65, v65, v67
	;; [unrolled: 1-line block ×3, first 2 shown]
	s_waitcnt vmcnt(1)
	v_sub_f32_e32 v65, v109, v65
	s_waitcnt vmcnt(0)
	v_sub_f32_e32 v66, v110, v66
	buffer_store_dword v65, off, s[0:3], 0 offset:152
	buffer_store_dword v66, off, s[0:3], 0 offset:156
	s_and_saveexec_b64 s[4:5], vcc
	s_cbranch_execz .LBB30_163
; %bb.162:
	buffer_load_dword v65, off, s[0:3], 0 offset:144
	buffer_load_dword v66, off, s[0:3], 0 offset:148
	s_waitcnt vmcnt(0)
	ds_write_b64 v63, v[65:66]
	buffer_store_dword v64, off, s[0:3], 0 offset:144
	buffer_store_dword v64, off, s[0:3], 0 offset:148
.LBB30_163:
	s_or_b64 exec, exec, s[4:5]
	s_waitcnt lgkmcnt(0)
	; wave barrier
	buffer_load_dword v89, off, s[0:3], 0 offset:156
	buffer_load_dword v90, off, s[0:3], 0 offset:164
	;; [unrolled: 1-line block ×26, first 2 shown]
	ds_read2_b64 v[65:68], v64 offset0:51 offset1:52
	ds_read2_b64 v[69:72], v64 offset0:53 offset1:54
	;; [unrolled: 1-line block ×6, first 2 shown]
	v_cmp_lt_u32_e32 vcc, 17, v0
	s_waitcnt vmcnt(25) lgkmcnt(5)
	v_mul_f32_e32 v64, v65, v89
	v_mul_f32_e32 v89, v66, v89
	s_waitcnt vmcnt(24)
	v_mul_f32_e32 v115, v67, v90
	v_mul_f32_e32 v90, v68, v90
	s_waitcnt vmcnt(23) lgkmcnt(4)
	v_mul_f32_e32 v116, v69, v91
	v_mul_f32_e32 v91, v70, v91
	s_waitcnt vmcnt(22)
	v_mul_f32_e32 v117, v71, v92
	v_mul_f32_e32 v92, v72, v92
	s_waitcnt vmcnt(21) lgkmcnt(3)
	v_mul_f32_e32 v118, v73, v93
	v_mul_f32_e32 v93, v74, v93
	s_waitcnt vmcnt(20)
	v_mul_f32_e32 v119, v75, v94
	v_mul_f32_e32 v94, v76, v94
	s_waitcnt vmcnt(13)
	v_fma_f32 v65, v65, v101, -v89
	v_fmac_f32_e32 v64, v66, v101
	s_waitcnt vmcnt(12)
	v_fma_f32 v66, v67, v102, -v90
	v_add_f32_e32 v65, 0, v65
	s_waitcnt vmcnt(11)
	v_fma_f32 v67, v69, v103, -v91
	v_add_f32_e32 v65, v65, v66
	v_fmac_f32_e32 v115, v68, v102
	s_waitcnt vmcnt(10)
	v_fma_f32 v68, v71, v104, -v92
	v_add_f32_e32 v65, v65, v67
	s_waitcnt vmcnt(9)
	v_fma_f32 v69, v73, v105, -v93
	v_add_f32_e32 v65, v65, v68
	s_waitcnt lgkmcnt(2)
	v_mul_f32_e32 v120, v77, v95
	v_mul_f32_e32 v95, v78, v95
	v_fmac_f32_e32 v116, v70, v103
	s_waitcnt vmcnt(8)
	v_fma_f32 v70, v75, v106, -v94
	v_add_f32_e32 v64, 0, v64
	v_add_f32_e32 v65, v65, v69
	v_mul_f32_e32 v121, v79, v96
	v_mul_f32_e32 v96, v80, v96
	s_waitcnt vmcnt(7)
	v_fma_f32 v71, v77, v107, -v95
	v_add_f32_e32 v64, v64, v115
	v_add_f32_e32 v65, v65, v70
	v_fmac_f32_e32 v117, v72, v104
	s_waitcnt vmcnt(6)
	v_fma_f32 v72, v79, v108, -v96
	v_add_f32_e32 v64, v64, v116
	v_add_f32_e32 v65, v65, v71
	s_waitcnt lgkmcnt(1)
	v_mul_f32_e32 v66, v82, v97
	v_fmac_f32_e32 v118, v74, v105
	v_add_f32_e32 v64, v64, v117
	v_add_f32_e32 v65, v65, v72
	s_waitcnt vmcnt(5)
	v_fma_f32 v66, v81, v109, -v66
	v_fmac_f32_e32 v119, v76, v106
	v_add_f32_e32 v64, v64, v118
	v_add_f32_e32 v65, v65, v66
	v_mul_f32_e32 v66, v84, v98
	v_fmac_f32_e32 v120, v78, v107
	v_add_f32_e32 v64, v64, v119
	s_waitcnt vmcnt(4)
	v_fma_f32 v66, v83, v110, -v66
	v_mul_f32_e32 v122, v81, v97
	v_fmac_f32_e32 v121, v80, v108
	v_add_f32_e32 v64, v64, v120
	v_add_f32_e32 v65, v65, v66
	s_waitcnt lgkmcnt(0)
	v_mul_f32_e32 v66, v86, v99
	v_mul_f32_e32 v123, v83, v98
	v_fmac_f32_e32 v122, v82, v109
	v_add_f32_e32 v64, v64, v121
	s_waitcnt vmcnt(3)
	v_fma_f32 v66, v85, v111, -v66
	v_mul_f32_e32 v124, v85, v99
	v_fmac_f32_e32 v123, v84, v110
	v_add_f32_e32 v64, v64, v122
	v_add_f32_e32 v65, v65, v66
	v_mul_f32_e32 v66, v88, v100
	v_mul_f32_e32 v125, v87, v100
	v_fmac_f32_e32 v124, v86, v111
	v_add_f32_e32 v64, v64, v123
	s_waitcnt vmcnt(2)
	v_fma_f32 v66, v87, v112, -v66
	v_fmac_f32_e32 v125, v88, v112
	v_add_f32_e32 v64, v64, v124
	v_add_f32_e32 v65, v65, v66
	v_add_f32_e32 v64, v64, v125
	s_waitcnt vmcnt(1)
	v_sub_f32_e32 v65, v113, v65
	s_waitcnt vmcnt(0)
	v_sub_f32_e32 v64, v114, v64
	buffer_store_dword v65, off, s[0:3], 0 offset:144
	buffer_store_dword v64, off, s[0:3], 0 offset:148
	s_and_saveexec_b64 s[4:5], vcc
	s_cbranch_execz .LBB30_165
; %bb.164:
	buffer_load_dword v64, off, s[0:3], 0 offset:136
	buffer_load_dword v65, off, s[0:3], 0 offset:140
	v_mov_b32_e32 v66, 0
	buffer_store_dword v66, off, s[0:3], 0 offset:136
	buffer_store_dword v66, off, s[0:3], 0 offset:140
	s_waitcnt vmcnt(2)
	ds_write_b64 v63, v[64:65]
.LBB30_165:
	s_or_b64 exec, exec, s[4:5]
	v_mov_b32_e32 v64, 0
	s_waitcnt lgkmcnt(0)
	; wave barrier
	ds_read_b128 v[65:68], v64 offset:400
	ds_read_b128 v[69:72], v64 offset:416
	;; [unrolled: 1-line block ×4, first 2 shown]
	buffer_load_dword v91, off, s[0:3], 0 offset:136
	buffer_load_dword v92, off, s[0:3], 0 offset:140
	;; [unrolled: 1-line block ×18, first 2 shown]
	v_cmp_lt_u32_e32 vcc, 16, v0
	s_waitcnt vmcnt(14) lgkmcnt(3)
	v_mul_f32_e32 v81, v65, v94
	v_fmac_f32_e32 v81, v66, v93
	s_waitcnt vmcnt(12)
	v_mul_f32_e32 v82, v67, v96
	v_add_f32_e32 v81, 0, v81
	v_fmac_f32_e32 v82, v68, v95
	v_add_f32_e32 v81, v81, v82
	s_waitcnt vmcnt(10) lgkmcnt(2)
	v_mul_f32_e32 v82, v69, v98
	v_fmac_f32_e32 v82, v70, v97
	v_add_f32_e32 v81, v81, v82
	s_waitcnt vmcnt(8)
	v_mul_f32_e32 v82, v71, v100
	v_fmac_f32_e32 v82, v72, v99
	v_add_f32_e32 v81, v81, v82
	s_waitcnt vmcnt(6) lgkmcnt(1)
	v_mul_f32_e32 v82, v73, v102
	v_fmac_f32_e32 v82, v74, v101
	v_add_f32_e32 v81, v81, v82
	s_waitcnt vmcnt(4)
	v_mul_f32_e32 v82, v75, v104
	;; [unrolled: 8-line block ×3, first 2 shown]
	v_fmac_f32_e32 v82, v80, v107
	v_add_f32_e32 v85, v81, v82
	ds_read_b128 v[81:84], v64 offset:464
	buffer_load_dword v109, off, s[0:3], 0 offset:208
	buffer_load_dword v110, off, s[0:3], 0 offset:212
	;; [unrolled: 1-line block ×4, first 2 shown]
	v_mul_f32_e32 v66, v66, v94
	v_fma_f32 v65, v65, v93, -v66
	v_mul_f32_e32 v66, v68, v96
	v_add_f32_e32 v65, 0, v65
	v_fma_f32 v66, v67, v95, -v66
	v_add_f32_e32 v65, v65, v66
	v_mul_f32_e32 v66, v70, v98
	v_fma_f32 v66, v69, v97, -v66
	v_add_f32_e32 v65, v65, v66
	v_mul_f32_e32 v66, v72, v100
	;; [unrolled: 3-line block ×6, first 2 shown]
	v_fma_f32 v66, v79, v107, -v66
	v_add_f32_e32 v65, v65, v66
	s_waitcnt vmcnt(2) lgkmcnt(0)
	v_mul_f32_e32 v86, v81, v110
	v_fmac_f32_e32 v86, v82, v109
	v_add_f32_e32 v85, v85, v86
	s_waitcnt vmcnt(0)
	v_mul_f32_e32 v86, v83, v112
	v_fmac_f32_e32 v86, v84, v111
	v_add_f32_e32 v89, v85, v86
	ds_read_b128 v[85:88], v64 offset:480
	buffer_load_dword v113, off, s[0:3], 0 offset:224
	buffer_load_dword v114, off, s[0:3], 0 offset:228
	;; [unrolled: 1-line block ×4, first 2 shown]
	v_mul_f32_e32 v66, v82, v110
	v_fma_f32 v66, v81, v109, -v66
	v_add_f32_e32 v65, v65, v66
	v_mul_f32_e32 v66, v84, v112
	v_fma_f32 v66, v83, v111, -v66
	v_add_f32_e32 v65, v65, v66
	s_waitcnt vmcnt(2) lgkmcnt(0)
	v_mul_f32_e32 v90, v85, v114
	v_fmac_f32_e32 v90, v86, v113
	v_add_f32_e32 v89, v89, v90
	s_waitcnt vmcnt(0)
	v_mul_f32_e32 v90, v87, v116
	v_fmac_f32_e32 v90, v88, v115
	v_add_f32_e32 v117, v89, v90
	ds_read_b64 v[89:90], v64 offset:496
	buffer_load_dword v118, off, s[0:3], 0 offset:240
	buffer_load_dword v119, off, s[0:3], 0 offset:244
	v_mul_f32_e32 v66, v86, v114
	v_fma_f32 v66, v85, v113, -v66
	v_add_f32_e32 v65, v65, v66
	v_mul_f32_e32 v66, v88, v116
	v_fma_f32 v66, v87, v115, -v66
	v_add_f32_e32 v65, v65, v66
	s_waitcnt vmcnt(0) lgkmcnt(0)
	v_mul_f32_e32 v66, v90, v119
	v_mul_f32_e32 v120, v89, v119
	v_fma_f32 v66, v89, v118, -v66
	v_fmac_f32_e32 v120, v90, v118
	v_add_f32_e32 v65, v65, v66
	v_add_f32_e32 v117, v117, v120
	v_sub_f32_e32 v65, v91, v65
	v_sub_f32_e32 v66, v92, v117
	buffer_store_dword v65, off, s[0:3], 0 offset:136
	buffer_store_dword v66, off, s[0:3], 0 offset:140
	s_and_saveexec_b64 s[4:5], vcc
	s_cbranch_execz .LBB30_167
; %bb.166:
	buffer_load_dword v65, off, s[0:3], 0 offset:128
	buffer_load_dword v66, off, s[0:3], 0 offset:132
	s_waitcnt vmcnt(0)
	ds_write_b64 v63, v[65:66]
	buffer_store_dword v64, off, s[0:3], 0 offset:128
	buffer_store_dword v64, off, s[0:3], 0 offset:132
.LBB30_167:
	s_or_b64 exec, exec, s[4:5]
	s_waitcnt lgkmcnt(0)
	; wave barrier
	ds_read2_b64 v[65:68], v64 offset0:49 offset1:50
	buffer_load_dword v93, off, s[0:3], 0 offset:128
	buffer_load_dword v94, off, s[0:3], 0 offset:132
	;; [unrolled: 1-line block ×16, first 2 shown]
	v_cmp_lt_u32_e32 vcc, 15, v0
	s_waitcnt vmcnt(12) lgkmcnt(0)
	v_mul_f32_e32 v69, v65, v96
	v_fmac_f32_e32 v69, v66, v95
	s_waitcnt vmcnt(10)
	v_mul_f32_e32 v70, v67, v98
	v_add_f32_e32 v69, 0, v69
	v_fmac_f32_e32 v70, v68, v97
	v_add_f32_e32 v73, v69, v70
	ds_read2_b64 v[69:72], v64 offset0:51 offset1:52
	v_mul_f32_e32 v66, v66, v96
	v_fma_f32 v65, v65, v95, -v66
	v_mul_f32_e32 v66, v68, v98
	v_add_f32_e32 v65, 0, v65
	s_waitcnt vmcnt(8) lgkmcnt(0)
	v_mul_f32_e32 v74, v69, v100
	v_fmac_f32_e32 v74, v70, v99
	v_add_f32_e32 v73, v73, v74
	s_waitcnt vmcnt(6)
	v_mul_f32_e32 v74, v71, v102
	v_fmac_f32_e32 v74, v72, v101
	v_add_f32_e32 v77, v73, v74
	ds_read2_b64 v[73:76], v64 offset0:53 offset1:54
	v_fma_f32 v66, v67, v97, -v66
	v_add_f32_e32 v65, v65, v66
	v_mul_f32_e32 v66, v70, v100
	v_fma_f32 v66, v69, v99, -v66
	s_waitcnt vmcnt(4) lgkmcnt(0)
	v_mul_f32_e32 v78, v73, v104
	v_fmac_f32_e32 v78, v74, v103
	v_add_f32_e32 v77, v77, v78
	s_waitcnt vmcnt(2)
	v_mul_f32_e32 v78, v75, v106
	v_fmac_f32_e32 v78, v76, v105
	v_add_f32_e32 v81, v77, v78
	ds_read2_b64 v[77:80], v64 offset0:55 offset1:56
	buffer_load_dword v109, off, s[0:3], 0 offset:192
	buffer_load_dword v110, off, s[0:3], 0 offset:196
	v_add_f32_e32 v65, v65, v66
	v_mul_f32_e32 v66, v72, v102
	v_fma_f32 v66, v71, v101, -v66
	s_waitcnt vmcnt(2) lgkmcnt(0)
	v_mul_f32_e32 v82, v77, v108
	v_fmac_f32_e32 v82, v78, v107
	v_add_f32_e32 v81, v81, v82
	v_add_f32_e32 v65, v65, v66
	v_mul_f32_e32 v66, v74, v104
	v_fma_f32 v66, v73, v103, -v66
	v_add_f32_e32 v65, v65, v66
	v_mul_f32_e32 v66, v76, v106
	v_fma_f32 v66, v75, v105, -v66
	;; [unrolled: 3-line block ×3, first 2 shown]
	v_add_f32_e32 v65, v65, v66
	s_waitcnt vmcnt(0)
	v_mul_f32_e32 v82, v79, v110
	v_fmac_f32_e32 v82, v80, v109
	v_add_f32_e32 v85, v81, v82
	ds_read2_b64 v[81:84], v64 offset0:57 offset1:58
	buffer_load_dword v111, off, s[0:3], 0 offset:200
	buffer_load_dword v112, off, s[0:3], 0 offset:204
	;; [unrolled: 1-line block ×4, first 2 shown]
	v_mul_f32_e32 v66, v80, v110
	v_fma_f32 v66, v79, v109, -v66
	v_add_f32_e32 v65, v65, v66
	s_waitcnt vmcnt(2) lgkmcnt(0)
	v_mul_f32_e32 v86, v81, v112
	v_fmac_f32_e32 v86, v82, v111
	v_add_f32_e32 v85, v85, v86
	s_waitcnt vmcnt(0)
	v_mul_f32_e32 v86, v83, v114
	v_fmac_f32_e32 v86, v84, v113
	v_add_f32_e32 v89, v85, v86
	ds_read2_b64 v[85:88], v64 offset0:59 offset1:60
	buffer_load_dword v115, off, s[0:3], 0 offset:216
	buffer_load_dword v116, off, s[0:3], 0 offset:220
	;; [unrolled: 1-line block ×4, first 2 shown]
	v_mul_f32_e32 v66, v82, v112
	v_fma_f32 v66, v81, v111, -v66
	v_add_f32_e32 v65, v65, v66
	v_mul_f32_e32 v66, v84, v114
	v_fma_f32 v66, v83, v113, -v66
	v_add_f32_e32 v65, v65, v66
	s_waitcnt vmcnt(2) lgkmcnt(0)
	v_mul_f32_e32 v90, v85, v116
	v_fmac_f32_e32 v90, v86, v115
	v_add_f32_e32 v89, v89, v90
	s_waitcnt vmcnt(0)
	v_mul_f32_e32 v90, v87, v118
	v_fmac_f32_e32 v90, v88, v117
	v_add_f32_e32 v119, v89, v90
	ds_read2_b64 v[89:92], v64 offset0:61 offset1:62
	buffer_load_dword v64, off, s[0:3], 0 offset:232
	buffer_load_dword v120, off, s[0:3], 0 offset:236
	v_mul_f32_e32 v66, v86, v116
	v_fma_f32 v66, v85, v115, -v66
	v_add_f32_e32 v65, v65, v66
	v_mul_f32_e32 v66, v88, v118
	v_fma_f32 v66, v87, v117, -v66
	v_add_f32_e32 v65, v65, v66
	s_waitcnt vmcnt(0) lgkmcnt(0)
	v_mul_f32_e32 v121, v89, v120
	v_fmac_f32_e32 v121, v90, v64
	v_add_f32_e32 v119, v119, v121
	buffer_load_dword v121, off, s[0:3], 0 offset:240
	buffer_load_dword v122, off, s[0:3], 0 offset:244
	v_mul_f32_e32 v66, v90, v120
	v_fma_f32 v64, v89, v64, -v66
	v_add_f32_e32 v64, v65, v64
	s_waitcnt vmcnt(0)
	v_mul_f32_e32 v65, v92, v122
	v_mul_f32_e32 v123, v91, v122
	v_fma_f32 v65, v91, v121, -v65
	v_fmac_f32_e32 v123, v92, v121
	v_add_f32_e32 v64, v64, v65
	v_add_f32_e32 v119, v119, v123
	v_sub_f32_e32 v64, v93, v64
	v_sub_f32_e32 v65, v94, v119
	buffer_store_dword v64, off, s[0:3], 0 offset:128
	buffer_store_dword v65, off, s[0:3], 0 offset:132
	s_and_saveexec_b64 s[4:5], vcc
	s_cbranch_execz .LBB30_169
; %bb.168:
	buffer_load_dword v64, off, s[0:3], 0 offset:120
	buffer_load_dword v65, off, s[0:3], 0 offset:124
	v_mov_b32_e32 v66, 0
	buffer_store_dword v66, off, s[0:3], 0 offset:120
	buffer_store_dword v66, off, s[0:3], 0 offset:124
	s_waitcnt vmcnt(2)
	ds_write_b64 v63, v[64:65]
.LBB30_169:
	s_or_b64 exec, exec, s[4:5]
	s_waitcnt lgkmcnt(0)
	; wave barrier
	buffer_load_dword v95, off, s[0:3], 0 offset:132
	buffer_load_dword v96, off, s[0:3], 0 offset:140
	;; [unrolled: 1-line block ×32, first 2 shown]
	v_mov_b32_e32 v64, 0
	ds_read_b128 v[65:68], v64 offset:384
	ds_read_b128 v[69:72], v64 offset:400
	;; [unrolled: 1-line block ×7, first 2 shown]
	ds_read_b64 v[93:94], v64 offset:496
	v_cmp_lt_u32_e32 vcc, 14, v0
	s_waitcnt vmcnt(31) lgkmcnt(7)
	v_mul_f32_e32 v127, v65, v95
	v_mul_f32_e32 v95, v66, v95
	s_waitcnt vmcnt(30)
	v_mul_f32_e32 v128, v67, v96
	v_mul_f32_e32 v96, v68, v96
	s_waitcnt vmcnt(29) lgkmcnt(6)
	v_mul_f32_e32 v129, v69, v97
	v_mul_f32_e32 v97, v70, v97
	s_waitcnt vmcnt(28)
	v_mul_f32_e32 v130, v71, v98
	s_waitcnt vmcnt(27) lgkmcnt(5)
	v_mul_f32_e32 v131, v73, v99
	s_waitcnt vmcnt(26)
	v_mul_f32_e32 v132, v75, v100
	s_waitcnt vmcnt(25) lgkmcnt(4)
	;; [unrolled: 4-line block ×4, first 2 shown]
	v_mul_f32_e32 v137, v85, v105
	s_waitcnt vmcnt(20)
	v_mul_f32_e32 v138, v87, v106
	s_waitcnt vmcnt(16)
	v_fma_f32 v65, v65, v110, -v95
	v_fmac_f32_e32 v127, v66, v110
	s_waitcnt vmcnt(15)
	v_fma_f32 v66, v67, v111, -v96
	v_add_f32_e32 v65, 0, v65
	s_waitcnt vmcnt(14)
	v_fma_f32 v67, v69, v112, -v97
	v_add_f32_e32 v65, v65, v66
	v_add_f32_e32 v65, v65, v67
	v_mul_f32_e32 v67, v72, v98
	s_waitcnt vmcnt(13)
	v_fma_f32 v67, v71, v113, -v67
	v_add_f32_e32 v65, v65, v67
	v_mul_f32_e32 v67, v74, v99
	s_waitcnt vmcnt(12)
	v_fma_f32 v67, v73, v114, -v67
	;; [unrolled: 4-line block ×5, first 2 shown]
	v_add_f32_e32 v65, v65, v67
	v_mul_f32_e32 v67, v82, v103
	v_fmac_f32_e32 v128, v68, v111
	v_add_f32_e32 v68, 0, v127
	s_waitcnt vmcnt(8)
	v_fma_f32 v67, v81, v118, -v67
	v_fmac_f32_e32 v129, v70, v112
	v_add_f32_e32 v68, v68, v128
	v_add_f32_e32 v65, v65, v67
	v_mul_f32_e32 v67, v84, v104
	v_fmac_f32_e32 v130, v72, v113
	v_add_f32_e32 v66, v68, v129
	s_waitcnt vmcnt(7)
	v_fma_f32 v67, v83, v119, -v67
	v_fmac_f32_e32 v131, v74, v114
	v_add_f32_e32 v66, v66, v130
	v_add_f32_e32 v65, v65, v67
	v_mul_f32_e32 v67, v86, v105
	v_fmac_f32_e32 v132, v76, v115
	v_add_f32_e32 v66, v66, v131
	s_waitcnt vmcnt(6)
	v_fma_f32 v67, v85, v120, -v67
	v_fmac_f32_e32 v133, v78, v116
	v_add_f32_e32 v66, v66, v132
	v_add_f32_e32 v65, v65, v67
	v_mul_f32_e32 v67, v88, v106
	v_fmac_f32_e32 v134, v80, v117
	v_add_f32_e32 v66, v66, v133
	s_waitcnt vmcnt(5)
	v_fma_f32 v67, v87, v121, -v67
	v_fmac_f32_e32 v135, v82, v118
	v_add_f32_e32 v66, v66, v134
	v_add_f32_e32 v65, v65, v67
	s_waitcnt lgkmcnt(1)
	v_mul_f32_e32 v67, v90, v107
	v_fmac_f32_e32 v136, v84, v119
	v_add_f32_e32 v66, v66, v135
	s_waitcnt vmcnt(4)
	v_fma_f32 v67, v89, v122, -v67
	v_fmac_f32_e32 v137, v86, v120
	v_add_f32_e32 v66, v66, v136
	v_add_f32_e32 v65, v65, v67
	v_mul_f32_e32 v67, v92, v108
	v_mul_f32_e32 v139, v89, v107
	v_fmac_f32_e32 v138, v88, v121
	v_add_f32_e32 v66, v66, v137
	s_waitcnt vmcnt(3)
	v_fma_f32 v67, v91, v123, -v67
	v_mul_f32_e32 v140, v91, v108
	v_fmac_f32_e32 v139, v90, v122
	v_add_f32_e32 v66, v66, v138
	v_add_f32_e32 v65, v65, v67
	s_waitcnt lgkmcnt(0)
	v_mul_f32_e32 v67, v94, v109
	v_mul_f32_e32 v141, v93, v109
	v_fmac_f32_e32 v140, v92, v123
	v_add_f32_e32 v66, v66, v139
	s_waitcnt vmcnt(2)
	v_fma_f32 v67, v93, v124, -v67
	v_fmac_f32_e32 v141, v94, v124
	v_add_f32_e32 v66, v66, v140
	v_add_f32_e32 v65, v65, v67
	;; [unrolled: 1-line block ×3, first 2 shown]
	s_waitcnt vmcnt(1)
	v_sub_f32_e32 v65, v125, v65
	s_waitcnt vmcnt(0)
	v_sub_f32_e32 v66, v126, v66
	buffer_store_dword v65, off, s[0:3], 0 offset:120
	buffer_store_dword v66, off, s[0:3], 0 offset:124
	s_and_saveexec_b64 s[4:5], vcc
	s_cbranch_execz .LBB30_171
; %bb.170:
	buffer_load_dword v65, off, s[0:3], 0 offset:112
	buffer_load_dword v66, off, s[0:3], 0 offset:116
	s_waitcnt vmcnt(0)
	ds_write_b64 v63, v[65:66]
	buffer_store_dword v64, off, s[0:3], 0 offset:112
	buffer_store_dword v64, off, s[0:3], 0 offset:116
.LBB30_171:
	s_or_b64 exec, exec, s[4:5]
	s_waitcnt lgkmcnt(0)
	; wave barrier
	buffer_load_dword v97, off, s[0:3], 0 offset:124
	buffer_load_dword v98, off, s[0:3], 0 offset:132
	;; [unrolled: 1-line block ×34, first 2 shown]
	ds_read2_b64 v[65:68], v64 offset0:47 offset1:48
	ds_read2_b64 v[69:72], v64 offset0:49 offset1:50
	;; [unrolled: 1-line block ×8, first 2 shown]
	v_cmp_lt_u32_e32 vcc, 13, v0
	s_waitcnt vmcnt(33) lgkmcnt(7)
	v_mul_f32_e32 v64, v65, v97
	v_mul_f32_e32 v97, v66, v97
	s_waitcnt vmcnt(32)
	v_mul_f32_e32 v131, v67, v98
	v_mul_f32_e32 v98, v68, v98
	s_waitcnt vmcnt(31) lgkmcnt(6)
	v_mul_f32_e32 v132, v69, v99
	s_waitcnt vmcnt(30)
	v_mul_f32_e32 v133, v71, v100
	s_waitcnt vmcnt(29) lgkmcnt(5)
	v_mul_f32_e32 v134, v73, v101
	s_waitcnt vmcnt(28)
	;; [unrolled: 4-line block ×6, first 2 shown]
	v_mul_f32_e32 v143, v91, v110
	s_waitcnt vmcnt(17)
	v_fma_f32 v65, v65, v113, -v97
	v_fmac_f32_e32 v64, v66, v113
	s_waitcnt vmcnt(16)
	v_fma_f32 v66, v67, v114, -v98
	v_add_f32_e32 v65, 0, v65
	v_add_f32_e32 v65, v65, v66
	v_mul_f32_e32 v66, v70, v99
	s_waitcnt vmcnt(15)
	v_fma_f32 v66, v69, v115, -v66
	v_add_f32_e32 v65, v65, v66
	v_mul_f32_e32 v66, v72, v100
	s_waitcnt vmcnt(14)
	v_fma_f32 v66, v71, v116, -v66
	;; [unrolled: 4-line block ×7, first 2 shown]
	v_fmac_f32_e32 v131, v68, v114
	v_add_f32_e32 v64, 0, v64
	v_add_f32_e32 v65, v65, v66
	v_mul_f32_e32 v66, v84, v106
	v_fmac_f32_e32 v132, v70, v115
	v_add_f32_e32 v64, v64, v131
	s_waitcnt vmcnt(8)
	v_fma_f32 v66, v83, v122, -v66
	v_fmac_f32_e32 v133, v72, v116
	v_add_f32_e32 v64, v64, v132
	v_add_f32_e32 v65, v65, v66
	v_mul_f32_e32 v66, v86, v107
	v_fmac_f32_e32 v134, v74, v117
	v_add_f32_e32 v64, v64, v133
	s_waitcnt vmcnt(7)
	v_fma_f32 v66, v85, v123, -v66
	;; [unrolled: 8-line block ×5, first 2 shown]
	v_fmac_f32_e32 v141, v88, v124
	v_add_f32_e32 v64, v64, v140
	v_add_f32_e32 v65, v65, v66
	s_waitcnt lgkmcnt(0)
	v_mul_f32_e32 v66, v94, v111
	v_fmac_f32_e32 v142, v90, v125
	v_add_f32_e32 v64, v64, v141
	s_waitcnt vmcnt(3)
	v_fma_f32 v66, v93, v127, -v66
	v_mul_f32_e32 v144, v93, v111
	v_fmac_f32_e32 v143, v92, v126
	v_add_f32_e32 v64, v64, v142
	v_add_f32_e32 v65, v65, v66
	v_mul_f32_e32 v66, v96, v112
	v_mul_f32_e32 v145, v95, v112
	v_fmac_f32_e32 v144, v94, v127
	v_add_f32_e32 v64, v64, v143
	s_waitcnt vmcnt(2)
	v_fma_f32 v66, v95, v128, -v66
	v_fmac_f32_e32 v145, v96, v128
	v_add_f32_e32 v64, v64, v144
	v_add_f32_e32 v65, v65, v66
	;; [unrolled: 1-line block ×3, first 2 shown]
	s_waitcnt vmcnt(1)
	v_sub_f32_e32 v65, v129, v65
	s_waitcnt vmcnt(0)
	v_sub_f32_e32 v64, v130, v64
	buffer_store_dword v65, off, s[0:3], 0 offset:112
	buffer_store_dword v64, off, s[0:3], 0 offset:116
	s_and_saveexec_b64 s[4:5], vcc
	s_cbranch_execz .LBB30_173
; %bb.172:
	buffer_load_dword v64, off, s[0:3], 0 offset:104
	buffer_load_dword v65, off, s[0:3], 0 offset:108
	v_mov_b32_e32 v66, 0
	buffer_store_dword v66, off, s[0:3], 0 offset:104
	buffer_store_dword v66, off, s[0:3], 0 offset:108
	s_waitcnt vmcnt(2)
	ds_write_b64 v63, v[64:65]
.LBB30_173:
	s_or_b64 exec, exec, s[4:5]
	s_waitcnt lgkmcnt(0)
	; wave barrier
	buffer_load_dword v99, off, s[0:3], 0 offset:116
	buffer_load_dword v100, off, s[0:3], 0 offset:124
	;; [unrolled: 1-line block ×36, first 2 shown]
	v_mov_b32_e32 v64, 0
	ds_read_b128 v[65:68], v64 offset:368
	ds_read_b128 v[69:72], v64 offset:384
	;; [unrolled: 1-line block ×8, first 2 shown]
	ds_read_b64 v[97:98], v64 offset:496
	v_cmp_lt_u32_e32 vcc, 12, v0
	s_waitcnt vmcnt(35) lgkmcnt(8)
	v_mul_f32_e32 v135, v65, v99
	s_waitcnt vmcnt(34)
	v_mul_f32_e32 v136, v67, v100
	s_waitcnt vmcnt(33) lgkmcnt(7)
	v_mul_f32_e32 v137, v69, v101
	s_waitcnt vmcnt(32)
	v_mul_f32_e32 v138, v71, v102
	;; [unrolled: 4-line block ×8, first 2 shown]
	s_waitcnt vmcnt(19) lgkmcnt(0)
	v_mul_f32_e32 v151, v97, v115
	s_waitcnt vmcnt(18)
	v_fmac_f32_e32 v135, v66, v116
	v_mul_f32_e32 v66, v66, v99
	v_fma_f32 v65, v65, v116, -v66
	v_mul_f32_e32 v66, v68, v100
	v_add_f32_e32 v65, 0, v65
	s_waitcnt vmcnt(17)
	v_fma_f32 v66, v67, v117, -v66
	v_add_f32_e32 v65, v65, v66
	v_mul_f32_e32 v66, v70, v101
	s_waitcnt vmcnt(16)
	v_fma_f32 v66, v69, v118, -v66
	v_add_f32_e32 v65, v65, v66
	v_mul_f32_e32 v66, v72, v102
	s_waitcnt vmcnt(15)
	v_fma_f32 v66, v71, v119, -v66
	v_add_f32_e32 v65, v65, v66
	v_mul_f32_e32 v66, v74, v103
	s_waitcnt vmcnt(14)
	v_fma_f32 v66, v73, v120, -v66
	v_add_f32_e32 v65, v65, v66
	v_mul_f32_e32 v66, v76, v104
	s_waitcnt vmcnt(13)
	v_fma_f32 v66, v75, v121, -v66
	v_add_f32_e32 v65, v65, v66
	v_mul_f32_e32 v66, v78, v105
	s_waitcnt vmcnt(12)
	v_fma_f32 v66, v77, v122, -v66
	v_add_f32_e32 v65, v65, v66
	v_mul_f32_e32 v66, v80, v106
	s_waitcnt vmcnt(11)
	v_fma_f32 v66, v79, v123, -v66
	v_add_f32_e32 v65, v65, v66
	v_mul_f32_e32 v66, v82, v107
	s_waitcnt vmcnt(10)
	v_fma_f32 v66, v81, v124, -v66
	v_add_f32_e32 v65, v65, v66
	v_mul_f32_e32 v66, v84, v108
	v_fmac_f32_e32 v136, v68, v117
	v_add_f32_e32 v135, 0, v135
	s_waitcnt vmcnt(9)
	v_fma_f32 v66, v83, v125, -v66
	v_fmac_f32_e32 v137, v70, v118
	v_add_f32_e32 v135, v135, v136
	v_add_f32_e32 v65, v65, v66
	v_mul_f32_e32 v66, v86, v109
	v_fmac_f32_e32 v138, v72, v119
	v_add_f32_e32 v135, v135, v137
	s_waitcnt vmcnt(8)
	v_fma_f32 v66, v85, v126, -v66
	v_fmac_f32_e32 v139, v74, v120
	v_add_f32_e32 v135, v135, v138
	v_add_f32_e32 v65, v65, v66
	v_mul_f32_e32 v66, v88, v110
	;; [unrolled: 8-line block ×7, first 2 shown]
	v_fmac_f32_e32 v150, v96, v131
	v_add_f32_e32 v135, v135, v149
	s_waitcnt vmcnt(2)
	v_fma_f32 v66, v97, v132, -v66
	v_fmac_f32_e32 v151, v98, v132
	v_add_f32_e32 v135, v135, v150
	v_add_f32_e32 v65, v65, v66
	;; [unrolled: 1-line block ×3, first 2 shown]
	s_waitcnt vmcnt(1)
	v_sub_f32_e32 v65, v133, v65
	s_waitcnt vmcnt(0)
	v_sub_f32_e32 v66, v134, v135
	buffer_store_dword v65, off, s[0:3], 0 offset:104
	buffer_store_dword v66, off, s[0:3], 0 offset:108
	s_and_saveexec_b64 s[4:5], vcc
	s_cbranch_execz .LBB30_175
; %bb.174:
	buffer_load_dword v65, off, s[0:3], 0 offset:96
	buffer_load_dword v66, off, s[0:3], 0 offset:100
	s_waitcnt vmcnt(0)
	ds_write_b64 v63, v[65:66]
	buffer_store_dword v64, off, s[0:3], 0 offset:96
	buffer_store_dword v64, off, s[0:3], 0 offset:100
.LBB30_175:
	s_or_b64 exec, exec, s[4:5]
	s_waitcnt lgkmcnt(0)
	; wave barrier
	buffer_load_dword v101, off, s[0:3], 0 offset:108
	buffer_load_dword v102, off, s[0:3], 0 offset:116
	;; [unrolled: 1-line block ×38, first 2 shown]
	ds_read2_b64 v[65:68], v64 offset0:45 offset1:46
	ds_read2_b64 v[69:72], v64 offset0:47 offset1:48
	ds_read2_b64 v[73:76], v64 offset0:49 offset1:50
	ds_read2_b64 v[77:80], v64 offset0:51 offset1:52
	ds_read2_b64 v[81:84], v64 offset0:53 offset1:54
	ds_read2_b64 v[85:88], v64 offset0:55 offset1:56
	ds_read2_b64 v[89:92], v64 offset0:57 offset1:58
	ds_read2_b64 v[93:96], v64 offset0:59 offset1:60
	ds_read2_b64 v[97:100], v64 offset0:61 offset1:62
	v_cmp_lt_u32_e32 vcc, 11, v0
	s_waitcnt vmcnt(37) lgkmcnt(8)
	v_mul_f32_e32 v64, v65, v101
	s_waitcnt vmcnt(36)
	v_mul_f32_e32 v139, v67, v102
	s_waitcnt vmcnt(35) lgkmcnt(7)
	v_mul_f32_e32 v140, v69, v103
	s_waitcnt vmcnt(34)
	v_mul_f32_e32 v141, v71, v104
	;; [unrolled: 4-line block ×8, first 2 shown]
	s_waitcnt vmcnt(21) lgkmcnt(0)
	v_mul_f32_e32 v154, v97, v117
	s_waitcnt vmcnt(20)
	v_fmac_f32_e32 v64, v66, v118
	v_mul_f32_e32 v66, v66, v101
	v_fma_f32 v65, v65, v118, -v66
	v_mul_f32_e32 v66, v68, v102
	v_add_f32_e32 v65, 0, v65
	s_waitcnt vmcnt(19)
	v_fma_f32 v66, v67, v119, -v66
	v_add_f32_e32 v65, v65, v66
	v_mul_f32_e32 v66, v70, v103
	s_waitcnt vmcnt(18)
	v_fma_f32 v66, v69, v120, -v66
	v_add_f32_e32 v65, v65, v66
	v_mul_f32_e32 v66, v72, v104
	;; [unrolled: 4-line block ×8, first 2 shown]
	s_waitcnt vmcnt(11)
	v_fma_f32 v66, v83, v127, -v66
	v_fmac_f32_e32 v139, v68, v119
	v_add_f32_e32 v64, 0, v64
	v_add_f32_e32 v65, v65, v66
	v_mul_f32_e32 v66, v86, v111
	v_fmac_f32_e32 v140, v70, v120
	v_add_f32_e32 v64, v64, v139
	s_waitcnt vmcnt(10)
	v_fma_f32 v66, v85, v128, -v66
	v_fmac_f32_e32 v141, v72, v121
	v_add_f32_e32 v64, v64, v140
	v_add_f32_e32 v65, v65, v66
	v_mul_f32_e32 v66, v88, v112
	v_fmac_f32_e32 v142, v74, v122
	v_add_f32_e32 v64, v64, v141
	;; [unrolled: 8-line block ×7, first 2 shown]
	s_waitcnt vmcnt(4)
	v_fma_f32 v66, v97, v134, -v66
	v_fmac_f32_e32 v153, v96, v133
	v_add_f32_e32 v64, v64, v152
	v_add_f32_e32 v65, v65, v66
	s_waitcnt vmcnt(3)
	v_mul_f32_e32 v66, v100, v135
	v_add_f32_e32 v64, v64, v153
	v_fmac_f32_e32 v154, v98, v134
	v_mul_f32_e32 v139, v99, v135
	s_waitcnt vmcnt(2)
	v_fma_f32 v66, v99, v136, -v66
	v_add_f32_e32 v64, v64, v154
	v_fmac_f32_e32 v139, v100, v136
	v_add_f32_e32 v65, v65, v66
	v_add_f32_e32 v64, v64, v139
	s_waitcnt vmcnt(1)
	v_sub_f32_e32 v65, v137, v65
	s_waitcnt vmcnt(0)
	v_sub_f32_e32 v64, v138, v64
	buffer_store_dword v65, off, s[0:3], 0 offset:96
	buffer_store_dword v64, off, s[0:3], 0 offset:100
	s_and_saveexec_b64 s[4:5], vcc
	s_cbranch_execz .LBB30_177
; %bb.176:
	buffer_load_dword v64, off, s[0:3], 0 offset:88
	buffer_load_dword v65, off, s[0:3], 0 offset:92
	v_mov_b32_e32 v66, 0
	buffer_store_dword v66, off, s[0:3], 0 offset:88
	buffer_store_dword v66, off, s[0:3], 0 offset:92
	s_waitcnt vmcnt(2)
	ds_write_b64 v63, v[64:65]
.LBB30_177:
	s_or_b64 exec, exec, s[4:5]
	s_waitcnt lgkmcnt(0)
	; wave barrier
	buffer_load_dword v103, off, s[0:3], 0 offset:100
	buffer_load_dword v104, off, s[0:3], 0 offset:108
	;; [unrolled: 1-line block ×40, first 2 shown]
	v_mov_b32_e32 v64, 0
	ds_read_b128 v[65:68], v64 offset:352
	ds_read_b128 v[69:72], v64 offset:368
	;; [unrolled: 1-line block ×9, first 2 shown]
	v_cmp_lt_u32_e32 vcc, 10, v0
	s_waitcnt vmcnt(39) lgkmcnt(8)
	v_mul_f32_e32 v101, v65, v103
	s_waitcnt vmcnt(38)
	v_mul_f32_e32 v102, v67, v104
	s_waitcnt vmcnt(37) lgkmcnt(7)
	v_mul_f32_e32 v143, v69, v105
	s_waitcnt vmcnt(36)
	v_mul_f32_e32 v144, v71, v106
	;; [unrolled: 4-line block ×7, first 2 shown]
	s_waitcnt vmcnt(25) lgkmcnt(1)
	v_mul_f32_e32 v155, v93, v117
	s_waitcnt vmcnt(24)
	v_fmac_f32_e32 v101, v66, v118
	v_mul_f32_e32 v66, v66, v103
	v_fma_f32 v65, v65, v118, -v66
	v_mul_f32_e32 v66, v68, v104
	v_add_f32_e32 v65, 0, v65
	s_waitcnt vmcnt(23)
	v_fma_f32 v66, v67, v119, -v66
	v_add_f32_e32 v65, v65, v66
	v_mul_f32_e32 v66, v70, v105
	s_waitcnt vmcnt(22)
	v_fma_f32 v66, v69, v120, -v66
	v_add_f32_e32 v65, v65, v66
	v_mul_f32_e32 v66, v72, v106
	;; [unrolled: 4-line block ×6, first 2 shown]
	s_waitcnt vmcnt(17)
	v_fma_f32 v66, v79, v125, -v66
	v_fmac_f32_e32 v102, v68, v119
	v_add_f32_e32 v101, 0, v101
	v_add_f32_e32 v65, v65, v66
	v_mul_f32_e32 v66, v82, v111
	v_fmac_f32_e32 v143, v70, v120
	v_add_f32_e32 v101, v101, v102
	s_waitcnt vmcnt(16)
	v_fma_f32 v66, v81, v126, -v66
	v_fmac_f32_e32 v144, v72, v121
	v_add_f32_e32 v101, v101, v143
	v_add_f32_e32 v65, v65, v66
	v_mul_f32_e32 v66, v84, v112
	v_fmac_f32_e32 v145, v74, v122
	v_add_f32_e32 v101, v101, v144
	;; [unrolled: 8-line block ×6, first 2 shown]
	s_waitcnt vmcnt(11)
	v_fma_f32 v66, v91, v131, -v66
	v_fmac_f32_e32 v154, v92, v131
	v_add_f32_e32 v101, v101, v153
	v_add_f32_e32 v65, v65, v66
	v_mul_f32_e32 v66, v94, v117
	s_waitcnt vmcnt(10)
	v_fmac_f32_e32 v155, v94, v132
	v_add_f32_e32 v101, v101, v154
	s_waitcnt vmcnt(9)
	v_mul_f32_e32 v102, v95, v133
	v_fma_f32 v66, v93, v132, -v66
	v_add_f32_e32 v101, v101, v155
	s_waitcnt vmcnt(8)
	v_fmac_f32_e32 v102, v96, v134
	v_add_f32_e32 v65, v65, v66
	v_mul_f32_e32 v66, v96, v133
	v_add_f32_e32 v143, v101, v102
	ds_read_b64 v[101:102], v64 offset:496
	v_fma_f32 v66, v95, v134, -v66
	v_add_f32_e32 v65, v65, v66
	s_waitcnt vmcnt(7) lgkmcnt(1)
	v_mul_f32_e32 v66, v98, v135
	v_mul_f32_e32 v144, v97, v135
	s_waitcnt vmcnt(6)
	v_fma_f32 v66, v97, v136, -v66
	v_fmac_f32_e32 v144, v98, v136
	v_add_f32_e32 v65, v65, v66
	s_waitcnt vmcnt(5)
	v_mul_f32_e32 v66, v100, v137
	v_add_f32_e32 v143, v143, v144
	v_mul_f32_e32 v144, v99, v137
	s_waitcnt vmcnt(4)
	v_fma_f32 v66, v99, v138, -v66
	v_fmac_f32_e32 v144, v100, v138
	v_add_f32_e32 v65, v65, v66
	s_waitcnt vmcnt(3) lgkmcnt(0)
	v_mul_f32_e32 v66, v102, v139
	v_add_f32_e32 v143, v143, v144
	v_mul_f32_e32 v144, v101, v139
	s_waitcnt vmcnt(2)
	v_fma_f32 v66, v101, v140, -v66
	v_fmac_f32_e32 v144, v102, v140
	v_add_f32_e32 v65, v65, v66
	v_add_f32_e32 v143, v143, v144
	s_waitcnt vmcnt(1)
	v_sub_f32_e32 v65, v141, v65
	s_waitcnt vmcnt(0)
	v_sub_f32_e32 v66, v142, v143
	buffer_store_dword v65, off, s[0:3], 0 offset:88
	buffer_store_dword v66, off, s[0:3], 0 offset:92
	s_and_saveexec_b64 s[4:5], vcc
	s_cbranch_execz .LBB30_179
; %bb.178:
	buffer_load_dword v65, off, s[0:3], 0 offset:80
	buffer_load_dword v66, off, s[0:3], 0 offset:84
	s_waitcnt vmcnt(0)
	ds_write_b64 v63, v[65:66]
	buffer_store_dword v64, off, s[0:3], 0 offset:80
	buffer_store_dword v64, off, s[0:3], 0 offset:84
.LBB30_179:
	s_or_b64 exec, exec, s[4:5]
	s_waitcnt lgkmcnt(0)
	; wave barrier
	buffer_load_dword v105, off, s[0:3], 0 offset:92
	buffer_load_dword v106, off, s[0:3], 0 offset:100
	buffer_load_dword v107, off, s[0:3], 0 offset:108
	buffer_load_dword v108, off, s[0:3], 0 offset:116
	buffer_load_dword v109, off, s[0:3], 0 offset:124
	buffer_load_dword v110, off, s[0:3], 0 offset:132
	buffer_load_dword v111, off, s[0:3], 0 offset:140
	buffer_load_dword v112, off, s[0:3], 0 offset:148
	buffer_load_dword v113, off, s[0:3], 0 offset:156
	buffer_load_dword v114, off, s[0:3], 0 offset:164
	buffer_load_dword v115, off, s[0:3], 0 offset:172
	buffer_load_dword v116, off, s[0:3], 0 offset:180
	buffer_load_dword v117, off, s[0:3], 0 offset:188
	buffer_load_dword v118, off, s[0:3], 0 offset:196
	buffer_load_dword v119, off, s[0:3], 0 offset:204
	buffer_load_dword v120, off, s[0:3], 0 offset:88
	buffer_load_dword v121, off, s[0:3], 0 offset:96
	buffer_load_dword v122, off, s[0:3], 0 offset:104
	buffer_load_dword v123, off, s[0:3], 0 offset:112
	buffer_load_dword v124, off, s[0:3], 0 offset:120
	buffer_load_dword v125, off, s[0:3], 0 offset:128
	buffer_load_dword v126, off, s[0:3], 0 offset:136
	buffer_load_dword v127, off, s[0:3], 0 offset:144
	buffer_load_dword v128, off, s[0:3], 0 offset:152
	buffer_load_dword v129, off, s[0:3], 0 offset:160
	buffer_load_dword v130, off, s[0:3], 0 offset:168
	buffer_load_dword v131, off, s[0:3], 0 offset:176
	buffer_load_dword v132, off, s[0:3], 0 offset:184
	buffer_load_dword v133, off, s[0:3], 0 offset:192
	buffer_load_dword v134, off, s[0:3], 0 offset:200
	buffer_load_dword v135, off, s[0:3], 0 offset:212
	buffer_load_dword v136, off, s[0:3], 0 offset:208
	buffer_load_dword v137, off, s[0:3], 0 offset:220
	buffer_load_dword v138, off, s[0:3], 0 offset:216
	buffer_load_dword v139, off, s[0:3], 0 offset:228
	buffer_load_dword v140, off, s[0:3], 0 offset:224
	buffer_load_dword v141, off, s[0:3], 0 offset:236
	buffer_load_dword v142, off, s[0:3], 0 offset:232
	buffer_load_dword v143, off, s[0:3], 0 offset:244
	buffer_load_dword v144, off, s[0:3], 0 offset:240
	buffer_load_dword v145, off, s[0:3], 0 offset:80
	buffer_load_dword v146, off, s[0:3], 0 offset:84
	ds_read2_b64 v[65:68], v64 offset0:43 offset1:44
	ds_read2_b64 v[69:72], v64 offset0:45 offset1:46
	;; [unrolled: 1-line block ×8, first 2 shown]
	v_cmp_lt_u32_e32 vcc, 9, v0
	s_waitcnt vmcnt(41) lgkmcnt(7)
	v_mul_f32_e32 v97, v65, v105
	s_waitcnt vmcnt(40)
	v_mul_f32_e32 v98, v67, v106
	s_waitcnt vmcnt(39) lgkmcnt(6)
	v_mul_f32_e32 v99, v69, v107
	s_waitcnt vmcnt(38)
	v_mul_f32_e32 v100, v71, v108
	;; [unrolled: 4-line block ×7, first 2 shown]
	s_waitcnt vmcnt(27) lgkmcnt(0)
	v_mul_f32_e32 v153, v93, v119
	s_waitcnt vmcnt(26)
	v_fmac_f32_e32 v97, v66, v120
	v_mul_f32_e32 v66, v66, v105
	v_fma_f32 v65, v65, v120, -v66
	v_mul_f32_e32 v66, v68, v106
	v_add_f32_e32 v65, 0, v65
	s_waitcnt vmcnt(25)
	v_fma_f32 v66, v67, v121, -v66
	v_add_f32_e32 v65, v65, v66
	v_mul_f32_e32 v66, v70, v107
	s_waitcnt vmcnt(24)
	v_fma_f32 v66, v69, v122, -v66
	v_add_f32_e32 v65, v65, v66
	v_mul_f32_e32 v66, v72, v108
	;; [unrolled: 4-line block ×5, first 2 shown]
	v_fmac_f32_e32 v98, v68, v121
	v_add_f32_e32 v97, 0, v97
	s_waitcnt vmcnt(20)
	v_fma_f32 v66, v77, v126, -v66
	v_fmac_f32_e32 v99, v70, v122
	v_add_f32_e32 v97, v97, v98
	v_add_f32_e32 v65, v65, v66
	v_mul_f32_e32 v66, v80, v112
	v_fmac_f32_e32 v100, v72, v123
	v_add_f32_e32 v97, v97, v99
	s_waitcnt vmcnt(19)
	v_fma_f32 v66, v79, v127, -v66
	v_fmac_f32_e32 v101, v74, v124
	v_add_f32_e32 v97, v97, v100
	v_add_f32_e32 v65, v65, v66
	v_mul_f32_e32 v66, v82, v113
	;; [unrolled: 8-line block ×5, first 2 shown]
	s_waitcnt vmcnt(15)
	v_fmac_f32_e32 v150, v88, v131
	v_add_f32_e32 v97, v97, v149
	v_fma_f32 v66, v87, v131, -v66
	s_waitcnt vmcnt(14)
	v_fmac_f32_e32 v151, v90, v132
	v_add_f32_e32 v97, v97, v150
	v_add_f32_e32 v65, v65, v66
	v_mul_f32_e32 v66, v90, v117
	s_waitcnt vmcnt(13)
	v_fmac_f32_e32 v152, v92, v133
	v_add_f32_e32 v97, v97, v151
	v_fma_f32 v66, v89, v132, -v66
	s_waitcnt vmcnt(12)
	v_fmac_f32_e32 v153, v94, v134
	v_add_f32_e32 v97, v97, v152
	v_add_f32_e32 v65, v65, v66
	v_mul_f32_e32 v66, v92, v118
	v_add_f32_e32 v101, v97, v153
	ds_read2_b64 v[97:100], v64 offset0:59 offset1:60
	v_fma_f32 v66, v91, v133, -v66
	v_add_f32_e32 v65, v65, v66
	v_mul_f32_e32 v66, v94, v119
	s_waitcnt vmcnt(11)
	v_mul_f32_e32 v102, v95, v135
	v_fma_f32 v66, v93, v134, -v66
	s_waitcnt vmcnt(10)
	v_fmac_f32_e32 v102, v96, v136
	v_add_f32_e32 v65, v65, v66
	v_mul_f32_e32 v66, v96, v135
	v_add_f32_e32 v147, v101, v102
	ds_read2_b64 v[101:104], v64 offset0:61 offset1:62
	v_fma_f32 v66, v95, v136, -v66
	v_add_f32_e32 v65, v65, v66
	s_waitcnt vmcnt(9) lgkmcnt(1)
	v_mul_f32_e32 v66, v98, v137
	v_mul_f32_e32 v64, v97, v137
	s_waitcnt vmcnt(8)
	v_fma_f32 v66, v97, v138, -v66
	v_fmac_f32_e32 v64, v98, v138
	v_add_f32_e32 v65, v65, v66
	s_waitcnt vmcnt(7)
	v_mul_f32_e32 v66, v100, v139
	v_add_f32_e32 v64, v147, v64
	v_mul_f32_e32 v147, v99, v139
	s_waitcnt vmcnt(6)
	v_fma_f32 v66, v99, v140, -v66
	v_fmac_f32_e32 v147, v100, v140
	v_add_f32_e32 v65, v65, v66
	s_waitcnt vmcnt(5) lgkmcnt(0)
	v_mul_f32_e32 v66, v102, v141
	v_add_f32_e32 v64, v64, v147
	v_mul_f32_e32 v147, v101, v141
	s_waitcnt vmcnt(4)
	v_fma_f32 v66, v101, v142, -v66
	v_fmac_f32_e32 v147, v102, v142
	v_add_f32_e32 v65, v65, v66
	s_waitcnt vmcnt(3)
	v_mul_f32_e32 v66, v104, v143
	v_add_f32_e32 v64, v64, v147
	v_mul_f32_e32 v147, v103, v143
	s_waitcnt vmcnt(2)
	v_fma_f32 v66, v103, v144, -v66
	v_fmac_f32_e32 v147, v104, v144
	v_add_f32_e32 v65, v65, v66
	v_add_f32_e32 v64, v64, v147
	s_waitcnt vmcnt(1)
	v_sub_f32_e32 v65, v145, v65
	s_waitcnt vmcnt(0)
	v_sub_f32_e32 v64, v146, v64
	buffer_store_dword v65, off, s[0:3], 0 offset:80
	buffer_store_dword v64, off, s[0:3], 0 offset:84
	s_and_saveexec_b64 s[4:5], vcc
	s_cbranch_execz .LBB30_181
; %bb.180:
	buffer_load_dword v64, off, s[0:3], 0 offset:72
	buffer_load_dword v65, off, s[0:3], 0 offset:76
	v_mov_b32_e32 v66, 0
	buffer_store_dword v66, off, s[0:3], 0 offset:72
	buffer_store_dword v66, off, s[0:3], 0 offset:76
	s_waitcnt vmcnt(2)
	ds_write_b64 v63, v[64:65]
.LBB30_181:
	s_or_b64 exec, exec, s[4:5]
	s_waitcnt lgkmcnt(0)
	; wave barrier
	buffer_load_dword v107, off, s[0:3], 0 offset:84
	buffer_load_dword v108, off, s[0:3], 0 offset:92
	;; [unrolled: 1-line block ×44, first 2 shown]
	v_mov_b32_e32 v64, 0
	ds_read_b128 v[65:68], v64 offset:336
	ds_read_b128 v[69:72], v64 offset:352
	;; [unrolled: 1-line block ×8, first 2 shown]
	v_cmp_lt_u32_e32 vcc, 8, v0
	s_waitcnt vmcnt(43) lgkmcnt(7)
	v_mul_f32_e32 v97, v65, v107
	s_waitcnt vmcnt(42)
	v_mul_f32_e32 v98, v67, v108
	s_waitcnt vmcnt(41) lgkmcnt(6)
	v_mul_f32_e32 v99, v69, v109
	s_waitcnt vmcnt(40)
	v_mul_f32_e32 v100, v71, v110
	;; [unrolled: 4-line block ×7, first 2 shown]
	s_waitcnt vmcnt(29)
	v_fmac_f32_e32 v97, v66, v121
	v_mul_f32_e32 v66, v66, v107
	v_fma_f32 v65, v65, v121, -v66
	v_mul_f32_e32 v66, v68, v108
	v_add_f32_e32 v65, 0, v65
	s_waitcnt vmcnt(28)
	v_fma_f32 v66, v67, v122, -v66
	v_add_f32_e32 v65, v65, v66
	v_mul_f32_e32 v66, v70, v109
	s_waitcnt vmcnt(27)
	v_fma_f32 v66, v69, v123, -v66
	v_add_f32_e32 v65, v65, v66
	v_mul_f32_e32 v66, v72, v110
	;; [unrolled: 4-line block ×4, first 2 shown]
	s_waitcnt vmcnt(24)
	v_fma_f32 v66, v75, v126, -v66
	v_fmac_f32_e32 v98, v68, v122
	v_add_f32_e32 v97, 0, v97
	v_add_f32_e32 v65, v65, v66
	v_mul_f32_e32 v66, v78, v113
	v_fmac_f32_e32 v99, v70, v123
	v_add_f32_e32 v97, v97, v98
	s_waitcnt vmcnt(23)
	v_fma_f32 v66, v77, v127, -v66
	v_fmac_f32_e32 v100, v72, v124
	v_add_f32_e32 v97, v97, v99
	v_add_f32_e32 v65, v65, v66
	v_mul_f32_e32 v66, v80, v114
	v_fmac_f32_e32 v101, v74, v125
	v_add_f32_e32 v97, v97, v100
	;; [unrolled: 8-line block ×4, first 2 shown]
	s_waitcnt vmcnt(20)
	v_fma_f32 v66, v83, v130, -v66
	v_fmac_f32_e32 v106, v84, v130
	v_add_f32_e32 v97, v97, v105
	v_add_f32_e32 v65, v65, v66
	v_mul_f32_e32 v66, v86, v117
	s_waitcnt vmcnt(19)
	v_fmac_f32_e32 v151, v86, v131
	v_add_f32_e32 v97, v97, v106
	v_fma_f32 v66, v85, v131, -v66
	s_waitcnt vmcnt(18)
	v_fmac_f32_e32 v152, v88, v132
	v_add_f32_e32 v97, v97, v151
	v_add_f32_e32 v65, v65, v66
	v_mul_f32_e32 v66, v88, v118
	s_waitcnt vmcnt(17)
	v_fmac_f32_e32 v153, v90, v133
	v_add_f32_e32 v97, v97, v152
	v_fma_f32 v66, v87, v132, -v66
	v_add_f32_e32 v97, v97, v153
	s_waitcnt vmcnt(16)
	v_fmac_f32_e32 v154, v92, v134
	s_waitcnt vmcnt(15) lgkmcnt(0)
	v_mul_f32_e32 v98, v93, v135
	v_add_f32_e32 v65, v65, v66
	v_mul_f32_e32 v66, v90, v119
	v_add_f32_e32 v97, v97, v154
	s_waitcnt vmcnt(14)
	v_fmac_f32_e32 v98, v94, v136
	v_fma_f32 v66, v89, v133, -v66
	v_add_f32_e32 v101, v97, v98
	ds_read_b128 v[97:100], v64 offset:464
	v_add_f32_e32 v65, v65, v66
	v_mul_f32_e32 v66, v92, v120
	v_fma_f32 v66, v91, v134, -v66
	v_add_f32_e32 v65, v65, v66
	v_mul_f32_e32 v66, v94, v135
	s_waitcnt vmcnt(13)
	v_mul_f32_e32 v102, v95, v137
	v_fma_f32 v66, v93, v136, -v66
	s_waitcnt vmcnt(12)
	v_fmac_f32_e32 v102, v96, v138
	v_add_f32_e32 v65, v65, v66
	v_mul_f32_e32 v66, v96, v137
	v_add_f32_e32 v105, v101, v102
	ds_read_b128 v[101:104], v64 offset:480
	s_waitcnt vmcnt(11) lgkmcnt(1)
	v_mul_f32_e32 v106, v97, v139
	v_fma_f32 v66, v95, v138, -v66
	s_waitcnt vmcnt(10)
	v_fmac_f32_e32 v106, v98, v140
	v_add_f32_e32 v65, v65, v66
	v_mul_f32_e32 v66, v98, v139
	v_add_f32_e32 v105, v105, v106
	s_waitcnt vmcnt(9)
	v_mul_f32_e32 v106, v99, v141
	v_fma_f32 v66, v97, v140, -v66
	s_waitcnt vmcnt(8)
	v_fmac_f32_e32 v106, v100, v142
	v_add_f32_e32 v65, v65, v66
	v_mul_f32_e32 v66, v100, v141
	v_add_f32_e32 v151, v105, v106
	ds_read_b64 v[105:106], v64 offset:496
	v_fma_f32 v66, v99, v142, -v66
	v_add_f32_e32 v65, v65, v66
	s_waitcnt vmcnt(7) lgkmcnt(1)
	v_mul_f32_e32 v66, v102, v143
	v_mul_f32_e32 v152, v101, v143
	s_waitcnt vmcnt(6)
	v_fma_f32 v66, v101, v144, -v66
	v_fmac_f32_e32 v152, v102, v144
	v_add_f32_e32 v65, v65, v66
	s_waitcnt vmcnt(5)
	v_mul_f32_e32 v66, v104, v145
	v_add_f32_e32 v151, v151, v152
	v_mul_f32_e32 v152, v103, v145
	s_waitcnt vmcnt(4)
	v_fma_f32 v66, v103, v146, -v66
	v_fmac_f32_e32 v152, v104, v146
	v_add_f32_e32 v65, v65, v66
	s_waitcnt vmcnt(3) lgkmcnt(0)
	v_mul_f32_e32 v66, v106, v147
	v_add_f32_e32 v151, v151, v152
	v_mul_f32_e32 v152, v105, v147
	s_waitcnt vmcnt(2)
	v_fma_f32 v66, v105, v148, -v66
	v_fmac_f32_e32 v152, v106, v148
	v_add_f32_e32 v65, v65, v66
	v_add_f32_e32 v151, v151, v152
	s_waitcnt vmcnt(1)
	v_sub_f32_e32 v65, v149, v65
	s_waitcnt vmcnt(0)
	v_sub_f32_e32 v66, v150, v151
	buffer_store_dword v65, off, s[0:3], 0 offset:72
	buffer_store_dword v66, off, s[0:3], 0 offset:76
	s_and_saveexec_b64 s[4:5], vcc
	s_cbranch_execz .LBB30_183
; %bb.182:
	buffer_load_dword v65, off, s[0:3], 0 offset:64
	buffer_load_dword v66, off, s[0:3], 0 offset:68
	s_waitcnt vmcnt(0)
	ds_write_b64 v63, v[65:66]
	buffer_store_dword v64, off, s[0:3], 0 offset:64
	buffer_store_dword v64, off, s[0:3], 0 offset:68
.LBB30_183:
	s_or_b64 exec, exec, s[4:5]
	s_waitcnt lgkmcnt(0)
	; wave barrier
	buffer_load_dword v109, off, s[0:3], 0 offset:76
	buffer_load_dword v110, off, s[0:3], 0 offset:84
	;; [unrolled: 1-line block ×46, first 2 shown]
	ds_read2_b64 v[65:68], v64 offset0:41 offset1:42
	ds_read2_b64 v[69:72], v64 offset0:43 offset1:44
	;; [unrolled: 1-line block ×8, first 2 shown]
	v_cmp_lt_u32_e32 vcc, 7, v0
	s_waitcnt vmcnt(45) lgkmcnt(7)
	v_mul_f32_e32 v97, v65, v109
	s_waitcnt vmcnt(44)
	v_mul_f32_e32 v98, v67, v110
	s_waitcnt vmcnt(43) lgkmcnt(6)
	v_mul_f32_e32 v99, v69, v111
	s_waitcnt vmcnt(42)
	v_mul_f32_e32 v100, v71, v112
	;; [unrolled: 4-line block ×6, first 2 shown]
	s_waitcnt vmcnt(33) lgkmcnt(1)
	v_mul_f32_e32 v155, v89, v121
	s_waitcnt vmcnt(32)
	v_fmac_f32_e32 v97, v66, v122
	v_mul_f32_e32 v66, v66, v109
	v_fma_f32 v65, v65, v122, -v66
	v_mul_f32_e32 v66, v68, v110
	v_add_f32_e32 v65, 0, v65
	s_waitcnt vmcnt(31)
	v_fma_f32 v66, v67, v123, -v66
	v_add_f32_e32 v65, v65, v66
	v_mul_f32_e32 v66, v70, v111
	s_waitcnt vmcnt(30)
	v_fma_f32 v66, v69, v124, -v66
	v_add_f32_e32 v65, v65, v66
	v_mul_f32_e32 v66, v72, v112
	s_waitcnt vmcnt(29)
	v_fma_f32 v66, v71, v125, -v66
	v_add_f32_e32 v65, v65, v66
	v_mul_f32_e32 v66, v74, v113
	s_waitcnt vmcnt(28)
	v_fma_f32 v66, v73, v126, -v66
	v_add_f32_e32 v65, v65, v66
	v_mul_f32_e32 v66, v76, v114
	v_fmac_f32_e32 v98, v68, v123
	v_add_f32_e32 v97, 0, v97
	s_waitcnt vmcnt(27)
	v_fma_f32 v66, v75, v127, -v66
	v_fmac_f32_e32 v99, v70, v124
	v_add_f32_e32 v97, v97, v98
	v_add_f32_e32 v65, v65, v66
	v_mul_f32_e32 v66, v78, v115
	v_fmac_f32_e32 v100, v72, v125
	v_add_f32_e32 v97, v97, v99
	s_waitcnt vmcnt(26)
	v_fma_f32 v66, v77, v128, -v66
	v_fmac_f32_e32 v101, v74, v126
	v_add_f32_e32 v97, v97, v100
	v_add_f32_e32 v65, v65, v66
	v_mul_f32_e32 v66, v80, v116
	;; [unrolled: 8-line block ×4, first 2 shown]
	s_waitcnt vmcnt(23)
	v_fmac_f32_e32 v106, v84, v131
	v_add_f32_e32 v97, v97, v105
	v_fma_f32 v66, v83, v131, -v66
	s_waitcnt vmcnt(22)
	v_fmac_f32_e32 v107, v86, v132
	v_add_f32_e32 v97, v97, v106
	v_add_f32_e32 v65, v65, v66
	v_mul_f32_e32 v66, v86, v119
	s_waitcnt vmcnt(21)
	v_fmac_f32_e32 v108, v88, v133
	v_add_f32_e32 v97, v97, v107
	v_fma_f32 v66, v85, v132, -v66
	s_waitcnt vmcnt(20)
	v_fmac_f32_e32 v155, v90, v134
	v_add_f32_e32 v97, v97, v108
	s_waitcnt vmcnt(19)
	v_mul_f32_e32 v98, v91, v135
	v_add_f32_e32 v65, v65, v66
	v_mul_f32_e32 v66, v88, v120
	v_add_f32_e32 v97, v97, v155
	s_waitcnt vmcnt(18)
	v_fmac_f32_e32 v98, v92, v136
	v_fma_f32 v66, v87, v133, -v66
	v_add_f32_e32 v97, v97, v98
	s_waitcnt vmcnt(17) lgkmcnt(0)
	v_mul_f32_e32 v98, v93, v137
	v_add_f32_e32 v65, v65, v66
	v_mul_f32_e32 v66, v90, v121
	s_waitcnt vmcnt(16)
	v_fmac_f32_e32 v98, v94, v138
	v_fma_f32 v66, v89, v134, -v66
	v_add_f32_e32 v101, v97, v98
	ds_read2_b64 v[97:100], v64 offset0:57 offset1:58
	v_add_f32_e32 v65, v65, v66
	v_mul_f32_e32 v66, v92, v135
	v_fma_f32 v66, v91, v136, -v66
	v_add_f32_e32 v65, v65, v66
	v_mul_f32_e32 v66, v94, v137
	s_waitcnt vmcnt(15)
	v_mul_f32_e32 v102, v95, v139
	v_fma_f32 v66, v93, v138, -v66
	s_waitcnt vmcnt(14)
	v_fmac_f32_e32 v102, v96, v140
	v_add_f32_e32 v65, v65, v66
	v_mul_f32_e32 v66, v96, v139
	v_add_f32_e32 v105, v101, v102
	ds_read2_b64 v[101:104], v64 offset0:59 offset1:60
	s_waitcnt vmcnt(13) lgkmcnt(1)
	v_mul_f32_e32 v106, v97, v141
	v_fma_f32 v66, v95, v140, -v66
	s_waitcnt vmcnt(12)
	v_fmac_f32_e32 v106, v98, v142
	v_add_f32_e32 v65, v65, v66
	v_mul_f32_e32 v66, v98, v141
	v_add_f32_e32 v105, v105, v106
	s_waitcnt vmcnt(11)
	v_mul_f32_e32 v106, v99, v143
	v_fma_f32 v66, v97, v142, -v66
	s_waitcnt vmcnt(10)
	v_fmac_f32_e32 v106, v100, v144
	v_add_f32_e32 v65, v65, v66
	v_mul_f32_e32 v66, v100, v143
	v_add_f32_e32 v155, v105, v106
	ds_read2_b64 v[105:108], v64 offset0:61 offset1:62
	v_fma_f32 v66, v99, v144, -v66
	v_add_f32_e32 v65, v65, v66
	s_waitcnt vmcnt(9) lgkmcnt(1)
	v_mul_f32_e32 v66, v102, v145
	v_mul_f32_e32 v156, v101, v145
	s_waitcnt vmcnt(8)
	v_fma_f32 v66, v101, v146, -v66
	v_fmac_f32_e32 v156, v102, v146
	v_add_f32_e32 v65, v65, v66
	s_waitcnt vmcnt(7)
	v_mul_f32_e32 v66, v104, v147
	v_add_f32_e32 v64, v155, v156
	v_mul_f32_e32 v155, v103, v147
	s_waitcnt vmcnt(6)
	v_fma_f32 v66, v103, v148, -v66
	v_fmac_f32_e32 v155, v104, v148
	v_add_f32_e32 v65, v65, v66
	s_waitcnt vmcnt(5) lgkmcnt(0)
	v_mul_f32_e32 v66, v106, v149
	v_add_f32_e32 v64, v64, v155
	v_mul_f32_e32 v155, v105, v149
	s_waitcnt vmcnt(4)
	v_fma_f32 v66, v105, v150, -v66
	v_fmac_f32_e32 v155, v106, v150
	v_add_f32_e32 v65, v65, v66
	s_waitcnt vmcnt(3)
	v_mul_f32_e32 v66, v108, v151
	v_add_f32_e32 v64, v64, v155
	v_mul_f32_e32 v155, v107, v151
	s_waitcnt vmcnt(2)
	v_fma_f32 v66, v107, v152, -v66
	v_fmac_f32_e32 v155, v108, v152
	v_add_f32_e32 v65, v65, v66
	v_add_f32_e32 v64, v64, v155
	s_waitcnt vmcnt(1)
	v_sub_f32_e32 v65, v153, v65
	s_waitcnt vmcnt(0)
	v_sub_f32_e32 v64, v154, v64
	buffer_store_dword v65, off, s[0:3], 0 offset:64
	buffer_store_dword v64, off, s[0:3], 0 offset:68
	s_and_saveexec_b64 s[4:5], vcc
	s_cbranch_execz .LBB30_185
; %bb.184:
	buffer_load_dword v64, off, s[0:3], 0 offset:56
	buffer_load_dword v65, off, s[0:3], 0 offset:60
	v_mov_b32_e32 v66, 0
	buffer_store_dword v66, off, s[0:3], 0 offset:56
	buffer_store_dword v66, off, s[0:3], 0 offset:60
	s_waitcnt vmcnt(2)
	ds_write_b64 v63, v[64:65]
.LBB30_185:
	s_or_b64 exec, exec, s[4:5]
	s_waitcnt lgkmcnt(0)
	; wave barrier
	buffer_load_dword v111, off, s[0:3], 0 offset:68
	buffer_load_dword v112, off, s[0:3], 0 offset:76
	;; [unrolled: 1-line block ×48, first 2 shown]
	v_mov_b32_e32 v64, 0
	ds_read_b128 v[65:68], v64 offset:320
	ds_read_b128 v[69:72], v64 offset:336
	;; [unrolled: 1-line block ×7, first 2 shown]
	v_cmp_lt_u32_e32 vcc, 6, v0
	s_waitcnt vmcnt(47) lgkmcnt(6)
	v_mul_f32_e32 v93, v65, v111
	s_waitcnt vmcnt(46)
	v_mul_f32_e32 v94, v67, v112
	s_waitcnt vmcnt(45) lgkmcnt(5)
	v_mul_f32_e32 v95, v69, v113
	s_waitcnt vmcnt(44)
	v_mul_f32_e32 v96, v71, v114
	;; [unrolled: 4-line block ×6, first 2 shown]
	s_waitcnt vmcnt(35)
	v_fmac_f32_e32 v93, v66, v123
	v_mul_f32_e32 v66, v66, v111
	v_fma_f32 v65, v65, v123, -v66
	v_mul_f32_e32 v66, v68, v112
	v_add_f32_e32 v65, 0, v65
	s_waitcnt vmcnt(34)
	v_fma_f32 v66, v67, v124, -v66
	v_add_f32_e32 v65, v65, v66
	v_mul_f32_e32 v66, v70, v113
	s_waitcnt vmcnt(33)
	v_fma_f32 v66, v69, v125, -v66
	v_fmac_f32_e32 v94, v68, v124
	v_add_f32_e32 v93, 0, v93
	v_add_f32_e32 v65, v65, v66
	v_mul_f32_e32 v66, v72, v114
	v_fmac_f32_e32 v95, v70, v125
	v_add_f32_e32 v93, v93, v94
	s_waitcnt vmcnt(32)
	v_fma_f32 v66, v71, v126, -v66
	v_fmac_f32_e32 v96, v72, v126
	v_add_f32_e32 v93, v93, v95
	v_add_f32_e32 v65, v65, v66
	v_mul_f32_e32 v66, v74, v115
	s_waitcnt vmcnt(31)
	v_fmac_f32_e32 v97, v74, v127
	v_add_f32_e32 v93, v93, v96
	v_fma_f32 v66, v73, v127, -v66
	s_waitcnt vmcnt(30)
	v_fmac_f32_e32 v98, v76, v128
	v_add_f32_e32 v93, v93, v97
	v_add_f32_e32 v65, v65, v66
	v_mul_f32_e32 v66, v76, v116
	s_waitcnt vmcnt(29)
	v_fmac_f32_e32 v99, v78, v129
	v_add_f32_e32 v93, v93, v98
	v_fma_f32 v66, v75, v128, -v66
	s_waitcnt vmcnt(28)
	;; [unrolled: 9-line block ×4, first 2 shown]
	v_fmac_f32_e32 v104, v88, v134
	v_add_f32_e32 v93, v93, v103
	v_add_f32_e32 v65, v65, v66
	v_mul_f32_e32 v66, v82, v119
	v_add_f32_e32 v97, v93, v104
	ds_read_b128 v[93:96], v64 offset:432
	v_fma_f32 v66, v81, v131, -v66
	s_waitcnt vmcnt(23) lgkmcnt(1)
	v_mul_f32_e32 v98, v89, v135
	v_add_f32_e32 v65, v65, v66
	v_mul_f32_e32 v66, v84, v120
	s_waitcnt vmcnt(22)
	v_fmac_f32_e32 v98, v90, v136
	v_fma_f32 v66, v83, v132, -v66
	v_add_f32_e32 v97, v97, v98
	s_waitcnt vmcnt(21)
	v_mul_f32_e32 v98, v91, v137
	v_add_f32_e32 v65, v65, v66
	v_mul_f32_e32 v66, v86, v121
	s_waitcnt vmcnt(20)
	v_fmac_f32_e32 v98, v92, v138
	v_fma_f32 v66, v85, v133, -v66
	v_add_f32_e32 v97, v97, v98
	s_waitcnt vmcnt(19) lgkmcnt(0)
	v_mul_f32_e32 v98, v93, v139
	v_add_f32_e32 v65, v65, v66
	v_mul_f32_e32 v66, v88, v122
	s_waitcnt vmcnt(18)
	v_fmac_f32_e32 v98, v94, v140
	v_fma_f32 v66, v87, v134, -v66
	v_add_f32_e32 v101, v97, v98
	ds_read_b128 v[97:100], v64 offset:448
	v_add_f32_e32 v65, v65, v66
	v_mul_f32_e32 v66, v90, v135
	v_fma_f32 v66, v89, v136, -v66
	s_waitcnt vmcnt(17)
	v_mul_f32_e32 v102, v95, v141
	v_add_f32_e32 v65, v65, v66
	v_mul_f32_e32 v66, v92, v137
	s_waitcnt vmcnt(16)
	v_fmac_f32_e32 v102, v96, v142
	v_fma_f32 v66, v91, v138, -v66
	v_add_f32_e32 v105, v101, v102
	ds_read_b128 v[101:104], v64 offset:464
	v_add_f32_e32 v65, v65, v66
	v_mul_f32_e32 v66, v94, v139
	s_waitcnt vmcnt(15) lgkmcnt(1)
	v_mul_f32_e32 v106, v97, v143
	v_fma_f32 v66, v93, v140, -v66
	s_waitcnt vmcnt(14)
	v_fmac_f32_e32 v106, v98, v144
	v_add_f32_e32 v65, v65, v66
	v_mul_f32_e32 v66, v96, v141
	v_add_f32_e32 v105, v105, v106
	s_waitcnt vmcnt(13)
	v_mul_f32_e32 v106, v99, v145
	v_fma_f32 v66, v95, v142, -v66
	s_waitcnt vmcnt(12)
	v_fmac_f32_e32 v106, v100, v146
	v_add_f32_e32 v65, v65, v66
	v_mul_f32_e32 v66, v98, v143
	v_add_f32_e32 v105, v105, v106
	s_waitcnt vmcnt(11) lgkmcnt(0)
	v_mul_f32_e32 v106, v101, v147
	v_fma_f32 v66, v97, v144, -v66
	s_waitcnt vmcnt(10)
	v_fmac_f32_e32 v106, v102, v148
	v_add_f32_e32 v65, v65, v66
	v_mul_f32_e32 v66, v100, v145
	v_add_f32_e32 v109, v105, v106
	ds_read_b128 v[105:108], v64 offset:480
	v_fma_f32 v66, v99, v146, -v66
	v_add_f32_e32 v65, v65, v66
	v_mul_f32_e32 v66, v102, v147
	s_waitcnt vmcnt(9)
	v_mul_f32_e32 v110, v103, v149
	v_fma_f32 v66, v101, v148, -v66
	s_waitcnt vmcnt(8)
	v_fmac_f32_e32 v110, v104, v150
	v_add_f32_e32 v65, v65, v66
	v_mul_f32_e32 v66, v104, v149
	v_add_f32_e32 v159, v109, v110
	ds_read_b64 v[109:110], v64 offset:496
	v_fma_f32 v66, v103, v150, -v66
	v_add_f32_e32 v65, v65, v66
	s_waitcnt vmcnt(6) lgkmcnt(1)
	v_mul_f32_e32 v66, v106, v152
	v_mul_f32_e32 v160, v105, v152
	v_fma_f32 v66, v105, v151, -v66
	v_fmac_f32_e32 v160, v106, v151
	v_add_f32_e32 v65, v65, v66
	s_waitcnt vmcnt(3)
	v_mul_f32_e32 v66, v108, v155
	v_add_f32_e32 v159, v159, v160
	v_mul_f32_e32 v160, v107, v155
	s_waitcnt vmcnt(2)
	v_fma_f32 v66, v107, v156, -v66
	v_fmac_f32_e32 v160, v108, v156
	v_add_f32_e32 v65, v65, v66
	s_waitcnt vmcnt(0) lgkmcnt(0)
	v_mul_f32_e32 v66, v110, v158
	v_add_f32_e32 v159, v159, v160
	v_mul_f32_e32 v160, v109, v158
	v_fma_f32 v66, v109, v157, -v66
	v_fmac_f32_e32 v160, v110, v157
	v_add_f32_e32 v65, v65, v66
	v_add_f32_e32 v159, v159, v160
	v_sub_f32_e32 v65, v153, v65
	v_sub_f32_e32 v66, v154, v159
	buffer_store_dword v65, off, s[0:3], 0 offset:56
	buffer_store_dword v66, off, s[0:3], 0 offset:60
	s_and_saveexec_b64 s[4:5], vcc
	s_cbranch_execz .LBB30_187
; %bb.186:
	buffer_load_dword v65, off, s[0:3], 0 offset:48
	buffer_load_dword v66, off, s[0:3], 0 offset:52
	s_waitcnt vmcnt(0)
	ds_write_b64 v63, v[65:66]
	buffer_store_dword v64, off, s[0:3], 0 offset:48
	buffer_store_dword v64, off, s[0:3], 0 offset:52
.LBB30_187:
	s_or_b64 exec, exec, s[4:5]
	s_waitcnt lgkmcnt(0)
	; wave barrier
	buffer_load_dword v113, off, s[0:3], 0 offset:60
	buffer_load_dword v114, off, s[0:3], 0 offset:68
	;; [unrolled: 1-line block ×48, first 2 shown]
	ds_read2_b64 v[65:68], v64 offset0:39 offset1:40
	ds_read2_b64 v[69:72], v64 offset0:41 offset1:42
	buffer_load_dword v161, off, s[0:3], 0 offset:240
	buffer_load_dword v162, off, s[0:3], 0 offset:244
	ds_read2_b64 v[73:76], v64 offset0:43 offset1:44
	ds_read2_b64 v[77:80], v64 offset0:45 offset1:46
	;; [unrolled: 1-line block ×5, first 2 shown]
	v_cmp_lt_u32_e32 vcc, 5, v0
	s_waitcnt vmcnt(49) lgkmcnt(6)
	v_mul_f32_e32 v93, v65, v113
	s_waitcnt vmcnt(48)
	v_mul_f32_e32 v94, v67, v114
	s_waitcnt vmcnt(47) lgkmcnt(5)
	v_mul_f32_e32 v95, v69, v115
	s_waitcnt vmcnt(46)
	v_mul_f32_e32 v96, v71, v116
	;; [unrolled: 4-line block ×6, first 2 shown]
	s_waitcnt vmcnt(37)
	v_fmac_f32_e32 v93, v66, v125
	v_mul_f32_e32 v66, v66, v113
	v_fma_f32 v65, v65, v125, -v66
	v_mul_f32_e32 v66, v68, v114
	v_add_f32_e32 v65, 0, v65
	s_waitcnt vmcnt(36)
	v_fma_f32 v66, v67, v126, -v66
	v_add_f32_e32 v65, v65, v66
	v_mul_f32_e32 v66, v70, v115
	s_waitcnt vmcnt(35)
	v_fma_f32 v66, v69, v127, -v66
	v_fmac_f32_e32 v94, v68, v126
	v_add_f32_e32 v93, 0, v93
	v_add_f32_e32 v65, v65, v66
	v_mul_f32_e32 v66, v72, v116
	v_fmac_f32_e32 v95, v70, v127
	v_add_f32_e32 v93, v93, v94
	s_waitcnt vmcnt(34)
	v_fma_f32 v66, v71, v128, -v66
	v_fmac_f32_e32 v96, v72, v128
	v_add_f32_e32 v93, v93, v95
	v_add_f32_e32 v65, v65, v66
	v_mul_f32_e32 v66, v74, v117
	s_waitcnt vmcnt(33)
	v_fmac_f32_e32 v97, v74, v129
	v_add_f32_e32 v93, v93, v96
	v_fma_f32 v66, v73, v129, -v66
	s_waitcnt vmcnt(32)
	v_fmac_f32_e32 v98, v76, v130
	v_add_f32_e32 v93, v93, v97
	v_add_f32_e32 v65, v65, v66
	v_mul_f32_e32 v66, v76, v118
	s_waitcnt vmcnt(31)
	v_fmac_f32_e32 v99, v78, v131
	v_add_f32_e32 v93, v93, v98
	v_fma_f32 v66, v75, v130, -v66
	s_waitcnt vmcnt(30)
	;; [unrolled: 9-line block ×3, first 2 shown]
	v_fmac_f32_e32 v102, v84, v134
	v_add_f32_e32 v93, v93, v101
	v_add_f32_e32 v65, v65, v66
	v_mul_f32_e32 v66, v80, v120
	s_waitcnt vmcnt(27)
	v_fmac_f32_e32 v103, v86, v135
	v_add_f32_e32 v93, v93, v102
	v_fma_f32 v66, v79, v132, -v66
	v_add_f32_e32 v93, v93, v103
	s_waitcnt vmcnt(26)
	v_fmac_f32_e32 v104, v88, v136
	v_add_f32_e32 v65, v65, v66
	v_mul_f32_e32 v66, v82, v121
	v_add_f32_e32 v97, v93, v104
	ds_read2_b64 v[93:96], v64 offset0:53 offset1:54
	v_fma_f32 v66, v81, v133, -v66
	s_waitcnt vmcnt(25) lgkmcnt(1)
	v_mul_f32_e32 v98, v89, v137
	v_add_f32_e32 v65, v65, v66
	v_mul_f32_e32 v66, v84, v122
	s_waitcnt vmcnt(24)
	v_fmac_f32_e32 v98, v90, v138
	v_fma_f32 v66, v83, v134, -v66
	v_add_f32_e32 v97, v97, v98
	s_waitcnt vmcnt(23)
	v_mul_f32_e32 v98, v91, v139
	v_add_f32_e32 v65, v65, v66
	v_mul_f32_e32 v66, v86, v123
	s_waitcnt vmcnt(22)
	v_fmac_f32_e32 v98, v92, v140
	v_fma_f32 v66, v85, v135, -v66
	v_add_f32_e32 v97, v97, v98
	s_waitcnt vmcnt(21) lgkmcnt(0)
	v_mul_f32_e32 v98, v93, v141
	v_add_f32_e32 v65, v65, v66
	v_mul_f32_e32 v66, v88, v124
	s_waitcnt vmcnt(20)
	v_fmac_f32_e32 v98, v94, v142
	v_fma_f32 v66, v87, v136, -v66
	v_add_f32_e32 v101, v97, v98
	ds_read2_b64 v[97:100], v64 offset0:55 offset1:56
	v_add_f32_e32 v65, v65, v66
	v_mul_f32_e32 v66, v90, v137
	v_fma_f32 v66, v89, v138, -v66
	s_waitcnt vmcnt(19)
	v_mul_f32_e32 v102, v95, v143
	v_add_f32_e32 v65, v65, v66
	v_mul_f32_e32 v66, v92, v139
	s_waitcnt vmcnt(18)
	v_fmac_f32_e32 v102, v96, v144
	v_fma_f32 v66, v91, v140, -v66
	v_add_f32_e32 v105, v101, v102
	ds_read2_b64 v[101:104], v64 offset0:57 offset1:58
	v_add_f32_e32 v65, v65, v66
	v_mul_f32_e32 v66, v94, v141
	s_waitcnt vmcnt(17) lgkmcnt(1)
	v_mul_f32_e32 v106, v97, v145
	v_fma_f32 v66, v93, v142, -v66
	s_waitcnt vmcnt(16)
	v_fmac_f32_e32 v106, v98, v146
	v_add_f32_e32 v65, v65, v66
	v_mul_f32_e32 v66, v96, v143
	v_add_f32_e32 v105, v105, v106
	s_waitcnt vmcnt(15)
	v_mul_f32_e32 v106, v99, v147
	v_fma_f32 v66, v95, v144, -v66
	s_waitcnt vmcnt(14)
	v_fmac_f32_e32 v106, v100, v148
	v_add_f32_e32 v65, v65, v66
	v_mul_f32_e32 v66, v98, v145
	v_add_f32_e32 v105, v105, v106
	s_waitcnt vmcnt(13) lgkmcnt(0)
	v_mul_f32_e32 v106, v101, v149
	v_fma_f32 v66, v97, v146, -v66
	s_waitcnt vmcnt(12)
	v_fmac_f32_e32 v106, v102, v150
	v_add_f32_e32 v65, v65, v66
	v_mul_f32_e32 v66, v100, v147
	v_add_f32_e32 v109, v105, v106
	ds_read2_b64 v[105:108], v64 offset0:59 offset1:60
	v_fma_f32 v66, v99, v148, -v66
	v_add_f32_e32 v65, v65, v66
	v_mul_f32_e32 v66, v102, v149
	s_waitcnt vmcnt(11)
	v_mul_f32_e32 v110, v103, v151
	v_fma_f32 v66, v101, v150, -v66
	s_waitcnt vmcnt(10)
	v_fmac_f32_e32 v110, v104, v152
	v_add_f32_e32 v65, v65, v66
	v_mul_f32_e32 v66, v104, v151
	v_add_f32_e32 v163, v109, v110
	ds_read2_b64 v[109:112], v64 offset0:61 offset1:62
	v_fma_f32 v66, v103, v152, -v66
	v_add_f32_e32 v65, v65, v66
	s_waitcnt vmcnt(7) lgkmcnt(1)
	v_mul_f32_e32 v66, v106, v155
	v_mul_f32_e32 v64, v105, v155
	s_waitcnt vmcnt(6)
	v_fma_f32 v66, v105, v156, -v66
	v_fmac_f32_e32 v64, v106, v156
	v_add_f32_e32 v65, v65, v66
	s_waitcnt vmcnt(4)
	v_mul_f32_e32 v66, v108, v158
	v_add_f32_e32 v64, v163, v64
	v_mul_f32_e32 v163, v107, v158
	v_fma_f32 v66, v107, v157, -v66
	v_fmac_f32_e32 v163, v108, v157
	v_add_f32_e32 v65, v65, v66
	s_waitcnt vmcnt(2) lgkmcnt(0)
	v_mul_f32_e32 v66, v110, v160
	v_add_f32_e32 v64, v64, v163
	v_mul_f32_e32 v163, v109, v160
	v_fma_f32 v66, v109, v159, -v66
	v_fmac_f32_e32 v163, v110, v159
	v_add_f32_e32 v65, v65, v66
	s_waitcnt vmcnt(0)
	v_mul_f32_e32 v66, v112, v162
	v_add_f32_e32 v64, v64, v163
	v_mul_f32_e32 v163, v111, v162
	v_fma_f32 v66, v111, v161, -v66
	v_fmac_f32_e32 v163, v112, v161
	v_add_f32_e32 v65, v65, v66
	v_add_f32_e32 v64, v64, v163
	v_sub_f32_e32 v65, v153, v65
	v_sub_f32_e32 v64, v154, v64
	buffer_store_dword v65, off, s[0:3], 0 offset:48
	buffer_store_dword v64, off, s[0:3], 0 offset:52
	s_and_saveexec_b64 s[4:5], vcc
	s_cbranch_execz .LBB30_189
; %bb.188:
	buffer_load_dword v64, off, s[0:3], 0 offset:40
	buffer_load_dword v65, off, s[0:3], 0 offset:44
	v_mov_b32_e32 v66, 0
	buffer_store_dword v66, off, s[0:3], 0 offset:40
	buffer_store_dword v66, off, s[0:3], 0 offset:44
	s_waitcnt vmcnt(2)
	ds_write_b64 v63, v[64:65]
.LBB30_189:
	s_or_b64 exec, exec, s[4:5]
	s_waitcnt lgkmcnt(0)
	; wave barrier
	buffer_load_dword v115, off, s[0:3], 0 offset:52
	buffer_load_dword v116, off, s[0:3], 0 offset:60
	;; [unrolled: 1-line block ×52, first 2 shown]
	v_mov_b32_e32 v64, 0
	ds_read_b128 v[65:68], v64 offset:304
	ds_read_b128 v[69:72], v64 offset:320
	;; [unrolled: 1-line block ×6, first 2 shown]
	v_cmp_lt_u32_e32 vcc, 4, v0
	s_waitcnt vmcnt(51) lgkmcnt(5)
	v_mul_f32_e32 v89, v65, v115
	s_waitcnt vmcnt(50)
	v_mul_f32_e32 v90, v67, v116
	s_waitcnt vmcnt(49) lgkmcnt(4)
	v_mul_f32_e32 v91, v69, v117
	s_waitcnt vmcnt(48)
	v_mul_f32_e32 v92, v71, v118
	;; [unrolled: 4-line block ×5, first 2 shown]
	s_waitcnt vmcnt(41) lgkmcnt(0)
	v_mul_f32_e32 v99, v85, v125
	s_waitcnt vmcnt(40)
	v_fmac_f32_e32 v89, v66, v126
	v_mul_f32_e32 v66, v66, v115
	s_waitcnt vmcnt(39)
	v_fmac_f32_e32 v90, v68, v127
	v_add_f32_e32 v89, 0, v89
	v_fma_f32 v65, v65, v126, -v66
	v_mul_f32_e32 v66, v68, v116
	s_waitcnt vmcnt(38)
	v_fmac_f32_e32 v91, v70, v128
	v_add_f32_e32 v89, v89, v90
	v_add_f32_e32 v65, 0, v65
	v_fma_f32 v66, v67, v127, -v66
	s_waitcnt vmcnt(37)
	v_fmac_f32_e32 v92, v72, v129
	v_add_f32_e32 v89, v89, v91
	v_add_f32_e32 v65, v65, v66
	v_mul_f32_e32 v66, v70, v117
	s_waitcnt vmcnt(36)
	v_fmac_f32_e32 v93, v74, v130
	v_add_f32_e32 v89, v89, v92
	v_fma_f32 v66, v69, v128, -v66
	s_waitcnt vmcnt(35)
	v_fmac_f32_e32 v94, v76, v131
	v_add_f32_e32 v89, v89, v93
	v_add_f32_e32 v65, v65, v66
	v_mul_f32_e32 v66, v72, v118
	s_waitcnt vmcnt(34)
	v_fmac_f32_e32 v95, v78, v132
	;; [unrolled: 9-line block ×3, first 2 shown]
	v_add_f32_e32 v89, v89, v96
	v_fma_f32 v66, v73, v130, -v66
	s_waitcnt vmcnt(31)
	v_fmac_f32_e32 v98, v84, v135
	v_add_f32_e32 v89, v89, v97
	v_add_f32_e32 v65, v65, v66
	v_mul_f32_e32 v66, v76, v120
	v_add_f32_e32 v89, v89, v98
	s_waitcnt vmcnt(30)
	v_fmac_f32_e32 v99, v86, v136
	v_fma_f32 v66, v75, v131, -v66
	v_add_f32_e32 v93, v89, v99
	ds_read_b128 v[89:92], v64 offset:400
	v_add_f32_e32 v65, v65, v66
	v_mul_f32_e32 v66, v78, v121
	v_fma_f32 v66, v77, v132, -v66
	s_waitcnt vmcnt(29)
	v_mul_f32_e32 v94, v87, v137
	v_add_f32_e32 v65, v65, v66
	v_mul_f32_e32 v66, v80, v122
	s_waitcnt vmcnt(28)
	v_fmac_f32_e32 v94, v88, v138
	v_fma_f32 v66, v79, v133, -v66
	v_add_f32_e32 v97, v93, v94
	ds_read_b128 v[93:96], v64 offset:416
	v_add_f32_e32 v65, v65, v66
	v_mul_f32_e32 v66, v82, v123
	s_waitcnt vmcnt(27) lgkmcnt(1)
	v_mul_f32_e32 v98, v89, v139
	v_fma_f32 v66, v81, v134, -v66
	s_waitcnt vmcnt(26)
	v_fmac_f32_e32 v98, v90, v140
	v_add_f32_e32 v65, v65, v66
	v_mul_f32_e32 v66, v84, v124
	v_add_f32_e32 v97, v97, v98
	s_waitcnt vmcnt(25)
	v_mul_f32_e32 v98, v91, v141
	v_fma_f32 v66, v83, v135, -v66
	s_waitcnt vmcnt(24)
	v_fmac_f32_e32 v98, v92, v142
	v_add_f32_e32 v65, v65, v66
	v_mul_f32_e32 v66, v86, v125
	v_add_f32_e32 v97, v97, v98
	s_waitcnt vmcnt(23) lgkmcnt(0)
	v_mul_f32_e32 v98, v93, v143
	v_fma_f32 v66, v85, v136, -v66
	s_waitcnt vmcnt(22)
	v_fmac_f32_e32 v98, v94, v144
	v_add_f32_e32 v65, v65, v66
	v_mul_f32_e32 v66, v88, v137
	v_add_f32_e32 v101, v97, v98
	ds_read_b128 v[97:100], v64 offset:432
	v_fma_f32 v66, v87, v138, -v66
	v_add_f32_e32 v65, v65, v66
	v_mul_f32_e32 v66, v90, v139
	s_waitcnt vmcnt(21)
	v_mul_f32_e32 v102, v95, v145
	v_fma_f32 v66, v89, v140, -v66
	s_waitcnt vmcnt(20)
	v_fmac_f32_e32 v102, v96, v146
	v_add_f32_e32 v65, v65, v66
	v_mul_f32_e32 v66, v92, v141
	v_add_f32_e32 v105, v101, v102
	ds_read_b128 v[101:104], v64 offset:448
	v_fma_f32 v66, v91, v142, -v66
	s_waitcnt vmcnt(19) lgkmcnt(1)
	v_mul_f32_e32 v106, v97, v147
	v_add_f32_e32 v65, v65, v66
	v_mul_f32_e32 v66, v94, v143
	s_waitcnt vmcnt(18)
	v_fmac_f32_e32 v106, v98, v148
	v_fma_f32 v66, v93, v144, -v66
	v_add_f32_e32 v105, v105, v106
	s_waitcnt vmcnt(17)
	v_mul_f32_e32 v106, v99, v149
	v_add_f32_e32 v65, v65, v66
	v_mul_f32_e32 v66, v96, v145
	s_waitcnt vmcnt(16)
	v_fmac_f32_e32 v106, v100, v150
	v_fma_f32 v66, v95, v146, -v66
	v_add_f32_e32 v105, v105, v106
	s_waitcnt vmcnt(14) lgkmcnt(0)
	v_mul_f32_e32 v106, v101, v152
	v_add_f32_e32 v65, v65, v66
	v_mul_f32_e32 v66, v98, v147
	v_fmac_f32_e32 v106, v102, v151
	v_fma_f32 v66, v97, v148, -v66
	v_add_f32_e32 v109, v105, v106
	ds_read_b128 v[105:108], v64 offset:464
	v_add_f32_e32 v65, v65, v66
	v_mul_f32_e32 v66, v100, v149
	v_fma_f32 v66, v99, v150, -v66
	v_add_f32_e32 v65, v65, v66
	v_mul_f32_e32 v66, v102, v152
	s_waitcnt vmcnt(11)
	v_mul_f32_e32 v110, v103, v155
	v_fma_f32 v66, v101, v151, -v66
	s_waitcnt vmcnt(10)
	v_fmac_f32_e32 v110, v104, v156
	v_add_f32_e32 v65, v65, v66
	v_mul_f32_e32 v66, v104, v155
	v_add_f32_e32 v113, v109, v110
	ds_read_b128 v[109:112], v64 offset:480
	s_waitcnt vmcnt(8) lgkmcnt(1)
	v_mul_f32_e32 v114, v105, v158
	v_fma_f32 v66, v103, v156, -v66
	v_fmac_f32_e32 v114, v106, v157
	v_add_f32_e32 v65, v65, v66
	v_mul_f32_e32 v66, v106, v158
	v_add_f32_e32 v113, v113, v114
	s_waitcnt vmcnt(6)
	v_mul_f32_e32 v114, v107, v160
	v_fma_f32 v66, v105, v157, -v66
	v_fmac_f32_e32 v114, v108, v159
	v_add_f32_e32 v65, v65, v66
	v_mul_f32_e32 v66, v108, v160
	v_add_f32_e32 v167, v113, v114
	ds_read_b64 v[113:114], v64 offset:496
	v_fma_f32 v66, v107, v159, -v66
	v_add_f32_e32 v65, v65, v66
	s_waitcnt vmcnt(4) lgkmcnt(1)
	v_mul_f32_e32 v66, v110, v162
	v_mul_f32_e32 v168, v109, v162
	v_fma_f32 v66, v109, v161, -v66
	v_fmac_f32_e32 v168, v110, v161
	v_add_f32_e32 v65, v65, v66
	s_waitcnt vmcnt(2)
	v_mul_f32_e32 v66, v112, v164
	v_add_f32_e32 v167, v167, v168
	v_mul_f32_e32 v168, v111, v164
	v_fma_f32 v66, v111, v163, -v66
	v_fmac_f32_e32 v168, v112, v163
	v_add_f32_e32 v65, v65, v66
	s_waitcnt vmcnt(0) lgkmcnt(0)
	v_mul_f32_e32 v66, v114, v166
	v_add_f32_e32 v167, v167, v168
	v_mul_f32_e32 v168, v113, v166
	v_fma_f32 v66, v113, v165, -v66
	v_fmac_f32_e32 v168, v114, v165
	v_add_f32_e32 v65, v65, v66
	v_add_f32_e32 v167, v167, v168
	v_sub_f32_e32 v65, v153, v65
	v_sub_f32_e32 v66, v154, v167
	buffer_store_dword v65, off, s[0:3], 0 offset:40
	buffer_store_dword v66, off, s[0:3], 0 offset:44
	s_and_saveexec_b64 s[4:5], vcc
	s_cbranch_execz .LBB30_191
; %bb.190:
	buffer_load_dword v65, off, s[0:3], 0 offset:32
	buffer_load_dword v66, off, s[0:3], 0 offset:36
	s_waitcnt vmcnt(0)
	ds_write_b64 v63, v[65:66]
	buffer_store_dword v64, off, s[0:3], 0 offset:32
	buffer_store_dword v64, off, s[0:3], 0 offset:36
.LBB30_191:
	s_or_b64 exec, exec, s[4:5]
	s_waitcnt lgkmcnt(0)
	; wave barrier
	buffer_load_dword v117, off, s[0:3], 0 offset:44
	buffer_load_dword v118, off, s[0:3], 0 offset:52
	;; [unrolled: 1-line block ×42, first 2 shown]
	ds_read2_b64 v[65:68], v64 offset0:37 offset1:38
	ds_read2_b64 v[69:72], v64 offset0:39 offset1:40
	;; [unrolled: 1-line block ×4, first 2 shown]
	buffer_load_dword v159, off, s[0:3], 0 offset:204
	buffer_load_dword v160, off, s[0:3], 0 offset:200
	;; [unrolled: 1-line block ×6, first 2 shown]
	ds_read2_b64 v[81:84], v64 offset0:45 offset1:46
	ds_read2_b64 v[85:88], v64 offset0:47 offset1:48
	buffer_load_dword v165, off, s[0:3], 0 offset:224
	buffer_load_dword v166, off, s[0:3], 0 offset:228
	buffer_load_dword v167, off, s[0:3], 0 offset:232
	buffer_load_dword v168, off, s[0:3], 0 offset:236
	buffer_load_dword v169, off, s[0:3], 0 offset:240
	buffer_load_dword v170, off, s[0:3], 0 offset:244
	v_cmp_lt_u32_e32 vcc, 3, v0
	s_waitcnt vmcnt(53) lgkmcnt(5)
	v_mul_f32_e32 v89, v65, v117
	s_waitcnt vmcnt(52)
	v_mul_f32_e32 v90, v67, v118
	s_waitcnt vmcnt(51) lgkmcnt(4)
	v_mul_f32_e32 v91, v69, v119
	s_waitcnt vmcnt(50)
	v_mul_f32_e32 v92, v71, v120
	;; [unrolled: 4-line block ×5, first 2 shown]
	s_waitcnt vmcnt(43)
	v_fmac_f32_e32 v89, v66, v127
	v_mul_f32_e32 v66, v66, v117
	s_waitcnt vmcnt(42)
	v_fmac_f32_e32 v90, v68, v128
	v_add_f32_e32 v89, 0, v89
	v_fma_f32 v65, v65, v127, -v66
	v_mul_f32_e32 v66, v68, v118
	s_waitcnt vmcnt(41)
	v_fmac_f32_e32 v91, v70, v129
	v_add_f32_e32 v89, v89, v90
	v_add_f32_e32 v65, 0, v65
	v_fma_f32 v66, v67, v128, -v66
	s_waitcnt vmcnt(40)
	v_fmac_f32_e32 v92, v72, v130
	v_add_f32_e32 v89, v89, v91
	v_add_f32_e32 v65, v65, v66
	v_mul_f32_e32 v66, v70, v119
	s_waitcnt vmcnt(39)
	v_fmac_f32_e32 v93, v74, v131
	v_add_f32_e32 v89, v89, v92
	v_fma_f32 v66, v69, v129, -v66
	s_waitcnt vmcnt(38)
	v_fmac_f32_e32 v94, v76, v132
	v_add_f32_e32 v89, v89, v93
	v_add_f32_e32 v65, v65, v66
	v_mul_f32_e32 v66, v72, v120
	s_waitcnt vmcnt(37)
	v_fmac_f32_e32 v95, v78, v133
	;; [unrolled: 9-line block ×3, first 2 shown]
	v_add_f32_e32 v89, v89, v96
	v_fma_f32 v66, v73, v131, -v66
	s_waitcnt vmcnt(34)
	v_fmac_f32_e32 v98, v84, v136
	v_add_f32_e32 v89, v89, v97
	s_waitcnt vmcnt(33) lgkmcnt(0)
	v_mul_f32_e32 v90, v85, v137
	v_add_f32_e32 v65, v65, v66
	v_mul_f32_e32 v66, v76, v122
	v_add_f32_e32 v89, v89, v98
	s_waitcnt vmcnt(32)
	v_fmac_f32_e32 v90, v86, v138
	v_fma_f32 v66, v75, v132, -v66
	v_add_f32_e32 v93, v89, v90
	ds_read2_b64 v[89:92], v64 offset0:49 offset1:50
	v_add_f32_e32 v65, v65, v66
	v_mul_f32_e32 v66, v78, v123
	v_fma_f32 v66, v77, v133, -v66
	s_waitcnt vmcnt(31)
	v_mul_f32_e32 v94, v87, v139
	v_add_f32_e32 v65, v65, v66
	v_mul_f32_e32 v66, v80, v124
	s_waitcnt vmcnt(30)
	v_fmac_f32_e32 v94, v88, v140
	v_fma_f32 v66, v79, v134, -v66
	v_add_f32_e32 v97, v93, v94
	ds_read2_b64 v[93:96], v64 offset0:51 offset1:52
	v_add_f32_e32 v65, v65, v66
	v_mul_f32_e32 v66, v82, v125
	s_waitcnt vmcnt(29) lgkmcnt(1)
	v_mul_f32_e32 v98, v89, v141
	v_fma_f32 v66, v81, v135, -v66
	s_waitcnt vmcnt(28)
	v_fmac_f32_e32 v98, v90, v142
	v_add_f32_e32 v65, v65, v66
	v_mul_f32_e32 v66, v84, v126
	v_add_f32_e32 v97, v97, v98
	s_waitcnt vmcnt(27)
	v_mul_f32_e32 v98, v91, v143
	v_fma_f32 v66, v83, v136, -v66
	s_waitcnt vmcnt(26)
	v_fmac_f32_e32 v98, v92, v144
	v_add_f32_e32 v65, v65, v66
	v_mul_f32_e32 v66, v86, v137
	v_add_f32_e32 v97, v97, v98
	s_waitcnt vmcnt(25) lgkmcnt(0)
	v_mul_f32_e32 v98, v93, v145
	v_fma_f32 v66, v85, v138, -v66
	s_waitcnt vmcnt(24)
	v_fmac_f32_e32 v98, v94, v146
	v_add_f32_e32 v65, v65, v66
	v_mul_f32_e32 v66, v88, v139
	v_add_f32_e32 v101, v97, v98
	ds_read2_b64 v[97:100], v64 offset0:53 offset1:54
	v_fma_f32 v66, v87, v140, -v66
	v_add_f32_e32 v65, v65, v66
	v_mul_f32_e32 v66, v90, v141
	s_waitcnt vmcnt(23)
	v_mul_f32_e32 v102, v95, v147
	v_fma_f32 v66, v89, v142, -v66
	s_waitcnt vmcnt(22)
	v_fmac_f32_e32 v102, v96, v148
	v_add_f32_e32 v65, v65, v66
	v_mul_f32_e32 v66, v92, v143
	v_add_f32_e32 v105, v101, v102
	ds_read2_b64 v[101:104], v64 offset0:55 offset1:56
	v_fma_f32 v66, v91, v144, -v66
	s_waitcnt vmcnt(21) lgkmcnt(1)
	v_mul_f32_e32 v106, v97, v149
	v_add_f32_e32 v65, v65, v66
	v_mul_f32_e32 v66, v94, v145
	s_waitcnt vmcnt(20)
	v_fmac_f32_e32 v106, v98, v150
	v_fma_f32 v66, v93, v146, -v66
	v_add_f32_e32 v105, v105, v106
	s_waitcnt vmcnt(18)
	v_mul_f32_e32 v106, v99, v152
	v_add_f32_e32 v65, v65, v66
	v_mul_f32_e32 v66, v96, v147
	v_fmac_f32_e32 v106, v100, v151
	v_fma_f32 v66, v95, v148, -v66
	v_add_f32_e32 v105, v105, v106
	s_waitcnt vmcnt(15) lgkmcnt(0)
	v_mul_f32_e32 v106, v101, v155
	v_add_f32_e32 v65, v65, v66
	v_mul_f32_e32 v66, v98, v149
	s_waitcnt vmcnt(14)
	v_fmac_f32_e32 v106, v102, v156
	v_fma_f32 v66, v97, v150, -v66
	v_add_f32_e32 v109, v105, v106
	ds_read2_b64 v[105:108], v64 offset0:57 offset1:58
	v_add_f32_e32 v65, v65, v66
	v_mul_f32_e32 v66, v100, v152
	v_fma_f32 v66, v99, v151, -v66
	v_add_f32_e32 v65, v65, v66
	v_mul_f32_e32 v66, v102, v155
	s_waitcnt vmcnt(12)
	v_mul_f32_e32 v110, v103, v158
	v_fma_f32 v66, v101, v156, -v66
	v_fmac_f32_e32 v110, v104, v157
	v_add_f32_e32 v65, v65, v66
	v_mul_f32_e32 v66, v104, v158
	v_add_f32_e32 v113, v109, v110
	ds_read2_b64 v[109:112], v64 offset0:59 offset1:60
	s_waitcnt vmcnt(11) lgkmcnt(1)
	v_mul_f32_e32 v114, v105, v159
	v_fma_f32 v66, v103, v157, -v66
	s_waitcnt vmcnt(10)
	v_fmac_f32_e32 v114, v106, v160
	v_add_f32_e32 v65, v65, v66
	v_mul_f32_e32 v66, v106, v159
	v_add_f32_e32 v113, v113, v114
	s_waitcnt vmcnt(8)
	v_mul_f32_e32 v114, v107, v162
	v_fma_f32 v66, v105, v160, -v66
	v_fmac_f32_e32 v114, v108, v161
	v_add_f32_e32 v65, v65, v66
	v_mul_f32_e32 v66, v108, v162
	v_add_f32_e32 v171, v113, v114
	ds_read2_b64 v[113:116], v64 offset0:61 offset1:62
	v_fma_f32 v66, v107, v161, -v66
	v_add_f32_e32 v65, v65, v66
	s_waitcnt vmcnt(6) lgkmcnt(1)
	v_mul_f32_e32 v66, v110, v164
	v_mul_f32_e32 v172, v109, v164
	v_fma_f32 v66, v109, v163, -v66
	v_fmac_f32_e32 v172, v110, v163
	v_add_f32_e32 v65, v65, v66
	s_waitcnt vmcnt(4)
	v_mul_f32_e32 v66, v112, v166
	v_add_f32_e32 v64, v171, v172
	v_mul_f32_e32 v171, v111, v166
	v_fma_f32 v66, v111, v165, -v66
	v_fmac_f32_e32 v171, v112, v165
	v_add_f32_e32 v65, v65, v66
	s_waitcnt vmcnt(2) lgkmcnt(0)
	v_mul_f32_e32 v66, v114, v168
	v_add_f32_e32 v64, v64, v171
	v_mul_f32_e32 v171, v113, v168
	v_fma_f32 v66, v113, v167, -v66
	v_fmac_f32_e32 v171, v114, v167
	v_add_f32_e32 v65, v65, v66
	s_waitcnt vmcnt(0)
	v_mul_f32_e32 v66, v116, v170
	v_add_f32_e32 v64, v64, v171
	v_mul_f32_e32 v171, v115, v170
	v_fma_f32 v66, v115, v169, -v66
	v_fmac_f32_e32 v171, v116, v169
	v_add_f32_e32 v65, v65, v66
	v_add_f32_e32 v64, v64, v171
	v_sub_f32_e32 v65, v153, v65
	v_sub_f32_e32 v64, v154, v64
	buffer_store_dword v65, off, s[0:3], 0 offset:32
	buffer_store_dword v64, off, s[0:3], 0 offset:36
	s_and_saveexec_b64 s[4:5], vcc
	s_cbranch_execz .LBB30_193
; %bb.192:
	buffer_load_dword v64, off, s[0:3], 0 offset:24
	buffer_load_dword v65, off, s[0:3], 0 offset:28
	v_mov_b32_e32 v66, 0
	buffer_store_dword v66, off, s[0:3], 0 offset:24
	buffer_store_dword v66, off, s[0:3], 0 offset:28
	s_waitcnt vmcnt(2)
	ds_write_b64 v63, v[64:65]
.LBB30_193:
	s_or_b64 exec, exec, s[4:5]
	s_waitcnt lgkmcnt(0)
	; wave barrier
	buffer_load_dword v119, off, s[0:3], 0 offset:36
	buffer_load_dword v120, off, s[0:3], 0 offset:44
	;; [unrolled: 1-line block ×56, first 2 shown]
	v_mov_b32_e32 v64, 0
	ds_read_b128 v[65:68], v64 offset:288
	ds_read_b128 v[69:72], v64 offset:304
	;; [unrolled: 1-line block ×6, first 2 shown]
	v_cmp_lt_u32_e32 vcc, 2, v0
	s_waitcnt vmcnt(55) lgkmcnt(5)
	v_mul_f32_e32 v89, v65, v119
	s_waitcnt vmcnt(54)
	v_mul_f32_e32 v90, v67, v120
	s_waitcnt vmcnt(53) lgkmcnt(4)
	v_mul_f32_e32 v91, v69, v121
	s_waitcnt vmcnt(52)
	v_mul_f32_e32 v92, v71, v122
	;; [unrolled: 4-line block ×4, first 2 shown]
	s_waitcnt vmcnt(47) lgkmcnt(1)
	v_mul_f32_e32 v97, v81, v127
	s_waitcnt vmcnt(46)
	v_fmac_f32_e32 v89, v66, v128
	s_waitcnt vmcnt(45)
	v_fmac_f32_e32 v90, v68, v129
	v_add_f32_e32 v89, 0, v89
	s_waitcnt vmcnt(44)
	v_fmac_f32_e32 v91, v70, v130
	v_add_f32_e32 v89, v89, v90
	;; [unrolled: 3-line block ×3, first 2 shown]
	v_mul_f32_e32 v66, v66, v119
	s_waitcnt vmcnt(42)
	v_fmac_f32_e32 v93, v74, v132
	v_add_f32_e32 v89, v89, v92
	v_fma_f32 v65, v65, v128, -v66
	v_mul_f32_e32 v66, v68, v120
	s_waitcnt vmcnt(41)
	v_fmac_f32_e32 v94, v76, v133
	v_add_f32_e32 v89, v89, v93
	v_add_f32_e32 v65, 0, v65
	v_fma_f32 v66, v67, v129, -v66
	s_waitcnt vmcnt(40)
	v_fmac_f32_e32 v95, v78, v134
	v_add_f32_e32 v89, v89, v94
	v_add_f32_e32 v65, v65, v66
	v_mul_f32_e32 v66, v70, v121
	s_waitcnt vmcnt(39)
	v_fmac_f32_e32 v96, v80, v135
	v_add_f32_e32 v89, v89, v95
	v_fma_f32 v66, v69, v130, -v66
	v_add_f32_e32 v89, v89, v96
	s_waitcnt vmcnt(38)
	v_fmac_f32_e32 v97, v82, v136
	s_waitcnt vmcnt(37)
	v_mul_f32_e32 v90, v83, v137
	v_add_f32_e32 v65, v65, v66
	v_mul_f32_e32 v66, v72, v122
	v_add_f32_e32 v89, v89, v97
	s_waitcnt vmcnt(36)
	v_fmac_f32_e32 v90, v84, v138
	v_fma_f32 v66, v71, v131, -v66
	v_add_f32_e32 v89, v89, v90
	s_waitcnt vmcnt(35) lgkmcnt(0)
	v_mul_f32_e32 v90, v85, v139
	v_add_f32_e32 v65, v65, v66
	v_mul_f32_e32 v66, v74, v123
	s_waitcnt vmcnt(34)
	v_fmac_f32_e32 v90, v86, v140
	v_fma_f32 v66, v73, v132, -v66
	v_add_f32_e32 v93, v89, v90
	ds_read_b128 v[89:92], v64 offset:384
	v_add_f32_e32 v65, v65, v66
	v_mul_f32_e32 v66, v76, v124
	v_fma_f32 v66, v75, v133, -v66
	s_waitcnt vmcnt(33)
	v_mul_f32_e32 v94, v87, v141
	v_add_f32_e32 v65, v65, v66
	v_mul_f32_e32 v66, v78, v125
	s_waitcnt vmcnt(32)
	v_fmac_f32_e32 v94, v88, v142
	v_fma_f32 v66, v77, v134, -v66
	v_add_f32_e32 v97, v93, v94
	ds_read_b128 v[93:96], v64 offset:400
	v_add_f32_e32 v65, v65, v66
	v_mul_f32_e32 v66, v80, v126
	s_waitcnt vmcnt(31) lgkmcnt(1)
	v_mul_f32_e32 v98, v89, v143
	v_fma_f32 v66, v79, v135, -v66
	s_waitcnt vmcnt(30)
	v_fmac_f32_e32 v98, v90, v144
	v_add_f32_e32 v65, v65, v66
	v_mul_f32_e32 v66, v82, v127
	v_add_f32_e32 v97, v97, v98
	s_waitcnt vmcnt(29)
	v_mul_f32_e32 v98, v91, v145
	v_fma_f32 v66, v81, v136, -v66
	s_waitcnt vmcnt(28)
	v_fmac_f32_e32 v98, v92, v146
	v_add_f32_e32 v65, v65, v66
	v_mul_f32_e32 v66, v84, v137
	v_add_f32_e32 v97, v97, v98
	s_waitcnt vmcnt(27) lgkmcnt(0)
	v_mul_f32_e32 v98, v93, v147
	v_fma_f32 v66, v83, v138, -v66
	s_waitcnt vmcnt(26)
	v_fmac_f32_e32 v98, v94, v148
	v_add_f32_e32 v65, v65, v66
	v_mul_f32_e32 v66, v86, v139
	v_add_f32_e32 v101, v97, v98
	ds_read_b128 v[97:100], v64 offset:416
	v_fma_f32 v66, v85, v140, -v66
	v_add_f32_e32 v65, v65, v66
	v_mul_f32_e32 v66, v88, v141
	s_waitcnt vmcnt(24)
	v_mul_f32_e32 v102, v95, v150
	v_fma_f32 v66, v87, v142, -v66
	v_fmac_f32_e32 v102, v96, v149
	v_add_f32_e32 v65, v65, v66
	v_mul_f32_e32 v66, v90, v143
	v_add_f32_e32 v105, v101, v102
	ds_read_b128 v[101:104], v64 offset:432
	v_fma_f32 v66, v89, v144, -v66
	s_waitcnt vmcnt(21) lgkmcnt(1)
	v_mul_f32_e32 v106, v97, v153
	v_add_f32_e32 v65, v65, v66
	v_mul_f32_e32 v66, v92, v145
	s_waitcnt vmcnt(20)
	v_fmac_f32_e32 v106, v98, v154
	v_fma_f32 v66, v91, v146, -v66
	v_add_f32_e32 v105, v105, v106
	s_waitcnt vmcnt(18)
	v_mul_f32_e32 v106, v99, v156
	v_add_f32_e32 v65, v65, v66
	v_mul_f32_e32 v66, v94, v147
	v_fmac_f32_e32 v106, v100, v155
	v_fma_f32 v66, v93, v148, -v66
	v_add_f32_e32 v105, v105, v106
	s_waitcnt vmcnt(16) lgkmcnt(0)
	v_mul_f32_e32 v106, v101, v158
	v_add_f32_e32 v65, v65, v66
	v_mul_f32_e32 v66, v96, v150
	v_fmac_f32_e32 v106, v102, v157
	v_fma_f32 v66, v95, v149, -v66
	v_add_f32_e32 v109, v105, v106
	ds_read_b128 v[105:108], v64 offset:448
	v_add_f32_e32 v65, v65, v66
	v_mul_f32_e32 v66, v98, v153
	v_fma_f32 v66, v97, v154, -v66
	s_waitcnt vmcnt(14)
	v_mul_f32_e32 v110, v103, v160
	v_add_f32_e32 v65, v65, v66
	v_mul_f32_e32 v66, v100, v156
	v_fmac_f32_e32 v110, v104, v159
	v_fma_f32 v66, v99, v155, -v66
	v_add_f32_e32 v113, v109, v110
	ds_read_b128 v[109:112], v64 offset:464
	v_add_f32_e32 v65, v65, v66
	v_mul_f32_e32 v66, v102, v158
	s_waitcnt vmcnt(12) lgkmcnt(1)
	v_mul_f32_e32 v114, v105, v162
	v_fma_f32 v66, v101, v157, -v66
	v_fmac_f32_e32 v114, v106, v161
	v_add_f32_e32 v65, v65, v66
	v_mul_f32_e32 v66, v104, v160
	v_add_f32_e32 v113, v113, v114
	s_waitcnt vmcnt(10)
	v_mul_f32_e32 v114, v107, v164
	v_fma_f32 v66, v103, v159, -v66
	v_fmac_f32_e32 v114, v108, v163
	v_add_f32_e32 v65, v65, v66
	v_mul_f32_e32 v66, v106, v162
	v_add_f32_e32 v113, v113, v114
	s_waitcnt vmcnt(8) lgkmcnt(0)
	v_mul_f32_e32 v114, v109, v166
	v_fma_f32 v66, v105, v161, -v66
	v_fmac_f32_e32 v114, v110, v165
	v_add_f32_e32 v65, v65, v66
	v_mul_f32_e32 v66, v108, v164
	v_add_f32_e32 v117, v113, v114
	ds_read_b128 v[113:116], v64 offset:480
	v_fma_f32 v66, v107, v163, -v66
	v_add_f32_e32 v65, v65, v66
	v_mul_f32_e32 v66, v110, v166
	s_waitcnt vmcnt(6)
	v_mul_f32_e32 v118, v111, v168
	v_fma_f32 v66, v109, v165, -v66
	v_fmac_f32_e32 v118, v112, v167
	v_add_f32_e32 v65, v65, v66
	v_mul_f32_e32 v66, v112, v168
	v_add_f32_e32 v175, v117, v118
	ds_read_b64 v[117:118], v64 offset:496
	v_fma_f32 v66, v111, v167, -v66
	v_add_f32_e32 v65, v65, v66
	s_waitcnt vmcnt(4) lgkmcnt(1)
	v_mul_f32_e32 v66, v114, v170
	v_mul_f32_e32 v176, v113, v170
	v_fma_f32 v66, v113, v169, -v66
	v_fmac_f32_e32 v176, v114, v169
	v_add_f32_e32 v65, v65, v66
	s_waitcnt vmcnt(2)
	v_mul_f32_e32 v66, v116, v172
	v_add_f32_e32 v175, v175, v176
	v_mul_f32_e32 v176, v115, v172
	v_fma_f32 v66, v115, v171, -v66
	v_fmac_f32_e32 v176, v116, v171
	v_add_f32_e32 v65, v65, v66
	s_waitcnt vmcnt(0) lgkmcnt(0)
	v_mul_f32_e32 v66, v118, v174
	v_add_f32_e32 v175, v175, v176
	v_mul_f32_e32 v176, v117, v174
	v_fma_f32 v66, v117, v173, -v66
	v_fmac_f32_e32 v176, v118, v173
	v_add_f32_e32 v65, v65, v66
	v_add_f32_e32 v175, v175, v176
	v_sub_f32_e32 v65, v151, v65
	v_sub_f32_e32 v66, v152, v175
	buffer_store_dword v65, off, s[0:3], 0 offset:24
	buffer_store_dword v66, off, s[0:3], 0 offset:28
	s_and_saveexec_b64 s[4:5], vcc
	s_cbranch_execz .LBB30_195
; %bb.194:
	buffer_load_dword v65, off, s[0:3], 0 offset:16
	buffer_load_dword v66, off, s[0:3], 0 offset:20
	s_waitcnt vmcnt(0)
	ds_write_b64 v63, v[65:66]
	buffer_store_dword v64, off, s[0:3], 0 offset:16
	buffer_store_dword v64, off, s[0:3], 0 offset:20
.LBB30_195:
	s_or_b64 exec, exec, s[4:5]
	s_waitcnt lgkmcnt(0)
	; wave barrier
	buffer_load_dword v121, off, s[0:3], 0 offset:28
	buffer_load_dword v122, off, s[0:3], 0 offset:36
	;; [unrolled: 1-line block ×34, first 2 shown]
	ds_read2_b64 v[65:68], v64 offset0:35 offset1:36
	ds_read2_b64 v[69:72], v64 offset0:37 offset1:38
	buffer_load_dword v155, off, s[0:3], 0 offset:156
	buffer_load_dword v156, off, s[0:3], 0 offset:152
	;; [unrolled: 1-line block ×6, first 2 shown]
	ds_read2_b64 v[73:76], v64 offset0:39 offset1:40
	ds_read2_b64 v[77:80], v64 offset0:41 offset1:42
	ds_read2_b64 v[81:84], v64 offset0:43 offset1:44
	ds_read2_b64 v[85:88], v64 offset0:45 offset1:46
	buffer_load_dword v161, off, s[0:3], 0 offset:180
	buffer_load_dword v162, off, s[0:3], 0 offset:176
	;; [unrolled: 1-line block ×18, first 2 shown]
	v_cmp_lt_u32_e32 vcc, 1, v0
	s_waitcnt vmcnt(57) lgkmcnt(5)
	v_mul_f32_e32 v89, v65, v121
	s_waitcnt vmcnt(56)
	v_mul_f32_e32 v90, v67, v122
	s_waitcnt vmcnt(55) lgkmcnt(4)
	v_mul_f32_e32 v91, v69, v123
	s_waitcnt vmcnt(54)
	v_mul_f32_e32 v92, v71, v124
	;; [unrolled: 4-line block ×4, first 2 shown]
	s_waitcnt vmcnt(49)
	v_fmac_f32_e32 v89, v66, v129
	s_waitcnt vmcnt(48)
	v_fmac_f32_e32 v90, v68, v130
	v_add_f32_e32 v89, 0, v89
	s_waitcnt vmcnt(47)
	v_fmac_f32_e32 v91, v70, v131
	v_add_f32_e32 v89, v89, v90
	;; [unrolled: 3-line block ×4, first 2 shown]
	v_mul_f32_e32 v66, v66, v121
	s_waitcnt vmcnt(44)
	v_fmac_f32_e32 v94, v76, v134
	v_add_f32_e32 v89, v89, v93
	v_fma_f32 v65, v65, v129, -v66
	v_mul_f32_e32 v66, v68, v122
	s_waitcnt vmcnt(43)
	v_fmac_f32_e32 v95, v78, v135
	v_add_f32_e32 v89, v89, v94
	v_add_f32_e32 v65, 0, v65
	v_fma_f32 v66, v67, v130, -v66
	s_waitcnt vmcnt(42)
	v_fmac_f32_e32 v96, v80, v136
	v_add_f32_e32 v89, v89, v95
	s_waitcnt vmcnt(41) lgkmcnt(1)
	v_mul_f32_e32 v90, v81, v137
	v_add_f32_e32 v65, v65, v66
	v_mul_f32_e32 v66, v70, v123
	v_add_f32_e32 v89, v89, v96
	s_waitcnt vmcnt(40)
	v_fmac_f32_e32 v90, v82, v138
	v_fma_f32 v66, v69, v131, -v66
	v_add_f32_e32 v89, v89, v90
	s_waitcnt vmcnt(39)
	v_mul_f32_e32 v90, v83, v139
	v_add_f32_e32 v65, v65, v66
	v_mul_f32_e32 v66, v72, v124
	s_waitcnt vmcnt(38)
	v_fmac_f32_e32 v90, v84, v140
	v_fma_f32 v66, v71, v132, -v66
	v_add_f32_e32 v89, v89, v90
	s_waitcnt vmcnt(37) lgkmcnt(0)
	v_mul_f32_e32 v90, v85, v141
	v_add_f32_e32 v65, v65, v66
	v_mul_f32_e32 v66, v74, v125
	s_waitcnt vmcnt(36)
	v_fmac_f32_e32 v90, v86, v142
	v_fma_f32 v66, v73, v133, -v66
	v_add_f32_e32 v93, v89, v90
	ds_read2_b64 v[89:92], v64 offset0:47 offset1:48
	v_add_f32_e32 v65, v65, v66
	v_mul_f32_e32 v66, v76, v126
	v_fma_f32 v66, v75, v134, -v66
	s_waitcnt vmcnt(35)
	v_mul_f32_e32 v94, v87, v143
	v_add_f32_e32 v65, v65, v66
	v_mul_f32_e32 v66, v78, v127
	s_waitcnt vmcnt(34)
	v_fmac_f32_e32 v94, v88, v144
	v_fma_f32 v66, v77, v135, -v66
	v_add_f32_e32 v97, v93, v94
	ds_read2_b64 v[93:96], v64 offset0:49 offset1:50
	v_add_f32_e32 v65, v65, v66
	v_mul_f32_e32 v66, v80, v128
	s_waitcnt vmcnt(33) lgkmcnt(1)
	v_mul_f32_e32 v98, v89, v145
	v_fma_f32 v66, v79, v136, -v66
	s_waitcnt vmcnt(32)
	v_fmac_f32_e32 v98, v90, v146
	v_add_f32_e32 v65, v65, v66
	v_mul_f32_e32 v66, v82, v137
	v_add_f32_e32 v97, v97, v98
	s_waitcnt vmcnt(31)
	v_mul_f32_e32 v98, v91, v147
	v_fma_f32 v66, v81, v138, -v66
	s_waitcnt vmcnt(30)
	v_fmac_f32_e32 v98, v92, v148
	v_add_f32_e32 v65, v65, v66
	v_mul_f32_e32 v66, v84, v139
	v_add_f32_e32 v97, v97, v98
	s_waitcnt vmcnt(29) lgkmcnt(0)
	v_mul_f32_e32 v98, v93, v149
	v_fma_f32 v66, v83, v140, -v66
	s_waitcnt vmcnt(28)
	v_fmac_f32_e32 v98, v94, v150
	v_add_f32_e32 v65, v65, v66
	v_mul_f32_e32 v66, v86, v141
	v_add_f32_e32 v101, v97, v98
	ds_read2_b64 v[97:100], v64 offset0:51 offset1:52
	v_fma_f32 v66, v85, v142, -v66
	v_add_f32_e32 v65, v65, v66
	v_mul_f32_e32 v66, v88, v143
	s_waitcnt vmcnt(25)
	v_mul_f32_e32 v102, v95, v153
	v_fma_f32 v66, v87, v144, -v66
	s_waitcnt vmcnt(24)
	v_fmac_f32_e32 v102, v96, v154
	v_add_f32_e32 v65, v65, v66
	v_mul_f32_e32 v66, v90, v145
	v_add_f32_e32 v105, v101, v102
	ds_read2_b64 v[101:104], v64 offset0:53 offset1:54
	v_fma_f32 v66, v89, v146, -v66
	s_waitcnt vmcnt(23) lgkmcnt(1)
	v_mul_f32_e32 v106, v97, v155
	v_add_f32_e32 v65, v65, v66
	v_mul_f32_e32 v66, v92, v147
	s_waitcnt vmcnt(22)
	v_fmac_f32_e32 v106, v98, v156
	v_fma_f32 v66, v91, v148, -v66
	v_add_f32_e32 v105, v105, v106
	s_waitcnt vmcnt(20)
	v_mul_f32_e32 v106, v99, v158
	v_add_f32_e32 v65, v65, v66
	v_mul_f32_e32 v66, v94, v149
	v_fmac_f32_e32 v106, v100, v157
	v_fma_f32 v66, v93, v150, -v66
	v_add_f32_e32 v105, v105, v106
	s_waitcnt vmcnt(18) lgkmcnt(0)
	v_mul_f32_e32 v106, v101, v160
	v_add_f32_e32 v65, v65, v66
	v_mul_f32_e32 v66, v96, v153
	v_fmac_f32_e32 v106, v102, v159
	v_fma_f32 v66, v95, v154, -v66
	v_add_f32_e32 v109, v105, v106
	ds_read2_b64 v[105:108], v64 offset0:55 offset1:56
	v_add_f32_e32 v65, v65, v66
	v_mul_f32_e32 v66, v98, v155
	v_fma_f32 v66, v97, v156, -v66
	s_waitcnt vmcnt(17)
	v_mul_f32_e32 v110, v103, v161
	v_add_f32_e32 v65, v65, v66
	v_mul_f32_e32 v66, v100, v158
	s_waitcnt vmcnt(16)
	v_fmac_f32_e32 v110, v104, v162
	v_fma_f32 v66, v99, v157, -v66
	v_add_f32_e32 v113, v109, v110
	ds_read2_b64 v[109:112], v64 offset0:57 offset1:58
	v_add_f32_e32 v65, v65, v66
	v_mul_f32_e32 v66, v102, v160
	s_waitcnt vmcnt(14) lgkmcnt(1)
	v_mul_f32_e32 v114, v105, v164
	v_fma_f32 v66, v101, v159, -v66
	v_fmac_f32_e32 v114, v106, v163
	v_add_f32_e32 v65, v65, v66
	v_mul_f32_e32 v66, v104, v161
	v_add_f32_e32 v113, v113, v114
	s_waitcnt vmcnt(12)
	v_mul_f32_e32 v114, v107, v166
	v_fma_f32 v66, v103, v162, -v66
	v_fmac_f32_e32 v114, v108, v165
	v_add_f32_e32 v65, v65, v66
	v_mul_f32_e32 v66, v106, v164
	v_add_f32_e32 v113, v113, v114
	s_waitcnt vmcnt(10) lgkmcnt(0)
	v_mul_f32_e32 v114, v109, v168
	v_fma_f32 v66, v105, v163, -v66
	v_fmac_f32_e32 v114, v110, v167
	v_add_f32_e32 v65, v65, v66
	v_mul_f32_e32 v66, v108, v166
	v_add_f32_e32 v117, v113, v114
	ds_read2_b64 v[113:116], v64 offset0:59 offset1:60
	v_fma_f32 v66, v107, v165, -v66
	v_add_f32_e32 v65, v65, v66
	v_mul_f32_e32 v66, v110, v168
	s_waitcnt vmcnt(8)
	v_mul_f32_e32 v118, v111, v170
	v_fma_f32 v66, v109, v167, -v66
	v_fmac_f32_e32 v118, v112, v169
	v_add_f32_e32 v65, v65, v66
	v_mul_f32_e32 v66, v112, v170
	v_add_f32_e32 v179, v117, v118
	ds_read2_b64 v[117:120], v64 offset0:61 offset1:62
	v_fma_f32 v66, v111, v169, -v66
	v_add_f32_e32 v65, v65, v66
	s_waitcnt vmcnt(6) lgkmcnt(1)
	v_mul_f32_e32 v66, v114, v172
	v_mul_f32_e32 v64, v113, v172
	v_fma_f32 v66, v113, v171, -v66
	v_fmac_f32_e32 v64, v114, v171
	v_add_f32_e32 v65, v65, v66
	s_waitcnt vmcnt(4)
	v_mul_f32_e32 v66, v116, v174
	v_add_f32_e32 v64, v179, v64
	v_mul_f32_e32 v179, v115, v174
	v_fma_f32 v66, v115, v173, -v66
	v_fmac_f32_e32 v179, v116, v173
	v_add_f32_e32 v65, v65, v66
	s_waitcnt vmcnt(2) lgkmcnt(0)
	v_mul_f32_e32 v66, v118, v176
	v_add_f32_e32 v64, v64, v179
	v_mul_f32_e32 v179, v117, v176
	v_fma_f32 v66, v117, v175, -v66
	v_fmac_f32_e32 v179, v118, v175
	v_add_f32_e32 v65, v65, v66
	s_waitcnt vmcnt(0)
	v_mul_f32_e32 v66, v120, v178
	v_add_f32_e32 v64, v64, v179
	v_mul_f32_e32 v179, v119, v178
	v_fma_f32 v66, v119, v177, -v66
	v_fmac_f32_e32 v179, v120, v177
	v_add_f32_e32 v65, v65, v66
	v_add_f32_e32 v64, v64, v179
	v_sub_f32_e32 v65, v151, v65
	v_sub_f32_e32 v64, v152, v64
	buffer_store_dword v65, off, s[0:3], 0 offset:16
	buffer_store_dword v64, off, s[0:3], 0 offset:20
	s_and_saveexec_b64 s[4:5], vcc
	s_cbranch_execz .LBB30_197
; %bb.196:
	buffer_load_dword v64, off, s[0:3], 0 offset:8
	buffer_load_dword v65, off, s[0:3], 0 offset:12
	v_mov_b32_e32 v66, 0
	buffer_store_dword v66, off, s[0:3], 0 offset:8
	buffer_store_dword v66, off, s[0:3], 0 offset:12
	s_waitcnt vmcnt(2)
	ds_write_b64 v63, v[64:65]
.LBB30_197:
	s_or_b64 exec, exec, s[4:5]
	s_waitcnt lgkmcnt(0)
	; wave barrier
	buffer_load_dword v123, off, s[0:3], 0 offset:20
	buffer_load_dword v124, off, s[0:3], 0 offset:28
	;; [unrolled: 1-line block ×60, first 2 shown]
	v_mov_b32_e32 v64, 0
	ds_read_b128 v[65:68], v64 offset:272
	ds_read_b128 v[69:72], v64 offset:288
	;; [unrolled: 1-line block ×5, first 2 shown]
	v_cmp_ne_u32_e32 vcc, 0, v0
	s_waitcnt vmcnt(59) lgkmcnt(4)
	v_mul_f32_e32 v85, v65, v123
	s_waitcnt vmcnt(58)
	v_mul_f32_e32 v86, v67, v124
	s_waitcnt vmcnt(57) lgkmcnt(3)
	v_mul_f32_e32 v87, v69, v125
	s_waitcnt vmcnt(56)
	v_mul_f32_e32 v88, v71, v126
	;; [unrolled: 4-line block ×3, first 2 shown]
	s_waitcnt vmcnt(53) lgkmcnt(1)
	v_mul_f32_e32 v91, v77, v129
	s_waitcnt vmcnt(52)
	v_fmac_f32_e32 v85, v66, v130
	s_waitcnt vmcnt(51)
	v_fmac_f32_e32 v86, v68, v131
	v_add_f32_e32 v85, 0, v85
	s_waitcnt vmcnt(50)
	v_fmac_f32_e32 v87, v70, v132
	v_add_f32_e32 v85, v85, v86
	;; [unrolled: 3-line block ×6, first 2 shown]
	s_waitcnt vmcnt(45)
	v_mul_f32_e32 v86, v79, v137
	v_add_f32_e32 v85, v85, v91
	s_waitcnt vmcnt(44)
	v_fmac_f32_e32 v86, v80, v138
	v_mul_f32_e32 v66, v66, v123
	v_add_f32_e32 v89, v85, v86
	ds_read_b128 v[85:88], v64 offset:352
	v_fma_f32 v65, v65, v130, -v66
	v_mul_f32_e32 v66, v68, v124
	s_waitcnt vmcnt(43) lgkmcnt(1)
	v_mul_f32_e32 v90, v81, v139
	v_add_f32_e32 v65, 0, v65
	v_fma_f32 v66, v67, v131, -v66
	s_waitcnt vmcnt(42)
	v_fmac_f32_e32 v90, v82, v140
	v_add_f32_e32 v65, v65, v66
	v_mul_f32_e32 v66, v70, v125
	v_add_f32_e32 v89, v89, v90
	s_waitcnt vmcnt(41)
	v_mul_f32_e32 v90, v83, v141
	v_fma_f32 v66, v69, v132, -v66
	s_waitcnt vmcnt(40)
	v_fmac_f32_e32 v90, v84, v142
	v_add_f32_e32 v65, v65, v66
	v_mul_f32_e32 v66, v72, v126
	v_add_f32_e32 v89, v89, v90
	s_waitcnt vmcnt(39) lgkmcnt(0)
	v_mul_f32_e32 v90, v85, v143
	v_fma_f32 v66, v71, v133, -v66
	s_waitcnt vmcnt(38)
	v_fmac_f32_e32 v90, v86, v144
	v_add_f32_e32 v65, v65, v66
	v_mul_f32_e32 v66, v74, v127
	v_add_f32_e32 v93, v89, v90
	ds_read_b128 v[89:92], v64 offset:368
	v_fma_f32 v66, v73, v134, -v66
	v_add_f32_e32 v65, v65, v66
	v_mul_f32_e32 v66, v76, v128
	s_waitcnt vmcnt(37)
	v_mul_f32_e32 v94, v87, v145
	v_fma_f32 v66, v75, v135, -v66
	s_waitcnt vmcnt(36)
	v_fmac_f32_e32 v94, v88, v146
	v_add_f32_e32 v65, v65, v66
	v_mul_f32_e32 v66, v78, v129
	v_add_f32_e32 v97, v93, v94
	ds_read_b128 v[93:96], v64 offset:384
	v_fma_f32 v66, v77, v136, -v66
	s_waitcnt vmcnt(34) lgkmcnt(1)
	v_mul_f32_e32 v98, v89, v148
	v_add_f32_e32 v65, v65, v66
	v_mul_f32_e32 v66, v80, v137
	v_fmac_f32_e32 v98, v90, v147
	v_fma_f32 v66, v79, v138, -v66
	v_add_f32_e32 v97, v97, v98
	s_waitcnt vmcnt(31)
	v_mul_f32_e32 v98, v91, v151
	v_add_f32_e32 v65, v65, v66
	v_mul_f32_e32 v66, v82, v139
	s_waitcnt vmcnt(30)
	v_fmac_f32_e32 v98, v92, v152
	v_fma_f32 v66, v81, v140, -v66
	v_add_f32_e32 v97, v97, v98
	s_waitcnt vmcnt(28) lgkmcnt(0)
	v_mul_f32_e32 v98, v93, v154
	v_add_f32_e32 v65, v65, v66
	v_mul_f32_e32 v66, v84, v141
	v_fmac_f32_e32 v98, v94, v153
	v_fma_f32 v66, v83, v142, -v66
	v_add_f32_e32 v101, v97, v98
	ds_read_b128 v[97:100], v64 offset:400
	v_add_f32_e32 v65, v65, v66
	v_mul_f32_e32 v66, v86, v143
	v_fma_f32 v66, v85, v144, -v66
	s_waitcnt vmcnt(26)
	v_mul_f32_e32 v102, v95, v156
	v_add_f32_e32 v65, v65, v66
	v_mul_f32_e32 v66, v88, v145
	v_fmac_f32_e32 v102, v96, v155
	v_fma_f32 v66, v87, v146, -v66
	v_add_f32_e32 v105, v101, v102
	ds_read_b128 v[101:104], v64 offset:416
	v_add_f32_e32 v65, v65, v66
	v_mul_f32_e32 v66, v90, v148
	s_waitcnt vmcnt(24) lgkmcnt(1)
	v_mul_f32_e32 v106, v97, v158
	v_fma_f32 v66, v89, v147, -v66
	v_fmac_f32_e32 v106, v98, v157
	v_add_f32_e32 v65, v65, v66
	v_mul_f32_e32 v66, v92, v151
	v_add_f32_e32 v105, v105, v106
	s_waitcnt vmcnt(22)
	v_mul_f32_e32 v106, v99, v160
	v_fma_f32 v66, v91, v152, -v66
	v_fmac_f32_e32 v106, v100, v159
	v_add_f32_e32 v65, v65, v66
	v_mul_f32_e32 v66, v94, v154
	v_add_f32_e32 v105, v105, v106
	s_waitcnt vmcnt(20) lgkmcnt(0)
	v_mul_f32_e32 v106, v101, v162
	v_fma_f32 v66, v93, v153, -v66
	v_fmac_f32_e32 v106, v102, v161
	v_add_f32_e32 v65, v65, v66
	v_mul_f32_e32 v66, v96, v156
	v_add_f32_e32 v109, v105, v106
	ds_read_b128 v[105:108], v64 offset:432
	v_fma_f32 v66, v95, v155, -v66
	v_add_f32_e32 v65, v65, v66
	v_mul_f32_e32 v66, v98, v158
	s_waitcnt vmcnt(18)
	v_mul_f32_e32 v110, v103, v164
	v_fma_f32 v66, v97, v157, -v66
	v_fmac_f32_e32 v110, v104, v163
	v_add_f32_e32 v65, v65, v66
	v_mul_f32_e32 v66, v100, v160
	v_add_f32_e32 v113, v109, v110
	ds_read_b128 v[109:112], v64 offset:448
	v_fma_f32 v66, v99, v159, -v66
	s_waitcnt vmcnt(16) lgkmcnt(1)
	v_mul_f32_e32 v114, v105, v166
	v_add_f32_e32 v65, v65, v66
	v_mul_f32_e32 v66, v102, v162
	v_fmac_f32_e32 v114, v106, v165
	v_fma_f32 v66, v101, v161, -v66
	v_add_f32_e32 v113, v113, v114
	s_waitcnt vmcnt(14)
	v_mul_f32_e32 v114, v107, v168
	v_add_f32_e32 v65, v65, v66
	v_mul_f32_e32 v66, v104, v164
	v_fmac_f32_e32 v114, v108, v167
	v_fma_f32 v66, v103, v163, -v66
	v_add_f32_e32 v113, v113, v114
	s_waitcnt vmcnt(12) lgkmcnt(0)
	v_mul_f32_e32 v114, v109, v170
	v_add_f32_e32 v65, v65, v66
	v_mul_f32_e32 v66, v106, v166
	v_fmac_f32_e32 v114, v110, v169
	v_fma_f32 v66, v105, v165, -v66
	v_add_f32_e32 v117, v113, v114
	ds_read_b128 v[113:116], v64 offset:464
	v_add_f32_e32 v65, v65, v66
	v_mul_f32_e32 v66, v108, v168
	v_fma_f32 v66, v107, v167, -v66
	v_add_f32_e32 v65, v65, v66
	v_mul_f32_e32 v66, v110, v170
	s_waitcnt vmcnt(10)
	v_mul_f32_e32 v118, v111, v172
	v_fma_f32 v66, v109, v169, -v66
	v_fmac_f32_e32 v118, v112, v171
	v_add_f32_e32 v65, v65, v66
	v_mul_f32_e32 v66, v112, v172
	v_add_f32_e32 v121, v117, v118
	ds_read_b128 v[117:120], v64 offset:480
	s_waitcnt vmcnt(8) lgkmcnt(1)
	v_mul_f32_e32 v122, v113, v174
	v_fma_f32 v66, v111, v171, -v66
	v_fmac_f32_e32 v122, v114, v173
	v_add_f32_e32 v65, v65, v66
	v_mul_f32_e32 v66, v114, v174
	v_add_f32_e32 v121, v121, v122
	s_waitcnt vmcnt(6)
	v_mul_f32_e32 v122, v115, v176
	v_fma_f32 v66, v113, v173, -v66
	v_fmac_f32_e32 v122, v116, v175
	v_add_f32_e32 v65, v65, v66
	v_mul_f32_e32 v66, v116, v176
	v_add_f32_e32 v183, v121, v122
	ds_read_b64 v[121:122], v64 offset:496
	v_fma_f32 v66, v115, v175, -v66
	v_add_f32_e32 v65, v65, v66
	s_waitcnt vmcnt(4) lgkmcnt(1)
	v_mul_f32_e32 v66, v118, v178
	v_mul_f32_e32 v184, v117, v178
	v_fma_f32 v66, v117, v177, -v66
	v_fmac_f32_e32 v184, v118, v177
	v_add_f32_e32 v65, v65, v66
	s_waitcnt vmcnt(2)
	v_mul_f32_e32 v66, v120, v180
	v_add_f32_e32 v183, v183, v184
	v_mul_f32_e32 v184, v119, v180
	v_fma_f32 v66, v119, v179, -v66
	v_fmac_f32_e32 v184, v120, v179
	v_add_f32_e32 v65, v65, v66
	s_waitcnt vmcnt(0) lgkmcnt(0)
	v_mul_f32_e32 v66, v122, v182
	v_add_f32_e32 v183, v183, v184
	v_mul_f32_e32 v184, v121, v182
	v_fma_f32 v66, v121, v181, -v66
	v_fmac_f32_e32 v184, v122, v181
	v_add_f32_e32 v65, v65, v66
	v_add_f32_e32 v183, v183, v184
	v_sub_f32_e32 v65, v149, v65
	v_sub_f32_e32 v66, v150, v183
	buffer_store_dword v65, off, s[0:3], 0 offset:8
	buffer_store_dword v66, off, s[0:3], 0 offset:12
	s_and_saveexec_b64 s[4:5], vcc
	s_cbranch_execz .LBB30_199
; %bb.198:
	buffer_load_dword v65, off, s[0:3], 0
	buffer_load_dword v66, off, s[0:3], 0 offset:4
	s_waitcnt vmcnt(0)
	ds_write_b64 v63, v[65:66]
	buffer_store_dword v64, off, s[0:3], 0
	buffer_store_dword v64, off, s[0:3], 0 offset:4
.LBB30_199:
	s_or_b64 exec, exec, s[4:5]
	s_waitcnt lgkmcnt(0)
	; wave barrier
	buffer_load_dword v0, off, s[0:3], 0 offset:12
	buffer_load_dword v63, off, s[0:3], 0 offset:20
	;; [unrolled: 1-line block ×24, first 2 shown]
	buffer_load_dword v147, off, s[0:3], 0
	buffer_load_dword v148, off, s[0:3], 0 offset:4
	buffer_load_dword v149, off, s[0:3], 0 offset:108
	;; [unrolled: 1-line block ×7, first 2 shown]
	ds_read2_b64 v[65:68], v64 offset0:33 offset1:34
	ds_read2_b64 v[69:72], v64 offset0:35 offset1:36
	;; [unrolled: 1-line block ×4, first 2 shown]
	buffer_load_dword v155, off, s[0:3], 0 offset:132
	buffer_load_dword v156, off, s[0:3], 0 offset:128
	;; [unrolled: 1-line block ×30, first 2 shown]
	s_and_b64 vcc, exec, s[22:23]
	s_waitcnt vmcnt(61) lgkmcnt(3)
	v_mul_f32_e32 v81, v65, v0
	s_waitcnt vmcnt(60)
	v_mul_f32_e32 v82, v67, v63
	s_waitcnt vmcnt(59) lgkmcnt(2)
	v_mul_f32_e32 v83, v69, v125
	s_waitcnt vmcnt(58)
	v_mul_f32_e32 v84, v71, v126
	;; [unrolled: 4-line block ×3, first 2 shown]
	s_waitcnt vmcnt(55) lgkmcnt(0)
	v_mul_f32_e32 v87, v77, v129
	s_waitcnt vmcnt(54)
	v_fmac_f32_e32 v81, v66, v130
	s_waitcnt vmcnt(53)
	v_fmac_f32_e32 v82, v68, v131
	v_add_f32_e32 v81, 0, v81
	s_waitcnt vmcnt(52)
	v_fmac_f32_e32 v83, v70, v132
	v_add_f32_e32 v81, v81, v82
	;; [unrolled: 3-line block ×6, first 2 shown]
	v_add_f32_e32 v85, v81, v87
	ds_read2_b64 v[81:84], v64 offset0:41 offset1:42
	s_waitcnt vmcnt(47)
	v_mul_f32_e32 v86, v79, v137
	s_waitcnt vmcnt(46)
	v_fmac_f32_e32 v86, v80, v138
	v_mul_f32_e32 v0, v66, v0
	v_add_f32_e32 v89, v85, v86
	ds_read2_b64 v[85:88], v64 offset0:43 offset1:44
	v_fma_f32 v0, v65, v130, -v0
	v_mul_f32_e32 v63, v68, v63
	s_waitcnt vmcnt(45) lgkmcnt(1)
	v_mul_f32_e32 v90, v81, v139
	v_add_f32_e32 v0, 0, v0
	v_fma_f32 v63, v67, v131, -v63
	s_waitcnt vmcnt(44)
	v_fmac_f32_e32 v90, v82, v140
	v_add_f32_e32 v0, v0, v63
	v_mul_f32_e32 v63, v70, v125
	v_add_f32_e32 v89, v89, v90
	s_waitcnt vmcnt(43)
	v_mul_f32_e32 v90, v83, v141
	v_fma_f32 v63, v69, v132, -v63
	s_waitcnt vmcnt(42)
	v_fmac_f32_e32 v90, v84, v142
	v_add_f32_e32 v0, v0, v63
	v_mul_f32_e32 v63, v72, v126
	v_add_f32_e32 v89, v89, v90
	s_waitcnt vmcnt(41) lgkmcnt(0)
	v_mul_f32_e32 v90, v85, v143
	v_fma_f32 v63, v71, v133, -v63
	s_waitcnt vmcnt(40)
	v_fmac_f32_e32 v90, v86, v144
	v_add_f32_e32 v0, v0, v63
	v_mul_f32_e32 v63, v74, v127
	v_add_f32_e32 v93, v89, v90
	ds_read2_b64 v[89:92], v64 offset0:45 offset1:46
	v_fma_f32 v63, v73, v134, -v63
	v_add_f32_e32 v0, v0, v63
	v_mul_f32_e32 v63, v76, v128
	s_waitcnt vmcnt(39)
	v_mul_f32_e32 v94, v87, v145
	v_fma_f32 v63, v75, v135, -v63
	s_waitcnt vmcnt(38)
	v_fmac_f32_e32 v94, v88, v146
	v_add_f32_e32 v0, v0, v63
	v_mul_f32_e32 v63, v78, v129
	v_add_f32_e32 v97, v93, v94
	ds_read2_b64 v[93:96], v64 offset0:47 offset1:48
	v_fma_f32 v63, v77, v136, -v63
	s_waitcnt vmcnt(35) lgkmcnt(1)
	v_mul_f32_e32 v98, v89, v149
	v_add_f32_e32 v0, v0, v63
	v_mul_f32_e32 v63, v80, v137
	s_waitcnt vmcnt(34)
	v_fmac_f32_e32 v98, v90, v150
	v_fma_f32 v63, v79, v138, -v63
	v_add_f32_e32 v97, v97, v98
	s_waitcnt vmcnt(32)
	v_mul_f32_e32 v98, v91, v152
	v_add_f32_e32 v0, v0, v63
	v_mul_f32_e32 v63, v82, v139
	v_fmac_f32_e32 v98, v92, v151
	v_fma_f32 v63, v81, v140, -v63
	v_add_f32_e32 v97, v97, v98
	s_waitcnt vmcnt(30) lgkmcnt(0)
	v_mul_f32_e32 v98, v93, v154
	v_add_f32_e32 v0, v0, v63
	v_mul_f32_e32 v63, v84, v141
	v_fmac_f32_e32 v98, v94, v153
	v_fma_f32 v63, v83, v142, -v63
	v_add_f32_e32 v101, v97, v98
	ds_read2_b64 v[97:100], v64 offset0:49 offset1:50
	v_add_f32_e32 v0, v0, v63
	v_mul_f32_e32 v63, v86, v143
	v_fma_f32 v63, v85, v144, -v63
	s_waitcnt vmcnt(29)
	v_mul_f32_e32 v102, v95, v155
	v_add_f32_e32 v0, v0, v63
	v_mul_f32_e32 v63, v88, v145
	s_waitcnt vmcnt(28)
	v_fmac_f32_e32 v102, v96, v156
	v_fma_f32 v63, v87, v146, -v63
	v_add_f32_e32 v105, v101, v102
	ds_read2_b64 v[101:104], v64 offset0:51 offset1:52
	v_add_f32_e32 v0, v0, v63
	v_mul_f32_e32 v63, v90, v149
	s_waitcnt vmcnt(26) lgkmcnt(1)
	v_mul_f32_e32 v106, v97, v158
	v_fma_f32 v63, v89, v150, -v63
	v_fmac_f32_e32 v106, v98, v157
	v_add_f32_e32 v0, v0, v63
	v_mul_f32_e32 v63, v92, v152
	v_add_f32_e32 v105, v105, v106
	s_waitcnt vmcnt(24)
	v_mul_f32_e32 v106, v99, v160
	v_fma_f32 v63, v91, v151, -v63
	v_fmac_f32_e32 v106, v100, v159
	v_add_f32_e32 v0, v0, v63
	v_mul_f32_e32 v63, v94, v154
	v_add_f32_e32 v105, v105, v106
	s_waitcnt vmcnt(22) lgkmcnt(0)
	v_mul_f32_e32 v106, v101, v162
	v_fma_f32 v63, v93, v153, -v63
	v_fmac_f32_e32 v106, v102, v161
	v_add_f32_e32 v0, v0, v63
	v_mul_f32_e32 v63, v96, v155
	v_add_f32_e32 v109, v105, v106
	ds_read2_b64 v[105:108], v64 offset0:53 offset1:54
	v_fma_f32 v63, v95, v156, -v63
	v_add_f32_e32 v0, v0, v63
	v_mul_f32_e32 v63, v98, v158
	s_waitcnt vmcnt(20)
	v_mul_f32_e32 v110, v103, v164
	v_fma_f32 v63, v97, v157, -v63
	v_fmac_f32_e32 v110, v104, v163
	v_add_f32_e32 v0, v0, v63
	v_mul_f32_e32 v63, v100, v160
	v_add_f32_e32 v113, v109, v110
	ds_read2_b64 v[109:112], v64 offset0:55 offset1:56
	v_fma_f32 v63, v99, v159, -v63
	s_waitcnt vmcnt(18) lgkmcnt(1)
	v_mul_f32_e32 v114, v105, v166
	v_add_f32_e32 v0, v0, v63
	v_mul_f32_e32 v63, v102, v162
	v_fmac_f32_e32 v114, v106, v165
	v_fma_f32 v63, v101, v161, -v63
	v_add_f32_e32 v113, v113, v114
	s_waitcnt vmcnt(16)
	v_mul_f32_e32 v114, v107, v168
	v_add_f32_e32 v0, v0, v63
	v_mul_f32_e32 v63, v104, v164
	v_fmac_f32_e32 v114, v108, v167
	v_fma_f32 v63, v103, v163, -v63
	v_add_f32_e32 v113, v113, v114
	s_waitcnt vmcnt(14) lgkmcnt(0)
	v_mul_f32_e32 v114, v109, v170
	v_add_f32_e32 v0, v0, v63
	v_mul_f32_e32 v63, v106, v166
	v_fmac_f32_e32 v114, v110, v169
	v_fma_f32 v63, v105, v165, -v63
	v_add_f32_e32 v117, v113, v114
	ds_read2_b64 v[113:116], v64 offset0:57 offset1:58
	v_add_f32_e32 v0, v0, v63
	v_mul_f32_e32 v63, v108, v168
	v_fma_f32 v63, v107, v167, -v63
	v_add_f32_e32 v0, v0, v63
	v_mul_f32_e32 v63, v110, v170
	s_waitcnt vmcnt(12)
	v_mul_f32_e32 v118, v111, v172
	v_fma_f32 v63, v109, v169, -v63
	v_fmac_f32_e32 v118, v112, v171
	v_add_f32_e32 v0, v0, v63
	v_mul_f32_e32 v63, v112, v172
	v_add_f32_e32 v121, v117, v118
	ds_read2_b64 v[117:120], v64 offset0:59 offset1:60
	s_waitcnt vmcnt(10) lgkmcnt(1)
	v_mul_f32_e32 v122, v113, v174
	v_fma_f32 v63, v111, v171, -v63
	v_fmac_f32_e32 v122, v114, v173
	v_add_f32_e32 v0, v0, v63
	v_mul_f32_e32 v63, v114, v174
	v_add_f32_e32 v121, v121, v122
	s_waitcnt vmcnt(8)
	v_mul_f32_e32 v122, v115, v176
	v_fma_f32 v63, v113, v173, -v63
	v_fmac_f32_e32 v122, v116, v175
	v_add_f32_e32 v0, v0, v63
	v_mul_f32_e32 v63, v116, v176
	v_add_f32_e32 v185, v121, v122
	ds_read2_b64 v[121:124], v64 offset0:61 offset1:62
	v_fma_f32 v63, v115, v175, -v63
	v_add_f32_e32 v0, v0, v63
	s_waitcnt vmcnt(6) lgkmcnt(1)
	v_mul_f32_e32 v63, v118, v178
	v_mul_f32_e32 v186, v117, v178
	v_fma_f32 v63, v117, v177, -v63
	v_fmac_f32_e32 v186, v118, v177
	v_add_f32_e32 v0, v0, v63
	s_waitcnt vmcnt(4)
	v_mul_f32_e32 v63, v120, v180
	v_add_f32_e32 v64, v185, v186
	v_mul_f32_e32 v185, v119, v180
	v_fma_f32 v63, v119, v179, -v63
	v_fmac_f32_e32 v185, v120, v179
	v_add_f32_e32 v0, v0, v63
	s_waitcnt vmcnt(2) lgkmcnt(0)
	v_mul_f32_e32 v63, v122, v182
	v_add_f32_e32 v64, v64, v185
	v_mul_f32_e32 v185, v121, v182
	v_fma_f32 v63, v121, v181, -v63
	v_fmac_f32_e32 v185, v122, v181
	v_add_f32_e32 v0, v0, v63
	s_waitcnt vmcnt(0)
	v_mul_f32_e32 v63, v124, v184
	v_add_f32_e32 v64, v64, v185
	v_mul_f32_e32 v185, v123, v184
	v_fma_f32 v63, v123, v183, -v63
	v_fmac_f32_e32 v185, v124, v183
	v_add_f32_e32 v0, v0, v63
	v_add_f32_e32 v64, v64, v185
	v_sub_f32_e32 v0, v147, v0
	v_sub_f32_e32 v63, v148, v64
	buffer_store_dword v0, off, s[0:3], 0
	buffer_store_dword v63, off, s[0:3], 0 offset:4
	s_cbranch_vccz .LBB30_260
; %bb.200:
	v_mov_b32_e32 v0, 0
	global_load_dword v63, v0, s[20:21] offset:116
	s_waitcnt vmcnt(0)
	v_add_u32_e32 v63, -1, v63
	v_cmp_ne_u32_e32 vcc, 29, v63
	s_cbranch_vccz .LBB30_202
; %bb.201:
	v_lshlrev_b32_e32 v63, 3, v63
	buffer_load_dword v64, v63, s[0:3], 0 offen
	buffer_load_dword v65, v63, s[0:3], 0 offen offset:4
	buffer_load_dword v66, off, s[0:3], 0 offset:232
	buffer_load_dword v67, off, s[0:3], 0 offset:236
	s_waitcnt vmcnt(3)
	buffer_store_dword v64, off, s[0:3], 0 offset:232
	s_waitcnt vmcnt(3)
	buffer_store_dword v65, off, s[0:3], 0 offset:236
	s_waitcnt vmcnt(3)
	buffer_store_dword v66, v63, s[0:3], 0 offen
	s_waitcnt vmcnt(3)
	buffer_store_dword v67, v63, s[0:3], 0 offen offset:4
.LBB30_202:
	global_load_dword v0, v0, s[20:21] offset:112
	s_waitcnt vmcnt(0)
	v_add_u32_e32 v0, -1, v0
	v_cmp_eq_u32_e32 vcc, 28, v0
	s_cbranch_vccnz .LBB30_204
; %bb.203:
	v_lshlrev_b32_e32 v0, 3, v0
	buffer_load_dword v63, v0, s[0:3], 0 offen
	buffer_load_dword v64, v0, s[0:3], 0 offen offset:4
	buffer_load_dword v65, off, s[0:3], 0 offset:228
	buffer_load_dword v66, off, s[0:3], 0 offset:224
	s_waitcnt vmcnt(3)
	buffer_store_dword v63, off, s[0:3], 0 offset:224
	s_waitcnt vmcnt(3)
	buffer_store_dword v64, off, s[0:3], 0 offset:228
	s_waitcnt vmcnt(3)
	buffer_store_dword v65, v0, s[0:3], 0 offen offset:4
	s_waitcnt vmcnt(3)
	buffer_store_dword v66, v0, s[0:3], 0 offen
.LBB30_204:
	v_mov_b32_e32 v0, 0
	global_load_dword v63, v0, s[20:21] offset:108
	s_waitcnt vmcnt(0)
	v_add_u32_e32 v63, -1, v63
	v_cmp_eq_u32_e32 vcc, 27, v63
	s_cbranch_vccnz .LBB30_206
; %bb.205:
	v_lshlrev_b32_e32 v63, 3, v63
	buffer_load_dword v64, v63, s[0:3], 0 offen
	buffer_load_dword v65, v63, s[0:3], 0 offen offset:4
	buffer_load_dword v66, off, s[0:3], 0 offset:216
	buffer_load_dword v67, off, s[0:3], 0 offset:220
	s_waitcnt vmcnt(3)
	buffer_store_dword v64, off, s[0:3], 0 offset:216
	s_waitcnt vmcnt(3)
	buffer_store_dword v65, off, s[0:3], 0 offset:220
	s_waitcnt vmcnt(3)
	buffer_store_dword v66, v63, s[0:3], 0 offen
	s_waitcnt vmcnt(3)
	buffer_store_dword v67, v63, s[0:3], 0 offen offset:4
.LBB30_206:
	global_load_dword v0, v0, s[20:21] offset:104
	s_waitcnt vmcnt(0)
	v_add_u32_e32 v0, -1, v0
	v_cmp_eq_u32_e32 vcc, 26, v0
	s_cbranch_vccnz .LBB30_208
; %bb.207:
	v_lshlrev_b32_e32 v0, 3, v0
	buffer_load_dword v63, v0, s[0:3], 0 offen
	buffer_load_dword v64, v0, s[0:3], 0 offen offset:4
	buffer_load_dword v65, off, s[0:3], 0 offset:212
	buffer_load_dword v66, off, s[0:3], 0 offset:208
	s_waitcnt vmcnt(3)
	buffer_store_dword v63, off, s[0:3], 0 offset:208
	s_waitcnt vmcnt(3)
	buffer_store_dword v64, off, s[0:3], 0 offset:212
	s_waitcnt vmcnt(3)
	buffer_store_dword v65, v0, s[0:3], 0 offen offset:4
	s_waitcnt vmcnt(3)
	buffer_store_dword v66, v0, s[0:3], 0 offen
.LBB30_208:
	v_mov_b32_e32 v0, 0
	global_load_dword v63, v0, s[20:21] offset:100
	s_waitcnt vmcnt(0)
	v_add_u32_e32 v63, -1, v63
	v_cmp_eq_u32_e32 vcc, 25, v63
	s_cbranch_vccnz .LBB30_210
; %bb.209:
	v_lshlrev_b32_e32 v63, 3, v63
	buffer_load_dword v64, v63, s[0:3], 0 offen
	buffer_load_dword v65, v63, s[0:3], 0 offen offset:4
	buffer_load_dword v66, off, s[0:3], 0 offset:200
	buffer_load_dword v67, off, s[0:3], 0 offset:204
	s_waitcnt vmcnt(3)
	buffer_store_dword v64, off, s[0:3], 0 offset:200
	s_waitcnt vmcnt(3)
	buffer_store_dword v65, off, s[0:3], 0 offset:204
	s_waitcnt vmcnt(3)
	buffer_store_dword v66, v63, s[0:3], 0 offen
	s_waitcnt vmcnt(3)
	buffer_store_dword v67, v63, s[0:3], 0 offen offset:4
.LBB30_210:
	;; [unrolled: 41-line block ×14, first 2 shown]
	global_load_dword v0, v0, s[20:21]
	s_waitcnt vmcnt(0)
	v_add_u32_e32 v0, -1, v0
	v_cmp_eq_u32_e32 vcc, 0, v0
	s_cbranch_vccnz .LBB30_260
; %bb.259:
	v_lshlrev_b32_e32 v0, 3, v0
	buffer_load_dword v63, v0, s[0:3], 0 offen
	buffer_load_dword v64, v0, s[0:3], 0 offen offset:4
	buffer_load_dword v65, off, s[0:3], 0 offset:4
	buffer_load_dword v66, off, s[0:3], 0
	s_waitcnt vmcnt(3)
	buffer_store_dword v63, off, s[0:3], 0
	s_waitcnt vmcnt(3)
	buffer_store_dword v64, off, s[0:3], 0 offset:4
	s_waitcnt vmcnt(3)
	buffer_store_dword v65, v0, s[0:3], 0 offen offset:4
	s_waitcnt vmcnt(3)
	buffer_store_dword v66, v0, s[0:3], 0 offen
.LBB30_260:
	buffer_load_dword v63, off, s[0:3], 0
	buffer_load_dword v64, off, s[0:3], 0 offset:4
	buffer_load_dword v65, off, s[0:3], 0 offset:8
	s_nop 0
	buffer_load_dword v66, off, s[0:3], 0 offset:12
	buffer_load_dword v67, off, s[0:3], 0 offset:16
	;; [unrolled: 1-line block ×59, first 2 shown]
	s_waitcnt vmcnt(60)
	global_store_dwordx2 v[53:54], v[63:64], off
	s_waitcnt vmcnt(59)
	global_store_dwordx2 v[55:56], v[65:66], off
	;; [unrolled: 2-line block ×9, first 2 shown]
	global_store_dwordx2 v[15:16], v[81:82], off
	global_store_dwordx2 v[17:18], v[83:84], off
	;; [unrolled: 1-line block ×3, first 2 shown]
	s_waitcnt vmcnt(48)
	global_store_dwordx2 v[21:22], v[87:88], off
	s_waitcnt vmcnt(47)
	global_store_dwordx2 v[23:24], v[89:90], off
	;; [unrolled: 2-line block ×19, first 2 shown]
	s_endpgm
	.section	.rodata,"a",@progbits
	.p2align	6, 0x0
	.amdhsa_kernel _ZN9rocsolver6v33100L18getri_kernel_smallILi31E19rocblas_complex_numIfEPS3_EEvT1_iilPiilS6_bb
		.amdhsa_group_segment_fixed_size 504
		.amdhsa_private_segment_fixed_size 256
		.amdhsa_kernarg_size 60
		.amdhsa_user_sgpr_count 6
		.amdhsa_user_sgpr_private_segment_buffer 1
		.amdhsa_user_sgpr_dispatch_ptr 0
		.amdhsa_user_sgpr_queue_ptr 0
		.amdhsa_user_sgpr_kernarg_segment_ptr 1
		.amdhsa_user_sgpr_dispatch_id 0
		.amdhsa_user_sgpr_flat_scratch_init 0
		.amdhsa_user_sgpr_private_segment_size 0
		.amdhsa_uses_dynamic_stack 0
		.amdhsa_system_sgpr_private_segment_wavefront_offset 1
		.amdhsa_system_sgpr_workgroup_id_x 1
		.amdhsa_system_sgpr_workgroup_id_y 0
		.amdhsa_system_sgpr_workgroup_id_z 0
		.amdhsa_system_sgpr_workgroup_info 0
		.amdhsa_system_vgpr_workitem_id 0
		.amdhsa_next_free_vgpr 187
		.amdhsa_next_free_sgpr 24
		.amdhsa_reserve_vcc 1
		.amdhsa_reserve_flat_scratch 0
		.amdhsa_float_round_mode_32 0
		.amdhsa_float_round_mode_16_64 0
		.amdhsa_float_denorm_mode_32 3
		.amdhsa_float_denorm_mode_16_64 3
		.amdhsa_dx10_clamp 1
		.amdhsa_ieee_mode 1
		.amdhsa_fp16_overflow 0
		.amdhsa_exception_fp_ieee_invalid_op 0
		.amdhsa_exception_fp_denorm_src 0
		.amdhsa_exception_fp_ieee_div_zero 0
		.amdhsa_exception_fp_ieee_overflow 0
		.amdhsa_exception_fp_ieee_underflow 0
		.amdhsa_exception_fp_ieee_inexact 0
		.amdhsa_exception_int_div_zero 0
	.end_amdhsa_kernel
	.section	.text._ZN9rocsolver6v33100L18getri_kernel_smallILi31E19rocblas_complex_numIfEPS3_EEvT1_iilPiilS6_bb,"axG",@progbits,_ZN9rocsolver6v33100L18getri_kernel_smallILi31E19rocblas_complex_numIfEPS3_EEvT1_iilPiilS6_bb,comdat
.Lfunc_end30:
	.size	_ZN9rocsolver6v33100L18getri_kernel_smallILi31E19rocblas_complex_numIfEPS3_EEvT1_iilPiilS6_bb, .Lfunc_end30-_ZN9rocsolver6v33100L18getri_kernel_smallILi31E19rocblas_complex_numIfEPS3_EEvT1_iilPiilS6_bb
                                        ; -- End function
	.set _ZN9rocsolver6v33100L18getri_kernel_smallILi31E19rocblas_complex_numIfEPS3_EEvT1_iilPiilS6_bb.num_vgpr, 187
	.set _ZN9rocsolver6v33100L18getri_kernel_smallILi31E19rocblas_complex_numIfEPS3_EEvT1_iilPiilS6_bb.num_agpr, 0
	.set _ZN9rocsolver6v33100L18getri_kernel_smallILi31E19rocblas_complex_numIfEPS3_EEvT1_iilPiilS6_bb.numbered_sgpr, 24
	.set _ZN9rocsolver6v33100L18getri_kernel_smallILi31E19rocblas_complex_numIfEPS3_EEvT1_iilPiilS6_bb.num_named_barrier, 0
	.set _ZN9rocsolver6v33100L18getri_kernel_smallILi31E19rocblas_complex_numIfEPS3_EEvT1_iilPiilS6_bb.private_seg_size, 256
	.set _ZN9rocsolver6v33100L18getri_kernel_smallILi31E19rocblas_complex_numIfEPS3_EEvT1_iilPiilS6_bb.uses_vcc, 1
	.set _ZN9rocsolver6v33100L18getri_kernel_smallILi31E19rocblas_complex_numIfEPS3_EEvT1_iilPiilS6_bb.uses_flat_scratch, 0
	.set _ZN9rocsolver6v33100L18getri_kernel_smallILi31E19rocblas_complex_numIfEPS3_EEvT1_iilPiilS6_bb.has_dyn_sized_stack, 0
	.set _ZN9rocsolver6v33100L18getri_kernel_smallILi31E19rocblas_complex_numIfEPS3_EEvT1_iilPiilS6_bb.has_recursion, 0
	.set _ZN9rocsolver6v33100L18getri_kernel_smallILi31E19rocblas_complex_numIfEPS3_EEvT1_iilPiilS6_bb.has_indirect_call, 0
	.section	.AMDGPU.csdata,"",@progbits
; Kernel info:
; codeLenInByte = 42432
; TotalNumSgprs: 28
; NumVgprs: 187
; ScratchSize: 256
; MemoryBound: 0
; FloatMode: 240
; IeeeMode: 1
; LDSByteSize: 504 bytes/workgroup (compile time only)
; SGPRBlocks: 3
; VGPRBlocks: 46
; NumSGPRsForWavesPerEU: 28
; NumVGPRsForWavesPerEU: 187
; Occupancy: 1
; WaveLimiterHint : 1
; COMPUTE_PGM_RSRC2:SCRATCH_EN: 1
; COMPUTE_PGM_RSRC2:USER_SGPR: 6
; COMPUTE_PGM_RSRC2:TRAP_HANDLER: 0
; COMPUTE_PGM_RSRC2:TGID_X_EN: 1
; COMPUTE_PGM_RSRC2:TGID_Y_EN: 0
; COMPUTE_PGM_RSRC2:TGID_Z_EN: 0
; COMPUTE_PGM_RSRC2:TIDIG_COMP_CNT: 0
	.section	.text._ZN9rocsolver6v33100L18getri_kernel_smallILi32E19rocblas_complex_numIfEPS3_EEvT1_iilPiilS6_bb,"axG",@progbits,_ZN9rocsolver6v33100L18getri_kernel_smallILi32E19rocblas_complex_numIfEPS3_EEvT1_iilPiilS6_bb,comdat
	.globl	_ZN9rocsolver6v33100L18getri_kernel_smallILi32E19rocblas_complex_numIfEPS3_EEvT1_iilPiilS6_bb ; -- Begin function _ZN9rocsolver6v33100L18getri_kernel_smallILi32E19rocblas_complex_numIfEPS3_EEvT1_iilPiilS6_bb
	.p2align	8
	.type	_ZN9rocsolver6v33100L18getri_kernel_smallILi32E19rocblas_complex_numIfEPS3_EEvT1_iilPiilS6_bb,@function
_ZN9rocsolver6v33100L18getri_kernel_smallILi32E19rocblas_complex_numIfEPS3_EEvT1_iilPiilS6_bb: ; @_ZN9rocsolver6v33100L18getri_kernel_smallILi32E19rocblas_complex_numIfEPS3_EEvT1_iilPiilS6_bb
; %bb.0:
	s_add_u32 s0, s0, s7
	s_addc_u32 s1, s1, 0
	v_cmp_gt_u32_e32 vcc, 32, v0
	s_and_saveexec_b64 s[8:9], vcc
	s_cbranch_execz .LBB31_142
; %bb.1:
	s_load_dword s12, s[4:5], 0x38
	s_load_dwordx4 s[16:19], s[4:5], 0x10
	s_load_dwordx4 s[8:11], s[4:5], 0x28
                                        ; implicit-def: $sgpr20_sgpr21
	s_waitcnt lgkmcnt(0)
	s_bitcmp1_b32 s12, 8
	s_cselect_b64 s[22:23], -1, 0
	s_ashr_i32 s7, s6, 31
	s_bfe_u32 s12, s12, 0x10008
	s_cmp_eq_u32 s12, 0
	s_cbranch_scc1 .LBB31_3
; %bb.2:
	s_load_dword s12, s[4:5], 0x20
	s_mul_i32 s13, s8, s7
	s_mul_hi_u32 s14, s8, s6
	s_mul_i32 s9, s9, s6
	s_add_i32 s14, s14, s13
	s_add_i32 s9, s14, s9
	s_mul_i32 s8, s8, s6
	s_waitcnt lgkmcnt(0)
	s_ashr_i32 s13, s12, 31
	s_lshl_b64 s[8:9], s[8:9], 2
	s_add_u32 s14, s18, s8
	s_addc_u32 s15, s19, s9
	s_lshl_b64 s[8:9], s[12:13], 2
	s_add_u32 s20, s14, s8
	s_addc_u32 s21, s15, s9
.LBB31_3:
	s_load_dwordx4 s[12:15], s[4:5], 0x0
	s_load_dword s8, s[4:5], 0x38
	s_mul_i32 s9, s16, s7
	s_mul_hi_u32 s18, s16, s6
	s_add_i32 s9, s18, s9
	s_waitcnt lgkmcnt(0)
	s_ashr_i32 s5, s14, 31
	s_mov_b32 s4, s14
	s_mul_i32 s14, s17, s6
	s_add_i32 s17, s9, s14
	s_mul_i32 s16, s16, s6
	s_lshl_b64 s[16:17], s[16:17], 3
	s_add_u32 s9, s12, s16
	s_addc_u32 s12, s13, s17
	s_lshl_b64 s[4:5], s[4:5], 3
	s_add_u32 s4, s9, s4
	s_addc_u32 s5, s12, s5
	s_add_i32 s9, s15, s15
	v_add_u32_e32 v3, s9, v0
	v_ashrrev_i32_e32 v4, 31, v3
	v_lshlrev_b64 v[1:2], 3, v[3:4]
	v_add_u32_e32 v5, s15, v3
	v_mov_b32_e32 v4, s5
	v_add_co_u32_e32 v1, vcc, s4, v1
	v_ashrrev_i32_e32 v6, 31, v5
	v_addc_co_u32_e32 v2, vcc, v4, v2, vcc
	v_lshlrev_b64 v[3:4], 3, v[5:6]
	v_add_u32_e32 v7, s15, v5
	v_mov_b32_e32 v6, s5
	v_add_co_u32_e32 v3, vcc, s4, v3
	v_ashrrev_i32_e32 v8, 31, v7
	v_addc_co_u32_e32 v4, vcc, v6, v4, vcc
	;; [unrolled: 6-line block ×8, first 2 shown]
	v_lshlrev_b64 v[17:18], 3, v[19:20]
	v_mov_b32_e32 v21, s5
	v_add_co_u32_e32 v17, vcc, s4, v17
	v_addc_co_u32_e32 v18, vcc, v21, v18, vcc
	v_add_u32_e32 v21, s15, v19
	v_ashrrev_i32_e32 v22, 31, v21
	v_lshlrev_b64 v[19:20], 3, v[21:22]
	v_mov_b32_e32 v23, s5
	v_add_co_u32_e32 v19, vcc, s4, v19
	v_addc_co_u32_e32 v20, vcc, v23, v20, vcc
	v_add_u32_e32 v23, s15, v21
	v_ashrrev_i32_e32 v24, 31, v23
	;; [unrolled: 6-line block ×17, first 2 shown]
	v_lshlrev_b64 v[51:52], 3, v[53:54]
	v_mov_b32_e32 v55, s5
	v_add_co_u32_e32 v51, vcc, s4, v51
	v_addc_co_u32_e32 v52, vcc, v55, v52, vcc
	v_lshlrev_b32_e32 v67, 3, v0
	v_add_u32_e32 v59, s15, v53
	v_mov_b32_e32 v53, s5
	v_add_co_u32_e32 v55, vcc, s4, v67
	s_ashr_i32 s13, s15, 31
	s_mov_b32 s12, s15
	v_addc_co_u32_e32 v56, vcc, 0, v53, vcc
	s_lshl_b64 s[12:13], s[12:13], 3
	v_ashrrev_i32_e32 v60, 31, v59
	v_mov_b32_e32 v53, s13
	v_add_co_u32_e32 v57, vcc, s12, v55
	v_addc_co_u32_e32 v58, vcc, v56, v53, vcc
	v_lshlrev_b64 v[53:54], 3, v[59:60]
	v_mov_b32_e32 v61, s5
	v_add_co_u32_e32 v53, vcc, s4, v53
	v_addc_co_u32_e32 v54, vcc, v61, v54, vcc
	v_add_u32_e32 v61, s15, v59
	v_ashrrev_i32_e32 v62, 31, v61
	v_lshlrev_b64 v[59:60], 3, v[61:62]
	v_mov_b32_e32 v63, s5
	v_add_co_u32_e32 v59, vcc, s4, v59
	v_addc_co_u32_e32 v60, vcc, v63, v60, vcc
	v_add_u32_e32 v63, s15, v61
	v_ashrrev_i32_e32 v64, 31, v63
	v_lshlrev_b64 v[61:62], 3, v[63:64]
	v_mov_b32_e32 v112, s5
	v_add_co_u32_e32 v61, vcc, s4, v61
	global_load_dwordx2 v[65:66], v67, s[4:5]
	global_load_dwordx2 v[68:69], v[57:58], off
	global_load_dwordx2 v[70:71], v[1:2], off
	global_load_dwordx2 v[72:73], v[3:4], off
	global_load_dwordx2 v[74:75], v[5:6], off
	global_load_dwordx2 v[76:77], v[7:8], off
	global_load_dwordx2 v[78:79], v[9:10], off
	global_load_dwordx2 v[80:81], v[11:12], off
	global_load_dwordx2 v[82:83], v[13:14], off
	global_load_dwordx2 v[84:85], v[15:16], off
	global_load_dwordx2 v[86:87], v[17:18], off
	global_load_dwordx2 v[88:89], v[19:20], off
	global_load_dwordx2 v[90:91], v[21:22], off
	global_load_dwordx2 v[92:93], v[23:24], off
	global_load_dwordx2 v[94:95], v[25:26], off
	global_load_dwordx2 v[96:97], v[27:28], off
	global_load_dwordx2 v[98:99], v[29:30], off
	global_load_dwordx2 v[100:101], v[31:32], off
	global_load_dwordx2 v[102:103], v[33:34], off
	global_load_dwordx2 v[104:105], v[35:36], off
	global_load_dwordx2 v[106:107], v[37:38], off
	global_load_dwordx2 v[108:109], v[39:40], off
	global_load_dwordx2 v[110:111], v[41:42], off
	v_addc_co_u32_e32 v62, vcc, v112, v62, vcc
	global_load_dwordx2 v[112:113], v[43:44], off
	global_load_dwordx2 v[114:115], v[45:46], off
	;; [unrolled: 1-line block ×8, first 2 shown]
	v_add_u32_e32 v63, s15, v63
	v_ashrrev_i32_e32 v64, 31, v63
	v_lshlrev_b64 v[63:64], 3, v[63:64]
	v_mov_b32_e32 v128, s5
	v_add_co_u32_e32 v63, vcc, s4, v63
	v_addc_co_u32_e32 v64, vcc, v128, v64, vcc
	global_load_dwordx2 v[128:129], v[63:64], off
	s_bitcmp0_b32 s8, 0
	s_mov_b64 s[8:9], -1
	s_waitcnt vmcnt(31)
	buffer_store_dword v66, off, s[0:3], 0 offset:4
	buffer_store_dword v65, off, s[0:3], 0
	s_waitcnt vmcnt(32)
	buffer_store_dword v69, off, s[0:3], 0 offset:12
	buffer_store_dword v68, off, s[0:3], 0 offset:8
	s_waitcnt vmcnt(33)
	buffer_store_dword v71, off, s[0:3], 0 offset:20
	buffer_store_dword v70, off, s[0:3], 0 offset:16
	;; [unrolled: 3-line block ×31, first 2 shown]
	s_cbranch_scc1 .LBB31_140
; %bb.4:
	v_cmp_eq_u32_e64 s[4:5], 0, v0
	s_and_saveexec_b64 s[8:9], s[4:5]
; %bb.5:
	v_mov_b32_e32 v65, 0
	ds_write_b32 v65, v65 offset:512
; %bb.6:
	s_or_b64 exec, exec, s[8:9]
	v_mov_b32_e32 v65, 0
	v_lshl_add_u32 v69, v0, 3, v65
	s_waitcnt lgkmcnt(0)
	; wave barrier
	buffer_load_dword v65, v69, s[0:3], 0 offen
	buffer_load_dword v66, v69, s[0:3], 0 offen offset:4
	s_waitcnt vmcnt(1)
	v_cmp_eq_f32_e32 vcc, 0, v65
	s_waitcnt vmcnt(0)
	v_cmp_eq_f32_e64 s[8:9], 0, v66
	s_and_b64 s[8:9], vcc, s[8:9]
	s_and_saveexec_b64 s[12:13], s[8:9]
	s_cbranch_execz .LBB31_10
; %bb.7:
	v_mov_b32_e32 v65, 0
	ds_read_b32 v68, v65 offset:512
	v_add_u32_e32 v66, 1, v0
	s_waitcnt lgkmcnt(0)
	v_readfirstlane_b32 s8, v68
	s_cmp_eq_u32 s8, 0
	s_cselect_b64 s[14:15], -1, 0
	v_cmp_gt_i32_e32 vcc, s8, v66
	s_or_b64 s[14:15], s[14:15], vcc
	s_and_b64 exec, exec, s[14:15]
	s_cbranch_execz .LBB31_10
; %bb.8:
	s_mov_b64 s[14:15], 0
	v_mov_b32_e32 v68, s8
.LBB31_9:                               ; =>This Inner Loop Header: Depth=1
	ds_cmpst_rtn_b32 v68, v65, v68, v66 offset:512
	s_waitcnt lgkmcnt(0)
	v_cmp_ne_u32_e32 vcc, 0, v68
	v_cmp_le_i32_e64 s[8:9], v68, v66
	s_and_b64 s[8:9], vcc, s[8:9]
	s_and_b64 s[8:9], exec, s[8:9]
	s_or_b64 s[14:15], s[8:9], s[14:15]
	s_andn2_b64 exec, exec, s[14:15]
	s_cbranch_execnz .LBB31_9
.LBB31_10:
	s_or_b64 exec, exec, s[12:13]
	v_mov_b32_e32 v66, 0
	; wave barrier
	ds_read_b32 v65, v66 offset:512
	s_and_saveexec_b64 s[8:9], s[4:5]
	s_cbranch_execz .LBB31_12
; %bb.11:
	s_lshl_b64 s[12:13], s[6:7], 2
	s_add_u32 s12, s10, s12
	s_addc_u32 s13, s11, s13
	s_waitcnt lgkmcnt(0)
	global_store_dword v66, v65, s[12:13]
.LBB31_12:
	s_or_b64 exec, exec, s[8:9]
	s_waitcnt lgkmcnt(0)
	v_cmp_ne_u32_e32 vcc, 0, v65
	s_mov_b64 s[8:9], 0
	s_cbranch_vccnz .LBB31_140
; %bb.13:
	buffer_load_dword v66, v69, s[0:3], 0 offen
	buffer_load_dword v68, v69, s[0:3], 0 offen offset:4
                                        ; implicit-def: $vgpr71
                                        ; implicit-def: $vgpr70
                                        ; implicit-def: $vgpr65
	s_waitcnt vmcnt(0)
	v_cmp_ngt_f32_e64 s[8:9], |v66|, |v68|
	s_and_saveexec_b64 s[12:13], s[8:9]
	s_xor_b64 s[8:9], exec, s[12:13]
	s_cbranch_execz .LBB31_15
; %bb.14:
	v_div_scale_f32 v65, s[12:13], v68, v68, v66
	v_div_scale_f32 v70, vcc, v66, v68, v66
	v_rcp_f32_e32 v71, v65
	v_fma_f32 v72, -v65, v71, 1.0
	v_fmac_f32_e32 v71, v72, v71
	v_mul_f32_e32 v72, v70, v71
	v_fma_f32 v73, -v65, v72, v70
	v_fmac_f32_e32 v72, v73, v71
	v_fma_f32 v65, -v65, v72, v70
	v_div_fmas_f32 v65, v65, v71, v72
	v_div_fixup_f32 v65, v65, v68, v66
	v_fmac_f32_e32 v68, v66, v65
	v_div_scale_f32 v66, s[12:13], v68, v68, 1.0
	v_div_scale_f32 v70, vcc, 1.0, v68, 1.0
	v_rcp_f32_e32 v71, v66
	v_fma_f32 v72, -v66, v71, 1.0
	v_fmac_f32_e32 v71, v72, v71
	v_mul_f32_e32 v72, v70, v71
	v_fma_f32 v73, -v66, v72, v70
	v_fmac_f32_e32 v72, v73, v71
	v_fma_f32 v66, -v66, v72, v70
	v_div_fmas_f32 v66, v66, v71, v72
	v_div_fixup_f32 v66, v66, v68, 1.0
	v_mul_f32_e32 v71, v65, v66
	v_xor_b32_e32 v70, 0x80000000, v66
	v_xor_b32_e32 v65, 0x80000000, v71
                                        ; implicit-def: $vgpr66
                                        ; implicit-def: $vgpr68
.LBB31_15:
	s_andn2_saveexec_b64 s[8:9], s[8:9]
	s_cbranch_execz .LBB31_17
; %bb.16:
	v_div_scale_f32 v65, s[12:13], v66, v66, v68
	v_div_scale_f32 v70, vcc, v68, v66, v68
	v_rcp_f32_e32 v71, v65
	v_fma_f32 v72, -v65, v71, 1.0
	v_fmac_f32_e32 v71, v72, v71
	v_mul_f32_e32 v72, v70, v71
	v_fma_f32 v73, -v65, v72, v70
	v_fmac_f32_e32 v72, v73, v71
	v_fma_f32 v65, -v65, v72, v70
	v_div_fmas_f32 v65, v65, v71, v72
	v_div_fixup_f32 v70, v65, v66, v68
	v_fmac_f32_e32 v66, v68, v70
	v_div_scale_f32 v65, s[12:13], v66, v66, 1.0
	v_div_scale_f32 v68, vcc, 1.0, v66, 1.0
	v_rcp_f32_e32 v71, v65
	v_fma_f32 v72, -v65, v71, 1.0
	v_fmac_f32_e32 v71, v72, v71
	v_mul_f32_e32 v72, v68, v71
	v_fma_f32 v73, -v65, v72, v68
	v_fmac_f32_e32 v72, v73, v71
	v_fma_f32 v65, -v65, v72, v68
	v_div_fmas_f32 v65, v65, v71, v72
	v_div_fixup_f32 v71, v65, v66, 1.0
	v_xor_b32_e32 v65, 0x80000000, v71
	v_mul_f32_e64 v70, v70, -v71
.LBB31_17:
	s_or_b64 exec, exec, s[8:9]
	buffer_store_dword v71, v69, s[0:3], 0 offen
	buffer_store_dword v70, v69, s[0:3], 0 offen offset:4
	buffer_load_dword v72, off, s[0:3], 0 offset:12
	s_nop 0
	buffer_load_dword v71, off, s[0:3], 0 offset:8
	v_xor_b32_e32 v66, 0x80000000, v70
	v_add_u32_e32 v68, 0x100, v67
	s_waitcnt vmcnt(0)
	ds_write2_b64 v67, v[65:66], v[71:72] offset1:32
	s_waitcnt lgkmcnt(0)
	; wave barrier
	s_and_saveexec_b64 s[8:9], s[4:5]
	s_cbranch_execz .LBB31_19
; %bb.18:
	buffer_load_dword v72, v69, s[0:3], 0 offen offset:4
	buffer_load_dword v73, v69, s[0:3], 0 offen
	ds_read_b64 v[65:66], v68
	v_mov_b32_e32 v70, 0
	ds_read_b64 v[70:71], v70 offset:8
	s_waitcnt vmcnt(1) lgkmcnt(1)
	v_mul_f32_e32 v74, v66, v72
	v_mul_f32_e32 v72, v65, v72
	s_waitcnt vmcnt(0)
	v_fmac_f32_e32 v72, v66, v73
	v_fma_f32 v65, v65, v73, -v74
	v_add_f32_e32 v66, 0, v72
	v_add_f32_e32 v65, 0, v65
	s_waitcnt lgkmcnt(0)
	v_mul_f32_e32 v72, v66, v71
	v_mul_f32_e32 v71, v65, v71
	v_fma_f32 v65, v65, v70, -v72
	v_fmac_f32_e32 v71, v66, v70
	buffer_store_dword v65, off, s[0:3], 0 offset:8
	buffer_store_dword v71, off, s[0:3], 0 offset:12
.LBB31_19:
	s_or_b64 exec, exec, s[8:9]
	; wave barrier
	buffer_load_dword v65, off, s[0:3], 0 offset:16
	buffer_load_dword v66, off, s[0:3], 0 offset:20
	v_cmp_gt_u32_e32 vcc, 2, v0
	s_waitcnt vmcnt(0)
	ds_write_b64 v68, v[65:66]
	s_waitcnt lgkmcnt(0)
	; wave barrier
	s_and_saveexec_b64 s[8:9], vcc
	s_cbranch_execz .LBB31_23
; %bb.20:
	buffer_load_dword v70, v69, s[0:3], 0 offen offset:4
	buffer_load_dword v71, v69, s[0:3], 0 offen
	ds_read_b64 v[65:66], v68
	s_waitcnt vmcnt(1) lgkmcnt(0)
	v_mul_f32_e32 v69, v66, v70
	v_mul_f32_e32 v70, v65, v70
	s_waitcnt vmcnt(0)
	v_fma_f32 v65, v65, v71, -v69
	v_fmac_f32_e32 v70, v66, v71
	v_add_f32_e32 v66, 0, v65
	v_add_f32_e32 v65, 0, v70
	s_and_saveexec_b64 s[12:13], s[4:5]
	s_cbranch_execz .LBB31_22
; %bb.21:
	buffer_load_dword v71, off, s[0:3], 0 offset:12
	buffer_load_dword v72, off, s[0:3], 0 offset:8
	v_mov_b32_e32 v69, 0
	ds_read_b64 v[69:70], v69 offset:264
	s_waitcnt vmcnt(1) lgkmcnt(0)
	v_mul_f32_e32 v73, v69, v71
	v_mul_f32_e32 v71, v70, v71
	s_waitcnt vmcnt(0)
	v_fmac_f32_e32 v73, v70, v72
	v_fma_f32 v69, v69, v72, -v71
	v_add_f32_e32 v65, v65, v73
	v_add_f32_e32 v66, v66, v69
.LBB31_22:
	s_or_b64 exec, exec, s[12:13]
	v_mov_b32_e32 v69, 0
	ds_read_b64 v[69:70], v69 offset:16
	s_waitcnt lgkmcnt(0)
	v_mul_f32_e32 v71, v65, v70
	v_mul_f32_e32 v70, v66, v70
	v_fma_f32 v66, v66, v69, -v71
	v_fmac_f32_e32 v70, v65, v69
	buffer_store_dword v66, off, s[0:3], 0 offset:16
	buffer_store_dword v70, off, s[0:3], 0 offset:20
.LBB31_23:
	s_or_b64 exec, exec, s[8:9]
	; wave barrier
	buffer_load_dword v65, off, s[0:3], 0 offset:24
	buffer_load_dword v66, off, s[0:3], 0 offset:28
	v_cmp_gt_u32_e32 vcc, 3, v0
	s_waitcnt vmcnt(0)
	ds_write_b64 v68, v[65:66]
	v_add_u32_e32 v65, -1, v0
	s_waitcnt lgkmcnt(0)
	; wave barrier
	s_and_saveexec_b64 s[4:5], vcc
	s_cbranch_execz .LBB31_27
; %bb.24:
	v_add_u32_e32 v69, -1, v0
	v_add_u32_e32 v70, 0x100, v67
	v_mov_b32_e32 v71, v67
	v_mov_b32_e32 v66, 0
	s_mov_b64 s[8:9], 0
	v_mov_b32_e32 v72, 0
.LBB31_25:                              ; =>This Inner Loop Header: Depth=1
	buffer_load_dword v75, v71, s[0:3], 0 offen offset:4
	buffer_load_dword v76, v71, s[0:3], 0 offen
	ds_read_b64 v[73:74], v70
	v_add_u32_e32 v69, 1, v69
	v_cmp_lt_u32_e32 vcc, 1, v69
	v_add_u32_e32 v70, 8, v70
	v_add_u32_e32 v71, 8, v71
	s_or_b64 s[8:9], vcc, s[8:9]
	s_waitcnt vmcnt(1) lgkmcnt(0)
	v_mul_f32_e32 v77, v74, v75
	v_mul_f32_e32 v75, v73, v75
	s_waitcnt vmcnt(0)
	v_fma_f32 v73, v73, v76, -v77
	v_fmac_f32_e32 v75, v74, v76
	v_add_f32_e32 v72, v72, v73
	v_add_f32_e32 v66, v66, v75
	s_andn2_b64 exec, exec, s[8:9]
	s_cbranch_execnz .LBB31_25
; %bb.26:
	s_or_b64 exec, exec, s[8:9]
	v_mov_b32_e32 v69, 0
	ds_read_b64 v[69:70], v69 offset:24
	s_waitcnt lgkmcnt(0)
	v_mul_f32_e32 v71, v66, v70
	v_mul_f32_e32 v70, v72, v70
	v_fma_f32 v71, v72, v69, -v71
	v_fmac_f32_e32 v70, v66, v69
	buffer_store_dword v71, off, s[0:3], 0 offset:24
	buffer_store_dword v70, off, s[0:3], 0 offset:28
.LBB31_27:
	s_or_b64 exec, exec, s[4:5]
	; wave barrier
	buffer_load_dword v69, off, s[0:3], 0 offset:32
	buffer_load_dword v70, off, s[0:3], 0 offset:36
	v_cmp_gt_u32_e32 vcc, 4, v0
	s_waitcnt vmcnt(0)
	ds_write_b64 v68, v[69:70]
	s_waitcnt lgkmcnt(0)
	; wave barrier
	s_and_saveexec_b64 s[4:5], vcc
	s_cbranch_execz .LBB31_31
; %bb.28:
	v_add_u32_e32 v69, -1, v0
	v_add_u32_e32 v70, 0x100, v67
	v_mov_b32_e32 v71, v67
	v_mov_b32_e32 v66, 0
	s_mov_b64 s[8:9], 0
	v_mov_b32_e32 v72, 0
.LBB31_29:                              ; =>This Inner Loop Header: Depth=1
	buffer_load_dword v75, v71, s[0:3], 0 offen offset:4
	buffer_load_dword v76, v71, s[0:3], 0 offen
	ds_read_b64 v[73:74], v70
	v_add_u32_e32 v69, 1, v69
	v_cmp_lt_u32_e32 vcc, 2, v69
	v_add_u32_e32 v70, 8, v70
	v_add_u32_e32 v71, 8, v71
	s_or_b64 s[8:9], vcc, s[8:9]
	s_waitcnt vmcnt(1) lgkmcnt(0)
	v_mul_f32_e32 v77, v74, v75
	v_mul_f32_e32 v75, v73, v75
	s_waitcnt vmcnt(0)
	v_fma_f32 v73, v73, v76, -v77
	v_fmac_f32_e32 v75, v74, v76
	v_add_f32_e32 v72, v72, v73
	v_add_f32_e32 v66, v66, v75
	s_andn2_b64 exec, exec, s[8:9]
	s_cbranch_execnz .LBB31_29
; %bb.30:
	s_or_b64 exec, exec, s[8:9]
	v_mov_b32_e32 v69, 0
	ds_read_b64 v[69:70], v69 offset:32
	s_waitcnt lgkmcnt(0)
	v_mul_f32_e32 v71, v66, v70
	v_mul_f32_e32 v70, v72, v70
	v_fma_f32 v71, v72, v69, -v71
	v_fmac_f32_e32 v70, v66, v69
	buffer_store_dword v71, off, s[0:3], 0 offset:32
	buffer_store_dword v70, off, s[0:3], 0 offset:36
.LBB31_31:
	s_or_b64 exec, exec, s[4:5]
	; wave barrier
	buffer_load_dword v69, off, s[0:3], 0 offset:40
	buffer_load_dword v70, off, s[0:3], 0 offset:44
	v_cmp_gt_u32_e32 vcc, 5, v0
	s_waitcnt vmcnt(0)
	ds_write_b64 v68, v[69:70]
	;; [unrolled: 49-line block ×19, first 2 shown]
	s_waitcnt lgkmcnt(0)
	; wave barrier
	s_and_saveexec_b64 s[4:5], vcc
	s_cbranch_execz .LBB31_103
; %bb.100:
	v_add_u32_e32 v69, -1, v0
	v_add_u32_e32 v70, 0x100, v67
	v_mov_b32_e32 v71, v67
	v_mov_b32_e32 v66, 0
	s_mov_b64 s[8:9], 0
	v_mov_b32_e32 v72, 0
.LBB31_101:                             ; =>This Inner Loop Header: Depth=1
	buffer_load_dword v75, v71, s[0:3], 0 offen offset:4
	buffer_load_dword v76, v71, s[0:3], 0 offen
	ds_read_b64 v[73:74], v70
	v_add_u32_e32 v69, 1, v69
	v_cmp_lt_u32_e32 vcc, 20, v69
	v_add_u32_e32 v70, 8, v70
	v_add_u32_e32 v71, 8, v71
	s_or_b64 s[8:9], vcc, s[8:9]
	s_waitcnt vmcnt(1) lgkmcnt(0)
	v_mul_f32_e32 v77, v74, v75
	v_mul_f32_e32 v75, v73, v75
	s_waitcnt vmcnt(0)
	v_fma_f32 v73, v73, v76, -v77
	v_fmac_f32_e32 v75, v74, v76
	v_add_f32_e32 v72, v72, v73
	v_add_f32_e32 v66, v66, v75
	s_andn2_b64 exec, exec, s[8:9]
	s_cbranch_execnz .LBB31_101
; %bb.102:
	s_or_b64 exec, exec, s[8:9]
	v_mov_b32_e32 v69, 0
	ds_read_b64 v[69:70], v69 offset:176
	s_waitcnt lgkmcnt(0)
	v_mul_f32_e32 v71, v66, v70
	v_mul_f32_e32 v70, v72, v70
	v_fma_f32 v71, v72, v69, -v71
	v_fmac_f32_e32 v70, v66, v69
	buffer_store_dword v71, off, s[0:3], 0 offset:176
	buffer_store_dword v70, off, s[0:3], 0 offset:180
.LBB31_103:
	s_or_b64 exec, exec, s[4:5]
	; wave barrier
	buffer_load_dword v69, off, s[0:3], 0 offset:184
	buffer_load_dword v70, off, s[0:3], 0 offset:188
	v_cmp_gt_u32_e32 vcc, 23, v0
	s_waitcnt vmcnt(0)
	ds_write_b64 v68, v[69:70]
	s_waitcnt lgkmcnt(0)
	; wave barrier
	s_and_saveexec_b64 s[4:5], vcc
	s_cbranch_execz .LBB31_107
; %bb.104:
	v_add_u32_e32 v69, -1, v0
	v_add_u32_e32 v70, 0x100, v67
	v_mov_b32_e32 v71, v67
	v_mov_b32_e32 v66, 0
	s_mov_b64 s[8:9], 0
	v_mov_b32_e32 v72, 0
.LBB31_105:                             ; =>This Inner Loop Header: Depth=1
	buffer_load_dword v75, v71, s[0:3], 0 offen offset:4
	buffer_load_dword v76, v71, s[0:3], 0 offen
	ds_read_b64 v[73:74], v70
	v_add_u32_e32 v69, 1, v69
	v_cmp_lt_u32_e32 vcc, 21, v69
	v_add_u32_e32 v70, 8, v70
	v_add_u32_e32 v71, 8, v71
	s_or_b64 s[8:9], vcc, s[8:9]
	s_waitcnt vmcnt(1) lgkmcnt(0)
	v_mul_f32_e32 v77, v74, v75
	v_mul_f32_e32 v75, v73, v75
	s_waitcnt vmcnt(0)
	v_fma_f32 v73, v73, v76, -v77
	v_fmac_f32_e32 v75, v74, v76
	v_add_f32_e32 v72, v72, v73
	v_add_f32_e32 v66, v66, v75
	s_andn2_b64 exec, exec, s[8:9]
	s_cbranch_execnz .LBB31_105
; %bb.106:
	s_or_b64 exec, exec, s[8:9]
	v_mov_b32_e32 v69, 0
	ds_read_b64 v[69:70], v69 offset:184
	s_waitcnt lgkmcnt(0)
	v_mul_f32_e32 v71, v66, v70
	v_mul_f32_e32 v70, v72, v70
	v_fma_f32 v71, v72, v69, -v71
	v_fmac_f32_e32 v70, v66, v69
	buffer_store_dword v71, off, s[0:3], 0 offset:184
	buffer_store_dword v70, off, s[0:3], 0 offset:188
.LBB31_107:
	s_or_b64 exec, exec, s[4:5]
	; wave barrier
	buffer_load_dword v69, off, s[0:3], 0 offset:192
	buffer_load_dword v70, off, s[0:3], 0 offset:196
	v_cmp_gt_u32_e32 vcc, 24, v0
	s_waitcnt vmcnt(0)
	ds_write_b64 v68, v[69:70]
	;; [unrolled: 49-line block ×8, first 2 shown]
	s_waitcnt lgkmcnt(0)
	; wave barrier
	s_and_saveexec_b64 s[4:5], vcc
	s_cbranch_execz .LBB31_135
; %bb.132:
	v_add_u32_e32 v69, -1, v0
	v_add_u32_e32 v70, 0x100, v67
	v_mov_b32_e32 v71, v67
	v_mov_b32_e32 v66, 0
	s_mov_b64 s[8:9], 0
	v_mov_b32_e32 v72, 0
.LBB31_133:                             ; =>This Inner Loop Header: Depth=1
	buffer_load_dword v75, v71, s[0:3], 0 offen offset:4
	buffer_load_dword v76, v71, s[0:3], 0 offen
	ds_read_b64 v[73:74], v70
	v_add_u32_e32 v69, 1, v69
	v_cmp_lt_u32_e32 vcc, 28, v69
	v_add_u32_e32 v70, 8, v70
	v_add_u32_e32 v71, 8, v71
	s_or_b64 s[8:9], vcc, s[8:9]
	s_waitcnt vmcnt(1) lgkmcnt(0)
	v_mul_f32_e32 v77, v74, v75
	v_mul_f32_e32 v75, v73, v75
	s_waitcnt vmcnt(0)
	v_fma_f32 v73, v73, v76, -v77
	v_fmac_f32_e32 v75, v74, v76
	v_add_f32_e32 v72, v72, v73
	v_add_f32_e32 v66, v66, v75
	s_andn2_b64 exec, exec, s[8:9]
	s_cbranch_execnz .LBB31_133
; %bb.134:
	s_or_b64 exec, exec, s[8:9]
	v_mov_b32_e32 v69, 0
	ds_read_b64 v[69:70], v69 offset:240
	s_waitcnt lgkmcnt(0)
	v_mul_f32_e32 v71, v66, v70
	v_mul_f32_e32 v70, v72, v70
	v_fma_f32 v71, v72, v69, -v71
	v_fmac_f32_e32 v70, v66, v69
	buffer_store_dword v71, off, s[0:3], 0 offset:240
	buffer_store_dword v70, off, s[0:3], 0 offset:244
.LBB31_135:
	s_or_b64 exec, exec, s[4:5]
	; wave barrier
	buffer_load_dword v69, off, s[0:3], 0 offset:248
	buffer_load_dword v70, off, s[0:3], 0 offset:252
	v_cmp_ne_u32_e32 vcc, 31, v0
	s_waitcnt vmcnt(0)
	ds_write_b64 v68, v[69:70]
	s_waitcnt lgkmcnt(0)
	; wave barrier
	s_and_saveexec_b64 s[4:5], vcc
	s_cbranch_execz .LBB31_139
; %bb.136:
	v_add_u32_e32 v68, 0x100, v67
	v_mov_b32_e32 v66, 0
	s_mov_b64 s[8:9], 0
	v_mov_b32_e32 v69, 0
.LBB31_137:                             ; =>This Inner Loop Header: Depth=1
	buffer_load_dword v72, v67, s[0:3], 0 offen offset:4
	buffer_load_dword v73, v67, s[0:3], 0 offen
	ds_read_b64 v[70:71], v68
	v_add_u32_e32 v65, 1, v65
	v_cmp_lt_u32_e32 vcc, 29, v65
	v_add_u32_e32 v68, 8, v68
	v_add_u32_e32 v67, 8, v67
	s_or_b64 s[8:9], vcc, s[8:9]
	s_waitcnt vmcnt(1) lgkmcnt(0)
	v_mul_f32_e32 v74, v71, v72
	v_mul_f32_e32 v72, v70, v72
	s_waitcnt vmcnt(0)
	v_fma_f32 v70, v70, v73, -v74
	v_fmac_f32_e32 v72, v71, v73
	v_add_f32_e32 v69, v69, v70
	v_add_f32_e32 v66, v66, v72
	s_andn2_b64 exec, exec, s[8:9]
	s_cbranch_execnz .LBB31_137
; %bb.138:
	s_or_b64 exec, exec, s[8:9]
	v_mov_b32_e32 v65, 0
	ds_read_b64 v[67:68], v65 offset:248
	s_waitcnt lgkmcnt(0)
	v_mul_f32_e32 v65, v66, v68
	v_mul_f32_e32 v68, v69, v68
	v_fma_f32 v65, v69, v67, -v65
	v_fmac_f32_e32 v68, v66, v67
	buffer_store_dword v65, off, s[0:3], 0 offset:248
	buffer_store_dword v68, off, s[0:3], 0 offset:252
.LBB31_139:
	s_or_b64 exec, exec, s[4:5]
	s_mov_b64 s[8:9], -1
	; wave barrier
.LBB31_140:
	s_and_b64 vcc, exec, s[8:9]
	s_cbranch_vccz .LBB31_142
; %bb.141:
	s_lshl_b64 s[4:5], s[6:7], 2
	s_add_u32 s4, s10, s4
	s_addc_u32 s5, s11, s5
	v_mov_b32_e32 v65, 0
	global_load_dword v65, v65, s[4:5]
	s_waitcnt vmcnt(0)
	v_cmp_ne_u32_e32 vcc, 0, v65
	s_cbranch_vccz .LBB31_143
.LBB31_142:
	s_endpgm
.LBB31_143:
	v_mov_b32_e32 v65, 0x100
	v_lshl_add_u32 v65, v0, 3, v65
	v_cmp_eq_u32_e32 vcc, 31, v0
	s_and_saveexec_b64 s[4:5], vcc
	s_cbranch_execz .LBB31_145
; %bb.144:
	buffer_load_dword v66, off, s[0:3], 0 offset:240
	buffer_load_dword v67, off, s[0:3], 0 offset:244
	v_mov_b32_e32 v68, 0
	buffer_store_dword v68, off, s[0:3], 0 offset:240
	buffer_store_dword v68, off, s[0:3], 0 offset:244
	s_waitcnt vmcnt(2)
	ds_write_b64 v65, v[66:67]
.LBB31_145:
	s_or_b64 exec, exec, s[4:5]
	s_waitcnt lgkmcnt(0)
	; wave barrier
	buffer_load_dword v69, off, s[0:3], 0 offset:252
	buffer_load_dword v70, off, s[0:3], 0 offset:248
	;; [unrolled: 1-line block ×4, first 2 shown]
	v_mov_b32_e32 v66, 0
	ds_read_b64 v[67:68], v66 offset:504
	v_cmp_lt_u32_e32 vcc, 29, v0
	s_waitcnt vmcnt(3) lgkmcnt(0)
	v_mul_f32_e32 v73, v67, v69
	v_mul_f32_e32 v69, v68, v69
	s_waitcnt vmcnt(2)
	v_fma_f32 v67, v67, v70, -v69
	v_fmac_f32_e32 v73, v68, v70
	v_add_f32_e32 v67, 0, v67
	v_add_f32_e32 v68, 0, v73
	s_waitcnt vmcnt(1)
	v_sub_f32_e32 v67, v71, v67
	s_waitcnt vmcnt(0)
	v_sub_f32_e32 v68, v72, v68
	buffer_store_dword v67, off, s[0:3], 0 offset:240
	buffer_store_dword v68, off, s[0:3], 0 offset:244
	s_and_saveexec_b64 s[4:5], vcc
	s_cbranch_execz .LBB31_147
; %bb.146:
	buffer_load_dword v67, off, s[0:3], 0 offset:232
	buffer_load_dword v68, off, s[0:3], 0 offset:236
	s_waitcnt vmcnt(0)
	ds_write_b64 v65, v[67:68]
	buffer_store_dword v66, off, s[0:3], 0 offset:232
	buffer_store_dword v66, off, s[0:3], 0 offset:236
.LBB31_147:
	s_or_b64 exec, exec, s[4:5]
	s_waitcnt lgkmcnt(0)
	; wave barrier
	buffer_load_dword v70, off, s[0:3], 0 offset:244
	buffer_load_dword v71, off, s[0:3], 0 offset:252
	;; [unrolled: 1-line block ×6, first 2 shown]
	ds_read_b128 v[66:69], v66 offset:496
	v_cmp_lt_u32_e32 vcc, 28, v0
	s_waitcnt vmcnt(5) lgkmcnt(0)
	v_mul_f32_e32 v76, v66, v70
	v_mul_f32_e32 v70, v67, v70
	s_waitcnt vmcnt(4)
	v_mul_f32_e32 v77, v68, v71
	v_mul_f32_e32 v71, v69, v71
	s_waitcnt vmcnt(3)
	v_fma_f32 v66, v66, v72, -v70
	v_fmac_f32_e32 v76, v67, v72
	s_waitcnt vmcnt(2)
	v_fma_f32 v67, v68, v73, -v71
	v_add_f32_e32 v66, 0, v66
	v_fmac_f32_e32 v77, v69, v73
	v_add_f32_e32 v68, 0, v76
	v_add_f32_e32 v66, v66, v67
	;; [unrolled: 1-line block ×3, first 2 shown]
	s_waitcnt vmcnt(1)
	v_sub_f32_e32 v66, v74, v66
	s_waitcnt vmcnt(0)
	v_sub_f32_e32 v67, v75, v68
	buffer_store_dword v66, off, s[0:3], 0 offset:232
	buffer_store_dword v67, off, s[0:3], 0 offset:236
	s_and_saveexec_b64 s[4:5], vcc
	s_cbranch_execz .LBB31_149
; %bb.148:
	buffer_load_dword v66, off, s[0:3], 0 offset:224
	buffer_load_dword v67, off, s[0:3], 0 offset:228
	v_mov_b32_e32 v68, 0
	buffer_store_dword v68, off, s[0:3], 0 offset:224
	buffer_store_dword v68, off, s[0:3], 0 offset:228
	s_waitcnt vmcnt(2)
	ds_write_b64 v65, v[66:67]
.LBB31_149:
	s_or_b64 exec, exec, s[4:5]
	v_mov_b32_e32 v66, 0
	s_waitcnt lgkmcnt(0)
	; wave barrier
	ds_read2_b64 v[67:70], v66 offset0:61 offset1:62
	buffer_load_dword v73, off, s[0:3], 0 offset:224
	buffer_load_dword v74, off, s[0:3], 0 offset:228
	;; [unrolled: 1-line block ×8, first 2 shown]
	v_cmp_lt_u32_e32 vcc, 27, v0
	s_waitcnt vmcnt(4) lgkmcnt(0)
	v_mul_f32_e32 v71, v67, v76
	v_fmac_f32_e32 v71, v68, v75
	s_waitcnt vmcnt(2)
	v_mul_f32_e32 v72, v69, v78
	v_add_f32_e32 v71, 0, v71
	v_fmac_f32_e32 v72, v70, v77
	v_add_f32_e32 v81, v71, v72
	ds_read_b64 v[71:72], v66 offset:504
	v_mul_f32_e32 v68, v68, v76
	v_fma_f32 v67, v67, v75, -v68
	v_mul_f32_e32 v68, v70, v78
	v_add_f32_e32 v67, 0, v67
	v_fma_f32 v68, v69, v77, -v68
	v_add_f32_e32 v67, v67, v68
	s_waitcnt vmcnt(0) lgkmcnt(0)
	v_mul_f32_e32 v68, v72, v80
	v_mul_f32_e32 v82, v71, v80
	v_fma_f32 v68, v71, v79, -v68
	v_fmac_f32_e32 v82, v72, v79
	v_add_f32_e32 v67, v67, v68
	v_add_f32_e32 v81, v81, v82
	v_sub_f32_e32 v67, v73, v67
	v_sub_f32_e32 v68, v74, v81
	buffer_store_dword v67, off, s[0:3], 0 offset:224
	buffer_store_dword v68, off, s[0:3], 0 offset:228
	s_and_saveexec_b64 s[4:5], vcc
	s_cbranch_execz .LBB31_151
; %bb.150:
	buffer_load_dword v67, off, s[0:3], 0 offset:216
	buffer_load_dword v68, off, s[0:3], 0 offset:220
	s_waitcnt vmcnt(0)
	ds_write_b64 v65, v[67:68]
	buffer_store_dword v66, off, s[0:3], 0 offset:216
	buffer_store_dword v66, off, s[0:3], 0 offset:220
.LBB31_151:
	s_or_b64 exec, exec, s[4:5]
	s_waitcnt lgkmcnt(0)
	; wave barrier
	buffer_load_dword v75, off, s[0:3], 0 offset:228
	buffer_load_dword v76, off, s[0:3], 0 offset:236
	;; [unrolled: 1-line block ×10, first 2 shown]
	ds_read_b128 v[67:70], v66 offset:480
	ds_read_b128 v[71:74], v66 offset:496
	v_cmp_lt_u32_e32 vcc, 26, v0
	s_waitcnt vmcnt(9) lgkmcnt(1)
	v_mul_f32_e32 v66, v67, v75
	v_mul_f32_e32 v75, v68, v75
	s_waitcnt vmcnt(8)
	v_mul_f32_e32 v85, v69, v76
	v_mul_f32_e32 v76, v70, v76
	s_waitcnt vmcnt(5)
	v_fma_f32 v67, v67, v79, -v75
	s_waitcnt lgkmcnt(0)
	v_mul_f32_e32 v86, v71, v77
	v_mul_f32_e32 v77, v72, v77
	v_fmac_f32_e32 v66, v68, v79
	s_waitcnt vmcnt(4)
	v_fma_f32 v68, v69, v80, -v76
	v_add_f32_e32 v67, 0, v67
	v_mul_f32_e32 v87, v73, v78
	v_mul_f32_e32 v78, v74, v78
	v_fmac_f32_e32 v85, v70, v80
	s_waitcnt vmcnt(3)
	v_fma_f32 v69, v71, v81, -v77
	v_add_f32_e32 v66, 0, v66
	v_add_f32_e32 v67, v67, v68
	v_fmac_f32_e32 v86, v72, v81
	s_waitcnt vmcnt(2)
	v_fma_f32 v70, v73, v82, -v78
	v_add_f32_e32 v66, v66, v85
	v_add_f32_e32 v67, v67, v69
	v_fmac_f32_e32 v87, v74, v82
	v_add_f32_e32 v66, v66, v86
	v_add_f32_e32 v67, v67, v70
	;; [unrolled: 1-line block ×3, first 2 shown]
	s_waitcnt vmcnt(1)
	v_sub_f32_e32 v67, v83, v67
	s_waitcnt vmcnt(0)
	v_sub_f32_e32 v66, v84, v66
	buffer_store_dword v67, off, s[0:3], 0 offset:216
	buffer_store_dword v66, off, s[0:3], 0 offset:220
	s_and_saveexec_b64 s[4:5], vcc
	s_cbranch_execz .LBB31_153
; %bb.152:
	buffer_load_dword v66, off, s[0:3], 0 offset:208
	buffer_load_dword v67, off, s[0:3], 0 offset:212
	v_mov_b32_e32 v68, 0
	buffer_store_dword v68, off, s[0:3], 0 offset:208
	buffer_store_dword v68, off, s[0:3], 0 offset:212
	s_waitcnt vmcnt(2)
	ds_write_b64 v65, v[66:67]
.LBB31_153:
	s_or_b64 exec, exec, s[4:5]
	s_waitcnt lgkmcnt(0)
	; wave barrier
	buffer_load_dword v77, off, s[0:3], 0 offset:220
	buffer_load_dword v78, off, s[0:3], 0 offset:228
	;; [unrolled: 1-line block ×12, first 2 shown]
	v_mov_b32_e32 v66, 0
	ds_read2_b64 v[67:70], v66 offset0:59 offset1:60
	ds_read2_b64 v[71:74], v66 offset0:61 offset1:62
	ds_read_b64 v[75:76], v66 offset:504
	v_cmp_lt_u32_e32 vcc, 25, v0
	s_waitcnt vmcnt(11) lgkmcnt(2)
	v_mul_f32_e32 v89, v67, v77
	v_mul_f32_e32 v77, v68, v77
	s_waitcnt vmcnt(10)
	v_mul_f32_e32 v90, v69, v78
	v_mul_f32_e32 v78, v70, v78
	s_waitcnt vmcnt(9) lgkmcnt(1)
	v_mul_f32_e32 v91, v71, v79
	s_waitcnt vmcnt(6)
	v_fma_f32 v67, v67, v82, -v77
	v_mul_f32_e32 v79, v72, v79
	v_fmac_f32_e32 v89, v68, v82
	s_waitcnt vmcnt(5)
	v_fma_f32 v68, v69, v83, -v78
	v_add_f32_e32 v67, 0, v67
	v_mul_f32_e32 v92, v73, v80
	v_mul_f32_e32 v80, v74, v80
	v_fmac_f32_e32 v90, v70, v83
	s_waitcnt vmcnt(4)
	v_fmac_f32_e32 v91, v72, v84
	v_fma_f32 v69, v71, v84, -v79
	v_add_f32_e32 v72, 0, v89
	v_add_f32_e32 v67, v67, v68
	s_waitcnt lgkmcnt(0)
	v_mul_f32_e32 v93, v75, v81
	v_mul_f32_e32 v81, v76, v81
	s_waitcnt vmcnt(3)
	v_fma_f32 v70, v73, v85, -v80
	v_add_f32_e32 v72, v72, v90
	v_add_f32_e32 v67, v67, v69
	v_fmac_f32_e32 v92, v74, v85
	s_waitcnt vmcnt(2)
	v_fma_f32 v71, v75, v86, -v81
	v_add_f32_e32 v68, v72, v91
	v_add_f32_e32 v67, v67, v70
	v_fmac_f32_e32 v93, v76, v86
	v_add_f32_e32 v68, v68, v92
	v_add_f32_e32 v67, v67, v71
	;; [unrolled: 1-line block ×3, first 2 shown]
	s_waitcnt vmcnt(1)
	v_sub_f32_e32 v67, v87, v67
	s_waitcnt vmcnt(0)
	v_sub_f32_e32 v68, v88, v68
	buffer_store_dword v67, off, s[0:3], 0 offset:208
	buffer_store_dword v68, off, s[0:3], 0 offset:212
	s_and_saveexec_b64 s[4:5], vcc
	s_cbranch_execz .LBB31_155
; %bb.154:
	buffer_load_dword v67, off, s[0:3], 0 offset:200
	buffer_load_dword v68, off, s[0:3], 0 offset:204
	s_waitcnt vmcnt(0)
	ds_write_b64 v65, v[67:68]
	buffer_store_dword v66, off, s[0:3], 0 offset:200
	buffer_store_dword v66, off, s[0:3], 0 offset:204
.LBB31_155:
	s_or_b64 exec, exec, s[4:5]
	s_waitcnt lgkmcnt(0)
	; wave barrier
	buffer_load_dword v79, off, s[0:3], 0 offset:212
	buffer_load_dword v80, off, s[0:3], 0 offset:220
	;; [unrolled: 1-line block ×14, first 2 shown]
	ds_read_b128 v[67:70], v66 offset:464
	ds_read_b128 v[71:74], v66 offset:480
	;; [unrolled: 1-line block ×3, first 2 shown]
	v_cmp_lt_u32_e32 vcc, 24, v0
	s_waitcnt vmcnt(13) lgkmcnt(2)
	v_mul_f32_e32 v66, v67, v79
	v_mul_f32_e32 v79, v68, v79
	s_waitcnt vmcnt(12)
	v_mul_f32_e32 v93, v69, v80
	v_mul_f32_e32 v80, v70, v80
	s_waitcnt vmcnt(11) lgkmcnt(1)
	v_mul_f32_e32 v94, v71, v81
	v_mul_f32_e32 v81, v72, v81
	s_waitcnt vmcnt(7)
	v_fma_f32 v67, v67, v85, -v79
	v_fmac_f32_e32 v66, v68, v85
	s_waitcnt vmcnt(6)
	v_fma_f32 v68, v69, v86, -v80
	v_add_f32_e32 v67, 0, v67
	v_mul_f32_e32 v95, v73, v82
	v_mul_f32_e32 v82, v74, v82
	v_fmac_f32_e32 v93, v70, v86
	s_waitcnt vmcnt(5)
	v_fma_f32 v69, v71, v87, -v81
	v_add_f32_e32 v66, 0, v66
	v_add_f32_e32 v67, v67, v68
	s_waitcnt lgkmcnt(0)
	v_mul_f32_e32 v96, v75, v83
	v_mul_f32_e32 v83, v76, v83
	v_fmac_f32_e32 v94, v72, v87
	s_waitcnt vmcnt(4)
	v_fma_f32 v70, v73, v88, -v82
	v_add_f32_e32 v66, v66, v93
	v_add_f32_e32 v67, v67, v69
	v_mul_f32_e32 v97, v77, v84
	v_mul_f32_e32 v84, v78, v84
	v_fmac_f32_e32 v95, v74, v88
	s_waitcnt vmcnt(3)
	v_fma_f32 v71, v75, v89, -v83
	v_add_f32_e32 v66, v66, v94
	v_add_f32_e32 v67, v67, v70
	v_fmac_f32_e32 v96, v76, v89
	s_waitcnt vmcnt(2)
	v_fma_f32 v72, v77, v90, -v84
	v_add_f32_e32 v66, v66, v95
	v_add_f32_e32 v67, v67, v71
	v_fmac_f32_e32 v97, v78, v90
	v_add_f32_e32 v66, v66, v96
	v_add_f32_e32 v67, v67, v72
	;; [unrolled: 1-line block ×3, first 2 shown]
	s_waitcnt vmcnt(1)
	v_sub_f32_e32 v67, v91, v67
	s_waitcnt vmcnt(0)
	v_sub_f32_e32 v66, v92, v66
	buffer_store_dword v67, off, s[0:3], 0 offset:200
	buffer_store_dword v66, off, s[0:3], 0 offset:204
	s_and_saveexec_b64 s[4:5], vcc
	s_cbranch_execz .LBB31_157
; %bb.156:
	buffer_load_dword v66, off, s[0:3], 0 offset:192
	buffer_load_dword v67, off, s[0:3], 0 offset:196
	v_mov_b32_e32 v68, 0
	buffer_store_dword v68, off, s[0:3], 0 offset:192
	buffer_store_dword v68, off, s[0:3], 0 offset:196
	s_waitcnt vmcnt(2)
	ds_write_b64 v65, v[66:67]
.LBB31_157:
	s_or_b64 exec, exec, s[4:5]
	s_waitcnt lgkmcnt(0)
	; wave barrier
	buffer_load_dword v81, off, s[0:3], 0 offset:204
	buffer_load_dword v82, off, s[0:3], 0 offset:212
	;; [unrolled: 1-line block ×16, first 2 shown]
	v_mov_b32_e32 v66, 0
	ds_read2_b64 v[67:70], v66 offset0:57 offset1:58
	ds_read2_b64 v[71:74], v66 offset0:59 offset1:60
	;; [unrolled: 1-line block ×3, first 2 shown]
	ds_read_b64 v[79:80], v66 offset:504
	v_cmp_lt_u32_e32 vcc, 23, v0
	s_waitcnt vmcnt(15) lgkmcnt(3)
	v_mul_f32_e32 v97, v67, v81
	v_mul_f32_e32 v81, v68, v81
	s_waitcnt vmcnt(14)
	v_mul_f32_e32 v98, v69, v82
	v_mul_f32_e32 v82, v70, v82
	s_waitcnt vmcnt(13) lgkmcnt(2)
	v_mul_f32_e32 v99, v71, v83
	s_waitcnt vmcnt(12)
	v_mul_f32_e32 v100, v73, v84
	v_mul_f32_e32 v83, v72, v83
	s_waitcnt vmcnt(8)
	v_fma_f32 v67, v67, v88, -v81
	v_fmac_f32_e32 v97, v68, v88
	s_waitcnt vmcnt(7)
	v_fma_f32 v68, v69, v89, -v82
	v_add_f32_e32 v67, 0, v67
	v_mul_f32_e32 v84, v74, v84
	v_fmac_f32_e32 v98, v70, v89
	s_waitcnt vmcnt(5)
	v_fmac_f32_e32 v100, v74, v91
	v_fma_f32 v69, v71, v90, -v83
	v_add_f32_e32 v74, 0, v97
	v_add_f32_e32 v67, v67, v68
	s_waitcnt lgkmcnt(1)
	v_mul_f32_e32 v101, v75, v85
	v_mul_f32_e32 v85, v76, v85
	v_fmac_f32_e32 v99, v72, v90
	v_fma_f32 v70, v73, v91, -v84
	v_add_f32_e32 v74, v74, v98
	v_add_f32_e32 v67, v67, v69
	v_mul_f32_e32 v102, v77, v86
	v_mul_f32_e32 v86, v78, v86
	s_waitcnt vmcnt(4)
	v_fma_f32 v71, v75, v92, -v85
	v_add_f32_e32 v68, v74, v99
	v_add_f32_e32 v67, v67, v70
	s_waitcnt lgkmcnt(0)
	v_mul_f32_e32 v103, v79, v87
	v_mul_f32_e32 v87, v80, v87
	v_fmac_f32_e32 v101, v76, v92
	s_waitcnt vmcnt(3)
	v_fma_f32 v72, v77, v93, -v86
	v_add_f32_e32 v68, v68, v100
	v_add_f32_e32 v67, v67, v71
	v_fmac_f32_e32 v102, v78, v93
	s_waitcnt vmcnt(2)
	v_fma_f32 v73, v79, v94, -v87
	v_add_f32_e32 v68, v68, v101
	v_add_f32_e32 v67, v67, v72
	v_fmac_f32_e32 v103, v80, v94
	v_add_f32_e32 v68, v68, v102
	v_add_f32_e32 v67, v67, v73
	;; [unrolled: 1-line block ×3, first 2 shown]
	s_waitcnt vmcnt(1)
	v_sub_f32_e32 v67, v95, v67
	s_waitcnt vmcnt(0)
	v_sub_f32_e32 v68, v96, v68
	buffer_store_dword v67, off, s[0:3], 0 offset:192
	buffer_store_dword v68, off, s[0:3], 0 offset:196
	s_and_saveexec_b64 s[4:5], vcc
	s_cbranch_execz .LBB31_159
; %bb.158:
	buffer_load_dword v67, off, s[0:3], 0 offset:184
	buffer_load_dword v68, off, s[0:3], 0 offset:188
	s_waitcnt vmcnt(0)
	ds_write_b64 v65, v[67:68]
	buffer_store_dword v66, off, s[0:3], 0 offset:184
	buffer_store_dword v66, off, s[0:3], 0 offset:188
.LBB31_159:
	s_or_b64 exec, exec, s[4:5]
	s_waitcnt lgkmcnt(0)
	; wave barrier
	buffer_load_dword v83, off, s[0:3], 0 offset:196
	buffer_load_dword v84, off, s[0:3], 0 offset:204
	;; [unrolled: 1-line block ×18, first 2 shown]
	ds_read_b128 v[67:70], v66 offset:448
	ds_read_b128 v[71:74], v66 offset:464
	ds_read_b128 v[75:78], v66 offset:480
	ds_read_b128 v[79:82], v66 offset:496
	v_cmp_lt_u32_e32 vcc, 22, v0
	s_waitcnt vmcnt(17) lgkmcnt(3)
	v_mul_f32_e32 v66, v67, v83
	v_mul_f32_e32 v83, v68, v83
	s_waitcnt vmcnt(16)
	v_mul_f32_e32 v101, v69, v84
	v_mul_f32_e32 v84, v70, v84
	s_waitcnt vmcnt(15) lgkmcnt(2)
	v_mul_f32_e32 v102, v71, v85
	v_mul_f32_e32 v85, v72, v85
	s_waitcnt vmcnt(14)
	v_mul_f32_e32 v103, v73, v86
	v_mul_f32_e32 v86, v74, v86
	s_waitcnt vmcnt(9)
	v_fma_f32 v67, v67, v91, -v83
	v_fmac_f32_e32 v66, v68, v91
	s_waitcnt vmcnt(8)
	v_fma_f32 v68, v69, v92, -v84
	v_add_f32_e32 v67, 0, v67
	v_fmac_f32_e32 v101, v70, v92
	s_waitcnt vmcnt(7)
	v_fma_f32 v69, v71, v93, -v85
	v_add_f32_e32 v66, 0, v66
	v_add_f32_e32 v67, v67, v68
	s_waitcnt lgkmcnt(1)
	v_mul_f32_e32 v104, v75, v87
	v_mul_f32_e32 v87, v76, v87
	v_fmac_f32_e32 v102, v72, v93
	s_waitcnt vmcnt(6)
	v_fma_f32 v70, v73, v94, -v86
	v_add_f32_e32 v66, v66, v101
	v_add_f32_e32 v67, v67, v69
	v_mul_f32_e32 v105, v77, v88
	v_mul_f32_e32 v88, v78, v88
	v_fmac_f32_e32 v103, v74, v94
	s_waitcnt vmcnt(5)
	v_fma_f32 v71, v75, v95, -v87
	v_add_f32_e32 v66, v66, v102
	v_add_f32_e32 v67, v67, v70
	s_waitcnt lgkmcnt(0)
	v_mul_f32_e32 v106, v79, v89
	v_mul_f32_e32 v89, v80, v89
	v_fmac_f32_e32 v104, v76, v95
	s_waitcnt vmcnt(4)
	v_fma_f32 v72, v77, v96, -v88
	v_add_f32_e32 v66, v66, v103
	v_add_f32_e32 v67, v67, v71
	v_mul_f32_e32 v107, v81, v90
	v_mul_f32_e32 v90, v82, v90
	v_fmac_f32_e32 v105, v78, v96
	s_waitcnt vmcnt(3)
	v_fma_f32 v73, v79, v97, -v89
	v_add_f32_e32 v66, v66, v104
	v_add_f32_e32 v67, v67, v72
	v_fmac_f32_e32 v106, v80, v97
	s_waitcnt vmcnt(2)
	v_fma_f32 v74, v81, v98, -v90
	v_add_f32_e32 v66, v66, v105
	v_add_f32_e32 v67, v67, v73
	v_fmac_f32_e32 v107, v82, v98
	v_add_f32_e32 v66, v66, v106
	v_add_f32_e32 v67, v67, v74
	;; [unrolled: 1-line block ×3, first 2 shown]
	s_waitcnt vmcnt(1)
	v_sub_f32_e32 v67, v99, v67
	s_waitcnt vmcnt(0)
	v_sub_f32_e32 v66, v100, v66
	buffer_store_dword v67, off, s[0:3], 0 offset:184
	buffer_store_dword v66, off, s[0:3], 0 offset:188
	s_and_saveexec_b64 s[4:5], vcc
	s_cbranch_execz .LBB31_161
; %bb.160:
	buffer_load_dword v66, off, s[0:3], 0 offset:176
	buffer_load_dword v67, off, s[0:3], 0 offset:180
	v_mov_b32_e32 v68, 0
	buffer_store_dword v68, off, s[0:3], 0 offset:176
	buffer_store_dword v68, off, s[0:3], 0 offset:180
	s_waitcnt vmcnt(2)
	ds_write_b64 v65, v[66:67]
.LBB31_161:
	s_or_b64 exec, exec, s[4:5]
	s_waitcnt lgkmcnt(0)
	; wave barrier
	buffer_load_dword v85, off, s[0:3], 0 offset:188
	buffer_load_dword v86, off, s[0:3], 0 offset:196
	;; [unrolled: 1-line block ×20, first 2 shown]
	v_mov_b32_e32 v66, 0
	ds_read2_b64 v[67:70], v66 offset0:55 offset1:56
	ds_read2_b64 v[71:74], v66 offset0:57 offset1:58
	;; [unrolled: 1-line block ×4, first 2 shown]
	ds_read_b64 v[83:84], v66 offset:504
	v_cmp_lt_u32_e32 vcc, 21, v0
	s_waitcnt vmcnt(19) lgkmcnt(4)
	v_mul_f32_e32 v105, v67, v85
	v_mul_f32_e32 v85, v68, v85
	s_waitcnt vmcnt(18)
	v_mul_f32_e32 v106, v69, v86
	v_mul_f32_e32 v86, v70, v86
	s_waitcnt vmcnt(17) lgkmcnt(3)
	v_mul_f32_e32 v107, v71, v87
	s_waitcnt vmcnt(15) lgkmcnt(2)
	v_mul_f32_e32 v109, v75, v89
	v_mul_f32_e32 v87, v72, v87
	;; [unrolled: 1-line block ×4, first 2 shown]
	s_waitcnt vmcnt(10)
	v_fma_f32 v67, v67, v94, -v85
	v_fmac_f32_e32 v105, v68, v94
	s_waitcnt vmcnt(9)
	v_fma_f32 v68, v69, v95, -v86
	v_add_f32_e32 v67, 0, v67
	v_mul_f32_e32 v89, v76, v89
	v_fmac_f32_e32 v106, v70, v95
	s_waitcnt vmcnt(6)
	v_fmac_f32_e32 v109, v76, v98
	v_fma_f32 v69, v71, v96, -v87
	v_add_f32_e32 v76, 0, v105
	v_add_f32_e32 v67, v67, v68
	v_fmac_f32_e32 v107, v72, v96
	v_fma_f32 v70, v73, v97, -v88
	v_add_f32_e32 v76, v76, v106
	v_add_f32_e32 v67, v67, v69
	v_mul_f32_e32 v110, v77, v90
	v_mul_f32_e32 v90, v78, v90
	v_fmac_f32_e32 v108, v74, v97
	v_fma_f32 v71, v75, v98, -v89
	v_add_f32_e32 v68, v76, v107
	v_add_f32_e32 v67, v67, v70
	s_waitcnt lgkmcnt(1)
	v_mul_f32_e32 v111, v79, v91
	v_mul_f32_e32 v91, v80, v91
	s_waitcnt vmcnt(5)
	v_fma_f32 v72, v77, v99, -v90
	v_add_f32_e32 v68, v68, v108
	v_add_f32_e32 v67, v67, v71
	v_mul_f32_e32 v112, v81, v92
	v_mul_f32_e32 v92, v82, v92
	v_fmac_f32_e32 v110, v78, v99
	s_waitcnt vmcnt(4)
	v_fma_f32 v73, v79, v100, -v91
	v_add_f32_e32 v68, v68, v109
	v_add_f32_e32 v67, v67, v72
	s_waitcnt lgkmcnt(0)
	v_mul_f32_e32 v113, v83, v93
	v_mul_f32_e32 v93, v84, v93
	v_fmac_f32_e32 v111, v80, v100
	s_waitcnt vmcnt(3)
	v_fma_f32 v74, v81, v101, -v92
	v_add_f32_e32 v68, v68, v110
	v_add_f32_e32 v67, v67, v73
	v_fmac_f32_e32 v112, v82, v101
	s_waitcnt vmcnt(2)
	v_fma_f32 v75, v83, v102, -v93
	v_add_f32_e32 v68, v68, v111
	v_add_f32_e32 v67, v67, v74
	v_fmac_f32_e32 v113, v84, v102
	v_add_f32_e32 v68, v68, v112
	v_add_f32_e32 v67, v67, v75
	;; [unrolled: 1-line block ×3, first 2 shown]
	s_waitcnt vmcnt(1)
	v_sub_f32_e32 v67, v103, v67
	s_waitcnt vmcnt(0)
	v_sub_f32_e32 v68, v104, v68
	buffer_store_dword v67, off, s[0:3], 0 offset:176
	buffer_store_dword v68, off, s[0:3], 0 offset:180
	s_and_saveexec_b64 s[4:5], vcc
	s_cbranch_execz .LBB31_163
; %bb.162:
	buffer_load_dword v67, off, s[0:3], 0 offset:168
	buffer_load_dword v68, off, s[0:3], 0 offset:172
	s_waitcnt vmcnt(0)
	ds_write_b64 v65, v[67:68]
	buffer_store_dword v66, off, s[0:3], 0 offset:168
	buffer_store_dword v66, off, s[0:3], 0 offset:172
.LBB31_163:
	s_or_b64 exec, exec, s[4:5]
	s_waitcnt lgkmcnt(0)
	; wave barrier
	buffer_load_dword v87, off, s[0:3], 0 offset:180
	buffer_load_dword v88, off, s[0:3], 0 offset:188
	;; [unrolled: 1-line block ×22, first 2 shown]
	ds_read_b128 v[67:70], v66 offset:432
	ds_read_b128 v[71:74], v66 offset:448
	;; [unrolled: 1-line block ×5, first 2 shown]
	v_cmp_lt_u32_e32 vcc, 20, v0
	s_waitcnt vmcnt(21) lgkmcnt(4)
	v_mul_f32_e32 v66, v67, v87
	v_mul_f32_e32 v87, v68, v87
	s_waitcnt vmcnt(20)
	v_mul_f32_e32 v109, v69, v88
	v_mul_f32_e32 v88, v70, v88
	s_waitcnt vmcnt(19) lgkmcnt(3)
	v_mul_f32_e32 v110, v71, v89
	v_mul_f32_e32 v89, v72, v89
	s_waitcnt vmcnt(18)
	v_mul_f32_e32 v111, v73, v90
	v_mul_f32_e32 v90, v74, v90
	s_waitcnt vmcnt(17) lgkmcnt(2)
	v_mul_f32_e32 v112, v75, v91
	v_mul_f32_e32 v91, v76, v91
	s_waitcnt vmcnt(11)
	v_fma_f32 v67, v67, v97, -v87
	v_fmac_f32_e32 v66, v68, v97
	s_waitcnt vmcnt(10)
	v_fma_f32 v68, v69, v98, -v88
	v_add_f32_e32 v67, 0, v67
	v_fmac_f32_e32 v109, v70, v98
	s_waitcnt vmcnt(9)
	v_fma_f32 v69, v71, v99, -v89
	v_add_f32_e32 v66, 0, v66
	v_add_f32_e32 v67, v67, v68
	v_fmac_f32_e32 v110, v72, v99
	s_waitcnt vmcnt(8)
	v_fma_f32 v70, v73, v100, -v90
	v_add_f32_e32 v66, v66, v109
	v_add_f32_e32 v67, v67, v69
	v_mul_f32_e32 v113, v77, v92
	v_mul_f32_e32 v92, v78, v92
	v_fmac_f32_e32 v111, v74, v100
	s_waitcnt vmcnt(7)
	v_fma_f32 v71, v75, v101, -v91
	v_add_f32_e32 v66, v66, v110
	v_add_f32_e32 v67, v67, v70
	s_waitcnt lgkmcnt(1)
	v_mul_f32_e32 v114, v79, v93
	v_mul_f32_e32 v93, v80, v93
	v_fmac_f32_e32 v112, v76, v101
	s_waitcnt vmcnt(6)
	v_fma_f32 v72, v77, v102, -v92
	v_add_f32_e32 v66, v66, v111
	v_add_f32_e32 v67, v67, v71
	v_mul_f32_e32 v115, v81, v94
	v_mul_f32_e32 v94, v82, v94
	v_fmac_f32_e32 v113, v78, v102
	s_waitcnt vmcnt(5)
	v_fma_f32 v73, v79, v103, -v93
	v_add_f32_e32 v66, v66, v112
	v_add_f32_e32 v67, v67, v72
	s_waitcnt lgkmcnt(0)
	v_mul_f32_e32 v116, v83, v95
	v_mul_f32_e32 v95, v84, v95
	v_fmac_f32_e32 v114, v80, v103
	s_waitcnt vmcnt(4)
	v_fma_f32 v74, v81, v104, -v94
	v_add_f32_e32 v66, v66, v113
	v_add_f32_e32 v67, v67, v73
	v_mul_f32_e32 v117, v85, v96
	v_mul_f32_e32 v96, v86, v96
	v_fmac_f32_e32 v115, v82, v104
	s_waitcnt vmcnt(3)
	v_fma_f32 v75, v83, v105, -v95
	v_add_f32_e32 v66, v66, v114
	v_add_f32_e32 v67, v67, v74
	v_fmac_f32_e32 v116, v84, v105
	s_waitcnt vmcnt(2)
	v_fma_f32 v76, v85, v106, -v96
	v_add_f32_e32 v66, v66, v115
	v_add_f32_e32 v67, v67, v75
	v_fmac_f32_e32 v117, v86, v106
	v_add_f32_e32 v66, v66, v116
	v_add_f32_e32 v67, v67, v76
	;; [unrolled: 1-line block ×3, first 2 shown]
	s_waitcnt vmcnt(1)
	v_sub_f32_e32 v67, v107, v67
	s_waitcnt vmcnt(0)
	v_sub_f32_e32 v66, v108, v66
	buffer_store_dword v67, off, s[0:3], 0 offset:168
	buffer_store_dword v66, off, s[0:3], 0 offset:172
	s_and_saveexec_b64 s[4:5], vcc
	s_cbranch_execz .LBB31_165
; %bb.164:
	buffer_load_dword v66, off, s[0:3], 0 offset:160
	buffer_load_dword v67, off, s[0:3], 0 offset:164
	v_mov_b32_e32 v68, 0
	buffer_store_dword v68, off, s[0:3], 0 offset:160
	buffer_store_dword v68, off, s[0:3], 0 offset:164
	s_waitcnt vmcnt(2)
	ds_write_b64 v65, v[66:67]
.LBB31_165:
	s_or_b64 exec, exec, s[4:5]
	s_waitcnt lgkmcnt(0)
	; wave barrier
	buffer_load_dword v89, off, s[0:3], 0 offset:172
	buffer_load_dword v90, off, s[0:3], 0 offset:180
	;; [unrolled: 1-line block ×24, first 2 shown]
	v_mov_b32_e32 v66, 0
	ds_read2_b64 v[67:70], v66 offset0:53 offset1:54
	ds_read2_b64 v[71:74], v66 offset0:55 offset1:56
	;; [unrolled: 1-line block ×5, first 2 shown]
	ds_read_b64 v[87:88], v66 offset:504
	v_cmp_lt_u32_e32 vcc, 19, v0
	s_waitcnt vmcnt(23) lgkmcnt(5)
	v_mul_f32_e32 v113, v67, v89
	v_mul_f32_e32 v89, v68, v89
	s_waitcnt vmcnt(22)
	v_mul_f32_e32 v114, v69, v90
	v_mul_f32_e32 v90, v70, v90
	s_waitcnt vmcnt(21) lgkmcnt(4)
	v_mul_f32_e32 v115, v71, v91
	v_mul_f32_e32 v91, v72, v91
	s_waitcnt vmcnt(20)
	v_mul_f32_e32 v116, v73, v92
	s_waitcnt vmcnt(19) lgkmcnt(3)
	v_mul_f32_e32 v117, v75, v93
	v_mul_f32_e32 v92, v74, v92
	;; [unrolled: 1-line block ×3, first 2 shown]
	s_waitcnt vmcnt(18)
	v_mul_f32_e32 v118, v77, v94
	s_waitcnt vmcnt(12)
	v_fma_f32 v67, v67, v100, -v89
	v_fmac_f32_e32 v113, v68, v100
	s_waitcnt vmcnt(11)
	v_fma_f32 v68, v69, v101, -v90
	v_add_f32_e32 v67, 0, v67
	s_waitcnt vmcnt(10)
	v_fma_f32 v69, v71, v102, -v91
	v_add_f32_e32 v67, v67, v68
	v_fmac_f32_e32 v114, v70, v101
	s_waitcnt vmcnt(8)
	v_fmac_f32_e32 v117, v76, v104
	v_fma_f32 v70, v73, v103, -v92
	v_add_f32_e32 v76, 0, v113
	v_add_f32_e32 v67, v67, v69
	v_mul_f32_e32 v94, v78, v94
	v_fmac_f32_e32 v115, v72, v102
	v_fma_f32 v71, v75, v104, -v93
	v_add_f32_e32 v76, v76, v114
	v_add_f32_e32 v67, v67, v70
	s_waitcnt lgkmcnt(2)
	v_mul_f32_e32 v119, v79, v95
	v_mul_f32_e32 v95, v80, v95
	v_fmac_f32_e32 v116, v74, v103
	s_waitcnt vmcnt(7)
	v_fma_f32 v72, v77, v105, -v94
	v_add_f32_e32 v68, v76, v115
	v_add_f32_e32 v67, v67, v71
	v_mul_f32_e32 v120, v81, v96
	v_mul_f32_e32 v96, v82, v96
	s_waitcnt vmcnt(6)
	v_fma_f32 v73, v79, v106, -v95
	v_add_f32_e32 v68, v68, v116
	v_add_f32_e32 v67, v67, v72
	s_waitcnt lgkmcnt(1)
	v_mul_f32_e32 v121, v83, v97
	v_mul_f32_e32 v97, v84, v97
	v_fmac_f32_e32 v118, v78, v105
	s_waitcnt vmcnt(5)
	v_fma_f32 v74, v81, v107, -v96
	v_add_f32_e32 v68, v68, v117
	v_add_f32_e32 v67, v67, v73
	v_fmac_f32_e32 v119, v80, v106
	s_waitcnt vmcnt(4)
	v_fma_f32 v75, v83, v108, -v97
	v_add_f32_e32 v68, v68, v118
	v_add_f32_e32 v67, v67, v74
	v_mul_f32_e32 v69, v86, v98
	v_fmac_f32_e32 v120, v82, v107
	v_add_f32_e32 v68, v68, v119
	v_add_f32_e32 v67, v67, v75
	s_waitcnt vmcnt(3)
	v_fma_f32 v69, v85, v109, -v69
	v_mul_f32_e32 v122, v85, v98
	v_fmac_f32_e32 v121, v84, v108
	v_add_f32_e32 v68, v68, v120
	v_add_f32_e32 v67, v67, v69
	s_waitcnt lgkmcnt(0)
	v_mul_f32_e32 v69, v88, v99
	v_mul_f32_e32 v123, v87, v99
	v_fmac_f32_e32 v122, v86, v109
	v_add_f32_e32 v68, v68, v121
	s_waitcnt vmcnt(2)
	v_fma_f32 v69, v87, v110, -v69
	v_fmac_f32_e32 v123, v88, v110
	v_add_f32_e32 v68, v68, v122
	v_add_f32_e32 v67, v67, v69
	;; [unrolled: 1-line block ×3, first 2 shown]
	s_waitcnt vmcnt(1)
	v_sub_f32_e32 v67, v111, v67
	s_waitcnt vmcnt(0)
	v_sub_f32_e32 v68, v112, v68
	buffer_store_dword v67, off, s[0:3], 0 offset:160
	buffer_store_dword v68, off, s[0:3], 0 offset:164
	s_and_saveexec_b64 s[4:5], vcc
	s_cbranch_execz .LBB31_167
; %bb.166:
	buffer_load_dword v67, off, s[0:3], 0 offset:152
	buffer_load_dword v68, off, s[0:3], 0 offset:156
	s_waitcnt vmcnt(0)
	ds_write_b64 v65, v[67:68]
	buffer_store_dword v66, off, s[0:3], 0 offset:152
	buffer_store_dword v66, off, s[0:3], 0 offset:156
.LBB31_167:
	s_or_b64 exec, exec, s[4:5]
	s_waitcnt lgkmcnt(0)
	; wave barrier
	ds_read_b128 v[67:70], v66 offset:416
	ds_read_b128 v[71:74], v66 offset:432
	;; [unrolled: 1-line block ×4, first 2 shown]
	buffer_load_dword v91, off, s[0:3], 0 offset:152
	buffer_load_dword v92, off, s[0:3], 0 offset:156
	;; [unrolled: 1-line block ×18, first 2 shown]
	v_cmp_lt_u32_e32 vcc, 18, v0
	s_waitcnt vmcnt(14) lgkmcnt(3)
	v_mul_f32_e32 v83, v67, v94
	v_fmac_f32_e32 v83, v68, v93
	s_waitcnt vmcnt(12)
	v_mul_f32_e32 v84, v69, v96
	v_add_f32_e32 v83, 0, v83
	v_fmac_f32_e32 v84, v70, v95
	v_add_f32_e32 v83, v83, v84
	s_waitcnt vmcnt(10) lgkmcnt(2)
	v_mul_f32_e32 v84, v71, v98
	v_fmac_f32_e32 v84, v72, v97
	v_add_f32_e32 v83, v83, v84
	s_waitcnt vmcnt(8)
	v_mul_f32_e32 v84, v73, v100
	v_fmac_f32_e32 v84, v74, v99
	v_add_f32_e32 v83, v83, v84
	s_waitcnt vmcnt(6) lgkmcnt(1)
	v_mul_f32_e32 v84, v75, v102
	v_fmac_f32_e32 v84, v76, v101
	v_add_f32_e32 v83, v83, v84
	s_waitcnt vmcnt(4)
	v_mul_f32_e32 v84, v77, v104
	;; [unrolled: 8-line block ×3, first 2 shown]
	v_fmac_f32_e32 v84, v82, v107
	v_add_f32_e32 v87, v83, v84
	ds_read_b128 v[83:86], v66 offset:480
	buffer_load_dword v109, off, s[0:3], 0 offset:224
	buffer_load_dword v110, off, s[0:3], 0 offset:228
	;; [unrolled: 1-line block ×4, first 2 shown]
	v_mul_f32_e32 v68, v68, v94
	v_fma_f32 v67, v67, v93, -v68
	v_mul_f32_e32 v68, v70, v96
	v_add_f32_e32 v67, 0, v67
	v_fma_f32 v68, v69, v95, -v68
	v_add_f32_e32 v67, v67, v68
	v_mul_f32_e32 v68, v72, v98
	v_fma_f32 v68, v71, v97, -v68
	v_add_f32_e32 v67, v67, v68
	v_mul_f32_e32 v68, v74, v100
	;; [unrolled: 3-line block ×6, first 2 shown]
	v_fma_f32 v68, v81, v107, -v68
	v_add_f32_e32 v67, v67, v68
	s_waitcnt vmcnt(2) lgkmcnt(0)
	v_mul_f32_e32 v88, v83, v110
	v_fmac_f32_e32 v88, v84, v109
	v_add_f32_e32 v87, v87, v88
	s_waitcnt vmcnt(0)
	v_mul_f32_e32 v88, v85, v112
	v_fmac_f32_e32 v88, v86, v111
	v_add_f32_e32 v113, v87, v88
	ds_read_b128 v[87:90], v66 offset:496
	buffer_load_dword v66, off, s[0:3], 0 offset:240
	buffer_load_dword v114, off, s[0:3], 0 offset:244
	v_mul_f32_e32 v68, v84, v110
	v_fma_f32 v68, v83, v109, -v68
	v_add_f32_e32 v67, v67, v68
	v_mul_f32_e32 v68, v86, v112
	v_fma_f32 v68, v85, v111, -v68
	v_add_f32_e32 v67, v67, v68
	s_waitcnt vmcnt(0) lgkmcnt(0)
	v_mul_f32_e32 v115, v87, v114
	v_fmac_f32_e32 v115, v88, v66
	v_add_f32_e32 v113, v113, v115
	buffer_load_dword v115, off, s[0:3], 0 offset:248
	buffer_load_dword v116, off, s[0:3], 0 offset:252
	v_mul_f32_e32 v68, v88, v114
	v_fma_f32 v66, v87, v66, -v68
	v_add_f32_e32 v66, v67, v66
	s_waitcnt vmcnt(0)
	v_mul_f32_e32 v67, v90, v116
	v_mul_f32_e32 v117, v89, v116
	v_fma_f32 v67, v89, v115, -v67
	v_fmac_f32_e32 v117, v90, v115
	v_add_f32_e32 v66, v66, v67
	v_add_f32_e32 v113, v113, v117
	v_sub_f32_e32 v66, v91, v66
	v_sub_f32_e32 v67, v92, v113
	buffer_store_dword v66, off, s[0:3], 0 offset:152
	buffer_store_dword v67, off, s[0:3], 0 offset:156
	s_and_saveexec_b64 s[4:5], vcc
	s_cbranch_execz .LBB31_169
; %bb.168:
	buffer_load_dword v66, off, s[0:3], 0 offset:144
	buffer_load_dword v67, off, s[0:3], 0 offset:148
	v_mov_b32_e32 v68, 0
	buffer_store_dword v68, off, s[0:3], 0 offset:144
	buffer_store_dword v68, off, s[0:3], 0 offset:148
	s_waitcnt vmcnt(2)
	ds_write_b64 v65, v[66:67]
.LBB31_169:
	s_or_b64 exec, exec, s[4:5]
	v_mov_b32_e32 v66, 0
	s_waitcnt lgkmcnt(0)
	; wave barrier
	ds_read2_b64 v[67:70], v66 offset0:51 offset1:52
	buffer_load_dword v93, off, s[0:3], 0 offset:144
	buffer_load_dword v94, off, s[0:3], 0 offset:148
	;; [unrolled: 1-line block ×16, first 2 shown]
	v_cmp_lt_u32_e32 vcc, 17, v0
	s_waitcnt vmcnt(12) lgkmcnt(0)
	v_mul_f32_e32 v71, v67, v96
	v_fmac_f32_e32 v71, v68, v95
	s_waitcnt vmcnt(10)
	v_mul_f32_e32 v72, v69, v98
	v_add_f32_e32 v71, 0, v71
	v_fmac_f32_e32 v72, v70, v97
	v_add_f32_e32 v75, v71, v72
	ds_read2_b64 v[71:74], v66 offset0:53 offset1:54
	v_mul_f32_e32 v68, v68, v96
	v_fma_f32 v67, v67, v95, -v68
	v_mul_f32_e32 v68, v70, v98
	v_add_f32_e32 v67, 0, v67
	s_waitcnt vmcnt(8) lgkmcnt(0)
	v_mul_f32_e32 v76, v71, v100
	v_fmac_f32_e32 v76, v72, v99
	v_add_f32_e32 v75, v75, v76
	s_waitcnt vmcnt(6)
	v_mul_f32_e32 v76, v73, v102
	v_fmac_f32_e32 v76, v74, v101
	v_add_f32_e32 v79, v75, v76
	ds_read2_b64 v[75:78], v66 offset0:55 offset1:56
	v_fma_f32 v68, v69, v97, -v68
	v_add_f32_e32 v67, v67, v68
	v_mul_f32_e32 v68, v72, v100
	v_fma_f32 v68, v71, v99, -v68
	s_waitcnt vmcnt(4) lgkmcnt(0)
	v_mul_f32_e32 v80, v75, v104
	v_fmac_f32_e32 v80, v76, v103
	v_add_f32_e32 v79, v79, v80
	s_waitcnt vmcnt(2)
	v_mul_f32_e32 v80, v77, v106
	v_fmac_f32_e32 v80, v78, v105
	v_add_f32_e32 v83, v79, v80
	ds_read2_b64 v[79:82], v66 offset0:57 offset1:58
	buffer_load_dword v109, off, s[0:3], 0 offset:208
	buffer_load_dword v110, off, s[0:3], 0 offset:212
	v_add_f32_e32 v67, v67, v68
	v_mul_f32_e32 v68, v74, v102
	v_fma_f32 v68, v73, v101, -v68
	s_waitcnt vmcnt(2) lgkmcnt(0)
	v_mul_f32_e32 v84, v79, v108
	v_fmac_f32_e32 v84, v80, v107
	v_add_f32_e32 v83, v83, v84
	v_add_f32_e32 v67, v67, v68
	v_mul_f32_e32 v68, v76, v104
	v_fma_f32 v68, v75, v103, -v68
	v_add_f32_e32 v67, v67, v68
	v_mul_f32_e32 v68, v78, v106
	v_fma_f32 v68, v77, v105, -v68
	;; [unrolled: 3-line block ×3, first 2 shown]
	v_add_f32_e32 v67, v67, v68
	s_waitcnt vmcnt(0)
	v_mul_f32_e32 v84, v81, v110
	v_fmac_f32_e32 v84, v82, v109
	v_add_f32_e32 v87, v83, v84
	ds_read2_b64 v[83:86], v66 offset0:59 offset1:60
	buffer_load_dword v111, off, s[0:3], 0 offset:216
	buffer_load_dword v112, off, s[0:3], 0 offset:220
	;; [unrolled: 1-line block ×4, first 2 shown]
	v_mul_f32_e32 v68, v82, v110
	v_fma_f32 v68, v81, v109, -v68
	v_add_f32_e32 v67, v67, v68
	s_waitcnt vmcnt(2) lgkmcnt(0)
	v_mul_f32_e32 v88, v83, v112
	v_fmac_f32_e32 v88, v84, v111
	v_add_f32_e32 v87, v87, v88
	s_waitcnt vmcnt(0)
	v_mul_f32_e32 v88, v85, v114
	v_fmac_f32_e32 v88, v86, v113
	v_add_f32_e32 v91, v87, v88
	ds_read2_b64 v[87:90], v66 offset0:61 offset1:62
	buffer_load_dword v115, off, s[0:3], 0 offset:232
	buffer_load_dword v116, off, s[0:3], 0 offset:236
	buffer_load_dword v117, off, s[0:3], 0 offset:240
	buffer_load_dword v118, off, s[0:3], 0 offset:244
	v_mul_f32_e32 v68, v84, v112
	v_fma_f32 v68, v83, v111, -v68
	v_add_f32_e32 v67, v67, v68
	v_mul_f32_e32 v68, v86, v114
	v_fma_f32 v68, v85, v113, -v68
	v_add_f32_e32 v67, v67, v68
	s_waitcnt vmcnt(2) lgkmcnt(0)
	v_mul_f32_e32 v92, v87, v116
	v_fmac_f32_e32 v92, v88, v115
	v_add_f32_e32 v91, v91, v92
	s_waitcnt vmcnt(0)
	v_mul_f32_e32 v92, v89, v118
	v_fmac_f32_e32 v92, v90, v117
	v_add_f32_e32 v119, v91, v92
	ds_read_b64 v[91:92], v66 offset:504
	buffer_load_dword v120, off, s[0:3], 0 offset:248
	buffer_load_dword v121, off, s[0:3], 0 offset:252
	v_mul_f32_e32 v68, v88, v116
	v_fma_f32 v68, v87, v115, -v68
	v_add_f32_e32 v67, v67, v68
	v_mul_f32_e32 v68, v90, v118
	v_fma_f32 v68, v89, v117, -v68
	v_add_f32_e32 v67, v67, v68
	s_waitcnt vmcnt(0) lgkmcnt(0)
	v_mul_f32_e32 v68, v92, v121
	v_mul_f32_e32 v122, v91, v121
	v_fma_f32 v68, v91, v120, -v68
	v_fmac_f32_e32 v122, v92, v120
	v_add_f32_e32 v67, v67, v68
	v_add_f32_e32 v119, v119, v122
	v_sub_f32_e32 v67, v93, v67
	v_sub_f32_e32 v68, v94, v119
	buffer_store_dword v67, off, s[0:3], 0 offset:144
	buffer_store_dword v68, off, s[0:3], 0 offset:148
	s_and_saveexec_b64 s[4:5], vcc
	s_cbranch_execz .LBB31_171
; %bb.170:
	buffer_load_dword v67, off, s[0:3], 0 offset:136
	buffer_load_dword v68, off, s[0:3], 0 offset:140
	s_waitcnt vmcnt(0)
	ds_write_b64 v65, v[67:68]
	buffer_store_dword v66, off, s[0:3], 0 offset:136
	buffer_store_dword v66, off, s[0:3], 0 offset:140
.LBB31_171:
	s_or_b64 exec, exec, s[4:5]
	s_waitcnt lgkmcnt(0)
	; wave barrier
	ds_read_b128 v[67:70], v66 offset:400
	ds_read_b128 v[71:74], v66 offset:416
	;; [unrolled: 1-line block ×4, first 2 shown]
	buffer_load_dword v95, off, s[0:3], 0 offset:136
	buffer_load_dword v96, off, s[0:3], 0 offset:140
	;; [unrolled: 1-line block ×18, first 2 shown]
	v_cmp_lt_u32_e32 vcc, 16, v0
	s_waitcnt vmcnt(14) lgkmcnt(3)
	v_mul_f32_e32 v83, v67, v98
	v_fmac_f32_e32 v83, v68, v97
	s_waitcnt vmcnt(12)
	v_mul_f32_e32 v84, v69, v100
	v_add_f32_e32 v83, 0, v83
	v_fmac_f32_e32 v84, v70, v99
	v_add_f32_e32 v83, v83, v84
	s_waitcnt vmcnt(10) lgkmcnt(2)
	v_mul_f32_e32 v84, v71, v102
	v_fmac_f32_e32 v84, v72, v101
	v_add_f32_e32 v83, v83, v84
	s_waitcnt vmcnt(8)
	v_mul_f32_e32 v84, v73, v104
	v_fmac_f32_e32 v84, v74, v103
	v_add_f32_e32 v83, v83, v84
	s_waitcnt vmcnt(6) lgkmcnt(1)
	v_mul_f32_e32 v84, v75, v106
	v_fmac_f32_e32 v84, v76, v105
	v_add_f32_e32 v83, v83, v84
	s_waitcnt vmcnt(4)
	v_mul_f32_e32 v84, v77, v108
	;; [unrolled: 8-line block ×3, first 2 shown]
	v_fmac_f32_e32 v84, v82, v111
	v_add_f32_e32 v87, v83, v84
	ds_read_b128 v[83:86], v66 offset:464
	buffer_load_dword v113, off, s[0:3], 0 offset:208
	buffer_load_dword v114, off, s[0:3], 0 offset:212
	;; [unrolled: 1-line block ×4, first 2 shown]
	v_mul_f32_e32 v68, v68, v98
	v_fma_f32 v67, v67, v97, -v68
	v_mul_f32_e32 v68, v70, v100
	v_add_f32_e32 v67, 0, v67
	v_fma_f32 v68, v69, v99, -v68
	v_add_f32_e32 v67, v67, v68
	v_mul_f32_e32 v68, v72, v102
	v_fma_f32 v68, v71, v101, -v68
	v_add_f32_e32 v67, v67, v68
	v_mul_f32_e32 v68, v74, v104
	;; [unrolled: 3-line block ×6, first 2 shown]
	v_fma_f32 v68, v81, v111, -v68
	v_add_f32_e32 v67, v67, v68
	s_waitcnt vmcnt(2) lgkmcnt(0)
	v_mul_f32_e32 v88, v83, v114
	v_fmac_f32_e32 v88, v84, v113
	v_add_f32_e32 v87, v87, v88
	s_waitcnt vmcnt(0)
	v_mul_f32_e32 v88, v85, v116
	v_fmac_f32_e32 v88, v86, v115
	v_add_f32_e32 v91, v87, v88
	ds_read_b128 v[87:90], v66 offset:480
	buffer_load_dword v117, off, s[0:3], 0 offset:224
	buffer_load_dword v118, off, s[0:3], 0 offset:228
	;; [unrolled: 1-line block ×4, first 2 shown]
	v_mul_f32_e32 v68, v84, v114
	v_fma_f32 v68, v83, v113, -v68
	v_add_f32_e32 v67, v67, v68
	v_mul_f32_e32 v68, v86, v116
	v_fma_f32 v68, v85, v115, -v68
	v_add_f32_e32 v67, v67, v68
	s_waitcnt vmcnt(2) lgkmcnt(0)
	v_mul_f32_e32 v92, v87, v118
	v_fmac_f32_e32 v92, v88, v117
	v_add_f32_e32 v91, v91, v92
	s_waitcnt vmcnt(0)
	v_mul_f32_e32 v92, v89, v120
	v_fmac_f32_e32 v92, v90, v119
	v_add_f32_e32 v121, v91, v92
	ds_read_b128 v[91:94], v66 offset:496
	buffer_load_dword v66, off, s[0:3], 0 offset:240
	buffer_load_dword v122, off, s[0:3], 0 offset:244
	v_mul_f32_e32 v68, v88, v118
	v_fma_f32 v68, v87, v117, -v68
	v_add_f32_e32 v67, v67, v68
	v_mul_f32_e32 v68, v90, v120
	v_fma_f32 v68, v89, v119, -v68
	v_add_f32_e32 v67, v67, v68
	s_waitcnt vmcnt(0) lgkmcnt(0)
	v_mul_f32_e32 v123, v91, v122
	v_fmac_f32_e32 v123, v92, v66
	v_add_f32_e32 v121, v121, v123
	buffer_load_dword v123, off, s[0:3], 0 offset:248
	buffer_load_dword v124, off, s[0:3], 0 offset:252
	v_mul_f32_e32 v68, v92, v122
	v_fma_f32 v66, v91, v66, -v68
	v_add_f32_e32 v66, v67, v66
	s_waitcnt vmcnt(0)
	v_mul_f32_e32 v67, v94, v124
	v_mul_f32_e32 v125, v93, v124
	v_fma_f32 v67, v93, v123, -v67
	v_fmac_f32_e32 v125, v94, v123
	v_add_f32_e32 v66, v66, v67
	v_add_f32_e32 v121, v121, v125
	v_sub_f32_e32 v66, v95, v66
	v_sub_f32_e32 v67, v96, v121
	buffer_store_dword v66, off, s[0:3], 0 offset:136
	buffer_store_dword v67, off, s[0:3], 0 offset:140
	s_and_saveexec_b64 s[4:5], vcc
	s_cbranch_execz .LBB31_173
; %bb.172:
	buffer_load_dword v66, off, s[0:3], 0 offset:128
	buffer_load_dword v67, off, s[0:3], 0 offset:132
	v_mov_b32_e32 v68, 0
	buffer_store_dword v68, off, s[0:3], 0 offset:128
	buffer_store_dword v68, off, s[0:3], 0 offset:132
	s_waitcnt vmcnt(2)
	ds_write_b64 v65, v[66:67]
.LBB31_173:
	s_or_b64 exec, exec, s[4:5]
	s_waitcnt lgkmcnt(0)
	; wave barrier
	buffer_load_dword v97, off, s[0:3], 0 offset:140
	buffer_load_dword v98, off, s[0:3], 0 offset:148
	buffer_load_dword v99, off, s[0:3], 0 offset:156
	buffer_load_dword v100, off, s[0:3], 0 offset:164
	buffer_load_dword v101, off, s[0:3], 0 offset:172
	buffer_load_dword v102, off, s[0:3], 0 offset:180
	buffer_load_dword v103, off, s[0:3], 0 offset:188
	buffer_load_dword v104, off, s[0:3], 0 offset:196
	buffer_load_dword v105, off, s[0:3], 0 offset:204
	buffer_load_dword v106, off, s[0:3], 0 offset:212
	buffer_load_dword v107, off, s[0:3], 0 offset:220
	buffer_load_dword v108, off, s[0:3], 0 offset:228
	buffer_load_dword v109, off, s[0:3], 0 offset:236
	buffer_load_dword v110, off, s[0:3], 0 offset:244
	buffer_load_dword v111, off, s[0:3], 0 offset:252
	buffer_load_dword v112, off, s[0:3], 0 offset:136
	buffer_load_dword v113, off, s[0:3], 0 offset:144
	buffer_load_dword v114, off, s[0:3], 0 offset:152
	buffer_load_dword v115, off, s[0:3], 0 offset:160
	buffer_load_dword v116, off, s[0:3], 0 offset:168
	buffer_load_dword v117, off, s[0:3], 0 offset:176
	buffer_load_dword v118, off, s[0:3], 0 offset:184
	buffer_load_dword v119, off, s[0:3], 0 offset:192
	buffer_load_dword v120, off, s[0:3], 0 offset:200
	buffer_load_dword v121, off, s[0:3], 0 offset:208
	buffer_load_dword v122, off, s[0:3], 0 offset:216
	buffer_load_dword v123, off, s[0:3], 0 offset:224
	buffer_load_dword v124, off, s[0:3], 0 offset:232
	buffer_load_dword v125, off, s[0:3], 0 offset:240
	buffer_load_dword v126, off, s[0:3], 0 offset:248
	buffer_load_dword v127, off, s[0:3], 0 offset:128
	buffer_load_dword v128, off, s[0:3], 0 offset:132
	v_mov_b32_e32 v66, 0
	ds_read2_b64 v[67:70], v66 offset0:49 offset1:50
	ds_read2_b64 v[71:74], v66 offset0:51 offset1:52
	;; [unrolled: 1-line block ×7, first 2 shown]
	ds_read_b64 v[95:96], v66 offset:504
	v_cmp_lt_u32_e32 vcc, 15, v0
	s_waitcnt vmcnt(31) lgkmcnt(7)
	v_mul_f32_e32 v129, v67, v97
	v_mul_f32_e32 v97, v68, v97
	s_waitcnt vmcnt(30)
	v_mul_f32_e32 v130, v69, v98
	v_mul_f32_e32 v98, v70, v98
	s_waitcnt vmcnt(29) lgkmcnt(6)
	v_mul_f32_e32 v131, v71, v99
	v_mul_f32_e32 v99, v72, v99
	s_waitcnt vmcnt(28)
	v_mul_f32_e32 v132, v73, v100
	s_waitcnt vmcnt(27) lgkmcnt(5)
	v_mul_f32_e32 v133, v75, v101
	s_waitcnt vmcnt(26)
	v_mul_f32_e32 v134, v77, v102
	s_waitcnt vmcnt(25) lgkmcnt(4)
	;; [unrolled: 4-line block ×4, first 2 shown]
	v_mul_f32_e32 v139, v87, v107
	s_waitcnt vmcnt(20)
	v_mul_f32_e32 v140, v89, v108
	s_waitcnt vmcnt(16)
	v_fma_f32 v67, v67, v112, -v97
	v_fmac_f32_e32 v129, v68, v112
	s_waitcnt vmcnt(15)
	v_fma_f32 v68, v69, v113, -v98
	v_add_f32_e32 v67, 0, v67
	s_waitcnt vmcnt(14)
	v_fma_f32 v69, v71, v114, -v99
	v_add_f32_e32 v67, v67, v68
	v_add_f32_e32 v67, v67, v69
	v_mul_f32_e32 v69, v74, v100
	s_waitcnt vmcnt(13)
	v_fma_f32 v69, v73, v115, -v69
	v_add_f32_e32 v67, v67, v69
	v_mul_f32_e32 v69, v76, v101
	s_waitcnt vmcnt(12)
	v_fma_f32 v69, v75, v116, -v69
	;; [unrolled: 4-line block ×5, first 2 shown]
	v_add_f32_e32 v67, v67, v69
	v_mul_f32_e32 v69, v84, v105
	v_fmac_f32_e32 v130, v70, v113
	v_add_f32_e32 v70, 0, v129
	s_waitcnt vmcnt(8)
	v_fma_f32 v69, v83, v120, -v69
	v_fmac_f32_e32 v131, v72, v114
	v_add_f32_e32 v70, v70, v130
	v_add_f32_e32 v67, v67, v69
	v_mul_f32_e32 v69, v86, v106
	v_fmac_f32_e32 v132, v74, v115
	v_add_f32_e32 v68, v70, v131
	s_waitcnt vmcnt(7)
	v_fma_f32 v69, v85, v121, -v69
	v_fmac_f32_e32 v133, v76, v116
	v_add_f32_e32 v68, v68, v132
	;; [unrolled: 8-line block ×4, first 2 shown]
	v_add_f32_e32 v67, v67, v69
	s_waitcnt lgkmcnt(1)
	v_mul_f32_e32 v69, v92, v109
	v_fmac_f32_e32 v138, v86, v121
	v_add_f32_e32 v68, v68, v137
	s_waitcnt vmcnt(4)
	v_fma_f32 v69, v91, v124, -v69
	v_fmac_f32_e32 v139, v88, v122
	v_add_f32_e32 v68, v68, v138
	v_add_f32_e32 v67, v67, v69
	v_mul_f32_e32 v69, v94, v110
	v_mul_f32_e32 v141, v91, v109
	v_fmac_f32_e32 v140, v90, v123
	v_add_f32_e32 v68, v68, v139
	s_waitcnt vmcnt(3)
	v_fma_f32 v69, v93, v125, -v69
	v_mul_f32_e32 v142, v93, v110
	v_fmac_f32_e32 v141, v92, v124
	v_add_f32_e32 v68, v68, v140
	v_add_f32_e32 v67, v67, v69
	s_waitcnt lgkmcnt(0)
	v_mul_f32_e32 v69, v96, v111
	v_mul_f32_e32 v143, v95, v111
	v_fmac_f32_e32 v142, v94, v125
	v_add_f32_e32 v68, v68, v141
	s_waitcnt vmcnt(2)
	v_fma_f32 v69, v95, v126, -v69
	v_fmac_f32_e32 v143, v96, v126
	v_add_f32_e32 v68, v68, v142
	v_add_f32_e32 v67, v67, v69
	;; [unrolled: 1-line block ×3, first 2 shown]
	s_waitcnt vmcnt(1)
	v_sub_f32_e32 v67, v127, v67
	s_waitcnt vmcnt(0)
	v_sub_f32_e32 v68, v128, v68
	buffer_store_dword v67, off, s[0:3], 0 offset:128
	buffer_store_dword v68, off, s[0:3], 0 offset:132
	s_and_saveexec_b64 s[4:5], vcc
	s_cbranch_execz .LBB31_175
; %bb.174:
	buffer_load_dword v67, off, s[0:3], 0 offset:120
	buffer_load_dword v68, off, s[0:3], 0 offset:124
	s_waitcnt vmcnt(0)
	ds_write_b64 v65, v[67:68]
	buffer_store_dword v66, off, s[0:3], 0 offset:120
	buffer_store_dword v66, off, s[0:3], 0 offset:124
.LBB31_175:
	s_or_b64 exec, exec, s[4:5]
	s_waitcnt lgkmcnt(0)
	; wave barrier
	buffer_load_dword v99, off, s[0:3], 0 offset:132
	buffer_load_dword v100, off, s[0:3], 0 offset:140
	;; [unrolled: 1-line block ×34, first 2 shown]
	ds_read_b128 v[67:70], v66 offset:384
	ds_read_b128 v[71:74], v66 offset:400
	;; [unrolled: 1-line block ×8, first 2 shown]
	v_cmp_lt_u32_e32 vcc, 14, v0
	s_waitcnt vmcnt(33) lgkmcnt(7)
	v_mul_f32_e32 v66, v67, v99
	v_mul_f32_e32 v99, v68, v99
	s_waitcnt vmcnt(32)
	v_mul_f32_e32 v133, v69, v100
	v_mul_f32_e32 v100, v70, v100
	s_waitcnt vmcnt(31) lgkmcnt(6)
	v_mul_f32_e32 v134, v71, v101
	s_waitcnt vmcnt(30)
	v_mul_f32_e32 v135, v73, v102
	s_waitcnt vmcnt(29) lgkmcnt(5)
	v_mul_f32_e32 v136, v75, v103
	s_waitcnt vmcnt(28)
	v_mul_f32_e32 v137, v77, v104
	s_waitcnt vmcnt(27) lgkmcnt(4)
	v_mul_f32_e32 v138, v79, v105
	s_waitcnt vmcnt(26)
	v_mul_f32_e32 v139, v81, v106
	s_waitcnt vmcnt(25) lgkmcnt(3)
	v_mul_f32_e32 v140, v83, v107
	s_waitcnt vmcnt(24)
	v_mul_f32_e32 v141, v85, v108
	s_waitcnt vmcnt(23) lgkmcnt(2)
	v_mul_f32_e32 v142, v87, v109
	s_waitcnt vmcnt(22)
	v_mul_f32_e32 v143, v89, v110
	s_waitcnt vmcnt(21) lgkmcnt(1)
	v_mul_f32_e32 v144, v91, v111
	s_waitcnt vmcnt(20)
	v_mul_f32_e32 v145, v93, v112
	s_waitcnt vmcnt(17)
	v_fma_f32 v67, v67, v115, -v99
	v_fmac_f32_e32 v66, v68, v115
	s_waitcnt vmcnt(16)
	v_fma_f32 v68, v69, v116, -v100
	v_add_f32_e32 v67, 0, v67
	v_add_f32_e32 v67, v67, v68
	v_mul_f32_e32 v68, v72, v101
	s_waitcnt vmcnt(15)
	v_fma_f32 v68, v71, v117, -v68
	v_add_f32_e32 v67, v67, v68
	v_mul_f32_e32 v68, v74, v102
	s_waitcnt vmcnt(14)
	v_fma_f32 v68, v73, v118, -v68
	;; [unrolled: 4-line block ×7, first 2 shown]
	v_fmac_f32_e32 v133, v70, v116
	v_add_f32_e32 v66, 0, v66
	v_add_f32_e32 v67, v67, v68
	v_mul_f32_e32 v68, v86, v108
	v_fmac_f32_e32 v134, v72, v117
	v_add_f32_e32 v66, v66, v133
	s_waitcnt vmcnt(8)
	v_fma_f32 v68, v85, v124, -v68
	v_fmac_f32_e32 v135, v74, v118
	v_add_f32_e32 v66, v66, v134
	v_add_f32_e32 v67, v67, v68
	v_mul_f32_e32 v68, v88, v109
	v_fmac_f32_e32 v136, v76, v119
	v_add_f32_e32 v66, v66, v135
	s_waitcnt vmcnt(7)
	v_fma_f32 v68, v87, v125, -v68
	;; [unrolled: 8-line block ×5, first 2 shown]
	v_fmac_f32_e32 v143, v90, v126
	v_add_f32_e32 v66, v66, v142
	v_add_f32_e32 v67, v67, v68
	s_waitcnt lgkmcnt(0)
	v_mul_f32_e32 v68, v96, v113
	v_fmac_f32_e32 v144, v92, v127
	v_add_f32_e32 v66, v66, v143
	s_waitcnt vmcnt(3)
	v_fma_f32 v68, v95, v129, -v68
	v_mul_f32_e32 v146, v95, v113
	v_fmac_f32_e32 v145, v94, v128
	v_add_f32_e32 v66, v66, v144
	v_add_f32_e32 v67, v67, v68
	v_mul_f32_e32 v68, v98, v114
	v_mul_f32_e32 v147, v97, v114
	v_fmac_f32_e32 v146, v96, v129
	v_add_f32_e32 v66, v66, v145
	s_waitcnt vmcnt(2)
	v_fma_f32 v68, v97, v130, -v68
	v_fmac_f32_e32 v147, v98, v130
	v_add_f32_e32 v66, v66, v146
	v_add_f32_e32 v67, v67, v68
	;; [unrolled: 1-line block ×3, first 2 shown]
	s_waitcnt vmcnt(1)
	v_sub_f32_e32 v67, v131, v67
	s_waitcnt vmcnt(0)
	v_sub_f32_e32 v66, v132, v66
	buffer_store_dword v67, off, s[0:3], 0 offset:120
	buffer_store_dword v66, off, s[0:3], 0 offset:124
	s_and_saveexec_b64 s[4:5], vcc
	s_cbranch_execz .LBB31_177
; %bb.176:
	buffer_load_dword v66, off, s[0:3], 0 offset:112
	buffer_load_dword v67, off, s[0:3], 0 offset:116
	v_mov_b32_e32 v68, 0
	buffer_store_dword v68, off, s[0:3], 0 offset:112
	buffer_store_dword v68, off, s[0:3], 0 offset:116
	s_waitcnt vmcnt(2)
	ds_write_b64 v65, v[66:67]
.LBB31_177:
	s_or_b64 exec, exec, s[4:5]
	s_waitcnt lgkmcnt(0)
	; wave barrier
	buffer_load_dword v101, off, s[0:3], 0 offset:124
	buffer_load_dword v102, off, s[0:3], 0 offset:132
	;; [unrolled: 1-line block ×36, first 2 shown]
	v_mov_b32_e32 v66, 0
	ds_read2_b64 v[67:70], v66 offset0:47 offset1:48
	ds_read2_b64 v[71:74], v66 offset0:49 offset1:50
	;; [unrolled: 1-line block ×8, first 2 shown]
	ds_read_b64 v[99:100], v66 offset:504
	v_cmp_lt_u32_e32 vcc, 13, v0
	s_waitcnt vmcnt(35) lgkmcnt(8)
	v_mul_f32_e32 v137, v67, v101
	s_waitcnt vmcnt(34)
	v_mul_f32_e32 v138, v69, v102
	s_waitcnt vmcnt(33) lgkmcnt(7)
	v_mul_f32_e32 v139, v71, v103
	s_waitcnt vmcnt(32)
	v_mul_f32_e32 v140, v73, v104
	;; [unrolled: 4-line block ×8, first 2 shown]
	s_waitcnt vmcnt(19) lgkmcnt(0)
	v_mul_f32_e32 v153, v99, v117
	s_waitcnt vmcnt(18)
	v_fmac_f32_e32 v137, v68, v118
	v_mul_f32_e32 v68, v68, v101
	v_fma_f32 v67, v67, v118, -v68
	v_mul_f32_e32 v68, v70, v102
	v_add_f32_e32 v67, 0, v67
	s_waitcnt vmcnt(17)
	v_fma_f32 v68, v69, v119, -v68
	v_add_f32_e32 v67, v67, v68
	v_mul_f32_e32 v68, v72, v103
	s_waitcnt vmcnt(16)
	v_fma_f32 v68, v71, v120, -v68
	v_add_f32_e32 v67, v67, v68
	v_mul_f32_e32 v68, v74, v104
	;; [unrolled: 4-line block ×8, first 2 shown]
	v_fmac_f32_e32 v138, v70, v119
	v_add_f32_e32 v137, 0, v137
	s_waitcnt vmcnt(9)
	v_fma_f32 v68, v85, v127, -v68
	v_fmac_f32_e32 v139, v72, v120
	v_add_f32_e32 v137, v137, v138
	v_add_f32_e32 v67, v67, v68
	v_mul_f32_e32 v68, v88, v111
	v_fmac_f32_e32 v140, v74, v121
	v_add_f32_e32 v137, v137, v139
	s_waitcnt vmcnt(8)
	v_fma_f32 v68, v87, v128, -v68
	v_fmac_f32_e32 v141, v76, v122
	v_add_f32_e32 v137, v137, v140
	v_add_f32_e32 v67, v67, v68
	v_mul_f32_e32 v68, v90, v112
	;; [unrolled: 8-line block ×7, first 2 shown]
	v_fmac_f32_e32 v152, v98, v133
	v_add_f32_e32 v137, v137, v151
	s_waitcnt vmcnt(2)
	v_fma_f32 v68, v99, v134, -v68
	v_fmac_f32_e32 v153, v100, v134
	v_add_f32_e32 v137, v137, v152
	v_add_f32_e32 v67, v67, v68
	;; [unrolled: 1-line block ×3, first 2 shown]
	s_waitcnt vmcnt(1)
	v_sub_f32_e32 v67, v135, v67
	s_waitcnt vmcnt(0)
	v_sub_f32_e32 v68, v136, v137
	buffer_store_dword v67, off, s[0:3], 0 offset:112
	buffer_store_dword v68, off, s[0:3], 0 offset:116
	s_and_saveexec_b64 s[4:5], vcc
	s_cbranch_execz .LBB31_179
; %bb.178:
	buffer_load_dword v67, off, s[0:3], 0 offset:104
	buffer_load_dword v68, off, s[0:3], 0 offset:108
	s_waitcnt vmcnt(0)
	ds_write_b64 v65, v[67:68]
	buffer_store_dword v66, off, s[0:3], 0 offset:104
	buffer_store_dword v66, off, s[0:3], 0 offset:108
.LBB31_179:
	s_or_b64 exec, exec, s[4:5]
	s_waitcnt lgkmcnt(0)
	; wave barrier
	buffer_load_dword v103, off, s[0:3], 0 offset:116
	buffer_load_dword v104, off, s[0:3], 0 offset:124
	;; [unrolled: 1-line block ×38, first 2 shown]
	ds_read_b128 v[67:70], v66 offset:368
	ds_read_b128 v[71:74], v66 offset:384
	;; [unrolled: 1-line block ×9, first 2 shown]
	v_cmp_lt_u32_e32 vcc, 12, v0
	s_waitcnt vmcnt(37) lgkmcnt(8)
	v_mul_f32_e32 v66, v67, v103
	s_waitcnt vmcnt(36)
	v_mul_f32_e32 v141, v69, v104
	s_waitcnt vmcnt(35) lgkmcnt(7)
	v_mul_f32_e32 v142, v71, v105
	s_waitcnt vmcnt(34)
	v_mul_f32_e32 v143, v73, v106
	;; [unrolled: 4-line block ×8, first 2 shown]
	s_waitcnt vmcnt(21) lgkmcnt(0)
	v_mul_f32_e32 v156, v99, v119
	s_waitcnt vmcnt(20)
	v_fmac_f32_e32 v66, v68, v120
	v_mul_f32_e32 v68, v68, v103
	v_fma_f32 v67, v67, v120, -v68
	v_mul_f32_e32 v68, v70, v104
	v_add_f32_e32 v67, 0, v67
	s_waitcnt vmcnt(19)
	v_fma_f32 v68, v69, v121, -v68
	v_add_f32_e32 v67, v67, v68
	v_mul_f32_e32 v68, v72, v105
	s_waitcnt vmcnt(18)
	v_fma_f32 v68, v71, v122, -v68
	v_add_f32_e32 v67, v67, v68
	v_mul_f32_e32 v68, v74, v106
	;; [unrolled: 4-line block ×8, first 2 shown]
	s_waitcnt vmcnt(11)
	v_fma_f32 v68, v85, v129, -v68
	v_fmac_f32_e32 v141, v70, v121
	v_add_f32_e32 v66, 0, v66
	v_add_f32_e32 v67, v67, v68
	v_mul_f32_e32 v68, v88, v113
	v_fmac_f32_e32 v142, v72, v122
	v_add_f32_e32 v66, v66, v141
	s_waitcnt vmcnt(10)
	v_fma_f32 v68, v87, v130, -v68
	v_fmac_f32_e32 v143, v74, v123
	v_add_f32_e32 v66, v66, v142
	v_add_f32_e32 v67, v67, v68
	v_mul_f32_e32 v68, v90, v114
	v_fmac_f32_e32 v144, v76, v124
	v_add_f32_e32 v66, v66, v143
	;; [unrolled: 8-line block ×7, first 2 shown]
	s_waitcnt vmcnt(4)
	v_fma_f32 v68, v99, v136, -v68
	v_fmac_f32_e32 v155, v98, v135
	v_add_f32_e32 v66, v66, v154
	v_add_f32_e32 v67, v67, v68
	s_waitcnt vmcnt(3)
	v_mul_f32_e32 v68, v102, v137
	v_add_f32_e32 v66, v66, v155
	v_fmac_f32_e32 v156, v100, v136
	v_mul_f32_e32 v141, v101, v137
	s_waitcnt vmcnt(2)
	v_fma_f32 v68, v101, v138, -v68
	v_add_f32_e32 v66, v66, v156
	v_fmac_f32_e32 v141, v102, v138
	v_add_f32_e32 v67, v67, v68
	v_add_f32_e32 v66, v66, v141
	s_waitcnt vmcnt(1)
	v_sub_f32_e32 v67, v139, v67
	s_waitcnt vmcnt(0)
	v_sub_f32_e32 v66, v140, v66
	buffer_store_dword v67, off, s[0:3], 0 offset:104
	buffer_store_dword v66, off, s[0:3], 0 offset:108
	s_and_saveexec_b64 s[4:5], vcc
	s_cbranch_execz .LBB31_181
; %bb.180:
	buffer_load_dword v66, off, s[0:3], 0 offset:96
	buffer_load_dword v67, off, s[0:3], 0 offset:100
	v_mov_b32_e32 v68, 0
	buffer_store_dword v68, off, s[0:3], 0 offset:96
	buffer_store_dword v68, off, s[0:3], 0 offset:100
	s_waitcnt vmcnt(2)
	ds_write_b64 v65, v[66:67]
.LBB31_181:
	s_or_b64 exec, exec, s[4:5]
	s_waitcnt lgkmcnt(0)
	; wave barrier
	buffer_load_dword v105, off, s[0:3], 0 offset:108
	buffer_load_dword v106, off, s[0:3], 0 offset:116
	;; [unrolled: 1-line block ×40, first 2 shown]
	v_mov_b32_e32 v66, 0
	ds_read2_b64 v[67:70], v66 offset0:45 offset1:46
	ds_read2_b64 v[71:74], v66 offset0:47 offset1:48
	;; [unrolled: 1-line block ×9, first 2 shown]
	v_cmp_lt_u32_e32 vcc, 11, v0
	s_waitcnt vmcnt(39) lgkmcnt(8)
	v_mul_f32_e32 v103, v67, v105
	s_waitcnt vmcnt(38)
	v_mul_f32_e32 v104, v69, v106
	s_waitcnt vmcnt(37) lgkmcnt(7)
	v_mul_f32_e32 v145, v71, v107
	s_waitcnt vmcnt(36)
	v_mul_f32_e32 v146, v73, v108
	;; [unrolled: 4-line block ×7, first 2 shown]
	s_waitcnt vmcnt(25) lgkmcnt(1)
	v_mul_f32_e32 v157, v95, v119
	s_waitcnt vmcnt(24)
	v_fmac_f32_e32 v103, v68, v120
	v_mul_f32_e32 v68, v68, v105
	v_fma_f32 v67, v67, v120, -v68
	v_mul_f32_e32 v68, v70, v106
	v_add_f32_e32 v67, 0, v67
	s_waitcnt vmcnt(23)
	v_fma_f32 v68, v69, v121, -v68
	v_add_f32_e32 v67, v67, v68
	v_mul_f32_e32 v68, v72, v107
	s_waitcnt vmcnt(22)
	v_fma_f32 v68, v71, v122, -v68
	v_add_f32_e32 v67, v67, v68
	v_mul_f32_e32 v68, v74, v108
	;; [unrolled: 4-line block ×6, first 2 shown]
	s_waitcnt vmcnt(17)
	v_fma_f32 v68, v81, v127, -v68
	v_fmac_f32_e32 v104, v70, v121
	v_add_f32_e32 v103, 0, v103
	v_add_f32_e32 v67, v67, v68
	v_mul_f32_e32 v68, v84, v113
	v_fmac_f32_e32 v145, v72, v122
	v_add_f32_e32 v103, v103, v104
	s_waitcnt vmcnt(16)
	v_fma_f32 v68, v83, v128, -v68
	v_fmac_f32_e32 v146, v74, v123
	v_add_f32_e32 v103, v103, v145
	v_add_f32_e32 v67, v67, v68
	v_mul_f32_e32 v68, v86, v114
	v_fmac_f32_e32 v147, v76, v124
	v_add_f32_e32 v103, v103, v146
	;; [unrolled: 8-line block ×6, first 2 shown]
	s_waitcnt vmcnt(11)
	v_fma_f32 v68, v93, v133, -v68
	v_fmac_f32_e32 v156, v94, v133
	v_add_f32_e32 v103, v103, v155
	v_add_f32_e32 v67, v67, v68
	v_mul_f32_e32 v68, v96, v119
	s_waitcnt vmcnt(10)
	v_fmac_f32_e32 v157, v96, v134
	v_add_f32_e32 v103, v103, v156
	s_waitcnt vmcnt(9)
	v_mul_f32_e32 v104, v97, v135
	v_fma_f32 v68, v95, v134, -v68
	v_add_f32_e32 v103, v103, v157
	s_waitcnt vmcnt(8)
	v_fmac_f32_e32 v104, v98, v136
	v_add_f32_e32 v67, v67, v68
	v_mul_f32_e32 v68, v98, v135
	v_add_f32_e32 v145, v103, v104
	ds_read_b64 v[103:104], v66 offset:504
	v_fma_f32 v68, v97, v136, -v68
	v_add_f32_e32 v67, v67, v68
	s_waitcnt vmcnt(7) lgkmcnt(1)
	v_mul_f32_e32 v68, v100, v137
	v_mul_f32_e32 v146, v99, v137
	s_waitcnt vmcnt(6)
	v_fma_f32 v68, v99, v138, -v68
	v_fmac_f32_e32 v146, v100, v138
	v_add_f32_e32 v67, v67, v68
	s_waitcnt vmcnt(5)
	v_mul_f32_e32 v68, v102, v139
	v_add_f32_e32 v145, v145, v146
	v_mul_f32_e32 v146, v101, v139
	s_waitcnt vmcnt(4)
	v_fma_f32 v68, v101, v140, -v68
	v_fmac_f32_e32 v146, v102, v140
	v_add_f32_e32 v67, v67, v68
	s_waitcnt vmcnt(3) lgkmcnt(0)
	v_mul_f32_e32 v68, v104, v141
	v_add_f32_e32 v145, v145, v146
	v_mul_f32_e32 v146, v103, v141
	s_waitcnt vmcnt(2)
	v_fma_f32 v68, v103, v142, -v68
	v_fmac_f32_e32 v146, v104, v142
	v_add_f32_e32 v67, v67, v68
	v_add_f32_e32 v145, v145, v146
	s_waitcnt vmcnt(1)
	v_sub_f32_e32 v67, v143, v67
	s_waitcnt vmcnt(0)
	v_sub_f32_e32 v68, v144, v145
	buffer_store_dword v67, off, s[0:3], 0 offset:96
	buffer_store_dword v68, off, s[0:3], 0 offset:100
	s_and_saveexec_b64 s[4:5], vcc
	s_cbranch_execz .LBB31_183
; %bb.182:
	buffer_load_dword v67, off, s[0:3], 0 offset:88
	buffer_load_dword v68, off, s[0:3], 0 offset:92
	s_waitcnt vmcnt(0)
	ds_write_b64 v65, v[67:68]
	buffer_store_dword v66, off, s[0:3], 0 offset:88
	buffer_store_dword v66, off, s[0:3], 0 offset:92
.LBB31_183:
	s_or_b64 exec, exec, s[4:5]
	s_waitcnt lgkmcnt(0)
	; wave barrier
	buffer_load_dword v107, off, s[0:3], 0 offset:100
	buffer_load_dword v108, off, s[0:3], 0 offset:108
	;; [unrolled: 1-line block ×42, first 2 shown]
	ds_read_b128 v[67:70], v66 offset:352
	ds_read_b128 v[71:74], v66 offset:368
	;; [unrolled: 1-line block ×8, first 2 shown]
	v_cmp_lt_u32_e32 vcc, 10, v0
	s_waitcnt vmcnt(41) lgkmcnt(7)
	v_mul_f32_e32 v99, v67, v107
	s_waitcnt vmcnt(40)
	v_mul_f32_e32 v100, v69, v108
	s_waitcnt vmcnt(39) lgkmcnt(6)
	v_mul_f32_e32 v101, v71, v109
	s_waitcnt vmcnt(38)
	v_mul_f32_e32 v102, v73, v110
	;; [unrolled: 4-line block ×7, first 2 shown]
	s_waitcnt vmcnt(27) lgkmcnt(0)
	v_mul_f32_e32 v155, v95, v121
	s_waitcnt vmcnt(26)
	v_fmac_f32_e32 v99, v68, v122
	v_mul_f32_e32 v68, v68, v107
	v_fma_f32 v67, v67, v122, -v68
	v_mul_f32_e32 v68, v70, v108
	v_add_f32_e32 v67, 0, v67
	s_waitcnt vmcnt(25)
	v_fma_f32 v68, v69, v123, -v68
	v_add_f32_e32 v67, v67, v68
	v_mul_f32_e32 v68, v72, v109
	s_waitcnt vmcnt(24)
	v_fma_f32 v68, v71, v124, -v68
	v_add_f32_e32 v67, v67, v68
	v_mul_f32_e32 v68, v74, v110
	;; [unrolled: 4-line block ×5, first 2 shown]
	v_fmac_f32_e32 v100, v70, v123
	v_add_f32_e32 v99, 0, v99
	s_waitcnt vmcnt(20)
	v_fma_f32 v68, v79, v128, -v68
	v_fmac_f32_e32 v101, v72, v124
	v_add_f32_e32 v99, v99, v100
	v_add_f32_e32 v67, v67, v68
	v_mul_f32_e32 v68, v82, v114
	v_fmac_f32_e32 v102, v74, v125
	v_add_f32_e32 v99, v99, v101
	s_waitcnt vmcnt(19)
	v_fma_f32 v68, v81, v129, -v68
	v_fmac_f32_e32 v103, v76, v126
	v_add_f32_e32 v99, v99, v102
	v_add_f32_e32 v67, v67, v68
	v_mul_f32_e32 v68, v84, v115
	;; [unrolled: 8-line block ×5, first 2 shown]
	s_waitcnt vmcnt(15)
	v_fmac_f32_e32 v152, v90, v133
	v_add_f32_e32 v99, v99, v151
	v_fma_f32 v68, v89, v133, -v68
	s_waitcnt vmcnt(14)
	v_fmac_f32_e32 v153, v92, v134
	v_add_f32_e32 v99, v99, v152
	v_add_f32_e32 v67, v67, v68
	v_mul_f32_e32 v68, v92, v119
	s_waitcnt vmcnt(13)
	v_fmac_f32_e32 v154, v94, v135
	v_add_f32_e32 v99, v99, v153
	v_fma_f32 v68, v91, v134, -v68
	s_waitcnt vmcnt(12)
	v_fmac_f32_e32 v155, v96, v136
	v_add_f32_e32 v99, v99, v154
	v_add_f32_e32 v67, v67, v68
	v_mul_f32_e32 v68, v94, v120
	v_add_f32_e32 v103, v99, v155
	ds_read_b128 v[99:102], v66 offset:480
	v_fma_f32 v68, v93, v135, -v68
	v_add_f32_e32 v67, v67, v68
	v_mul_f32_e32 v68, v96, v121
	s_waitcnt vmcnt(11)
	v_mul_f32_e32 v104, v97, v137
	v_fma_f32 v68, v95, v136, -v68
	s_waitcnt vmcnt(10)
	v_fmac_f32_e32 v104, v98, v138
	v_add_f32_e32 v67, v67, v68
	v_mul_f32_e32 v68, v98, v137
	v_add_f32_e32 v149, v103, v104
	ds_read_b128 v[103:106], v66 offset:496
	v_fma_f32 v68, v97, v138, -v68
	v_add_f32_e32 v67, v67, v68
	s_waitcnt vmcnt(9) lgkmcnt(1)
	v_mul_f32_e32 v68, v100, v139
	v_mul_f32_e32 v66, v99, v139
	s_waitcnt vmcnt(8)
	v_fma_f32 v68, v99, v140, -v68
	v_fmac_f32_e32 v66, v100, v140
	v_add_f32_e32 v67, v67, v68
	s_waitcnt vmcnt(7)
	v_mul_f32_e32 v68, v102, v141
	v_add_f32_e32 v66, v149, v66
	v_mul_f32_e32 v149, v101, v141
	s_waitcnt vmcnt(6)
	v_fma_f32 v68, v101, v142, -v68
	v_fmac_f32_e32 v149, v102, v142
	v_add_f32_e32 v67, v67, v68
	s_waitcnt vmcnt(5) lgkmcnt(0)
	v_mul_f32_e32 v68, v104, v143
	v_add_f32_e32 v66, v66, v149
	v_mul_f32_e32 v149, v103, v143
	s_waitcnt vmcnt(4)
	v_fma_f32 v68, v103, v144, -v68
	v_fmac_f32_e32 v149, v104, v144
	v_add_f32_e32 v67, v67, v68
	s_waitcnt vmcnt(3)
	v_mul_f32_e32 v68, v106, v145
	v_add_f32_e32 v66, v66, v149
	v_mul_f32_e32 v149, v105, v145
	s_waitcnt vmcnt(2)
	v_fma_f32 v68, v105, v146, -v68
	v_fmac_f32_e32 v149, v106, v146
	v_add_f32_e32 v67, v67, v68
	v_add_f32_e32 v66, v66, v149
	s_waitcnt vmcnt(1)
	v_sub_f32_e32 v67, v147, v67
	s_waitcnt vmcnt(0)
	v_sub_f32_e32 v66, v148, v66
	buffer_store_dword v67, off, s[0:3], 0 offset:88
	buffer_store_dword v66, off, s[0:3], 0 offset:92
	s_and_saveexec_b64 s[4:5], vcc
	s_cbranch_execz .LBB31_185
; %bb.184:
	buffer_load_dword v66, off, s[0:3], 0 offset:80
	buffer_load_dword v67, off, s[0:3], 0 offset:84
	v_mov_b32_e32 v68, 0
	buffer_store_dword v68, off, s[0:3], 0 offset:80
	buffer_store_dword v68, off, s[0:3], 0 offset:84
	s_waitcnt vmcnt(2)
	ds_write_b64 v65, v[66:67]
.LBB31_185:
	s_or_b64 exec, exec, s[4:5]
	s_waitcnt lgkmcnt(0)
	; wave barrier
	buffer_load_dword v109, off, s[0:3], 0 offset:92
	buffer_load_dword v110, off, s[0:3], 0 offset:100
	;; [unrolled: 1-line block ×44, first 2 shown]
	v_mov_b32_e32 v66, 0
	ds_read2_b64 v[67:70], v66 offset0:43 offset1:44
	ds_read2_b64 v[71:74], v66 offset0:45 offset1:46
	;; [unrolled: 1-line block ×8, first 2 shown]
	v_cmp_lt_u32_e32 vcc, 9, v0
	s_waitcnt vmcnt(43) lgkmcnt(7)
	v_mul_f32_e32 v99, v67, v109
	s_waitcnt vmcnt(42)
	v_mul_f32_e32 v100, v69, v110
	s_waitcnt vmcnt(41) lgkmcnt(6)
	v_mul_f32_e32 v101, v71, v111
	s_waitcnt vmcnt(40)
	v_mul_f32_e32 v102, v73, v112
	;; [unrolled: 4-line block ×7, first 2 shown]
	s_waitcnt vmcnt(29)
	v_fmac_f32_e32 v99, v68, v123
	v_mul_f32_e32 v68, v68, v109
	v_fma_f32 v67, v67, v123, -v68
	v_mul_f32_e32 v68, v70, v110
	v_add_f32_e32 v67, 0, v67
	s_waitcnt vmcnt(28)
	v_fma_f32 v68, v69, v124, -v68
	v_add_f32_e32 v67, v67, v68
	v_mul_f32_e32 v68, v72, v111
	s_waitcnt vmcnt(27)
	v_fma_f32 v68, v71, v125, -v68
	v_add_f32_e32 v67, v67, v68
	v_mul_f32_e32 v68, v74, v112
	s_waitcnt vmcnt(26)
	v_fma_f32 v68, v73, v126, -v68
	v_add_f32_e32 v67, v67, v68
	v_mul_f32_e32 v68, v76, v113
	s_waitcnt vmcnt(25)
	v_fma_f32 v68, v75, v127, -v68
	v_add_f32_e32 v67, v67, v68
	v_mul_f32_e32 v68, v78, v114
	s_waitcnt vmcnt(24)
	v_fma_f32 v68, v77, v128, -v68
	v_fmac_f32_e32 v100, v70, v124
	v_add_f32_e32 v99, 0, v99
	v_add_f32_e32 v67, v67, v68
	v_mul_f32_e32 v68, v80, v115
	v_fmac_f32_e32 v101, v72, v125
	v_add_f32_e32 v99, v99, v100
	s_waitcnt vmcnt(23)
	v_fma_f32 v68, v79, v129, -v68
	v_fmac_f32_e32 v102, v74, v126
	v_add_f32_e32 v99, v99, v101
	v_add_f32_e32 v67, v67, v68
	v_mul_f32_e32 v68, v82, v116
	v_fmac_f32_e32 v103, v76, v127
	v_add_f32_e32 v99, v99, v102
	s_waitcnt vmcnt(22)
	v_fma_f32 v68, v81, v130, -v68
	v_fmac_f32_e32 v104, v78, v128
	v_add_f32_e32 v99, v99, v103
	v_add_f32_e32 v67, v67, v68
	v_mul_f32_e32 v68, v84, v117
	v_fmac_f32_e32 v105, v80, v129
	v_add_f32_e32 v99, v99, v104
	s_waitcnt vmcnt(21)
	v_fma_f32 v68, v83, v131, -v68
	v_fmac_f32_e32 v106, v82, v130
	v_add_f32_e32 v99, v99, v105
	v_add_f32_e32 v67, v67, v68
	v_mul_f32_e32 v68, v86, v118
	v_fmac_f32_e32 v107, v84, v131
	v_add_f32_e32 v99, v99, v106
	s_waitcnt vmcnt(20)
	v_fma_f32 v68, v85, v132, -v68
	v_fmac_f32_e32 v108, v86, v132
	v_add_f32_e32 v99, v99, v107
	v_add_f32_e32 v67, v67, v68
	v_mul_f32_e32 v68, v88, v119
	s_waitcnt vmcnt(19)
	v_fmac_f32_e32 v153, v88, v133
	v_add_f32_e32 v99, v99, v108
	v_fma_f32 v68, v87, v133, -v68
	s_waitcnt vmcnt(18)
	v_fmac_f32_e32 v154, v90, v134
	v_add_f32_e32 v99, v99, v153
	v_add_f32_e32 v67, v67, v68
	v_mul_f32_e32 v68, v90, v120
	s_waitcnt vmcnt(17)
	v_fmac_f32_e32 v155, v92, v135
	v_add_f32_e32 v99, v99, v154
	v_fma_f32 v68, v89, v134, -v68
	v_add_f32_e32 v99, v99, v155
	s_waitcnt vmcnt(16)
	v_fmac_f32_e32 v156, v94, v136
	s_waitcnt vmcnt(15) lgkmcnt(0)
	v_mul_f32_e32 v100, v95, v137
	v_add_f32_e32 v67, v67, v68
	v_mul_f32_e32 v68, v92, v121
	v_add_f32_e32 v99, v99, v156
	s_waitcnt vmcnt(14)
	v_fmac_f32_e32 v100, v96, v138
	v_fma_f32 v68, v91, v135, -v68
	v_add_f32_e32 v103, v99, v100
	ds_read2_b64 v[99:102], v66 offset0:59 offset1:60
	v_add_f32_e32 v67, v67, v68
	v_mul_f32_e32 v68, v94, v122
	v_fma_f32 v68, v93, v136, -v68
	v_add_f32_e32 v67, v67, v68
	v_mul_f32_e32 v68, v96, v137
	s_waitcnt vmcnt(13)
	v_mul_f32_e32 v104, v97, v139
	v_fma_f32 v68, v95, v138, -v68
	s_waitcnt vmcnt(12)
	v_fmac_f32_e32 v104, v98, v140
	v_add_f32_e32 v67, v67, v68
	v_mul_f32_e32 v68, v98, v139
	v_add_f32_e32 v107, v103, v104
	ds_read2_b64 v[103:106], v66 offset0:61 offset1:62
	s_waitcnt vmcnt(11) lgkmcnt(1)
	v_mul_f32_e32 v108, v99, v141
	v_fma_f32 v68, v97, v140, -v68
	s_waitcnt vmcnt(10)
	v_fmac_f32_e32 v108, v100, v142
	v_add_f32_e32 v67, v67, v68
	v_mul_f32_e32 v68, v100, v141
	v_add_f32_e32 v107, v107, v108
	s_waitcnt vmcnt(9)
	v_mul_f32_e32 v108, v101, v143
	v_fma_f32 v68, v99, v142, -v68
	s_waitcnt vmcnt(8)
	v_fmac_f32_e32 v108, v102, v144
	v_add_f32_e32 v67, v67, v68
	v_mul_f32_e32 v68, v102, v143
	v_add_f32_e32 v153, v107, v108
	ds_read_b64 v[107:108], v66 offset:504
	v_fma_f32 v68, v101, v144, -v68
	v_add_f32_e32 v67, v67, v68
	s_waitcnt vmcnt(7) lgkmcnt(1)
	v_mul_f32_e32 v68, v104, v145
	v_mul_f32_e32 v154, v103, v145
	s_waitcnt vmcnt(6)
	v_fma_f32 v68, v103, v146, -v68
	v_fmac_f32_e32 v154, v104, v146
	v_add_f32_e32 v67, v67, v68
	s_waitcnt vmcnt(5)
	v_mul_f32_e32 v68, v106, v147
	v_add_f32_e32 v153, v153, v154
	v_mul_f32_e32 v154, v105, v147
	s_waitcnt vmcnt(4)
	v_fma_f32 v68, v105, v148, -v68
	v_fmac_f32_e32 v154, v106, v148
	v_add_f32_e32 v67, v67, v68
	s_waitcnt vmcnt(3) lgkmcnt(0)
	v_mul_f32_e32 v68, v108, v149
	v_add_f32_e32 v153, v153, v154
	v_mul_f32_e32 v154, v107, v149
	s_waitcnt vmcnt(2)
	v_fma_f32 v68, v107, v150, -v68
	v_fmac_f32_e32 v154, v108, v150
	v_add_f32_e32 v67, v67, v68
	v_add_f32_e32 v153, v153, v154
	s_waitcnt vmcnt(1)
	v_sub_f32_e32 v67, v151, v67
	s_waitcnt vmcnt(0)
	v_sub_f32_e32 v68, v152, v153
	buffer_store_dword v67, off, s[0:3], 0 offset:80
	buffer_store_dword v68, off, s[0:3], 0 offset:84
	s_and_saveexec_b64 s[4:5], vcc
	s_cbranch_execz .LBB31_187
; %bb.186:
	buffer_load_dword v67, off, s[0:3], 0 offset:72
	buffer_load_dword v68, off, s[0:3], 0 offset:76
	s_waitcnt vmcnt(0)
	ds_write_b64 v65, v[67:68]
	buffer_store_dword v66, off, s[0:3], 0 offset:72
	buffer_store_dword v66, off, s[0:3], 0 offset:76
.LBB31_187:
	s_or_b64 exec, exec, s[4:5]
	s_waitcnt lgkmcnt(0)
	; wave barrier
	buffer_load_dword v111, off, s[0:3], 0 offset:84
	buffer_load_dword v112, off, s[0:3], 0 offset:92
	;; [unrolled: 1-line block ×46, first 2 shown]
	ds_read_b128 v[67:70], v66 offset:336
	ds_read_b128 v[71:74], v66 offset:352
	;; [unrolled: 1-line block ×8, first 2 shown]
	v_cmp_lt_u32_e32 vcc, 8, v0
	s_waitcnt vmcnt(45) lgkmcnt(7)
	v_mul_f32_e32 v99, v67, v111
	s_waitcnt vmcnt(44)
	v_mul_f32_e32 v100, v69, v112
	s_waitcnt vmcnt(43) lgkmcnt(6)
	v_mul_f32_e32 v101, v71, v113
	s_waitcnt vmcnt(42)
	v_mul_f32_e32 v102, v73, v114
	;; [unrolled: 4-line block ×6, first 2 shown]
	s_waitcnt vmcnt(33) lgkmcnt(1)
	v_mul_f32_e32 v157, v91, v123
	s_waitcnt vmcnt(32)
	v_fmac_f32_e32 v99, v68, v124
	v_mul_f32_e32 v68, v68, v111
	v_fma_f32 v67, v67, v124, -v68
	v_mul_f32_e32 v68, v70, v112
	v_add_f32_e32 v67, 0, v67
	s_waitcnt vmcnt(31)
	v_fma_f32 v68, v69, v125, -v68
	v_add_f32_e32 v67, v67, v68
	v_mul_f32_e32 v68, v72, v113
	s_waitcnt vmcnt(30)
	v_fma_f32 v68, v71, v126, -v68
	v_add_f32_e32 v67, v67, v68
	v_mul_f32_e32 v68, v74, v114
	;; [unrolled: 4-line block ×4, first 2 shown]
	v_fmac_f32_e32 v100, v70, v125
	v_add_f32_e32 v99, 0, v99
	s_waitcnt vmcnt(27)
	v_fma_f32 v68, v77, v129, -v68
	v_fmac_f32_e32 v101, v72, v126
	v_add_f32_e32 v99, v99, v100
	v_add_f32_e32 v67, v67, v68
	v_mul_f32_e32 v68, v80, v117
	v_fmac_f32_e32 v102, v74, v127
	v_add_f32_e32 v99, v99, v101
	s_waitcnt vmcnt(26)
	v_fma_f32 v68, v79, v130, -v68
	v_fmac_f32_e32 v103, v76, v128
	v_add_f32_e32 v99, v99, v102
	v_add_f32_e32 v67, v67, v68
	v_mul_f32_e32 v68, v82, v118
	;; [unrolled: 8-line block ×4, first 2 shown]
	s_waitcnt vmcnt(23)
	v_fmac_f32_e32 v108, v86, v133
	v_add_f32_e32 v99, v99, v107
	v_fma_f32 v68, v85, v133, -v68
	s_waitcnt vmcnt(22)
	v_fmac_f32_e32 v109, v88, v134
	v_add_f32_e32 v99, v99, v108
	v_add_f32_e32 v67, v67, v68
	v_mul_f32_e32 v68, v88, v121
	s_waitcnt vmcnt(21)
	v_fmac_f32_e32 v110, v90, v135
	v_add_f32_e32 v99, v99, v109
	v_fma_f32 v68, v87, v134, -v68
	s_waitcnt vmcnt(20)
	v_fmac_f32_e32 v157, v92, v136
	v_add_f32_e32 v99, v99, v110
	s_waitcnt vmcnt(19)
	v_mul_f32_e32 v100, v93, v137
	v_add_f32_e32 v67, v67, v68
	v_mul_f32_e32 v68, v90, v122
	v_add_f32_e32 v99, v99, v157
	s_waitcnt vmcnt(18)
	v_fmac_f32_e32 v100, v94, v138
	v_fma_f32 v68, v89, v135, -v68
	v_add_f32_e32 v99, v99, v100
	s_waitcnt vmcnt(17) lgkmcnt(0)
	v_mul_f32_e32 v100, v95, v139
	v_add_f32_e32 v67, v67, v68
	v_mul_f32_e32 v68, v92, v123
	s_waitcnt vmcnt(16)
	v_fmac_f32_e32 v100, v96, v140
	v_fma_f32 v68, v91, v136, -v68
	v_add_f32_e32 v103, v99, v100
	ds_read_b128 v[99:102], v66 offset:464
	v_add_f32_e32 v67, v67, v68
	v_mul_f32_e32 v68, v94, v137
	v_fma_f32 v68, v93, v138, -v68
	v_add_f32_e32 v67, v67, v68
	v_mul_f32_e32 v68, v96, v139
	s_waitcnt vmcnt(15)
	v_mul_f32_e32 v104, v97, v141
	v_fma_f32 v68, v95, v140, -v68
	s_waitcnt vmcnt(14)
	v_fmac_f32_e32 v104, v98, v142
	v_add_f32_e32 v67, v67, v68
	v_mul_f32_e32 v68, v98, v141
	v_add_f32_e32 v107, v103, v104
	ds_read_b128 v[103:106], v66 offset:480
	s_waitcnt vmcnt(13) lgkmcnt(1)
	v_mul_f32_e32 v108, v99, v143
	v_fma_f32 v68, v97, v142, -v68
	s_waitcnt vmcnt(12)
	v_fmac_f32_e32 v108, v100, v144
	v_add_f32_e32 v67, v67, v68
	v_mul_f32_e32 v68, v100, v143
	v_add_f32_e32 v107, v107, v108
	s_waitcnt vmcnt(11)
	v_mul_f32_e32 v108, v101, v145
	v_fma_f32 v68, v99, v144, -v68
	s_waitcnt vmcnt(10)
	v_fmac_f32_e32 v108, v102, v146
	v_add_f32_e32 v67, v67, v68
	v_mul_f32_e32 v68, v102, v145
	v_add_f32_e32 v157, v107, v108
	ds_read_b128 v[107:110], v66 offset:496
	v_fma_f32 v68, v101, v146, -v68
	v_add_f32_e32 v67, v67, v68
	s_waitcnt vmcnt(9) lgkmcnt(1)
	v_mul_f32_e32 v68, v104, v147
	v_mul_f32_e32 v158, v103, v147
	s_waitcnt vmcnt(8)
	v_fma_f32 v68, v103, v148, -v68
	v_fmac_f32_e32 v158, v104, v148
	v_add_f32_e32 v67, v67, v68
	s_waitcnt vmcnt(7)
	v_mul_f32_e32 v68, v106, v149
	v_add_f32_e32 v66, v157, v158
	v_mul_f32_e32 v157, v105, v149
	s_waitcnt vmcnt(6)
	v_fma_f32 v68, v105, v150, -v68
	v_fmac_f32_e32 v157, v106, v150
	v_add_f32_e32 v67, v67, v68
	s_waitcnt vmcnt(5) lgkmcnt(0)
	v_mul_f32_e32 v68, v108, v151
	v_add_f32_e32 v66, v66, v157
	v_mul_f32_e32 v157, v107, v151
	s_waitcnt vmcnt(4)
	v_fma_f32 v68, v107, v152, -v68
	v_fmac_f32_e32 v157, v108, v152
	v_add_f32_e32 v67, v67, v68
	s_waitcnt vmcnt(3)
	v_mul_f32_e32 v68, v110, v153
	v_add_f32_e32 v66, v66, v157
	v_mul_f32_e32 v157, v109, v153
	s_waitcnt vmcnt(2)
	v_fma_f32 v68, v109, v154, -v68
	v_fmac_f32_e32 v157, v110, v154
	v_add_f32_e32 v67, v67, v68
	v_add_f32_e32 v66, v66, v157
	s_waitcnt vmcnt(1)
	v_sub_f32_e32 v67, v155, v67
	s_waitcnt vmcnt(0)
	v_sub_f32_e32 v66, v156, v66
	buffer_store_dword v67, off, s[0:3], 0 offset:72
	buffer_store_dword v66, off, s[0:3], 0 offset:76
	s_and_saveexec_b64 s[4:5], vcc
	s_cbranch_execz .LBB31_189
; %bb.188:
	buffer_load_dword v66, off, s[0:3], 0 offset:64
	buffer_load_dword v67, off, s[0:3], 0 offset:68
	v_mov_b32_e32 v68, 0
	buffer_store_dword v68, off, s[0:3], 0 offset:64
	buffer_store_dword v68, off, s[0:3], 0 offset:68
	s_waitcnt vmcnt(2)
	ds_write_b64 v65, v[66:67]
.LBB31_189:
	s_or_b64 exec, exec, s[4:5]
	s_waitcnt lgkmcnt(0)
	; wave barrier
	buffer_load_dword v113, off, s[0:3], 0 offset:76
	buffer_load_dword v114, off, s[0:3], 0 offset:84
	;; [unrolled: 1-line block ×48, first 2 shown]
	v_mov_b32_e32 v66, 0
	ds_read2_b64 v[67:70], v66 offset0:41 offset1:42
	ds_read2_b64 v[71:74], v66 offset0:43 offset1:44
	;; [unrolled: 1-line block ×7, first 2 shown]
	v_cmp_lt_u32_e32 vcc, 7, v0
	s_waitcnt vmcnt(47) lgkmcnt(6)
	v_mul_f32_e32 v95, v67, v113
	s_waitcnt vmcnt(46)
	v_mul_f32_e32 v96, v69, v114
	s_waitcnt vmcnt(45) lgkmcnt(5)
	v_mul_f32_e32 v97, v71, v115
	s_waitcnt vmcnt(44)
	v_mul_f32_e32 v98, v73, v116
	;; [unrolled: 4-line block ×6, first 2 shown]
	s_waitcnt vmcnt(35)
	v_fmac_f32_e32 v95, v68, v125
	v_mul_f32_e32 v68, v68, v113
	v_fma_f32 v67, v67, v125, -v68
	v_mul_f32_e32 v68, v70, v114
	v_add_f32_e32 v67, 0, v67
	s_waitcnt vmcnt(34)
	v_fma_f32 v68, v69, v126, -v68
	v_add_f32_e32 v67, v67, v68
	v_mul_f32_e32 v68, v72, v115
	s_waitcnt vmcnt(33)
	v_fma_f32 v68, v71, v127, -v68
	v_fmac_f32_e32 v96, v70, v126
	v_add_f32_e32 v95, 0, v95
	v_add_f32_e32 v67, v67, v68
	v_mul_f32_e32 v68, v74, v116
	v_fmac_f32_e32 v97, v72, v127
	v_add_f32_e32 v95, v95, v96
	s_waitcnt vmcnt(32)
	v_fma_f32 v68, v73, v128, -v68
	v_fmac_f32_e32 v98, v74, v128
	v_add_f32_e32 v95, v95, v97
	v_add_f32_e32 v67, v67, v68
	v_mul_f32_e32 v68, v76, v117
	s_waitcnt vmcnt(31)
	v_fmac_f32_e32 v99, v76, v129
	v_add_f32_e32 v95, v95, v98
	v_fma_f32 v68, v75, v129, -v68
	s_waitcnt vmcnt(30)
	v_fmac_f32_e32 v100, v78, v130
	v_add_f32_e32 v95, v95, v99
	v_add_f32_e32 v67, v67, v68
	v_mul_f32_e32 v68, v78, v118
	s_waitcnt vmcnt(29)
	v_fmac_f32_e32 v101, v80, v131
	v_add_f32_e32 v95, v95, v100
	v_fma_f32 v68, v77, v130, -v68
	s_waitcnt vmcnt(28)
	;; [unrolled: 9-line block ×4, first 2 shown]
	v_fmac_f32_e32 v106, v90, v136
	v_add_f32_e32 v95, v95, v105
	v_add_f32_e32 v67, v67, v68
	v_mul_f32_e32 v68, v84, v121
	v_add_f32_e32 v99, v95, v106
	ds_read2_b64 v[95:98], v66 offset0:55 offset1:56
	v_fma_f32 v68, v83, v133, -v68
	s_waitcnt vmcnt(23) lgkmcnt(1)
	v_mul_f32_e32 v100, v91, v137
	v_add_f32_e32 v67, v67, v68
	v_mul_f32_e32 v68, v86, v122
	s_waitcnt vmcnt(22)
	v_fmac_f32_e32 v100, v92, v138
	v_fma_f32 v68, v85, v134, -v68
	v_add_f32_e32 v99, v99, v100
	s_waitcnt vmcnt(21)
	v_mul_f32_e32 v100, v93, v139
	v_add_f32_e32 v67, v67, v68
	v_mul_f32_e32 v68, v88, v123
	s_waitcnt vmcnt(20)
	v_fmac_f32_e32 v100, v94, v140
	v_fma_f32 v68, v87, v135, -v68
	v_add_f32_e32 v99, v99, v100
	s_waitcnt vmcnt(19) lgkmcnt(0)
	v_mul_f32_e32 v100, v95, v141
	v_add_f32_e32 v67, v67, v68
	v_mul_f32_e32 v68, v90, v124
	s_waitcnt vmcnt(18)
	v_fmac_f32_e32 v100, v96, v142
	v_fma_f32 v68, v89, v136, -v68
	v_add_f32_e32 v103, v99, v100
	ds_read2_b64 v[99:102], v66 offset0:57 offset1:58
	v_add_f32_e32 v67, v67, v68
	v_mul_f32_e32 v68, v92, v137
	v_fma_f32 v68, v91, v138, -v68
	s_waitcnt vmcnt(17)
	v_mul_f32_e32 v104, v97, v143
	v_add_f32_e32 v67, v67, v68
	v_mul_f32_e32 v68, v94, v139
	s_waitcnt vmcnt(16)
	v_fmac_f32_e32 v104, v98, v144
	v_fma_f32 v68, v93, v140, -v68
	v_add_f32_e32 v107, v103, v104
	ds_read2_b64 v[103:106], v66 offset0:59 offset1:60
	v_add_f32_e32 v67, v67, v68
	v_mul_f32_e32 v68, v96, v141
	s_waitcnt vmcnt(15) lgkmcnt(1)
	v_mul_f32_e32 v108, v99, v145
	v_fma_f32 v68, v95, v142, -v68
	s_waitcnt vmcnt(14)
	v_fmac_f32_e32 v108, v100, v146
	v_add_f32_e32 v67, v67, v68
	v_mul_f32_e32 v68, v98, v143
	v_add_f32_e32 v107, v107, v108
	s_waitcnt vmcnt(13)
	v_mul_f32_e32 v108, v101, v147
	v_fma_f32 v68, v97, v144, -v68
	s_waitcnt vmcnt(12)
	v_fmac_f32_e32 v108, v102, v148
	v_add_f32_e32 v67, v67, v68
	v_mul_f32_e32 v68, v100, v145
	v_add_f32_e32 v107, v107, v108
	s_waitcnt vmcnt(11) lgkmcnt(0)
	v_mul_f32_e32 v108, v103, v149
	v_fma_f32 v68, v99, v146, -v68
	s_waitcnt vmcnt(10)
	v_fmac_f32_e32 v108, v104, v150
	v_add_f32_e32 v67, v67, v68
	v_mul_f32_e32 v68, v102, v147
	v_add_f32_e32 v111, v107, v108
	ds_read2_b64 v[107:110], v66 offset0:61 offset1:62
	v_fma_f32 v68, v101, v148, -v68
	v_add_f32_e32 v67, v67, v68
	v_mul_f32_e32 v68, v104, v149
	s_waitcnt vmcnt(9)
	v_mul_f32_e32 v112, v105, v151
	v_fma_f32 v68, v103, v150, -v68
	s_waitcnt vmcnt(8)
	v_fmac_f32_e32 v112, v106, v152
	v_add_f32_e32 v67, v67, v68
	v_mul_f32_e32 v68, v106, v151
	v_add_f32_e32 v161, v111, v112
	ds_read_b64 v[111:112], v66 offset:504
	v_fma_f32 v68, v105, v152, -v68
	v_add_f32_e32 v67, v67, v68
	s_waitcnt vmcnt(6) lgkmcnt(1)
	v_mul_f32_e32 v68, v108, v154
	v_mul_f32_e32 v162, v107, v154
	v_fma_f32 v68, v107, v153, -v68
	v_fmac_f32_e32 v162, v108, v153
	v_add_f32_e32 v67, v67, v68
	s_waitcnt vmcnt(3)
	v_mul_f32_e32 v68, v110, v157
	v_add_f32_e32 v161, v161, v162
	v_mul_f32_e32 v162, v109, v157
	s_waitcnt vmcnt(2)
	v_fma_f32 v68, v109, v158, -v68
	v_fmac_f32_e32 v162, v110, v158
	v_add_f32_e32 v67, v67, v68
	s_waitcnt vmcnt(0) lgkmcnt(0)
	v_mul_f32_e32 v68, v112, v160
	v_add_f32_e32 v161, v161, v162
	v_mul_f32_e32 v162, v111, v160
	v_fma_f32 v68, v111, v159, -v68
	v_fmac_f32_e32 v162, v112, v159
	v_add_f32_e32 v67, v67, v68
	v_add_f32_e32 v161, v161, v162
	v_sub_f32_e32 v67, v155, v67
	v_sub_f32_e32 v68, v156, v161
	buffer_store_dword v67, off, s[0:3], 0 offset:64
	buffer_store_dword v68, off, s[0:3], 0 offset:68
	s_and_saveexec_b64 s[4:5], vcc
	s_cbranch_execz .LBB31_191
; %bb.190:
	buffer_load_dword v67, off, s[0:3], 0 offset:56
	buffer_load_dword v68, off, s[0:3], 0 offset:60
	s_waitcnt vmcnt(0)
	ds_write_b64 v65, v[67:68]
	buffer_store_dword v66, off, s[0:3], 0 offset:56
	buffer_store_dword v66, off, s[0:3], 0 offset:60
.LBB31_191:
	s_or_b64 exec, exec, s[4:5]
	s_waitcnt lgkmcnt(0)
	; wave barrier
	buffer_load_dword v115, off, s[0:3], 0 offset:68
	buffer_load_dword v116, off, s[0:3], 0 offset:76
	;; [unrolled: 1-line block ×48, first 2 shown]
	ds_read_b128 v[67:70], v66 offset:320
	ds_read_b128 v[71:74], v66 offset:336
	buffer_load_dword v163, off, s[0:3], 0 offset:248
	buffer_load_dword v164, off, s[0:3], 0 offset:252
	ds_read_b128 v[75:78], v66 offset:352
	ds_read_b128 v[79:82], v66 offset:368
	;; [unrolled: 1-line block ×5, first 2 shown]
	v_cmp_lt_u32_e32 vcc, 6, v0
	s_waitcnt vmcnt(49) lgkmcnt(6)
	v_mul_f32_e32 v95, v67, v115
	s_waitcnt vmcnt(48)
	v_mul_f32_e32 v96, v69, v116
	s_waitcnt vmcnt(47) lgkmcnt(5)
	v_mul_f32_e32 v97, v71, v117
	s_waitcnt vmcnt(46)
	v_mul_f32_e32 v98, v73, v118
	;; [unrolled: 4-line block ×6, first 2 shown]
	s_waitcnt vmcnt(37)
	v_fmac_f32_e32 v95, v68, v127
	v_mul_f32_e32 v68, v68, v115
	v_fma_f32 v67, v67, v127, -v68
	v_mul_f32_e32 v68, v70, v116
	v_add_f32_e32 v67, 0, v67
	s_waitcnt vmcnt(36)
	v_fma_f32 v68, v69, v128, -v68
	v_add_f32_e32 v67, v67, v68
	v_mul_f32_e32 v68, v72, v117
	s_waitcnt vmcnt(35)
	v_fma_f32 v68, v71, v129, -v68
	v_fmac_f32_e32 v96, v70, v128
	v_add_f32_e32 v95, 0, v95
	v_add_f32_e32 v67, v67, v68
	v_mul_f32_e32 v68, v74, v118
	v_fmac_f32_e32 v97, v72, v129
	v_add_f32_e32 v95, v95, v96
	s_waitcnt vmcnt(34)
	v_fma_f32 v68, v73, v130, -v68
	v_fmac_f32_e32 v98, v74, v130
	v_add_f32_e32 v95, v95, v97
	v_add_f32_e32 v67, v67, v68
	v_mul_f32_e32 v68, v76, v119
	s_waitcnt vmcnt(33)
	v_fmac_f32_e32 v99, v76, v131
	v_add_f32_e32 v95, v95, v98
	v_fma_f32 v68, v75, v131, -v68
	s_waitcnt vmcnt(32)
	v_fmac_f32_e32 v100, v78, v132
	v_add_f32_e32 v95, v95, v99
	v_add_f32_e32 v67, v67, v68
	v_mul_f32_e32 v68, v78, v120
	s_waitcnt vmcnt(31)
	v_fmac_f32_e32 v101, v80, v133
	v_add_f32_e32 v95, v95, v100
	v_fma_f32 v68, v77, v132, -v68
	s_waitcnt vmcnt(30)
	;; [unrolled: 9-line block ×3, first 2 shown]
	v_fmac_f32_e32 v104, v86, v136
	v_add_f32_e32 v95, v95, v103
	v_add_f32_e32 v67, v67, v68
	v_mul_f32_e32 v68, v82, v122
	s_waitcnt vmcnt(27)
	v_fmac_f32_e32 v105, v88, v137
	v_add_f32_e32 v95, v95, v104
	v_fma_f32 v68, v81, v134, -v68
	v_add_f32_e32 v95, v95, v105
	s_waitcnt vmcnt(26)
	v_fmac_f32_e32 v106, v90, v138
	v_add_f32_e32 v67, v67, v68
	v_mul_f32_e32 v68, v84, v123
	v_add_f32_e32 v99, v95, v106
	ds_read_b128 v[95:98], v66 offset:432
	v_fma_f32 v68, v83, v135, -v68
	s_waitcnt vmcnt(25) lgkmcnt(1)
	v_mul_f32_e32 v100, v91, v139
	v_add_f32_e32 v67, v67, v68
	v_mul_f32_e32 v68, v86, v124
	s_waitcnt vmcnt(24)
	v_fmac_f32_e32 v100, v92, v140
	v_fma_f32 v68, v85, v136, -v68
	v_add_f32_e32 v99, v99, v100
	s_waitcnt vmcnt(23)
	v_mul_f32_e32 v100, v93, v141
	v_add_f32_e32 v67, v67, v68
	v_mul_f32_e32 v68, v88, v125
	s_waitcnt vmcnt(22)
	v_fmac_f32_e32 v100, v94, v142
	v_fma_f32 v68, v87, v137, -v68
	v_add_f32_e32 v99, v99, v100
	s_waitcnt vmcnt(21) lgkmcnt(0)
	v_mul_f32_e32 v100, v95, v143
	v_add_f32_e32 v67, v67, v68
	v_mul_f32_e32 v68, v90, v126
	s_waitcnt vmcnt(20)
	v_fmac_f32_e32 v100, v96, v144
	v_fma_f32 v68, v89, v138, -v68
	v_add_f32_e32 v103, v99, v100
	ds_read_b128 v[99:102], v66 offset:448
	v_add_f32_e32 v67, v67, v68
	v_mul_f32_e32 v68, v92, v139
	v_fma_f32 v68, v91, v140, -v68
	s_waitcnt vmcnt(19)
	v_mul_f32_e32 v104, v97, v145
	v_add_f32_e32 v67, v67, v68
	v_mul_f32_e32 v68, v94, v141
	s_waitcnt vmcnt(18)
	v_fmac_f32_e32 v104, v98, v146
	v_fma_f32 v68, v93, v142, -v68
	v_add_f32_e32 v107, v103, v104
	ds_read_b128 v[103:106], v66 offset:464
	v_add_f32_e32 v67, v67, v68
	v_mul_f32_e32 v68, v96, v143
	s_waitcnt vmcnt(17) lgkmcnt(1)
	v_mul_f32_e32 v108, v99, v147
	v_fma_f32 v68, v95, v144, -v68
	s_waitcnt vmcnt(16)
	v_fmac_f32_e32 v108, v100, v148
	v_add_f32_e32 v67, v67, v68
	v_mul_f32_e32 v68, v98, v145
	v_add_f32_e32 v107, v107, v108
	s_waitcnt vmcnt(15)
	v_mul_f32_e32 v108, v101, v149
	v_fma_f32 v68, v97, v146, -v68
	s_waitcnt vmcnt(14)
	v_fmac_f32_e32 v108, v102, v150
	v_add_f32_e32 v67, v67, v68
	v_mul_f32_e32 v68, v100, v147
	v_add_f32_e32 v107, v107, v108
	s_waitcnt vmcnt(13) lgkmcnt(0)
	v_mul_f32_e32 v108, v103, v151
	v_fma_f32 v68, v99, v148, -v68
	s_waitcnt vmcnt(12)
	v_fmac_f32_e32 v108, v104, v152
	v_add_f32_e32 v67, v67, v68
	v_mul_f32_e32 v68, v102, v149
	v_add_f32_e32 v111, v107, v108
	ds_read_b128 v[107:110], v66 offset:480
	v_fma_f32 v68, v101, v150, -v68
	v_add_f32_e32 v67, v67, v68
	v_mul_f32_e32 v68, v104, v151
	s_waitcnt vmcnt(11)
	v_mul_f32_e32 v112, v105, v153
	v_fma_f32 v68, v103, v152, -v68
	s_waitcnt vmcnt(10)
	v_fmac_f32_e32 v112, v106, v154
	v_add_f32_e32 v67, v67, v68
	v_mul_f32_e32 v68, v106, v153
	v_add_f32_e32 v165, v111, v112
	ds_read_b128 v[111:114], v66 offset:496
	v_fma_f32 v68, v105, v154, -v68
	v_add_f32_e32 v67, v67, v68
	s_waitcnt vmcnt(7) lgkmcnt(1)
	v_mul_f32_e32 v68, v108, v157
	v_mul_f32_e32 v66, v107, v157
	s_waitcnt vmcnt(6)
	v_fma_f32 v68, v107, v158, -v68
	v_fmac_f32_e32 v66, v108, v158
	v_add_f32_e32 v67, v67, v68
	s_waitcnt vmcnt(4)
	v_mul_f32_e32 v68, v110, v160
	v_add_f32_e32 v66, v165, v66
	v_mul_f32_e32 v165, v109, v160
	v_fma_f32 v68, v109, v159, -v68
	v_fmac_f32_e32 v165, v110, v159
	v_add_f32_e32 v67, v67, v68
	s_waitcnt vmcnt(2) lgkmcnt(0)
	v_mul_f32_e32 v68, v112, v162
	v_add_f32_e32 v66, v66, v165
	v_mul_f32_e32 v165, v111, v162
	v_fma_f32 v68, v111, v161, -v68
	v_fmac_f32_e32 v165, v112, v161
	v_add_f32_e32 v67, v67, v68
	s_waitcnt vmcnt(0)
	v_mul_f32_e32 v68, v114, v164
	v_add_f32_e32 v66, v66, v165
	v_mul_f32_e32 v165, v113, v164
	v_fma_f32 v68, v113, v163, -v68
	v_fmac_f32_e32 v165, v114, v163
	v_add_f32_e32 v67, v67, v68
	v_add_f32_e32 v66, v66, v165
	v_sub_f32_e32 v67, v155, v67
	v_sub_f32_e32 v66, v156, v66
	buffer_store_dword v67, off, s[0:3], 0 offset:56
	buffer_store_dword v66, off, s[0:3], 0 offset:60
	s_and_saveexec_b64 s[4:5], vcc
	s_cbranch_execz .LBB31_193
; %bb.192:
	buffer_load_dword v66, off, s[0:3], 0 offset:48
	buffer_load_dword v67, off, s[0:3], 0 offset:52
	v_mov_b32_e32 v68, 0
	buffer_store_dword v68, off, s[0:3], 0 offset:48
	buffer_store_dword v68, off, s[0:3], 0 offset:52
	s_waitcnt vmcnt(2)
	ds_write_b64 v65, v[66:67]
.LBB31_193:
	s_or_b64 exec, exec, s[4:5]
	s_waitcnt lgkmcnt(0)
	; wave barrier
	buffer_load_dword v117, off, s[0:3], 0 offset:60
	buffer_load_dword v118, off, s[0:3], 0 offset:68
	;; [unrolled: 1-line block ×52, first 2 shown]
	v_mov_b32_e32 v66, 0
	ds_read2_b64 v[67:70], v66 offset0:39 offset1:40
	ds_read2_b64 v[71:74], v66 offset0:41 offset1:42
	;; [unrolled: 1-line block ×6, first 2 shown]
	v_cmp_lt_u32_e32 vcc, 5, v0
	s_waitcnt vmcnt(51) lgkmcnt(5)
	v_mul_f32_e32 v91, v67, v117
	s_waitcnt vmcnt(50)
	v_mul_f32_e32 v92, v69, v118
	s_waitcnt vmcnt(49) lgkmcnt(4)
	v_mul_f32_e32 v93, v71, v119
	s_waitcnt vmcnt(48)
	v_mul_f32_e32 v94, v73, v120
	;; [unrolled: 4-line block ×5, first 2 shown]
	s_waitcnt vmcnt(41) lgkmcnt(0)
	v_mul_f32_e32 v101, v87, v127
	s_waitcnt vmcnt(40)
	v_fmac_f32_e32 v91, v68, v128
	v_mul_f32_e32 v68, v68, v117
	s_waitcnt vmcnt(39)
	v_fmac_f32_e32 v92, v70, v129
	v_add_f32_e32 v91, 0, v91
	v_fma_f32 v67, v67, v128, -v68
	v_mul_f32_e32 v68, v70, v118
	s_waitcnt vmcnt(38)
	v_fmac_f32_e32 v93, v72, v130
	v_add_f32_e32 v91, v91, v92
	v_add_f32_e32 v67, 0, v67
	v_fma_f32 v68, v69, v129, -v68
	s_waitcnt vmcnt(37)
	v_fmac_f32_e32 v94, v74, v131
	v_add_f32_e32 v91, v91, v93
	v_add_f32_e32 v67, v67, v68
	v_mul_f32_e32 v68, v72, v119
	s_waitcnt vmcnt(36)
	v_fmac_f32_e32 v95, v76, v132
	v_add_f32_e32 v91, v91, v94
	v_fma_f32 v68, v71, v130, -v68
	s_waitcnt vmcnt(35)
	v_fmac_f32_e32 v96, v78, v133
	v_add_f32_e32 v91, v91, v95
	v_add_f32_e32 v67, v67, v68
	v_mul_f32_e32 v68, v74, v120
	s_waitcnt vmcnt(34)
	v_fmac_f32_e32 v97, v80, v134
	;; [unrolled: 9-line block ×3, first 2 shown]
	v_add_f32_e32 v91, v91, v98
	v_fma_f32 v68, v75, v132, -v68
	s_waitcnt vmcnt(31)
	v_fmac_f32_e32 v100, v86, v137
	v_add_f32_e32 v91, v91, v99
	v_add_f32_e32 v67, v67, v68
	v_mul_f32_e32 v68, v78, v122
	v_add_f32_e32 v91, v91, v100
	s_waitcnt vmcnt(30)
	v_fmac_f32_e32 v101, v88, v138
	v_fma_f32 v68, v77, v133, -v68
	v_add_f32_e32 v95, v91, v101
	ds_read2_b64 v[91:94], v66 offset0:51 offset1:52
	v_add_f32_e32 v67, v67, v68
	v_mul_f32_e32 v68, v80, v123
	v_fma_f32 v68, v79, v134, -v68
	s_waitcnt vmcnt(29)
	v_mul_f32_e32 v96, v89, v139
	v_add_f32_e32 v67, v67, v68
	v_mul_f32_e32 v68, v82, v124
	s_waitcnt vmcnt(28)
	v_fmac_f32_e32 v96, v90, v140
	v_fma_f32 v68, v81, v135, -v68
	v_add_f32_e32 v99, v95, v96
	ds_read2_b64 v[95:98], v66 offset0:53 offset1:54
	v_add_f32_e32 v67, v67, v68
	v_mul_f32_e32 v68, v84, v125
	s_waitcnt vmcnt(27) lgkmcnt(1)
	v_mul_f32_e32 v100, v91, v141
	v_fma_f32 v68, v83, v136, -v68
	s_waitcnt vmcnt(26)
	v_fmac_f32_e32 v100, v92, v142
	v_add_f32_e32 v67, v67, v68
	v_mul_f32_e32 v68, v86, v126
	v_add_f32_e32 v99, v99, v100
	s_waitcnt vmcnt(25)
	v_mul_f32_e32 v100, v93, v143
	v_fma_f32 v68, v85, v137, -v68
	s_waitcnt vmcnt(24)
	v_fmac_f32_e32 v100, v94, v144
	v_add_f32_e32 v67, v67, v68
	v_mul_f32_e32 v68, v88, v127
	v_add_f32_e32 v99, v99, v100
	s_waitcnt vmcnt(23) lgkmcnt(0)
	v_mul_f32_e32 v100, v95, v145
	v_fma_f32 v68, v87, v138, -v68
	s_waitcnt vmcnt(22)
	v_fmac_f32_e32 v100, v96, v146
	v_add_f32_e32 v67, v67, v68
	v_mul_f32_e32 v68, v90, v139
	v_add_f32_e32 v103, v99, v100
	ds_read2_b64 v[99:102], v66 offset0:55 offset1:56
	v_fma_f32 v68, v89, v140, -v68
	v_add_f32_e32 v67, v67, v68
	v_mul_f32_e32 v68, v92, v141
	s_waitcnt vmcnt(21)
	v_mul_f32_e32 v104, v97, v147
	v_fma_f32 v68, v91, v142, -v68
	s_waitcnt vmcnt(20)
	v_fmac_f32_e32 v104, v98, v148
	v_add_f32_e32 v67, v67, v68
	v_mul_f32_e32 v68, v94, v143
	v_add_f32_e32 v107, v103, v104
	ds_read2_b64 v[103:106], v66 offset0:57 offset1:58
	v_fma_f32 v68, v93, v144, -v68
	s_waitcnt vmcnt(19) lgkmcnt(1)
	v_mul_f32_e32 v108, v99, v149
	v_add_f32_e32 v67, v67, v68
	v_mul_f32_e32 v68, v96, v145
	s_waitcnt vmcnt(18)
	v_fmac_f32_e32 v108, v100, v150
	v_fma_f32 v68, v95, v146, -v68
	v_add_f32_e32 v107, v107, v108
	s_waitcnt vmcnt(17)
	v_mul_f32_e32 v108, v101, v151
	v_add_f32_e32 v67, v67, v68
	v_mul_f32_e32 v68, v98, v147
	s_waitcnt vmcnt(16)
	v_fmac_f32_e32 v108, v102, v152
	v_fma_f32 v68, v97, v148, -v68
	v_add_f32_e32 v107, v107, v108
	s_waitcnt vmcnt(14) lgkmcnt(0)
	v_mul_f32_e32 v108, v103, v154
	v_add_f32_e32 v67, v67, v68
	v_mul_f32_e32 v68, v100, v149
	v_fmac_f32_e32 v108, v104, v153
	v_fma_f32 v68, v99, v150, -v68
	v_add_f32_e32 v111, v107, v108
	ds_read2_b64 v[107:110], v66 offset0:59 offset1:60
	v_add_f32_e32 v67, v67, v68
	v_mul_f32_e32 v68, v102, v151
	v_fma_f32 v68, v101, v152, -v68
	v_add_f32_e32 v67, v67, v68
	v_mul_f32_e32 v68, v104, v154
	s_waitcnt vmcnt(11)
	v_mul_f32_e32 v112, v105, v157
	v_fma_f32 v68, v103, v153, -v68
	s_waitcnt vmcnt(10)
	v_fmac_f32_e32 v112, v106, v158
	v_add_f32_e32 v67, v67, v68
	v_mul_f32_e32 v68, v106, v157
	v_add_f32_e32 v115, v111, v112
	ds_read2_b64 v[111:114], v66 offset0:61 offset1:62
	s_waitcnt vmcnt(8) lgkmcnt(1)
	v_mul_f32_e32 v116, v107, v160
	v_fma_f32 v68, v105, v158, -v68
	v_fmac_f32_e32 v116, v108, v159
	v_add_f32_e32 v67, v67, v68
	v_mul_f32_e32 v68, v108, v160
	v_add_f32_e32 v115, v115, v116
	s_waitcnt vmcnt(6)
	v_mul_f32_e32 v116, v109, v162
	v_fma_f32 v68, v107, v159, -v68
	v_fmac_f32_e32 v116, v110, v161
	v_add_f32_e32 v67, v67, v68
	v_mul_f32_e32 v68, v110, v162
	v_add_f32_e32 v169, v115, v116
	ds_read_b64 v[115:116], v66 offset:504
	v_fma_f32 v68, v109, v161, -v68
	v_add_f32_e32 v67, v67, v68
	s_waitcnt vmcnt(4) lgkmcnt(1)
	v_mul_f32_e32 v68, v112, v164
	v_mul_f32_e32 v170, v111, v164
	v_fma_f32 v68, v111, v163, -v68
	v_fmac_f32_e32 v170, v112, v163
	v_add_f32_e32 v67, v67, v68
	s_waitcnt vmcnt(2)
	v_mul_f32_e32 v68, v114, v166
	v_add_f32_e32 v169, v169, v170
	v_mul_f32_e32 v170, v113, v166
	v_fma_f32 v68, v113, v165, -v68
	v_fmac_f32_e32 v170, v114, v165
	v_add_f32_e32 v67, v67, v68
	s_waitcnt vmcnt(0) lgkmcnt(0)
	v_mul_f32_e32 v68, v116, v168
	v_add_f32_e32 v169, v169, v170
	v_mul_f32_e32 v170, v115, v168
	v_fma_f32 v68, v115, v167, -v68
	v_fmac_f32_e32 v170, v116, v167
	v_add_f32_e32 v67, v67, v68
	v_add_f32_e32 v169, v169, v170
	v_sub_f32_e32 v67, v155, v67
	v_sub_f32_e32 v68, v156, v169
	buffer_store_dword v67, off, s[0:3], 0 offset:48
	buffer_store_dword v68, off, s[0:3], 0 offset:52
	s_and_saveexec_b64 s[4:5], vcc
	s_cbranch_execz .LBB31_195
; %bb.194:
	buffer_load_dword v67, off, s[0:3], 0 offset:40
	buffer_load_dword v68, off, s[0:3], 0 offset:44
	s_waitcnt vmcnt(0)
	ds_write_b64 v65, v[67:68]
	buffer_store_dword v66, off, s[0:3], 0 offset:40
	buffer_store_dword v66, off, s[0:3], 0 offset:44
.LBB31_195:
	s_or_b64 exec, exec, s[4:5]
	s_waitcnt lgkmcnt(0)
	; wave barrier
	buffer_load_dword v119, off, s[0:3], 0 offset:52
	buffer_load_dword v120, off, s[0:3], 0 offset:60
	;; [unrolled: 1-line block ×42, first 2 shown]
	ds_read_b128 v[67:70], v66 offset:304
	ds_read_b128 v[71:74], v66 offset:320
	;; [unrolled: 1-line block ×4, first 2 shown]
	buffer_load_dword v161, off, s[0:3], 0 offset:212
	buffer_load_dword v162, off, s[0:3], 0 offset:208
	;; [unrolled: 1-line block ×6, first 2 shown]
	ds_read_b128 v[83:86], v66 offset:368
	ds_read_b128 v[87:90], v66 offset:384
	buffer_load_dword v167, off, s[0:3], 0 offset:232
	buffer_load_dword v168, off, s[0:3], 0 offset:236
	;; [unrolled: 1-line block ×6, first 2 shown]
	v_cmp_lt_u32_e32 vcc, 4, v0
	s_waitcnt vmcnt(53) lgkmcnt(5)
	v_mul_f32_e32 v91, v67, v119
	s_waitcnt vmcnt(52)
	v_mul_f32_e32 v92, v69, v120
	s_waitcnt vmcnt(51) lgkmcnt(4)
	v_mul_f32_e32 v93, v71, v121
	s_waitcnt vmcnt(50)
	v_mul_f32_e32 v94, v73, v122
	;; [unrolled: 4-line block ×5, first 2 shown]
	s_waitcnt vmcnt(43)
	v_fmac_f32_e32 v91, v68, v129
	v_mul_f32_e32 v68, v68, v119
	s_waitcnt vmcnt(42)
	v_fmac_f32_e32 v92, v70, v130
	v_add_f32_e32 v91, 0, v91
	v_fma_f32 v67, v67, v129, -v68
	v_mul_f32_e32 v68, v70, v120
	s_waitcnt vmcnt(41)
	v_fmac_f32_e32 v93, v72, v131
	v_add_f32_e32 v91, v91, v92
	v_add_f32_e32 v67, 0, v67
	v_fma_f32 v68, v69, v130, -v68
	s_waitcnt vmcnt(40)
	v_fmac_f32_e32 v94, v74, v132
	v_add_f32_e32 v91, v91, v93
	v_add_f32_e32 v67, v67, v68
	v_mul_f32_e32 v68, v72, v121
	s_waitcnt vmcnt(39)
	v_fmac_f32_e32 v95, v76, v133
	v_add_f32_e32 v91, v91, v94
	v_fma_f32 v68, v71, v131, -v68
	s_waitcnt vmcnt(38)
	v_fmac_f32_e32 v96, v78, v134
	v_add_f32_e32 v91, v91, v95
	v_add_f32_e32 v67, v67, v68
	v_mul_f32_e32 v68, v74, v122
	s_waitcnt vmcnt(37)
	v_fmac_f32_e32 v97, v80, v135
	;; [unrolled: 9-line block ×3, first 2 shown]
	v_add_f32_e32 v91, v91, v98
	v_fma_f32 v68, v75, v133, -v68
	s_waitcnt vmcnt(34)
	v_fmac_f32_e32 v100, v86, v138
	v_add_f32_e32 v91, v91, v99
	s_waitcnt vmcnt(33) lgkmcnt(0)
	v_mul_f32_e32 v92, v87, v139
	v_add_f32_e32 v67, v67, v68
	v_mul_f32_e32 v68, v78, v124
	v_add_f32_e32 v91, v91, v100
	s_waitcnt vmcnt(32)
	v_fmac_f32_e32 v92, v88, v140
	v_fma_f32 v68, v77, v134, -v68
	v_add_f32_e32 v95, v91, v92
	ds_read_b128 v[91:94], v66 offset:400
	v_add_f32_e32 v67, v67, v68
	v_mul_f32_e32 v68, v80, v125
	v_fma_f32 v68, v79, v135, -v68
	s_waitcnt vmcnt(31)
	v_mul_f32_e32 v96, v89, v141
	v_add_f32_e32 v67, v67, v68
	v_mul_f32_e32 v68, v82, v126
	s_waitcnt vmcnt(30)
	v_fmac_f32_e32 v96, v90, v142
	v_fma_f32 v68, v81, v136, -v68
	v_add_f32_e32 v99, v95, v96
	ds_read_b128 v[95:98], v66 offset:416
	v_add_f32_e32 v67, v67, v68
	v_mul_f32_e32 v68, v84, v127
	s_waitcnt vmcnt(29) lgkmcnt(1)
	v_mul_f32_e32 v100, v91, v143
	v_fma_f32 v68, v83, v137, -v68
	s_waitcnt vmcnt(28)
	v_fmac_f32_e32 v100, v92, v144
	v_add_f32_e32 v67, v67, v68
	v_mul_f32_e32 v68, v86, v128
	v_add_f32_e32 v99, v99, v100
	s_waitcnt vmcnt(27)
	v_mul_f32_e32 v100, v93, v145
	v_fma_f32 v68, v85, v138, -v68
	s_waitcnt vmcnt(26)
	v_fmac_f32_e32 v100, v94, v146
	v_add_f32_e32 v67, v67, v68
	v_mul_f32_e32 v68, v88, v139
	v_add_f32_e32 v99, v99, v100
	s_waitcnt vmcnt(25) lgkmcnt(0)
	v_mul_f32_e32 v100, v95, v147
	v_fma_f32 v68, v87, v140, -v68
	s_waitcnt vmcnt(24)
	v_fmac_f32_e32 v100, v96, v148
	v_add_f32_e32 v67, v67, v68
	v_mul_f32_e32 v68, v90, v141
	v_add_f32_e32 v103, v99, v100
	ds_read_b128 v[99:102], v66 offset:432
	v_fma_f32 v68, v89, v142, -v68
	v_add_f32_e32 v67, v67, v68
	v_mul_f32_e32 v68, v92, v143
	s_waitcnt vmcnt(23)
	v_mul_f32_e32 v104, v97, v149
	v_fma_f32 v68, v91, v144, -v68
	s_waitcnt vmcnt(22)
	v_fmac_f32_e32 v104, v98, v150
	v_add_f32_e32 v67, v67, v68
	v_mul_f32_e32 v68, v94, v145
	v_add_f32_e32 v107, v103, v104
	ds_read_b128 v[103:106], v66 offset:448
	v_fma_f32 v68, v93, v146, -v68
	s_waitcnt vmcnt(21) lgkmcnt(1)
	v_mul_f32_e32 v108, v99, v151
	v_add_f32_e32 v67, v67, v68
	v_mul_f32_e32 v68, v96, v147
	s_waitcnt vmcnt(20)
	v_fmac_f32_e32 v108, v100, v152
	v_fma_f32 v68, v95, v148, -v68
	v_add_f32_e32 v107, v107, v108
	s_waitcnt vmcnt(18)
	v_mul_f32_e32 v108, v101, v154
	v_add_f32_e32 v67, v67, v68
	v_mul_f32_e32 v68, v98, v149
	v_fmac_f32_e32 v108, v102, v153
	v_fma_f32 v68, v97, v150, -v68
	v_add_f32_e32 v107, v107, v108
	s_waitcnt vmcnt(15) lgkmcnt(0)
	v_mul_f32_e32 v108, v103, v157
	v_add_f32_e32 v67, v67, v68
	v_mul_f32_e32 v68, v100, v151
	s_waitcnt vmcnt(14)
	v_fmac_f32_e32 v108, v104, v158
	v_fma_f32 v68, v99, v152, -v68
	v_add_f32_e32 v111, v107, v108
	ds_read_b128 v[107:110], v66 offset:464
	v_add_f32_e32 v67, v67, v68
	v_mul_f32_e32 v68, v102, v154
	v_fma_f32 v68, v101, v153, -v68
	v_add_f32_e32 v67, v67, v68
	v_mul_f32_e32 v68, v104, v157
	s_waitcnt vmcnt(12)
	v_mul_f32_e32 v112, v105, v160
	v_fma_f32 v68, v103, v158, -v68
	v_fmac_f32_e32 v112, v106, v159
	v_add_f32_e32 v67, v67, v68
	v_mul_f32_e32 v68, v106, v160
	v_add_f32_e32 v115, v111, v112
	ds_read_b128 v[111:114], v66 offset:480
	s_waitcnt vmcnt(11) lgkmcnt(1)
	v_mul_f32_e32 v116, v107, v161
	v_fma_f32 v68, v105, v159, -v68
	s_waitcnt vmcnt(10)
	v_fmac_f32_e32 v116, v108, v162
	v_add_f32_e32 v67, v67, v68
	v_mul_f32_e32 v68, v108, v161
	v_add_f32_e32 v115, v115, v116
	s_waitcnt vmcnt(8)
	v_mul_f32_e32 v116, v109, v164
	v_fma_f32 v68, v107, v162, -v68
	v_fmac_f32_e32 v116, v110, v163
	v_add_f32_e32 v67, v67, v68
	v_mul_f32_e32 v68, v110, v164
	v_add_f32_e32 v173, v115, v116
	ds_read_b128 v[115:118], v66 offset:496
	v_fma_f32 v68, v109, v163, -v68
	v_add_f32_e32 v67, v67, v68
	s_waitcnt vmcnt(6) lgkmcnt(1)
	v_mul_f32_e32 v68, v112, v166
	v_mul_f32_e32 v174, v111, v166
	v_fma_f32 v68, v111, v165, -v68
	v_fmac_f32_e32 v174, v112, v165
	v_add_f32_e32 v67, v67, v68
	s_waitcnt vmcnt(4)
	v_mul_f32_e32 v68, v114, v168
	v_add_f32_e32 v66, v173, v174
	v_mul_f32_e32 v173, v113, v168
	v_fma_f32 v68, v113, v167, -v68
	v_fmac_f32_e32 v173, v114, v167
	v_add_f32_e32 v67, v67, v68
	s_waitcnt vmcnt(2) lgkmcnt(0)
	v_mul_f32_e32 v68, v116, v170
	v_add_f32_e32 v66, v66, v173
	v_mul_f32_e32 v173, v115, v170
	v_fma_f32 v68, v115, v169, -v68
	v_fmac_f32_e32 v173, v116, v169
	v_add_f32_e32 v67, v67, v68
	s_waitcnt vmcnt(0)
	v_mul_f32_e32 v68, v118, v172
	v_add_f32_e32 v66, v66, v173
	v_mul_f32_e32 v173, v117, v172
	v_fma_f32 v68, v117, v171, -v68
	v_fmac_f32_e32 v173, v118, v171
	v_add_f32_e32 v67, v67, v68
	v_add_f32_e32 v66, v66, v173
	v_sub_f32_e32 v67, v155, v67
	v_sub_f32_e32 v66, v156, v66
	buffer_store_dword v67, off, s[0:3], 0 offset:40
	buffer_store_dword v66, off, s[0:3], 0 offset:44
	s_and_saveexec_b64 s[4:5], vcc
	s_cbranch_execz .LBB31_197
; %bb.196:
	buffer_load_dword v66, off, s[0:3], 0 offset:32
	buffer_load_dword v67, off, s[0:3], 0 offset:36
	v_mov_b32_e32 v68, 0
	buffer_store_dword v68, off, s[0:3], 0 offset:32
	buffer_store_dword v68, off, s[0:3], 0 offset:36
	s_waitcnt vmcnt(2)
	ds_write_b64 v65, v[66:67]
.LBB31_197:
	s_or_b64 exec, exec, s[4:5]
	s_waitcnt lgkmcnt(0)
	; wave barrier
	buffer_load_dword v121, off, s[0:3], 0 offset:44
	buffer_load_dword v122, off, s[0:3], 0 offset:52
	;; [unrolled: 1-line block ×56, first 2 shown]
	v_mov_b32_e32 v66, 0
	ds_read2_b64 v[67:70], v66 offset0:37 offset1:38
	ds_read2_b64 v[71:74], v66 offset0:39 offset1:40
	;; [unrolled: 1-line block ×6, first 2 shown]
	v_cmp_lt_u32_e32 vcc, 3, v0
	s_waitcnt vmcnt(55) lgkmcnt(5)
	v_mul_f32_e32 v91, v67, v121
	s_waitcnt vmcnt(54)
	v_mul_f32_e32 v92, v69, v122
	s_waitcnt vmcnt(53) lgkmcnt(4)
	v_mul_f32_e32 v93, v71, v123
	s_waitcnt vmcnt(52)
	v_mul_f32_e32 v94, v73, v124
	;; [unrolled: 4-line block ×4, first 2 shown]
	s_waitcnt vmcnt(47) lgkmcnt(1)
	v_mul_f32_e32 v99, v83, v129
	s_waitcnt vmcnt(46)
	v_fmac_f32_e32 v91, v68, v130
	s_waitcnt vmcnt(45)
	v_fmac_f32_e32 v92, v70, v131
	v_add_f32_e32 v91, 0, v91
	s_waitcnt vmcnt(44)
	v_fmac_f32_e32 v93, v72, v132
	v_add_f32_e32 v91, v91, v92
	s_waitcnt vmcnt(43)
	v_fmac_f32_e32 v94, v74, v133
	v_add_f32_e32 v91, v91, v93
	v_mul_f32_e32 v68, v68, v121
	s_waitcnt vmcnt(42)
	v_fmac_f32_e32 v95, v76, v134
	v_add_f32_e32 v91, v91, v94
	v_fma_f32 v67, v67, v130, -v68
	v_mul_f32_e32 v68, v70, v122
	s_waitcnt vmcnt(41)
	v_fmac_f32_e32 v96, v78, v135
	v_add_f32_e32 v91, v91, v95
	v_add_f32_e32 v67, 0, v67
	v_fma_f32 v68, v69, v131, -v68
	s_waitcnt vmcnt(40)
	v_fmac_f32_e32 v97, v80, v136
	v_add_f32_e32 v91, v91, v96
	v_add_f32_e32 v67, v67, v68
	v_mul_f32_e32 v68, v72, v123
	s_waitcnt vmcnt(39)
	v_fmac_f32_e32 v98, v82, v137
	v_add_f32_e32 v91, v91, v97
	v_fma_f32 v68, v71, v132, -v68
	v_add_f32_e32 v91, v91, v98
	s_waitcnt vmcnt(38)
	v_fmac_f32_e32 v99, v84, v138
	s_waitcnt vmcnt(37)
	v_mul_f32_e32 v92, v85, v139
	v_add_f32_e32 v67, v67, v68
	v_mul_f32_e32 v68, v74, v124
	v_add_f32_e32 v91, v91, v99
	s_waitcnt vmcnt(36)
	v_fmac_f32_e32 v92, v86, v140
	v_fma_f32 v68, v73, v133, -v68
	v_add_f32_e32 v91, v91, v92
	s_waitcnt vmcnt(35) lgkmcnt(0)
	v_mul_f32_e32 v92, v87, v141
	v_add_f32_e32 v67, v67, v68
	v_mul_f32_e32 v68, v76, v125
	s_waitcnt vmcnt(34)
	v_fmac_f32_e32 v92, v88, v142
	v_fma_f32 v68, v75, v134, -v68
	v_add_f32_e32 v95, v91, v92
	ds_read2_b64 v[91:94], v66 offset0:49 offset1:50
	v_add_f32_e32 v67, v67, v68
	v_mul_f32_e32 v68, v78, v126
	v_fma_f32 v68, v77, v135, -v68
	s_waitcnt vmcnt(33)
	v_mul_f32_e32 v96, v89, v143
	v_add_f32_e32 v67, v67, v68
	v_mul_f32_e32 v68, v80, v127
	s_waitcnt vmcnt(32)
	v_fmac_f32_e32 v96, v90, v144
	v_fma_f32 v68, v79, v136, -v68
	v_add_f32_e32 v99, v95, v96
	ds_read2_b64 v[95:98], v66 offset0:51 offset1:52
	v_add_f32_e32 v67, v67, v68
	v_mul_f32_e32 v68, v82, v128
	s_waitcnt vmcnt(31) lgkmcnt(1)
	v_mul_f32_e32 v100, v91, v145
	v_fma_f32 v68, v81, v137, -v68
	s_waitcnt vmcnt(30)
	v_fmac_f32_e32 v100, v92, v146
	v_add_f32_e32 v67, v67, v68
	v_mul_f32_e32 v68, v84, v129
	v_add_f32_e32 v99, v99, v100
	s_waitcnt vmcnt(29)
	v_mul_f32_e32 v100, v93, v147
	v_fma_f32 v68, v83, v138, -v68
	s_waitcnt vmcnt(28)
	v_fmac_f32_e32 v100, v94, v148
	v_add_f32_e32 v67, v67, v68
	v_mul_f32_e32 v68, v86, v139
	v_add_f32_e32 v99, v99, v100
	s_waitcnt vmcnt(27) lgkmcnt(0)
	v_mul_f32_e32 v100, v95, v149
	v_fma_f32 v68, v85, v140, -v68
	s_waitcnt vmcnt(26)
	v_fmac_f32_e32 v100, v96, v150
	v_add_f32_e32 v67, v67, v68
	v_mul_f32_e32 v68, v88, v141
	v_add_f32_e32 v103, v99, v100
	ds_read2_b64 v[99:102], v66 offset0:53 offset1:54
	v_fma_f32 v68, v87, v142, -v68
	v_add_f32_e32 v67, v67, v68
	v_mul_f32_e32 v68, v90, v143
	s_waitcnt vmcnt(24)
	v_mul_f32_e32 v104, v97, v152
	v_fma_f32 v68, v89, v144, -v68
	v_fmac_f32_e32 v104, v98, v151
	v_add_f32_e32 v67, v67, v68
	v_mul_f32_e32 v68, v92, v145
	v_add_f32_e32 v107, v103, v104
	ds_read2_b64 v[103:106], v66 offset0:55 offset1:56
	v_fma_f32 v68, v91, v146, -v68
	s_waitcnt vmcnt(21) lgkmcnt(1)
	v_mul_f32_e32 v108, v99, v155
	v_add_f32_e32 v67, v67, v68
	v_mul_f32_e32 v68, v94, v147
	s_waitcnt vmcnt(20)
	v_fmac_f32_e32 v108, v100, v156
	v_fma_f32 v68, v93, v148, -v68
	v_add_f32_e32 v107, v107, v108
	s_waitcnt vmcnt(18)
	v_mul_f32_e32 v108, v101, v158
	v_add_f32_e32 v67, v67, v68
	v_mul_f32_e32 v68, v96, v149
	v_fmac_f32_e32 v108, v102, v157
	v_fma_f32 v68, v95, v150, -v68
	v_add_f32_e32 v107, v107, v108
	s_waitcnt vmcnt(16) lgkmcnt(0)
	v_mul_f32_e32 v108, v103, v160
	v_add_f32_e32 v67, v67, v68
	v_mul_f32_e32 v68, v98, v152
	v_fmac_f32_e32 v108, v104, v159
	v_fma_f32 v68, v97, v151, -v68
	v_add_f32_e32 v111, v107, v108
	ds_read2_b64 v[107:110], v66 offset0:57 offset1:58
	v_add_f32_e32 v67, v67, v68
	v_mul_f32_e32 v68, v100, v155
	v_fma_f32 v68, v99, v156, -v68
	s_waitcnt vmcnt(14)
	v_mul_f32_e32 v112, v105, v162
	v_add_f32_e32 v67, v67, v68
	v_mul_f32_e32 v68, v102, v158
	v_fmac_f32_e32 v112, v106, v161
	v_fma_f32 v68, v101, v157, -v68
	v_add_f32_e32 v115, v111, v112
	ds_read2_b64 v[111:114], v66 offset0:59 offset1:60
	v_add_f32_e32 v67, v67, v68
	v_mul_f32_e32 v68, v104, v160
	s_waitcnt vmcnt(12) lgkmcnt(1)
	v_mul_f32_e32 v116, v107, v164
	v_fma_f32 v68, v103, v159, -v68
	v_fmac_f32_e32 v116, v108, v163
	v_add_f32_e32 v67, v67, v68
	v_mul_f32_e32 v68, v106, v162
	v_add_f32_e32 v115, v115, v116
	s_waitcnt vmcnt(10)
	v_mul_f32_e32 v116, v109, v166
	v_fma_f32 v68, v105, v161, -v68
	v_fmac_f32_e32 v116, v110, v165
	v_add_f32_e32 v67, v67, v68
	v_mul_f32_e32 v68, v108, v164
	v_add_f32_e32 v115, v115, v116
	s_waitcnt vmcnt(8) lgkmcnt(0)
	v_mul_f32_e32 v116, v111, v168
	v_fma_f32 v68, v107, v163, -v68
	v_fmac_f32_e32 v116, v112, v167
	v_add_f32_e32 v67, v67, v68
	v_mul_f32_e32 v68, v110, v166
	v_add_f32_e32 v119, v115, v116
	ds_read2_b64 v[115:118], v66 offset0:61 offset1:62
	v_fma_f32 v68, v109, v165, -v68
	v_add_f32_e32 v67, v67, v68
	v_mul_f32_e32 v68, v112, v168
	s_waitcnt vmcnt(6)
	v_mul_f32_e32 v120, v113, v170
	v_fma_f32 v68, v111, v167, -v68
	v_fmac_f32_e32 v120, v114, v169
	v_add_f32_e32 v67, v67, v68
	v_mul_f32_e32 v68, v114, v170
	v_add_f32_e32 v177, v119, v120
	ds_read_b64 v[119:120], v66 offset:504
	v_fma_f32 v68, v113, v169, -v68
	v_add_f32_e32 v67, v67, v68
	s_waitcnt vmcnt(4) lgkmcnt(1)
	v_mul_f32_e32 v68, v116, v172
	v_mul_f32_e32 v178, v115, v172
	v_fma_f32 v68, v115, v171, -v68
	v_fmac_f32_e32 v178, v116, v171
	v_add_f32_e32 v67, v67, v68
	s_waitcnt vmcnt(2)
	v_mul_f32_e32 v68, v118, v174
	v_add_f32_e32 v177, v177, v178
	v_mul_f32_e32 v178, v117, v174
	v_fma_f32 v68, v117, v173, -v68
	v_fmac_f32_e32 v178, v118, v173
	v_add_f32_e32 v67, v67, v68
	s_waitcnt vmcnt(0) lgkmcnt(0)
	v_mul_f32_e32 v68, v120, v176
	v_add_f32_e32 v177, v177, v178
	v_mul_f32_e32 v178, v119, v176
	v_fma_f32 v68, v119, v175, -v68
	v_fmac_f32_e32 v178, v120, v175
	v_add_f32_e32 v67, v67, v68
	v_add_f32_e32 v177, v177, v178
	v_sub_f32_e32 v67, v153, v67
	v_sub_f32_e32 v68, v154, v177
	buffer_store_dword v67, off, s[0:3], 0 offset:32
	buffer_store_dword v68, off, s[0:3], 0 offset:36
	s_and_saveexec_b64 s[4:5], vcc
	s_cbranch_execz .LBB31_199
; %bb.198:
	buffer_load_dword v67, off, s[0:3], 0 offset:24
	buffer_load_dword v68, off, s[0:3], 0 offset:28
	s_waitcnt vmcnt(0)
	ds_write_b64 v65, v[67:68]
	buffer_store_dword v66, off, s[0:3], 0 offset:24
	buffer_store_dword v66, off, s[0:3], 0 offset:28
.LBB31_199:
	s_or_b64 exec, exec, s[4:5]
	s_waitcnt lgkmcnt(0)
	; wave barrier
	buffer_load_dword v123, off, s[0:3], 0 offset:36
	buffer_load_dword v124, off, s[0:3], 0 offset:44
	;; [unrolled: 1-line block ×34, first 2 shown]
	ds_read_b128 v[67:70], v66 offset:288
	ds_read_b128 v[71:74], v66 offset:304
	buffer_load_dword v157, off, s[0:3], 0 offset:164
	buffer_load_dword v158, off, s[0:3], 0 offset:160
	;; [unrolled: 1-line block ×6, first 2 shown]
	ds_read_b128 v[75:78], v66 offset:320
	ds_read_b128 v[79:82], v66 offset:336
	;; [unrolled: 1-line block ×4, first 2 shown]
	buffer_load_dword v163, off, s[0:3], 0 offset:188
	buffer_load_dword v164, off, s[0:3], 0 offset:184
	;; [unrolled: 1-line block ×18, first 2 shown]
	v_cmp_lt_u32_e32 vcc, 2, v0
	s_waitcnt vmcnt(57) lgkmcnt(5)
	v_mul_f32_e32 v91, v67, v123
	s_waitcnt vmcnt(56)
	v_mul_f32_e32 v92, v69, v124
	s_waitcnt vmcnt(55) lgkmcnt(4)
	v_mul_f32_e32 v93, v71, v125
	s_waitcnt vmcnt(54)
	v_mul_f32_e32 v94, v73, v126
	;; [unrolled: 4-line block ×4, first 2 shown]
	s_waitcnt vmcnt(49)
	v_fmac_f32_e32 v91, v68, v131
	s_waitcnt vmcnt(48)
	v_fmac_f32_e32 v92, v70, v132
	v_add_f32_e32 v91, 0, v91
	s_waitcnt vmcnt(47)
	v_fmac_f32_e32 v93, v72, v133
	v_add_f32_e32 v91, v91, v92
	;; [unrolled: 3-line block ×4, first 2 shown]
	v_mul_f32_e32 v68, v68, v123
	s_waitcnt vmcnt(44)
	v_fmac_f32_e32 v96, v78, v136
	v_add_f32_e32 v91, v91, v95
	v_fma_f32 v67, v67, v131, -v68
	v_mul_f32_e32 v68, v70, v124
	s_waitcnt vmcnt(43)
	v_fmac_f32_e32 v97, v80, v137
	v_add_f32_e32 v91, v91, v96
	v_add_f32_e32 v67, 0, v67
	v_fma_f32 v68, v69, v132, -v68
	s_waitcnt vmcnt(42)
	v_fmac_f32_e32 v98, v82, v138
	v_add_f32_e32 v91, v91, v97
	s_waitcnt vmcnt(41) lgkmcnt(1)
	v_mul_f32_e32 v92, v83, v139
	v_add_f32_e32 v67, v67, v68
	v_mul_f32_e32 v68, v72, v125
	v_add_f32_e32 v91, v91, v98
	s_waitcnt vmcnt(40)
	v_fmac_f32_e32 v92, v84, v140
	v_fma_f32 v68, v71, v133, -v68
	v_add_f32_e32 v91, v91, v92
	s_waitcnt vmcnt(39)
	v_mul_f32_e32 v92, v85, v141
	v_add_f32_e32 v67, v67, v68
	v_mul_f32_e32 v68, v74, v126
	s_waitcnt vmcnt(38)
	v_fmac_f32_e32 v92, v86, v142
	v_fma_f32 v68, v73, v134, -v68
	v_add_f32_e32 v91, v91, v92
	s_waitcnt vmcnt(37) lgkmcnt(0)
	v_mul_f32_e32 v92, v87, v143
	v_add_f32_e32 v67, v67, v68
	v_mul_f32_e32 v68, v76, v127
	s_waitcnt vmcnt(36)
	v_fmac_f32_e32 v92, v88, v144
	v_fma_f32 v68, v75, v135, -v68
	v_add_f32_e32 v95, v91, v92
	ds_read_b128 v[91:94], v66 offset:384
	v_add_f32_e32 v67, v67, v68
	v_mul_f32_e32 v68, v78, v128
	v_fma_f32 v68, v77, v136, -v68
	s_waitcnt vmcnt(35)
	v_mul_f32_e32 v96, v89, v145
	v_add_f32_e32 v67, v67, v68
	v_mul_f32_e32 v68, v80, v129
	s_waitcnt vmcnt(34)
	v_fmac_f32_e32 v96, v90, v146
	v_fma_f32 v68, v79, v137, -v68
	v_add_f32_e32 v99, v95, v96
	ds_read_b128 v[95:98], v66 offset:400
	v_add_f32_e32 v67, v67, v68
	v_mul_f32_e32 v68, v82, v130
	s_waitcnt vmcnt(33) lgkmcnt(1)
	v_mul_f32_e32 v100, v91, v147
	v_fma_f32 v68, v81, v138, -v68
	s_waitcnt vmcnt(32)
	v_fmac_f32_e32 v100, v92, v148
	v_add_f32_e32 v67, v67, v68
	v_mul_f32_e32 v68, v84, v139
	v_add_f32_e32 v99, v99, v100
	s_waitcnt vmcnt(31)
	v_mul_f32_e32 v100, v93, v149
	v_fma_f32 v68, v83, v140, -v68
	s_waitcnt vmcnt(30)
	v_fmac_f32_e32 v100, v94, v150
	v_add_f32_e32 v67, v67, v68
	v_mul_f32_e32 v68, v86, v141
	v_add_f32_e32 v99, v99, v100
	s_waitcnt vmcnt(29) lgkmcnt(0)
	v_mul_f32_e32 v100, v95, v151
	v_fma_f32 v68, v85, v142, -v68
	s_waitcnt vmcnt(28)
	v_fmac_f32_e32 v100, v96, v152
	v_add_f32_e32 v67, v67, v68
	v_mul_f32_e32 v68, v88, v143
	v_add_f32_e32 v103, v99, v100
	ds_read_b128 v[99:102], v66 offset:416
	v_fma_f32 v68, v87, v144, -v68
	v_add_f32_e32 v67, v67, v68
	v_mul_f32_e32 v68, v90, v145
	s_waitcnt vmcnt(25)
	v_mul_f32_e32 v104, v97, v155
	v_fma_f32 v68, v89, v146, -v68
	s_waitcnt vmcnt(24)
	v_fmac_f32_e32 v104, v98, v156
	v_add_f32_e32 v67, v67, v68
	v_mul_f32_e32 v68, v92, v147
	v_add_f32_e32 v107, v103, v104
	ds_read_b128 v[103:106], v66 offset:432
	v_fma_f32 v68, v91, v148, -v68
	s_waitcnt vmcnt(23) lgkmcnt(1)
	v_mul_f32_e32 v108, v99, v157
	v_add_f32_e32 v67, v67, v68
	v_mul_f32_e32 v68, v94, v149
	s_waitcnt vmcnt(22)
	v_fmac_f32_e32 v108, v100, v158
	v_fma_f32 v68, v93, v150, -v68
	v_add_f32_e32 v107, v107, v108
	s_waitcnt vmcnt(20)
	v_mul_f32_e32 v108, v101, v160
	v_add_f32_e32 v67, v67, v68
	v_mul_f32_e32 v68, v96, v151
	v_fmac_f32_e32 v108, v102, v159
	v_fma_f32 v68, v95, v152, -v68
	v_add_f32_e32 v107, v107, v108
	s_waitcnt vmcnt(18) lgkmcnt(0)
	v_mul_f32_e32 v108, v103, v162
	v_add_f32_e32 v67, v67, v68
	v_mul_f32_e32 v68, v98, v155
	v_fmac_f32_e32 v108, v104, v161
	v_fma_f32 v68, v97, v156, -v68
	v_add_f32_e32 v111, v107, v108
	ds_read_b128 v[107:110], v66 offset:448
	v_add_f32_e32 v67, v67, v68
	v_mul_f32_e32 v68, v100, v157
	v_fma_f32 v68, v99, v158, -v68
	s_waitcnt vmcnt(17)
	v_mul_f32_e32 v112, v105, v163
	v_add_f32_e32 v67, v67, v68
	v_mul_f32_e32 v68, v102, v160
	s_waitcnt vmcnt(16)
	v_fmac_f32_e32 v112, v106, v164
	v_fma_f32 v68, v101, v159, -v68
	v_add_f32_e32 v115, v111, v112
	ds_read_b128 v[111:114], v66 offset:464
	v_add_f32_e32 v67, v67, v68
	v_mul_f32_e32 v68, v104, v162
	s_waitcnt vmcnt(14) lgkmcnt(1)
	v_mul_f32_e32 v116, v107, v166
	v_fma_f32 v68, v103, v161, -v68
	v_fmac_f32_e32 v116, v108, v165
	v_add_f32_e32 v67, v67, v68
	v_mul_f32_e32 v68, v106, v163
	v_add_f32_e32 v115, v115, v116
	s_waitcnt vmcnt(12)
	v_mul_f32_e32 v116, v109, v168
	v_fma_f32 v68, v105, v164, -v68
	v_fmac_f32_e32 v116, v110, v167
	v_add_f32_e32 v67, v67, v68
	v_mul_f32_e32 v68, v108, v166
	v_add_f32_e32 v115, v115, v116
	s_waitcnt vmcnt(10) lgkmcnt(0)
	v_mul_f32_e32 v116, v111, v170
	v_fma_f32 v68, v107, v165, -v68
	v_fmac_f32_e32 v116, v112, v169
	v_add_f32_e32 v67, v67, v68
	v_mul_f32_e32 v68, v110, v168
	v_add_f32_e32 v119, v115, v116
	ds_read_b128 v[115:118], v66 offset:480
	v_fma_f32 v68, v109, v167, -v68
	v_add_f32_e32 v67, v67, v68
	v_mul_f32_e32 v68, v112, v170
	s_waitcnt vmcnt(8)
	v_mul_f32_e32 v120, v113, v172
	v_fma_f32 v68, v111, v169, -v68
	v_fmac_f32_e32 v120, v114, v171
	v_add_f32_e32 v67, v67, v68
	v_mul_f32_e32 v68, v114, v172
	v_add_f32_e32 v181, v119, v120
	ds_read_b128 v[119:122], v66 offset:496
	v_fma_f32 v68, v113, v171, -v68
	v_add_f32_e32 v67, v67, v68
	s_waitcnt vmcnt(6) lgkmcnt(1)
	v_mul_f32_e32 v68, v116, v174
	v_mul_f32_e32 v66, v115, v174
	v_fma_f32 v68, v115, v173, -v68
	v_fmac_f32_e32 v66, v116, v173
	v_add_f32_e32 v67, v67, v68
	s_waitcnt vmcnt(4)
	v_mul_f32_e32 v68, v118, v176
	v_add_f32_e32 v66, v181, v66
	v_mul_f32_e32 v181, v117, v176
	v_fma_f32 v68, v117, v175, -v68
	v_fmac_f32_e32 v181, v118, v175
	v_add_f32_e32 v67, v67, v68
	s_waitcnt vmcnt(2) lgkmcnt(0)
	v_mul_f32_e32 v68, v120, v178
	v_add_f32_e32 v66, v66, v181
	v_mul_f32_e32 v181, v119, v178
	v_fma_f32 v68, v119, v177, -v68
	v_fmac_f32_e32 v181, v120, v177
	v_add_f32_e32 v67, v67, v68
	s_waitcnt vmcnt(0)
	v_mul_f32_e32 v68, v122, v180
	v_add_f32_e32 v66, v66, v181
	v_mul_f32_e32 v181, v121, v180
	v_fma_f32 v68, v121, v179, -v68
	v_fmac_f32_e32 v181, v122, v179
	v_add_f32_e32 v67, v67, v68
	v_add_f32_e32 v66, v66, v181
	v_sub_f32_e32 v67, v153, v67
	v_sub_f32_e32 v66, v154, v66
	buffer_store_dword v67, off, s[0:3], 0 offset:24
	buffer_store_dword v66, off, s[0:3], 0 offset:28
	s_and_saveexec_b64 s[4:5], vcc
	s_cbranch_execz .LBB31_201
; %bb.200:
	buffer_load_dword v66, off, s[0:3], 0 offset:16
	buffer_load_dword v67, off, s[0:3], 0 offset:20
	v_mov_b32_e32 v68, 0
	buffer_store_dword v68, off, s[0:3], 0 offset:16
	buffer_store_dword v68, off, s[0:3], 0 offset:20
	s_waitcnt vmcnt(2)
	ds_write_b64 v65, v[66:67]
.LBB31_201:
	s_or_b64 exec, exec, s[4:5]
	s_waitcnt lgkmcnt(0)
	; wave barrier
	buffer_load_dword v125, off, s[0:3], 0 offset:28
	buffer_load_dword v126, off, s[0:3], 0 offset:36
	;; [unrolled: 1-line block ×60, first 2 shown]
	v_mov_b32_e32 v66, 0
	ds_read2_b64 v[67:70], v66 offset0:35 offset1:36
	ds_read2_b64 v[71:74], v66 offset0:37 offset1:38
	;; [unrolled: 1-line block ×5, first 2 shown]
	v_cmp_lt_u32_e32 vcc, 1, v0
	s_waitcnt vmcnt(59) lgkmcnt(4)
	v_mul_f32_e32 v87, v67, v125
	s_waitcnt vmcnt(58)
	v_mul_f32_e32 v88, v69, v126
	s_waitcnt vmcnt(57) lgkmcnt(3)
	v_mul_f32_e32 v89, v71, v127
	s_waitcnt vmcnt(56)
	v_mul_f32_e32 v90, v73, v128
	;; [unrolled: 4-line block ×3, first 2 shown]
	s_waitcnt vmcnt(53) lgkmcnt(1)
	v_mul_f32_e32 v93, v79, v131
	s_waitcnt vmcnt(52)
	v_fmac_f32_e32 v87, v68, v132
	s_waitcnt vmcnt(51)
	v_fmac_f32_e32 v88, v70, v133
	v_add_f32_e32 v87, 0, v87
	s_waitcnt vmcnt(50)
	v_fmac_f32_e32 v89, v72, v134
	v_add_f32_e32 v87, v87, v88
	;; [unrolled: 3-line block ×6, first 2 shown]
	s_waitcnt vmcnt(45)
	v_mul_f32_e32 v88, v81, v139
	v_add_f32_e32 v87, v87, v93
	s_waitcnt vmcnt(44)
	v_fmac_f32_e32 v88, v82, v140
	v_mul_f32_e32 v68, v68, v125
	v_add_f32_e32 v91, v87, v88
	ds_read2_b64 v[87:90], v66 offset0:45 offset1:46
	v_fma_f32 v67, v67, v132, -v68
	v_mul_f32_e32 v68, v70, v126
	s_waitcnt vmcnt(43) lgkmcnt(1)
	v_mul_f32_e32 v92, v83, v141
	v_add_f32_e32 v67, 0, v67
	v_fma_f32 v68, v69, v133, -v68
	s_waitcnt vmcnt(42)
	v_fmac_f32_e32 v92, v84, v142
	v_add_f32_e32 v67, v67, v68
	v_mul_f32_e32 v68, v72, v127
	v_add_f32_e32 v91, v91, v92
	s_waitcnt vmcnt(41)
	v_mul_f32_e32 v92, v85, v143
	v_fma_f32 v68, v71, v134, -v68
	s_waitcnt vmcnt(40)
	v_fmac_f32_e32 v92, v86, v144
	v_add_f32_e32 v67, v67, v68
	v_mul_f32_e32 v68, v74, v128
	v_add_f32_e32 v91, v91, v92
	s_waitcnt vmcnt(39) lgkmcnt(0)
	v_mul_f32_e32 v92, v87, v145
	v_fma_f32 v68, v73, v135, -v68
	s_waitcnt vmcnt(38)
	v_fmac_f32_e32 v92, v88, v146
	v_add_f32_e32 v67, v67, v68
	v_mul_f32_e32 v68, v76, v129
	v_add_f32_e32 v95, v91, v92
	ds_read2_b64 v[91:94], v66 offset0:47 offset1:48
	v_fma_f32 v68, v75, v136, -v68
	v_add_f32_e32 v67, v67, v68
	v_mul_f32_e32 v68, v78, v130
	s_waitcnt vmcnt(37)
	v_mul_f32_e32 v96, v89, v147
	v_fma_f32 v68, v77, v137, -v68
	s_waitcnt vmcnt(36)
	v_fmac_f32_e32 v96, v90, v148
	v_add_f32_e32 v67, v67, v68
	v_mul_f32_e32 v68, v80, v131
	v_add_f32_e32 v99, v95, v96
	ds_read2_b64 v[95:98], v66 offset0:49 offset1:50
	v_fma_f32 v68, v79, v138, -v68
	s_waitcnt vmcnt(34) lgkmcnt(1)
	v_mul_f32_e32 v100, v91, v150
	v_add_f32_e32 v67, v67, v68
	v_mul_f32_e32 v68, v82, v139
	v_fmac_f32_e32 v100, v92, v149
	v_fma_f32 v68, v81, v140, -v68
	v_add_f32_e32 v99, v99, v100
	s_waitcnt vmcnt(31)
	v_mul_f32_e32 v100, v93, v153
	v_add_f32_e32 v67, v67, v68
	v_mul_f32_e32 v68, v84, v141
	s_waitcnt vmcnt(30)
	v_fmac_f32_e32 v100, v94, v154
	v_fma_f32 v68, v83, v142, -v68
	v_add_f32_e32 v99, v99, v100
	s_waitcnt vmcnt(28) lgkmcnt(0)
	v_mul_f32_e32 v100, v95, v156
	v_add_f32_e32 v67, v67, v68
	v_mul_f32_e32 v68, v86, v143
	v_fmac_f32_e32 v100, v96, v155
	v_fma_f32 v68, v85, v144, -v68
	v_add_f32_e32 v103, v99, v100
	ds_read2_b64 v[99:102], v66 offset0:51 offset1:52
	v_add_f32_e32 v67, v67, v68
	v_mul_f32_e32 v68, v88, v145
	v_fma_f32 v68, v87, v146, -v68
	s_waitcnt vmcnt(26)
	v_mul_f32_e32 v104, v97, v158
	v_add_f32_e32 v67, v67, v68
	v_mul_f32_e32 v68, v90, v147
	v_fmac_f32_e32 v104, v98, v157
	v_fma_f32 v68, v89, v148, -v68
	v_add_f32_e32 v107, v103, v104
	ds_read2_b64 v[103:106], v66 offset0:53 offset1:54
	v_add_f32_e32 v67, v67, v68
	v_mul_f32_e32 v68, v92, v150
	s_waitcnt vmcnt(24) lgkmcnt(1)
	v_mul_f32_e32 v108, v99, v160
	v_fma_f32 v68, v91, v149, -v68
	v_fmac_f32_e32 v108, v100, v159
	v_add_f32_e32 v67, v67, v68
	v_mul_f32_e32 v68, v94, v153
	v_add_f32_e32 v107, v107, v108
	s_waitcnt vmcnt(22)
	v_mul_f32_e32 v108, v101, v162
	v_fma_f32 v68, v93, v154, -v68
	v_fmac_f32_e32 v108, v102, v161
	v_add_f32_e32 v67, v67, v68
	v_mul_f32_e32 v68, v96, v156
	v_add_f32_e32 v107, v107, v108
	s_waitcnt vmcnt(20) lgkmcnt(0)
	v_mul_f32_e32 v108, v103, v164
	v_fma_f32 v68, v95, v155, -v68
	v_fmac_f32_e32 v108, v104, v163
	v_add_f32_e32 v67, v67, v68
	v_mul_f32_e32 v68, v98, v158
	v_add_f32_e32 v111, v107, v108
	ds_read2_b64 v[107:110], v66 offset0:55 offset1:56
	v_fma_f32 v68, v97, v157, -v68
	v_add_f32_e32 v67, v67, v68
	v_mul_f32_e32 v68, v100, v160
	s_waitcnt vmcnt(18)
	v_mul_f32_e32 v112, v105, v166
	v_fma_f32 v68, v99, v159, -v68
	v_fmac_f32_e32 v112, v106, v165
	v_add_f32_e32 v67, v67, v68
	v_mul_f32_e32 v68, v102, v162
	v_add_f32_e32 v115, v111, v112
	ds_read2_b64 v[111:114], v66 offset0:57 offset1:58
	v_fma_f32 v68, v101, v161, -v68
	s_waitcnt vmcnt(16) lgkmcnt(1)
	v_mul_f32_e32 v116, v107, v168
	v_add_f32_e32 v67, v67, v68
	v_mul_f32_e32 v68, v104, v164
	v_fmac_f32_e32 v116, v108, v167
	v_fma_f32 v68, v103, v163, -v68
	v_add_f32_e32 v115, v115, v116
	s_waitcnt vmcnt(14)
	v_mul_f32_e32 v116, v109, v170
	v_add_f32_e32 v67, v67, v68
	v_mul_f32_e32 v68, v106, v166
	v_fmac_f32_e32 v116, v110, v169
	v_fma_f32 v68, v105, v165, -v68
	v_add_f32_e32 v115, v115, v116
	s_waitcnt vmcnt(12) lgkmcnt(0)
	v_mul_f32_e32 v116, v111, v172
	v_add_f32_e32 v67, v67, v68
	v_mul_f32_e32 v68, v108, v168
	v_fmac_f32_e32 v116, v112, v171
	v_fma_f32 v68, v107, v167, -v68
	v_add_f32_e32 v119, v115, v116
	ds_read2_b64 v[115:118], v66 offset0:59 offset1:60
	v_add_f32_e32 v67, v67, v68
	v_mul_f32_e32 v68, v110, v170
	v_fma_f32 v68, v109, v169, -v68
	v_add_f32_e32 v67, v67, v68
	v_mul_f32_e32 v68, v112, v172
	s_waitcnt vmcnt(10)
	v_mul_f32_e32 v120, v113, v174
	v_fma_f32 v68, v111, v171, -v68
	v_fmac_f32_e32 v120, v114, v173
	v_add_f32_e32 v67, v67, v68
	v_mul_f32_e32 v68, v114, v174
	v_add_f32_e32 v123, v119, v120
	ds_read2_b64 v[119:122], v66 offset0:61 offset1:62
	s_waitcnt vmcnt(8) lgkmcnt(1)
	v_mul_f32_e32 v124, v115, v176
	v_fma_f32 v68, v113, v173, -v68
	v_fmac_f32_e32 v124, v116, v175
	v_add_f32_e32 v67, v67, v68
	v_mul_f32_e32 v68, v116, v176
	v_add_f32_e32 v123, v123, v124
	s_waitcnt vmcnt(6)
	v_mul_f32_e32 v124, v117, v178
	v_fma_f32 v68, v115, v175, -v68
	v_fmac_f32_e32 v124, v118, v177
	v_add_f32_e32 v67, v67, v68
	v_mul_f32_e32 v68, v118, v178
	v_add_f32_e32 v185, v123, v124
	ds_read_b64 v[123:124], v66 offset:504
	v_fma_f32 v68, v117, v177, -v68
	v_add_f32_e32 v67, v67, v68
	s_waitcnt vmcnt(4) lgkmcnt(1)
	v_mul_f32_e32 v68, v120, v180
	v_mul_f32_e32 v186, v119, v180
	v_fma_f32 v68, v119, v179, -v68
	v_fmac_f32_e32 v186, v120, v179
	v_add_f32_e32 v67, v67, v68
	s_waitcnt vmcnt(2)
	v_mul_f32_e32 v68, v122, v182
	v_add_f32_e32 v185, v185, v186
	v_mul_f32_e32 v186, v121, v182
	v_fma_f32 v68, v121, v181, -v68
	v_fmac_f32_e32 v186, v122, v181
	v_add_f32_e32 v67, v67, v68
	s_waitcnt vmcnt(0) lgkmcnt(0)
	v_mul_f32_e32 v68, v124, v184
	v_add_f32_e32 v185, v185, v186
	v_mul_f32_e32 v186, v123, v184
	v_fma_f32 v68, v123, v183, -v68
	v_fmac_f32_e32 v186, v124, v183
	v_add_f32_e32 v67, v67, v68
	v_add_f32_e32 v185, v185, v186
	v_sub_f32_e32 v67, v151, v67
	v_sub_f32_e32 v68, v152, v185
	buffer_store_dword v67, off, s[0:3], 0 offset:16
	buffer_store_dword v68, off, s[0:3], 0 offset:20
	s_and_saveexec_b64 s[4:5], vcc
	s_cbranch_execz .LBB31_203
; %bb.202:
	buffer_load_dword v67, off, s[0:3], 0 offset:8
	buffer_load_dword v68, off, s[0:3], 0 offset:12
	s_waitcnt vmcnt(0)
	ds_write_b64 v65, v[67:68]
	buffer_store_dword v66, off, s[0:3], 0 offset:8
	buffer_store_dword v66, off, s[0:3], 0 offset:12
.LBB31_203:
	s_or_b64 exec, exec, s[4:5]
	s_waitcnt lgkmcnt(0)
	; wave barrier
	buffer_load_dword v127, off, s[0:3], 0 offset:20
	buffer_load_dword v128, off, s[0:3], 0 offset:28
	;; [unrolled: 1-line block ×32, first 2 shown]
	ds_read_b128 v[67:70], v66 offset:272
	ds_read_b128 v[71:74], v66 offset:288
	;; [unrolled: 1-line block ×4, first 2 shown]
	buffer_load_dword v159, off, s[0:3], 0 offset:140
	buffer_load_dword v160, off, s[0:3], 0 offset:136
	;; [unrolled: 1-line block ×30, first 2 shown]
	v_cmp_ne_u32_e32 vcc, 0, v0
	s_waitcnt vmcnt(61) lgkmcnt(3)
	v_mul_f32_e32 v83, v67, v127
	s_waitcnt vmcnt(60)
	v_mul_f32_e32 v84, v69, v128
	s_waitcnt vmcnt(59) lgkmcnt(2)
	v_mul_f32_e32 v85, v71, v129
	s_waitcnt vmcnt(58)
	v_mul_f32_e32 v86, v73, v130
	;; [unrolled: 4-line block ×3, first 2 shown]
	s_waitcnt vmcnt(55) lgkmcnt(0)
	v_mul_f32_e32 v89, v79, v133
	s_waitcnt vmcnt(54)
	v_fmac_f32_e32 v83, v68, v134
	s_waitcnt vmcnt(53)
	v_fmac_f32_e32 v84, v70, v135
	v_add_f32_e32 v83, 0, v83
	s_waitcnt vmcnt(52)
	v_fmac_f32_e32 v85, v72, v136
	v_add_f32_e32 v83, v83, v84
	;; [unrolled: 3-line block ×6, first 2 shown]
	v_add_f32_e32 v87, v83, v89
	ds_read_b128 v[83:86], v66 offset:336
	s_waitcnt vmcnt(47)
	v_mul_f32_e32 v88, v81, v141
	s_waitcnt vmcnt(46)
	v_fmac_f32_e32 v88, v82, v142
	v_mul_f32_e32 v68, v68, v127
	v_add_f32_e32 v91, v87, v88
	ds_read_b128 v[87:90], v66 offset:352
	v_fma_f32 v67, v67, v134, -v68
	v_mul_f32_e32 v68, v70, v128
	s_waitcnt vmcnt(45) lgkmcnt(1)
	v_mul_f32_e32 v92, v83, v143
	v_add_f32_e32 v67, 0, v67
	v_fma_f32 v68, v69, v135, -v68
	s_waitcnt vmcnt(44)
	v_fmac_f32_e32 v92, v84, v144
	v_add_f32_e32 v67, v67, v68
	v_mul_f32_e32 v68, v72, v129
	v_add_f32_e32 v91, v91, v92
	s_waitcnt vmcnt(43)
	v_mul_f32_e32 v92, v85, v145
	v_fma_f32 v68, v71, v136, -v68
	s_waitcnt vmcnt(42)
	v_fmac_f32_e32 v92, v86, v146
	v_add_f32_e32 v67, v67, v68
	v_mul_f32_e32 v68, v74, v130
	v_add_f32_e32 v91, v91, v92
	s_waitcnt vmcnt(41) lgkmcnt(0)
	v_mul_f32_e32 v92, v87, v147
	v_fma_f32 v68, v73, v137, -v68
	s_waitcnt vmcnt(40)
	v_fmac_f32_e32 v92, v88, v148
	v_add_f32_e32 v67, v67, v68
	v_mul_f32_e32 v68, v76, v131
	v_add_f32_e32 v95, v91, v92
	ds_read_b128 v[91:94], v66 offset:368
	v_fma_f32 v68, v75, v138, -v68
	v_add_f32_e32 v67, v67, v68
	v_mul_f32_e32 v68, v78, v132
	s_waitcnt vmcnt(39)
	v_mul_f32_e32 v96, v89, v149
	v_fma_f32 v68, v77, v139, -v68
	s_waitcnt vmcnt(38)
	v_fmac_f32_e32 v96, v90, v150
	v_add_f32_e32 v67, v67, v68
	v_mul_f32_e32 v68, v80, v133
	v_add_f32_e32 v99, v95, v96
	ds_read_b128 v[95:98], v66 offset:384
	v_fma_f32 v68, v79, v140, -v68
	s_waitcnt vmcnt(35) lgkmcnt(1)
	v_mul_f32_e32 v100, v91, v153
	v_add_f32_e32 v67, v67, v68
	v_mul_f32_e32 v68, v82, v141
	s_waitcnt vmcnt(34)
	v_fmac_f32_e32 v100, v92, v154
	v_fma_f32 v68, v81, v142, -v68
	v_add_f32_e32 v99, v99, v100
	s_waitcnt vmcnt(32)
	v_mul_f32_e32 v100, v93, v156
	v_add_f32_e32 v67, v67, v68
	v_mul_f32_e32 v68, v84, v143
	v_fmac_f32_e32 v100, v94, v155
	v_fma_f32 v68, v83, v144, -v68
	v_add_f32_e32 v99, v99, v100
	s_waitcnt vmcnt(30) lgkmcnt(0)
	v_mul_f32_e32 v100, v95, v158
	v_add_f32_e32 v67, v67, v68
	v_mul_f32_e32 v68, v86, v145
	v_fmac_f32_e32 v100, v96, v157
	v_fma_f32 v68, v85, v146, -v68
	v_add_f32_e32 v103, v99, v100
	ds_read_b128 v[99:102], v66 offset:400
	v_add_f32_e32 v67, v67, v68
	v_mul_f32_e32 v68, v88, v147
	v_fma_f32 v68, v87, v148, -v68
	s_waitcnt vmcnt(29)
	v_mul_f32_e32 v104, v97, v159
	v_add_f32_e32 v67, v67, v68
	v_mul_f32_e32 v68, v90, v149
	s_waitcnt vmcnt(28)
	v_fmac_f32_e32 v104, v98, v160
	v_fma_f32 v68, v89, v150, -v68
	v_add_f32_e32 v107, v103, v104
	ds_read_b128 v[103:106], v66 offset:416
	v_add_f32_e32 v67, v67, v68
	v_mul_f32_e32 v68, v92, v153
	s_waitcnt vmcnt(26) lgkmcnt(1)
	v_mul_f32_e32 v108, v99, v162
	v_fma_f32 v68, v91, v154, -v68
	v_fmac_f32_e32 v108, v100, v161
	v_add_f32_e32 v67, v67, v68
	v_mul_f32_e32 v68, v94, v156
	v_add_f32_e32 v107, v107, v108
	s_waitcnt vmcnt(24)
	v_mul_f32_e32 v108, v101, v164
	v_fma_f32 v68, v93, v155, -v68
	v_fmac_f32_e32 v108, v102, v163
	v_add_f32_e32 v67, v67, v68
	v_mul_f32_e32 v68, v96, v158
	v_add_f32_e32 v107, v107, v108
	s_waitcnt vmcnt(22) lgkmcnt(0)
	v_mul_f32_e32 v108, v103, v166
	v_fma_f32 v68, v95, v157, -v68
	v_fmac_f32_e32 v108, v104, v165
	v_add_f32_e32 v67, v67, v68
	v_mul_f32_e32 v68, v98, v159
	v_add_f32_e32 v111, v107, v108
	ds_read_b128 v[107:110], v66 offset:432
	v_fma_f32 v68, v97, v160, -v68
	v_add_f32_e32 v67, v67, v68
	v_mul_f32_e32 v68, v100, v162
	s_waitcnt vmcnt(20)
	v_mul_f32_e32 v112, v105, v168
	v_fma_f32 v68, v99, v161, -v68
	v_fmac_f32_e32 v112, v106, v167
	v_add_f32_e32 v67, v67, v68
	v_mul_f32_e32 v68, v102, v164
	v_add_f32_e32 v115, v111, v112
	ds_read_b128 v[111:114], v66 offset:448
	v_fma_f32 v68, v101, v163, -v68
	s_waitcnt vmcnt(18) lgkmcnt(1)
	v_mul_f32_e32 v116, v107, v170
	v_add_f32_e32 v67, v67, v68
	v_mul_f32_e32 v68, v104, v166
	v_fmac_f32_e32 v116, v108, v169
	v_fma_f32 v68, v103, v165, -v68
	v_add_f32_e32 v115, v115, v116
	s_waitcnt vmcnt(16)
	v_mul_f32_e32 v116, v109, v172
	v_add_f32_e32 v67, v67, v68
	v_mul_f32_e32 v68, v106, v168
	v_fmac_f32_e32 v116, v110, v171
	v_fma_f32 v68, v105, v167, -v68
	v_add_f32_e32 v115, v115, v116
	s_waitcnt vmcnt(14) lgkmcnt(0)
	v_mul_f32_e32 v116, v111, v174
	v_add_f32_e32 v67, v67, v68
	v_mul_f32_e32 v68, v108, v170
	v_fmac_f32_e32 v116, v112, v173
	v_fma_f32 v68, v107, v169, -v68
	v_add_f32_e32 v119, v115, v116
	ds_read_b128 v[115:118], v66 offset:464
	v_add_f32_e32 v67, v67, v68
	v_mul_f32_e32 v68, v110, v172
	v_fma_f32 v68, v109, v171, -v68
	v_add_f32_e32 v67, v67, v68
	v_mul_f32_e32 v68, v112, v174
	s_waitcnt vmcnt(12)
	v_mul_f32_e32 v120, v113, v176
	v_fma_f32 v68, v111, v173, -v68
	v_fmac_f32_e32 v120, v114, v175
	v_add_f32_e32 v67, v67, v68
	v_mul_f32_e32 v68, v114, v176
	v_add_f32_e32 v123, v119, v120
	ds_read_b128 v[119:122], v66 offset:480
	s_waitcnt vmcnt(10) lgkmcnt(1)
	v_mul_f32_e32 v124, v115, v178
	v_fma_f32 v68, v113, v175, -v68
	v_fmac_f32_e32 v124, v116, v177
	v_add_f32_e32 v67, v67, v68
	v_mul_f32_e32 v68, v116, v178
	v_add_f32_e32 v123, v123, v124
	s_waitcnt vmcnt(8)
	v_mul_f32_e32 v124, v117, v180
	v_fma_f32 v68, v115, v177, -v68
	v_fmac_f32_e32 v124, v118, v179
	v_add_f32_e32 v67, v67, v68
	v_mul_f32_e32 v68, v118, v180
	v_add_f32_e32 v189, v123, v124
	ds_read_b128 v[123:126], v66 offset:496
	v_fma_f32 v68, v117, v179, -v68
	v_add_f32_e32 v67, v67, v68
	s_waitcnt vmcnt(6) lgkmcnt(1)
	v_mul_f32_e32 v68, v120, v182
	v_mul_f32_e32 v190, v119, v182
	v_fma_f32 v68, v119, v181, -v68
	v_fmac_f32_e32 v190, v120, v181
	v_add_f32_e32 v67, v67, v68
	s_waitcnt vmcnt(4)
	v_mul_f32_e32 v68, v122, v184
	v_add_f32_e32 v66, v189, v190
	v_mul_f32_e32 v189, v121, v184
	v_fma_f32 v68, v121, v183, -v68
	v_fmac_f32_e32 v189, v122, v183
	v_add_f32_e32 v67, v67, v68
	s_waitcnt vmcnt(2) lgkmcnt(0)
	v_mul_f32_e32 v68, v124, v186
	v_add_f32_e32 v66, v66, v189
	v_mul_f32_e32 v189, v123, v186
	v_fma_f32 v68, v123, v185, -v68
	v_fmac_f32_e32 v189, v124, v185
	v_add_f32_e32 v67, v67, v68
	s_waitcnt vmcnt(0)
	v_mul_f32_e32 v68, v126, v188
	v_add_f32_e32 v66, v66, v189
	v_mul_f32_e32 v189, v125, v188
	v_fma_f32 v68, v125, v187, -v68
	v_fmac_f32_e32 v189, v126, v187
	v_add_f32_e32 v67, v67, v68
	v_add_f32_e32 v66, v66, v189
	v_sub_f32_e32 v67, v151, v67
	v_sub_f32_e32 v66, v152, v66
	buffer_store_dword v67, off, s[0:3], 0 offset:8
	buffer_store_dword v66, off, s[0:3], 0 offset:12
	s_and_saveexec_b64 s[4:5], vcc
	s_cbranch_execz .LBB31_205
; %bb.204:
	buffer_load_dword v66, off, s[0:3], 0
	buffer_load_dword v67, off, s[0:3], 0 offset:4
	v_mov_b32_e32 v0, 0
	buffer_store_dword v0, off, s[0:3], 0
	buffer_store_dword v0, off, s[0:3], 0 offset:4
	s_waitcnt vmcnt(2)
	ds_write_b64 v65, v[66:67]
.LBB31_205:
	s_or_b64 exec, exec, s[4:5]
	s_waitcnt lgkmcnt(0)
	; wave barrier
	buffer_load_dword v127, off, s[0:3], 0 offset:12
	buffer_load_dword v128, off, s[0:3], 0 offset:20
	;; [unrolled: 1-line block ×22, first 2 shown]
	buffer_load_dword v149, off, s[0:3], 0
	buffer_load_dword v150, off, s[0:3], 0 offset:4
	buffer_load_dword v151, off, s[0:3], 0 offset:100
	buffer_load_dword v152, off, s[0:3], 0 offset:96
	buffer_load_dword v153, off, s[0:3], 0 offset:104
	buffer_load_dword v154, off, s[0:3], 0 offset:108
	buffer_load_dword v155, off, s[0:3], 0 offset:112
	buffer_load_dword v156, off, s[0:3], 0 offset:116
	buffer_load_dword v157, off, s[0:3], 0 offset:120
	buffer_load_dword v158, off, s[0:3], 0 offset:124
	buffer_load_dword v159, off, s[0:3], 0 offset:128
	buffer_load_dword v160, off, s[0:3], 0 offset:132
	buffer_load_dword v161, off, s[0:3], 0 offset:136
	buffer_load_dword v162, off, s[0:3], 0 offset:140
	buffer_load_dword v163, off, s[0:3], 0 offset:144
	buffer_load_dword v164, off, s[0:3], 0 offset:148
	buffer_load_dword v165, off, s[0:3], 0 offset:152
	buffer_load_dword v166, off, s[0:3], 0 offset:156
	buffer_load_dword v167, off, s[0:3], 0 offset:160
	buffer_load_dword v168, off, s[0:3], 0 offset:164
	buffer_load_dword v169, off, s[0:3], 0 offset:168
	buffer_load_dword v170, off, s[0:3], 0 offset:172
	buffer_load_dword v171, off, s[0:3], 0 offset:176
	buffer_load_dword v172, off, s[0:3], 0 offset:180
	buffer_load_dword v173, off, s[0:3], 0 offset:184
	buffer_load_dword v174, off, s[0:3], 0 offset:188
	buffer_load_dword v175, off, s[0:3], 0 offset:192
	buffer_load_dword v176, off, s[0:3], 0 offset:196
	buffer_load_dword v177, off, s[0:3], 0 offset:200
	buffer_load_dword v178, off, s[0:3], 0 offset:204
	buffer_load_dword v179, off, s[0:3], 0 offset:208
	buffer_load_dword v180, off, s[0:3], 0 offset:212
	buffer_load_dword v181, off, s[0:3], 0 offset:216
	buffer_load_dword v182, off, s[0:3], 0 offset:220
	v_mov_b32_e32 v0, 0
	ds_read2_b64 v[65:68], v0 offset0:33 offset1:34
	buffer_load_dword v183, off, s[0:3], 0 offset:224
	buffer_load_dword v184, off, s[0:3], 0 offset:228
	;; [unrolled: 1-line block ×4, first 2 shown]
	ds_read2_b64 v[69:72], v0 offset0:35 offset1:36
	ds_read2_b64 v[73:76], v0 offset0:37 offset1:38
	;; [unrolled: 1-line block ×3, first 2 shown]
	s_and_b64 vcc, exec, s[22:23]
	s_waitcnt vmcnt(59) lgkmcnt(3)
	v_mul_f32_e32 v81, v65, v127
	s_waitcnt vmcnt(58)
	v_mul_f32_e32 v82, v67, v128
	s_waitcnt vmcnt(57) lgkmcnt(2)
	v_mul_f32_e32 v83, v69, v129
	s_waitcnt vmcnt(56)
	v_mul_f32_e32 v84, v71, v130
	;; [unrolled: 4-line block ×4, first 2 shown]
	s_waitcnt vmcnt(51)
	v_fmac_f32_e32 v81, v66, v135
	s_waitcnt vmcnt(50)
	v_fmac_f32_e32 v82, v68, v136
	v_add_f32_e32 v81, 0, v81
	s_waitcnt vmcnt(49)
	v_fmac_f32_e32 v83, v70, v137
	v_add_f32_e32 v81, v81, v82
	s_waitcnt vmcnt(48)
	v_fmac_f32_e32 v84, v72, v138
	v_add_f32_e32 v81, v81, v83
	s_waitcnt vmcnt(47)
	v_fmac_f32_e32 v85, v74, v139
	v_add_f32_e32 v81, v81, v84
	s_waitcnt vmcnt(46)
	v_fmac_f32_e32 v86, v76, v140
	v_add_f32_e32 v81, v81, v85
	s_waitcnt vmcnt(45)
	v_fmac_f32_e32 v87, v78, v141
	v_add_f32_e32 v81, v81, v86
	v_add_f32_e32 v85, v81, v87
	ds_read2_b64 v[81:84], v0 offset0:41 offset1:42
	buffer_load_dword v187, off, s[0:3], 0 offset:244
	buffer_load_dword v188, off, s[0:3], 0 offset:240
	;; [unrolled: 1-line block ×4, first 2 shown]
	s_waitcnt vmcnt(48)
	v_fmac_f32_e32 v88, v80, v142
	v_add_f32_e32 v89, v85, v88
	ds_read2_b64 v[85:88], v0 offset0:43 offset1:44
	s_waitcnt vmcnt(47) lgkmcnt(1)
	v_mul_f32_e32 v90, v81, v143
	v_mul_f32_e32 v66, v66, v127
	s_waitcnt vmcnt(46)
	v_fmac_f32_e32 v90, v82, v144
	v_fma_f32 v65, v65, v135, -v66
	v_mul_f32_e32 v66, v68, v128
	v_add_f32_e32 v89, v89, v90
	s_waitcnt vmcnt(45)
	v_mul_f32_e32 v90, v83, v145
	v_add_f32_e32 v65, 0, v65
	v_fma_f32 v66, v67, v136, -v66
	s_waitcnt vmcnt(44)
	v_fmac_f32_e32 v90, v84, v146
	v_add_f32_e32 v65, v65, v66
	v_mul_f32_e32 v66, v70, v129
	v_add_f32_e32 v89, v89, v90
	s_waitcnt vmcnt(42) lgkmcnt(0)
	v_mul_f32_e32 v90, v85, v148
	v_fma_f32 v66, v69, v137, -v66
	v_fmac_f32_e32 v90, v86, v147
	v_add_f32_e32 v65, v65, v66
	v_mul_f32_e32 v66, v72, v130
	v_add_f32_e32 v93, v89, v90
	ds_read2_b64 v[89:92], v0 offset0:45 offset1:46
	v_fma_f32 v66, v71, v138, -v66
	v_add_f32_e32 v65, v65, v66
	v_mul_f32_e32 v66, v74, v131
	s_waitcnt vmcnt(39)
	v_mul_f32_e32 v94, v87, v151
	v_fma_f32 v66, v73, v139, -v66
	s_waitcnt vmcnt(38)
	v_fmac_f32_e32 v94, v88, v152
	v_add_f32_e32 v65, v65, v66
	v_mul_f32_e32 v66, v76, v132
	v_add_f32_e32 v97, v93, v94
	ds_read2_b64 v[93:96], v0 offset0:47 offset1:48
	v_fma_f32 v66, v75, v140, -v66
	s_waitcnt vmcnt(36) lgkmcnt(1)
	v_mul_f32_e32 v98, v89, v154
	v_add_f32_e32 v65, v65, v66
	v_mul_f32_e32 v66, v78, v133
	v_fmac_f32_e32 v98, v90, v153
	v_fma_f32 v66, v77, v141, -v66
	v_add_f32_e32 v97, v97, v98
	s_waitcnt vmcnt(34)
	v_mul_f32_e32 v98, v91, v156
	v_add_f32_e32 v65, v65, v66
	v_mul_f32_e32 v66, v80, v134
	v_fmac_f32_e32 v98, v92, v155
	v_fma_f32 v66, v79, v142, -v66
	v_add_f32_e32 v97, v97, v98
	s_waitcnt vmcnt(32) lgkmcnt(0)
	v_mul_f32_e32 v98, v93, v158
	v_add_f32_e32 v65, v65, v66
	v_mul_f32_e32 v66, v82, v143
	v_fmac_f32_e32 v98, v94, v157
	v_fma_f32 v66, v81, v144, -v66
	v_add_f32_e32 v101, v97, v98
	ds_read2_b64 v[97:100], v0 offset0:49 offset1:50
	v_add_f32_e32 v65, v65, v66
	v_mul_f32_e32 v66, v84, v145
	v_fma_f32 v66, v83, v146, -v66
	s_waitcnt vmcnt(30)
	v_mul_f32_e32 v102, v95, v160
	v_add_f32_e32 v65, v65, v66
	v_mul_f32_e32 v66, v86, v148
	v_fmac_f32_e32 v102, v96, v159
	v_fma_f32 v66, v85, v147, -v66
	v_add_f32_e32 v105, v101, v102
	ds_read2_b64 v[101:104], v0 offset0:51 offset1:52
	v_add_f32_e32 v65, v65, v66
	v_mul_f32_e32 v66, v88, v151
	s_waitcnt vmcnt(28) lgkmcnt(1)
	v_mul_f32_e32 v106, v97, v162
	v_fma_f32 v66, v87, v152, -v66
	v_fmac_f32_e32 v106, v98, v161
	v_add_f32_e32 v65, v65, v66
	v_mul_f32_e32 v66, v90, v154
	v_add_f32_e32 v105, v105, v106
	s_waitcnt vmcnt(26)
	v_mul_f32_e32 v106, v99, v164
	v_fma_f32 v66, v89, v153, -v66
	v_fmac_f32_e32 v106, v100, v163
	v_add_f32_e32 v65, v65, v66
	v_mul_f32_e32 v66, v92, v156
	v_add_f32_e32 v105, v105, v106
	s_waitcnt vmcnt(24) lgkmcnt(0)
	v_mul_f32_e32 v106, v101, v166
	v_fma_f32 v66, v91, v155, -v66
	v_fmac_f32_e32 v106, v102, v165
	v_add_f32_e32 v65, v65, v66
	v_mul_f32_e32 v66, v94, v158
	v_add_f32_e32 v109, v105, v106
	ds_read2_b64 v[105:108], v0 offset0:53 offset1:54
	v_fma_f32 v66, v93, v157, -v66
	v_add_f32_e32 v65, v65, v66
	v_mul_f32_e32 v66, v96, v160
	s_waitcnt vmcnt(22)
	v_mul_f32_e32 v110, v103, v168
	v_fma_f32 v66, v95, v159, -v66
	v_fmac_f32_e32 v110, v104, v167
	v_add_f32_e32 v65, v65, v66
	v_mul_f32_e32 v66, v98, v162
	v_add_f32_e32 v113, v109, v110
	ds_read2_b64 v[109:112], v0 offset0:55 offset1:56
	v_fma_f32 v66, v97, v161, -v66
	s_waitcnt vmcnt(20) lgkmcnt(1)
	v_mul_f32_e32 v114, v105, v170
	v_add_f32_e32 v65, v65, v66
	v_mul_f32_e32 v66, v100, v164
	v_fmac_f32_e32 v114, v106, v169
	v_fma_f32 v66, v99, v163, -v66
	v_add_f32_e32 v113, v113, v114
	s_waitcnt vmcnt(18)
	v_mul_f32_e32 v114, v107, v172
	v_add_f32_e32 v65, v65, v66
	v_mul_f32_e32 v66, v102, v166
	v_fmac_f32_e32 v114, v108, v171
	v_fma_f32 v66, v101, v165, -v66
	v_add_f32_e32 v113, v113, v114
	s_waitcnt vmcnt(16) lgkmcnt(0)
	v_mul_f32_e32 v114, v109, v174
	v_add_f32_e32 v65, v65, v66
	v_mul_f32_e32 v66, v104, v168
	v_fmac_f32_e32 v114, v110, v173
	v_fma_f32 v66, v103, v167, -v66
	v_add_f32_e32 v117, v113, v114
	ds_read2_b64 v[113:116], v0 offset0:57 offset1:58
	v_add_f32_e32 v65, v65, v66
	v_mul_f32_e32 v66, v106, v170
	v_fma_f32 v66, v105, v169, -v66
	s_waitcnt vmcnt(14)
	v_mul_f32_e32 v118, v111, v176
	v_add_f32_e32 v65, v65, v66
	v_mul_f32_e32 v66, v108, v172
	v_fmac_f32_e32 v118, v112, v175
	v_fma_f32 v66, v107, v171, -v66
	v_add_f32_e32 v121, v117, v118
	ds_read2_b64 v[117:120], v0 offset0:59 offset1:60
	v_add_f32_e32 v65, v65, v66
	v_mul_f32_e32 v66, v110, v174
	s_waitcnt vmcnt(12) lgkmcnt(1)
	v_mul_f32_e32 v122, v113, v178
	v_fma_f32 v66, v109, v173, -v66
	v_fmac_f32_e32 v122, v114, v177
	v_add_f32_e32 v65, v65, v66
	v_mul_f32_e32 v66, v112, v176
	v_add_f32_e32 v121, v121, v122
	s_waitcnt vmcnt(10)
	v_mul_f32_e32 v122, v115, v180
	v_fma_f32 v66, v111, v175, -v66
	v_fmac_f32_e32 v122, v116, v179
	v_add_f32_e32 v65, v65, v66
	v_mul_f32_e32 v66, v114, v178
	v_add_f32_e32 v121, v121, v122
	s_waitcnt vmcnt(8) lgkmcnt(0)
	v_mul_f32_e32 v122, v117, v182
	v_fma_f32 v66, v113, v177, -v66
	v_fmac_f32_e32 v122, v118, v181
	v_add_f32_e32 v65, v65, v66
	v_mul_f32_e32 v66, v116, v180
	v_add_f32_e32 v125, v121, v122
	ds_read2_b64 v[121:124], v0 offset0:61 offset1:62
	v_fma_f32 v66, v115, v179, -v66
	v_add_f32_e32 v65, v65, v66
	v_mul_f32_e32 v66, v118, v182
	s_waitcnt vmcnt(6)
	v_mul_f32_e32 v126, v119, v184
	v_fma_f32 v66, v117, v181, -v66
	v_fmac_f32_e32 v126, v120, v183
	v_add_f32_e32 v65, v65, v66
	v_mul_f32_e32 v66, v120, v184
	v_add_f32_e32 v191, v125, v126
	ds_read_b64 v[125:126], v0 offset:504
	v_fma_f32 v66, v119, v183, -v66
	v_add_f32_e32 v65, v65, v66
	s_waitcnt vmcnt(4) lgkmcnt(1)
	v_mul_f32_e32 v66, v122, v186
	v_mul_f32_e32 v192, v121, v186
	v_fma_f32 v66, v121, v185, -v66
	v_fmac_f32_e32 v192, v122, v185
	v_add_f32_e32 v65, v65, v66
	s_waitcnt vmcnt(3)
	v_mul_f32_e32 v66, v124, v187
	v_add_f32_e32 v191, v191, v192
	v_mul_f32_e32 v192, v123, v187
	s_waitcnt vmcnt(2)
	v_fma_f32 v66, v123, v188, -v66
	v_fmac_f32_e32 v192, v124, v188
	v_add_f32_e32 v65, v65, v66
	s_waitcnt vmcnt(0) lgkmcnt(0)
	v_mul_f32_e32 v66, v126, v190
	v_add_f32_e32 v191, v191, v192
	v_mul_f32_e32 v192, v125, v190
	v_fma_f32 v66, v125, v189, -v66
	v_fmac_f32_e32 v192, v126, v189
	v_add_f32_e32 v65, v65, v66
	v_add_f32_e32 v191, v191, v192
	v_sub_f32_e32 v65, v149, v65
	v_sub_f32_e32 v66, v150, v191
	buffer_store_dword v65, off, s[0:3], 0
	buffer_store_dword v66, off, s[0:3], 0 offset:4
	s_cbranch_vccz .LBB31_268
; %bb.206:
	global_load_dword v0, v0, s[20:21] offset:120
	s_waitcnt vmcnt(0)
	v_add_u32_e32 v0, -1, v0
	v_cmp_ne_u32_e32 vcc, 30, v0
	s_cbranch_vccz .LBB31_208
; %bb.207:
	v_lshlrev_b32_e32 v0, 3, v0
	buffer_load_dword v65, v0, s[0:3], 0 offen
	buffer_load_dword v66, v0, s[0:3], 0 offen offset:4
	buffer_load_dword v67, off, s[0:3], 0 offset:244
	buffer_load_dword v68, off, s[0:3], 0 offset:240
	s_waitcnt vmcnt(3)
	buffer_store_dword v65, off, s[0:3], 0 offset:240
	s_waitcnt vmcnt(3)
	buffer_store_dword v66, off, s[0:3], 0 offset:244
	s_waitcnt vmcnt(3)
	buffer_store_dword v67, v0, s[0:3], 0 offen offset:4
	s_waitcnt vmcnt(3)
	buffer_store_dword v68, v0, s[0:3], 0 offen
.LBB31_208:
	v_mov_b32_e32 v0, 0
	global_load_dword v65, v0, s[20:21] offset:116
	s_waitcnt vmcnt(0)
	v_add_u32_e32 v65, -1, v65
	v_cmp_eq_u32_e32 vcc, 29, v65
	s_cbranch_vccnz .LBB31_210
; %bb.209:
	v_lshlrev_b32_e32 v65, 3, v65
	buffer_load_dword v66, v65, s[0:3], 0 offen
	buffer_load_dword v67, v65, s[0:3], 0 offen offset:4
	buffer_load_dword v68, off, s[0:3], 0 offset:232
	buffer_load_dword v69, off, s[0:3], 0 offset:236
	s_waitcnt vmcnt(3)
	buffer_store_dword v66, off, s[0:3], 0 offset:232
	s_waitcnt vmcnt(3)
	buffer_store_dword v67, off, s[0:3], 0 offset:236
	s_waitcnt vmcnt(3)
	buffer_store_dword v68, v65, s[0:3], 0 offen
	s_waitcnt vmcnt(3)
	buffer_store_dword v69, v65, s[0:3], 0 offen offset:4
.LBB31_210:
	global_load_dword v0, v0, s[20:21] offset:112
	s_waitcnt vmcnt(0)
	v_add_u32_e32 v0, -1, v0
	v_cmp_eq_u32_e32 vcc, 28, v0
	s_cbranch_vccnz .LBB31_212
; %bb.211:
	v_lshlrev_b32_e32 v0, 3, v0
	buffer_load_dword v65, v0, s[0:3], 0 offen
	buffer_load_dword v66, v0, s[0:3], 0 offen offset:4
	buffer_load_dword v67, off, s[0:3], 0 offset:228
	buffer_load_dword v68, off, s[0:3], 0 offset:224
	s_waitcnt vmcnt(3)
	buffer_store_dword v65, off, s[0:3], 0 offset:224
	s_waitcnt vmcnt(3)
	buffer_store_dword v66, off, s[0:3], 0 offset:228
	s_waitcnt vmcnt(3)
	buffer_store_dword v67, v0, s[0:3], 0 offen offset:4
	s_waitcnt vmcnt(3)
	buffer_store_dword v68, v0, s[0:3], 0 offen
.LBB31_212:
	v_mov_b32_e32 v0, 0
	global_load_dword v65, v0, s[20:21] offset:108
	s_waitcnt vmcnt(0)
	v_add_u32_e32 v65, -1, v65
	v_cmp_eq_u32_e32 vcc, 27, v65
	s_cbranch_vccnz .LBB31_214
; %bb.213:
	v_lshlrev_b32_e32 v65, 3, v65
	buffer_load_dword v66, v65, s[0:3], 0 offen
	buffer_load_dword v67, v65, s[0:3], 0 offen offset:4
	buffer_load_dword v68, off, s[0:3], 0 offset:216
	buffer_load_dword v69, off, s[0:3], 0 offset:220
	s_waitcnt vmcnt(3)
	buffer_store_dword v66, off, s[0:3], 0 offset:216
	s_waitcnt vmcnt(3)
	buffer_store_dword v67, off, s[0:3], 0 offset:220
	s_waitcnt vmcnt(3)
	buffer_store_dword v68, v65, s[0:3], 0 offen
	s_waitcnt vmcnt(3)
	buffer_store_dword v69, v65, s[0:3], 0 offen offset:4
.LBB31_214:
	global_load_dword v0, v0, s[20:21] offset:104
	s_waitcnt vmcnt(0)
	v_add_u32_e32 v0, -1, v0
	v_cmp_eq_u32_e32 vcc, 26, v0
	s_cbranch_vccnz .LBB31_216
; %bb.215:
	v_lshlrev_b32_e32 v0, 3, v0
	buffer_load_dword v65, v0, s[0:3], 0 offen
	buffer_load_dword v66, v0, s[0:3], 0 offen offset:4
	buffer_load_dword v67, off, s[0:3], 0 offset:212
	buffer_load_dword v68, off, s[0:3], 0 offset:208
	s_waitcnt vmcnt(3)
	buffer_store_dword v65, off, s[0:3], 0 offset:208
	s_waitcnt vmcnt(3)
	buffer_store_dword v66, off, s[0:3], 0 offset:212
	s_waitcnt vmcnt(3)
	buffer_store_dword v67, v0, s[0:3], 0 offen offset:4
	s_waitcnt vmcnt(3)
	buffer_store_dword v68, v0, s[0:3], 0 offen
.LBB31_216:
	;; [unrolled: 41-line block ×14, first 2 shown]
	v_mov_b32_e32 v0, 0
	global_load_dword v65, v0, s[20:21] offset:4
	s_waitcnt vmcnt(0)
	v_add_u32_e32 v65, -1, v65
	v_cmp_eq_u32_e32 vcc, 1, v65
	s_cbranch_vccnz .LBB31_266
; %bb.265:
	v_lshlrev_b32_e32 v65, 3, v65
	buffer_load_dword v66, v65, s[0:3], 0 offen
	buffer_load_dword v67, v65, s[0:3], 0 offen offset:4
	buffer_load_dword v68, off, s[0:3], 0 offset:8
	buffer_load_dword v69, off, s[0:3], 0 offset:12
	s_waitcnt vmcnt(3)
	buffer_store_dword v66, off, s[0:3], 0 offset:8
	s_waitcnt vmcnt(3)
	buffer_store_dword v67, off, s[0:3], 0 offset:12
	s_waitcnt vmcnt(3)
	buffer_store_dword v68, v65, s[0:3], 0 offen
	s_waitcnt vmcnt(3)
	buffer_store_dword v69, v65, s[0:3], 0 offen offset:4
.LBB31_266:
	global_load_dword v0, v0, s[20:21]
	s_waitcnt vmcnt(0)
	v_add_u32_e32 v0, -1, v0
	v_cmp_eq_u32_e32 vcc, 0, v0
	s_cbranch_vccnz .LBB31_268
; %bb.267:
	v_lshlrev_b32_e32 v0, 3, v0
	buffer_load_dword v65, v0, s[0:3], 0 offen
	buffer_load_dword v66, v0, s[0:3], 0 offen offset:4
	buffer_load_dword v67, off, s[0:3], 0 offset:4
	buffer_load_dword v68, off, s[0:3], 0
	s_waitcnt vmcnt(3)
	buffer_store_dword v65, off, s[0:3], 0
	s_waitcnt vmcnt(3)
	buffer_store_dword v66, off, s[0:3], 0 offset:4
	s_waitcnt vmcnt(3)
	buffer_store_dword v67, v0, s[0:3], 0 offen offset:4
	s_waitcnt vmcnt(3)
	buffer_store_dword v68, v0, s[0:3], 0 offen
.LBB31_268:
	buffer_load_dword v65, off, s[0:3], 0
	buffer_load_dword v66, off, s[0:3], 0 offset:4
	buffer_load_dword v67, off, s[0:3], 0 offset:8
	s_nop 0
	buffer_load_dword v68, off, s[0:3], 0 offset:12
	buffer_load_dword v69, off, s[0:3], 0 offset:16
	;; [unrolled: 1-line block ×61, first 2 shown]
	s_waitcnt vmcnt(62)
	global_store_dwordx2 v[55:56], v[65:66], off
	s_waitcnt vmcnt(61)
	global_store_dwordx2 v[57:58], v[67:68], off
	;; [unrolled: 2-line block ×9, first 2 shown]
	global_store_dwordx2 v[15:16], v[83:84], off
	global_store_dwordx2 v[17:18], v[85:86], off
	global_store_dwordx2 v[19:20], v[87:88], off
	s_waitcnt vmcnt(50)
	global_store_dwordx2 v[21:22], v[89:90], off
	s_waitcnt vmcnt(49)
	global_store_dwordx2 v[23:24], v[91:92], off
	;; [unrolled: 2-line block ×20, first 2 shown]
	s_endpgm
	.section	.rodata,"a",@progbits
	.p2align	6, 0x0
	.amdhsa_kernel _ZN9rocsolver6v33100L18getri_kernel_smallILi32E19rocblas_complex_numIfEPS3_EEvT1_iilPiilS6_bb
		.amdhsa_group_segment_fixed_size 516
		.amdhsa_private_segment_fixed_size 272
		.amdhsa_kernarg_size 60
		.amdhsa_user_sgpr_count 6
		.amdhsa_user_sgpr_private_segment_buffer 1
		.amdhsa_user_sgpr_dispatch_ptr 0
		.amdhsa_user_sgpr_queue_ptr 0
		.amdhsa_user_sgpr_kernarg_segment_ptr 1
		.amdhsa_user_sgpr_dispatch_id 0
		.amdhsa_user_sgpr_flat_scratch_init 0
		.amdhsa_user_sgpr_private_segment_size 0
		.amdhsa_uses_dynamic_stack 0
		.amdhsa_system_sgpr_private_segment_wavefront_offset 1
		.amdhsa_system_sgpr_workgroup_id_x 1
		.amdhsa_system_sgpr_workgroup_id_y 0
		.amdhsa_system_sgpr_workgroup_id_z 0
		.amdhsa_system_sgpr_workgroup_info 0
		.amdhsa_system_vgpr_workitem_id 0
		.amdhsa_next_free_vgpr 193
		.amdhsa_next_free_sgpr 24
		.amdhsa_reserve_vcc 1
		.amdhsa_reserve_flat_scratch 0
		.amdhsa_float_round_mode_32 0
		.amdhsa_float_round_mode_16_64 0
		.amdhsa_float_denorm_mode_32 3
		.amdhsa_float_denorm_mode_16_64 3
		.amdhsa_dx10_clamp 1
		.amdhsa_ieee_mode 1
		.amdhsa_fp16_overflow 0
		.amdhsa_exception_fp_ieee_invalid_op 0
		.amdhsa_exception_fp_denorm_src 0
		.amdhsa_exception_fp_ieee_div_zero 0
		.amdhsa_exception_fp_ieee_overflow 0
		.amdhsa_exception_fp_ieee_underflow 0
		.amdhsa_exception_fp_ieee_inexact 0
		.amdhsa_exception_int_div_zero 0
	.end_amdhsa_kernel
	.section	.text._ZN9rocsolver6v33100L18getri_kernel_smallILi32E19rocblas_complex_numIfEPS3_EEvT1_iilPiilS6_bb,"axG",@progbits,_ZN9rocsolver6v33100L18getri_kernel_smallILi32E19rocblas_complex_numIfEPS3_EEvT1_iilPiilS6_bb,comdat
.Lfunc_end31:
	.size	_ZN9rocsolver6v33100L18getri_kernel_smallILi32E19rocblas_complex_numIfEPS3_EEvT1_iilPiilS6_bb, .Lfunc_end31-_ZN9rocsolver6v33100L18getri_kernel_smallILi32E19rocblas_complex_numIfEPS3_EEvT1_iilPiilS6_bb
                                        ; -- End function
	.set _ZN9rocsolver6v33100L18getri_kernel_smallILi32E19rocblas_complex_numIfEPS3_EEvT1_iilPiilS6_bb.num_vgpr, 193
	.set _ZN9rocsolver6v33100L18getri_kernel_smallILi32E19rocblas_complex_numIfEPS3_EEvT1_iilPiilS6_bb.num_agpr, 0
	.set _ZN9rocsolver6v33100L18getri_kernel_smallILi32E19rocblas_complex_numIfEPS3_EEvT1_iilPiilS6_bb.numbered_sgpr, 24
	.set _ZN9rocsolver6v33100L18getri_kernel_smallILi32E19rocblas_complex_numIfEPS3_EEvT1_iilPiilS6_bb.num_named_barrier, 0
	.set _ZN9rocsolver6v33100L18getri_kernel_smallILi32E19rocblas_complex_numIfEPS3_EEvT1_iilPiilS6_bb.private_seg_size, 272
	.set _ZN9rocsolver6v33100L18getri_kernel_smallILi32E19rocblas_complex_numIfEPS3_EEvT1_iilPiilS6_bb.uses_vcc, 1
	.set _ZN9rocsolver6v33100L18getri_kernel_smallILi32E19rocblas_complex_numIfEPS3_EEvT1_iilPiilS6_bb.uses_flat_scratch, 0
	.set _ZN9rocsolver6v33100L18getri_kernel_smallILi32E19rocblas_complex_numIfEPS3_EEvT1_iilPiilS6_bb.has_dyn_sized_stack, 0
	.set _ZN9rocsolver6v33100L18getri_kernel_smallILi32E19rocblas_complex_numIfEPS3_EEvT1_iilPiilS6_bb.has_recursion, 0
	.set _ZN9rocsolver6v33100L18getri_kernel_smallILi32E19rocblas_complex_numIfEPS3_EEvT1_iilPiilS6_bb.has_indirect_call, 0
	.section	.AMDGPU.csdata,"",@progbits
; Kernel info:
; codeLenInByte = 44556
; TotalNumSgprs: 28
; NumVgprs: 193
; ScratchSize: 272
; MemoryBound: 0
; FloatMode: 240
; IeeeMode: 1
; LDSByteSize: 516 bytes/workgroup (compile time only)
; SGPRBlocks: 3
; VGPRBlocks: 48
; NumSGPRsForWavesPerEU: 28
; NumVGPRsForWavesPerEU: 193
; Occupancy: 1
; WaveLimiterHint : 1
; COMPUTE_PGM_RSRC2:SCRATCH_EN: 1
; COMPUTE_PGM_RSRC2:USER_SGPR: 6
; COMPUTE_PGM_RSRC2:TRAP_HANDLER: 0
; COMPUTE_PGM_RSRC2:TGID_X_EN: 1
; COMPUTE_PGM_RSRC2:TGID_Y_EN: 0
; COMPUTE_PGM_RSRC2:TGID_Z_EN: 0
; COMPUTE_PGM_RSRC2:TIDIG_COMP_CNT: 0
	.section	.text._ZN9rocsolver6v33100L18getri_kernel_smallILi33E19rocblas_complex_numIfEPS3_EEvT1_iilPiilS6_bb,"axG",@progbits,_ZN9rocsolver6v33100L18getri_kernel_smallILi33E19rocblas_complex_numIfEPS3_EEvT1_iilPiilS6_bb,comdat
	.globl	_ZN9rocsolver6v33100L18getri_kernel_smallILi33E19rocblas_complex_numIfEPS3_EEvT1_iilPiilS6_bb ; -- Begin function _ZN9rocsolver6v33100L18getri_kernel_smallILi33E19rocblas_complex_numIfEPS3_EEvT1_iilPiilS6_bb
	.p2align	8
	.type	_ZN9rocsolver6v33100L18getri_kernel_smallILi33E19rocblas_complex_numIfEPS3_EEvT1_iilPiilS6_bb,@function
_ZN9rocsolver6v33100L18getri_kernel_smallILi33E19rocblas_complex_numIfEPS3_EEvT1_iilPiilS6_bb: ; @_ZN9rocsolver6v33100L18getri_kernel_smallILi33E19rocblas_complex_numIfEPS3_EEvT1_iilPiilS6_bb
; %bb.0:
	s_add_u32 s0, s0, s7
	s_addc_u32 s1, s1, 0
	v_cmp_gt_u32_e32 vcc, 33, v0
	s_and_saveexec_b64 s[8:9], vcc
	s_cbranch_execz .LBB32_146
; %bb.1:
	s_load_dword s12, s[4:5], 0x38
	s_load_dwordx4 s[16:19], s[4:5], 0x10
	s_load_dwordx4 s[8:11], s[4:5], 0x28
                                        ; implicit-def: $sgpr20_sgpr21
	s_waitcnt lgkmcnt(0)
	s_bitcmp1_b32 s12, 8
	s_cselect_b64 s[22:23], -1, 0
	s_ashr_i32 s7, s6, 31
	s_bfe_u32 s12, s12, 0x10008
	s_cmp_eq_u32 s12, 0
	s_cbranch_scc1 .LBB32_3
; %bb.2:
	s_load_dword s12, s[4:5], 0x20
	s_mul_i32 s13, s8, s7
	s_mul_hi_u32 s14, s8, s6
	s_mul_i32 s9, s9, s6
	s_add_i32 s14, s14, s13
	s_add_i32 s9, s14, s9
	s_mul_i32 s8, s8, s6
	s_waitcnt lgkmcnt(0)
	s_ashr_i32 s13, s12, 31
	s_lshl_b64 s[8:9], s[8:9], 2
	s_add_u32 s14, s18, s8
	s_addc_u32 s15, s19, s9
	s_lshl_b64 s[8:9], s[12:13], 2
	s_add_u32 s20, s14, s8
	s_addc_u32 s21, s15, s9
.LBB32_3:
	s_load_dwordx4 s[12:15], s[4:5], 0x0
	s_load_dword s8, s[4:5], 0x38
	s_mul_i32 s9, s16, s7
	s_mul_hi_u32 s18, s16, s6
	s_add_i32 s9, s18, s9
	s_waitcnt lgkmcnt(0)
	s_ashr_i32 s5, s14, 31
	s_mov_b32 s4, s14
	s_mul_i32 s14, s17, s6
	s_add_i32 s17, s9, s14
	s_mul_i32 s16, s16, s6
	s_lshl_b64 s[16:17], s[16:17], 3
	s_add_u32 s9, s12, s16
	s_addc_u32 s12, s13, s17
	s_lshl_b64 s[4:5], s[4:5], 3
	s_add_u32 s4, s9, s4
	s_addc_u32 s5, s12, s5
	s_add_i32 s9, s15, s15
	v_add_u32_e32 v3, s9, v0
	v_ashrrev_i32_e32 v4, 31, v3
	v_lshlrev_b64 v[1:2], 3, v[3:4]
	v_add_u32_e32 v5, s15, v3
	v_mov_b32_e32 v4, s5
	v_add_co_u32_e32 v1, vcc, s4, v1
	v_ashrrev_i32_e32 v6, 31, v5
	v_addc_co_u32_e32 v2, vcc, v4, v2, vcc
	v_lshlrev_b64 v[3:4], 3, v[5:6]
	v_add_u32_e32 v7, s15, v5
	v_mov_b32_e32 v6, s5
	v_add_co_u32_e32 v3, vcc, s4, v3
	v_ashrrev_i32_e32 v8, 31, v7
	v_addc_co_u32_e32 v4, vcc, v6, v4, vcc
	;; [unrolled: 6-line block ×8, first 2 shown]
	v_lshlrev_b64 v[17:18], 3, v[19:20]
	v_mov_b32_e32 v21, s5
	v_add_co_u32_e32 v17, vcc, s4, v17
	v_addc_co_u32_e32 v18, vcc, v21, v18, vcc
	v_add_u32_e32 v21, s15, v19
	v_ashrrev_i32_e32 v22, 31, v21
	v_lshlrev_b64 v[19:20], 3, v[21:22]
	v_mov_b32_e32 v23, s5
	v_add_co_u32_e32 v19, vcc, s4, v19
	v_addc_co_u32_e32 v20, vcc, v23, v20, vcc
	v_add_u32_e32 v23, s15, v21
	v_ashrrev_i32_e32 v24, 31, v23
	;; [unrolled: 6-line block ×18, first 2 shown]
	v_lshlrev_b64 v[53:54], 3, v[55:56]
	v_mov_b32_e32 v57, s5
	v_add_co_u32_e32 v53, vcc, s4, v53
	v_addc_co_u32_e32 v54, vcc, v57, v54, vcc
	v_lshlrev_b32_e32 v69, 3, v0
	v_add_u32_e32 v61, s15, v55
	v_mov_b32_e32 v55, s5
	v_add_co_u32_e32 v57, vcc, s4, v69
	s_ashr_i32 s13, s15, 31
	s_mov_b32 s12, s15
	v_addc_co_u32_e32 v58, vcc, 0, v55, vcc
	s_lshl_b64 s[12:13], s[12:13], 3
	v_mov_b32_e32 v55, s13
	v_add_co_u32_e32 v59, vcc, s12, v57
	v_ashrrev_i32_e32 v62, 31, v61
	v_addc_co_u32_e32 v60, vcc, v58, v55, vcc
	v_lshlrev_b64 v[55:56], 3, v[61:62]
	v_mov_b32_e32 v63, s5
	v_add_co_u32_e32 v55, vcc, s4, v55
	v_addc_co_u32_e32 v56, vcc, v63, v56, vcc
	v_add_u32_e32 v63, s15, v61
	v_ashrrev_i32_e32 v64, 31, v63
	v_lshlrev_b64 v[61:62], 3, v[63:64]
	v_mov_b32_e32 v65, s5
	v_add_co_u32_e32 v61, vcc, s4, v61
	v_addc_co_u32_e32 v62, vcc, v65, v62, vcc
	v_add_u32_e32 v65, s15, v63
	v_ashrrev_i32_e32 v66, 31, v65
	v_lshlrev_b64 v[63:64], 3, v[65:66]
	v_mov_b32_e32 v116, s5
	v_add_co_u32_e32 v63, vcc, s4, v63
	global_load_dwordx2 v[67:68], v69, s[4:5]
	global_load_dwordx2 v[70:71], v[59:60], off
	global_load_dwordx2 v[72:73], v[1:2], off
	;; [unrolled: 1-line block ×23, first 2 shown]
	v_addc_co_u32_e32 v64, vcc, v116, v64, vcc
	global_load_dwordx2 v[116:117], v[45:46], off
	global_load_dwordx2 v[118:119], v[47:48], off
	;; [unrolled: 1-line block ×8, first 2 shown]
	v_add_u32_e32 v65, s15, v65
	v_ashrrev_i32_e32 v66, 31, v65
	v_lshlrev_b64 v[65:66], 3, v[65:66]
	v_mov_b32_e32 v132, s5
	v_add_co_u32_e32 v65, vcc, s4, v65
	v_addc_co_u32_e32 v66, vcc, v132, v66, vcc
	global_load_dwordx2 v[132:133], v[65:66], off
	s_bitcmp0_b32 s8, 0
	s_mov_b64 s[8:9], -1
	s_waitcnt vmcnt(32)
	buffer_store_dword v68, off, s[0:3], 0 offset:4
	buffer_store_dword v67, off, s[0:3], 0
	s_waitcnt vmcnt(33)
	buffer_store_dword v71, off, s[0:3], 0 offset:12
	buffer_store_dword v70, off, s[0:3], 0 offset:8
	s_waitcnt vmcnt(34)
	buffer_store_dword v73, off, s[0:3], 0 offset:20
	buffer_store_dword v72, off, s[0:3], 0 offset:16
	;; [unrolled: 3-line block ×31, first 2 shown]
	buffer_store_dword v133, off, s[0:3], 0 offset:260
	buffer_store_dword v132, off, s[0:3], 0 offset:256
	s_cbranch_scc1 .LBB32_144
; %bb.4:
	v_cmp_eq_u32_e64 s[4:5], 0, v0
	s_and_saveexec_b64 s[8:9], s[4:5]
; %bb.5:
	v_mov_b32_e32 v67, 0
	ds_write_b32 v67, v67 offset:264
; %bb.6:
	s_or_b64 exec, exec, s[8:9]
	v_mov_b32_e32 v67, 0
	v_lshl_add_u32 v71, v0, 3, v67
	s_waitcnt lgkmcnt(0)
	; wave barrier
	buffer_load_dword v67, v71, s[0:3], 0 offen
	buffer_load_dword v68, v71, s[0:3], 0 offen offset:4
	s_waitcnt vmcnt(1)
	v_cmp_eq_f32_e32 vcc, 0, v67
	s_waitcnt vmcnt(0)
	v_cmp_eq_f32_e64 s[8:9], 0, v68
	s_and_b64 s[8:9], vcc, s[8:9]
	s_and_saveexec_b64 s[12:13], s[8:9]
	s_cbranch_execz .LBB32_10
; %bb.7:
	v_mov_b32_e32 v67, 0
	ds_read_b32 v70, v67 offset:264
	v_add_u32_e32 v68, 1, v0
	s_waitcnt lgkmcnt(0)
	v_readfirstlane_b32 s8, v70
	s_cmp_eq_u32 s8, 0
	s_cselect_b64 s[14:15], -1, 0
	v_cmp_gt_i32_e32 vcc, s8, v68
	s_or_b64 s[14:15], s[14:15], vcc
	s_and_b64 exec, exec, s[14:15]
	s_cbranch_execz .LBB32_10
; %bb.8:
	s_mov_b64 s[14:15], 0
	v_mov_b32_e32 v70, s8
.LBB32_9:                               ; =>This Inner Loop Header: Depth=1
	ds_cmpst_rtn_b32 v70, v67, v70, v68 offset:264
	s_waitcnt lgkmcnt(0)
	v_cmp_ne_u32_e32 vcc, 0, v70
	v_cmp_le_i32_e64 s[8:9], v70, v68
	s_and_b64 s[8:9], vcc, s[8:9]
	s_and_b64 s[8:9], exec, s[8:9]
	s_or_b64 s[14:15], s[8:9], s[14:15]
	s_andn2_b64 exec, exec, s[14:15]
	s_cbranch_execnz .LBB32_9
.LBB32_10:
	s_or_b64 exec, exec, s[12:13]
	v_mov_b32_e32 v68, 0
	; wave barrier
	ds_read_b32 v67, v68 offset:264
	s_and_saveexec_b64 s[8:9], s[4:5]
	s_cbranch_execz .LBB32_12
; %bb.11:
	s_lshl_b64 s[12:13], s[6:7], 2
	s_add_u32 s12, s10, s12
	s_addc_u32 s13, s11, s13
	s_waitcnt lgkmcnt(0)
	global_store_dword v68, v67, s[12:13]
.LBB32_12:
	s_or_b64 exec, exec, s[8:9]
	s_waitcnt lgkmcnt(0)
	v_cmp_ne_u32_e32 vcc, 0, v67
	s_mov_b64 s[8:9], 0
	s_cbranch_vccnz .LBB32_144
; %bb.13:
	buffer_load_dword v68, v71, s[0:3], 0 offen
	buffer_load_dword v70, v71, s[0:3], 0 offen offset:4
                                        ; implicit-def: $vgpr73
                                        ; implicit-def: $vgpr72
                                        ; implicit-def: $vgpr67
	s_waitcnt vmcnt(0)
	v_cmp_ngt_f32_e64 s[8:9], |v68|, |v70|
	s_and_saveexec_b64 s[12:13], s[8:9]
	s_xor_b64 s[8:9], exec, s[12:13]
	s_cbranch_execz .LBB32_15
; %bb.14:
	v_div_scale_f32 v67, s[12:13], v70, v70, v68
	v_div_scale_f32 v72, vcc, v68, v70, v68
	v_rcp_f32_e32 v73, v67
	v_fma_f32 v74, -v67, v73, 1.0
	v_fmac_f32_e32 v73, v74, v73
	v_mul_f32_e32 v74, v72, v73
	v_fma_f32 v75, -v67, v74, v72
	v_fmac_f32_e32 v74, v75, v73
	v_fma_f32 v67, -v67, v74, v72
	v_div_fmas_f32 v67, v67, v73, v74
	v_div_fixup_f32 v67, v67, v70, v68
	v_fmac_f32_e32 v70, v68, v67
	v_div_scale_f32 v68, s[12:13], v70, v70, 1.0
	v_div_scale_f32 v72, vcc, 1.0, v70, 1.0
	v_rcp_f32_e32 v73, v68
	v_fma_f32 v74, -v68, v73, 1.0
	v_fmac_f32_e32 v73, v74, v73
	v_mul_f32_e32 v74, v72, v73
	v_fma_f32 v75, -v68, v74, v72
	v_fmac_f32_e32 v74, v75, v73
	v_fma_f32 v68, -v68, v74, v72
	v_div_fmas_f32 v68, v68, v73, v74
	v_div_fixup_f32 v68, v68, v70, 1.0
	v_mul_f32_e32 v73, v67, v68
	v_xor_b32_e32 v72, 0x80000000, v68
	v_xor_b32_e32 v67, 0x80000000, v73
                                        ; implicit-def: $vgpr68
                                        ; implicit-def: $vgpr70
.LBB32_15:
	s_andn2_saveexec_b64 s[8:9], s[8:9]
	s_cbranch_execz .LBB32_17
; %bb.16:
	v_div_scale_f32 v67, s[12:13], v68, v68, v70
	v_div_scale_f32 v72, vcc, v70, v68, v70
	v_rcp_f32_e32 v73, v67
	v_fma_f32 v74, -v67, v73, 1.0
	v_fmac_f32_e32 v73, v74, v73
	v_mul_f32_e32 v74, v72, v73
	v_fma_f32 v75, -v67, v74, v72
	v_fmac_f32_e32 v74, v75, v73
	v_fma_f32 v67, -v67, v74, v72
	v_div_fmas_f32 v67, v67, v73, v74
	v_div_fixup_f32 v72, v67, v68, v70
	v_fmac_f32_e32 v68, v70, v72
	v_div_scale_f32 v67, s[12:13], v68, v68, 1.0
	v_div_scale_f32 v70, vcc, 1.0, v68, 1.0
	v_rcp_f32_e32 v73, v67
	v_fma_f32 v74, -v67, v73, 1.0
	v_fmac_f32_e32 v73, v74, v73
	v_mul_f32_e32 v74, v70, v73
	v_fma_f32 v75, -v67, v74, v70
	v_fmac_f32_e32 v74, v75, v73
	v_fma_f32 v67, -v67, v74, v70
	v_div_fmas_f32 v67, v67, v73, v74
	v_div_fixup_f32 v73, v67, v68, 1.0
	v_xor_b32_e32 v67, 0x80000000, v73
	v_mul_f32_e64 v72, v72, -v73
.LBB32_17:
	s_or_b64 exec, exec, s[8:9]
	buffer_store_dword v73, v71, s[0:3], 0 offen
	buffer_store_dword v72, v71, s[0:3], 0 offen offset:4
	buffer_load_dword v74, off, s[0:3], 0 offset:12
	s_nop 0
	buffer_load_dword v73, off, s[0:3], 0 offset:8
	v_xor_b32_e32 v68, 0x80000000, v72
	v_add_u32_e32 v70, 0x110, v69
	s_waitcnt vmcnt(0)
	ds_write2_b64 v69, v[67:68], v[73:74] offset1:34
	s_waitcnt lgkmcnt(0)
	; wave barrier
	s_and_saveexec_b64 s[8:9], s[4:5]
	s_cbranch_execz .LBB32_19
; %bb.18:
	buffer_load_dword v74, v71, s[0:3], 0 offen offset:4
	buffer_load_dword v75, v71, s[0:3], 0 offen
	ds_read_b64 v[67:68], v70
	v_mov_b32_e32 v72, 0
	ds_read_b64 v[72:73], v72 offset:8
	s_waitcnt vmcnt(1) lgkmcnt(1)
	v_mul_f32_e32 v76, v68, v74
	v_mul_f32_e32 v74, v67, v74
	s_waitcnt vmcnt(0)
	v_fmac_f32_e32 v74, v68, v75
	v_fma_f32 v67, v67, v75, -v76
	v_add_f32_e32 v68, 0, v74
	v_add_f32_e32 v67, 0, v67
	s_waitcnt lgkmcnt(0)
	v_mul_f32_e32 v74, v68, v73
	v_mul_f32_e32 v73, v67, v73
	v_fma_f32 v67, v67, v72, -v74
	v_fmac_f32_e32 v73, v68, v72
	buffer_store_dword v67, off, s[0:3], 0 offset:8
	buffer_store_dword v73, off, s[0:3], 0 offset:12
.LBB32_19:
	s_or_b64 exec, exec, s[8:9]
	; wave barrier
	buffer_load_dword v67, off, s[0:3], 0 offset:16
	buffer_load_dword v68, off, s[0:3], 0 offset:20
	v_cmp_gt_u32_e32 vcc, 2, v0
	s_waitcnt vmcnt(0)
	ds_write_b64 v70, v[67:68]
	s_waitcnt lgkmcnt(0)
	; wave barrier
	s_and_saveexec_b64 s[8:9], vcc
	s_cbranch_execz .LBB32_23
; %bb.20:
	buffer_load_dword v72, v71, s[0:3], 0 offen offset:4
	buffer_load_dword v73, v71, s[0:3], 0 offen
	ds_read_b64 v[67:68], v70
	s_waitcnt vmcnt(1) lgkmcnt(0)
	v_mul_f32_e32 v71, v68, v72
	v_mul_f32_e32 v72, v67, v72
	s_waitcnt vmcnt(0)
	v_fma_f32 v67, v67, v73, -v71
	v_fmac_f32_e32 v72, v68, v73
	v_add_f32_e32 v68, 0, v67
	v_add_f32_e32 v67, 0, v72
	s_and_saveexec_b64 s[12:13], s[4:5]
	s_cbranch_execz .LBB32_22
; %bb.21:
	buffer_load_dword v73, off, s[0:3], 0 offset:12
	buffer_load_dword v74, off, s[0:3], 0 offset:8
	v_mov_b32_e32 v71, 0
	ds_read_b64 v[71:72], v71 offset:280
	s_waitcnt vmcnt(1) lgkmcnt(0)
	v_mul_f32_e32 v75, v71, v73
	v_mul_f32_e32 v73, v72, v73
	s_waitcnt vmcnt(0)
	v_fmac_f32_e32 v75, v72, v74
	v_fma_f32 v71, v71, v74, -v73
	v_add_f32_e32 v67, v67, v75
	v_add_f32_e32 v68, v68, v71
.LBB32_22:
	s_or_b64 exec, exec, s[12:13]
	v_mov_b32_e32 v71, 0
	ds_read_b64 v[71:72], v71 offset:16
	s_waitcnt lgkmcnt(0)
	v_mul_f32_e32 v73, v67, v72
	v_mul_f32_e32 v72, v68, v72
	v_fma_f32 v68, v68, v71, -v73
	v_fmac_f32_e32 v72, v67, v71
	buffer_store_dword v68, off, s[0:3], 0 offset:16
	buffer_store_dword v72, off, s[0:3], 0 offset:20
.LBB32_23:
	s_or_b64 exec, exec, s[8:9]
	; wave barrier
	buffer_load_dword v67, off, s[0:3], 0 offset:24
	buffer_load_dword v68, off, s[0:3], 0 offset:28
	v_cmp_gt_u32_e32 vcc, 3, v0
	s_waitcnt vmcnt(0)
	ds_write_b64 v70, v[67:68]
	v_add_u32_e32 v67, -1, v0
	s_waitcnt lgkmcnt(0)
	; wave barrier
	s_and_saveexec_b64 s[4:5], vcc
	s_cbranch_execz .LBB32_27
; %bb.24:
	v_add_u32_e32 v71, -1, v0
	v_add_u32_e32 v72, 0x110, v69
	v_mov_b32_e32 v73, v69
	v_mov_b32_e32 v68, 0
	s_mov_b64 s[8:9], 0
	v_mov_b32_e32 v74, 0
.LBB32_25:                              ; =>This Inner Loop Header: Depth=1
	buffer_load_dword v77, v73, s[0:3], 0 offen offset:4
	buffer_load_dword v78, v73, s[0:3], 0 offen
	ds_read_b64 v[75:76], v72
	v_add_u32_e32 v71, 1, v71
	v_cmp_lt_u32_e32 vcc, 1, v71
	v_add_u32_e32 v72, 8, v72
	v_add_u32_e32 v73, 8, v73
	s_or_b64 s[8:9], vcc, s[8:9]
	s_waitcnt vmcnt(1) lgkmcnt(0)
	v_mul_f32_e32 v79, v76, v77
	v_mul_f32_e32 v77, v75, v77
	s_waitcnt vmcnt(0)
	v_fma_f32 v75, v75, v78, -v79
	v_fmac_f32_e32 v77, v76, v78
	v_add_f32_e32 v74, v74, v75
	v_add_f32_e32 v68, v68, v77
	s_andn2_b64 exec, exec, s[8:9]
	s_cbranch_execnz .LBB32_25
; %bb.26:
	s_or_b64 exec, exec, s[8:9]
	v_mov_b32_e32 v71, 0
	ds_read_b64 v[71:72], v71 offset:24
	s_waitcnt lgkmcnt(0)
	v_mul_f32_e32 v73, v68, v72
	v_mul_f32_e32 v72, v74, v72
	v_fma_f32 v73, v74, v71, -v73
	v_fmac_f32_e32 v72, v68, v71
	buffer_store_dword v73, off, s[0:3], 0 offset:24
	buffer_store_dword v72, off, s[0:3], 0 offset:28
.LBB32_27:
	s_or_b64 exec, exec, s[4:5]
	; wave barrier
	buffer_load_dword v71, off, s[0:3], 0 offset:32
	buffer_load_dword v72, off, s[0:3], 0 offset:36
	v_cmp_gt_u32_e32 vcc, 4, v0
	s_waitcnt vmcnt(0)
	ds_write_b64 v70, v[71:72]
	s_waitcnt lgkmcnt(0)
	; wave barrier
	s_and_saveexec_b64 s[4:5], vcc
	s_cbranch_execz .LBB32_31
; %bb.28:
	v_add_u32_e32 v71, -1, v0
	v_add_u32_e32 v72, 0x110, v69
	v_mov_b32_e32 v73, v69
	v_mov_b32_e32 v68, 0
	s_mov_b64 s[8:9], 0
	v_mov_b32_e32 v74, 0
.LBB32_29:                              ; =>This Inner Loop Header: Depth=1
	buffer_load_dword v77, v73, s[0:3], 0 offen offset:4
	buffer_load_dword v78, v73, s[0:3], 0 offen
	ds_read_b64 v[75:76], v72
	v_add_u32_e32 v71, 1, v71
	v_cmp_lt_u32_e32 vcc, 2, v71
	v_add_u32_e32 v72, 8, v72
	v_add_u32_e32 v73, 8, v73
	s_or_b64 s[8:9], vcc, s[8:9]
	s_waitcnt vmcnt(1) lgkmcnt(0)
	v_mul_f32_e32 v79, v76, v77
	v_mul_f32_e32 v77, v75, v77
	s_waitcnt vmcnt(0)
	v_fma_f32 v75, v75, v78, -v79
	v_fmac_f32_e32 v77, v76, v78
	v_add_f32_e32 v74, v74, v75
	v_add_f32_e32 v68, v68, v77
	s_andn2_b64 exec, exec, s[8:9]
	s_cbranch_execnz .LBB32_29
; %bb.30:
	s_or_b64 exec, exec, s[8:9]
	v_mov_b32_e32 v71, 0
	ds_read_b64 v[71:72], v71 offset:32
	s_waitcnt lgkmcnt(0)
	v_mul_f32_e32 v73, v68, v72
	v_mul_f32_e32 v72, v74, v72
	v_fma_f32 v73, v74, v71, -v73
	v_fmac_f32_e32 v72, v68, v71
	buffer_store_dword v73, off, s[0:3], 0 offset:32
	buffer_store_dword v72, off, s[0:3], 0 offset:36
.LBB32_31:
	s_or_b64 exec, exec, s[4:5]
	; wave barrier
	buffer_load_dword v71, off, s[0:3], 0 offset:40
	buffer_load_dword v72, off, s[0:3], 0 offset:44
	v_cmp_gt_u32_e32 vcc, 5, v0
	s_waitcnt vmcnt(0)
	ds_write_b64 v70, v[71:72]
	s_waitcnt lgkmcnt(0)
	; wave barrier
	s_and_saveexec_b64 s[4:5], vcc
	s_cbranch_execz .LBB32_35
; %bb.32:
	v_add_u32_e32 v71, -1, v0
	v_add_u32_e32 v72, 0x110, v69
	v_mov_b32_e32 v73, v69
	v_mov_b32_e32 v68, 0
	s_mov_b64 s[8:9], 0
	v_mov_b32_e32 v74, 0
.LBB32_33:                              ; =>This Inner Loop Header: Depth=1
	buffer_load_dword v77, v73, s[0:3], 0 offen offset:4
	buffer_load_dword v78, v73, s[0:3], 0 offen
	ds_read_b64 v[75:76], v72
	v_add_u32_e32 v71, 1, v71
	v_cmp_lt_u32_e32 vcc, 3, v71
	v_add_u32_e32 v72, 8, v72
	v_add_u32_e32 v73, 8, v73
	s_or_b64 s[8:9], vcc, s[8:9]
	s_waitcnt vmcnt(1) lgkmcnt(0)
	v_mul_f32_e32 v79, v76, v77
	v_mul_f32_e32 v77, v75, v77
	s_waitcnt vmcnt(0)
	v_fma_f32 v75, v75, v78, -v79
	v_fmac_f32_e32 v77, v76, v78
	v_add_f32_e32 v74, v74, v75
	v_add_f32_e32 v68, v68, v77
	s_andn2_b64 exec, exec, s[8:9]
	s_cbranch_execnz .LBB32_33
; %bb.34:
	s_or_b64 exec, exec, s[8:9]
	v_mov_b32_e32 v71, 0
	ds_read_b64 v[71:72], v71 offset:40
	s_waitcnt lgkmcnt(0)
	v_mul_f32_e32 v73, v68, v72
	v_mul_f32_e32 v72, v74, v72
	v_fma_f32 v73, v74, v71, -v73
	v_fmac_f32_e32 v72, v68, v71
	buffer_store_dword v73, off, s[0:3], 0 offset:40
	buffer_store_dword v72, off, s[0:3], 0 offset:44
.LBB32_35:
	s_or_b64 exec, exec, s[4:5]
	; wave barrier
	buffer_load_dword v71, off, s[0:3], 0 offset:48
	buffer_load_dword v72, off, s[0:3], 0 offset:52
	v_cmp_gt_u32_e32 vcc, 6, v0
	s_waitcnt vmcnt(0)
	ds_write_b64 v70, v[71:72]
	s_waitcnt lgkmcnt(0)
	; wave barrier
	s_and_saveexec_b64 s[4:5], vcc
	s_cbranch_execz .LBB32_39
; %bb.36:
	v_add_u32_e32 v71, -1, v0
	v_add_u32_e32 v72, 0x110, v69
	v_mov_b32_e32 v73, v69
	v_mov_b32_e32 v68, 0
	s_mov_b64 s[8:9], 0
	v_mov_b32_e32 v74, 0
.LBB32_37:                              ; =>This Inner Loop Header: Depth=1
	buffer_load_dword v77, v73, s[0:3], 0 offen offset:4
	buffer_load_dword v78, v73, s[0:3], 0 offen
	ds_read_b64 v[75:76], v72
	v_add_u32_e32 v71, 1, v71
	v_cmp_lt_u32_e32 vcc, 4, v71
	v_add_u32_e32 v72, 8, v72
	v_add_u32_e32 v73, 8, v73
	s_or_b64 s[8:9], vcc, s[8:9]
	s_waitcnt vmcnt(1) lgkmcnt(0)
	v_mul_f32_e32 v79, v76, v77
	v_mul_f32_e32 v77, v75, v77
	s_waitcnt vmcnt(0)
	v_fma_f32 v75, v75, v78, -v79
	v_fmac_f32_e32 v77, v76, v78
	v_add_f32_e32 v74, v74, v75
	v_add_f32_e32 v68, v68, v77
	s_andn2_b64 exec, exec, s[8:9]
	s_cbranch_execnz .LBB32_37
; %bb.38:
	s_or_b64 exec, exec, s[8:9]
	v_mov_b32_e32 v71, 0
	ds_read_b64 v[71:72], v71 offset:48
	s_waitcnt lgkmcnt(0)
	v_mul_f32_e32 v73, v68, v72
	v_mul_f32_e32 v72, v74, v72
	v_fma_f32 v73, v74, v71, -v73
	v_fmac_f32_e32 v72, v68, v71
	buffer_store_dword v73, off, s[0:3], 0 offset:48
	buffer_store_dword v72, off, s[0:3], 0 offset:52
.LBB32_39:
	s_or_b64 exec, exec, s[4:5]
	; wave barrier
	buffer_load_dword v71, off, s[0:3], 0 offset:56
	buffer_load_dword v72, off, s[0:3], 0 offset:60
	v_cmp_gt_u32_e32 vcc, 7, v0
	s_waitcnt vmcnt(0)
	ds_write_b64 v70, v[71:72]
	s_waitcnt lgkmcnt(0)
	; wave barrier
	s_and_saveexec_b64 s[4:5], vcc
	s_cbranch_execz .LBB32_43
; %bb.40:
	v_add_u32_e32 v71, -1, v0
	v_add_u32_e32 v72, 0x110, v69
	v_mov_b32_e32 v73, v69
	v_mov_b32_e32 v68, 0
	s_mov_b64 s[8:9], 0
	v_mov_b32_e32 v74, 0
.LBB32_41:                              ; =>This Inner Loop Header: Depth=1
	buffer_load_dword v77, v73, s[0:3], 0 offen offset:4
	buffer_load_dword v78, v73, s[0:3], 0 offen
	ds_read_b64 v[75:76], v72
	v_add_u32_e32 v71, 1, v71
	v_cmp_lt_u32_e32 vcc, 5, v71
	v_add_u32_e32 v72, 8, v72
	v_add_u32_e32 v73, 8, v73
	s_or_b64 s[8:9], vcc, s[8:9]
	s_waitcnt vmcnt(1) lgkmcnt(0)
	v_mul_f32_e32 v79, v76, v77
	v_mul_f32_e32 v77, v75, v77
	s_waitcnt vmcnt(0)
	v_fma_f32 v75, v75, v78, -v79
	v_fmac_f32_e32 v77, v76, v78
	v_add_f32_e32 v74, v74, v75
	v_add_f32_e32 v68, v68, v77
	s_andn2_b64 exec, exec, s[8:9]
	s_cbranch_execnz .LBB32_41
; %bb.42:
	s_or_b64 exec, exec, s[8:9]
	v_mov_b32_e32 v71, 0
	ds_read_b64 v[71:72], v71 offset:56
	s_waitcnt lgkmcnt(0)
	v_mul_f32_e32 v73, v68, v72
	v_mul_f32_e32 v72, v74, v72
	v_fma_f32 v73, v74, v71, -v73
	v_fmac_f32_e32 v72, v68, v71
	buffer_store_dword v73, off, s[0:3], 0 offset:56
	buffer_store_dword v72, off, s[0:3], 0 offset:60
.LBB32_43:
	s_or_b64 exec, exec, s[4:5]
	; wave barrier
	buffer_load_dword v71, off, s[0:3], 0 offset:64
	buffer_load_dword v72, off, s[0:3], 0 offset:68
	v_cmp_gt_u32_e32 vcc, 8, v0
	s_waitcnt vmcnt(0)
	ds_write_b64 v70, v[71:72]
	s_waitcnt lgkmcnt(0)
	; wave barrier
	s_and_saveexec_b64 s[4:5], vcc
	s_cbranch_execz .LBB32_47
; %bb.44:
	v_add_u32_e32 v71, -1, v0
	v_add_u32_e32 v72, 0x110, v69
	v_mov_b32_e32 v73, v69
	v_mov_b32_e32 v68, 0
	s_mov_b64 s[8:9], 0
	v_mov_b32_e32 v74, 0
.LBB32_45:                              ; =>This Inner Loop Header: Depth=1
	buffer_load_dword v77, v73, s[0:3], 0 offen offset:4
	buffer_load_dword v78, v73, s[0:3], 0 offen
	ds_read_b64 v[75:76], v72
	v_add_u32_e32 v71, 1, v71
	v_cmp_lt_u32_e32 vcc, 6, v71
	v_add_u32_e32 v72, 8, v72
	v_add_u32_e32 v73, 8, v73
	s_or_b64 s[8:9], vcc, s[8:9]
	s_waitcnt vmcnt(1) lgkmcnt(0)
	v_mul_f32_e32 v79, v76, v77
	v_mul_f32_e32 v77, v75, v77
	s_waitcnt vmcnt(0)
	v_fma_f32 v75, v75, v78, -v79
	v_fmac_f32_e32 v77, v76, v78
	v_add_f32_e32 v74, v74, v75
	v_add_f32_e32 v68, v68, v77
	s_andn2_b64 exec, exec, s[8:9]
	s_cbranch_execnz .LBB32_45
; %bb.46:
	s_or_b64 exec, exec, s[8:9]
	v_mov_b32_e32 v71, 0
	ds_read_b64 v[71:72], v71 offset:64
	s_waitcnt lgkmcnt(0)
	v_mul_f32_e32 v73, v68, v72
	v_mul_f32_e32 v72, v74, v72
	v_fma_f32 v73, v74, v71, -v73
	v_fmac_f32_e32 v72, v68, v71
	buffer_store_dword v73, off, s[0:3], 0 offset:64
	buffer_store_dword v72, off, s[0:3], 0 offset:68
.LBB32_47:
	s_or_b64 exec, exec, s[4:5]
	; wave barrier
	buffer_load_dword v71, off, s[0:3], 0 offset:72
	buffer_load_dword v72, off, s[0:3], 0 offset:76
	v_cmp_gt_u32_e32 vcc, 9, v0
	s_waitcnt vmcnt(0)
	ds_write_b64 v70, v[71:72]
	s_waitcnt lgkmcnt(0)
	; wave barrier
	s_and_saveexec_b64 s[4:5], vcc
	s_cbranch_execz .LBB32_51
; %bb.48:
	v_add_u32_e32 v71, -1, v0
	v_add_u32_e32 v72, 0x110, v69
	v_mov_b32_e32 v73, v69
	v_mov_b32_e32 v68, 0
	s_mov_b64 s[8:9], 0
	v_mov_b32_e32 v74, 0
.LBB32_49:                              ; =>This Inner Loop Header: Depth=1
	buffer_load_dword v77, v73, s[0:3], 0 offen offset:4
	buffer_load_dword v78, v73, s[0:3], 0 offen
	ds_read_b64 v[75:76], v72
	v_add_u32_e32 v71, 1, v71
	v_cmp_lt_u32_e32 vcc, 7, v71
	v_add_u32_e32 v72, 8, v72
	v_add_u32_e32 v73, 8, v73
	s_or_b64 s[8:9], vcc, s[8:9]
	s_waitcnt vmcnt(1) lgkmcnt(0)
	v_mul_f32_e32 v79, v76, v77
	v_mul_f32_e32 v77, v75, v77
	s_waitcnt vmcnt(0)
	v_fma_f32 v75, v75, v78, -v79
	v_fmac_f32_e32 v77, v76, v78
	v_add_f32_e32 v74, v74, v75
	v_add_f32_e32 v68, v68, v77
	s_andn2_b64 exec, exec, s[8:9]
	s_cbranch_execnz .LBB32_49
; %bb.50:
	s_or_b64 exec, exec, s[8:9]
	v_mov_b32_e32 v71, 0
	ds_read_b64 v[71:72], v71 offset:72
	s_waitcnt lgkmcnt(0)
	v_mul_f32_e32 v73, v68, v72
	v_mul_f32_e32 v72, v74, v72
	v_fma_f32 v73, v74, v71, -v73
	v_fmac_f32_e32 v72, v68, v71
	buffer_store_dword v73, off, s[0:3], 0 offset:72
	buffer_store_dword v72, off, s[0:3], 0 offset:76
.LBB32_51:
	s_or_b64 exec, exec, s[4:5]
	; wave barrier
	buffer_load_dword v71, off, s[0:3], 0 offset:80
	buffer_load_dword v72, off, s[0:3], 0 offset:84
	v_cmp_gt_u32_e32 vcc, 10, v0
	s_waitcnt vmcnt(0)
	ds_write_b64 v70, v[71:72]
	s_waitcnt lgkmcnt(0)
	; wave barrier
	s_and_saveexec_b64 s[4:5], vcc
	s_cbranch_execz .LBB32_55
; %bb.52:
	v_add_u32_e32 v71, -1, v0
	v_add_u32_e32 v72, 0x110, v69
	v_mov_b32_e32 v73, v69
	v_mov_b32_e32 v68, 0
	s_mov_b64 s[8:9], 0
	v_mov_b32_e32 v74, 0
.LBB32_53:                              ; =>This Inner Loop Header: Depth=1
	buffer_load_dword v77, v73, s[0:3], 0 offen offset:4
	buffer_load_dword v78, v73, s[0:3], 0 offen
	ds_read_b64 v[75:76], v72
	v_add_u32_e32 v71, 1, v71
	v_cmp_lt_u32_e32 vcc, 8, v71
	v_add_u32_e32 v72, 8, v72
	v_add_u32_e32 v73, 8, v73
	s_or_b64 s[8:9], vcc, s[8:9]
	s_waitcnt vmcnt(1) lgkmcnt(0)
	v_mul_f32_e32 v79, v76, v77
	v_mul_f32_e32 v77, v75, v77
	s_waitcnt vmcnt(0)
	v_fma_f32 v75, v75, v78, -v79
	v_fmac_f32_e32 v77, v76, v78
	v_add_f32_e32 v74, v74, v75
	v_add_f32_e32 v68, v68, v77
	s_andn2_b64 exec, exec, s[8:9]
	s_cbranch_execnz .LBB32_53
; %bb.54:
	s_or_b64 exec, exec, s[8:9]
	v_mov_b32_e32 v71, 0
	ds_read_b64 v[71:72], v71 offset:80
	s_waitcnt lgkmcnt(0)
	v_mul_f32_e32 v73, v68, v72
	v_mul_f32_e32 v72, v74, v72
	v_fma_f32 v73, v74, v71, -v73
	v_fmac_f32_e32 v72, v68, v71
	buffer_store_dword v73, off, s[0:3], 0 offset:80
	buffer_store_dword v72, off, s[0:3], 0 offset:84
.LBB32_55:
	s_or_b64 exec, exec, s[4:5]
	; wave barrier
	buffer_load_dword v71, off, s[0:3], 0 offset:88
	buffer_load_dword v72, off, s[0:3], 0 offset:92
	v_cmp_gt_u32_e32 vcc, 11, v0
	s_waitcnt vmcnt(0)
	ds_write_b64 v70, v[71:72]
	s_waitcnt lgkmcnt(0)
	; wave barrier
	s_and_saveexec_b64 s[4:5], vcc
	s_cbranch_execz .LBB32_59
; %bb.56:
	v_add_u32_e32 v71, -1, v0
	v_add_u32_e32 v72, 0x110, v69
	v_mov_b32_e32 v73, v69
	v_mov_b32_e32 v68, 0
	s_mov_b64 s[8:9], 0
	v_mov_b32_e32 v74, 0
.LBB32_57:                              ; =>This Inner Loop Header: Depth=1
	buffer_load_dword v77, v73, s[0:3], 0 offen offset:4
	buffer_load_dword v78, v73, s[0:3], 0 offen
	ds_read_b64 v[75:76], v72
	v_add_u32_e32 v71, 1, v71
	v_cmp_lt_u32_e32 vcc, 9, v71
	v_add_u32_e32 v72, 8, v72
	v_add_u32_e32 v73, 8, v73
	s_or_b64 s[8:9], vcc, s[8:9]
	s_waitcnt vmcnt(1) lgkmcnt(0)
	v_mul_f32_e32 v79, v76, v77
	v_mul_f32_e32 v77, v75, v77
	s_waitcnt vmcnt(0)
	v_fma_f32 v75, v75, v78, -v79
	v_fmac_f32_e32 v77, v76, v78
	v_add_f32_e32 v74, v74, v75
	v_add_f32_e32 v68, v68, v77
	s_andn2_b64 exec, exec, s[8:9]
	s_cbranch_execnz .LBB32_57
; %bb.58:
	s_or_b64 exec, exec, s[8:9]
	v_mov_b32_e32 v71, 0
	ds_read_b64 v[71:72], v71 offset:88
	s_waitcnt lgkmcnt(0)
	v_mul_f32_e32 v73, v68, v72
	v_mul_f32_e32 v72, v74, v72
	v_fma_f32 v73, v74, v71, -v73
	v_fmac_f32_e32 v72, v68, v71
	buffer_store_dword v73, off, s[0:3], 0 offset:88
	buffer_store_dword v72, off, s[0:3], 0 offset:92
.LBB32_59:
	s_or_b64 exec, exec, s[4:5]
	; wave barrier
	buffer_load_dword v71, off, s[0:3], 0 offset:96
	buffer_load_dword v72, off, s[0:3], 0 offset:100
	v_cmp_gt_u32_e32 vcc, 12, v0
	s_waitcnt vmcnt(0)
	ds_write_b64 v70, v[71:72]
	s_waitcnt lgkmcnt(0)
	; wave barrier
	s_and_saveexec_b64 s[4:5], vcc
	s_cbranch_execz .LBB32_63
; %bb.60:
	v_add_u32_e32 v71, -1, v0
	v_add_u32_e32 v72, 0x110, v69
	v_mov_b32_e32 v73, v69
	v_mov_b32_e32 v68, 0
	s_mov_b64 s[8:9], 0
	v_mov_b32_e32 v74, 0
.LBB32_61:                              ; =>This Inner Loop Header: Depth=1
	buffer_load_dword v77, v73, s[0:3], 0 offen offset:4
	buffer_load_dword v78, v73, s[0:3], 0 offen
	ds_read_b64 v[75:76], v72
	v_add_u32_e32 v71, 1, v71
	v_cmp_lt_u32_e32 vcc, 10, v71
	v_add_u32_e32 v72, 8, v72
	v_add_u32_e32 v73, 8, v73
	s_or_b64 s[8:9], vcc, s[8:9]
	s_waitcnt vmcnt(1) lgkmcnt(0)
	v_mul_f32_e32 v79, v76, v77
	v_mul_f32_e32 v77, v75, v77
	s_waitcnt vmcnt(0)
	v_fma_f32 v75, v75, v78, -v79
	v_fmac_f32_e32 v77, v76, v78
	v_add_f32_e32 v74, v74, v75
	v_add_f32_e32 v68, v68, v77
	s_andn2_b64 exec, exec, s[8:9]
	s_cbranch_execnz .LBB32_61
; %bb.62:
	s_or_b64 exec, exec, s[8:9]
	v_mov_b32_e32 v71, 0
	ds_read_b64 v[71:72], v71 offset:96
	s_waitcnt lgkmcnt(0)
	v_mul_f32_e32 v73, v68, v72
	v_mul_f32_e32 v72, v74, v72
	v_fma_f32 v73, v74, v71, -v73
	v_fmac_f32_e32 v72, v68, v71
	buffer_store_dword v73, off, s[0:3], 0 offset:96
	buffer_store_dword v72, off, s[0:3], 0 offset:100
.LBB32_63:
	s_or_b64 exec, exec, s[4:5]
	; wave barrier
	buffer_load_dword v71, off, s[0:3], 0 offset:104
	buffer_load_dword v72, off, s[0:3], 0 offset:108
	v_cmp_gt_u32_e32 vcc, 13, v0
	s_waitcnt vmcnt(0)
	ds_write_b64 v70, v[71:72]
	s_waitcnt lgkmcnt(0)
	; wave barrier
	s_and_saveexec_b64 s[4:5], vcc
	s_cbranch_execz .LBB32_67
; %bb.64:
	v_add_u32_e32 v71, -1, v0
	v_add_u32_e32 v72, 0x110, v69
	v_mov_b32_e32 v73, v69
	v_mov_b32_e32 v68, 0
	s_mov_b64 s[8:9], 0
	v_mov_b32_e32 v74, 0
.LBB32_65:                              ; =>This Inner Loop Header: Depth=1
	buffer_load_dword v77, v73, s[0:3], 0 offen offset:4
	buffer_load_dword v78, v73, s[0:3], 0 offen
	ds_read_b64 v[75:76], v72
	v_add_u32_e32 v71, 1, v71
	v_cmp_lt_u32_e32 vcc, 11, v71
	v_add_u32_e32 v72, 8, v72
	v_add_u32_e32 v73, 8, v73
	s_or_b64 s[8:9], vcc, s[8:9]
	s_waitcnt vmcnt(1) lgkmcnt(0)
	v_mul_f32_e32 v79, v76, v77
	v_mul_f32_e32 v77, v75, v77
	s_waitcnt vmcnt(0)
	v_fma_f32 v75, v75, v78, -v79
	v_fmac_f32_e32 v77, v76, v78
	v_add_f32_e32 v74, v74, v75
	v_add_f32_e32 v68, v68, v77
	s_andn2_b64 exec, exec, s[8:9]
	s_cbranch_execnz .LBB32_65
; %bb.66:
	s_or_b64 exec, exec, s[8:9]
	v_mov_b32_e32 v71, 0
	ds_read_b64 v[71:72], v71 offset:104
	s_waitcnt lgkmcnt(0)
	v_mul_f32_e32 v73, v68, v72
	v_mul_f32_e32 v72, v74, v72
	v_fma_f32 v73, v74, v71, -v73
	v_fmac_f32_e32 v72, v68, v71
	buffer_store_dword v73, off, s[0:3], 0 offset:104
	buffer_store_dword v72, off, s[0:3], 0 offset:108
.LBB32_67:
	s_or_b64 exec, exec, s[4:5]
	; wave barrier
	buffer_load_dword v71, off, s[0:3], 0 offset:112
	buffer_load_dword v72, off, s[0:3], 0 offset:116
	v_cmp_gt_u32_e32 vcc, 14, v0
	s_waitcnt vmcnt(0)
	ds_write_b64 v70, v[71:72]
	s_waitcnt lgkmcnt(0)
	; wave barrier
	s_and_saveexec_b64 s[4:5], vcc
	s_cbranch_execz .LBB32_71
; %bb.68:
	v_add_u32_e32 v71, -1, v0
	v_add_u32_e32 v72, 0x110, v69
	v_mov_b32_e32 v73, v69
	v_mov_b32_e32 v68, 0
	s_mov_b64 s[8:9], 0
	v_mov_b32_e32 v74, 0
.LBB32_69:                              ; =>This Inner Loop Header: Depth=1
	buffer_load_dword v77, v73, s[0:3], 0 offen offset:4
	buffer_load_dword v78, v73, s[0:3], 0 offen
	ds_read_b64 v[75:76], v72
	v_add_u32_e32 v71, 1, v71
	v_cmp_lt_u32_e32 vcc, 12, v71
	v_add_u32_e32 v72, 8, v72
	v_add_u32_e32 v73, 8, v73
	s_or_b64 s[8:9], vcc, s[8:9]
	s_waitcnt vmcnt(1) lgkmcnt(0)
	v_mul_f32_e32 v79, v76, v77
	v_mul_f32_e32 v77, v75, v77
	s_waitcnt vmcnt(0)
	v_fma_f32 v75, v75, v78, -v79
	v_fmac_f32_e32 v77, v76, v78
	v_add_f32_e32 v74, v74, v75
	v_add_f32_e32 v68, v68, v77
	s_andn2_b64 exec, exec, s[8:9]
	s_cbranch_execnz .LBB32_69
; %bb.70:
	s_or_b64 exec, exec, s[8:9]
	v_mov_b32_e32 v71, 0
	ds_read_b64 v[71:72], v71 offset:112
	s_waitcnt lgkmcnt(0)
	v_mul_f32_e32 v73, v68, v72
	v_mul_f32_e32 v72, v74, v72
	v_fma_f32 v73, v74, v71, -v73
	v_fmac_f32_e32 v72, v68, v71
	buffer_store_dword v73, off, s[0:3], 0 offset:112
	buffer_store_dword v72, off, s[0:3], 0 offset:116
.LBB32_71:
	s_or_b64 exec, exec, s[4:5]
	; wave barrier
	buffer_load_dword v71, off, s[0:3], 0 offset:120
	buffer_load_dword v72, off, s[0:3], 0 offset:124
	v_cmp_gt_u32_e32 vcc, 15, v0
	s_waitcnt vmcnt(0)
	ds_write_b64 v70, v[71:72]
	s_waitcnt lgkmcnt(0)
	; wave barrier
	s_and_saveexec_b64 s[4:5], vcc
	s_cbranch_execz .LBB32_75
; %bb.72:
	v_add_u32_e32 v71, -1, v0
	v_add_u32_e32 v72, 0x110, v69
	v_mov_b32_e32 v73, v69
	v_mov_b32_e32 v68, 0
	s_mov_b64 s[8:9], 0
	v_mov_b32_e32 v74, 0
.LBB32_73:                              ; =>This Inner Loop Header: Depth=1
	buffer_load_dword v77, v73, s[0:3], 0 offen offset:4
	buffer_load_dword v78, v73, s[0:3], 0 offen
	ds_read_b64 v[75:76], v72
	v_add_u32_e32 v71, 1, v71
	v_cmp_lt_u32_e32 vcc, 13, v71
	v_add_u32_e32 v72, 8, v72
	v_add_u32_e32 v73, 8, v73
	s_or_b64 s[8:9], vcc, s[8:9]
	s_waitcnt vmcnt(1) lgkmcnt(0)
	v_mul_f32_e32 v79, v76, v77
	v_mul_f32_e32 v77, v75, v77
	s_waitcnt vmcnt(0)
	v_fma_f32 v75, v75, v78, -v79
	v_fmac_f32_e32 v77, v76, v78
	v_add_f32_e32 v74, v74, v75
	v_add_f32_e32 v68, v68, v77
	s_andn2_b64 exec, exec, s[8:9]
	s_cbranch_execnz .LBB32_73
; %bb.74:
	s_or_b64 exec, exec, s[8:9]
	v_mov_b32_e32 v71, 0
	ds_read_b64 v[71:72], v71 offset:120
	s_waitcnt lgkmcnt(0)
	v_mul_f32_e32 v73, v68, v72
	v_mul_f32_e32 v72, v74, v72
	v_fma_f32 v73, v74, v71, -v73
	v_fmac_f32_e32 v72, v68, v71
	buffer_store_dword v73, off, s[0:3], 0 offset:120
	buffer_store_dword v72, off, s[0:3], 0 offset:124
.LBB32_75:
	s_or_b64 exec, exec, s[4:5]
	; wave barrier
	buffer_load_dword v71, off, s[0:3], 0 offset:128
	buffer_load_dword v72, off, s[0:3], 0 offset:132
	v_cmp_gt_u32_e32 vcc, 16, v0
	s_waitcnt vmcnt(0)
	ds_write_b64 v70, v[71:72]
	s_waitcnt lgkmcnt(0)
	; wave barrier
	s_and_saveexec_b64 s[4:5], vcc
	s_cbranch_execz .LBB32_79
; %bb.76:
	v_add_u32_e32 v71, -1, v0
	v_add_u32_e32 v72, 0x110, v69
	v_mov_b32_e32 v73, v69
	v_mov_b32_e32 v68, 0
	s_mov_b64 s[8:9], 0
	v_mov_b32_e32 v74, 0
.LBB32_77:                              ; =>This Inner Loop Header: Depth=1
	buffer_load_dword v77, v73, s[0:3], 0 offen offset:4
	buffer_load_dword v78, v73, s[0:3], 0 offen
	ds_read_b64 v[75:76], v72
	v_add_u32_e32 v71, 1, v71
	v_cmp_lt_u32_e32 vcc, 14, v71
	v_add_u32_e32 v72, 8, v72
	v_add_u32_e32 v73, 8, v73
	s_or_b64 s[8:9], vcc, s[8:9]
	s_waitcnt vmcnt(1) lgkmcnt(0)
	v_mul_f32_e32 v79, v76, v77
	v_mul_f32_e32 v77, v75, v77
	s_waitcnt vmcnt(0)
	v_fma_f32 v75, v75, v78, -v79
	v_fmac_f32_e32 v77, v76, v78
	v_add_f32_e32 v74, v74, v75
	v_add_f32_e32 v68, v68, v77
	s_andn2_b64 exec, exec, s[8:9]
	s_cbranch_execnz .LBB32_77
; %bb.78:
	s_or_b64 exec, exec, s[8:9]
	v_mov_b32_e32 v71, 0
	ds_read_b64 v[71:72], v71 offset:128
	s_waitcnt lgkmcnt(0)
	v_mul_f32_e32 v73, v68, v72
	v_mul_f32_e32 v72, v74, v72
	v_fma_f32 v73, v74, v71, -v73
	v_fmac_f32_e32 v72, v68, v71
	buffer_store_dword v73, off, s[0:3], 0 offset:128
	buffer_store_dword v72, off, s[0:3], 0 offset:132
.LBB32_79:
	s_or_b64 exec, exec, s[4:5]
	; wave barrier
	buffer_load_dword v71, off, s[0:3], 0 offset:136
	buffer_load_dword v72, off, s[0:3], 0 offset:140
	v_cmp_gt_u32_e32 vcc, 17, v0
	s_waitcnt vmcnt(0)
	ds_write_b64 v70, v[71:72]
	s_waitcnt lgkmcnt(0)
	; wave barrier
	s_and_saveexec_b64 s[4:5], vcc
	s_cbranch_execz .LBB32_83
; %bb.80:
	v_add_u32_e32 v71, -1, v0
	v_add_u32_e32 v72, 0x110, v69
	v_mov_b32_e32 v73, v69
	v_mov_b32_e32 v68, 0
	s_mov_b64 s[8:9], 0
	v_mov_b32_e32 v74, 0
.LBB32_81:                              ; =>This Inner Loop Header: Depth=1
	buffer_load_dword v77, v73, s[0:3], 0 offen offset:4
	buffer_load_dword v78, v73, s[0:3], 0 offen
	ds_read_b64 v[75:76], v72
	v_add_u32_e32 v71, 1, v71
	v_cmp_lt_u32_e32 vcc, 15, v71
	v_add_u32_e32 v72, 8, v72
	v_add_u32_e32 v73, 8, v73
	s_or_b64 s[8:9], vcc, s[8:9]
	s_waitcnt vmcnt(1) lgkmcnt(0)
	v_mul_f32_e32 v79, v76, v77
	v_mul_f32_e32 v77, v75, v77
	s_waitcnt vmcnt(0)
	v_fma_f32 v75, v75, v78, -v79
	v_fmac_f32_e32 v77, v76, v78
	v_add_f32_e32 v74, v74, v75
	v_add_f32_e32 v68, v68, v77
	s_andn2_b64 exec, exec, s[8:9]
	s_cbranch_execnz .LBB32_81
; %bb.82:
	s_or_b64 exec, exec, s[8:9]
	v_mov_b32_e32 v71, 0
	ds_read_b64 v[71:72], v71 offset:136
	s_waitcnt lgkmcnt(0)
	v_mul_f32_e32 v73, v68, v72
	v_mul_f32_e32 v72, v74, v72
	v_fma_f32 v73, v74, v71, -v73
	v_fmac_f32_e32 v72, v68, v71
	buffer_store_dword v73, off, s[0:3], 0 offset:136
	buffer_store_dword v72, off, s[0:3], 0 offset:140
.LBB32_83:
	s_or_b64 exec, exec, s[4:5]
	; wave barrier
	buffer_load_dword v71, off, s[0:3], 0 offset:144
	buffer_load_dword v72, off, s[0:3], 0 offset:148
	v_cmp_gt_u32_e32 vcc, 18, v0
	s_waitcnt vmcnt(0)
	ds_write_b64 v70, v[71:72]
	s_waitcnt lgkmcnt(0)
	; wave barrier
	s_and_saveexec_b64 s[4:5], vcc
	s_cbranch_execz .LBB32_87
; %bb.84:
	v_add_u32_e32 v71, -1, v0
	v_add_u32_e32 v72, 0x110, v69
	v_mov_b32_e32 v73, v69
	v_mov_b32_e32 v68, 0
	s_mov_b64 s[8:9], 0
	v_mov_b32_e32 v74, 0
.LBB32_85:                              ; =>This Inner Loop Header: Depth=1
	buffer_load_dword v77, v73, s[0:3], 0 offen offset:4
	buffer_load_dword v78, v73, s[0:3], 0 offen
	ds_read_b64 v[75:76], v72
	v_add_u32_e32 v71, 1, v71
	v_cmp_lt_u32_e32 vcc, 16, v71
	v_add_u32_e32 v72, 8, v72
	v_add_u32_e32 v73, 8, v73
	s_or_b64 s[8:9], vcc, s[8:9]
	s_waitcnt vmcnt(1) lgkmcnt(0)
	v_mul_f32_e32 v79, v76, v77
	v_mul_f32_e32 v77, v75, v77
	s_waitcnt vmcnt(0)
	v_fma_f32 v75, v75, v78, -v79
	v_fmac_f32_e32 v77, v76, v78
	v_add_f32_e32 v74, v74, v75
	v_add_f32_e32 v68, v68, v77
	s_andn2_b64 exec, exec, s[8:9]
	s_cbranch_execnz .LBB32_85
; %bb.86:
	s_or_b64 exec, exec, s[8:9]
	v_mov_b32_e32 v71, 0
	ds_read_b64 v[71:72], v71 offset:144
	s_waitcnt lgkmcnt(0)
	v_mul_f32_e32 v73, v68, v72
	v_mul_f32_e32 v72, v74, v72
	v_fma_f32 v73, v74, v71, -v73
	v_fmac_f32_e32 v72, v68, v71
	buffer_store_dword v73, off, s[0:3], 0 offset:144
	buffer_store_dword v72, off, s[0:3], 0 offset:148
.LBB32_87:
	s_or_b64 exec, exec, s[4:5]
	; wave barrier
	buffer_load_dword v71, off, s[0:3], 0 offset:152
	buffer_load_dword v72, off, s[0:3], 0 offset:156
	v_cmp_gt_u32_e32 vcc, 19, v0
	s_waitcnt vmcnt(0)
	ds_write_b64 v70, v[71:72]
	s_waitcnt lgkmcnt(0)
	; wave barrier
	s_and_saveexec_b64 s[4:5], vcc
	s_cbranch_execz .LBB32_91
; %bb.88:
	v_add_u32_e32 v71, -1, v0
	v_add_u32_e32 v72, 0x110, v69
	v_mov_b32_e32 v73, v69
	v_mov_b32_e32 v68, 0
	s_mov_b64 s[8:9], 0
	v_mov_b32_e32 v74, 0
.LBB32_89:                              ; =>This Inner Loop Header: Depth=1
	buffer_load_dword v77, v73, s[0:3], 0 offen offset:4
	buffer_load_dword v78, v73, s[0:3], 0 offen
	ds_read_b64 v[75:76], v72
	v_add_u32_e32 v71, 1, v71
	v_cmp_lt_u32_e32 vcc, 17, v71
	v_add_u32_e32 v72, 8, v72
	v_add_u32_e32 v73, 8, v73
	s_or_b64 s[8:9], vcc, s[8:9]
	s_waitcnt vmcnt(1) lgkmcnt(0)
	v_mul_f32_e32 v79, v76, v77
	v_mul_f32_e32 v77, v75, v77
	s_waitcnt vmcnt(0)
	v_fma_f32 v75, v75, v78, -v79
	v_fmac_f32_e32 v77, v76, v78
	v_add_f32_e32 v74, v74, v75
	v_add_f32_e32 v68, v68, v77
	s_andn2_b64 exec, exec, s[8:9]
	s_cbranch_execnz .LBB32_89
; %bb.90:
	s_or_b64 exec, exec, s[8:9]
	v_mov_b32_e32 v71, 0
	ds_read_b64 v[71:72], v71 offset:152
	s_waitcnt lgkmcnt(0)
	v_mul_f32_e32 v73, v68, v72
	v_mul_f32_e32 v72, v74, v72
	v_fma_f32 v73, v74, v71, -v73
	v_fmac_f32_e32 v72, v68, v71
	buffer_store_dword v73, off, s[0:3], 0 offset:152
	buffer_store_dword v72, off, s[0:3], 0 offset:156
.LBB32_91:
	s_or_b64 exec, exec, s[4:5]
	; wave barrier
	buffer_load_dword v71, off, s[0:3], 0 offset:160
	buffer_load_dword v72, off, s[0:3], 0 offset:164
	v_cmp_gt_u32_e32 vcc, 20, v0
	s_waitcnt vmcnt(0)
	ds_write_b64 v70, v[71:72]
	s_waitcnt lgkmcnt(0)
	; wave barrier
	s_and_saveexec_b64 s[4:5], vcc
	s_cbranch_execz .LBB32_95
; %bb.92:
	v_add_u32_e32 v71, -1, v0
	v_add_u32_e32 v72, 0x110, v69
	v_mov_b32_e32 v73, v69
	v_mov_b32_e32 v68, 0
	s_mov_b64 s[8:9], 0
	v_mov_b32_e32 v74, 0
.LBB32_93:                              ; =>This Inner Loop Header: Depth=1
	buffer_load_dword v77, v73, s[0:3], 0 offen offset:4
	buffer_load_dword v78, v73, s[0:3], 0 offen
	ds_read_b64 v[75:76], v72
	v_add_u32_e32 v71, 1, v71
	v_cmp_lt_u32_e32 vcc, 18, v71
	v_add_u32_e32 v72, 8, v72
	v_add_u32_e32 v73, 8, v73
	s_or_b64 s[8:9], vcc, s[8:9]
	s_waitcnt vmcnt(1) lgkmcnt(0)
	v_mul_f32_e32 v79, v76, v77
	v_mul_f32_e32 v77, v75, v77
	s_waitcnt vmcnt(0)
	v_fma_f32 v75, v75, v78, -v79
	v_fmac_f32_e32 v77, v76, v78
	v_add_f32_e32 v74, v74, v75
	v_add_f32_e32 v68, v68, v77
	s_andn2_b64 exec, exec, s[8:9]
	s_cbranch_execnz .LBB32_93
; %bb.94:
	s_or_b64 exec, exec, s[8:9]
	v_mov_b32_e32 v71, 0
	ds_read_b64 v[71:72], v71 offset:160
	s_waitcnt lgkmcnt(0)
	v_mul_f32_e32 v73, v68, v72
	v_mul_f32_e32 v72, v74, v72
	v_fma_f32 v73, v74, v71, -v73
	v_fmac_f32_e32 v72, v68, v71
	buffer_store_dword v73, off, s[0:3], 0 offset:160
	buffer_store_dword v72, off, s[0:3], 0 offset:164
.LBB32_95:
	s_or_b64 exec, exec, s[4:5]
	; wave barrier
	buffer_load_dword v71, off, s[0:3], 0 offset:168
	buffer_load_dword v72, off, s[0:3], 0 offset:172
	v_cmp_gt_u32_e32 vcc, 21, v0
	s_waitcnt vmcnt(0)
	ds_write_b64 v70, v[71:72]
	s_waitcnt lgkmcnt(0)
	; wave barrier
	s_and_saveexec_b64 s[4:5], vcc
	s_cbranch_execz .LBB32_99
; %bb.96:
	v_add_u32_e32 v71, -1, v0
	v_add_u32_e32 v72, 0x110, v69
	v_mov_b32_e32 v73, v69
	v_mov_b32_e32 v68, 0
	s_mov_b64 s[8:9], 0
	v_mov_b32_e32 v74, 0
.LBB32_97:                              ; =>This Inner Loop Header: Depth=1
	buffer_load_dword v77, v73, s[0:3], 0 offen offset:4
	buffer_load_dword v78, v73, s[0:3], 0 offen
	ds_read_b64 v[75:76], v72
	v_add_u32_e32 v71, 1, v71
	v_cmp_lt_u32_e32 vcc, 19, v71
	v_add_u32_e32 v72, 8, v72
	v_add_u32_e32 v73, 8, v73
	s_or_b64 s[8:9], vcc, s[8:9]
	s_waitcnt vmcnt(1) lgkmcnt(0)
	v_mul_f32_e32 v79, v76, v77
	v_mul_f32_e32 v77, v75, v77
	s_waitcnt vmcnt(0)
	v_fma_f32 v75, v75, v78, -v79
	v_fmac_f32_e32 v77, v76, v78
	v_add_f32_e32 v74, v74, v75
	v_add_f32_e32 v68, v68, v77
	s_andn2_b64 exec, exec, s[8:9]
	s_cbranch_execnz .LBB32_97
; %bb.98:
	s_or_b64 exec, exec, s[8:9]
	v_mov_b32_e32 v71, 0
	ds_read_b64 v[71:72], v71 offset:168
	s_waitcnt lgkmcnt(0)
	v_mul_f32_e32 v73, v68, v72
	v_mul_f32_e32 v72, v74, v72
	v_fma_f32 v73, v74, v71, -v73
	v_fmac_f32_e32 v72, v68, v71
	buffer_store_dword v73, off, s[0:3], 0 offset:168
	buffer_store_dword v72, off, s[0:3], 0 offset:172
.LBB32_99:
	s_or_b64 exec, exec, s[4:5]
	; wave barrier
	buffer_load_dword v71, off, s[0:3], 0 offset:176
	buffer_load_dword v72, off, s[0:3], 0 offset:180
	v_cmp_gt_u32_e32 vcc, 22, v0
	s_waitcnt vmcnt(0)
	ds_write_b64 v70, v[71:72]
	s_waitcnt lgkmcnt(0)
	; wave barrier
	s_and_saveexec_b64 s[4:5], vcc
	s_cbranch_execz .LBB32_103
; %bb.100:
	v_add_u32_e32 v71, -1, v0
	v_add_u32_e32 v72, 0x110, v69
	v_mov_b32_e32 v73, v69
	v_mov_b32_e32 v68, 0
	s_mov_b64 s[8:9], 0
	v_mov_b32_e32 v74, 0
.LBB32_101:                             ; =>This Inner Loop Header: Depth=1
	buffer_load_dword v77, v73, s[0:3], 0 offen offset:4
	buffer_load_dword v78, v73, s[0:3], 0 offen
	ds_read_b64 v[75:76], v72
	v_add_u32_e32 v71, 1, v71
	v_cmp_lt_u32_e32 vcc, 20, v71
	v_add_u32_e32 v72, 8, v72
	v_add_u32_e32 v73, 8, v73
	s_or_b64 s[8:9], vcc, s[8:9]
	s_waitcnt vmcnt(1) lgkmcnt(0)
	v_mul_f32_e32 v79, v76, v77
	v_mul_f32_e32 v77, v75, v77
	s_waitcnt vmcnt(0)
	v_fma_f32 v75, v75, v78, -v79
	v_fmac_f32_e32 v77, v76, v78
	v_add_f32_e32 v74, v74, v75
	v_add_f32_e32 v68, v68, v77
	s_andn2_b64 exec, exec, s[8:9]
	s_cbranch_execnz .LBB32_101
; %bb.102:
	s_or_b64 exec, exec, s[8:9]
	v_mov_b32_e32 v71, 0
	ds_read_b64 v[71:72], v71 offset:176
	s_waitcnt lgkmcnt(0)
	v_mul_f32_e32 v73, v68, v72
	v_mul_f32_e32 v72, v74, v72
	v_fma_f32 v73, v74, v71, -v73
	v_fmac_f32_e32 v72, v68, v71
	buffer_store_dword v73, off, s[0:3], 0 offset:176
	buffer_store_dword v72, off, s[0:3], 0 offset:180
.LBB32_103:
	s_or_b64 exec, exec, s[4:5]
	; wave barrier
	buffer_load_dword v71, off, s[0:3], 0 offset:184
	buffer_load_dword v72, off, s[0:3], 0 offset:188
	v_cmp_gt_u32_e32 vcc, 23, v0
	s_waitcnt vmcnt(0)
	ds_write_b64 v70, v[71:72]
	s_waitcnt lgkmcnt(0)
	; wave barrier
	s_and_saveexec_b64 s[4:5], vcc
	s_cbranch_execz .LBB32_107
; %bb.104:
	v_add_u32_e32 v71, -1, v0
	v_add_u32_e32 v72, 0x110, v69
	v_mov_b32_e32 v73, v69
	v_mov_b32_e32 v68, 0
	s_mov_b64 s[8:9], 0
	v_mov_b32_e32 v74, 0
.LBB32_105:                             ; =>This Inner Loop Header: Depth=1
	buffer_load_dword v77, v73, s[0:3], 0 offen offset:4
	buffer_load_dword v78, v73, s[0:3], 0 offen
	ds_read_b64 v[75:76], v72
	v_add_u32_e32 v71, 1, v71
	v_cmp_lt_u32_e32 vcc, 21, v71
	v_add_u32_e32 v72, 8, v72
	v_add_u32_e32 v73, 8, v73
	s_or_b64 s[8:9], vcc, s[8:9]
	s_waitcnt vmcnt(1) lgkmcnt(0)
	v_mul_f32_e32 v79, v76, v77
	v_mul_f32_e32 v77, v75, v77
	s_waitcnt vmcnt(0)
	v_fma_f32 v75, v75, v78, -v79
	v_fmac_f32_e32 v77, v76, v78
	v_add_f32_e32 v74, v74, v75
	v_add_f32_e32 v68, v68, v77
	s_andn2_b64 exec, exec, s[8:9]
	s_cbranch_execnz .LBB32_105
; %bb.106:
	s_or_b64 exec, exec, s[8:9]
	v_mov_b32_e32 v71, 0
	ds_read_b64 v[71:72], v71 offset:184
	s_waitcnt lgkmcnt(0)
	v_mul_f32_e32 v73, v68, v72
	v_mul_f32_e32 v72, v74, v72
	v_fma_f32 v73, v74, v71, -v73
	v_fmac_f32_e32 v72, v68, v71
	buffer_store_dword v73, off, s[0:3], 0 offset:184
	buffer_store_dword v72, off, s[0:3], 0 offset:188
.LBB32_107:
	s_or_b64 exec, exec, s[4:5]
	; wave barrier
	buffer_load_dword v71, off, s[0:3], 0 offset:192
	buffer_load_dword v72, off, s[0:3], 0 offset:196
	v_cmp_gt_u32_e32 vcc, 24, v0
	s_waitcnt vmcnt(0)
	ds_write_b64 v70, v[71:72]
	s_waitcnt lgkmcnt(0)
	; wave barrier
	s_and_saveexec_b64 s[4:5], vcc
	s_cbranch_execz .LBB32_111
; %bb.108:
	v_add_u32_e32 v71, -1, v0
	v_add_u32_e32 v72, 0x110, v69
	v_mov_b32_e32 v73, v69
	v_mov_b32_e32 v68, 0
	s_mov_b64 s[8:9], 0
	v_mov_b32_e32 v74, 0
.LBB32_109:                             ; =>This Inner Loop Header: Depth=1
	buffer_load_dword v77, v73, s[0:3], 0 offen offset:4
	buffer_load_dword v78, v73, s[0:3], 0 offen
	ds_read_b64 v[75:76], v72
	v_add_u32_e32 v71, 1, v71
	v_cmp_lt_u32_e32 vcc, 22, v71
	v_add_u32_e32 v72, 8, v72
	v_add_u32_e32 v73, 8, v73
	s_or_b64 s[8:9], vcc, s[8:9]
	s_waitcnt vmcnt(1) lgkmcnt(0)
	v_mul_f32_e32 v79, v76, v77
	v_mul_f32_e32 v77, v75, v77
	s_waitcnt vmcnt(0)
	v_fma_f32 v75, v75, v78, -v79
	v_fmac_f32_e32 v77, v76, v78
	v_add_f32_e32 v74, v74, v75
	v_add_f32_e32 v68, v68, v77
	s_andn2_b64 exec, exec, s[8:9]
	s_cbranch_execnz .LBB32_109
; %bb.110:
	s_or_b64 exec, exec, s[8:9]
	v_mov_b32_e32 v71, 0
	ds_read_b64 v[71:72], v71 offset:192
	s_waitcnt lgkmcnt(0)
	v_mul_f32_e32 v73, v68, v72
	v_mul_f32_e32 v72, v74, v72
	v_fma_f32 v73, v74, v71, -v73
	v_fmac_f32_e32 v72, v68, v71
	buffer_store_dword v73, off, s[0:3], 0 offset:192
	buffer_store_dword v72, off, s[0:3], 0 offset:196
.LBB32_111:
	s_or_b64 exec, exec, s[4:5]
	; wave barrier
	buffer_load_dword v71, off, s[0:3], 0 offset:200
	buffer_load_dword v72, off, s[0:3], 0 offset:204
	v_cmp_gt_u32_e32 vcc, 25, v0
	s_waitcnt vmcnt(0)
	ds_write_b64 v70, v[71:72]
	s_waitcnt lgkmcnt(0)
	; wave barrier
	s_and_saveexec_b64 s[4:5], vcc
	s_cbranch_execz .LBB32_115
; %bb.112:
	v_add_u32_e32 v71, -1, v0
	v_add_u32_e32 v72, 0x110, v69
	v_mov_b32_e32 v73, v69
	v_mov_b32_e32 v68, 0
	s_mov_b64 s[8:9], 0
	v_mov_b32_e32 v74, 0
.LBB32_113:                             ; =>This Inner Loop Header: Depth=1
	buffer_load_dword v77, v73, s[0:3], 0 offen offset:4
	buffer_load_dword v78, v73, s[0:3], 0 offen
	ds_read_b64 v[75:76], v72
	v_add_u32_e32 v71, 1, v71
	v_cmp_lt_u32_e32 vcc, 23, v71
	v_add_u32_e32 v72, 8, v72
	v_add_u32_e32 v73, 8, v73
	s_or_b64 s[8:9], vcc, s[8:9]
	s_waitcnt vmcnt(1) lgkmcnt(0)
	v_mul_f32_e32 v79, v76, v77
	v_mul_f32_e32 v77, v75, v77
	s_waitcnt vmcnt(0)
	v_fma_f32 v75, v75, v78, -v79
	v_fmac_f32_e32 v77, v76, v78
	v_add_f32_e32 v74, v74, v75
	v_add_f32_e32 v68, v68, v77
	s_andn2_b64 exec, exec, s[8:9]
	s_cbranch_execnz .LBB32_113
; %bb.114:
	s_or_b64 exec, exec, s[8:9]
	v_mov_b32_e32 v71, 0
	ds_read_b64 v[71:72], v71 offset:200
	s_waitcnt lgkmcnt(0)
	v_mul_f32_e32 v73, v68, v72
	v_mul_f32_e32 v72, v74, v72
	v_fma_f32 v73, v74, v71, -v73
	v_fmac_f32_e32 v72, v68, v71
	buffer_store_dword v73, off, s[0:3], 0 offset:200
	buffer_store_dword v72, off, s[0:3], 0 offset:204
.LBB32_115:
	s_or_b64 exec, exec, s[4:5]
	; wave barrier
	buffer_load_dword v71, off, s[0:3], 0 offset:208
	buffer_load_dword v72, off, s[0:3], 0 offset:212
	v_cmp_gt_u32_e32 vcc, 26, v0
	s_waitcnt vmcnt(0)
	ds_write_b64 v70, v[71:72]
	s_waitcnt lgkmcnt(0)
	; wave barrier
	s_and_saveexec_b64 s[4:5], vcc
	s_cbranch_execz .LBB32_119
; %bb.116:
	v_add_u32_e32 v71, -1, v0
	v_add_u32_e32 v72, 0x110, v69
	v_mov_b32_e32 v73, v69
	v_mov_b32_e32 v68, 0
	s_mov_b64 s[8:9], 0
	v_mov_b32_e32 v74, 0
.LBB32_117:                             ; =>This Inner Loop Header: Depth=1
	buffer_load_dword v77, v73, s[0:3], 0 offen offset:4
	buffer_load_dword v78, v73, s[0:3], 0 offen
	ds_read_b64 v[75:76], v72
	v_add_u32_e32 v71, 1, v71
	v_cmp_lt_u32_e32 vcc, 24, v71
	v_add_u32_e32 v72, 8, v72
	v_add_u32_e32 v73, 8, v73
	s_or_b64 s[8:9], vcc, s[8:9]
	s_waitcnt vmcnt(1) lgkmcnt(0)
	v_mul_f32_e32 v79, v76, v77
	v_mul_f32_e32 v77, v75, v77
	s_waitcnt vmcnt(0)
	v_fma_f32 v75, v75, v78, -v79
	v_fmac_f32_e32 v77, v76, v78
	v_add_f32_e32 v74, v74, v75
	v_add_f32_e32 v68, v68, v77
	s_andn2_b64 exec, exec, s[8:9]
	s_cbranch_execnz .LBB32_117
; %bb.118:
	s_or_b64 exec, exec, s[8:9]
	v_mov_b32_e32 v71, 0
	ds_read_b64 v[71:72], v71 offset:208
	s_waitcnt lgkmcnt(0)
	v_mul_f32_e32 v73, v68, v72
	v_mul_f32_e32 v72, v74, v72
	v_fma_f32 v73, v74, v71, -v73
	v_fmac_f32_e32 v72, v68, v71
	buffer_store_dword v73, off, s[0:3], 0 offset:208
	buffer_store_dword v72, off, s[0:3], 0 offset:212
.LBB32_119:
	s_or_b64 exec, exec, s[4:5]
	; wave barrier
	buffer_load_dword v71, off, s[0:3], 0 offset:216
	buffer_load_dword v72, off, s[0:3], 0 offset:220
	v_cmp_gt_u32_e32 vcc, 27, v0
	s_waitcnt vmcnt(0)
	ds_write_b64 v70, v[71:72]
	s_waitcnt lgkmcnt(0)
	; wave barrier
	s_and_saveexec_b64 s[4:5], vcc
	s_cbranch_execz .LBB32_123
; %bb.120:
	v_add_u32_e32 v71, -1, v0
	v_add_u32_e32 v72, 0x110, v69
	v_mov_b32_e32 v73, v69
	v_mov_b32_e32 v68, 0
	s_mov_b64 s[8:9], 0
	v_mov_b32_e32 v74, 0
.LBB32_121:                             ; =>This Inner Loop Header: Depth=1
	buffer_load_dword v77, v73, s[0:3], 0 offen offset:4
	buffer_load_dword v78, v73, s[0:3], 0 offen
	ds_read_b64 v[75:76], v72
	v_add_u32_e32 v71, 1, v71
	v_cmp_lt_u32_e32 vcc, 25, v71
	v_add_u32_e32 v72, 8, v72
	v_add_u32_e32 v73, 8, v73
	s_or_b64 s[8:9], vcc, s[8:9]
	s_waitcnt vmcnt(1) lgkmcnt(0)
	v_mul_f32_e32 v79, v76, v77
	v_mul_f32_e32 v77, v75, v77
	s_waitcnt vmcnt(0)
	v_fma_f32 v75, v75, v78, -v79
	v_fmac_f32_e32 v77, v76, v78
	v_add_f32_e32 v74, v74, v75
	v_add_f32_e32 v68, v68, v77
	s_andn2_b64 exec, exec, s[8:9]
	s_cbranch_execnz .LBB32_121
; %bb.122:
	s_or_b64 exec, exec, s[8:9]
	v_mov_b32_e32 v71, 0
	ds_read_b64 v[71:72], v71 offset:216
	s_waitcnt lgkmcnt(0)
	v_mul_f32_e32 v73, v68, v72
	v_mul_f32_e32 v72, v74, v72
	v_fma_f32 v73, v74, v71, -v73
	v_fmac_f32_e32 v72, v68, v71
	buffer_store_dword v73, off, s[0:3], 0 offset:216
	buffer_store_dword v72, off, s[0:3], 0 offset:220
.LBB32_123:
	s_or_b64 exec, exec, s[4:5]
	; wave barrier
	buffer_load_dword v71, off, s[0:3], 0 offset:224
	buffer_load_dword v72, off, s[0:3], 0 offset:228
	v_cmp_gt_u32_e32 vcc, 28, v0
	s_waitcnt vmcnt(0)
	ds_write_b64 v70, v[71:72]
	s_waitcnt lgkmcnt(0)
	; wave barrier
	s_and_saveexec_b64 s[4:5], vcc
	s_cbranch_execz .LBB32_127
; %bb.124:
	v_add_u32_e32 v71, -1, v0
	v_add_u32_e32 v72, 0x110, v69
	v_mov_b32_e32 v73, v69
	v_mov_b32_e32 v68, 0
	s_mov_b64 s[8:9], 0
	v_mov_b32_e32 v74, 0
.LBB32_125:                             ; =>This Inner Loop Header: Depth=1
	buffer_load_dword v77, v73, s[0:3], 0 offen offset:4
	buffer_load_dword v78, v73, s[0:3], 0 offen
	ds_read_b64 v[75:76], v72
	v_add_u32_e32 v71, 1, v71
	v_cmp_lt_u32_e32 vcc, 26, v71
	v_add_u32_e32 v72, 8, v72
	v_add_u32_e32 v73, 8, v73
	s_or_b64 s[8:9], vcc, s[8:9]
	s_waitcnt vmcnt(1) lgkmcnt(0)
	v_mul_f32_e32 v79, v76, v77
	v_mul_f32_e32 v77, v75, v77
	s_waitcnt vmcnt(0)
	v_fma_f32 v75, v75, v78, -v79
	v_fmac_f32_e32 v77, v76, v78
	v_add_f32_e32 v74, v74, v75
	v_add_f32_e32 v68, v68, v77
	s_andn2_b64 exec, exec, s[8:9]
	s_cbranch_execnz .LBB32_125
; %bb.126:
	s_or_b64 exec, exec, s[8:9]
	v_mov_b32_e32 v71, 0
	ds_read_b64 v[71:72], v71 offset:224
	s_waitcnt lgkmcnt(0)
	v_mul_f32_e32 v73, v68, v72
	v_mul_f32_e32 v72, v74, v72
	v_fma_f32 v73, v74, v71, -v73
	v_fmac_f32_e32 v72, v68, v71
	buffer_store_dword v73, off, s[0:3], 0 offset:224
	buffer_store_dword v72, off, s[0:3], 0 offset:228
.LBB32_127:
	s_or_b64 exec, exec, s[4:5]
	; wave barrier
	buffer_load_dword v71, off, s[0:3], 0 offset:232
	buffer_load_dword v72, off, s[0:3], 0 offset:236
	v_cmp_gt_u32_e32 vcc, 29, v0
	s_waitcnt vmcnt(0)
	ds_write_b64 v70, v[71:72]
	s_waitcnt lgkmcnt(0)
	; wave barrier
	s_and_saveexec_b64 s[4:5], vcc
	s_cbranch_execz .LBB32_131
; %bb.128:
	v_add_u32_e32 v71, -1, v0
	v_add_u32_e32 v72, 0x110, v69
	v_mov_b32_e32 v73, v69
	v_mov_b32_e32 v68, 0
	s_mov_b64 s[8:9], 0
	v_mov_b32_e32 v74, 0
.LBB32_129:                             ; =>This Inner Loop Header: Depth=1
	buffer_load_dword v77, v73, s[0:3], 0 offen offset:4
	buffer_load_dword v78, v73, s[0:3], 0 offen
	ds_read_b64 v[75:76], v72
	v_add_u32_e32 v71, 1, v71
	v_cmp_lt_u32_e32 vcc, 27, v71
	v_add_u32_e32 v72, 8, v72
	v_add_u32_e32 v73, 8, v73
	s_or_b64 s[8:9], vcc, s[8:9]
	s_waitcnt vmcnt(1) lgkmcnt(0)
	v_mul_f32_e32 v79, v76, v77
	v_mul_f32_e32 v77, v75, v77
	s_waitcnt vmcnt(0)
	v_fma_f32 v75, v75, v78, -v79
	v_fmac_f32_e32 v77, v76, v78
	v_add_f32_e32 v74, v74, v75
	v_add_f32_e32 v68, v68, v77
	s_andn2_b64 exec, exec, s[8:9]
	s_cbranch_execnz .LBB32_129
; %bb.130:
	s_or_b64 exec, exec, s[8:9]
	v_mov_b32_e32 v71, 0
	ds_read_b64 v[71:72], v71 offset:232
	s_waitcnt lgkmcnt(0)
	v_mul_f32_e32 v73, v68, v72
	v_mul_f32_e32 v72, v74, v72
	v_fma_f32 v73, v74, v71, -v73
	v_fmac_f32_e32 v72, v68, v71
	buffer_store_dword v73, off, s[0:3], 0 offset:232
	buffer_store_dword v72, off, s[0:3], 0 offset:236
.LBB32_131:
	s_or_b64 exec, exec, s[4:5]
	; wave barrier
	buffer_load_dword v71, off, s[0:3], 0 offset:240
	buffer_load_dword v72, off, s[0:3], 0 offset:244
	v_cmp_gt_u32_e32 vcc, 30, v0
	s_waitcnt vmcnt(0)
	ds_write_b64 v70, v[71:72]
	s_waitcnt lgkmcnt(0)
	; wave barrier
	s_and_saveexec_b64 s[4:5], vcc
	s_cbranch_execz .LBB32_135
; %bb.132:
	v_add_u32_e32 v71, -1, v0
	v_add_u32_e32 v72, 0x110, v69
	v_mov_b32_e32 v73, v69
	v_mov_b32_e32 v68, 0
	s_mov_b64 s[8:9], 0
	v_mov_b32_e32 v74, 0
.LBB32_133:                             ; =>This Inner Loop Header: Depth=1
	buffer_load_dword v77, v73, s[0:3], 0 offen offset:4
	buffer_load_dword v78, v73, s[0:3], 0 offen
	ds_read_b64 v[75:76], v72
	v_add_u32_e32 v71, 1, v71
	v_cmp_lt_u32_e32 vcc, 28, v71
	v_add_u32_e32 v72, 8, v72
	v_add_u32_e32 v73, 8, v73
	s_or_b64 s[8:9], vcc, s[8:9]
	s_waitcnt vmcnt(1) lgkmcnt(0)
	v_mul_f32_e32 v79, v76, v77
	v_mul_f32_e32 v77, v75, v77
	s_waitcnt vmcnt(0)
	v_fma_f32 v75, v75, v78, -v79
	v_fmac_f32_e32 v77, v76, v78
	v_add_f32_e32 v74, v74, v75
	v_add_f32_e32 v68, v68, v77
	s_andn2_b64 exec, exec, s[8:9]
	s_cbranch_execnz .LBB32_133
; %bb.134:
	s_or_b64 exec, exec, s[8:9]
	v_mov_b32_e32 v71, 0
	ds_read_b64 v[71:72], v71 offset:240
	s_waitcnt lgkmcnt(0)
	v_mul_f32_e32 v73, v68, v72
	v_mul_f32_e32 v72, v74, v72
	v_fma_f32 v73, v74, v71, -v73
	v_fmac_f32_e32 v72, v68, v71
	buffer_store_dword v73, off, s[0:3], 0 offset:240
	buffer_store_dword v72, off, s[0:3], 0 offset:244
.LBB32_135:
	s_or_b64 exec, exec, s[4:5]
	; wave barrier
	buffer_load_dword v71, off, s[0:3], 0 offset:248
	buffer_load_dword v72, off, s[0:3], 0 offset:252
	v_cmp_gt_u32_e32 vcc, 31, v0
	s_waitcnt vmcnt(0)
	ds_write_b64 v70, v[71:72]
	s_waitcnt lgkmcnt(0)
	; wave barrier
	s_and_saveexec_b64 s[4:5], vcc
	s_cbranch_execz .LBB32_139
; %bb.136:
	v_add_u32_e32 v71, -1, v0
	v_add_u32_e32 v72, 0x110, v69
	v_mov_b32_e32 v73, v69
	v_mov_b32_e32 v68, 0
	s_mov_b64 s[8:9], 0
	v_mov_b32_e32 v74, 0
.LBB32_137:                             ; =>This Inner Loop Header: Depth=1
	buffer_load_dword v77, v73, s[0:3], 0 offen offset:4
	buffer_load_dword v78, v73, s[0:3], 0 offen
	ds_read_b64 v[75:76], v72
	v_add_u32_e32 v71, 1, v71
	v_cmp_lt_u32_e32 vcc, 29, v71
	v_add_u32_e32 v72, 8, v72
	v_add_u32_e32 v73, 8, v73
	s_or_b64 s[8:9], vcc, s[8:9]
	s_waitcnt vmcnt(1) lgkmcnt(0)
	v_mul_f32_e32 v79, v76, v77
	v_mul_f32_e32 v77, v75, v77
	s_waitcnt vmcnt(0)
	v_fma_f32 v75, v75, v78, -v79
	v_fmac_f32_e32 v77, v76, v78
	v_add_f32_e32 v74, v74, v75
	v_add_f32_e32 v68, v68, v77
	s_andn2_b64 exec, exec, s[8:9]
	s_cbranch_execnz .LBB32_137
; %bb.138:
	s_or_b64 exec, exec, s[8:9]
	v_mov_b32_e32 v71, 0
	ds_read_b64 v[71:72], v71 offset:248
	s_waitcnt lgkmcnt(0)
	v_mul_f32_e32 v73, v68, v72
	v_mul_f32_e32 v72, v74, v72
	v_fma_f32 v73, v74, v71, -v73
	v_fmac_f32_e32 v72, v68, v71
	buffer_store_dword v73, off, s[0:3], 0 offset:248
	buffer_store_dword v72, off, s[0:3], 0 offset:252
.LBB32_139:
	s_or_b64 exec, exec, s[4:5]
	; wave barrier
	buffer_load_dword v71, off, s[0:3], 0 offset:256
	buffer_load_dword v72, off, s[0:3], 0 offset:260
	v_cmp_ne_u32_e32 vcc, 32, v0
	s_waitcnt vmcnt(0)
	ds_write_b64 v70, v[71:72]
	s_waitcnt lgkmcnt(0)
	; wave barrier
	s_and_saveexec_b64 s[4:5], vcc
	s_cbranch_execz .LBB32_143
; %bb.140:
	v_add_u32_e32 v70, 0x110, v69
	v_mov_b32_e32 v68, 0
	s_mov_b64 s[8:9], 0
	v_mov_b32_e32 v71, 0
.LBB32_141:                             ; =>This Inner Loop Header: Depth=1
	buffer_load_dword v74, v69, s[0:3], 0 offen offset:4
	buffer_load_dword v75, v69, s[0:3], 0 offen
	ds_read_b64 v[72:73], v70
	v_add_u32_e32 v67, 1, v67
	v_cmp_lt_u32_e32 vcc, 30, v67
	v_add_u32_e32 v70, 8, v70
	v_add_u32_e32 v69, 8, v69
	s_or_b64 s[8:9], vcc, s[8:9]
	s_waitcnt vmcnt(1) lgkmcnt(0)
	v_mul_f32_e32 v76, v73, v74
	v_mul_f32_e32 v74, v72, v74
	s_waitcnt vmcnt(0)
	v_fma_f32 v72, v72, v75, -v76
	v_fmac_f32_e32 v74, v73, v75
	v_add_f32_e32 v71, v71, v72
	v_add_f32_e32 v68, v68, v74
	s_andn2_b64 exec, exec, s[8:9]
	s_cbranch_execnz .LBB32_141
; %bb.142:
	s_or_b64 exec, exec, s[8:9]
	v_mov_b32_e32 v67, 0
	ds_read_b64 v[69:70], v67 offset:256
	s_waitcnt lgkmcnt(0)
	v_mul_f32_e32 v67, v68, v70
	v_mul_f32_e32 v70, v71, v70
	v_fma_f32 v67, v71, v69, -v67
	v_fmac_f32_e32 v70, v68, v69
	buffer_store_dword v67, off, s[0:3], 0 offset:256
	buffer_store_dword v70, off, s[0:3], 0 offset:260
.LBB32_143:
	s_or_b64 exec, exec, s[4:5]
	s_mov_b64 s[8:9], -1
	; wave barrier
.LBB32_144:
	s_and_b64 vcc, exec, s[8:9]
	s_cbranch_vccz .LBB32_146
; %bb.145:
	s_lshl_b64 s[4:5], s[6:7], 2
	s_add_u32 s4, s10, s4
	s_addc_u32 s5, s11, s5
	v_mov_b32_e32 v67, 0
	global_load_dword v67, v67, s[4:5]
	s_waitcnt vmcnt(0)
	v_cmp_ne_u32_e32 vcc, 0, v67
	s_cbranch_vccz .LBB32_147
.LBB32_146:
	s_endpgm
.LBB32_147:
	v_mov_b32_e32 v67, 0x110
	v_lshl_add_u32 v67, v0, 3, v67
	v_cmp_eq_u32_e32 vcc, 32, v0
	s_and_saveexec_b64 s[4:5], vcc
	s_cbranch_execz .LBB32_149
; %bb.148:
	buffer_load_dword v68, off, s[0:3], 0 offset:248
	buffer_load_dword v69, off, s[0:3], 0 offset:252
	v_mov_b32_e32 v70, 0
	buffer_store_dword v70, off, s[0:3], 0 offset:248
	buffer_store_dword v70, off, s[0:3], 0 offset:252
	s_waitcnt vmcnt(2)
	ds_write_b64 v67, v[68:69]
.LBB32_149:
	s_or_b64 exec, exec, s[4:5]
	s_waitcnt lgkmcnt(0)
	; wave barrier
	buffer_load_dword v71, off, s[0:3], 0 offset:260
	buffer_load_dword v72, off, s[0:3], 0 offset:256
	;; [unrolled: 1-line block ×4, first 2 shown]
	v_mov_b32_e32 v68, 0
	ds_read_b64 v[69:70], v68 offset:528
	v_cmp_lt_u32_e32 vcc, 30, v0
	s_waitcnt vmcnt(3) lgkmcnt(0)
	v_mul_f32_e32 v75, v69, v71
	v_mul_f32_e32 v71, v70, v71
	s_waitcnt vmcnt(2)
	v_fma_f32 v69, v69, v72, -v71
	v_fmac_f32_e32 v75, v70, v72
	v_add_f32_e32 v69, 0, v69
	v_add_f32_e32 v70, 0, v75
	s_waitcnt vmcnt(1)
	v_sub_f32_e32 v69, v73, v69
	s_waitcnt vmcnt(0)
	v_sub_f32_e32 v70, v74, v70
	buffer_store_dword v69, off, s[0:3], 0 offset:248
	buffer_store_dword v70, off, s[0:3], 0 offset:252
	s_and_saveexec_b64 s[4:5], vcc
	s_cbranch_execz .LBB32_151
; %bb.150:
	buffer_load_dword v69, off, s[0:3], 0 offset:240
	buffer_load_dword v70, off, s[0:3], 0 offset:244
	s_waitcnt vmcnt(0)
	ds_write_b64 v67, v[69:70]
	buffer_store_dword v68, off, s[0:3], 0 offset:240
	buffer_store_dword v68, off, s[0:3], 0 offset:244
.LBB32_151:
	s_or_b64 exec, exec, s[4:5]
	s_waitcnt lgkmcnt(0)
	; wave barrier
	buffer_load_dword v72, off, s[0:3], 0 offset:252
	buffer_load_dword v73, off, s[0:3], 0 offset:260
	;; [unrolled: 1-line block ×6, first 2 shown]
	ds_read2_b64 v[68:71], v68 offset0:65 offset1:66
	v_cmp_lt_u32_e32 vcc, 29, v0
	s_waitcnt vmcnt(5) lgkmcnt(0)
	v_mul_f32_e32 v78, v68, v72
	v_mul_f32_e32 v72, v69, v72
	s_waitcnt vmcnt(4)
	v_mul_f32_e32 v79, v70, v73
	v_mul_f32_e32 v73, v71, v73
	s_waitcnt vmcnt(3)
	v_fma_f32 v68, v68, v74, -v72
	v_fmac_f32_e32 v78, v69, v74
	s_waitcnt vmcnt(2)
	v_fma_f32 v69, v70, v75, -v73
	v_add_f32_e32 v68, 0, v68
	v_fmac_f32_e32 v79, v71, v75
	v_add_f32_e32 v70, 0, v78
	v_add_f32_e32 v68, v68, v69
	;; [unrolled: 1-line block ×3, first 2 shown]
	s_waitcnt vmcnt(1)
	v_sub_f32_e32 v68, v76, v68
	s_waitcnt vmcnt(0)
	v_sub_f32_e32 v69, v77, v70
	buffer_store_dword v68, off, s[0:3], 0 offset:240
	buffer_store_dword v69, off, s[0:3], 0 offset:244
	s_and_saveexec_b64 s[4:5], vcc
	s_cbranch_execz .LBB32_153
; %bb.152:
	buffer_load_dword v68, off, s[0:3], 0 offset:232
	buffer_load_dword v69, off, s[0:3], 0 offset:236
	v_mov_b32_e32 v70, 0
	buffer_store_dword v70, off, s[0:3], 0 offset:232
	buffer_store_dword v70, off, s[0:3], 0 offset:236
	s_waitcnt vmcnt(2)
	ds_write_b64 v67, v[68:69]
.LBB32_153:
	s_or_b64 exec, exec, s[4:5]
	s_waitcnt lgkmcnt(0)
	; wave barrier
	buffer_load_dword v75, off, s[0:3], 0 offset:244
	buffer_load_dword v76, off, s[0:3], 0 offset:252
	;; [unrolled: 1-line block ×8, first 2 shown]
	v_mov_b32_e32 v68, 0
	ds_read_b128 v[69:72], v68 offset:512
	ds_read_b64 v[73:74], v68 offset:528
	v_cmp_lt_u32_e32 vcc, 28, v0
	s_waitcnt vmcnt(7) lgkmcnt(1)
	v_mul_f32_e32 v83, v69, v75
	v_mul_f32_e32 v75, v70, v75
	s_waitcnt vmcnt(6)
	v_mul_f32_e32 v84, v71, v76
	v_mul_f32_e32 v76, v72, v76
	s_waitcnt vmcnt(4)
	v_fma_f32 v69, v69, v78, -v75
	s_waitcnt lgkmcnt(0)
	v_mul_f32_e32 v85, v73, v77
	v_mul_f32_e32 v77, v74, v77
	v_fmac_f32_e32 v83, v70, v78
	s_waitcnt vmcnt(3)
	v_fma_f32 v70, v71, v79, -v76
	v_add_f32_e32 v69, 0, v69
	v_fmac_f32_e32 v84, v72, v79
	s_waitcnt vmcnt(2)
	v_fma_f32 v71, v73, v80, -v77
	v_add_f32_e32 v72, 0, v83
	v_add_f32_e32 v69, v69, v70
	v_fmac_f32_e32 v85, v74, v80
	v_add_f32_e32 v72, v72, v84
	v_add_f32_e32 v69, v69, v71
	;; [unrolled: 1-line block ×3, first 2 shown]
	s_waitcnt vmcnt(1)
	v_sub_f32_e32 v69, v81, v69
	s_waitcnt vmcnt(0)
	v_sub_f32_e32 v70, v82, v70
	buffer_store_dword v69, off, s[0:3], 0 offset:232
	buffer_store_dword v70, off, s[0:3], 0 offset:236
	s_and_saveexec_b64 s[4:5], vcc
	s_cbranch_execz .LBB32_155
; %bb.154:
	buffer_load_dword v69, off, s[0:3], 0 offset:224
	buffer_load_dword v70, off, s[0:3], 0 offset:228
	s_waitcnt vmcnt(0)
	ds_write_b64 v67, v[69:70]
	buffer_store_dword v68, off, s[0:3], 0 offset:224
	buffer_store_dword v68, off, s[0:3], 0 offset:228
.LBB32_155:
	s_or_b64 exec, exec, s[4:5]
	s_waitcnt lgkmcnt(0)
	; wave barrier
	buffer_load_dword v77, off, s[0:3], 0 offset:236
	buffer_load_dword v78, off, s[0:3], 0 offset:244
	;; [unrolled: 1-line block ×10, first 2 shown]
	ds_read2_b64 v[69:72], v68 offset0:63 offset1:64
	ds_read2_b64 v[73:76], v68 offset0:65 offset1:66
	v_cmp_lt_u32_e32 vcc, 27, v0
	s_waitcnt vmcnt(9) lgkmcnt(1)
	v_mul_f32_e32 v68, v69, v77
	v_mul_f32_e32 v77, v70, v77
	s_waitcnt vmcnt(8)
	v_mul_f32_e32 v87, v71, v78
	v_mul_f32_e32 v78, v72, v78
	s_waitcnt vmcnt(5)
	v_fma_f32 v69, v69, v81, -v77
	s_waitcnt lgkmcnt(0)
	v_mul_f32_e32 v88, v73, v79
	v_mul_f32_e32 v79, v74, v79
	v_fmac_f32_e32 v68, v70, v81
	s_waitcnt vmcnt(4)
	v_fma_f32 v70, v71, v82, -v78
	v_add_f32_e32 v69, 0, v69
	v_mul_f32_e32 v89, v75, v80
	v_mul_f32_e32 v80, v76, v80
	v_fmac_f32_e32 v87, v72, v82
	s_waitcnt vmcnt(3)
	v_fma_f32 v71, v73, v83, -v79
	v_add_f32_e32 v68, 0, v68
	v_add_f32_e32 v69, v69, v70
	v_fmac_f32_e32 v88, v74, v83
	s_waitcnt vmcnt(2)
	v_fma_f32 v72, v75, v84, -v80
	v_add_f32_e32 v68, v68, v87
	v_add_f32_e32 v69, v69, v71
	v_fmac_f32_e32 v89, v76, v84
	v_add_f32_e32 v68, v68, v88
	v_add_f32_e32 v69, v69, v72
	;; [unrolled: 1-line block ×3, first 2 shown]
	s_waitcnt vmcnt(1)
	v_sub_f32_e32 v69, v85, v69
	s_waitcnt vmcnt(0)
	v_sub_f32_e32 v68, v86, v68
	buffer_store_dword v69, off, s[0:3], 0 offset:224
	buffer_store_dword v68, off, s[0:3], 0 offset:228
	s_and_saveexec_b64 s[4:5], vcc
	s_cbranch_execz .LBB32_157
; %bb.156:
	buffer_load_dword v68, off, s[0:3], 0 offset:216
	buffer_load_dword v69, off, s[0:3], 0 offset:220
	v_mov_b32_e32 v70, 0
	buffer_store_dword v70, off, s[0:3], 0 offset:216
	buffer_store_dword v70, off, s[0:3], 0 offset:220
	s_waitcnt vmcnt(2)
	ds_write_b64 v67, v[68:69]
.LBB32_157:
	s_or_b64 exec, exec, s[4:5]
	s_waitcnt lgkmcnt(0)
	; wave barrier
	buffer_load_dword v79, off, s[0:3], 0 offset:228
	buffer_load_dword v80, off, s[0:3], 0 offset:236
	;; [unrolled: 1-line block ×12, first 2 shown]
	v_mov_b32_e32 v68, 0
	ds_read_b128 v[69:72], v68 offset:496
	ds_read_b128 v[73:76], v68 offset:512
	ds_read_b64 v[77:78], v68 offset:528
	v_cmp_lt_u32_e32 vcc, 26, v0
	s_waitcnt vmcnt(11) lgkmcnt(2)
	v_mul_f32_e32 v91, v69, v79
	v_mul_f32_e32 v79, v70, v79
	s_waitcnt vmcnt(10)
	v_mul_f32_e32 v92, v71, v80
	v_mul_f32_e32 v80, v72, v80
	s_waitcnt vmcnt(9) lgkmcnt(1)
	v_mul_f32_e32 v93, v73, v81
	s_waitcnt vmcnt(6)
	v_fma_f32 v69, v69, v84, -v79
	v_mul_f32_e32 v81, v74, v81
	v_fmac_f32_e32 v91, v70, v84
	s_waitcnt vmcnt(5)
	v_fma_f32 v70, v71, v85, -v80
	v_add_f32_e32 v69, 0, v69
	v_mul_f32_e32 v94, v75, v82
	v_mul_f32_e32 v82, v76, v82
	v_fmac_f32_e32 v92, v72, v85
	s_waitcnt vmcnt(4)
	v_fmac_f32_e32 v93, v74, v86
	v_fma_f32 v71, v73, v86, -v81
	v_add_f32_e32 v74, 0, v91
	v_add_f32_e32 v69, v69, v70
	s_waitcnt lgkmcnt(0)
	v_mul_f32_e32 v95, v77, v83
	v_mul_f32_e32 v83, v78, v83
	s_waitcnt vmcnt(3)
	v_fma_f32 v72, v75, v87, -v82
	v_add_f32_e32 v74, v74, v92
	v_add_f32_e32 v69, v69, v71
	v_fmac_f32_e32 v94, v76, v87
	s_waitcnt vmcnt(2)
	v_fma_f32 v73, v77, v88, -v83
	v_add_f32_e32 v70, v74, v93
	v_add_f32_e32 v69, v69, v72
	v_fmac_f32_e32 v95, v78, v88
	v_add_f32_e32 v70, v70, v94
	v_add_f32_e32 v69, v69, v73
	;; [unrolled: 1-line block ×3, first 2 shown]
	s_waitcnt vmcnt(1)
	v_sub_f32_e32 v69, v89, v69
	s_waitcnt vmcnt(0)
	v_sub_f32_e32 v70, v90, v70
	buffer_store_dword v69, off, s[0:3], 0 offset:216
	buffer_store_dword v70, off, s[0:3], 0 offset:220
	s_and_saveexec_b64 s[4:5], vcc
	s_cbranch_execz .LBB32_159
; %bb.158:
	buffer_load_dword v69, off, s[0:3], 0 offset:208
	buffer_load_dword v70, off, s[0:3], 0 offset:212
	s_waitcnt vmcnt(0)
	ds_write_b64 v67, v[69:70]
	buffer_store_dword v68, off, s[0:3], 0 offset:208
	buffer_store_dword v68, off, s[0:3], 0 offset:212
.LBB32_159:
	s_or_b64 exec, exec, s[4:5]
	s_waitcnt lgkmcnt(0)
	; wave barrier
	buffer_load_dword v81, off, s[0:3], 0 offset:220
	buffer_load_dword v82, off, s[0:3], 0 offset:228
	;; [unrolled: 1-line block ×14, first 2 shown]
	ds_read2_b64 v[69:72], v68 offset0:61 offset1:62
	ds_read2_b64 v[73:76], v68 offset0:63 offset1:64
	;; [unrolled: 1-line block ×3, first 2 shown]
	v_cmp_lt_u32_e32 vcc, 25, v0
	s_waitcnt vmcnt(13) lgkmcnt(2)
	v_mul_f32_e32 v68, v69, v81
	v_mul_f32_e32 v81, v70, v81
	s_waitcnt vmcnt(12)
	v_mul_f32_e32 v95, v71, v82
	v_mul_f32_e32 v82, v72, v82
	s_waitcnt vmcnt(11) lgkmcnt(1)
	v_mul_f32_e32 v96, v73, v83
	v_mul_f32_e32 v83, v74, v83
	s_waitcnt vmcnt(7)
	v_fma_f32 v69, v69, v87, -v81
	v_fmac_f32_e32 v68, v70, v87
	s_waitcnt vmcnt(6)
	v_fma_f32 v70, v71, v88, -v82
	v_add_f32_e32 v69, 0, v69
	v_mul_f32_e32 v97, v75, v84
	v_mul_f32_e32 v84, v76, v84
	v_fmac_f32_e32 v95, v72, v88
	s_waitcnt vmcnt(5)
	v_fma_f32 v71, v73, v89, -v83
	v_add_f32_e32 v68, 0, v68
	v_add_f32_e32 v69, v69, v70
	s_waitcnt lgkmcnt(0)
	v_mul_f32_e32 v98, v77, v85
	v_mul_f32_e32 v85, v78, v85
	v_fmac_f32_e32 v96, v74, v89
	s_waitcnt vmcnt(4)
	v_fma_f32 v72, v75, v90, -v84
	v_add_f32_e32 v68, v68, v95
	v_add_f32_e32 v69, v69, v71
	v_mul_f32_e32 v99, v79, v86
	v_mul_f32_e32 v86, v80, v86
	v_fmac_f32_e32 v97, v76, v90
	s_waitcnt vmcnt(3)
	v_fma_f32 v73, v77, v91, -v85
	v_add_f32_e32 v68, v68, v96
	v_add_f32_e32 v69, v69, v72
	v_fmac_f32_e32 v98, v78, v91
	s_waitcnt vmcnt(2)
	v_fma_f32 v74, v79, v92, -v86
	v_add_f32_e32 v68, v68, v97
	v_add_f32_e32 v69, v69, v73
	v_fmac_f32_e32 v99, v80, v92
	v_add_f32_e32 v68, v68, v98
	v_add_f32_e32 v69, v69, v74
	;; [unrolled: 1-line block ×3, first 2 shown]
	s_waitcnt vmcnt(1)
	v_sub_f32_e32 v69, v93, v69
	s_waitcnt vmcnt(0)
	v_sub_f32_e32 v68, v94, v68
	buffer_store_dword v69, off, s[0:3], 0 offset:208
	buffer_store_dword v68, off, s[0:3], 0 offset:212
	s_and_saveexec_b64 s[4:5], vcc
	s_cbranch_execz .LBB32_161
; %bb.160:
	buffer_load_dword v68, off, s[0:3], 0 offset:200
	buffer_load_dword v69, off, s[0:3], 0 offset:204
	v_mov_b32_e32 v70, 0
	buffer_store_dword v70, off, s[0:3], 0 offset:200
	buffer_store_dword v70, off, s[0:3], 0 offset:204
	s_waitcnt vmcnt(2)
	ds_write_b64 v67, v[68:69]
.LBB32_161:
	s_or_b64 exec, exec, s[4:5]
	s_waitcnt lgkmcnt(0)
	; wave barrier
	buffer_load_dword v83, off, s[0:3], 0 offset:212
	buffer_load_dword v84, off, s[0:3], 0 offset:220
	;; [unrolled: 1-line block ×16, first 2 shown]
	v_mov_b32_e32 v68, 0
	ds_read_b128 v[69:72], v68 offset:480
	ds_read_b128 v[73:76], v68 offset:496
	;; [unrolled: 1-line block ×3, first 2 shown]
	ds_read_b64 v[81:82], v68 offset:528
	v_cmp_lt_u32_e32 vcc, 24, v0
	s_waitcnt vmcnt(15) lgkmcnt(3)
	v_mul_f32_e32 v99, v69, v83
	v_mul_f32_e32 v83, v70, v83
	s_waitcnt vmcnt(14)
	v_mul_f32_e32 v100, v71, v84
	v_mul_f32_e32 v84, v72, v84
	s_waitcnt vmcnt(13) lgkmcnt(2)
	v_mul_f32_e32 v101, v73, v85
	s_waitcnt vmcnt(12)
	v_mul_f32_e32 v102, v75, v86
	v_mul_f32_e32 v85, v74, v85
	s_waitcnt vmcnt(8)
	v_fma_f32 v69, v69, v90, -v83
	v_fmac_f32_e32 v99, v70, v90
	s_waitcnt vmcnt(7)
	v_fma_f32 v70, v71, v91, -v84
	v_add_f32_e32 v69, 0, v69
	v_mul_f32_e32 v86, v76, v86
	v_fmac_f32_e32 v100, v72, v91
	s_waitcnt vmcnt(5)
	v_fmac_f32_e32 v102, v76, v93
	v_fma_f32 v71, v73, v92, -v85
	v_add_f32_e32 v76, 0, v99
	v_add_f32_e32 v69, v69, v70
	s_waitcnt lgkmcnt(1)
	v_mul_f32_e32 v103, v77, v87
	v_mul_f32_e32 v87, v78, v87
	v_fmac_f32_e32 v101, v74, v92
	v_fma_f32 v72, v75, v93, -v86
	v_add_f32_e32 v76, v76, v100
	v_add_f32_e32 v69, v69, v71
	v_mul_f32_e32 v104, v79, v88
	v_mul_f32_e32 v88, v80, v88
	s_waitcnt vmcnt(4)
	v_fma_f32 v73, v77, v94, -v87
	v_add_f32_e32 v70, v76, v101
	v_add_f32_e32 v69, v69, v72
	s_waitcnt lgkmcnt(0)
	v_mul_f32_e32 v105, v81, v89
	v_mul_f32_e32 v89, v82, v89
	v_fmac_f32_e32 v103, v78, v94
	s_waitcnt vmcnt(3)
	v_fma_f32 v74, v79, v95, -v88
	v_add_f32_e32 v70, v70, v102
	v_add_f32_e32 v69, v69, v73
	v_fmac_f32_e32 v104, v80, v95
	s_waitcnt vmcnt(2)
	v_fma_f32 v75, v81, v96, -v89
	v_add_f32_e32 v70, v70, v103
	v_add_f32_e32 v69, v69, v74
	v_fmac_f32_e32 v105, v82, v96
	v_add_f32_e32 v70, v70, v104
	v_add_f32_e32 v69, v69, v75
	;; [unrolled: 1-line block ×3, first 2 shown]
	s_waitcnt vmcnt(1)
	v_sub_f32_e32 v69, v97, v69
	s_waitcnt vmcnt(0)
	v_sub_f32_e32 v70, v98, v70
	buffer_store_dword v69, off, s[0:3], 0 offset:200
	buffer_store_dword v70, off, s[0:3], 0 offset:204
	s_and_saveexec_b64 s[4:5], vcc
	s_cbranch_execz .LBB32_163
; %bb.162:
	buffer_load_dword v69, off, s[0:3], 0 offset:192
	buffer_load_dword v70, off, s[0:3], 0 offset:196
	s_waitcnt vmcnt(0)
	ds_write_b64 v67, v[69:70]
	buffer_store_dword v68, off, s[0:3], 0 offset:192
	buffer_store_dword v68, off, s[0:3], 0 offset:196
.LBB32_163:
	s_or_b64 exec, exec, s[4:5]
	s_waitcnt lgkmcnt(0)
	; wave barrier
	buffer_load_dword v85, off, s[0:3], 0 offset:204
	buffer_load_dword v86, off, s[0:3], 0 offset:212
	;; [unrolled: 1-line block ×18, first 2 shown]
	ds_read2_b64 v[69:72], v68 offset0:59 offset1:60
	ds_read2_b64 v[73:76], v68 offset0:61 offset1:62
	;; [unrolled: 1-line block ×4, first 2 shown]
	v_cmp_lt_u32_e32 vcc, 23, v0
	s_waitcnt vmcnt(17) lgkmcnt(3)
	v_mul_f32_e32 v68, v69, v85
	v_mul_f32_e32 v85, v70, v85
	s_waitcnt vmcnt(16)
	v_mul_f32_e32 v103, v71, v86
	v_mul_f32_e32 v86, v72, v86
	s_waitcnt vmcnt(15) lgkmcnt(2)
	v_mul_f32_e32 v104, v73, v87
	v_mul_f32_e32 v87, v74, v87
	s_waitcnt vmcnt(14)
	v_mul_f32_e32 v105, v75, v88
	v_mul_f32_e32 v88, v76, v88
	s_waitcnt vmcnt(9)
	v_fma_f32 v69, v69, v93, -v85
	v_fmac_f32_e32 v68, v70, v93
	s_waitcnt vmcnt(8)
	v_fma_f32 v70, v71, v94, -v86
	v_add_f32_e32 v69, 0, v69
	v_fmac_f32_e32 v103, v72, v94
	s_waitcnt vmcnt(7)
	v_fma_f32 v71, v73, v95, -v87
	v_add_f32_e32 v68, 0, v68
	v_add_f32_e32 v69, v69, v70
	s_waitcnt lgkmcnt(1)
	v_mul_f32_e32 v106, v77, v89
	v_mul_f32_e32 v89, v78, v89
	v_fmac_f32_e32 v104, v74, v95
	s_waitcnt vmcnt(6)
	v_fma_f32 v72, v75, v96, -v88
	v_add_f32_e32 v68, v68, v103
	v_add_f32_e32 v69, v69, v71
	v_mul_f32_e32 v107, v79, v90
	v_mul_f32_e32 v90, v80, v90
	v_fmac_f32_e32 v105, v76, v96
	s_waitcnt vmcnt(5)
	v_fma_f32 v73, v77, v97, -v89
	v_add_f32_e32 v68, v68, v104
	v_add_f32_e32 v69, v69, v72
	s_waitcnt lgkmcnt(0)
	v_mul_f32_e32 v108, v81, v91
	v_mul_f32_e32 v91, v82, v91
	v_fmac_f32_e32 v106, v78, v97
	s_waitcnt vmcnt(4)
	v_fma_f32 v74, v79, v98, -v90
	v_add_f32_e32 v68, v68, v105
	v_add_f32_e32 v69, v69, v73
	v_mul_f32_e32 v109, v83, v92
	v_mul_f32_e32 v92, v84, v92
	v_fmac_f32_e32 v107, v80, v98
	s_waitcnt vmcnt(3)
	v_fma_f32 v75, v81, v99, -v91
	v_add_f32_e32 v68, v68, v106
	v_add_f32_e32 v69, v69, v74
	v_fmac_f32_e32 v108, v82, v99
	s_waitcnt vmcnt(2)
	v_fma_f32 v76, v83, v100, -v92
	v_add_f32_e32 v68, v68, v107
	v_add_f32_e32 v69, v69, v75
	v_fmac_f32_e32 v109, v84, v100
	v_add_f32_e32 v68, v68, v108
	v_add_f32_e32 v69, v69, v76
	;; [unrolled: 1-line block ×3, first 2 shown]
	s_waitcnt vmcnt(1)
	v_sub_f32_e32 v69, v101, v69
	s_waitcnt vmcnt(0)
	v_sub_f32_e32 v68, v102, v68
	buffer_store_dword v69, off, s[0:3], 0 offset:192
	buffer_store_dword v68, off, s[0:3], 0 offset:196
	s_and_saveexec_b64 s[4:5], vcc
	s_cbranch_execz .LBB32_165
; %bb.164:
	buffer_load_dword v68, off, s[0:3], 0 offset:184
	buffer_load_dword v69, off, s[0:3], 0 offset:188
	v_mov_b32_e32 v70, 0
	buffer_store_dword v70, off, s[0:3], 0 offset:184
	buffer_store_dword v70, off, s[0:3], 0 offset:188
	s_waitcnt vmcnt(2)
	ds_write_b64 v67, v[68:69]
.LBB32_165:
	s_or_b64 exec, exec, s[4:5]
	s_waitcnt lgkmcnt(0)
	; wave barrier
	buffer_load_dword v87, off, s[0:3], 0 offset:196
	buffer_load_dword v88, off, s[0:3], 0 offset:204
	;; [unrolled: 1-line block ×20, first 2 shown]
	v_mov_b32_e32 v68, 0
	ds_read_b128 v[69:72], v68 offset:464
	ds_read_b128 v[73:76], v68 offset:480
	;; [unrolled: 1-line block ×4, first 2 shown]
	ds_read_b64 v[85:86], v68 offset:528
	v_cmp_lt_u32_e32 vcc, 22, v0
	s_waitcnt vmcnt(19) lgkmcnt(4)
	v_mul_f32_e32 v107, v69, v87
	v_mul_f32_e32 v87, v70, v87
	s_waitcnt vmcnt(18)
	v_mul_f32_e32 v108, v71, v88
	v_mul_f32_e32 v88, v72, v88
	s_waitcnt vmcnt(17) lgkmcnt(3)
	v_mul_f32_e32 v109, v73, v89
	s_waitcnt vmcnt(15) lgkmcnt(2)
	v_mul_f32_e32 v111, v77, v91
	v_mul_f32_e32 v89, v74, v89
	;; [unrolled: 1-line block ×4, first 2 shown]
	s_waitcnt vmcnt(10)
	v_fma_f32 v69, v69, v96, -v87
	v_fmac_f32_e32 v107, v70, v96
	s_waitcnt vmcnt(9)
	v_fma_f32 v70, v71, v97, -v88
	v_add_f32_e32 v69, 0, v69
	v_mul_f32_e32 v91, v78, v91
	v_fmac_f32_e32 v108, v72, v97
	s_waitcnt vmcnt(6)
	v_fmac_f32_e32 v111, v78, v100
	v_fma_f32 v71, v73, v98, -v89
	v_add_f32_e32 v78, 0, v107
	v_add_f32_e32 v69, v69, v70
	v_fmac_f32_e32 v109, v74, v98
	v_fma_f32 v72, v75, v99, -v90
	v_add_f32_e32 v78, v78, v108
	v_add_f32_e32 v69, v69, v71
	v_mul_f32_e32 v112, v79, v92
	v_mul_f32_e32 v92, v80, v92
	v_fmac_f32_e32 v110, v76, v99
	v_fma_f32 v73, v77, v100, -v91
	v_add_f32_e32 v70, v78, v109
	v_add_f32_e32 v69, v69, v72
	s_waitcnt lgkmcnt(1)
	v_mul_f32_e32 v113, v81, v93
	v_mul_f32_e32 v93, v82, v93
	s_waitcnt vmcnt(5)
	v_fma_f32 v74, v79, v101, -v92
	v_add_f32_e32 v70, v70, v110
	v_add_f32_e32 v69, v69, v73
	v_mul_f32_e32 v114, v83, v94
	v_mul_f32_e32 v94, v84, v94
	v_fmac_f32_e32 v112, v80, v101
	s_waitcnt vmcnt(4)
	v_fma_f32 v75, v81, v102, -v93
	v_add_f32_e32 v70, v70, v111
	v_add_f32_e32 v69, v69, v74
	s_waitcnt lgkmcnt(0)
	v_mul_f32_e32 v115, v85, v95
	v_mul_f32_e32 v95, v86, v95
	v_fmac_f32_e32 v113, v82, v102
	s_waitcnt vmcnt(3)
	v_fma_f32 v76, v83, v103, -v94
	v_add_f32_e32 v70, v70, v112
	v_add_f32_e32 v69, v69, v75
	v_fmac_f32_e32 v114, v84, v103
	s_waitcnt vmcnt(2)
	v_fma_f32 v77, v85, v104, -v95
	v_add_f32_e32 v70, v70, v113
	v_add_f32_e32 v69, v69, v76
	v_fmac_f32_e32 v115, v86, v104
	v_add_f32_e32 v70, v70, v114
	v_add_f32_e32 v69, v69, v77
	;; [unrolled: 1-line block ×3, first 2 shown]
	s_waitcnt vmcnt(1)
	v_sub_f32_e32 v69, v105, v69
	s_waitcnt vmcnt(0)
	v_sub_f32_e32 v70, v106, v70
	buffer_store_dword v69, off, s[0:3], 0 offset:184
	buffer_store_dword v70, off, s[0:3], 0 offset:188
	s_and_saveexec_b64 s[4:5], vcc
	s_cbranch_execz .LBB32_167
; %bb.166:
	buffer_load_dword v69, off, s[0:3], 0 offset:176
	buffer_load_dword v70, off, s[0:3], 0 offset:180
	s_waitcnt vmcnt(0)
	ds_write_b64 v67, v[69:70]
	buffer_store_dword v68, off, s[0:3], 0 offset:176
	buffer_store_dword v68, off, s[0:3], 0 offset:180
.LBB32_167:
	s_or_b64 exec, exec, s[4:5]
	s_waitcnt lgkmcnt(0)
	; wave barrier
	buffer_load_dword v89, off, s[0:3], 0 offset:188
	buffer_load_dword v90, off, s[0:3], 0 offset:196
	;; [unrolled: 1-line block ×22, first 2 shown]
	ds_read2_b64 v[69:72], v68 offset0:57 offset1:58
	ds_read2_b64 v[73:76], v68 offset0:59 offset1:60
	;; [unrolled: 1-line block ×5, first 2 shown]
	v_cmp_lt_u32_e32 vcc, 21, v0
	s_waitcnt vmcnt(21) lgkmcnt(4)
	v_mul_f32_e32 v68, v69, v89
	v_mul_f32_e32 v89, v70, v89
	s_waitcnt vmcnt(20)
	v_mul_f32_e32 v111, v71, v90
	v_mul_f32_e32 v90, v72, v90
	s_waitcnt vmcnt(19) lgkmcnt(3)
	v_mul_f32_e32 v112, v73, v91
	v_mul_f32_e32 v91, v74, v91
	s_waitcnt vmcnt(18)
	v_mul_f32_e32 v113, v75, v92
	v_mul_f32_e32 v92, v76, v92
	s_waitcnt vmcnt(17) lgkmcnt(2)
	v_mul_f32_e32 v114, v77, v93
	v_mul_f32_e32 v93, v78, v93
	s_waitcnt vmcnt(11)
	v_fma_f32 v69, v69, v99, -v89
	v_fmac_f32_e32 v68, v70, v99
	s_waitcnt vmcnt(10)
	v_fma_f32 v70, v71, v100, -v90
	v_add_f32_e32 v69, 0, v69
	v_fmac_f32_e32 v111, v72, v100
	s_waitcnt vmcnt(9)
	v_fma_f32 v71, v73, v101, -v91
	v_add_f32_e32 v68, 0, v68
	v_add_f32_e32 v69, v69, v70
	v_fmac_f32_e32 v112, v74, v101
	s_waitcnt vmcnt(8)
	v_fma_f32 v72, v75, v102, -v92
	v_add_f32_e32 v68, v68, v111
	v_add_f32_e32 v69, v69, v71
	v_mul_f32_e32 v115, v79, v94
	v_mul_f32_e32 v94, v80, v94
	v_fmac_f32_e32 v113, v76, v102
	s_waitcnt vmcnt(7)
	v_fma_f32 v73, v77, v103, -v93
	v_add_f32_e32 v68, v68, v112
	v_add_f32_e32 v69, v69, v72
	s_waitcnt lgkmcnt(1)
	v_mul_f32_e32 v116, v81, v95
	v_mul_f32_e32 v95, v82, v95
	v_fmac_f32_e32 v114, v78, v103
	s_waitcnt vmcnt(6)
	v_fma_f32 v74, v79, v104, -v94
	v_add_f32_e32 v68, v68, v113
	v_add_f32_e32 v69, v69, v73
	v_mul_f32_e32 v117, v83, v96
	v_mul_f32_e32 v96, v84, v96
	v_fmac_f32_e32 v115, v80, v104
	s_waitcnt vmcnt(5)
	v_fma_f32 v75, v81, v105, -v95
	v_add_f32_e32 v68, v68, v114
	v_add_f32_e32 v69, v69, v74
	s_waitcnt lgkmcnt(0)
	v_mul_f32_e32 v118, v85, v97
	v_mul_f32_e32 v97, v86, v97
	v_fmac_f32_e32 v116, v82, v105
	s_waitcnt vmcnt(4)
	v_fma_f32 v76, v83, v106, -v96
	v_add_f32_e32 v68, v68, v115
	v_add_f32_e32 v69, v69, v75
	v_mul_f32_e32 v119, v87, v98
	v_mul_f32_e32 v98, v88, v98
	v_fmac_f32_e32 v117, v84, v106
	s_waitcnt vmcnt(3)
	v_fma_f32 v77, v85, v107, -v97
	v_add_f32_e32 v68, v68, v116
	v_add_f32_e32 v69, v69, v76
	v_fmac_f32_e32 v118, v86, v107
	s_waitcnt vmcnt(2)
	v_fma_f32 v78, v87, v108, -v98
	v_add_f32_e32 v68, v68, v117
	v_add_f32_e32 v69, v69, v77
	v_fmac_f32_e32 v119, v88, v108
	v_add_f32_e32 v68, v68, v118
	v_add_f32_e32 v69, v69, v78
	;; [unrolled: 1-line block ×3, first 2 shown]
	s_waitcnt vmcnt(1)
	v_sub_f32_e32 v69, v109, v69
	s_waitcnt vmcnt(0)
	v_sub_f32_e32 v68, v110, v68
	buffer_store_dword v69, off, s[0:3], 0 offset:176
	buffer_store_dword v68, off, s[0:3], 0 offset:180
	s_and_saveexec_b64 s[4:5], vcc
	s_cbranch_execz .LBB32_169
; %bb.168:
	buffer_load_dword v68, off, s[0:3], 0 offset:168
	buffer_load_dword v69, off, s[0:3], 0 offset:172
	v_mov_b32_e32 v70, 0
	buffer_store_dword v70, off, s[0:3], 0 offset:168
	buffer_store_dword v70, off, s[0:3], 0 offset:172
	s_waitcnt vmcnt(2)
	ds_write_b64 v67, v[68:69]
.LBB32_169:
	s_or_b64 exec, exec, s[4:5]
	s_waitcnt lgkmcnt(0)
	; wave barrier
	buffer_load_dword v91, off, s[0:3], 0 offset:180
	buffer_load_dword v92, off, s[0:3], 0 offset:188
	;; [unrolled: 1-line block ×24, first 2 shown]
	v_mov_b32_e32 v68, 0
	ds_read_b128 v[69:72], v68 offset:448
	ds_read_b128 v[73:76], v68 offset:464
	;; [unrolled: 1-line block ×5, first 2 shown]
	ds_read_b64 v[89:90], v68 offset:528
	v_cmp_lt_u32_e32 vcc, 20, v0
	s_waitcnt vmcnt(23) lgkmcnt(5)
	v_mul_f32_e32 v115, v69, v91
	v_mul_f32_e32 v91, v70, v91
	s_waitcnt vmcnt(22)
	v_mul_f32_e32 v116, v71, v92
	v_mul_f32_e32 v92, v72, v92
	s_waitcnt vmcnt(21) lgkmcnt(4)
	v_mul_f32_e32 v117, v73, v93
	v_mul_f32_e32 v93, v74, v93
	s_waitcnt vmcnt(20)
	v_mul_f32_e32 v118, v75, v94
	s_waitcnt vmcnt(19) lgkmcnt(3)
	v_mul_f32_e32 v119, v77, v95
	v_mul_f32_e32 v94, v76, v94
	;; [unrolled: 1-line block ×3, first 2 shown]
	s_waitcnt vmcnt(18)
	v_mul_f32_e32 v120, v79, v96
	s_waitcnt vmcnt(12)
	v_fma_f32 v69, v69, v102, -v91
	v_fmac_f32_e32 v115, v70, v102
	s_waitcnt vmcnt(11)
	v_fma_f32 v70, v71, v103, -v92
	v_add_f32_e32 v69, 0, v69
	s_waitcnt vmcnt(10)
	v_fma_f32 v71, v73, v104, -v93
	v_add_f32_e32 v69, v69, v70
	v_fmac_f32_e32 v116, v72, v103
	s_waitcnt vmcnt(8)
	v_fmac_f32_e32 v119, v78, v106
	v_fma_f32 v72, v75, v105, -v94
	v_add_f32_e32 v78, 0, v115
	v_add_f32_e32 v69, v69, v71
	v_mul_f32_e32 v96, v80, v96
	v_fmac_f32_e32 v117, v74, v104
	v_fma_f32 v73, v77, v106, -v95
	v_add_f32_e32 v78, v78, v116
	v_add_f32_e32 v69, v69, v72
	s_waitcnt lgkmcnt(2)
	v_mul_f32_e32 v121, v81, v97
	v_mul_f32_e32 v97, v82, v97
	v_fmac_f32_e32 v118, v76, v105
	s_waitcnt vmcnt(7)
	v_fma_f32 v74, v79, v107, -v96
	v_add_f32_e32 v70, v78, v117
	v_add_f32_e32 v69, v69, v73
	v_mul_f32_e32 v122, v83, v98
	v_mul_f32_e32 v98, v84, v98
	s_waitcnt vmcnt(6)
	v_fma_f32 v75, v81, v108, -v97
	v_add_f32_e32 v70, v70, v118
	v_add_f32_e32 v69, v69, v74
	s_waitcnt lgkmcnt(1)
	v_mul_f32_e32 v123, v85, v99
	v_mul_f32_e32 v99, v86, v99
	v_fmac_f32_e32 v120, v80, v107
	s_waitcnt vmcnt(5)
	v_fma_f32 v76, v83, v109, -v98
	v_add_f32_e32 v70, v70, v119
	v_add_f32_e32 v69, v69, v75
	v_fmac_f32_e32 v121, v82, v108
	s_waitcnt vmcnt(4)
	v_fma_f32 v77, v85, v110, -v99
	v_add_f32_e32 v70, v70, v120
	v_add_f32_e32 v69, v69, v76
	v_mul_f32_e32 v71, v88, v100
	v_fmac_f32_e32 v122, v84, v109
	v_add_f32_e32 v70, v70, v121
	v_add_f32_e32 v69, v69, v77
	s_waitcnt vmcnt(3)
	v_fma_f32 v71, v87, v111, -v71
	v_mul_f32_e32 v124, v87, v100
	v_fmac_f32_e32 v123, v86, v110
	v_add_f32_e32 v70, v70, v122
	v_add_f32_e32 v69, v69, v71
	s_waitcnt lgkmcnt(0)
	v_mul_f32_e32 v71, v90, v101
	v_mul_f32_e32 v125, v89, v101
	v_fmac_f32_e32 v124, v88, v111
	v_add_f32_e32 v70, v70, v123
	s_waitcnt vmcnt(2)
	v_fma_f32 v71, v89, v112, -v71
	v_fmac_f32_e32 v125, v90, v112
	v_add_f32_e32 v70, v70, v124
	v_add_f32_e32 v69, v69, v71
	;; [unrolled: 1-line block ×3, first 2 shown]
	s_waitcnt vmcnt(1)
	v_sub_f32_e32 v69, v113, v69
	s_waitcnt vmcnt(0)
	v_sub_f32_e32 v70, v114, v70
	buffer_store_dword v69, off, s[0:3], 0 offset:168
	buffer_store_dword v70, off, s[0:3], 0 offset:172
	s_and_saveexec_b64 s[4:5], vcc
	s_cbranch_execz .LBB32_171
; %bb.170:
	buffer_load_dword v69, off, s[0:3], 0 offset:160
	buffer_load_dword v70, off, s[0:3], 0 offset:164
	s_waitcnt vmcnt(0)
	ds_write_b64 v67, v[69:70]
	buffer_store_dword v68, off, s[0:3], 0 offset:160
	buffer_store_dword v68, off, s[0:3], 0 offset:164
.LBB32_171:
	s_or_b64 exec, exec, s[4:5]
	s_waitcnt lgkmcnt(0)
	; wave barrier
	ds_read2_b64 v[69:72], v68 offset0:55 offset1:56
	buffer_load_dword v93, off, s[0:3], 0 offset:160
	buffer_load_dword v94, off, s[0:3], 0 offset:164
	;; [unrolled: 1-line block ×16, first 2 shown]
	v_cmp_lt_u32_e32 vcc, 19, v0
	s_waitcnt vmcnt(12) lgkmcnt(0)
	v_mul_f32_e32 v73, v69, v96
	v_fmac_f32_e32 v73, v70, v95
	s_waitcnt vmcnt(10)
	v_mul_f32_e32 v74, v71, v98
	v_add_f32_e32 v73, 0, v73
	v_fmac_f32_e32 v74, v72, v97
	v_add_f32_e32 v77, v73, v74
	ds_read2_b64 v[73:76], v68 offset0:57 offset1:58
	v_mul_f32_e32 v70, v70, v96
	v_fma_f32 v69, v69, v95, -v70
	v_mul_f32_e32 v70, v72, v98
	v_add_f32_e32 v69, 0, v69
	s_waitcnt vmcnt(8) lgkmcnt(0)
	v_mul_f32_e32 v78, v73, v100
	v_fmac_f32_e32 v78, v74, v99
	v_add_f32_e32 v77, v77, v78
	s_waitcnt vmcnt(6)
	v_mul_f32_e32 v78, v75, v102
	v_fmac_f32_e32 v78, v76, v101
	v_add_f32_e32 v81, v77, v78
	ds_read2_b64 v[77:80], v68 offset0:59 offset1:60
	v_fma_f32 v70, v71, v97, -v70
	v_add_f32_e32 v69, v69, v70
	v_mul_f32_e32 v70, v74, v100
	v_fma_f32 v70, v73, v99, -v70
	s_waitcnt vmcnt(4) lgkmcnt(0)
	v_mul_f32_e32 v82, v77, v104
	v_fmac_f32_e32 v82, v78, v103
	v_add_f32_e32 v81, v81, v82
	s_waitcnt vmcnt(2)
	v_mul_f32_e32 v82, v79, v106
	v_fmac_f32_e32 v82, v80, v105
	v_add_f32_e32 v85, v81, v82
	ds_read2_b64 v[81:84], v68 offset0:61 offset1:62
	buffer_load_dword v109, off, s[0:3], 0 offset:224
	buffer_load_dword v110, off, s[0:3], 0 offset:228
	v_add_f32_e32 v69, v69, v70
	v_mul_f32_e32 v70, v76, v102
	v_fma_f32 v70, v75, v101, -v70
	s_waitcnt vmcnt(2) lgkmcnt(0)
	v_mul_f32_e32 v86, v81, v108
	v_fmac_f32_e32 v86, v82, v107
	v_add_f32_e32 v85, v85, v86
	v_add_f32_e32 v69, v69, v70
	v_mul_f32_e32 v70, v78, v104
	v_fma_f32 v70, v77, v103, -v70
	v_add_f32_e32 v69, v69, v70
	v_mul_f32_e32 v70, v80, v106
	v_fma_f32 v70, v79, v105, -v70
	;; [unrolled: 3-line block ×3, first 2 shown]
	v_add_f32_e32 v69, v69, v70
	s_waitcnt vmcnt(0)
	v_mul_f32_e32 v86, v83, v110
	v_fmac_f32_e32 v86, v84, v109
	v_add_f32_e32 v89, v85, v86
	ds_read2_b64 v[85:88], v68 offset0:63 offset1:64
	buffer_load_dword v111, off, s[0:3], 0 offset:232
	buffer_load_dword v112, off, s[0:3], 0 offset:236
	;; [unrolled: 1-line block ×4, first 2 shown]
	v_mul_f32_e32 v70, v84, v110
	v_fma_f32 v70, v83, v109, -v70
	v_add_f32_e32 v69, v69, v70
	s_waitcnt vmcnt(2) lgkmcnt(0)
	v_mul_f32_e32 v90, v85, v112
	v_fmac_f32_e32 v90, v86, v111
	v_add_f32_e32 v89, v89, v90
	s_waitcnt vmcnt(0)
	v_mul_f32_e32 v90, v87, v114
	v_fmac_f32_e32 v90, v88, v113
	v_add_f32_e32 v115, v89, v90
	ds_read2_b64 v[89:92], v68 offset0:65 offset1:66
	buffer_load_dword v68, off, s[0:3], 0 offset:248
	buffer_load_dword v116, off, s[0:3], 0 offset:252
	v_mul_f32_e32 v70, v86, v112
	v_fma_f32 v70, v85, v111, -v70
	v_add_f32_e32 v69, v69, v70
	v_mul_f32_e32 v70, v88, v114
	v_fma_f32 v70, v87, v113, -v70
	v_add_f32_e32 v69, v69, v70
	s_waitcnt vmcnt(0) lgkmcnt(0)
	v_mul_f32_e32 v117, v89, v116
	v_fmac_f32_e32 v117, v90, v68
	v_add_f32_e32 v115, v115, v117
	buffer_load_dword v117, off, s[0:3], 0 offset:256
	buffer_load_dword v118, off, s[0:3], 0 offset:260
	v_mul_f32_e32 v70, v90, v116
	v_fma_f32 v68, v89, v68, -v70
	v_add_f32_e32 v68, v69, v68
	s_waitcnt vmcnt(0)
	v_mul_f32_e32 v69, v92, v118
	v_mul_f32_e32 v119, v91, v118
	v_fma_f32 v69, v91, v117, -v69
	v_fmac_f32_e32 v119, v92, v117
	v_add_f32_e32 v68, v68, v69
	v_add_f32_e32 v115, v115, v119
	v_sub_f32_e32 v68, v93, v68
	v_sub_f32_e32 v69, v94, v115
	buffer_store_dword v68, off, s[0:3], 0 offset:160
	buffer_store_dword v69, off, s[0:3], 0 offset:164
	s_and_saveexec_b64 s[4:5], vcc
	s_cbranch_execz .LBB32_173
; %bb.172:
	buffer_load_dword v68, off, s[0:3], 0 offset:152
	buffer_load_dword v69, off, s[0:3], 0 offset:156
	v_mov_b32_e32 v70, 0
	buffer_store_dword v70, off, s[0:3], 0 offset:152
	buffer_store_dword v70, off, s[0:3], 0 offset:156
	s_waitcnt vmcnt(2)
	ds_write_b64 v67, v[68:69]
.LBB32_173:
	s_or_b64 exec, exec, s[4:5]
	v_mov_b32_e32 v68, 0
	s_waitcnt lgkmcnt(0)
	; wave barrier
	ds_read_b128 v[69:72], v68 offset:432
	ds_read_b128 v[73:76], v68 offset:448
	;; [unrolled: 1-line block ×4, first 2 shown]
	buffer_load_dword v95, off, s[0:3], 0 offset:152
	buffer_load_dword v96, off, s[0:3], 0 offset:156
	buffer_load_dword v97, off, s[0:3], 0 offset:160
	buffer_load_dword v98, off, s[0:3], 0 offset:164
	buffer_load_dword v99, off, s[0:3], 0 offset:168
	buffer_load_dword v100, off, s[0:3], 0 offset:172
	buffer_load_dword v101, off, s[0:3], 0 offset:176
	buffer_load_dword v102, off, s[0:3], 0 offset:180
	buffer_load_dword v103, off, s[0:3], 0 offset:184
	buffer_load_dword v104, off, s[0:3], 0 offset:188
	buffer_load_dword v105, off, s[0:3], 0 offset:192
	buffer_load_dword v106, off, s[0:3], 0 offset:196
	buffer_load_dword v107, off, s[0:3], 0 offset:200
	buffer_load_dword v108, off, s[0:3], 0 offset:204
	buffer_load_dword v109, off, s[0:3], 0 offset:208
	buffer_load_dword v110, off, s[0:3], 0 offset:212
	buffer_load_dword v111, off, s[0:3], 0 offset:216
	buffer_load_dword v112, off, s[0:3], 0 offset:220
	v_cmp_lt_u32_e32 vcc, 18, v0
	s_waitcnt vmcnt(14) lgkmcnt(3)
	v_mul_f32_e32 v85, v69, v98
	v_fmac_f32_e32 v85, v70, v97
	s_waitcnt vmcnt(12)
	v_mul_f32_e32 v86, v71, v100
	v_add_f32_e32 v85, 0, v85
	v_fmac_f32_e32 v86, v72, v99
	v_add_f32_e32 v85, v85, v86
	s_waitcnt vmcnt(10) lgkmcnt(2)
	v_mul_f32_e32 v86, v73, v102
	v_fmac_f32_e32 v86, v74, v101
	v_add_f32_e32 v85, v85, v86
	s_waitcnt vmcnt(8)
	v_mul_f32_e32 v86, v75, v104
	v_fmac_f32_e32 v86, v76, v103
	v_add_f32_e32 v85, v85, v86
	s_waitcnt vmcnt(6) lgkmcnt(1)
	v_mul_f32_e32 v86, v77, v106
	v_fmac_f32_e32 v86, v78, v105
	v_add_f32_e32 v85, v85, v86
	s_waitcnt vmcnt(4)
	v_mul_f32_e32 v86, v79, v108
	;; [unrolled: 8-line block ×3, first 2 shown]
	v_fmac_f32_e32 v86, v84, v111
	v_add_f32_e32 v89, v85, v86
	ds_read_b128 v[85:88], v68 offset:496
	buffer_load_dword v113, off, s[0:3], 0 offset:224
	buffer_load_dword v114, off, s[0:3], 0 offset:228
	;; [unrolled: 1-line block ×4, first 2 shown]
	v_mul_f32_e32 v70, v70, v98
	v_fma_f32 v69, v69, v97, -v70
	v_mul_f32_e32 v70, v72, v100
	v_add_f32_e32 v69, 0, v69
	v_fma_f32 v70, v71, v99, -v70
	v_add_f32_e32 v69, v69, v70
	v_mul_f32_e32 v70, v74, v102
	v_fma_f32 v70, v73, v101, -v70
	v_add_f32_e32 v69, v69, v70
	v_mul_f32_e32 v70, v76, v104
	;; [unrolled: 3-line block ×6, first 2 shown]
	v_fma_f32 v70, v83, v111, -v70
	v_add_f32_e32 v69, v69, v70
	s_waitcnt vmcnt(2) lgkmcnt(0)
	v_mul_f32_e32 v90, v85, v114
	v_fmac_f32_e32 v90, v86, v113
	v_add_f32_e32 v89, v89, v90
	s_waitcnt vmcnt(0)
	v_mul_f32_e32 v90, v87, v116
	v_fmac_f32_e32 v90, v88, v115
	v_add_f32_e32 v93, v89, v90
	ds_read_b128 v[89:92], v68 offset:512
	buffer_load_dword v117, off, s[0:3], 0 offset:240
	buffer_load_dword v118, off, s[0:3], 0 offset:244
	;; [unrolled: 1-line block ×4, first 2 shown]
	v_mul_f32_e32 v70, v86, v114
	v_fma_f32 v70, v85, v113, -v70
	v_add_f32_e32 v69, v69, v70
	v_mul_f32_e32 v70, v88, v116
	v_fma_f32 v70, v87, v115, -v70
	v_add_f32_e32 v69, v69, v70
	s_waitcnt vmcnt(2) lgkmcnt(0)
	v_mul_f32_e32 v94, v89, v118
	v_fmac_f32_e32 v94, v90, v117
	v_add_f32_e32 v93, v93, v94
	s_waitcnt vmcnt(0)
	v_mul_f32_e32 v94, v91, v120
	v_fmac_f32_e32 v94, v92, v119
	v_add_f32_e32 v121, v93, v94
	ds_read_b64 v[93:94], v68 offset:528
	buffer_load_dword v122, off, s[0:3], 0 offset:256
	buffer_load_dword v123, off, s[0:3], 0 offset:260
	v_mul_f32_e32 v70, v90, v118
	v_fma_f32 v70, v89, v117, -v70
	v_add_f32_e32 v69, v69, v70
	v_mul_f32_e32 v70, v92, v120
	v_fma_f32 v70, v91, v119, -v70
	v_add_f32_e32 v69, v69, v70
	s_waitcnt vmcnt(0) lgkmcnt(0)
	v_mul_f32_e32 v70, v94, v123
	v_mul_f32_e32 v124, v93, v123
	v_fma_f32 v70, v93, v122, -v70
	v_fmac_f32_e32 v124, v94, v122
	v_add_f32_e32 v69, v69, v70
	v_add_f32_e32 v121, v121, v124
	v_sub_f32_e32 v69, v95, v69
	v_sub_f32_e32 v70, v96, v121
	buffer_store_dword v69, off, s[0:3], 0 offset:152
	buffer_store_dword v70, off, s[0:3], 0 offset:156
	s_and_saveexec_b64 s[4:5], vcc
	s_cbranch_execz .LBB32_175
; %bb.174:
	buffer_load_dword v69, off, s[0:3], 0 offset:144
	buffer_load_dword v70, off, s[0:3], 0 offset:148
	s_waitcnt vmcnt(0)
	ds_write_b64 v67, v[69:70]
	buffer_store_dword v68, off, s[0:3], 0 offset:144
	buffer_store_dword v68, off, s[0:3], 0 offset:148
.LBB32_175:
	s_or_b64 exec, exec, s[4:5]
	s_waitcnt lgkmcnt(0)
	; wave barrier
	buffer_load_dword v97, off, s[0:3], 0 offset:156
	buffer_load_dword v98, off, s[0:3], 0 offset:164
	;; [unrolled: 1-line block ×30, first 2 shown]
	ds_read2_b64 v[69:72], v68 offset0:53 offset1:54
	ds_read2_b64 v[73:76], v68 offset0:55 offset1:56
	;; [unrolled: 1-line block ×7, first 2 shown]
	v_cmp_lt_u32_e32 vcc, 17, v0
	s_waitcnt vmcnt(29) lgkmcnt(6)
	v_mul_f32_e32 v68, v69, v97
	v_mul_f32_e32 v97, v70, v97
	s_waitcnt vmcnt(28)
	v_mul_f32_e32 v127, v71, v98
	v_mul_f32_e32 v98, v72, v98
	s_waitcnt vmcnt(27) lgkmcnt(5)
	v_mul_f32_e32 v128, v73, v99
	v_mul_f32_e32 v99, v74, v99
	s_waitcnt vmcnt(26)
	v_mul_f32_e32 v129, v75, v100
	v_mul_f32_e32 v100, v76, v100
	s_waitcnt vmcnt(25) lgkmcnt(4)
	v_mul_f32_e32 v130, v77, v101
	v_mul_f32_e32 v101, v78, v101
	s_waitcnt vmcnt(24)
	v_mul_f32_e32 v131, v79, v102
	s_waitcnt vmcnt(23) lgkmcnt(3)
	v_mul_f32_e32 v132, v81, v103
	s_waitcnt vmcnt(22)
	v_mul_f32_e32 v133, v83, v104
	s_waitcnt vmcnt(21) lgkmcnt(2)
	v_mul_f32_e32 v134, v85, v105
	s_waitcnt vmcnt(15)
	v_fma_f32 v69, v69, v111, -v97
	v_fmac_f32_e32 v68, v70, v111
	s_waitcnt vmcnt(14)
	v_fma_f32 v70, v71, v112, -v98
	v_add_f32_e32 v69, 0, v69
	s_waitcnt vmcnt(13)
	v_fma_f32 v71, v73, v113, -v99
	v_add_f32_e32 v69, v69, v70
	v_fmac_f32_e32 v127, v72, v112
	s_waitcnt vmcnt(12)
	v_fma_f32 v72, v75, v114, -v100
	v_add_f32_e32 v69, v69, v71
	s_waitcnt vmcnt(11)
	v_fma_f32 v73, v77, v115, -v101
	v_add_f32_e32 v69, v69, v72
	v_mul_f32_e32 v70, v80, v102
	v_add_f32_e32 v69, v69, v73
	s_waitcnt vmcnt(10)
	v_fma_f32 v70, v79, v116, -v70
	v_add_f32_e32 v69, v69, v70
	v_mul_f32_e32 v70, v82, v103
	s_waitcnt vmcnt(9)
	v_fma_f32 v70, v81, v117, -v70
	v_add_f32_e32 v69, v69, v70
	v_mul_f32_e32 v70, v84, v104
	s_waitcnt vmcnt(8)
	v_fma_f32 v70, v83, v118, -v70
	v_add_f32_e32 v68, 0, v68
	v_add_f32_e32 v69, v69, v70
	v_mul_f32_e32 v70, v86, v105
	v_fmac_f32_e32 v128, v74, v113
	v_add_f32_e32 v68, v68, v127
	s_waitcnt vmcnt(7)
	v_fma_f32 v70, v85, v119, -v70
	v_fmac_f32_e32 v129, v76, v114
	v_add_f32_e32 v68, v68, v128
	v_add_f32_e32 v69, v69, v70
	v_mul_f32_e32 v70, v88, v106
	v_fmac_f32_e32 v130, v78, v115
	v_add_f32_e32 v68, v68, v129
	s_waitcnt vmcnt(6)
	v_fma_f32 v70, v87, v120, -v70
	v_fmac_f32_e32 v131, v80, v116
	v_add_f32_e32 v68, v68, v130
	v_add_f32_e32 v69, v69, v70
	s_waitcnt lgkmcnt(1)
	v_mul_f32_e32 v70, v90, v107
	v_fmac_f32_e32 v132, v82, v117
	v_add_f32_e32 v68, v68, v131
	s_waitcnt vmcnt(5)
	v_fma_f32 v70, v89, v121, -v70
	v_fmac_f32_e32 v133, v84, v118
	v_add_f32_e32 v68, v68, v132
	v_add_f32_e32 v69, v69, v70
	v_mul_f32_e32 v70, v92, v108
	v_mul_f32_e32 v135, v87, v106
	v_fmac_f32_e32 v134, v86, v119
	v_add_f32_e32 v68, v68, v133
	s_waitcnt vmcnt(4)
	v_fma_f32 v70, v91, v122, -v70
	v_mul_f32_e32 v136, v89, v107
	v_fmac_f32_e32 v135, v88, v120
	v_add_f32_e32 v68, v68, v134
	v_add_f32_e32 v69, v69, v70
	s_waitcnt lgkmcnt(0)
	v_mul_f32_e32 v70, v94, v109
	v_mul_f32_e32 v137, v91, v108
	v_fmac_f32_e32 v136, v90, v121
	v_add_f32_e32 v68, v68, v135
	s_waitcnt vmcnt(3)
	v_fma_f32 v70, v93, v123, -v70
	v_mul_f32_e32 v138, v93, v109
	v_fmac_f32_e32 v137, v92, v122
	v_add_f32_e32 v68, v68, v136
	v_add_f32_e32 v69, v69, v70
	v_mul_f32_e32 v70, v96, v110
	v_mul_f32_e32 v139, v95, v110
	v_fmac_f32_e32 v138, v94, v123
	v_add_f32_e32 v68, v68, v137
	s_waitcnt vmcnt(2)
	v_fma_f32 v70, v95, v124, -v70
	v_fmac_f32_e32 v139, v96, v124
	v_add_f32_e32 v68, v68, v138
	v_add_f32_e32 v69, v69, v70
	;; [unrolled: 1-line block ×3, first 2 shown]
	s_waitcnt vmcnt(1)
	v_sub_f32_e32 v69, v125, v69
	s_waitcnt vmcnt(0)
	v_sub_f32_e32 v68, v126, v68
	buffer_store_dword v69, off, s[0:3], 0 offset:144
	buffer_store_dword v68, off, s[0:3], 0 offset:148
	s_and_saveexec_b64 s[4:5], vcc
	s_cbranch_execz .LBB32_177
; %bb.176:
	buffer_load_dword v68, off, s[0:3], 0 offset:136
	buffer_load_dword v69, off, s[0:3], 0 offset:140
	v_mov_b32_e32 v70, 0
	buffer_store_dword v70, off, s[0:3], 0 offset:136
	buffer_store_dword v70, off, s[0:3], 0 offset:140
	s_waitcnt vmcnt(2)
	ds_write_b64 v67, v[68:69]
.LBB32_177:
	s_or_b64 exec, exec, s[4:5]
	s_waitcnt lgkmcnt(0)
	; wave barrier
	buffer_load_dword v99, off, s[0:3], 0 offset:148
	buffer_load_dword v100, off, s[0:3], 0 offset:156
	;; [unrolled: 1-line block ×32, first 2 shown]
	v_mov_b32_e32 v68, 0
	ds_read_b128 v[69:72], v68 offset:416
	ds_read_b128 v[73:76], v68 offset:432
	;; [unrolled: 1-line block ×7, first 2 shown]
	ds_read_b64 v[97:98], v68 offset:528
	v_cmp_lt_u32_e32 vcc, 16, v0
	s_waitcnt vmcnt(31) lgkmcnt(7)
	v_mul_f32_e32 v131, v69, v99
	v_mul_f32_e32 v99, v70, v99
	s_waitcnt vmcnt(30)
	v_mul_f32_e32 v132, v71, v100
	v_mul_f32_e32 v100, v72, v100
	s_waitcnt vmcnt(29) lgkmcnt(6)
	v_mul_f32_e32 v133, v73, v101
	v_mul_f32_e32 v101, v74, v101
	s_waitcnt vmcnt(28)
	v_mul_f32_e32 v134, v75, v102
	s_waitcnt vmcnt(27) lgkmcnt(5)
	v_mul_f32_e32 v135, v77, v103
	s_waitcnt vmcnt(26)
	v_mul_f32_e32 v136, v79, v104
	s_waitcnt vmcnt(25) lgkmcnt(4)
	;; [unrolled: 4-line block ×4, first 2 shown]
	v_mul_f32_e32 v141, v89, v109
	s_waitcnt vmcnt(20)
	v_mul_f32_e32 v142, v91, v110
	s_waitcnt vmcnt(16)
	v_fma_f32 v69, v69, v114, -v99
	v_fmac_f32_e32 v131, v70, v114
	s_waitcnt vmcnt(15)
	v_fma_f32 v70, v71, v115, -v100
	v_add_f32_e32 v69, 0, v69
	s_waitcnt vmcnt(14)
	v_fma_f32 v71, v73, v116, -v101
	v_add_f32_e32 v69, v69, v70
	v_add_f32_e32 v69, v69, v71
	v_mul_f32_e32 v71, v76, v102
	s_waitcnt vmcnt(13)
	v_fma_f32 v71, v75, v117, -v71
	v_add_f32_e32 v69, v69, v71
	v_mul_f32_e32 v71, v78, v103
	s_waitcnt vmcnt(12)
	v_fma_f32 v71, v77, v118, -v71
	;; [unrolled: 4-line block ×5, first 2 shown]
	v_add_f32_e32 v69, v69, v71
	v_mul_f32_e32 v71, v86, v107
	v_fmac_f32_e32 v132, v72, v115
	v_add_f32_e32 v72, 0, v131
	s_waitcnt vmcnt(8)
	v_fma_f32 v71, v85, v122, -v71
	v_fmac_f32_e32 v133, v74, v116
	v_add_f32_e32 v72, v72, v132
	v_add_f32_e32 v69, v69, v71
	v_mul_f32_e32 v71, v88, v108
	v_fmac_f32_e32 v134, v76, v117
	v_add_f32_e32 v70, v72, v133
	s_waitcnt vmcnt(7)
	v_fma_f32 v71, v87, v123, -v71
	v_fmac_f32_e32 v135, v78, v118
	v_add_f32_e32 v70, v70, v134
	;; [unrolled: 8-line block ×4, first 2 shown]
	v_add_f32_e32 v69, v69, v71
	s_waitcnt lgkmcnt(1)
	v_mul_f32_e32 v71, v94, v111
	v_fmac_f32_e32 v140, v88, v123
	v_add_f32_e32 v70, v70, v139
	s_waitcnt vmcnt(4)
	v_fma_f32 v71, v93, v126, -v71
	v_fmac_f32_e32 v141, v90, v124
	v_add_f32_e32 v70, v70, v140
	v_add_f32_e32 v69, v69, v71
	v_mul_f32_e32 v71, v96, v112
	v_mul_f32_e32 v143, v93, v111
	v_fmac_f32_e32 v142, v92, v125
	v_add_f32_e32 v70, v70, v141
	s_waitcnt vmcnt(3)
	v_fma_f32 v71, v95, v127, -v71
	v_mul_f32_e32 v144, v95, v112
	v_fmac_f32_e32 v143, v94, v126
	v_add_f32_e32 v70, v70, v142
	v_add_f32_e32 v69, v69, v71
	s_waitcnt lgkmcnt(0)
	v_mul_f32_e32 v71, v98, v113
	v_mul_f32_e32 v145, v97, v113
	v_fmac_f32_e32 v144, v96, v127
	v_add_f32_e32 v70, v70, v143
	s_waitcnt vmcnt(2)
	v_fma_f32 v71, v97, v128, -v71
	v_fmac_f32_e32 v145, v98, v128
	v_add_f32_e32 v70, v70, v144
	v_add_f32_e32 v69, v69, v71
	v_add_f32_e32 v70, v70, v145
	s_waitcnt vmcnt(1)
	v_sub_f32_e32 v69, v129, v69
	s_waitcnt vmcnt(0)
	v_sub_f32_e32 v70, v130, v70
	buffer_store_dword v69, off, s[0:3], 0 offset:136
	buffer_store_dword v70, off, s[0:3], 0 offset:140
	s_and_saveexec_b64 s[4:5], vcc
	s_cbranch_execz .LBB32_179
; %bb.178:
	buffer_load_dword v69, off, s[0:3], 0 offset:128
	buffer_load_dword v70, off, s[0:3], 0 offset:132
	s_waitcnt vmcnt(0)
	ds_write_b64 v67, v[69:70]
	buffer_store_dword v68, off, s[0:3], 0 offset:128
	buffer_store_dword v68, off, s[0:3], 0 offset:132
.LBB32_179:
	s_or_b64 exec, exec, s[4:5]
	s_waitcnt lgkmcnt(0)
	; wave barrier
	buffer_load_dword v101, off, s[0:3], 0 offset:140
	buffer_load_dword v102, off, s[0:3], 0 offset:148
	;; [unrolled: 1-line block ×34, first 2 shown]
	ds_read2_b64 v[69:72], v68 offset0:51 offset1:52
	ds_read2_b64 v[73:76], v68 offset0:53 offset1:54
	;; [unrolled: 1-line block ×8, first 2 shown]
	v_cmp_lt_u32_e32 vcc, 15, v0
	s_waitcnt vmcnt(33) lgkmcnt(7)
	v_mul_f32_e32 v68, v69, v101
	v_mul_f32_e32 v101, v70, v101
	s_waitcnt vmcnt(32)
	v_mul_f32_e32 v135, v71, v102
	v_mul_f32_e32 v102, v72, v102
	s_waitcnt vmcnt(31) lgkmcnt(6)
	v_mul_f32_e32 v136, v73, v103
	s_waitcnt vmcnt(30)
	v_mul_f32_e32 v137, v75, v104
	s_waitcnt vmcnt(29) lgkmcnt(5)
	v_mul_f32_e32 v138, v77, v105
	s_waitcnt vmcnt(28)
	;; [unrolled: 4-line block ×6, first 2 shown]
	v_mul_f32_e32 v147, v95, v114
	s_waitcnt vmcnt(17)
	v_fma_f32 v69, v69, v117, -v101
	v_fmac_f32_e32 v68, v70, v117
	s_waitcnt vmcnt(16)
	v_fma_f32 v70, v71, v118, -v102
	v_add_f32_e32 v69, 0, v69
	v_add_f32_e32 v69, v69, v70
	v_mul_f32_e32 v70, v74, v103
	s_waitcnt vmcnt(15)
	v_fma_f32 v70, v73, v119, -v70
	v_add_f32_e32 v69, v69, v70
	v_mul_f32_e32 v70, v76, v104
	s_waitcnt vmcnt(14)
	v_fma_f32 v70, v75, v120, -v70
	;; [unrolled: 4-line block ×7, first 2 shown]
	v_fmac_f32_e32 v135, v72, v118
	v_add_f32_e32 v68, 0, v68
	v_add_f32_e32 v69, v69, v70
	v_mul_f32_e32 v70, v88, v110
	v_fmac_f32_e32 v136, v74, v119
	v_add_f32_e32 v68, v68, v135
	s_waitcnt vmcnt(8)
	v_fma_f32 v70, v87, v126, -v70
	v_fmac_f32_e32 v137, v76, v120
	v_add_f32_e32 v68, v68, v136
	v_add_f32_e32 v69, v69, v70
	v_mul_f32_e32 v70, v90, v111
	v_fmac_f32_e32 v138, v78, v121
	v_add_f32_e32 v68, v68, v137
	s_waitcnt vmcnt(7)
	v_fma_f32 v70, v89, v127, -v70
	;; [unrolled: 8-line block ×5, first 2 shown]
	v_fmac_f32_e32 v145, v92, v128
	v_add_f32_e32 v68, v68, v144
	v_add_f32_e32 v69, v69, v70
	s_waitcnt lgkmcnt(0)
	v_mul_f32_e32 v70, v98, v115
	v_fmac_f32_e32 v146, v94, v129
	v_add_f32_e32 v68, v68, v145
	s_waitcnt vmcnt(3)
	v_fma_f32 v70, v97, v131, -v70
	v_mul_f32_e32 v148, v97, v115
	v_fmac_f32_e32 v147, v96, v130
	v_add_f32_e32 v68, v68, v146
	v_add_f32_e32 v69, v69, v70
	v_mul_f32_e32 v70, v100, v116
	v_mul_f32_e32 v149, v99, v116
	v_fmac_f32_e32 v148, v98, v131
	v_add_f32_e32 v68, v68, v147
	s_waitcnt vmcnt(2)
	v_fma_f32 v70, v99, v132, -v70
	v_fmac_f32_e32 v149, v100, v132
	v_add_f32_e32 v68, v68, v148
	v_add_f32_e32 v69, v69, v70
	;; [unrolled: 1-line block ×3, first 2 shown]
	s_waitcnt vmcnt(1)
	v_sub_f32_e32 v69, v133, v69
	s_waitcnt vmcnt(0)
	v_sub_f32_e32 v68, v134, v68
	buffer_store_dword v69, off, s[0:3], 0 offset:128
	buffer_store_dword v68, off, s[0:3], 0 offset:132
	s_and_saveexec_b64 s[4:5], vcc
	s_cbranch_execz .LBB32_181
; %bb.180:
	buffer_load_dword v68, off, s[0:3], 0 offset:120
	buffer_load_dword v69, off, s[0:3], 0 offset:124
	v_mov_b32_e32 v70, 0
	buffer_store_dword v70, off, s[0:3], 0 offset:120
	buffer_store_dword v70, off, s[0:3], 0 offset:124
	s_waitcnt vmcnt(2)
	ds_write_b64 v67, v[68:69]
.LBB32_181:
	s_or_b64 exec, exec, s[4:5]
	s_waitcnt lgkmcnt(0)
	; wave barrier
	buffer_load_dword v103, off, s[0:3], 0 offset:132
	buffer_load_dword v104, off, s[0:3], 0 offset:140
	;; [unrolled: 1-line block ×36, first 2 shown]
	v_mov_b32_e32 v68, 0
	ds_read_b128 v[69:72], v68 offset:400
	ds_read_b128 v[73:76], v68 offset:416
	;; [unrolled: 1-line block ×8, first 2 shown]
	ds_read_b64 v[101:102], v68 offset:528
	v_cmp_lt_u32_e32 vcc, 14, v0
	s_waitcnt vmcnt(35) lgkmcnt(8)
	v_mul_f32_e32 v139, v69, v103
	s_waitcnt vmcnt(34)
	v_mul_f32_e32 v140, v71, v104
	s_waitcnt vmcnt(33) lgkmcnt(7)
	v_mul_f32_e32 v141, v73, v105
	s_waitcnt vmcnt(32)
	v_mul_f32_e32 v142, v75, v106
	;; [unrolled: 4-line block ×8, first 2 shown]
	s_waitcnt vmcnt(19) lgkmcnt(0)
	v_mul_f32_e32 v155, v101, v119
	s_waitcnt vmcnt(18)
	v_fmac_f32_e32 v139, v70, v120
	v_mul_f32_e32 v70, v70, v103
	v_fma_f32 v69, v69, v120, -v70
	v_mul_f32_e32 v70, v72, v104
	v_add_f32_e32 v69, 0, v69
	s_waitcnt vmcnt(17)
	v_fma_f32 v70, v71, v121, -v70
	v_add_f32_e32 v69, v69, v70
	v_mul_f32_e32 v70, v74, v105
	s_waitcnt vmcnt(16)
	v_fma_f32 v70, v73, v122, -v70
	v_add_f32_e32 v69, v69, v70
	v_mul_f32_e32 v70, v76, v106
	;; [unrolled: 4-line block ×8, first 2 shown]
	v_fmac_f32_e32 v140, v72, v121
	v_add_f32_e32 v139, 0, v139
	s_waitcnt vmcnt(9)
	v_fma_f32 v70, v87, v129, -v70
	v_fmac_f32_e32 v141, v74, v122
	v_add_f32_e32 v139, v139, v140
	v_add_f32_e32 v69, v69, v70
	v_mul_f32_e32 v70, v90, v113
	v_fmac_f32_e32 v142, v76, v123
	v_add_f32_e32 v139, v139, v141
	s_waitcnt vmcnt(8)
	v_fma_f32 v70, v89, v130, -v70
	v_fmac_f32_e32 v143, v78, v124
	v_add_f32_e32 v139, v139, v142
	v_add_f32_e32 v69, v69, v70
	v_mul_f32_e32 v70, v92, v114
	;; [unrolled: 8-line block ×7, first 2 shown]
	v_fmac_f32_e32 v154, v100, v135
	v_add_f32_e32 v139, v139, v153
	s_waitcnt vmcnt(2)
	v_fma_f32 v70, v101, v136, -v70
	v_fmac_f32_e32 v155, v102, v136
	v_add_f32_e32 v139, v139, v154
	v_add_f32_e32 v69, v69, v70
	;; [unrolled: 1-line block ×3, first 2 shown]
	s_waitcnt vmcnt(1)
	v_sub_f32_e32 v69, v137, v69
	s_waitcnt vmcnt(0)
	v_sub_f32_e32 v70, v138, v139
	buffer_store_dword v69, off, s[0:3], 0 offset:120
	buffer_store_dword v70, off, s[0:3], 0 offset:124
	s_and_saveexec_b64 s[4:5], vcc
	s_cbranch_execz .LBB32_183
; %bb.182:
	buffer_load_dword v69, off, s[0:3], 0 offset:112
	buffer_load_dword v70, off, s[0:3], 0 offset:116
	s_waitcnt vmcnt(0)
	ds_write_b64 v67, v[69:70]
	buffer_store_dword v68, off, s[0:3], 0 offset:112
	buffer_store_dword v68, off, s[0:3], 0 offset:116
.LBB32_183:
	s_or_b64 exec, exec, s[4:5]
	s_waitcnt lgkmcnt(0)
	; wave barrier
	buffer_load_dword v105, off, s[0:3], 0 offset:124
	buffer_load_dword v106, off, s[0:3], 0 offset:132
	;; [unrolled: 1-line block ×38, first 2 shown]
	ds_read2_b64 v[69:72], v68 offset0:49 offset1:50
	ds_read2_b64 v[73:76], v68 offset0:51 offset1:52
	ds_read2_b64 v[77:80], v68 offset0:53 offset1:54
	ds_read2_b64 v[81:84], v68 offset0:55 offset1:56
	ds_read2_b64 v[85:88], v68 offset0:57 offset1:58
	ds_read2_b64 v[89:92], v68 offset0:59 offset1:60
	ds_read2_b64 v[93:96], v68 offset0:61 offset1:62
	ds_read2_b64 v[97:100], v68 offset0:63 offset1:64
	ds_read2_b64 v[101:104], v68 offset0:65 offset1:66
	v_cmp_lt_u32_e32 vcc, 13, v0
	s_waitcnt vmcnt(37) lgkmcnt(8)
	v_mul_f32_e32 v68, v69, v105
	s_waitcnt vmcnt(36)
	v_mul_f32_e32 v143, v71, v106
	s_waitcnt vmcnt(35) lgkmcnt(7)
	v_mul_f32_e32 v144, v73, v107
	s_waitcnt vmcnt(34)
	v_mul_f32_e32 v145, v75, v108
	;; [unrolled: 4-line block ×8, first 2 shown]
	s_waitcnt vmcnt(21) lgkmcnt(0)
	v_mul_f32_e32 v158, v101, v121
	s_waitcnt vmcnt(20)
	v_fmac_f32_e32 v68, v70, v122
	v_mul_f32_e32 v70, v70, v105
	v_fma_f32 v69, v69, v122, -v70
	v_mul_f32_e32 v70, v72, v106
	v_add_f32_e32 v69, 0, v69
	s_waitcnt vmcnt(19)
	v_fma_f32 v70, v71, v123, -v70
	v_add_f32_e32 v69, v69, v70
	v_mul_f32_e32 v70, v74, v107
	s_waitcnt vmcnt(18)
	v_fma_f32 v70, v73, v124, -v70
	v_add_f32_e32 v69, v69, v70
	v_mul_f32_e32 v70, v76, v108
	;; [unrolled: 4-line block ×8, first 2 shown]
	s_waitcnt vmcnt(11)
	v_fma_f32 v70, v87, v131, -v70
	v_fmac_f32_e32 v143, v72, v123
	v_add_f32_e32 v68, 0, v68
	v_add_f32_e32 v69, v69, v70
	v_mul_f32_e32 v70, v90, v115
	v_fmac_f32_e32 v144, v74, v124
	v_add_f32_e32 v68, v68, v143
	s_waitcnt vmcnt(10)
	v_fma_f32 v70, v89, v132, -v70
	v_fmac_f32_e32 v145, v76, v125
	v_add_f32_e32 v68, v68, v144
	v_add_f32_e32 v69, v69, v70
	v_mul_f32_e32 v70, v92, v116
	v_fmac_f32_e32 v146, v78, v126
	v_add_f32_e32 v68, v68, v145
	;; [unrolled: 8-line block ×7, first 2 shown]
	s_waitcnt vmcnt(4)
	v_fma_f32 v70, v101, v138, -v70
	v_fmac_f32_e32 v157, v100, v137
	v_add_f32_e32 v68, v68, v156
	v_add_f32_e32 v69, v69, v70
	s_waitcnt vmcnt(3)
	v_mul_f32_e32 v70, v104, v139
	v_add_f32_e32 v68, v68, v157
	v_fmac_f32_e32 v158, v102, v138
	v_mul_f32_e32 v143, v103, v139
	s_waitcnt vmcnt(2)
	v_fma_f32 v70, v103, v140, -v70
	v_add_f32_e32 v68, v68, v158
	v_fmac_f32_e32 v143, v104, v140
	v_add_f32_e32 v69, v69, v70
	v_add_f32_e32 v68, v68, v143
	s_waitcnt vmcnt(1)
	v_sub_f32_e32 v69, v141, v69
	s_waitcnt vmcnt(0)
	v_sub_f32_e32 v68, v142, v68
	buffer_store_dword v69, off, s[0:3], 0 offset:112
	buffer_store_dword v68, off, s[0:3], 0 offset:116
	s_and_saveexec_b64 s[4:5], vcc
	s_cbranch_execz .LBB32_185
; %bb.184:
	buffer_load_dword v68, off, s[0:3], 0 offset:104
	buffer_load_dword v69, off, s[0:3], 0 offset:108
	v_mov_b32_e32 v70, 0
	buffer_store_dword v70, off, s[0:3], 0 offset:104
	buffer_store_dword v70, off, s[0:3], 0 offset:108
	s_waitcnt vmcnt(2)
	ds_write_b64 v67, v[68:69]
.LBB32_185:
	s_or_b64 exec, exec, s[4:5]
	s_waitcnt lgkmcnt(0)
	; wave barrier
	buffer_load_dword v107, off, s[0:3], 0 offset:116
	buffer_load_dword v108, off, s[0:3], 0 offset:124
	;; [unrolled: 1-line block ×40, first 2 shown]
	v_mov_b32_e32 v68, 0
	ds_read_b128 v[69:72], v68 offset:384
	ds_read_b128 v[73:76], v68 offset:400
	;; [unrolled: 1-line block ×9, first 2 shown]
	v_cmp_lt_u32_e32 vcc, 12, v0
	s_waitcnt vmcnt(39) lgkmcnt(8)
	v_mul_f32_e32 v105, v69, v107
	s_waitcnt vmcnt(38)
	v_mul_f32_e32 v106, v71, v108
	s_waitcnt vmcnt(37) lgkmcnt(7)
	v_mul_f32_e32 v147, v73, v109
	s_waitcnt vmcnt(36)
	v_mul_f32_e32 v148, v75, v110
	;; [unrolled: 4-line block ×7, first 2 shown]
	s_waitcnt vmcnt(25) lgkmcnt(1)
	v_mul_f32_e32 v159, v97, v121
	s_waitcnt vmcnt(24)
	v_fmac_f32_e32 v105, v70, v122
	v_mul_f32_e32 v70, v70, v107
	v_fma_f32 v69, v69, v122, -v70
	v_mul_f32_e32 v70, v72, v108
	v_add_f32_e32 v69, 0, v69
	s_waitcnt vmcnt(23)
	v_fma_f32 v70, v71, v123, -v70
	v_add_f32_e32 v69, v69, v70
	v_mul_f32_e32 v70, v74, v109
	s_waitcnt vmcnt(22)
	v_fma_f32 v70, v73, v124, -v70
	v_add_f32_e32 v69, v69, v70
	v_mul_f32_e32 v70, v76, v110
	;; [unrolled: 4-line block ×6, first 2 shown]
	s_waitcnt vmcnt(17)
	v_fma_f32 v70, v83, v129, -v70
	v_fmac_f32_e32 v106, v72, v123
	v_add_f32_e32 v105, 0, v105
	v_add_f32_e32 v69, v69, v70
	v_mul_f32_e32 v70, v86, v115
	v_fmac_f32_e32 v147, v74, v124
	v_add_f32_e32 v105, v105, v106
	s_waitcnt vmcnt(16)
	v_fma_f32 v70, v85, v130, -v70
	v_fmac_f32_e32 v148, v76, v125
	v_add_f32_e32 v105, v105, v147
	v_add_f32_e32 v69, v69, v70
	v_mul_f32_e32 v70, v88, v116
	v_fmac_f32_e32 v149, v78, v126
	v_add_f32_e32 v105, v105, v148
	;; [unrolled: 8-line block ×6, first 2 shown]
	s_waitcnt vmcnt(11)
	v_fma_f32 v70, v95, v135, -v70
	v_fmac_f32_e32 v158, v96, v135
	v_add_f32_e32 v105, v105, v157
	v_add_f32_e32 v69, v69, v70
	v_mul_f32_e32 v70, v98, v121
	s_waitcnt vmcnt(10)
	v_fmac_f32_e32 v159, v98, v136
	v_add_f32_e32 v105, v105, v158
	s_waitcnt vmcnt(9)
	v_mul_f32_e32 v106, v99, v137
	v_fma_f32 v70, v97, v136, -v70
	v_add_f32_e32 v105, v105, v159
	s_waitcnt vmcnt(8)
	v_fmac_f32_e32 v106, v100, v138
	v_add_f32_e32 v69, v69, v70
	v_mul_f32_e32 v70, v100, v137
	v_add_f32_e32 v147, v105, v106
	ds_read_b64 v[105:106], v68 offset:528
	v_fma_f32 v70, v99, v138, -v70
	v_add_f32_e32 v69, v69, v70
	s_waitcnt vmcnt(7) lgkmcnt(1)
	v_mul_f32_e32 v70, v102, v139
	v_mul_f32_e32 v148, v101, v139
	s_waitcnt vmcnt(6)
	v_fma_f32 v70, v101, v140, -v70
	v_fmac_f32_e32 v148, v102, v140
	v_add_f32_e32 v69, v69, v70
	s_waitcnt vmcnt(5)
	v_mul_f32_e32 v70, v104, v141
	v_add_f32_e32 v147, v147, v148
	v_mul_f32_e32 v148, v103, v141
	s_waitcnt vmcnt(4)
	v_fma_f32 v70, v103, v142, -v70
	v_fmac_f32_e32 v148, v104, v142
	v_add_f32_e32 v69, v69, v70
	s_waitcnt vmcnt(3) lgkmcnt(0)
	v_mul_f32_e32 v70, v106, v143
	v_add_f32_e32 v147, v147, v148
	v_mul_f32_e32 v148, v105, v143
	s_waitcnt vmcnt(2)
	v_fma_f32 v70, v105, v144, -v70
	v_fmac_f32_e32 v148, v106, v144
	v_add_f32_e32 v69, v69, v70
	v_add_f32_e32 v147, v147, v148
	s_waitcnt vmcnt(1)
	v_sub_f32_e32 v69, v145, v69
	s_waitcnt vmcnt(0)
	v_sub_f32_e32 v70, v146, v147
	buffer_store_dword v69, off, s[0:3], 0 offset:104
	buffer_store_dword v70, off, s[0:3], 0 offset:108
	s_and_saveexec_b64 s[4:5], vcc
	s_cbranch_execz .LBB32_187
; %bb.186:
	buffer_load_dword v69, off, s[0:3], 0 offset:96
	buffer_load_dword v70, off, s[0:3], 0 offset:100
	s_waitcnt vmcnt(0)
	ds_write_b64 v67, v[69:70]
	buffer_store_dword v68, off, s[0:3], 0 offset:96
	buffer_store_dword v68, off, s[0:3], 0 offset:100
.LBB32_187:
	s_or_b64 exec, exec, s[4:5]
	s_waitcnt lgkmcnt(0)
	; wave barrier
	buffer_load_dword v109, off, s[0:3], 0 offset:108
	buffer_load_dword v110, off, s[0:3], 0 offset:116
	;; [unrolled: 1-line block ×42, first 2 shown]
	ds_read2_b64 v[69:72], v68 offset0:47 offset1:48
	ds_read2_b64 v[73:76], v68 offset0:49 offset1:50
	ds_read2_b64 v[77:80], v68 offset0:51 offset1:52
	ds_read2_b64 v[81:84], v68 offset0:53 offset1:54
	ds_read2_b64 v[85:88], v68 offset0:55 offset1:56
	ds_read2_b64 v[89:92], v68 offset0:57 offset1:58
	ds_read2_b64 v[93:96], v68 offset0:59 offset1:60
	ds_read2_b64 v[97:100], v68 offset0:61 offset1:62
	v_cmp_lt_u32_e32 vcc, 11, v0
	s_waitcnt vmcnt(41) lgkmcnt(7)
	v_mul_f32_e32 v101, v69, v109
	s_waitcnt vmcnt(40)
	v_mul_f32_e32 v102, v71, v110
	s_waitcnt vmcnt(39) lgkmcnt(6)
	v_mul_f32_e32 v103, v73, v111
	s_waitcnt vmcnt(38)
	v_mul_f32_e32 v104, v75, v112
	;; [unrolled: 4-line block ×7, first 2 shown]
	s_waitcnt vmcnt(27) lgkmcnt(0)
	v_mul_f32_e32 v157, v97, v123
	s_waitcnt vmcnt(26)
	v_fmac_f32_e32 v101, v70, v124
	v_mul_f32_e32 v70, v70, v109
	v_fma_f32 v69, v69, v124, -v70
	v_mul_f32_e32 v70, v72, v110
	v_add_f32_e32 v69, 0, v69
	s_waitcnt vmcnt(25)
	v_fma_f32 v70, v71, v125, -v70
	v_add_f32_e32 v69, v69, v70
	v_mul_f32_e32 v70, v74, v111
	s_waitcnt vmcnt(24)
	v_fma_f32 v70, v73, v126, -v70
	v_add_f32_e32 v69, v69, v70
	v_mul_f32_e32 v70, v76, v112
	;; [unrolled: 4-line block ×5, first 2 shown]
	v_fmac_f32_e32 v102, v72, v125
	v_add_f32_e32 v101, 0, v101
	s_waitcnt vmcnt(20)
	v_fma_f32 v70, v81, v130, -v70
	v_fmac_f32_e32 v103, v74, v126
	v_add_f32_e32 v101, v101, v102
	v_add_f32_e32 v69, v69, v70
	v_mul_f32_e32 v70, v84, v116
	v_fmac_f32_e32 v104, v76, v127
	v_add_f32_e32 v101, v101, v103
	s_waitcnt vmcnt(19)
	v_fma_f32 v70, v83, v131, -v70
	v_fmac_f32_e32 v105, v78, v128
	v_add_f32_e32 v101, v101, v104
	v_add_f32_e32 v69, v69, v70
	v_mul_f32_e32 v70, v86, v117
	;; [unrolled: 8-line block ×5, first 2 shown]
	s_waitcnt vmcnt(15)
	v_fmac_f32_e32 v154, v92, v135
	v_add_f32_e32 v101, v101, v153
	v_fma_f32 v70, v91, v135, -v70
	s_waitcnt vmcnt(14)
	v_fmac_f32_e32 v155, v94, v136
	v_add_f32_e32 v101, v101, v154
	v_add_f32_e32 v69, v69, v70
	v_mul_f32_e32 v70, v94, v121
	s_waitcnt vmcnt(13)
	v_fmac_f32_e32 v156, v96, v137
	v_add_f32_e32 v101, v101, v155
	v_fma_f32 v70, v93, v136, -v70
	s_waitcnt vmcnt(12)
	v_fmac_f32_e32 v157, v98, v138
	v_add_f32_e32 v101, v101, v156
	v_add_f32_e32 v69, v69, v70
	v_mul_f32_e32 v70, v96, v122
	v_add_f32_e32 v105, v101, v157
	ds_read2_b64 v[101:104], v68 offset0:63 offset1:64
	v_fma_f32 v70, v95, v137, -v70
	v_add_f32_e32 v69, v69, v70
	v_mul_f32_e32 v70, v98, v123
	s_waitcnt vmcnt(11)
	v_mul_f32_e32 v106, v99, v139
	v_fma_f32 v70, v97, v138, -v70
	s_waitcnt vmcnt(10)
	v_fmac_f32_e32 v106, v100, v140
	v_add_f32_e32 v69, v69, v70
	v_mul_f32_e32 v70, v100, v139
	v_add_f32_e32 v151, v105, v106
	ds_read2_b64 v[105:108], v68 offset0:65 offset1:66
	v_fma_f32 v70, v99, v140, -v70
	v_add_f32_e32 v69, v69, v70
	s_waitcnt vmcnt(9) lgkmcnt(1)
	v_mul_f32_e32 v70, v102, v141
	v_mul_f32_e32 v68, v101, v141
	s_waitcnt vmcnt(8)
	v_fma_f32 v70, v101, v142, -v70
	v_fmac_f32_e32 v68, v102, v142
	v_add_f32_e32 v69, v69, v70
	s_waitcnt vmcnt(7)
	v_mul_f32_e32 v70, v104, v143
	v_add_f32_e32 v68, v151, v68
	v_mul_f32_e32 v151, v103, v143
	s_waitcnt vmcnt(6)
	v_fma_f32 v70, v103, v144, -v70
	v_fmac_f32_e32 v151, v104, v144
	v_add_f32_e32 v69, v69, v70
	s_waitcnt vmcnt(5) lgkmcnt(0)
	v_mul_f32_e32 v70, v106, v145
	v_add_f32_e32 v68, v68, v151
	v_mul_f32_e32 v151, v105, v145
	s_waitcnt vmcnt(4)
	v_fma_f32 v70, v105, v146, -v70
	v_fmac_f32_e32 v151, v106, v146
	v_add_f32_e32 v69, v69, v70
	s_waitcnt vmcnt(3)
	v_mul_f32_e32 v70, v108, v147
	v_add_f32_e32 v68, v68, v151
	v_mul_f32_e32 v151, v107, v147
	s_waitcnt vmcnt(2)
	v_fma_f32 v70, v107, v148, -v70
	v_fmac_f32_e32 v151, v108, v148
	v_add_f32_e32 v69, v69, v70
	v_add_f32_e32 v68, v68, v151
	s_waitcnt vmcnt(1)
	v_sub_f32_e32 v69, v149, v69
	s_waitcnt vmcnt(0)
	v_sub_f32_e32 v68, v150, v68
	buffer_store_dword v69, off, s[0:3], 0 offset:96
	buffer_store_dword v68, off, s[0:3], 0 offset:100
	s_and_saveexec_b64 s[4:5], vcc
	s_cbranch_execz .LBB32_189
; %bb.188:
	buffer_load_dword v68, off, s[0:3], 0 offset:88
	buffer_load_dword v69, off, s[0:3], 0 offset:92
	v_mov_b32_e32 v70, 0
	buffer_store_dword v70, off, s[0:3], 0 offset:88
	buffer_store_dword v70, off, s[0:3], 0 offset:92
	s_waitcnt vmcnt(2)
	ds_write_b64 v67, v[68:69]
.LBB32_189:
	s_or_b64 exec, exec, s[4:5]
	s_waitcnt lgkmcnt(0)
	; wave barrier
	buffer_load_dword v111, off, s[0:3], 0 offset:100
	buffer_load_dword v112, off, s[0:3], 0 offset:108
	;; [unrolled: 1-line block ×44, first 2 shown]
	v_mov_b32_e32 v68, 0
	ds_read_b128 v[69:72], v68 offset:368
	ds_read_b128 v[73:76], v68 offset:384
	;; [unrolled: 1-line block ×8, first 2 shown]
	v_cmp_lt_u32_e32 vcc, 10, v0
	s_waitcnt vmcnt(43) lgkmcnt(7)
	v_mul_f32_e32 v101, v69, v111
	s_waitcnt vmcnt(42)
	v_mul_f32_e32 v102, v71, v112
	s_waitcnt vmcnt(41) lgkmcnt(6)
	v_mul_f32_e32 v103, v73, v113
	s_waitcnt vmcnt(40)
	v_mul_f32_e32 v104, v75, v114
	s_waitcnt vmcnt(39) lgkmcnt(5)
	v_mul_f32_e32 v105, v77, v115
	s_waitcnt vmcnt(38)
	v_mul_f32_e32 v106, v79, v116
	s_waitcnt vmcnt(37) lgkmcnt(4)
	v_mul_f32_e32 v107, v81, v117
	s_waitcnt vmcnt(36)
	v_mul_f32_e32 v108, v83, v118
	s_waitcnt vmcnt(35) lgkmcnt(3)
	v_mul_f32_e32 v109, v85, v119
	s_waitcnt vmcnt(34)
	v_mul_f32_e32 v110, v87, v120
	s_waitcnt vmcnt(33) lgkmcnt(2)
	v_mul_f32_e32 v155, v89, v121
	s_waitcnt vmcnt(32)
	v_mul_f32_e32 v156, v91, v122
	s_waitcnt vmcnt(31) lgkmcnt(1)
	v_mul_f32_e32 v157, v93, v123
	s_waitcnt vmcnt(30)
	v_mul_f32_e32 v158, v95, v124
	s_waitcnt vmcnt(29)
	v_fmac_f32_e32 v101, v70, v125
	v_mul_f32_e32 v70, v70, v111
	v_fma_f32 v69, v69, v125, -v70
	v_mul_f32_e32 v70, v72, v112
	v_add_f32_e32 v69, 0, v69
	s_waitcnt vmcnt(28)
	v_fma_f32 v70, v71, v126, -v70
	v_add_f32_e32 v69, v69, v70
	v_mul_f32_e32 v70, v74, v113
	s_waitcnt vmcnt(27)
	v_fma_f32 v70, v73, v127, -v70
	v_add_f32_e32 v69, v69, v70
	v_mul_f32_e32 v70, v76, v114
	;; [unrolled: 4-line block ×4, first 2 shown]
	s_waitcnt vmcnt(24)
	v_fma_f32 v70, v79, v130, -v70
	v_fmac_f32_e32 v102, v72, v126
	v_add_f32_e32 v101, 0, v101
	v_add_f32_e32 v69, v69, v70
	v_mul_f32_e32 v70, v82, v117
	v_fmac_f32_e32 v103, v74, v127
	v_add_f32_e32 v101, v101, v102
	s_waitcnt vmcnt(23)
	v_fma_f32 v70, v81, v131, -v70
	v_fmac_f32_e32 v104, v76, v128
	v_add_f32_e32 v101, v101, v103
	v_add_f32_e32 v69, v69, v70
	v_mul_f32_e32 v70, v84, v118
	v_fmac_f32_e32 v105, v78, v129
	v_add_f32_e32 v101, v101, v104
	;; [unrolled: 8-line block ×4, first 2 shown]
	s_waitcnt vmcnt(20)
	v_fma_f32 v70, v87, v134, -v70
	v_fmac_f32_e32 v110, v88, v134
	v_add_f32_e32 v101, v101, v109
	v_add_f32_e32 v69, v69, v70
	v_mul_f32_e32 v70, v90, v121
	s_waitcnt vmcnt(19)
	v_fmac_f32_e32 v155, v90, v135
	v_add_f32_e32 v101, v101, v110
	v_fma_f32 v70, v89, v135, -v70
	s_waitcnt vmcnt(18)
	v_fmac_f32_e32 v156, v92, v136
	v_add_f32_e32 v101, v101, v155
	v_add_f32_e32 v69, v69, v70
	v_mul_f32_e32 v70, v92, v122
	s_waitcnt vmcnt(17)
	v_fmac_f32_e32 v157, v94, v137
	v_add_f32_e32 v101, v101, v156
	v_fma_f32 v70, v91, v136, -v70
	v_add_f32_e32 v101, v101, v157
	s_waitcnt vmcnt(16)
	v_fmac_f32_e32 v158, v96, v138
	s_waitcnt vmcnt(15) lgkmcnt(0)
	v_mul_f32_e32 v102, v97, v139
	v_add_f32_e32 v69, v69, v70
	v_mul_f32_e32 v70, v94, v123
	v_add_f32_e32 v101, v101, v158
	s_waitcnt vmcnt(14)
	v_fmac_f32_e32 v102, v98, v140
	v_fma_f32 v70, v93, v137, -v70
	v_add_f32_e32 v105, v101, v102
	ds_read_b128 v[101:104], v68 offset:496
	v_add_f32_e32 v69, v69, v70
	v_mul_f32_e32 v70, v96, v124
	v_fma_f32 v70, v95, v138, -v70
	v_add_f32_e32 v69, v69, v70
	v_mul_f32_e32 v70, v98, v139
	s_waitcnt vmcnt(13)
	v_mul_f32_e32 v106, v99, v141
	v_fma_f32 v70, v97, v140, -v70
	s_waitcnt vmcnt(12)
	v_fmac_f32_e32 v106, v100, v142
	v_add_f32_e32 v69, v69, v70
	v_mul_f32_e32 v70, v100, v141
	v_add_f32_e32 v109, v105, v106
	ds_read_b128 v[105:108], v68 offset:512
	s_waitcnt vmcnt(11) lgkmcnt(1)
	v_mul_f32_e32 v110, v101, v143
	v_fma_f32 v70, v99, v142, -v70
	s_waitcnt vmcnt(10)
	v_fmac_f32_e32 v110, v102, v144
	v_add_f32_e32 v69, v69, v70
	v_mul_f32_e32 v70, v102, v143
	v_add_f32_e32 v109, v109, v110
	s_waitcnt vmcnt(9)
	v_mul_f32_e32 v110, v103, v145
	v_fma_f32 v70, v101, v144, -v70
	s_waitcnt vmcnt(8)
	v_fmac_f32_e32 v110, v104, v146
	v_add_f32_e32 v69, v69, v70
	v_mul_f32_e32 v70, v104, v145
	v_add_f32_e32 v155, v109, v110
	ds_read_b64 v[109:110], v68 offset:528
	v_fma_f32 v70, v103, v146, -v70
	v_add_f32_e32 v69, v69, v70
	s_waitcnt vmcnt(7) lgkmcnt(1)
	v_mul_f32_e32 v70, v106, v147
	v_mul_f32_e32 v156, v105, v147
	s_waitcnt vmcnt(6)
	v_fma_f32 v70, v105, v148, -v70
	v_fmac_f32_e32 v156, v106, v148
	v_add_f32_e32 v69, v69, v70
	s_waitcnt vmcnt(5)
	v_mul_f32_e32 v70, v108, v149
	v_add_f32_e32 v155, v155, v156
	v_mul_f32_e32 v156, v107, v149
	s_waitcnt vmcnt(4)
	v_fma_f32 v70, v107, v150, -v70
	v_fmac_f32_e32 v156, v108, v150
	v_add_f32_e32 v69, v69, v70
	s_waitcnt vmcnt(3) lgkmcnt(0)
	v_mul_f32_e32 v70, v110, v151
	v_add_f32_e32 v155, v155, v156
	v_mul_f32_e32 v156, v109, v151
	s_waitcnt vmcnt(2)
	v_fma_f32 v70, v109, v152, -v70
	v_fmac_f32_e32 v156, v110, v152
	v_add_f32_e32 v69, v69, v70
	v_add_f32_e32 v155, v155, v156
	s_waitcnt vmcnt(1)
	v_sub_f32_e32 v69, v153, v69
	s_waitcnt vmcnt(0)
	v_sub_f32_e32 v70, v154, v155
	buffer_store_dword v69, off, s[0:3], 0 offset:88
	buffer_store_dword v70, off, s[0:3], 0 offset:92
	s_and_saveexec_b64 s[4:5], vcc
	s_cbranch_execz .LBB32_191
; %bb.190:
	buffer_load_dword v69, off, s[0:3], 0 offset:80
	buffer_load_dword v70, off, s[0:3], 0 offset:84
	s_waitcnt vmcnt(0)
	ds_write_b64 v67, v[69:70]
	buffer_store_dword v68, off, s[0:3], 0 offset:80
	buffer_store_dword v68, off, s[0:3], 0 offset:84
.LBB32_191:
	s_or_b64 exec, exec, s[4:5]
	s_waitcnt lgkmcnt(0)
	; wave barrier
	buffer_load_dword v113, off, s[0:3], 0 offset:92
	buffer_load_dword v114, off, s[0:3], 0 offset:100
	;; [unrolled: 1-line block ×46, first 2 shown]
	ds_read2_b64 v[69:72], v68 offset0:45 offset1:46
	ds_read2_b64 v[73:76], v68 offset0:47 offset1:48
	;; [unrolled: 1-line block ×8, first 2 shown]
	v_cmp_lt_u32_e32 vcc, 9, v0
	s_waitcnt vmcnt(45) lgkmcnt(7)
	v_mul_f32_e32 v101, v69, v113
	s_waitcnt vmcnt(44)
	v_mul_f32_e32 v102, v71, v114
	s_waitcnt vmcnt(43) lgkmcnt(6)
	v_mul_f32_e32 v103, v73, v115
	s_waitcnt vmcnt(42)
	v_mul_f32_e32 v104, v75, v116
	;; [unrolled: 4-line block ×6, first 2 shown]
	s_waitcnt vmcnt(33) lgkmcnt(1)
	v_mul_f32_e32 v159, v93, v125
	s_waitcnt vmcnt(32)
	v_fmac_f32_e32 v101, v70, v126
	v_mul_f32_e32 v70, v70, v113
	v_fma_f32 v69, v69, v126, -v70
	v_mul_f32_e32 v70, v72, v114
	v_add_f32_e32 v69, 0, v69
	s_waitcnt vmcnt(31)
	v_fma_f32 v70, v71, v127, -v70
	v_add_f32_e32 v69, v69, v70
	v_mul_f32_e32 v70, v74, v115
	s_waitcnt vmcnt(30)
	v_fma_f32 v70, v73, v128, -v70
	v_add_f32_e32 v69, v69, v70
	v_mul_f32_e32 v70, v76, v116
	;; [unrolled: 4-line block ×4, first 2 shown]
	v_fmac_f32_e32 v102, v72, v127
	v_add_f32_e32 v101, 0, v101
	s_waitcnt vmcnt(27)
	v_fma_f32 v70, v79, v131, -v70
	v_fmac_f32_e32 v103, v74, v128
	v_add_f32_e32 v101, v101, v102
	v_add_f32_e32 v69, v69, v70
	v_mul_f32_e32 v70, v82, v119
	v_fmac_f32_e32 v104, v76, v129
	v_add_f32_e32 v101, v101, v103
	s_waitcnt vmcnt(26)
	v_fma_f32 v70, v81, v132, -v70
	v_fmac_f32_e32 v105, v78, v130
	v_add_f32_e32 v101, v101, v104
	v_add_f32_e32 v69, v69, v70
	v_mul_f32_e32 v70, v84, v120
	;; [unrolled: 8-line block ×4, first 2 shown]
	s_waitcnt vmcnt(23)
	v_fmac_f32_e32 v110, v88, v135
	v_add_f32_e32 v101, v101, v109
	v_fma_f32 v70, v87, v135, -v70
	s_waitcnt vmcnt(22)
	v_fmac_f32_e32 v111, v90, v136
	v_add_f32_e32 v101, v101, v110
	v_add_f32_e32 v69, v69, v70
	v_mul_f32_e32 v70, v90, v123
	s_waitcnt vmcnt(21)
	v_fmac_f32_e32 v112, v92, v137
	v_add_f32_e32 v101, v101, v111
	v_fma_f32 v70, v89, v136, -v70
	s_waitcnt vmcnt(20)
	v_fmac_f32_e32 v159, v94, v138
	v_add_f32_e32 v101, v101, v112
	s_waitcnt vmcnt(19)
	v_mul_f32_e32 v102, v95, v139
	v_add_f32_e32 v69, v69, v70
	v_mul_f32_e32 v70, v92, v124
	v_add_f32_e32 v101, v101, v159
	s_waitcnt vmcnt(18)
	v_fmac_f32_e32 v102, v96, v140
	v_fma_f32 v70, v91, v137, -v70
	v_add_f32_e32 v101, v101, v102
	s_waitcnt vmcnt(17) lgkmcnt(0)
	v_mul_f32_e32 v102, v97, v141
	v_add_f32_e32 v69, v69, v70
	v_mul_f32_e32 v70, v94, v125
	s_waitcnt vmcnt(16)
	v_fmac_f32_e32 v102, v98, v142
	v_fma_f32 v70, v93, v138, -v70
	v_add_f32_e32 v105, v101, v102
	ds_read2_b64 v[101:104], v68 offset0:61 offset1:62
	v_add_f32_e32 v69, v69, v70
	v_mul_f32_e32 v70, v96, v139
	v_fma_f32 v70, v95, v140, -v70
	v_add_f32_e32 v69, v69, v70
	v_mul_f32_e32 v70, v98, v141
	s_waitcnt vmcnt(15)
	v_mul_f32_e32 v106, v99, v143
	v_fma_f32 v70, v97, v142, -v70
	s_waitcnt vmcnt(14)
	v_fmac_f32_e32 v106, v100, v144
	v_add_f32_e32 v69, v69, v70
	v_mul_f32_e32 v70, v100, v143
	v_add_f32_e32 v109, v105, v106
	ds_read2_b64 v[105:108], v68 offset0:63 offset1:64
	s_waitcnt vmcnt(13) lgkmcnt(1)
	v_mul_f32_e32 v110, v101, v145
	v_fma_f32 v70, v99, v144, -v70
	s_waitcnt vmcnt(12)
	v_fmac_f32_e32 v110, v102, v146
	v_add_f32_e32 v69, v69, v70
	v_mul_f32_e32 v70, v102, v145
	v_add_f32_e32 v109, v109, v110
	s_waitcnt vmcnt(11)
	v_mul_f32_e32 v110, v103, v147
	v_fma_f32 v70, v101, v146, -v70
	s_waitcnt vmcnt(10)
	v_fmac_f32_e32 v110, v104, v148
	v_add_f32_e32 v69, v69, v70
	v_mul_f32_e32 v70, v104, v147
	v_add_f32_e32 v159, v109, v110
	ds_read2_b64 v[109:112], v68 offset0:65 offset1:66
	v_fma_f32 v70, v103, v148, -v70
	v_add_f32_e32 v69, v69, v70
	s_waitcnt vmcnt(9) lgkmcnt(1)
	v_mul_f32_e32 v70, v106, v149
	v_mul_f32_e32 v160, v105, v149
	s_waitcnt vmcnt(8)
	v_fma_f32 v70, v105, v150, -v70
	v_fmac_f32_e32 v160, v106, v150
	v_add_f32_e32 v69, v69, v70
	s_waitcnt vmcnt(7)
	v_mul_f32_e32 v70, v108, v151
	v_add_f32_e32 v68, v159, v160
	v_mul_f32_e32 v159, v107, v151
	s_waitcnt vmcnt(6)
	v_fma_f32 v70, v107, v152, -v70
	v_fmac_f32_e32 v159, v108, v152
	v_add_f32_e32 v69, v69, v70
	s_waitcnt vmcnt(5) lgkmcnt(0)
	v_mul_f32_e32 v70, v110, v153
	v_add_f32_e32 v68, v68, v159
	v_mul_f32_e32 v159, v109, v153
	s_waitcnt vmcnt(4)
	v_fma_f32 v70, v109, v154, -v70
	v_fmac_f32_e32 v159, v110, v154
	v_add_f32_e32 v69, v69, v70
	s_waitcnt vmcnt(3)
	v_mul_f32_e32 v70, v112, v155
	v_add_f32_e32 v68, v68, v159
	v_mul_f32_e32 v159, v111, v155
	s_waitcnt vmcnt(2)
	v_fma_f32 v70, v111, v156, -v70
	v_fmac_f32_e32 v159, v112, v156
	v_add_f32_e32 v69, v69, v70
	v_add_f32_e32 v68, v68, v159
	s_waitcnt vmcnt(1)
	v_sub_f32_e32 v69, v157, v69
	s_waitcnt vmcnt(0)
	v_sub_f32_e32 v68, v158, v68
	buffer_store_dword v69, off, s[0:3], 0 offset:80
	buffer_store_dword v68, off, s[0:3], 0 offset:84
	s_and_saveexec_b64 s[4:5], vcc
	s_cbranch_execz .LBB32_193
; %bb.192:
	buffer_load_dword v68, off, s[0:3], 0 offset:72
	buffer_load_dword v69, off, s[0:3], 0 offset:76
	v_mov_b32_e32 v70, 0
	buffer_store_dword v70, off, s[0:3], 0 offset:72
	buffer_store_dword v70, off, s[0:3], 0 offset:76
	s_waitcnt vmcnt(2)
	ds_write_b64 v67, v[68:69]
.LBB32_193:
	s_or_b64 exec, exec, s[4:5]
	s_waitcnt lgkmcnt(0)
	; wave barrier
	buffer_load_dword v115, off, s[0:3], 0 offset:84
	buffer_load_dword v116, off, s[0:3], 0 offset:92
	;; [unrolled: 1-line block ×48, first 2 shown]
	v_mov_b32_e32 v68, 0
	ds_read_b128 v[69:72], v68 offset:352
	ds_read_b128 v[73:76], v68 offset:368
	;; [unrolled: 1-line block ×7, first 2 shown]
	v_cmp_lt_u32_e32 vcc, 8, v0
	s_waitcnt vmcnt(47) lgkmcnt(6)
	v_mul_f32_e32 v97, v69, v115
	s_waitcnt vmcnt(46)
	v_mul_f32_e32 v98, v71, v116
	s_waitcnt vmcnt(45) lgkmcnt(5)
	v_mul_f32_e32 v99, v73, v117
	s_waitcnt vmcnt(44)
	v_mul_f32_e32 v100, v75, v118
	;; [unrolled: 4-line block ×6, first 2 shown]
	s_waitcnt vmcnt(35)
	v_fmac_f32_e32 v97, v70, v127
	v_mul_f32_e32 v70, v70, v115
	v_fma_f32 v69, v69, v127, -v70
	v_mul_f32_e32 v70, v72, v116
	v_add_f32_e32 v69, 0, v69
	s_waitcnt vmcnt(34)
	v_fma_f32 v70, v71, v128, -v70
	v_add_f32_e32 v69, v69, v70
	v_mul_f32_e32 v70, v74, v117
	s_waitcnt vmcnt(33)
	v_fma_f32 v70, v73, v129, -v70
	v_fmac_f32_e32 v98, v72, v128
	v_add_f32_e32 v97, 0, v97
	v_add_f32_e32 v69, v69, v70
	v_mul_f32_e32 v70, v76, v118
	v_fmac_f32_e32 v99, v74, v129
	v_add_f32_e32 v97, v97, v98
	s_waitcnt vmcnt(32)
	v_fma_f32 v70, v75, v130, -v70
	v_fmac_f32_e32 v100, v76, v130
	v_add_f32_e32 v97, v97, v99
	v_add_f32_e32 v69, v69, v70
	v_mul_f32_e32 v70, v78, v119
	s_waitcnt vmcnt(31)
	v_fmac_f32_e32 v101, v78, v131
	v_add_f32_e32 v97, v97, v100
	v_fma_f32 v70, v77, v131, -v70
	s_waitcnt vmcnt(30)
	v_fmac_f32_e32 v102, v80, v132
	v_add_f32_e32 v97, v97, v101
	v_add_f32_e32 v69, v69, v70
	v_mul_f32_e32 v70, v80, v120
	s_waitcnt vmcnt(29)
	v_fmac_f32_e32 v103, v82, v133
	v_add_f32_e32 v97, v97, v102
	v_fma_f32 v70, v79, v132, -v70
	s_waitcnt vmcnt(28)
	;; [unrolled: 9-line block ×4, first 2 shown]
	v_fmac_f32_e32 v108, v92, v138
	v_add_f32_e32 v97, v97, v107
	v_add_f32_e32 v69, v69, v70
	v_mul_f32_e32 v70, v86, v123
	v_add_f32_e32 v101, v97, v108
	ds_read_b128 v[97:100], v68 offset:464
	v_fma_f32 v70, v85, v135, -v70
	s_waitcnt vmcnt(23) lgkmcnt(1)
	v_mul_f32_e32 v102, v93, v139
	v_add_f32_e32 v69, v69, v70
	v_mul_f32_e32 v70, v88, v124
	s_waitcnt vmcnt(22)
	v_fmac_f32_e32 v102, v94, v140
	v_fma_f32 v70, v87, v136, -v70
	v_add_f32_e32 v101, v101, v102
	s_waitcnt vmcnt(21)
	v_mul_f32_e32 v102, v95, v141
	v_add_f32_e32 v69, v69, v70
	v_mul_f32_e32 v70, v90, v125
	s_waitcnt vmcnt(20)
	v_fmac_f32_e32 v102, v96, v142
	v_fma_f32 v70, v89, v137, -v70
	v_add_f32_e32 v101, v101, v102
	s_waitcnt vmcnt(19) lgkmcnt(0)
	v_mul_f32_e32 v102, v97, v143
	v_add_f32_e32 v69, v69, v70
	v_mul_f32_e32 v70, v92, v126
	s_waitcnt vmcnt(18)
	v_fmac_f32_e32 v102, v98, v144
	v_fma_f32 v70, v91, v138, -v70
	v_add_f32_e32 v105, v101, v102
	ds_read_b128 v[101:104], v68 offset:480
	v_add_f32_e32 v69, v69, v70
	v_mul_f32_e32 v70, v94, v139
	v_fma_f32 v70, v93, v140, -v70
	s_waitcnt vmcnt(17)
	v_mul_f32_e32 v106, v99, v145
	v_add_f32_e32 v69, v69, v70
	v_mul_f32_e32 v70, v96, v141
	s_waitcnt vmcnt(16)
	v_fmac_f32_e32 v106, v100, v146
	v_fma_f32 v70, v95, v142, -v70
	v_add_f32_e32 v109, v105, v106
	ds_read_b128 v[105:108], v68 offset:496
	v_add_f32_e32 v69, v69, v70
	v_mul_f32_e32 v70, v98, v143
	s_waitcnt vmcnt(15) lgkmcnt(1)
	v_mul_f32_e32 v110, v101, v147
	v_fma_f32 v70, v97, v144, -v70
	s_waitcnt vmcnt(14)
	v_fmac_f32_e32 v110, v102, v148
	v_add_f32_e32 v69, v69, v70
	v_mul_f32_e32 v70, v100, v145
	v_add_f32_e32 v109, v109, v110
	s_waitcnt vmcnt(13)
	v_mul_f32_e32 v110, v103, v149
	v_fma_f32 v70, v99, v146, -v70
	s_waitcnt vmcnt(12)
	v_fmac_f32_e32 v110, v104, v150
	v_add_f32_e32 v69, v69, v70
	v_mul_f32_e32 v70, v102, v147
	v_add_f32_e32 v109, v109, v110
	s_waitcnt vmcnt(11) lgkmcnt(0)
	v_mul_f32_e32 v110, v105, v151
	v_fma_f32 v70, v101, v148, -v70
	s_waitcnt vmcnt(10)
	v_fmac_f32_e32 v110, v106, v152
	v_add_f32_e32 v69, v69, v70
	v_mul_f32_e32 v70, v104, v149
	v_add_f32_e32 v113, v109, v110
	ds_read_b128 v[109:112], v68 offset:512
	v_fma_f32 v70, v103, v150, -v70
	v_add_f32_e32 v69, v69, v70
	v_mul_f32_e32 v70, v106, v151
	s_waitcnt vmcnt(9)
	v_mul_f32_e32 v114, v107, v153
	v_fma_f32 v70, v105, v152, -v70
	s_waitcnt vmcnt(8)
	v_fmac_f32_e32 v114, v108, v154
	v_add_f32_e32 v69, v69, v70
	v_mul_f32_e32 v70, v108, v153
	v_add_f32_e32 v163, v113, v114
	ds_read_b64 v[113:114], v68 offset:528
	v_fma_f32 v70, v107, v154, -v70
	v_add_f32_e32 v69, v69, v70
	s_waitcnt vmcnt(6) lgkmcnt(1)
	v_mul_f32_e32 v70, v110, v156
	v_mul_f32_e32 v164, v109, v156
	v_fma_f32 v70, v109, v155, -v70
	v_fmac_f32_e32 v164, v110, v155
	v_add_f32_e32 v69, v69, v70
	s_waitcnt vmcnt(3)
	v_mul_f32_e32 v70, v112, v159
	v_add_f32_e32 v163, v163, v164
	v_mul_f32_e32 v164, v111, v159
	s_waitcnt vmcnt(2)
	v_fma_f32 v70, v111, v160, -v70
	v_fmac_f32_e32 v164, v112, v160
	v_add_f32_e32 v69, v69, v70
	s_waitcnt vmcnt(0) lgkmcnt(0)
	v_mul_f32_e32 v70, v114, v162
	v_add_f32_e32 v163, v163, v164
	v_mul_f32_e32 v164, v113, v162
	v_fma_f32 v70, v113, v161, -v70
	v_fmac_f32_e32 v164, v114, v161
	v_add_f32_e32 v69, v69, v70
	v_add_f32_e32 v163, v163, v164
	v_sub_f32_e32 v69, v157, v69
	v_sub_f32_e32 v70, v158, v163
	buffer_store_dword v69, off, s[0:3], 0 offset:72
	buffer_store_dword v70, off, s[0:3], 0 offset:76
	s_and_saveexec_b64 s[4:5], vcc
	s_cbranch_execz .LBB32_195
; %bb.194:
	buffer_load_dword v69, off, s[0:3], 0 offset:64
	buffer_load_dword v70, off, s[0:3], 0 offset:68
	s_waitcnt vmcnt(0)
	ds_write_b64 v67, v[69:70]
	buffer_store_dword v68, off, s[0:3], 0 offset:64
	buffer_store_dword v68, off, s[0:3], 0 offset:68
.LBB32_195:
	s_or_b64 exec, exec, s[4:5]
	s_waitcnt lgkmcnt(0)
	; wave barrier
	buffer_load_dword v117, off, s[0:3], 0 offset:76
	buffer_load_dword v118, off, s[0:3], 0 offset:84
	;; [unrolled: 1-line block ×48, first 2 shown]
	ds_read2_b64 v[69:72], v68 offset0:43 offset1:44
	ds_read2_b64 v[73:76], v68 offset0:45 offset1:46
	buffer_load_dword v165, off, s[0:3], 0 offset:256
	buffer_load_dword v166, off, s[0:3], 0 offset:260
	ds_read2_b64 v[77:80], v68 offset0:47 offset1:48
	ds_read2_b64 v[81:84], v68 offset0:49 offset1:50
	;; [unrolled: 1-line block ×5, first 2 shown]
	v_cmp_lt_u32_e32 vcc, 7, v0
	s_waitcnt vmcnt(49) lgkmcnt(6)
	v_mul_f32_e32 v97, v69, v117
	s_waitcnt vmcnt(48)
	v_mul_f32_e32 v98, v71, v118
	s_waitcnt vmcnt(47) lgkmcnt(5)
	v_mul_f32_e32 v99, v73, v119
	s_waitcnt vmcnt(46)
	v_mul_f32_e32 v100, v75, v120
	s_waitcnt vmcnt(45) lgkmcnt(4)
	v_mul_f32_e32 v101, v77, v121
	s_waitcnt vmcnt(44)
	v_mul_f32_e32 v102, v79, v122
	s_waitcnt vmcnt(43) lgkmcnt(3)
	v_mul_f32_e32 v103, v81, v123
	s_waitcnt vmcnt(42)
	v_mul_f32_e32 v104, v83, v124
	s_waitcnt vmcnt(41) lgkmcnt(2)
	v_mul_f32_e32 v105, v85, v125
	s_waitcnt vmcnt(40)
	v_mul_f32_e32 v106, v87, v126
	s_waitcnt vmcnt(39) lgkmcnt(1)
	v_mul_f32_e32 v107, v89, v127
	s_waitcnt vmcnt(38)
	v_mul_f32_e32 v108, v91, v128
	s_waitcnt vmcnt(37)
	v_fmac_f32_e32 v97, v70, v129
	v_mul_f32_e32 v70, v70, v117
	v_fma_f32 v69, v69, v129, -v70
	v_mul_f32_e32 v70, v72, v118
	v_add_f32_e32 v69, 0, v69
	s_waitcnt vmcnt(36)
	v_fma_f32 v70, v71, v130, -v70
	v_add_f32_e32 v69, v69, v70
	v_mul_f32_e32 v70, v74, v119
	s_waitcnt vmcnt(35)
	v_fma_f32 v70, v73, v131, -v70
	v_fmac_f32_e32 v98, v72, v130
	v_add_f32_e32 v97, 0, v97
	v_add_f32_e32 v69, v69, v70
	v_mul_f32_e32 v70, v76, v120
	v_fmac_f32_e32 v99, v74, v131
	v_add_f32_e32 v97, v97, v98
	s_waitcnt vmcnt(34)
	v_fma_f32 v70, v75, v132, -v70
	v_fmac_f32_e32 v100, v76, v132
	v_add_f32_e32 v97, v97, v99
	v_add_f32_e32 v69, v69, v70
	v_mul_f32_e32 v70, v78, v121
	s_waitcnt vmcnt(33)
	v_fmac_f32_e32 v101, v78, v133
	v_add_f32_e32 v97, v97, v100
	v_fma_f32 v70, v77, v133, -v70
	s_waitcnt vmcnt(32)
	v_fmac_f32_e32 v102, v80, v134
	v_add_f32_e32 v97, v97, v101
	v_add_f32_e32 v69, v69, v70
	v_mul_f32_e32 v70, v80, v122
	s_waitcnt vmcnt(31)
	v_fmac_f32_e32 v103, v82, v135
	v_add_f32_e32 v97, v97, v102
	v_fma_f32 v70, v79, v134, -v70
	s_waitcnt vmcnt(30)
	;; [unrolled: 9-line block ×3, first 2 shown]
	v_fmac_f32_e32 v106, v88, v138
	v_add_f32_e32 v97, v97, v105
	v_add_f32_e32 v69, v69, v70
	v_mul_f32_e32 v70, v84, v124
	s_waitcnt vmcnt(27)
	v_fmac_f32_e32 v107, v90, v139
	v_add_f32_e32 v97, v97, v106
	v_fma_f32 v70, v83, v136, -v70
	v_add_f32_e32 v97, v97, v107
	s_waitcnt vmcnt(26)
	v_fmac_f32_e32 v108, v92, v140
	v_add_f32_e32 v69, v69, v70
	v_mul_f32_e32 v70, v86, v125
	v_add_f32_e32 v101, v97, v108
	ds_read2_b64 v[97:100], v68 offset0:57 offset1:58
	v_fma_f32 v70, v85, v137, -v70
	s_waitcnt vmcnt(25) lgkmcnt(1)
	v_mul_f32_e32 v102, v93, v141
	v_add_f32_e32 v69, v69, v70
	v_mul_f32_e32 v70, v88, v126
	s_waitcnt vmcnt(24)
	v_fmac_f32_e32 v102, v94, v142
	v_fma_f32 v70, v87, v138, -v70
	v_add_f32_e32 v101, v101, v102
	s_waitcnt vmcnt(23)
	v_mul_f32_e32 v102, v95, v143
	v_add_f32_e32 v69, v69, v70
	v_mul_f32_e32 v70, v90, v127
	s_waitcnt vmcnt(22)
	v_fmac_f32_e32 v102, v96, v144
	v_fma_f32 v70, v89, v139, -v70
	v_add_f32_e32 v101, v101, v102
	s_waitcnt vmcnt(21) lgkmcnt(0)
	v_mul_f32_e32 v102, v97, v145
	v_add_f32_e32 v69, v69, v70
	v_mul_f32_e32 v70, v92, v128
	s_waitcnt vmcnt(20)
	v_fmac_f32_e32 v102, v98, v146
	v_fma_f32 v70, v91, v140, -v70
	v_add_f32_e32 v105, v101, v102
	ds_read2_b64 v[101:104], v68 offset0:59 offset1:60
	v_add_f32_e32 v69, v69, v70
	v_mul_f32_e32 v70, v94, v141
	v_fma_f32 v70, v93, v142, -v70
	s_waitcnt vmcnt(19)
	v_mul_f32_e32 v106, v99, v147
	v_add_f32_e32 v69, v69, v70
	v_mul_f32_e32 v70, v96, v143
	s_waitcnt vmcnt(18)
	v_fmac_f32_e32 v106, v100, v148
	v_fma_f32 v70, v95, v144, -v70
	v_add_f32_e32 v109, v105, v106
	ds_read2_b64 v[105:108], v68 offset0:61 offset1:62
	v_add_f32_e32 v69, v69, v70
	v_mul_f32_e32 v70, v98, v145
	s_waitcnt vmcnt(17) lgkmcnt(1)
	v_mul_f32_e32 v110, v101, v149
	v_fma_f32 v70, v97, v146, -v70
	s_waitcnt vmcnt(16)
	v_fmac_f32_e32 v110, v102, v150
	v_add_f32_e32 v69, v69, v70
	v_mul_f32_e32 v70, v100, v147
	v_add_f32_e32 v109, v109, v110
	s_waitcnt vmcnt(15)
	v_mul_f32_e32 v110, v103, v151
	v_fma_f32 v70, v99, v148, -v70
	s_waitcnt vmcnt(14)
	v_fmac_f32_e32 v110, v104, v152
	v_add_f32_e32 v69, v69, v70
	v_mul_f32_e32 v70, v102, v149
	v_add_f32_e32 v109, v109, v110
	s_waitcnt vmcnt(13) lgkmcnt(0)
	v_mul_f32_e32 v110, v105, v153
	v_fma_f32 v70, v101, v150, -v70
	s_waitcnt vmcnt(12)
	v_fmac_f32_e32 v110, v106, v154
	v_add_f32_e32 v69, v69, v70
	v_mul_f32_e32 v70, v104, v151
	v_add_f32_e32 v113, v109, v110
	ds_read2_b64 v[109:112], v68 offset0:63 offset1:64
	v_fma_f32 v70, v103, v152, -v70
	v_add_f32_e32 v69, v69, v70
	v_mul_f32_e32 v70, v106, v153
	s_waitcnt vmcnt(11)
	v_mul_f32_e32 v114, v107, v155
	v_fma_f32 v70, v105, v154, -v70
	s_waitcnt vmcnt(10)
	v_fmac_f32_e32 v114, v108, v156
	v_add_f32_e32 v69, v69, v70
	v_mul_f32_e32 v70, v108, v155
	v_add_f32_e32 v167, v113, v114
	ds_read2_b64 v[113:116], v68 offset0:65 offset1:66
	v_fma_f32 v70, v107, v156, -v70
	v_add_f32_e32 v69, v69, v70
	s_waitcnt vmcnt(7) lgkmcnt(1)
	v_mul_f32_e32 v70, v110, v159
	v_mul_f32_e32 v68, v109, v159
	s_waitcnt vmcnt(6)
	v_fma_f32 v70, v109, v160, -v70
	v_fmac_f32_e32 v68, v110, v160
	v_add_f32_e32 v69, v69, v70
	s_waitcnt vmcnt(4)
	v_mul_f32_e32 v70, v112, v162
	v_add_f32_e32 v68, v167, v68
	v_mul_f32_e32 v167, v111, v162
	v_fma_f32 v70, v111, v161, -v70
	v_fmac_f32_e32 v167, v112, v161
	v_add_f32_e32 v69, v69, v70
	s_waitcnt vmcnt(2) lgkmcnt(0)
	v_mul_f32_e32 v70, v114, v164
	v_add_f32_e32 v68, v68, v167
	v_mul_f32_e32 v167, v113, v164
	v_fma_f32 v70, v113, v163, -v70
	v_fmac_f32_e32 v167, v114, v163
	v_add_f32_e32 v69, v69, v70
	s_waitcnt vmcnt(0)
	v_mul_f32_e32 v70, v116, v166
	v_add_f32_e32 v68, v68, v167
	v_mul_f32_e32 v167, v115, v166
	v_fma_f32 v70, v115, v165, -v70
	v_fmac_f32_e32 v167, v116, v165
	v_add_f32_e32 v69, v69, v70
	v_add_f32_e32 v68, v68, v167
	v_sub_f32_e32 v69, v157, v69
	v_sub_f32_e32 v68, v158, v68
	buffer_store_dword v69, off, s[0:3], 0 offset:64
	buffer_store_dword v68, off, s[0:3], 0 offset:68
	s_and_saveexec_b64 s[4:5], vcc
	s_cbranch_execz .LBB32_197
; %bb.196:
	buffer_load_dword v68, off, s[0:3], 0 offset:56
	buffer_load_dword v69, off, s[0:3], 0 offset:60
	v_mov_b32_e32 v70, 0
	buffer_store_dword v70, off, s[0:3], 0 offset:56
	buffer_store_dword v70, off, s[0:3], 0 offset:60
	s_waitcnt vmcnt(2)
	ds_write_b64 v67, v[68:69]
.LBB32_197:
	s_or_b64 exec, exec, s[4:5]
	s_waitcnt lgkmcnt(0)
	; wave barrier
	buffer_load_dword v119, off, s[0:3], 0 offset:68
	buffer_load_dword v120, off, s[0:3], 0 offset:76
	;; [unrolled: 1-line block ×52, first 2 shown]
	v_mov_b32_e32 v68, 0
	ds_read_b128 v[69:72], v68 offset:336
	ds_read_b128 v[73:76], v68 offset:352
	;; [unrolled: 1-line block ×6, first 2 shown]
	v_cmp_lt_u32_e32 vcc, 6, v0
	s_waitcnt vmcnt(51) lgkmcnt(5)
	v_mul_f32_e32 v93, v69, v119
	s_waitcnt vmcnt(50)
	v_mul_f32_e32 v94, v71, v120
	s_waitcnt vmcnt(49) lgkmcnt(4)
	v_mul_f32_e32 v95, v73, v121
	s_waitcnt vmcnt(48)
	v_mul_f32_e32 v96, v75, v122
	s_waitcnt vmcnt(47) lgkmcnt(3)
	v_mul_f32_e32 v97, v77, v123
	s_waitcnt vmcnt(46)
	v_mul_f32_e32 v98, v79, v124
	s_waitcnt vmcnt(45) lgkmcnt(2)
	v_mul_f32_e32 v99, v81, v125
	s_waitcnt vmcnt(44)
	v_mul_f32_e32 v100, v83, v126
	s_waitcnt vmcnt(43) lgkmcnt(1)
	v_mul_f32_e32 v101, v85, v127
	s_waitcnt vmcnt(42)
	v_mul_f32_e32 v102, v87, v128
	s_waitcnt vmcnt(41) lgkmcnt(0)
	v_mul_f32_e32 v103, v89, v129
	s_waitcnt vmcnt(40)
	v_fmac_f32_e32 v93, v70, v130
	v_mul_f32_e32 v70, v70, v119
	s_waitcnt vmcnt(39)
	v_fmac_f32_e32 v94, v72, v131
	v_add_f32_e32 v93, 0, v93
	v_fma_f32 v69, v69, v130, -v70
	v_mul_f32_e32 v70, v72, v120
	s_waitcnt vmcnt(38)
	v_fmac_f32_e32 v95, v74, v132
	v_add_f32_e32 v93, v93, v94
	v_add_f32_e32 v69, 0, v69
	v_fma_f32 v70, v71, v131, -v70
	s_waitcnt vmcnt(37)
	v_fmac_f32_e32 v96, v76, v133
	v_add_f32_e32 v93, v93, v95
	v_add_f32_e32 v69, v69, v70
	v_mul_f32_e32 v70, v74, v121
	s_waitcnt vmcnt(36)
	v_fmac_f32_e32 v97, v78, v134
	v_add_f32_e32 v93, v93, v96
	v_fma_f32 v70, v73, v132, -v70
	s_waitcnt vmcnt(35)
	v_fmac_f32_e32 v98, v80, v135
	v_add_f32_e32 v93, v93, v97
	v_add_f32_e32 v69, v69, v70
	v_mul_f32_e32 v70, v76, v122
	s_waitcnt vmcnt(34)
	v_fmac_f32_e32 v99, v82, v136
	;; [unrolled: 9-line block ×3, first 2 shown]
	v_add_f32_e32 v93, v93, v100
	v_fma_f32 v70, v77, v134, -v70
	s_waitcnt vmcnt(31)
	v_fmac_f32_e32 v102, v88, v139
	v_add_f32_e32 v93, v93, v101
	v_add_f32_e32 v69, v69, v70
	v_mul_f32_e32 v70, v80, v124
	v_add_f32_e32 v93, v93, v102
	s_waitcnt vmcnt(30)
	v_fmac_f32_e32 v103, v90, v140
	v_fma_f32 v70, v79, v135, -v70
	v_add_f32_e32 v97, v93, v103
	ds_read_b128 v[93:96], v68 offset:432
	v_add_f32_e32 v69, v69, v70
	v_mul_f32_e32 v70, v82, v125
	v_fma_f32 v70, v81, v136, -v70
	s_waitcnt vmcnt(29)
	v_mul_f32_e32 v98, v91, v141
	v_add_f32_e32 v69, v69, v70
	v_mul_f32_e32 v70, v84, v126
	s_waitcnt vmcnt(28)
	v_fmac_f32_e32 v98, v92, v142
	v_fma_f32 v70, v83, v137, -v70
	v_add_f32_e32 v101, v97, v98
	ds_read_b128 v[97:100], v68 offset:448
	v_add_f32_e32 v69, v69, v70
	v_mul_f32_e32 v70, v86, v127
	s_waitcnt vmcnt(27) lgkmcnt(1)
	v_mul_f32_e32 v102, v93, v143
	v_fma_f32 v70, v85, v138, -v70
	s_waitcnt vmcnt(26)
	v_fmac_f32_e32 v102, v94, v144
	v_add_f32_e32 v69, v69, v70
	v_mul_f32_e32 v70, v88, v128
	v_add_f32_e32 v101, v101, v102
	s_waitcnt vmcnt(25)
	v_mul_f32_e32 v102, v95, v145
	v_fma_f32 v70, v87, v139, -v70
	s_waitcnt vmcnt(24)
	v_fmac_f32_e32 v102, v96, v146
	v_add_f32_e32 v69, v69, v70
	v_mul_f32_e32 v70, v90, v129
	v_add_f32_e32 v101, v101, v102
	s_waitcnt vmcnt(23) lgkmcnt(0)
	v_mul_f32_e32 v102, v97, v147
	v_fma_f32 v70, v89, v140, -v70
	s_waitcnt vmcnt(22)
	v_fmac_f32_e32 v102, v98, v148
	v_add_f32_e32 v69, v69, v70
	v_mul_f32_e32 v70, v92, v141
	v_add_f32_e32 v105, v101, v102
	ds_read_b128 v[101:104], v68 offset:464
	v_fma_f32 v70, v91, v142, -v70
	v_add_f32_e32 v69, v69, v70
	v_mul_f32_e32 v70, v94, v143
	s_waitcnt vmcnt(21)
	v_mul_f32_e32 v106, v99, v149
	v_fma_f32 v70, v93, v144, -v70
	s_waitcnt vmcnt(20)
	v_fmac_f32_e32 v106, v100, v150
	v_add_f32_e32 v69, v69, v70
	v_mul_f32_e32 v70, v96, v145
	v_add_f32_e32 v109, v105, v106
	ds_read_b128 v[105:108], v68 offset:480
	v_fma_f32 v70, v95, v146, -v70
	s_waitcnt vmcnt(19) lgkmcnt(1)
	v_mul_f32_e32 v110, v101, v151
	v_add_f32_e32 v69, v69, v70
	v_mul_f32_e32 v70, v98, v147
	s_waitcnt vmcnt(18)
	v_fmac_f32_e32 v110, v102, v152
	v_fma_f32 v70, v97, v148, -v70
	v_add_f32_e32 v109, v109, v110
	s_waitcnt vmcnt(17)
	v_mul_f32_e32 v110, v103, v153
	v_add_f32_e32 v69, v69, v70
	v_mul_f32_e32 v70, v100, v149
	s_waitcnt vmcnt(16)
	v_fmac_f32_e32 v110, v104, v154
	v_fma_f32 v70, v99, v150, -v70
	v_add_f32_e32 v109, v109, v110
	s_waitcnt vmcnt(14) lgkmcnt(0)
	v_mul_f32_e32 v110, v105, v156
	v_add_f32_e32 v69, v69, v70
	v_mul_f32_e32 v70, v102, v151
	v_fmac_f32_e32 v110, v106, v155
	v_fma_f32 v70, v101, v152, -v70
	v_add_f32_e32 v113, v109, v110
	ds_read_b128 v[109:112], v68 offset:496
	v_add_f32_e32 v69, v69, v70
	v_mul_f32_e32 v70, v104, v153
	v_fma_f32 v70, v103, v154, -v70
	v_add_f32_e32 v69, v69, v70
	v_mul_f32_e32 v70, v106, v156
	s_waitcnt vmcnt(11)
	v_mul_f32_e32 v114, v107, v159
	v_fma_f32 v70, v105, v155, -v70
	s_waitcnt vmcnt(10)
	v_fmac_f32_e32 v114, v108, v160
	v_add_f32_e32 v69, v69, v70
	v_mul_f32_e32 v70, v108, v159
	v_add_f32_e32 v117, v113, v114
	ds_read_b128 v[113:116], v68 offset:512
	s_waitcnt vmcnt(8) lgkmcnt(1)
	v_mul_f32_e32 v118, v109, v162
	v_fma_f32 v70, v107, v160, -v70
	v_fmac_f32_e32 v118, v110, v161
	v_add_f32_e32 v69, v69, v70
	v_mul_f32_e32 v70, v110, v162
	v_add_f32_e32 v117, v117, v118
	s_waitcnt vmcnt(6)
	v_mul_f32_e32 v118, v111, v164
	v_fma_f32 v70, v109, v161, -v70
	v_fmac_f32_e32 v118, v112, v163
	v_add_f32_e32 v69, v69, v70
	v_mul_f32_e32 v70, v112, v164
	v_add_f32_e32 v171, v117, v118
	ds_read_b64 v[117:118], v68 offset:528
	v_fma_f32 v70, v111, v163, -v70
	v_add_f32_e32 v69, v69, v70
	s_waitcnt vmcnt(4) lgkmcnt(1)
	v_mul_f32_e32 v70, v114, v166
	v_mul_f32_e32 v172, v113, v166
	v_fma_f32 v70, v113, v165, -v70
	v_fmac_f32_e32 v172, v114, v165
	v_add_f32_e32 v69, v69, v70
	s_waitcnt vmcnt(2)
	v_mul_f32_e32 v70, v116, v168
	v_add_f32_e32 v171, v171, v172
	v_mul_f32_e32 v172, v115, v168
	v_fma_f32 v70, v115, v167, -v70
	v_fmac_f32_e32 v172, v116, v167
	v_add_f32_e32 v69, v69, v70
	s_waitcnt vmcnt(0) lgkmcnt(0)
	v_mul_f32_e32 v70, v118, v170
	v_add_f32_e32 v171, v171, v172
	v_mul_f32_e32 v172, v117, v170
	v_fma_f32 v70, v117, v169, -v70
	v_fmac_f32_e32 v172, v118, v169
	v_add_f32_e32 v69, v69, v70
	v_add_f32_e32 v171, v171, v172
	v_sub_f32_e32 v69, v157, v69
	v_sub_f32_e32 v70, v158, v171
	buffer_store_dword v69, off, s[0:3], 0 offset:56
	buffer_store_dword v70, off, s[0:3], 0 offset:60
	s_and_saveexec_b64 s[4:5], vcc
	s_cbranch_execz .LBB32_199
; %bb.198:
	buffer_load_dword v69, off, s[0:3], 0 offset:48
	buffer_load_dword v70, off, s[0:3], 0 offset:52
	s_waitcnt vmcnt(0)
	ds_write_b64 v67, v[69:70]
	buffer_store_dword v68, off, s[0:3], 0 offset:48
	buffer_store_dword v68, off, s[0:3], 0 offset:52
.LBB32_199:
	s_or_b64 exec, exec, s[4:5]
	s_waitcnt lgkmcnt(0)
	; wave barrier
	buffer_load_dword v121, off, s[0:3], 0 offset:60
	buffer_load_dword v122, off, s[0:3], 0 offset:68
	buffer_load_dword v123, off, s[0:3], 0 offset:76
	buffer_load_dword v124, off, s[0:3], 0 offset:84
	buffer_load_dword v125, off, s[0:3], 0 offset:92
	buffer_load_dword v126, off, s[0:3], 0 offset:100
	buffer_load_dword v127, off, s[0:3], 0 offset:108
	buffer_load_dword v128, off, s[0:3], 0 offset:116
	buffer_load_dword v129, off, s[0:3], 0 offset:124
	buffer_load_dword v130, off, s[0:3], 0 offset:132
	buffer_load_dword v131, off, s[0:3], 0 offset:56
	buffer_load_dword v132, off, s[0:3], 0 offset:64
	buffer_load_dword v133, off, s[0:3], 0 offset:72
	buffer_load_dword v134, off, s[0:3], 0 offset:80
	buffer_load_dword v135, off, s[0:3], 0 offset:88
	buffer_load_dword v136, off, s[0:3], 0 offset:96
	buffer_load_dword v137, off, s[0:3], 0 offset:104
	buffer_load_dword v138, off, s[0:3], 0 offset:112
	buffer_load_dword v139, off, s[0:3], 0 offset:120
	buffer_load_dword v140, off, s[0:3], 0 offset:128
	buffer_load_dword v141, off, s[0:3], 0 offset:140
	buffer_load_dword v142, off, s[0:3], 0 offset:136
	buffer_load_dword v143, off, s[0:3], 0 offset:148
	buffer_load_dword v144, off, s[0:3], 0 offset:144
	buffer_load_dword v145, off, s[0:3], 0 offset:156
	buffer_load_dword v146, off, s[0:3], 0 offset:152
	buffer_load_dword v147, off, s[0:3], 0 offset:164
	buffer_load_dword v148, off, s[0:3], 0 offset:160
	buffer_load_dword v149, off, s[0:3], 0 offset:172
	buffer_load_dword v150, off, s[0:3], 0 offset:168
	buffer_load_dword v151, off, s[0:3], 0 offset:180
	buffer_load_dword v152, off, s[0:3], 0 offset:176
	buffer_load_dword v153, off, s[0:3], 0 offset:188
	buffer_load_dword v154, off, s[0:3], 0 offset:184
	buffer_load_dword v155, off, s[0:3], 0 offset:192
	buffer_load_dword v156, off, s[0:3], 0 offset:196
	buffer_load_dword v157, off, s[0:3], 0 offset:48
	buffer_load_dword v158, off, s[0:3], 0 offset:52
	buffer_load_dword v159, off, s[0:3], 0 offset:204
	buffer_load_dword v160, off, s[0:3], 0 offset:200
	buffer_load_dword v161, off, s[0:3], 0 offset:208
	buffer_load_dword v162, off, s[0:3], 0 offset:212
	ds_read2_b64 v[69:72], v68 offset0:41 offset1:42
	ds_read2_b64 v[73:76], v68 offset0:43 offset1:44
	;; [unrolled: 1-line block ×4, first 2 shown]
	buffer_load_dword v163, off, s[0:3], 0 offset:220
	buffer_load_dword v164, off, s[0:3], 0 offset:216
	;; [unrolled: 1-line block ×6, first 2 shown]
	ds_read2_b64 v[85:88], v68 offset0:49 offset1:50
	ds_read2_b64 v[89:92], v68 offset0:51 offset1:52
	buffer_load_dword v169, off, s[0:3], 0 offset:240
	buffer_load_dword v170, off, s[0:3], 0 offset:244
	;; [unrolled: 1-line block ×6, first 2 shown]
	v_cmp_lt_u32_e32 vcc, 5, v0
	s_waitcnt vmcnt(53) lgkmcnt(5)
	v_mul_f32_e32 v93, v69, v121
	s_waitcnt vmcnt(52)
	v_mul_f32_e32 v94, v71, v122
	s_waitcnt vmcnt(51) lgkmcnt(4)
	v_mul_f32_e32 v95, v73, v123
	s_waitcnt vmcnt(50)
	v_mul_f32_e32 v96, v75, v124
	s_waitcnt vmcnt(49) lgkmcnt(3)
	v_mul_f32_e32 v97, v77, v125
	s_waitcnt vmcnt(48)
	v_mul_f32_e32 v98, v79, v126
	s_waitcnt vmcnt(47) lgkmcnt(2)
	v_mul_f32_e32 v99, v81, v127
	s_waitcnt vmcnt(46)
	v_mul_f32_e32 v100, v83, v128
	s_waitcnt vmcnt(45) lgkmcnt(1)
	v_mul_f32_e32 v101, v85, v129
	s_waitcnt vmcnt(44)
	v_mul_f32_e32 v102, v87, v130
	s_waitcnt vmcnt(43)
	v_fmac_f32_e32 v93, v70, v131
	v_mul_f32_e32 v70, v70, v121
	s_waitcnt vmcnt(42)
	v_fmac_f32_e32 v94, v72, v132
	v_add_f32_e32 v93, 0, v93
	v_fma_f32 v69, v69, v131, -v70
	v_mul_f32_e32 v70, v72, v122
	s_waitcnt vmcnt(41)
	v_fmac_f32_e32 v95, v74, v133
	v_add_f32_e32 v93, v93, v94
	v_add_f32_e32 v69, 0, v69
	v_fma_f32 v70, v71, v132, -v70
	s_waitcnt vmcnt(40)
	v_fmac_f32_e32 v96, v76, v134
	v_add_f32_e32 v93, v93, v95
	v_add_f32_e32 v69, v69, v70
	v_mul_f32_e32 v70, v74, v123
	s_waitcnt vmcnt(39)
	v_fmac_f32_e32 v97, v78, v135
	v_add_f32_e32 v93, v93, v96
	v_fma_f32 v70, v73, v133, -v70
	s_waitcnt vmcnt(38)
	v_fmac_f32_e32 v98, v80, v136
	v_add_f32_e32 v93, v93, v97
	v_add_f32_e32 v69, v69, v70
	v_mul_f32_e32 v70, v76, v124
	s_waitcnt vmcnt(37)
	v_fmac_f32_e32 v99, v82, v137
	;; [unrolled: 9-line block ×3, first 2 shown]
	v_add_f32_e32 v93, v93, v100
	v_fma_f32 v70, v77, v135, -v70
	s_waitcnt vmcnt(34)
	v_fmac_f32_e32 v102, v88, v140
	v_add_f32_e32 v93, v93, v101
	s_waitcnt vmcnt(33) lgkmcnt(0)
	v_mul_f32_e32 v94, v89, v141
	v_add_f32_e32 v69, v69, v70
	v_mul_f32_e32 v70, v80, v126
	v_add_f32_e32 v93, v93, v102
	s_waitcnt vmcnt(32)
	v_fmac_f32_e32 v94, v90, v142
	v_fma_f32 v70, v79, v136, -v70
	v_add_f32_e32 v97, v93, v94
	ds_read2_b64 v[93:96], v68 offset0:53 offset1:54
	v_add_f32_e32 v69, v69, v70
	v_mul_f32_e32 v70, v82, v127
	v_fma_f32 v70, v81, v137, -v70
	s_waitcnt vmcnt(31)
	v_mul_f32_e32 v98, v91, v143
	v_add_f32_e32 v69, v69, v70
	v_mul_f32_e32 v70, v84, v128
	s_waitcnt vmcnt(30)
	v_fmac_f32_e32 v98, v92, v144
	v_fma_f32 v70, v83, v138, -v70
	v_add_f32_e32 v101, v97, v98
	ds_read2_b64 v[97:100], v68 offset0:55 offset1:56
	v_add_f32_e32 v69, v69, v70
	v_mul_f32_e32 v70, v86, v129
	s_waitcnt vmcnt(29) lgkmcnt(1)
	v_mul_f32_e32 v102, v93, v145
	v_fma_f32 v70, v85, v139, -v70
	s_waitcnt vmcnt(28)
	v_fmac_f32_e32 v102, v94, v146
	v_add_f32_e32 v69, v69, v70
	v_mul_f32_e32 v70, v88, v130
	v_add_f32_e32 v101, v101, v102
	s_waitcnt vmcnt(27)
	v_mul_f32_e32 v102, v95, v147
	v_fma_f32 v70, v87, v140, -v70
	s_waitcnt vmcnt(26)
	v_fmac_f32_e32 v102, v96, v148
	v_add_f32_e32 v69, v69, v70
	v_mul_f32_e32 v70, v90, v141
	v_add_f32_e32 v101, v101, v102
	s_waitcnt vmcnt(25) lgkmcnt(0)
	v_mul_f32_e32 v102, v97, v149
	v_fma_f32 v70, v89, v142, -v70
	s_waitcnt vmcnt(24)
	v_fmac_f32_e32 v102, v98, v150
	v_add_f32_e32 v69, v69, v70
	v_mul_f32_e32 v70, v92, v143
	v_add_f32_e32 v105, v101, v102
	ds_read2_b64 v[101:104], v68 offset0:57 offset1:58
	v_fma_f32 v70, v91, v144, -v70
	v_add_f32_e32 v69, v69, v70
	v_mul_f32_e32 v70, v94, v145
	s_waitcnt vmcnt(23)
	v_mul_f32_e32 v106, v99, v151
	v_fma_f32 v70, v93, v146, -v70
	s_waitcnt vmcnt(22)
	v_fmac_f32_e32 v106, v100, v152
	v_add_f32_e32 v69, v69, v70
	v_mul_f32_e32 v70, v96, v147
	v_add_f32_e32 v109, v105, v106
	ds_read2_b64 v[105:108], v68 offset0:59 offset1:60
	v_fma_f32 v70, v95, v148, -v70
	s_waitcnt vmcnt(21) lgkmcnt(1)
	v_mul_f32_e32 v110, v101, v153
	v_add_f32_e32 v69, v69, v70
	v_mul_f32_e32 v70, v98, v149
	s_waitcnt vmcnt(20)
	v_fmac_f32_e32 v110, v102, v154
	v_fma_f32 v70, v97, v150, -v70
	v_add_f32_e32 v109, v109, v110
	s_waitcnt vmcnt(18)
	v_mul_f32_e32 v110, v103, v156
	v_add_f32_e32 v69, v69, v70
	v_mul_f32_e32 v70, v100, v151
	v_fmac_f32_e32 v110, v104, v155
	v_fma_f32 v70, v99, v152, -v70
	v_add_f32_e32 v109, v109, v110
	s_waitcnt vmcnt(15) lgkmcnt(0)
	v_mul_f32_e32 v110, v105, v159
	v_add_f32_e32 v69, v69, v70
	v_mul_f32_e32 v70, v102, v153
	s_waitcnt vmcnt(14)
	v_fmac_f32_e32 v110, v106, v160
	v_fma_f32 v70, v101, v154, -v70
	v_add_f32_e32 v113, v109, v110
	ds_read2_b64 v[109:112], v68 offset0:61 offset1:62
	v_add_f32_e32 v69, v69, v70
	v_mul_f32_e32 v70, v104, v156
	v_fma_f32 v70, v103, v155, -v70
	v_add_f32_e32 v69, v69, v70
	v_mul_f32_e32 v70, v106, v159
	s_waitcnt vmcnt(12)
	v_mul_f32_e32 v114, v107, v162
	v_fma_f32 v70, v105, v160, -v70
	v_fmac_f32_e32 v114, v108, v161
	v_add_f32_e32 v69, v69, v70
	v_mul_f32_e32 v70, v108, v162
	v_add_f32_e32 v117, v113, v114
	ds_read2_b64 v[113:116], v68 offset0:63 offset1:64
	s_waitcnt vmcnt(11) lgkmcnt(1)
	v_mul_f32_e32 v118, v109, v163
	v_fma_f32 v70, v107, v161, -v70
	s_waitcnt vmcnt(10)
	v_fmac_f32_e32 v118, v110, v164
	v_add_f32_e32 v69, v69, v70
	v_mul_f32_e32 v70, v110, v163
	v_add_f32_e32 v117, v117, v118
	s_waitcnt vmcnt(8)
	v_mul_f32_e32 v118, v111, v166
	v_fma_f32 v70, v109, v164, -v70
	v_fmac_f32_e32 v118, v112, v165
	v_add_f32_e32 v69, v69, v70
	v_mul_f32_e32 v70, v112, v166
	v_add_f32_e32 v175, v117, v118
	ds_read2_b64 v[117:120], v68 offset0:65 offset1:66
	v_fma_f32 v70, v111, v165, -v70
	v_add_f32_e32 v69, v69, v70
	s_waitcnt vmcnt(6) lgkmcnt(1)
	v_mul_f32_e32 v70, v114, v168
	v_mul_f32_e32 v176, v113, v168
	v_fma_f32 v70, v113, v167, -v70
	v_fmac_f32_e32 v176, v114, v167
	v_add_f32_e32 v69, v69, v70
	s_waitcnt vmcnt(4)
	v_mul_f32_e32 v70, v116, v170
	v_add_f32_e32 v68, v175, v176
	v_mul_f32_e32 v175, v115, v170
	v_fma_f32 v70, v115, v169, -v70
	v_fmac_f32_e32 v175, v116, v169
	v_add_f32_e32 v69, v69, v70
	s_waitcnt vmcnt(2) lgkmcnt(0)
	v_mul_f32_e32 v70, v118, v172
	v_add_f32_e32 v68, v68, v175
	v_mul_f32_e32 v175, v117, v172
	v_fma_f32 v70, v117, v171, -v70
	v_fmac_f32_e32 v175, v118, v171
	v_add_f32_e32 v69, v69, v70
	s_waitcnt vmcnt(0)
	v_mul_f32_e32 v70, v120, v174
	v_add_f32_e32 v68, v68, v175
	v_mul_f32_e32 v175, v119, v174
	v_fma_f32 v70, v119, v173, -v70
	v_fmac_f32_e32 v175, v120, v173
	v_add_f32_e32 v69, v69, v70
	v_add_f32_e32 v68, v68, v175
	v_sub_f32_e32 v69, v157, v69
	v_sub_f32_e32 v68, v158, v68
	buffer_store_dword v69, off, s[0:3], 0 offset:48
	buffer_store_dword v68, off, s[0:3], 0 offset:52
	s_and_saveexec_b64 s[4:5], vcc
	s_cbranch_execz .LBB32_201
; %bb.200:
	buffer_load_dword v68, off, s[0:3], 0 offset:40
	buffer_load_dword v69, off, s[0:3], 0 offset:44
	v_mov_b32_e32 v70, 0
	buffer_store_dword v70, off, s[0:3], 0 offset:40
	buffer_store_dword v70, off, s[0:3], 0 offset:44
	s_waitcnt vmcnt(2)
	ds_write_b64 v67, v[68:69]
.LBB32_201:
	s_or_b64 exec, exec, s[4:5]
	s_waitcnt lgkmcnt(0)
	; wave barrier
	buffer_load_dword v123, off, s[0:3], 0 offset:52
	buffer_load_dword v124, off, s[0:3], 0 offset:60
	;; [unrolled: 1-line block ×56, first 2 shown]
	v_mov_b32_e32 v68, 0
	ds_read_b128 v[69:72], v68 offset:320
	ds_read_b128 v[73:76], v68 offset:336
	;; [unrolled: 1-line block ×6, first 2 shown]
	v_cmp_lt_u32_e32 vcc, 4, v0
	s_waitcnt vmcnt(55) lgkmcnt(5)
	v_mul_f32_e32 v93, v69, v123
	s_waitcnt vmcnt(54)
	v_mul_f32_e32 v94, v71, v124
	s_waitcnt vmcnt(53) lgkmcnt(4)
	v_mul_f32_e32 v95, v73, v125
	s_waitcnt vmcnt(52)
	v_mul_f32_e32 v96, v75, v126
	;; [unrolled: 4-line block ×4, first 2 shown]
	s_waitcnt vmcnt(47) lgkmcnt(1)
	v_mul_f32_e32 v101, v85, v131
	s_waitcnt vmcnt(46)
	v_fmac_f32_e32 v93, v70, v132
	s_waitcnt vmcnt(45)
	v_fmac_f32_e32 v94, v72, v133
	v_add_f32_e32 v93, 0, v93
	s_waitcnt vmcnt(44)
	v_fmac_f32_e32 v95, v74, v134
	v_add_f32_e32 v93, v93, v94
	;; [unrolled: 3-line block ×3, first 2 shown]
	v_mul_f32_e32 v70, v70, v123
	s_waitcnt vmcnt(42)
	v_fmac_f32_e32 v97, v78, v136
	v_add_f32_e32 v93, v93, v96
	v_fma_f32 v69, v69, v132, -v70
	v_mul_f32_e32 v70, v72, v124
	s_waitcnt vmcnt(41)
	v_fmac_f32_e32 v98, v80, v137
	v_add_f32_e32 v93, v93, v97
	v_add_f32_e32 v69, 0, v69
	v_fma_f32 v70, v71, v133, -v70
	s_waitcnt vmcnt(40)
	v_fmac_f32_e32 v99, v82, v138
	v_add_f32_e32 v93, v93, v98
	v_add_f32_e32 v69, v69, v70
	v_mul_f32_e32 v70, v74, v125
	s_waitcnt vmcnt(39)
	v_fmac_f32_e32 v100, v84, v139
	v_add_f32_e32 v93, v93, v99
	v_fma_f32 v70, v73, v134, -v70
	v_add_f32_e32 v93, v93, v100
	s_waitcnt vmcnt(38)
	v_fmac_f32_e32 v101, v86, v140
	s_waitcnt vmcnt(37)
	v_mul_f32_e32 v94, v87, v141
	v_add_f32_e32 v69, v69, v70
	v_mul_f32_e32 v70, v76, v126
	v_add_f32_e32 v93, v93, v101
	s_waitcnt vmcnt(36)
	v_fmac_f32_e32 v94, v88, v142
	v_fma_f32 v70, v75, v135, -v70
	v_add_f32_e32 v93, v93, v94
	s_waitcnt vmcnt(35) lgkmcnt(0)
	v_mul_f32_e32 v94, v89, v143
	v_add_f32_e32 v69, v69, v70
	v_mul_f32_e32 v70, v78, v127
	s_waitcnt vmcnt(34)
	v_fmac_f32_e32 v94, v90, v144
	v_fma_f32 v70, v77, v136, -v70
	v_add_f32_e32 v97, v93, v94
	ds_read_b128 v[93:96], v68 offset:416
	v_add_f32_e32 v69, v69, v70
	v_mul_f32_e32 v70, v80, v128
	v_fma_f32 v70, v79, v137, -v70
	s_waitcnt vmcnt(33)
	v_mul_f32_e32 v98, v91, v145
	v_add_f32_e32 v69, v69, v70
	v_mul_f32_e32 v70, v82, v129
	s_waitcnt vmcnt(32)
	v_fmac_f32_e32 v98, v92, v146
	v_fma_f32 v70, v81, v138, -v70
	v_add_f32_e32 v101, v97, v98
	ds_read_b128 v[97:100], v68 offset:432
	v_add_f32_e32 v69, v69, v70
	v_mul_f32_e32 v70, v84, v130
	s_waitcnt vmcnt(31) lgkmcnt(1)
	v_mul_f32_e32 v102, v93, v147
	v_fma_f32 v70, v83, v139, -v70
	s_waitcnt vmcnt(30)
	v_fmac_f32_e32 v102, v94, v148
	v_add_f32_e32 v69, v69, v70
	v_mul_f32_e32 v70, v86, v131
	v_add_f32_e32 v101, v101, v102
	s_waitcnt vmcnt(29)
	v_mul_f32_e32 v102, v95, v149
	v_fma_f32 v70, v85, v140, -v70
	s_waitcnt vmcnt(28)
	v_fmac_f32_e32 v102, v96, v150
	v_add_f32_e32 v69, v69, v70
	v_mul_f32_e32 v70, v88, v141
	v_add_f32_e32 v101, v101, v102
	s_waitcnt vmcnt(27) lgkmcnt(0)
	v_mul_f32_e32 v102, v97, v151
	v_fma_f32 v70, v87, v142, -v70
	s_waitcnt vmcnt(26)
	v_fmac_f32_e32 v102, v98, v152
	v_add_f32_e32 v69, v69, v70
	v_mul_f32_e32 v70, v90, v143
	v_add_f32_e32 v105, v101, v102
	ds_read_b128 v[101:104], v68 offset:448
	v_fma_f32 v70, v89, v144, -v70
	v_add_f32_e32 v69, v69, v70
	v_mul_f32_e32 v70, v92, v145
	s_waitcnt vmcnt(24)
	v_mul_f32_e32 v106, v99, v154
	v_fma_f32 v70, v91, v146, -v70
	v_fmac_f32_e32 v106, v100, v153
	v_add_f32_e32 v69, v69, v70
	v_mul_f32_e32 v70, v94, v147
	v_add_f32_e32 v109, v105, v106
	ds_read_b128 v[105:108], v68 offset:464
	v_fma_f32 v70, v93, v148, -v70
	s_waitcnt vmcnt(21) lgkmcnt(1)
	v_mul_f32_e32 v110, v101, v157
	v_add_f32_e32 v69, v69, v70
	v_mul_f32_e32 v70, v96, v149
	s_waitcnt vmcnt(20)
	v_fmac_f32_e32 v110, v102, v158
	v_fma_f32 v70, v95, v150, -v70
	v_add_f32_e32 v109, v109, v110
	s_waitcnt vmcnt(18)
	v_mul_f32_e32 v110, v103, v160
	v_add_f32_e32 v69, v69, v70
	v_mul_f32_e32 v70, v98, v151
	v_fmac_f32_e32 v110, v104, v159
	v_fma_f32 v70, v97, v152, -v70
	v_add_f32_e32 v109, v109, v110
	s_waitcnt vmcnt(16) lgkmcnt(0)
	v_mul_f32_e32 v110, v105, v162
	v_add_f32_e32 v69, v69, v70
	v_mul_f32_e32 v70, v100, v154
	v_fmac_f32_e32 v110, v106, v161
	v_fma_f32 v70, v99, v153, -v70
	v_add_f32_e32 v113, v109, v110
	ds_read_b128 v[109:112], v68 offset:480
	v_add_f32_e32 v69, v69, v70
	v_mul_f32_e32 v70, v102, v157
	v_fma_f32 v70, v101, v158, -v70
	s_waitcnt vmcnt(14)
	v_mul_f32_e32 v114, v107, v164
	v_add_f32_e32 v69, v69, v70
	v_mul_f32_e32 v70, v104, v160
	v_fmac_f32_e32 v114, v108, v163
	v_fma_f32 v70, v103, v159, -v70
	v_add_f32_e32 v117, v113, v114
	ds_read_b128 v[113:116], v68 offset:496
	v_add_f32_e32 v69, v69, v70
	v_mul_f32_e32 v70, v106, v162
	s_waitcnt vmcnt(12) lgkmcnt(1)
	v_mul_f32_e32 v118, v109, v166
	v_fma_f32 v70, v105, v161, -v70
	v_fmac_f32_e32 v118, v110, v165
	v_add_f32_e32 v69, v69, v70
	v_mul_f32_e32 v70, v108, v164
	v_add_f32_e32 v117, v117, v118
	s_waitcnt vmcnt(10)
	v_mul_f32_e32 v118, v111, v168
	v_fma_f32 v70, v107, v163, -v70
	v_fmac_f32_e32 v118, v112, v167
	v_add_f32_e32 v69, v69, v70
	v_mul_f32_e32 v70, v110, v166
	v_add_f32_e32 v117, v117, v118
	s_waitcnt vmcnt(8) lgkmcnt(0)
	v_mul_f32_e32 v118, v113, v170
	v_fma_f32 v70, v109, v165, -v70
	v_fmac_f32_e32 v118, v114, v169
	v_add_f32_e32 v69, v69, v70
	v_mul_f32_e32 v70, v112, v168
	v_add_f32_e32 v121, v117, v118
	ds_read_b128 v[117:120], v68 offset:512
	v_fma_f32 v70, v111, v167, -v70
	v_add_f32_e32 v69, v69, v70
	v_mul_f32_e32 v70, v114, v170
	s_waitcnt vmcnt(6)
	v_mul_f32_e32 v122, v115, v172
	v_fma_f32 v70, v113, v169, -v70
	v_fmac_f32_e32 v122, v116, v171
	v_add_f32_e32 v69, v69, v70
	v_mul_f32_e32 v70, v116, v172
	v_add_f32_e32 v179, v121, v122
	ds_read_b64 v[121:122], v68 offset:528
	v_fma_f32 v70, v115, v171, -v70
	v_add_f32_e32 v69, v69, v70
	s_waitcnt vmcnt(4) lgkmcnt(1)
	v_mul_f32_e32 v70, v118, v174
	v_mul_f32_e32 v180, v117, v174
	v_fma_f32 v70, v117, v173, -v70
	v_fmac_f32_e32 v180, v118, v173
	v_add_f32_e32 v69, v69, v70
	s_waitcnt vmcnt(2)
	v_mul_f32_e32 v70, v120, v176
	v_add_f32_e32 v179, v179, v180
	v_mul_f32_e32 v180, v119, v176
	v_fma_f32 v70, v119, v175, -v70
	v_fmac_f32_e32 v180, v120, v175
	v_add_f32_e32 v69, v69, v70
	s_waitcnt vmcnt(0) lgkmcnt(0)
	v_mul_f32_e32 v70, v122, v178
	v_add_f32_e32 v179, v179, v180
	v_mul_f32_e32 v180, v121, v178
	v_fma_f32 v70, v121, v177, -v70
	v_fmac_f32_e32 v180, v122, v177
	v_add_f32_e32 v69, v69, v70
	v_add_f32_e32 v179, v179, v180
	v_sub_f32_e32 v69, v155, v69
	v_sub_f32_e32 v70, v156, v179
	buffer_store_dword v69, off, s[0:3], 0 offset:40
	buffer_store_dword v70, off, s[0:3], 0 offset:44
	s_and_saveexec_b64 s[4:5], vcc
	s_cbranch_execz .LBB32_203
; %bb.202:
	buffer_load_dword v69, off, s[0:3], 0 offset:32
	buffer_load_dword v70, off, s[0:3], 0 offset:36
	s_waitcnt vmcnt(0)
	ds_write_b64 v67, v[69:70]
	buffer_store_dword v68, off, s[0:3], 0 offset:32
	buffer_store_dword v68, off, s[0:3], 0 offset:36
.LBB32_203:
	s_or_b64 exec, exec, s[4:5]
	s_waitcnt lgkmcnt(0)
	; wave barrier
	buffer_load_dword v125, off, s[0:3], 0 offset:44
	buffer_load_dword v126, off, s[0:3], 0 offset:52
	;; [unrolled: 1-line block ×34, first 2 shown]
	ds_read2_b64 v[69:72], v68 offset0:39 offset1:40
	ds_read2_b64 v[73:76], v68 offset0:41 offset1:42
	buffer_load_dword v159, off, s[0:3], 0 offset:172
	buffer_load_dword v160, off, s[0:3], 0 offset:168
	buffer_load_dword v161, off, s[0:3], 0 offset:176
	buffer_load_dword v162, off, s[0:3], 0 offset:180
	buffer_load_dword v163, off, s[0:3], 0 offset:184
	buffer_load_dword v164, off, s[0:3], 0 offset:188
	ds_read2_b64 v[77:80], v68 offset0:43 offset1:44
	ds_read2_b64 v[81:84], v68 offset0:45 offset1:46
	;; [unrolled: 1-line block ×4, first 2 shown]
	buffer_load_dword v165, off, s[0:3], 0 offset:196
	buffer_load_dword v166, off, s[0:3], 0 offset:192
	;; [unrolled: 1-line block ×18, first 2 shown]
	v_cmp_lt_u32_e32 vcc, 3, v0
	s_waitcnt vmcnt(57) lgkmcnt(5)
	v_mul_f32_e32 v93, v69, v125
	s_waitcnt vmcnt(56)
	v_mul_f32_e32 v94, v71, v126
	s_waitcnt vmcnt(55) lgkmcnt(4)
	v_mul_f32_e32 v95, v73, v127
	s_waitcnt vmcnt(54)
	v_mul_f32_e32 v96, v75, v128
	;; [unrolled: 4-line block ×4, first 2 shown]
	s_waitcnt vmcnt(49)
	v_fmac_f32_e32 v93, v70, v133
	s_waitcnt vmcnt(48)
	v_fmac_f32_e32 v94, v72, v134
	v_add_f32_e32 v93, 0, v93
	s_waitcnt vmcnt(47)
	v_fmac_f32_e32 v95, v74, v135
	v_add_f32_e32 v93, v93, v94
	;; [unrolled: 3-line block ×4, first 2 shown]
	v_mul_f32_e32 v70, v70, v125
	s_waitcnt vmcnt(44)
	v_fmac_f32_e32 v98, v80, v138
	v_add_f32_e32 v93, v93, v97
	v_fma_f32 v69, v69, v133, -v70
	v_mul_f32_e32 v70, v72, v126
	s_waitcnt vmcnt(43)
	v_fmac_f32_e32 v99, v82, v139
	v_add_f32_e32 v93, v93, v98
	v_add_f32_e32 v69, 0, v69
	v_fma_f32 v70, v71, v134, -v70
	s_waitcnt vmcnt(42)
	v_fmac_f32_e32 v100, v84, v140
	v_add_f32_e32 v93, v93, v99
	s_waitcnt vmcnt(41) lgkmcnt(1)
	v_mul_f32_e32 v94, v85, v141
	v_add_f32_e32 v69, v69, v70
	v_mul_f32_e32 v70, v74, v127
	v_add_f32_e32 v93, v93, v100
	s_waitcnt vmcnt(40)
	v_fmac_f32_e32 v94, v86, v142
	v_fma_f32 v70, v73, v135, -v70
	v_add_f32_e32 v93, v93, v94
	s_waitcnt vmcnt(39)
	v_mul_f32_e32 v94, v87, v143
	v_add_f32_e32 v69, v69, v70
	v_mul_f32_e32 v70, v76, v128
	s_waitcnt vmcnt(38)
	v_fmac_f32_e32 v94, v88, v144
	v_fma_f32 v70, v75, v136, -v70
	v_add_f32_e32 v93, v93, v94
	s_waitcnt vmcnt(37) lgkmcnt(0)
	v_mul_f32_e32 v94, v89, v145
	v_add_f32_e32 v69, v69, v70
	v_mul_f32_e32 v70, v78, v129
	s_waitcnt vmcnt(36)
	v_fmac_f32_e32 v94, v90, v146
	v_fma_f32 v70, v77, v137, -v70
	v_add_f32_e32 v97, v93, v94
	ds_read2_b64 v[93:96], v68 offset0:51 offset1:52
	v_add_f32_e32 v69, v69, v70
	v_mul_f32_e32 v70, v80, v130
	v_fma_f32 v70, v79, v138, -v70
	s_waitcnt vmcnt(35)
	v_mul_f32_e32 v98, v91, v147
	v_add_f32_e32 v69, v69, v70
	v_mul_f32_e32 v70, v82, v131
	s_waitcnt vmcnt(34)
	v_fmac_f32_e32 v98, v92, v148
	v_fma_f32 v70, v81, v139, -v70
	v_add_f32_e32 v101, v97, v98
	ds_read2_b64 v[97:100], v68 offset0:53 offset1:54
	v_add_f32_e32 v69, v69, v70
	v_mul_f32_e32 v70, v84, v132
	s_waitcnt vmcnt(33) lgkmcnt(1)
	v_mul_f32_e32 v102, v93, v149
	v_fma_f32 v70, v83, v140, -v70
	s_waitcnt vmcnt(32)
	v_fmac_f32_e32 v102, v94, v150
	v_add_f32_e32 v69, v69, v70
	v_mul_f32_e32 v70, v86, v141
	v_add_f32_e32 v101, v101, v102
	s_waitcnt vmcnt(31)
	v_mul_f32_e32 v102, v95, v151
	v_fma_f32 v70, v85, v142, -v70
	s_waitcnt vmcnt(30)
	v_fmac_f32_e32 v102, v96, v152
	v_add_f32_e32 v69, v69, v70
	v_mul_f32_e32 v70, v88, v143
	v_add_f32_e32 v101, v101, v102
	s_waitcnt vmcnt(29) lgkmcnt(0)
	v_mul_f32_e32 v102, v97, v153
	v_fma_f32 v70, v87, v144, -v70
	s_waitcnt vmcnt(28)
	v_fmac_f32_e32 v102, v98, v154
	v_add_f32_e32 v69, v69, v70
	v_mul_f32_e32 v70, v90, v145
	v_add_f32_e32 v105, v101, v102
	ds_read2_b64 v[101:104], v68 offset0:55 offset1:56
	v_fma_f32 v70, v89, v146, -v70
	v_add_f32_e32 v69, v69, v70
	v_mul_f32_e32 v70, v92, v147
	s_waitcnt vmcnt(25)
	v_mul_f32_e32 v106, v99, v157
	v_fma_f32 v70, v91, v148, -v70
	s_waitcnt vmcnt(24)
	v_fmac_f32_e32 v106, v100, v158
	v_add_f32_e32 v69, v69, v70
	v_mul_f32_e32 v70, v94, v149
	v_add_f32_e32 v109, v105, v106
	ds_read2_b64 v[105:108], v68 offset0:57 offset1:58
	v_fma_f32 v70, v93, v150, -v70
	s_waitcnt vmcnt(23) lgkmcnt(1)
	v_mul_f32_e32 v110, v101, v159
	v_add_f32_e32 v69, v69, v70
	v_mul_f32_e32 v70, v96, v151
	s_waitcnt vmcnt(22)
	v_fmac_f32_e32 v110, v102, v160
	v_fma_f32 v70, v95, v152, -v70
	v_add_f32_e32 v109, v109, v110
	s_waitcnt vmcnt(20)
	v_mul_f32_e32 v110, v103, v162
	v_add_f32_e32 v69, v69, v70
	v_mul_f32_e32 v70, v98, v153
	v_fmac_f32_e32 v110, v104, v161
	v_fma_f32 v70, v97, v154, -v70
	v_add_f32_e32 v109, v109, v110
	s_waitcnt vmcnt(18) lgkmcnt(0)
	v_mul_f32_e32 v110, v105, v164
	v_add_f32_e32 v69, v69, v70
	v_mul_f32_e32 v70, v100, v157
	v_fmac_f32_e32 v110, v106, v163
	v_fma_f32 v70, v99, v158, -v70
	v_add_f32_e32 v113, v109, v110
	ds_read2_b64 v[109:112], v68 offset0:59 offset1:60
	v_add_f32_e32 v69, v69, v70
	v_mul_f32_e32 v70, v102, v159
	v_fma_f32 v70, v101, v160, -v70
	s_waitcnt vmcnt(17)
	v_mul_f32_e32 v114, v107, v165
	v_add_f32_e32 v69, v69, v70
	v_mul_f32_e32 v70, v104, v162
	s_waitcnt vmcnt(16)
	v_fmac_f32_e32 v114, v108, v166
	v_fma_f32 v70, v103, v161, -v70
	v_add_f32_e32 v117, v113, v114
	ds_read2_b64 v[113:116], v68 offset0:61 offset1:62
	v_add_f32_e32 v69, v69, v70
	v_mul_f32_e32 v70, v106, v164
	s_waitcnt vmcnt(14) lgkmcnt(1)
	v_mul_f32_e32 v118, v109, v168
	v_fma_f32 v70, v105, v163, -v70
	v_fmac_f32_e32 v118, v110, v167
	v_add_f32_e32 v69, v69, v70
	v_mul_f32_e32 v70, v108, v165
	v_add_f32_e32 v117, v117, v118
	s_waitcnt vmcnt(12)
	v_mul_f32_e32 v118, v111, v170
	v_fma_f32 v70, v107, v166, -v70
	v_fmac_f32_e32 v118, v112, v169
	v_add_f32_e32 v69, v69, v70
	v_mul_f32_e32 v70, v110, v168
	v_add_f32_e32 v117, v117, v118
	s_waitcnt vmcnt(10) lgkmcnt(0)
	v_mul_f32_e32 v118, v113, v172
	v_fma_f32 v70, v109, v167, -v70
	v_fmac_f32_e32 v118, v114, v171
	v_add_f32_e32 v69, v69, v70
	v_mul_f32_e32 v70, v112, v170
	v_add_f32_e32 v121, v117, v118
	ds_read2_b64 v[117:120], v68 offset0:63 offset1:64
	v_fma_f32 v70, v111, v169, -v70
	v_add_f32_e32 v69, v69, v70
	v_mul_f32_e32 v70, v114, v172
	s_waitcnt vmcnt(8)
	v_mul_f32_e32 v122, v115, v174
	v_fma_f32 v70, v113, v171, -v70
	v_fmac_f32_e32 v122, v116, v173
	v_add_f32_e32 v69, v69, v70
	v_mul_f32_e32 v70, v116, v174
	v_add_f32_e32 v183, v121, v122
	ds_read2_b64 v[121:124], v68 offset0:65 offset1:66
	v_fma_f32 v70, v115, v173, -v70
	v_add_f32_e32 v69, v69, v70
	s_waitcnt vmcnt(6) lgkmcnt(1)
	v_mul_f32_e32 v70, v118, v176
	v_mul_f32_e32 v68, v117, v176
	v_fma_f32 v70, v117, v175, -v70
	v_fmac_f32_e32 v68, v118, v175
	v_add_f32_e32 v69, v69, v70
	s_waitcnt vmcnt(4)
	v_mul_f32_e32 v70, v120, v178
	v_add_f32_e32 v68, v183, v68
	v_mul_f32_e32 v183, v119, v178
	v_fma_f32 v70, v119, v177, -v70
	v_fmac_f32_e32 v183, v120, v177
	v_add_f32_e32 v69, v69, v70
	s_waitcnt vmcnt(2) lgkmcnt(0)
	v_mul_f32_e32 v70, v122, v180
	v_add_f32_e32 v68, v68, v183
	v_mul_f32_e32 v183, v121, v180
	v_fma_f32 v70, v121, v179, -v70
	v_fmac_f32_e32 v183, v122, v179
	v_add_f32_e32 v69, v69, v70
	s_waitcnt vmcnt(0)
	v_mul_f32_e32 v70, v124, v182
	v_add_f32_e32 v68, v68, v183
	v_mul_f32_e32 v183, v123, v182
	v_fma_f32 v70, v123, v181, -v70
	v_fmac_f32_e32 v183, v124, v181
	v_add_f32_e32 v69, v69, v70
	v_add_f32_e32 v68, v68, v183
	v_sub_f32_e32 v69, v155, v69
	v_sub_f32_e32 v68, v156, v68
	buffer_store_dword v69, off, s[0:3], 0 offset:32
	buffer_store_dword v68, off, s[0:3], 0 offset:36
	s_and_saveexec_b64 s[4:5], vcc
	s_cbranch_execz .LBB32_205
; %bb.204:
	buffer_load_dword v68, off, s[0:3], 0 offset:24
	buffer_load_dword v69, off, s[0:3], 0 offset:28
	v_mov_b32_e32 v70, 0
	buffer_store_dword v70, off, s[0:3], 0 offset:24
	buffer_store_dword v70, off, s[0:3], 0 offset:28
	s_waitcnt vmcnt(2)
	ds_write_b64 v67, v[68:69]
.LBB32_205:
	s_or_b64 exec, exec, s[4:5]
	s_waitcnt lgkmcnt(0)
	; wave barrier
	buffer_load_dword v127, off, s[0:3], 0 offset:36
	buffer_load_dword v128, off, s[0:3], 0 offset:44
	;; [unrolled: 1-line block ×60, first 2 shown]
	v_mov_b32_e32 v68, 0
	ds_read_b128 v[69:72], v68 offset:304
	ds_read_b128 v[73:76], v68 offset:320
	;; [unrolled: 1-line block ×5, first 2 shown]
	v_cmp_lt_u32_e32 vcc, 2, v0
	s_waitcnt vmcnt(59) lgkmcnt(4)
	v_mul_f32_e32 v89, v69, v127
	s_waitcnt vmcnt(58)
	v_mul_f32_e32 v90, v71, v128
	s_waitcnt vmcnt(57) lgkmcnt(3)
	v_mul_f32_e32 v91, v73, v129
	s_waitcnt vmcnt(56)
	v_mul_f32_e32 v92, v75, v130
	s_waitcnt vmcnt(55) lgkmcnt(2)
	v_mul_f32_e32 v93, v77, v131
	s_waitcnt vmcnt(54)
	v_mul_f32_e32 v94, v79, v132
	s_waitcnt vmcnt(53) lgkmcnt(1)
	v_mul_f32_e32 v95, v81, v133
	s_waitcnt vmcnt(52)
	v_fmac_f32_e32 v89, v70, v134
	s_waitcnt vmcnt(51)
	v_fmac_f32_e32 v90, v72, v135
	v_add_f32_e32 v89, 0, v89
	s_waitcnt vmcnt(50)
	v_fmac_f32_e32 v91, v74, v136
	v_add_f32_e32 v89, v89, v90
	;; [unrolled: 3-line block ×6, first 2 shown]
	s_waitcnt vmcnt(45)
	v_mul_f32_e32 v90, v83, v141
	v_add_f32_e32 v89, v89, v95
	s_waitcnt vmcnt(44)
	v_fmac_f32_e32 v90, v84, v142
	v_mul_f32_e32 v70, v70, v127
	v_add_f32_e32 v93, v89, v90
	ds_read_b128 v[89:92], v68 offset:384
	v_fma_f32 v69, v69, v134, -v70
	v_mul_f32_e32 v70, v72, v128
	s_waitcnt vmcnt(43) lgkmcnt(1)
	v_mul_f32_e32 v94, v85, v143
	v_add_f32_e32 v69, 0, v69
	v_fma_f32 v70, v71, v135, -v70
	s_waitcnt vmcnt(42)
	v_fmac_f32_e32 v94, v86, v144
	v_add_f32_e32 v69, v69, v70
	v_mul_f32_e32 v70, v74, v129
	v_add_f32_e32 v93, v93, v94
	s_waitcnt vmcnt(41)
	v_mul_f32_e32 v94, v87, v145
	v_fma_f32 v70, v73, v136, -v70
	s_waitcnt vmcnt(40)
	v_fmac_f32_e32 v94, v88, v146
	v_add_f32_e32 v69, v69, v70
	v_mul_f32_e32 v70, v76, v130
	v_add_f32_e32 v93, v93, v94
	s_waitcnt vmcnt(39) lgkmcnt(0)
	v_mul_f32_e32 v94, v89, v147
	v_fma_f32 v70, v75, v137, -v70
	s_waitcnt vmcnt(38)
	v_fmac_f32_e32 v94, v90, v148
	v_add_f32_e32 v69, v69, v70
	v_mul_f32_e32 v70, v78, v131
	v_add_f32_e32 v97, v93, v94
	ds_read_b128 v[93:96], v68 offset:400
	v_fma_f32 v70, v77, v138, -v70
	v_add_f32_e32 v69, v69, v70
	v_mul_f32_e32 v70, v80, v132
	s_waitcnt vmcnt(37)
	v_mul_f32_e32 v98, v91, v149
	v_fma_f32 v70, v79, v139, -v70
	s_waitcnt vmcnt(36)
	v_fmac_f32_e32 v98, v92, v150
	v_add_f32_e32 v69, v69, v70
	v_mul_f32_e32 v70, v82, v133
	v_add_f32_e32 v101, v97, v98
	ds_read_b128 v[97:100], v68 offset:416
	v_fma_f32 v70, v81, v140, -v70
	s_waitcnt vmcnt(34) lgkmcnt(1)
	v_mul_f32_e32 v102, v93, v152
	v_add_f32_e32 v69, v69, v70
	v_mul_f32_e32 v70, v84, v141
	v_fmac_f32_e32 v102, v94, v151
	v_fma_f32 v70, v83, v142, -v70
	v_add_f32_e32 v101, v101, v102
	s_waitcnt vmcnt(31)
	v_mul_f32_e32 v102, v95, v155
	v_add_f32_e32 v69, v69, v70
	v_mul_f32_e32 v70, v86, v143
	s_waitcnt vmcnt(30)
	v_fmac_f32_e32 v102, v96, v156
	v_fma_f32 v70, v85, v144, -v70
	v_add_f32_e32 v101, v101, v102
	s_waitcnt vmcnt(28) lgkmcnt(0)
	v_mul_f32_e32 v102, v97, v158
	v_add_f32_e32 v69, v69, v70
	v_mul_f32_e32 v70, v88, v145
	v_fmac_f32_e32 v102, v98, v157
	v_fma_f32 v70, v87, v146, -v70
	v_add_f32_e32 v105, v101, v102
	ds_read_b128 v[101:104], v68 offset:432
	v_add_f32_e32 v69, v69, v70
	v_mul_f32_e32 v70, v90, v147
	v_fma_f32 v70, v89, v148, -v70
	s_waitcnt vmcnt(26)
	v_mul_f32_e32 v106, v99, v160
	v_add_f32_e32 v69, v69, v70
	v_mul_f32_e32 v70, v92, v149
	v_fmac_f32_e32 v106, v100, v159
	v_fma_f32 v70, v91, v150, -v70
	v_add_f32_e32 v109, v105, v106
	ds_read_b128 v[105:108], v68 offset:448
	v_add_f32_e32 v69, v69, v70
	v_mul_f32_e32 v70, v94, v152
	s_waitcnt vmcnt(24) lgkmcnt(1)
	v_mul_f32_e32 v110, v101, v162
	v_fma_f32 v70, v93, v151, -v70
	v_fmac_f32_e32 v110, v102, v161
	v_add_f32_e32 v69, v69, v70
	v_mul_f32_e32 v70, v96, v155
	v_add_f32_e32 v109, v109, v110
	s_waitcnt vmcnt(22)
	v_mul_f32_e32 v110, v103, v164
	v_fma_f32 v70, v95, v156, -v70
	v_fmac_f32_e32 v110, v104, v163
	v_add_f32_e32 v69, v69, v70
	v_mul_f32_e32 v70, v98, v158
	v_add_f32_e32 v109, v109, v110
	s_waitcnt vmcnt(20) lgkmcnt(0)
	v_mul_f32_e32 v110, v105, v166
	v_fma_f32 v70, v97, v157, -v70
	v_fmac_f32_e32 v110, v106, v165
	v_add_f32_e32 v69, v69, v70
	v_mul_f32_e32 v70, v100, v160
	v_add_f32_e32 v113, v109, v110
	ds_read_b128 v[109:112], v68 offset:464
	v_fma_f32 v70, v99, v159, -v70
	v_add_f32_e32 v69, v69, v70
	v_mul_f32_e32 v70, v102, v162
	s_waitcnt vmcnt(18)
	v_mul_f32_e32 v114, v107, v168
	v_fma_f32 v70, v101, v161, -v70
	v_fmac_f32_e32 v114, v108, v167
	v_add_f32_e32 v69, v69, v70
	v_mul_f32_e32 v70, v104, v164
	v_add_f32_e32 v117, v113, v114
	ds_read_b128 v[113:116], v68 offset:480
	v_fma_f32 v70, v103, v163, -v70
	s_waitcnt vmcnt(16) lgkmcnt(1)
	v_mul_f32_e32 v118, v109, v170
	v_add_f32_e32 v69, v69, v70
	v_mul_f32_e32 v70, v106, v166
	v_fmac_f32_e32 v118, v110, v169
	v_fma_f32 v70, v105, v165, -v70
	v_add_f32_e32 v117, v117, v118
	s_waitcnt vmcnt(14)
	v_mul_f32_e32 v118, v111, v172
	v_add_f32_e32 v69, v69, v70
	v_mul_f32_e32 v70, v108, v168
	v_fmac_f32_e32 v118, v112, v171
	v_fma_f32 v70, v107, v167, -v70
	v_add_f32_e32 v117, v117, v118
	s_waitcnt vmcnt(12) lgkmcnt(0)
	v_mul_f32_e32 v118, v113, v174
	v_add_f32_e32 v69, v69, v70
	v_mul_f32_e32 v70, v110, v170
	v_fmac_f32_e32 v118, v114, v173
	v_fma_f32 v70, v109, v169, -v70
	v_add_f32_e32 v121, v117, v118
	ds_read_b128 v[117:120], v68 offset:496
	v_add_f32_e32 v69, v69, v70
	v_mul_f32_e32 v70, v112, v172
	v_fma_f32 v70, v111, v171, -v70
	v_add_f32_e32 v69, v69, v70
	v_mul_f32_e32 v70, v114, v174
	s_waitcnt vmcnt(10)
	v_mul_f32_e32 v122, v115, v176
	v_fma_f32 v70, v113, v173, -v70
	v_fmac_f32_e32 v122, v116, v175
	v_add_f32_e32 v69, v69, v70
	v_mul_f32_e32 v70, v116, v176
	v_add_f32_e32 v125, v121, v122
	ds_read_b128 v[121:124], v68 offset:512
	s_waitcnt vmcnt(8) lgkmcnt(1)
	v_mul_f32_e32 v126, v117, v178
	v_fma_f32 v70, v115, v175, -v70
	v_fmac_f32_e32 v126, v118, v177
	v_add_f32_e32 v69, v69, v70
	v_mul_f32_e32 v70, v118, v178
	v_add_f32_e32 v125, v125, v126
	s_waitcnt vmcnt(6)
	v_mul_f32_e32 v126, v119, v180
	v_fma_f32 v70, v117, v177, -v70
	v_fmac_f32_e32 v126, v120, v179
	v_add_f32_e32 v69, v69, v70
	v_mul_f32_e32 v70, v120, v180
	v_add_f32_e32 v187, v125, v126
	ds_read_b64 v[125:126], v68 offset:528
	v_fma_f32 v70, v119, v179, -v70
	v_add_f32_e32 v69, v69, v70
	s_waitcnt vmcnt(4) lgkmcnt(1)
	v_mul_f32_e32 v70, v122, v182
	v_mul_f32_e32 v188, v121, v182
	v_fma_f32 v70, v121, v181, -v70
	v_fmac_f32_e32 v188, v122, v181
	v_add_f32_e32 v69, v69, v70
	s_waitcnt vmcnt(2)
	v_mul_f32_e32 v70, v124, v184
	v_add_f32_e32 v187, v187, v188
	v_mul_f32_e32 v188, v123, v184
	v_fma_f32 v70, v123, v183, -v70
	v_fmac_f32_e32 v188, v124, v183
	v_add_f32_e32 v69, v69, v70
	s_waitcnt vmcnt(0) lgkmcnt(0)
	v_mul_f32_e32 v70, v126, v186
	v_add_f32_e32 v187, v187, v188
	v_mul_f32_e32 v188, v125, v186
	v_fma_f32 v70, v125, v185, -v70
	v_fmac_f32_e32 v188, v126, v185
	v_add_f32_e32 v69, v69, v70
	v_add_f32_e32 v187, v187, v188
	v_sub_f32_e32 v69, v153, v69
	v_sub_f32_e32 v70, v154, v187
	buffer_store_dword v69, off, s[0:3], 0 offset:24
	buffer_store_dword v70, off, s[0:3], 0 offset:28
	s_and_saveexec_b64 s[4:5], vcc
	s_cbranch_execz .LBB32_207
; %bb.206:
	buffer_load_dword v69, off, s[0:3], 0 offset:16
	buffer_load_dword v70, off, s[0:3], 0 offset:20
	s_waitcnt vmcnt(0)
	ds_write_b64 v67, v[69:70]
	buffer_store_dword v68, off, s[0:3], 0 offset:16
	buffer_store_dword v68, off, s[0:3], 0 offset:20
.LBB32_207:
	s_or_b64 exec, exec, s[4:5]
	s_waitcnt lgkmcnt(0)
	; wave barrier
	buffer_load_dword v129, off, s[0:3], 0 offset:28
	buffer_load_dword v130, off, s[0:3], 0 offset:36
	;; [unrolled: 1-line block ×32, first 2 shown]
	ds_read2_b64 v[69:72], v68 offset0:37 offset1:38
	ds_read2_b64 v[73:76], v68 offset0:39 offset1:40
	;; [unrolled: 1-line block ×4, first 2 shown]
	buffer_load_dword v161, off, s[0:3], 0 offset:148
	buffer_load_dword v162, off, s[0:3], 0 offset:144
	;; [unrolled: 1-line block ×30, first 2 shown]
	v_cmp_lt_u32_e32 vcc, 1, v0
	s_waitcnt vmcnt(61) lgkmcnt(3)
	v_mul_f32_e32 v85, v69, v129
	s_waitcnt vmcnt(60)
	v_mul_f32_e32 v86, v71, v130
	s_waitcnt vmcnt(59) lgkmcnt(2)
	v_mul_f32_e32 v87, v73, v131
	s_waitcnt vmcnt(58)
	v_mul_f32_e32 v88, v75, v132
	;; [unrolled: 4-line block ×3, first 2 shown]
	s_waitcnt vmcnt(55) lgkmcnt(0)
	v_mul_f32_e32 v91, v81, v135
	s_waitcnt vmcnt(54)
	v_fmac_f32_e32 v85, v70, v136
	s_waitcnt vmcnt(53)
	v_fmac_f32_e32 v86, v72, v137
	v_add_f32_e32 v85, 0, v85
	s_waitcnt vmcnt(52)
	v_fmac_f32_e32 v87, v74, v138
	v_add_f32_e32 v85, v85, v86
	;; [unrolled: 3-line block ×6, first 2 shown]
	v_add_f32_e32 v89, v85, v91
	ds_read2_b64 v[85:88], v68 offset0:45 offset1:46
	s_waitcnt vmcnt(47)
	v_mul_f32_e32 v90, v83, v143
	s_waitcnt vmcnt(46)
	v_fmac_f32_e32 v90, v84, v144
	v_mul_f32_e32 v70, v70, v129
	v_add_f32_e32 v93, v89, v90
	ds_read2_b64 v[89:92], v68 offset0:47 offset1:48
	v_fma_f32 v69, v69, v136, -v70
	v_mul_f32_e32 v70, v72, v130
	s_waitcnt vmcnt(45) lgkmcnt(1)
	v_mul_f32_e32 v94, v85, v145
	v_add_f32_e32 v69, 0, v69
	v_fma_f32 v70, v71, v137, -v70
	s_waitcnt vmcnt(44)
	v_fmac_f32_e32 v94, v86, v146
	v_add_f32_e32 v69, v69, v70
	v_mul_f32_e32 v70, v74, v131
	v_add_f32_e32 v93, v93, v94
	s_waitcnt vmcnt(43)
	v_mul_f32_e32 v94, v87, v147
	v_fma_f32 v70, v73, v138, -v70
	s_waitcnt vmcnt(42)
	v_fmac_f32_e32 v94, v88, v148
	v_add_f32_e32 v69, v69, v70
	v_mul_f32_e32 v70, v76, v132
	v_add_f32_e32 v93, v93, v94
	s_waitcnt vmcnt(41) lgkmcnt(0)
	v_mul_f32_e32 v94, v89, v149
	v_fma_f32 v70, v75, v139, -v70
	s_waitcnt vmcnt(40)
	v_fmac_f32_e32 v94, v90, v150
	v_add_f32_e32 v69, v69, v70
	v_mul_f32_e32 v70, v78, v133
	v_add_f32_e32 v97, v93, v94
	ds_read2_b64 v[93:96], v68 offset0:49 offset1:50
	v_fma_f32 v70, v77, v140, -v70
	v_add_f32_e32 v69, v69, v70
	v_mul_f32_e32 v70, v80, v134
	s_waitcnt vmcnt(39)
	v_mul_f32_e32 v98, v91, v151
	v_fma_f32 v70, v79, v141, -v70
	s_waitcnt vmcnt(38)
	v_fmac_f32_e32 v98, v92, v152
	v_add_f32_e32 v69, v69, v70
	v_mul_f32_e32 v70, v82, v135
	v_add_f32_e32 v101, v97, v98
	ds_read2_b64 v[97:100], v68 offset0:51 offset1:52
	v_fma_f32 v70, v81, v142, -v70
	s_waitcnt vmcnt(35) lgkmcnt(1)
	v_mul_f32_e32 v102, v93, v155
	v_add_f32_e32 v69, v69, v70
	v_mul_f32_e32 v70, v84, v143
	s_waitcnt vmcnt(34)
	v_fmac_f32_e32 v102, v94, v156
	v_fma_f32 v70, v83, v144, -v70
	v_add_f32_e32 v101, v101, v102
	s_waitcnt vmcnt(32)
	v_mul_f32_e32 v102, v95, v158
	v_add_f32_e32 v69, v69, v70
	v_mul_f32_e32 v70, v86, v145
	v_fmac_f32_e32 v102, v96, v157
	v_fma_f32 v70, v85, v146, -v70
	v_add_f32_e32 v101, v101, v102
	s_waitcnt vmcnt(30) lgkmcnt(0)
	v_mul_f32_e32 v102, v97, v160
	v_add_f32_e32 v69, v69, v70
	v_mul_f32_e32 v70, v88, v147
	v_fmac_f32_e32 v102, v98, v159
	v_fma_f32 v70, v87, v148, -v70
	v_add_f32_e32 v105, v101, v102
	ds_read2_b64 v[101:104], v68 offset0:53 offset1:54
	v_add_f32_e32 v69, v69, v70
	v_mul_f32_e32 v70, v90, v149
	v_fma_f32 v70, v89, v150, -v70
	s_waitcnt vmcnt(29)
	v_mul_f32_e32 v106, v99, v161
	v_add_f32_e32 v69, v69, v70
	v_mul_f32_e32 v70, v92, v151
	s_waitcnt vmcnt(28)
	v_fmac_f32_e32 v106, v100, v162
	v_fma_f32 v70, v91, v152, -v70
	v_add_f32_e32 v109, v105, v106
	ds_read2_b64 v[105:108], v68 offset0:55 offset1:56
	v_add_f32_e32 v69, v69, v70
	v_mul_f32_e32 v70, v94, v155
	s_waitcnt vmcnt(26) lgkmcnt(1)
	v_mul_f32_e32 v110, v101, v164
	v_fma_f32 v70, v93, v156, -v70
	v_fmac_f32_e32 v110, v102, v163
	v_add_f32_e32 v69, v69, v70
	v_mul_f32_e32 v70, v96, v158
	v_add_f32_e32 v109, v109, v110
	s_waitcnt vmcnt(24)
	v_mul_f32_e32 v110, v103, v166
	v_fma_f32 v70, v95, v157, -v70
	v_fmac_f32_e32 v110, v104, v165
	v_add_f32_e32 v69, v69, v70
	v_mul_f32_e32 v70, v98, v160
	v_add_f32_e32 v109, v109, v110
	s_waitcnt vmcnt(22) lgkmcnt(0)
	v_mul_f32_e32 v110, v105, v168
	v_fma_f32 v70, v97, v159, -v70
	v_fmac_f32_e32 v110, v106, v167
	v_add_f32_e32 v69, v69, v70
	v_mul_f32_e32 v70, v100, v161
	v_add_f32_e32 v113, v109, v110
	ds_read2_b64 v[109:112], v68 offset0:57 offset1:58
	v_fma_f32 v70, v99, v162, -v70
	v_add_f32_e32 v69, v69, v70
	v_mul_f32_e32 v70, v102, v164
	s_waitcnt vmcnt(20)
	v_mul_f32_e32 v114, v107, v170
	v_fma_f32 v70, v101, v163, -v70
	v_fmac_f32_e32 v114, v108, v169
	v_add_f32_e32 v69, v69, v70
	v_mul_f32_e32 v70, v104, v166
	v_add_f32_e32 v117, v113, v114
	ds_read2_b64 v[113:116], v68 offset0:59 offset1:60
	v_fma_f32 v70, v103, v165, -v70
	s_waitcnt vmcnt(18) lgkmcnt(1)
	v_mul_f32_e32 v118, v109, v172
	v_add_f32_e32 v69, v69, v70
	v_mul_f32_e32 v70, v106, v168
	v_fmac_f32_e32 v118, v110, v171
	v_fma_f32 v70, v105, v167, -v70
	v_add_f32_e32 v117, v117, v118
	s_waitcnt vmcnt(16)
	v_mul_f32_e32 v118, v111, v174
	v_add_f32_e32 v69, v69, v70
	v_mul_f32_e32 v70, v108, v170
	v_fmac_f32_e32 v118, v112, v173
	v_fma_f32 v70, v107, v169, -v70
	v_add_f32_e32 v117, v117, v118
	s_waitcnt vmcnt(14) lgkmcnt(0)
	v_mul_f32_e32 v118, v113, v176
	v_add_f32_e32 v69, v69, v70
	v_mul_f32_e32 v70, v110, v172
	v_fmac_f32_e32 v118, v114, v175
	v_fma_f32 v70, v109, v171, -v70
	v_add_f32_e32 v121, v117, v118
	ds_read2_b64 v[117:120], v68 offset0:61 offset1:62
	v_add_f32_e32 v69, v69, v70
	v_mul_f32_e32 v70, v112, v174
	v_fma_f32 v70, v111, v173, -v70
	v_add_f32_e32 v69, v69, v70
	v_mul_f32_e32 v70, v114, v176
	s_waitcnt vmcnt(12)
	v_mul_f32_e32 v122, v115, v178
	v_fma_f32 v70, v113, v175, -v70
	v_fmac_f32_e32 v122, v116, v177
	v_add_f32_e32 v69, v69, v70
	v_mul_f32_e32 v70, v116, v178
	v_add_f32_e32 v125, v121, v122
	ds_read2_b64 v[121:124], v68 offset0:63 offset1:64
	s_waitcnt vmcnt(10) lgkmcnt(1)
	v_mul_f32_e32 v126, v117, v180
	v_fma_f32 v70, v115, v177, -v70
	v_fmac_f32_e32 v126, v118, v179
	v_add_f32_e32 v69, v69, v70
	v_mul_f32_e32 v70, v118, v180
	v_add_f32_e32 v125, v125, v126
	s_waitcnt vmcnt(8)
	v_mul_f32_e32 v126, v119, v182
	v_fma_f32 v70, v117, v179, -v70
	v_fmac_f32_e32 v126, v120, v181
	v_add_f32_e32 v69, v69, v70
	v_mul_f32_e32 v70, v120, v182
	v_add_f32_e32 v191, v125, v126
	ds_read2_b64 v[125:128], v68 offset0:65 offset1:66
	v_fma_f32 v70, v119, v181, -v70
	v_add_f32_e32 v69, v69, v70
	s_waitcnt vmcnt(6) lgkmcnt(1)
	v_mul_f32_e32 v70, v122, v184
	v_mul_f32_e32 v192, v121, v184
	v_fma_f32 v70, v121, v183, -v70
	v_fmac_f32_e32 v192, v122, v183
	v_add_f32_e32 v69, v69, v70
	s_waitcnt vmcnt(4)
	v_mul_f32_e32 v70, v124, v186
	v_add_f32_e32 v68, v191, v192
	v_mul_f32_e32 v191, v123, v186
	v_fma_f32 v70, v123, v185, -v70
	v_fmac_f32_e32 v191, v124, v185
	v_add_f32_e32 v69, v69, v70
	s_waitcnt vmcnt(2) lgkmcnt(0)
	v_mul_f32_e32 v70, v126, v188
	v_add_f32_e32 v68, v68, v191
	v_mul_f32_e32 v191, v125, v188
	v_fma_f32 v70, v125, v187, -v70
	v_fmac_f32_e32 v191, v126, v187
	v_add_f32_e32 v69, v69, v70
	s_waitcnt vmcnt(0)
	v_mul_f32_e32 v70, v128, v190
	v_add_f32_e32 v68, v68, v191
	v_mul_f32_e32 v191, v127, v190
	v_fma_f32 v70, v127, v189, -v70
	v_fmac_f32_e32 v191, v128, v189
	v_add_f32_e32 v69, v69, v70
	v_add_f32_e32 v68, v68, v191
	v_sub_f32_e32 v69, v153, v69
	v_sub_f32_e32 v68, v154, v68
	buffer_store_dword v69, off, s[0:3], 0 offset:16
	buffer_store_dword v68, off, s[0:3], 0 offset:20
	s_and_saveexec_b64 s[4:5], vcc
	s_cbranch_execz .LBB32_209
; %bb.208:
	buffer_load_dword v68, off, s[0:3], 0 offset:8
	buffer_load_dword v69, off, s[0:3], 0 offset:12
	v_mov_b32_e32 v70, 0
	buffer_store_dword v70, off, s[0:3], 0 offset:8
	buffer_store_dword v70, off, s[0:3], 0 offset:12
	s_waitcnt vmcnt(2)
	ds_write_b64 v67, v[68:69]
.LBB32_209:
	s_or_b64 exec, exec, s[4:5]
	s_waitcnt lgkmcnt(0)
	; wave barrier
	buffer_load_dword v131, off, s[0:3], 0 offset:20
	buffer_load_dword v132, off, s[0:3], 0 offset:28
	;; [unrolled: 1-line block ×56, first 2 shown]
	v_mov_b32_e32 v68, 0
	ds_read_b128 v[69:72], v68 offset:288
	buffer_load_dword v187, off, s[0:3], 0 offset:232
	buffer_load_dword v188, off, s[0:3], 0 offset:236
	buffer_load_dword v189, off, s[0:3], 0 offset:240
	buffer_load_dword v190, off, s[0:3], 0 offset:244
	ds_read_b128 v[73:76], v68 offset:304
	ds_read_b128 v[77:80], v68 offset:320
	;; [unrolled: 1-line block ×3, first 2 shown]
	v_cmp_ne_u32_e32 vcc, 0, v0
	s_waitcnt vmcnt(59) lgkmcnt(3)
	v_mul_f32_e32 v85, v69, v131
	s_waitcnt vmcnt(58)
	v_mul_f32_e32 v86, v71, v132
	s_waitcnt vmcnt(57) lgkmcnt(2)
	v_mul_f32_e32 v87, v73, v133
	s_waitcnt vmcnt(56)
	v_mul_f32_e32 v88, v75, v134
	;; [unrolled: 4-line block ×4, first 2 shown]
	s_waitcnt vmcnt(51)
	v_fmac_f32_e32 v85, v70, v139
	s_waitcnt vmcnt(50)
	v_fmac_f32_e32 v86, v72, v140
	v_add_f32_e32 v85, 0, v85
	s_waitcnt vmcnt(49)
	v_fmac_f32_e32 v87, v74, v141
	v_add_f32_e32 v85, v85, v86
	;; [unrolled: 3-line block ×6, first 2 shown]
	v_add_f32_e32 v89, v85, v91
	ds_read_b128 v[85:88], v68 offset:352
	buffer_load_dword v191, off, s[0:3], 0 offset:252
	buffer_load_dword v192, off, s[0:3], 0 offset:248
	;; [unrolled: 1-line block ×4, first 2 shown]
	s_waitcnt vmcnt(48)
	v_fmac_f32_e32 v92, v84, v146
	v_add_f32_e32 v93, v89, v92
	ds_read_b128 v[89:92], v68 offset:368
	s_waitcnt vmcnt(47) lgkmcnt(1)
	v_mul_f32_e32 v94, v85, v147
	v_mul_f32_e32 v70, v70, v131
	s_waitcnt vmcnt(46)
	v_fmac_f32_e32 v94, v86, v148
	v_fma_f32 v69, v69, v139, -v70
	v_mul_f32_e32 v70, v72, v132
	v_add_f32_e32 v93, v93, v94
	s_waitcnt vmcnt(45)
	v_mul_f32_e32 v94, v87, v149
	v_add_f32_e32 v69, 0, v69
	v_fma_f32 v70, v71, v140, -v70
	s_waitcnt vmcnt(44)
	v_fmac_f32_e32 v94, v88, v150
	v_add_f32_e32 v69, v69, v70
	v_mul_f32_e32 v70, v74, v133
	v_add_f32_e32 v93, v93, v94
	s_waitcnt vmcnt(42) lgkmcnt(0)
	v_mul_f32_e32 v94, v89, v152
	v_fma_f32 v70, v73, v141, -v70
	v_fmac_f32_e32 v94, v90, v151
	v_add_f32_e32 v69, v69, v70
	v_mul_f32_e32 v70, v76, v134
	v_add_f32_e32 v97, v93, v94
	ds_read_b128 v[93:96], v68 offset:384
	v_fma_f32 v70, v75, v142, -v70
	v_add_f32_e32 v69, v69, v70
	v_mul_f32_e32 v70, v78, v135
	s_waitcnt vmcnt(39)
	v_mul_f32_e32 v98, v91, v155
	v_fma_f32 v70, v77, v143, -v70
	s_waitcnt vmcnt(38)
	v_fmac_f32_e32 v98, v92, v156
	v_add_f32_e32 v69, v69, v70
	v_mul_f32_e32 v70, v80, v136
	v_add_f32_e32 v101, v97, v98
	ds_read_b128 v[97:100], v68 offset:400
	v_fma_f32 v70, v79, v144, -v70
	s_waitcnt vmcnt(36) lgkmcnt(1)
	v_mul_f32_e32 v102, v93, v158
	v_add_f32_e32 v69, v69, v70
	v_mul_f32_e32 v70, v82, v137
	v_fmac_f32_e32 v102, v94, v157
	v_fma_f32 v70, v81, v145, -v70
	v_add_f32_e32 v101, v101, v102
	s_waitcnt vmcnt(34)
	v_mul_f32_e32 v102, v95, v160
	v_add_f32_e32 v69, v69, v70
	v_mul_f32_e32 v70, v84, v138
	v_fmac_f32_e32 v102, v96, v159
	v_fma_f32 v70, v83, v146, -v70
	v_add_f32_e32 v101, v101, v102
	s_waitcnt vmcnt(32) lgkmcnt(0)
	v_mul_f32_e32 v102, v97, v162
	v_add_f32_e32 v69, v69, v70
	v_mul_f32_e32 v70, v86, v147
	v_fmac_f32_e32 v102, v98, v161
	v_fma_f32 v70, v85, v148, -v70
	v_add_f32_e32 v105, v101, v102
	ds_read_b128 v[101:104], v68 offset:416
	v_add_f32_e32 v69, v69, v70
	v_mul_f32_e32 v70, v88, v149
	v_fma_f32 v70, v87, v150, -v70
	s_waitcnt vmcnt(30)
	v_mul_f32_e32 v106, v99, v164
	v_add_f32_e32 v69, v69, v70
	v_mul_f32_e32 v70, v90, v152
	v_fmac_f32_e32 v106, v100, v163
	v_fma_f32 v70, v89, v151, -v70
	v_add_f32_e32 v109, v105, v106
	ds_read_b128 v[105:108], v68 offset:432
	v_add_f32_e32 v69, v69, v70
	v_mul_f32_e32 v70, v92, v155
	s_waitcnt vmcnt(28) lgkmcnt(1)
	v_mul_f32_e32 v110, v101, v166
	v_fma_f32 v70, v91, v156, -v70
	v_fmac_f32_e32 v110, v102, v165
	v_add_f32_e32 v69, v69, v70
	v_mul_f32_e32 v70, v94, v158
	v_add_f32_e32 v109, v109, v110
	s_waitcnt vmcnt(26)
	v_mul_f32_e32 v110, v103, v168
	v_fma_f32 v70, v93, v157, -v70
	v_fmac_f32_e32 v110, v104, v167
	v_add_f32_e32 v69, v69, v70
	v_mul_f32_e32 v70, v96, v160
	v_add_f32_e32 v109, v109, v110
	s_waitcnt vmcnt(24) lgkmcnt(0)
	v_mul_f32_e32 v110, v105, v170
	v_fma_f32 v70, v95, v159, -v70
	v_fmac_f32_e32 v110, v106, v169
	v_add_f32_e32 v69, v69, v70
	v_mul_f32_e32 v70, v98, v162
	v_add_f32_e32 v113, v109, v110
	ds_read_b128 v[109:112], v68 offset:448
	v_fma_f32 v70, v97, v161, -v70
	v_add_f32_e32 v69, v69, v70
	v_mul_f32_e32 v70, v100, v164
	s_waitcnt vmcnt(22)
	v_mul_f32_e32 v114, v107, v172
	v_fma_f32 v70, v99, v163, -v70
	v_fmac_f32_e32 v114, v108, v171
	v_add_f32_e32 v69, v69, v70
	v_mul_f32_e32 v70, v102, v166
	v_add_f32_e32 v117, v113, v114
	ds_read_b128 v[113:116], v68 offset:464
	v_fma_f32 v70, v101, v165, -v70
	s_waitcnt vmcnt(20) lgkmcnt(1)
	v_mul_f32_e32 v118, v109, v174
	v_add_f32_e32 v69, v69, v70
	v_mul_f32_e32 v70, v104, v168
	v_fmac_f32_e32 v118, v110, v173
	v_fma_f32 v70, v103, v167, -v70
	v_add_f32_e32 v117, v117, v118
	s_waitcnt vmcnt(18)
	v_mul_f32_e32 v118, v111, v176
	v_add_f32_e32 v69, v69, v70
	v_mul_f32_e32 v70, v106, v170
	v_fmac_f32_e32 v118, v112, v175
	v_fma_f32 v70, v105, v169, -v70
	v_add_f32_e32 v117, v117, v118
	s_waitcnt vmcnt(16) lgkmcnt(0)
	v_mul_f32_e32 v118, v113, v178
	v_add_f32_e32 v69, v69, v70
	v_mul_f32_e32 v70, v108, v172
	v_fmac_f32_e32 v118, v114, v177
	v_fma_f32 v70, v107, v171, -v70
	v_add_f32_e32 v121, v117, v118
	ds_read_b128 v[117:120], v68 offset:480
	v_add_f32_e32 v69, v69, v70
	v_mul_f32_e32 v70, v110, v174
	v_fma_f32 v70, v109, v173, -v70
	s_waitcnt vmcnt(14)
	v_mul_f32_e32 v122, v115, v180
	v_add_f32_e32 v69, v69, v70
	v_mul_f32_e32 v70, v112, v176
	v_fmac_f32_e32 v122, v116, v179
	v_fma_f32 v70, v111, v175, -v70
	v_add_f32_e32 v125, v121, v122
	ds_read_b128 v[121:124], v68 offset:496
	v_add_f32_e32 v69, v69, v70
	v_mul_f32_e32 v70, v114, v178
	s_waitcnt vmcnt(12) lgkmcnt(1)
	v_mul_f32_e32 v126, v117, v182
	v_fma_f32 v70, v113, v177, -v70
	v_fmac_f32_e32 v126, v118, v181
	v_add_f32_e32 v69, v69, v70
	v_mul_f32_e32 v70, v116, v180
	v_add_f32_e32 v125, v125, v126
	s_waitcnt vmcnt(10)
	v_mul_f32_e32 v126, v119, v184
	v_fma_f32 v70, v115, v179, -v70
	v_fmac_f32_e32 v126, v120, v183
	v_add_f32_e32 v69, v69, v70
	v_mul_f32_e32 v70, v118, v182
	v_add_f32_e32 v125, v125, v126
	s_waitcnt vmcnt(8) lgkmcnt(0)
	v_mul_f32_e32 v126, v121, v186
	v_fma_f32 v70, v117, v181, -v70
	v_fmac_f32_e32 v126, v122, v185
	v_add_f32_e32 v69, v69, v70
	v_mul_f32_e32 v70, v120, v184
	v_add_f32_e32 v129, v125, v126
	ds_read_b128 v[125:128], v68 offset:512
	v_fma_f32 v70, v119, v183, -v70
	v_add_f32_e32 v69, v69, v70
	v_mul_f32_e32 v70, v122, v186
	s_waitcnt vmcnt(6)
	v_mul_f32_e32 v130, v123, v188
	v_fma_f32 v70, v121, v185, -v70
	v_fmac_f32_e32 v130, v124, v187
	v_add_f32_e32 v69, v69, v70
	v_mul_f32_e32 v70, v124, v188
	v_add_f32_e32 v195, v129, v130
	ds_read_b64 v[129:130], v68 offset:528
	v_fma_f32 v70, v123, v187, -v70
	v_add_f32_e32 v69, v69, v70
	s_waitcnt vmcnt(4) lgkmcnt(1)
	v_mul_f32_e32 v70, v126, v190
	v_mul_f32_e32 v196, v125, v190
	v_fma_f32 v70, v125, v189, -v70
	v_fmac_f32_e32 v196, v126, v189
	v_add_f32_e32 v69, v69, v70
	s_waitcnt vmcnt(3)
	v_mul_f32_e32 v70, v128, v191
	v_add_f32_e32 v195, v195, v196
	v_mul_f32_e32 v196, v127, v191
	s_waitcnt vmcnt(2)
	v_fma_f32 v70, v127, v192, -v70
	v_fmac_f32_e32 v196, v128, v192
	v_add_f32_e32 v69, v69, v70
	s_waitcnt vmcnt(0) lgkmcnt(0)
	v_mul_f32_e32 v70, v130, v194
	v_add_f32_e32 v195, v195, v196
	v_mul_f32_e32 v196, v129, v194
	v_fma_f32 v70, v129, v193, -v70
	v_fmac_f32_e32 v196, v130, v193
	v_add_f32_e32 v69, v69, v70
	v_add_f32_e32 v195, v195, v196
	v_sub_f32_e32 v69, v153, v69
	v_sub_f32_e32 v70, v154, v195
	buffer_store_dword v69, off, s[0:3], 0 offset:8
	buffer_store_dword v70, off, s[0:3], 0 offset:12
	s_and_saveexec_b64 s[4:5], vcc
	s_cbranch_execz .LBB32_211
; %bb.210:
	buffer_load_dword v69, off, s[0:3], 0
	buffer_load_dword v70, off, s[0:3], 0 offset:4
	s_waitcnt vmcnt(0)
	ds_write_b64 v67, v[69:70]
	buffer_store_dword v68, off, s[0:3], 0
	buffer_store_dword v68, off, s[0:3], 0 offset:4
.LBB32_211:
	s_or_b64 exec, exec, s[4:5]
	s_waitcnt lgkmcnt(0)
	; wave barrier
	buffer_load_dword v0, off, s[0:3], 0 offset:12
	buffer_load_dword v67, off, s[0:3], 0 offset:20
	;; [unrolled: 1-line block ×20, first 2 shown]
	buffer_load_dword v151, off, s[0:3], 0
	buffer_load_dword v152, off, s[0:3], 0 offset:4
	buffer_load_dword v153, off, s[0:3], 0 offset:92
	;; [unrolled: 1-line block ×5, first 2 shown]
	ds_read2_b64 v[69:72], v68 offset0:35 offset1:36
	ds_read2_b64 v[73:76], v68 offset0:37 offset1:38
	;; [unrolled: 1-line block ×4, first 2 shown]
	buffer_load_dword v157, off, s[0:3], 0 offset:108
	buffer_load_dword v158, off, s[0:3], 0 offset:104
	;; [unrolled: 1-line block ×34, first 2 shown]
	s_and_b64 vcc, exec, s[22:23]
	s_waitcnt vmcnt(59) lgkmcnt(3)
	v_mul_f32_e32 v85, v69, v0
	s_waitcnt vmcnt(58)
	v_mul_f32_e32 v86, v71, v67
	s_waitcnt vmcnt(57) lgkmcnt(2)
	v_mul_f32_e32 v87, v73, v133
	s_waitcnt vmcnt(56)
	v_mul_f32_e32 v88, v75, v134
	;; [unrolled: 4-line block ×4, first 2 shown]
	s_waitcnt vmcnt(51)
	v_fmac_f32_e32 v85, v70, v139
	s_waitcnt vmcnt(50)
	v_fmac_f32_e32 v86, v72, v140
	v_add_f32_e32 v85, 0, v85
	s_waitcnt vmcnt(49)
	v_fmac_f32_e32 v87, v74, v141
	v_add_f32_e32 v85, v85, v86
	;; [unrolled: 3-line block ×7, first 2 shown]
	v_add_f32_e32 v93, v85, v92
	ds_read2_b64 v[85:88], v68 offset0:43 offset1:44
	buffer_load_dword v191, off, s[0:3], 0 offset:244
	buffer_load_dword v192, off, s[0:3], 0 offset:240
	;; [unrolled: 1-line block ×4, first 2 shown]
	ds_read2_b64 v[89:92], v68 offset0:45 offset1:46
	buffer_load_dword v195, off, s[0:3], 0 offset:256
	buffer_load_dword v196, off, s[0:3], 0 offset:260
	v_mul_f32_e32 v0, v70, v0
	s_waitcnt vmcnt(49) lgkmcnt(1)
	v_mul_f32_e32 v94, v85, v147
	s_waitcnt vmcnt(48)
	v_fmac_f32_e32 v94, v86, v148
	v_fma_f32 v0, v69, v139, -v0
	v_mul_f32_e32 v67, v72, v67
	v_add_f32_e32 v93, v93, v94
	s_waitcnt vmcnt(46)
	v_mul_f32_e32 v94, v87, v150
	v_add_f32_e32 v0, 0, v0
	v_fma_f32 v67, v71, v140, -v67
	v_fmac_f32_e32 v94, v88, v149
	v_add_f32_e32 v0, v0, v67
	v_mul_f32_e32 v67, v74, v133
	v_add_f32_e32 v93, v93, v94
	s_waitcnt vmcnt(43) lgkmcnt(0)
	v_mul_f32_e32 v94, v89, v153
	v_fma_f32 v67, v73, v141, -v67
	s_waitcnt vmcnt(42)
	v_fmac_f32_e32 v94, v90, v154
	v_add_f32_e32 v0, v0, v67
	v_mul_f32_e32 v67, v76, v134
	v_add_f32_e32 v97, v93, v94
	ds_read2_b64 v[93:96], v68 offset0:47 offset1:48
	v_fma_f32 v67, v75, v142, -v67
	v_add_f32_e32 v0, v0, v67
	v_mul_f32_e32 v67, v78, v135
	s_waitcnt vmcnt(40)
	v_mul_f32_e32 v98, v91, v156
	v_fma_f32 v67, v77, v143, -v67
	v_fmac_f32_e32 v98, v92, v155
	v_add_f32_e32 v0, v0, v67
	v_mul_f32_e32 v67, v80, v136
	v_add_f32_e32 v101, v97, v98
	ds_read2_b64 v[97:100], v68 offset0:49 offset1:50
	v_fma_f32 v67, v79, v144, -v67
	s_waitcnt vmcnt(39) lgkmcnt(1)
	v_mul_f32_e32 v102, v93, v157
	v_add_f32_e32 v0, v0, v67
	v_mul_f32_e32 v67, v82, v137
	s_waitcnt vmcnt(38)
	v_fmac_f32_e32 v102, v94, v158
	v_fma_f32 v67, v81, v145, -v67
	v_add_f32_e32 v101, v101, v102
	s_waitcnt vmcnt(36)
	v_mul_f32_e32 v102, v95, v160
	v_add_f32_e32 v0, v0, v67
	v_mul_f32_e32 v67, v84, v138
	v_fmac_f32_e32 v102, v96, v159
	v_fma_f32 v67, v83, v146, -v67
	v_add_f32_e32 v101, v101, v102
	s_waitcnt vmcnt(34) lgkmcnt(0)
	v_mul_f32_e32 v102, v97, v162
	v_add_f32_e32 v0, v0, v67
	v_mul_f32_e32 v67, v86, v147
	v_fmac_f32_e32 v102, v98, v161
	v_fma_f32 v67, v85, v148, -v67
	v_add_f32_e32 v105, v101, v102
	ds_read2_b64 v[101:104], v68 offset0:51 offset1:52
	v_add_f32_e32 v0, v0, v67
	v_mul_f32_e32 v67, v88, v150
	v_fma_f32 v67, v87, v149, -v67
	s_waitcnt vmcnt(32)
	v_mul_f32_e32 v106, v99, v164
	v_add_f32_e32 v0, v0, v67
	v_mul_f32_e32 v67, v90, v153
	v_fmac_f32_e32 v106, v100, v163
	v_fma_f32 v67, v89, v154, -v67
	v_add_f32_e32 v109, v105, v106
	ds_read2_b64 v[105:108], v68 offset0:53 offset1:54
	v_add_f32_e32 v0, v0, v67
	v_mul_f32_e32 v67, v92, v156
	s_waitcnt vmcnt(30) lgkmcnt(1)
	v_mul_f32_e32 v110, v101, v166
	v_fma_f32 v67, v91, v155, -v67
	v_fmac_f32_e32 v110, v102, v165
	v_add_f32_e32 v0, v0, v67
	v_mul_f32_e32 v67, v94, v157
	v_add_f32_e32 v109, v109, v110
	s_waitcnt vmcnt(28)
	v_mul_f32_e32 v110, v103, v168
	v_fma_f32 v67, v93, v158, -v67
	v_fmac_f32_e32 v110, v104, v167
	v_add_f32_e32 v0, v0, v67
	v_mul_f32_e32 v67, v96, v160
	v_add_f32_e32 v109, v109, v110
	s_waitcnt vmcnt(26) lgkmcnt(0)
	v_mul_f32_e32 v110, v105, v170
	v_fma_f32 v67, v95, v159, -v67
	v_fmac_f32_e32 v110, v106, v169
	v_add_f32_e32 v0, v0, v67
	v_mul_f32_e32 v67, v98, v162
	v_add_f32_e32 v113, v109, v110
	ds_read2_b64 v[109:112], v68 offset0:55 offset1:56
	v_fma_f32 v67, v97, v161, -v67
	v_add_f32_e32 v0, v0, v67
	v_mul_f32_e32 v67, v100, v164
	s_waitcnt vmcnt(24)
	v_mul_f32_e32 v114, v107, v172
	v_fma_f32 v67, v99, v163, -v67
	v_fmac_f32_e32 v114, v108, v171
	v_add_f32_e32 v0, v0, v67
	v_mul_f32_e32 v67, v102, v166
	v_add_f32_e32 v117, v113, v114
	ds_read2_b64 v[113:116], v68 offset0:57 offset1:58
	v_fma_f32 v67, v101, v165, -v67
	s_waitcnt vmcnt(22) lgkmcnt(1)
	v_mul_f32_e32 v118, v109, v174
	v_add_f32_e32 v0, v0, v67
	v_mul_f32_e32 v67, v104, v168
	v_fmac_f32_e32 v118, v110, v173
	v_fma_f32 v67, v103, v167, -v67
	v_add_f32_e32 v117, v117, v118
	s_waitcnt vmcnt(20)
	v_mul_f32_e32 v118, v111, v176
	v_add_f32_e32 v0, v0, v67
	v_mul_f32_e32 v67, v106, v170
	v_fmac_f32_e32 v118, v112, v175
	v_fma_f32 v67, v105, v169, -v67
	v_add_f32_e32 v117, v117, v118
	s_waitcnt vmcnt(18) lgkmcnt(0)
	v_mul_f32_e32 v118, v113, v178
	v_add_f32_e32 v0, v0, v67
	v_mul_f32_e32 v67, v108, v172
	v_fmac_f32_e32 v118, v114, v177
	v_fma_f32 v67, v107, v171, -v67
	v_add_f32_e32 v121, v117, v118
	ds_read2_b64 v[117:120], v68 offset0:59 offset1:60
	v_add_f32_e32 v0, v0, v67
	v_mul_f32_e32 v67, v110, v174
	v_fma_f32 v67, v109, v173, -v67
	s_waitcnt vmcnt(16)
	v_mul_f32_e32 v122, v115, v180
	v_add_f32_e32 v0, v0, v67
	v_mul_f32_e32 v67, v112, v176
	v_fmac_f32_e32 v122, v116, v179
	v_fma_f32 v67, v111, v175, -v67
	v_add_f32_e32 v125, v121, v122
	ds_read2_b64 v[121:124], v68 offset0:61 offset1:62
	v_add_f32_e32 v0, v0, v67
	v_mul_f32_e32 v67, v114, v178
	s_waitcnt vmcnt(14) lgkmcnt(1)
	v_mul_f32_e32 v126, v117, v182
	v_fma_f32 v67, v113, v177, -v67
	v_fmac_f32_e32 v126, v118, v181
	v_add_f32_e32 v0, v0, v67
	v_mul_f32_e32 v67, v116, v180
	v_add_f32_e32 v125, v125, v126
	s_waitcnt vmcnt(12)
	v_mul_f32_e32 v126, v119, v184
	v_fma_f32 v67, v115, v179, -v67
	v_fmac_f32_e32 v126, v120, v183
	v_add_f32_e32 v0, v0, v67
	v_mul_f32_e32 v67, v118, v182
	v_add_f32_e32 v125, v125, v126
	s_waitcnt vmcnt(10) lgkmcnt(0)
	v_mul_f32_e32 v126, v121, v186
	v_fma_f32 v67, v117, v181, -v67
	v_fmac_f32_e32 v126, v122, v185
	v_add_f32_e32 v0, v0, v67
	v_mul_f32_e32 v67, v120, v184
	v_add_f32_e32 v129, v125, v126
	ds_read2_b64 v[125:128], v68 offset0:63 offset1:64
	v_fma_f32 v67, v119, v183, -v67
	v_add_f32_e32 v0, v0, v67
	v_mul_f32_e32 v67, v122, v186
	s_waitcnt vmcnt(8)
	v_mul_f32_e32 v130, v123, v188
	v_fma_f32 v67, v121, v185, -v67
	v_fmac_f32_e32 v130, v124, v187
	v_add_f32_e32 v0, v0, v67
	v_mul_f32_e32 v67, v124, v188
	v_add_f32_e32 v197, v129, v130
	ds_read2_b64 v[129:132], v68 offset0:65 offset1:66
	v_fma_f32 v67, v123, v187, -v67
	v_add_f32_e32 v0, v0, v67
	s_waitcnt vmcnt(6) lgkmcnt(1)
	v_mul_f32_e32 v67, v126, v190
	v_mul_f32_e32 v68, v125, v190
	v_fma_f32 v67, v125, v189, -v67
	v_fmac_f32_e32 v68, v126, v189
	v_add_f32_e32 v0, v0, v67
	s_waitcnt vmcnt(5)
	v_mul_f32_e32 v67, v128, v191
	v_add_f32_e32 v68, v197, v68
	v_mul_f32_e32 v197, v127, v191
	s_waitcnt vmcnt(4)
	v_fma_f32 v67, v127, v192, -v67
	v_fmac_f32_e32 v197, v128, v192
	v_add_f32_e32 v0, v0, v67
	s_waitcnt vmcnt(2) lgkmcnt(0)
	v_mul_f32_e32 v67, v130, v194
	v_add_f32_e32 v68, v68, v197
	v_mul_f32_e32 v197, v129, v194
	v_fma_f32 v67, v129, v193, -v67
	v_fmac_f32_e32 v197, v130, v193
	v_add_f32_e32 v0, v0, v67
	s_waitcnt vmcnt(0)
	v_mul_f32_e32 v67, v132, v196
	v_add_f32_e32 v68, v68, v197
	v_mul_f32_e32 v197, v131, v196
	v_fma_f32 v67, v131, v195, -v67
	v_fmac_f32_e32 v197, v132, v195
	v_add_f32_e32 v0, v0, v67
	v_add_f32_e32 v68, v68, v197
	v_sub_f32_e32 v0, v151, v0
	v_sub_f32_e32 v67, v152, v68
	buffer_store_dword v0, off, s[0:3], 0
	buffer_store_dword v67, off, s[0:3], 0 offset:4
	s_cbranch_vccz .LBB32_276
; %bb.212:
	v_mov_b32_e32 v0, 0
	global_load_dword v67, v0, s[20:21] offset:124
	s_waitcnt vmcnt(0)
	v_add_u32_e32 v67, -1, v67
	v_cmp_ne_u32_e32 vcc, 31, v67
	s_cbranch_vccz .LBB32_214
; %bb.213:
	v_lshlrev_b32_e32 v67, 3, v67
	buffer_load_dword v68, v67, s[0:3], 0 offen
	buffer_load_dword v69, v67, s[0:3], 0 offen offset:4
	buffer_load_dword v70, off, s[0:3], 0 offset:248
	buffer_load_dword v71, off, s[0:3], 0 offset:252
	s_waitcnt vmcnt(3)
	buffer_store_dword v68, off, s[0:3], 0 offset:248
	s_waitcnt vmcnt(3)
	buffer_store_dword v69, off, s[0:3], 0 offset:252
	s_waitcnt vmcnt(3)
	buffer_store_dword v70, v67, s[0:3], 0 offen
	s_waitcnt vmcnt(3)
	buffer_store_dword v71, v67, s[0:3], 0 offen offset:4
.LBB32_214:
	global_load_dword v0, v0, s[20:21] offset:120
	s_waitcnt vmcnt(0)
	v_add_u32_e32 v0, -1, v0
	v_cmp_eq_u32_e32 vcc, 30, v0
	s_cbranch_vccnz .LBB32_216
; %bb.215:
	v_lshlrev_b32_e32 v0, 3, v0
	buffer_load_dword v67, v0, s[0:3], 0 offen
	buffer_load_dword v68, v0, s[0:3], 0 offen offset:4
	buffer_load_dword v69, off, s[0:3], 0 offset:244
	buffer_load_dword v70, off, s[0:3], 0 offset:240
	s_waitcnt vmcnt(3)
	buffer_store_dword v67, off, s[0:3], 0 offset:240
	s_waitcnt vmcnt(3)
	buffer_store_dword v68, off, s[0:3], 0 offset:244
	s_waitcnt vmcnt(3)
	buffer_store_dword v69, v0, s[0:3], 0 offen offset:4
	s_waitcnt vmcnt(3)
	buffer_store_dword v70, v0, s[0:3], 0 offen
.LBB32_216:
	v_mov_b32_e32 v0, 0
	global_load_dword v67, v0, s[20:21] offset:116
	s_waitcnt vmcnt(0)
	v_add_u32_e32 v67, -1, v67
	v_cmp_eq_u32_e32 vcc, 29, v67
	s_cbranch_vccnz .LBB32_218
; %bb.217:
	v_lshlrev_b32_e32 v67, 3, v67
	buffer_load_dword v68, v67, s[0:3], 0 offen
	buffer_load_dword v69, v67, s[0:3], 0 offen offset:4
	buffer_load_dword v70, off, s[0:3], 0 offset:232
	buffer_load_dword v71, off, s[0:3], 0 offset:236
	s_waitcnt vmcnt(3)
	buffer_store_dword v68, off, s[0:3], 0 offset:232
	s_waitcnt vmcnt(3)
	buffer_store_dword v69, off, s[0:3], 0 offset:236
	s_waitcnt vmcnt(3)
	buffer_store_dword v70, v67, s[0:3], 0 offen
	s_waitcnt vmcnt(3)
	buffer_store_dword v71, v67, s[0:3], 0 offen offset:4
.LBB32_218:
	global_load_dword v0, v0, s[20:21] offset:112
	s_waitcnt vmcnt(0)
	v_add_u32_e32 v0, -1, v0
	v_cmp_eq_u32_e32 vcc, 28, v0
	s_cbranch_vccnz .LBB32_220
; %bb.219:
	v_lshlrev_b32_e32 v0, 3, v0
	buffer_load_dword v67, v0, s[0:3], 0 offen
	buffer_load_dword v68, v0, s[0:3], 0 offen offset:4
	buffer_load_dword v69, off, s[0:3], 0 offset:228
	buffer_load_dword v70, off, s[0:3], 0 offset:224
	s_waitcnt vmcnt(3)
	buffer_store_dword v67, off, s[0:3], 0 offset:224
	s_waitcnt vmcnt(3)
	buffer_store_dword v68, off, s[0:3], 0 offset:228
	s_waitcnt vmcnt(3)
	buffer_store_dword v69, v0, s[0:3], 0 offen offset:4
	s_waitcnt vmcnt(3)
	buffer_store_dword v70, v0, s[0:3], 0 offen
.LBB32_220:
	v_mov_b32_e32 v0, 0
	global_load_dword v67, v0, s[20:21] offset:108
	s_waitcnt vmcnt(0)
	v_add_u32_e32 v67, -1, v67
	v_cmp_eq_u32_e32 vcc, 27, v67
	s_cbranch_vccnz .LBB32_222
; %bb.221:
	v_lshlrev_b32_e32 v67, 3, v67
	buffer_load_dword v68, v67, s[0:3], 0 offen
	buffer_load_dword v69, v67, s[0:3], 0 offen offset:4
	buffer_load_dword v70, off, s[0:3], 0 offset:216
	buffer_load_dword v71, off, s[0:3], 0 offset:220
	s_waitcnt vmcnt(3)
	buffer_store_dword v68, off, s[0:3], 0 offset:216
	s_waitcnt vmcnt(3)
	buffer_store_dword v69, off, s[0:3], 0 offset:220
	s_waitcnt vmcnt(3)
	buffer_store_dword v70, v67, s[0:3], 0 offen
	s_waitcnt vmcnt(3)
	buffer_store_dword v71, v67, s[0:3], 0 offen offset:4
.LBB32_222:
	;; [unrolled: 41-line block ×15, first 2 shown]
	global_load_dword v0, v0, s[20:21]
	s_waitcnt vmcnt(0)
	v_add_u32_e32 v0, -1, v0
	v_cmp_eq_u32_e32 vcc, 0, v0
	s_cbranch_vccnz .LBB32_276
; %bb.275:
	v_lshlrev_b32_e32 v0, 3, v0
	buffer_load_dword v67, v0, s[0:3], 0 offen
	buffer_load_dword v68, v0, s[0:3], 0 offen offset:4
	buffer_load_dword v69, off, s[0:3], 0 offset:4
	buffer_load_dword v70, off, s[0:3], 0
	s_waitcnt vmcnt(3)
	buffer_store_dword v67, off, s[0:3], 0
	s_waitcnt vmcnt(3)
	buffer_store_dword v68, off, s[0:3], 0 offset:4
	s_waitcnt vmcnt(3)
	buffer_store_dword v69, v0, s[0:3], 0 offen offset:4
	s_waitcnt vmcnt(3)
	buffer_store_dword v70, v0, s[0:3], 0 offen
.LBB32_276:
	buffer_load_dword v67, off, s[0:3], 0
	buffer_load_dword v68, off, s[0:3], 0 offset:4
	buffer_load_dword v69, off, s[0:3], 0 offset:8
	s_nop 0
	buffer_load_dword v70, off, s[0:3], 0 offset:12
	buffer_load_dword v71, off, s[0:3], 0 offset:16
	;; [unrolled: 1-line block ×63, first 2 shown]
	s_waitcnt vmcnt(62)
	global_store_dwordx2 v[57:58], v[67:68], off
	global_store_dwordx2 v[59:60], v[69:70], off
	s_waitcnt vmcnt(62)
	global_store_dwordx2 v[1:2], v[71:72], off
	s_waitcnt vmcnt(61)
	;; [unrolled: 2-line block ×7, first 2 shown]
	global_store_dwordx2 v[13:14], v[83:84], off
	global_store_dwordx2 v[15:16], v[85:86], off
	;; [unrolled: 1-line block ×4, first 2 shown]
	s_waitcnt vmcnt(52)
	global_store_dwordx2 v[21:22], v[91:92], off
	s_waitcnt vmcnt(51)
	global_store_dwordx2 v[23:24], v[93:94], off
	;; [unrolled: 2-line block ×21, first 2 shown]
	s_endpgm
	.section	.rodata,"a",@progbits
	.p2align	6, 0x0
	.amdhsa_kernel _ZN9rocsolver6v33100L18getri_kernel_smallILi33E19rocblas_complex_numIfEPS3_EEvT1_iilPiilS6_bb
		.amdhsa_group_segment_fixed_size 536
		.amdhsa_private_segment_fixed_size 272
		.amdhsa_kernarg_size 60
		.amdhsa_user_sgpr_count 6
		.amdhsa_user_sgpr_private_segment_buffer 1
		.amdhsa_user_sgpr_dispatch_ptr 0
		.amdhsa_user_sgpr_queue_ptr 0
		.amdhsa_user_sgpr_kernarg_segment_ptr 1
		.amdhsa_user_sgpr_dispatch_id 0
		.amdhsa_user_sgpr_flat_scratch_init 0
		.amdhsa_user_sgpr_private_segment_size 0
		.amdhsa_uses_dynamic_stack 0
		.amdhsa_system_sgpr_private_segment_wavefront_offset 1
		.amdhsa_system_sgpr_workgroup_id_x 1
		.amdhsa_system_sgpr_workgroup_id_y 0
		.amdhsa_system_sgpr_workgroup_id_z 0
		.amdhsa_system_sgpr_workgroup_info 0
		.amdhsa_system_vgpr_workitem_id 0
		.amdhsa_next_free_vgpr 198
		.amdhsa_next_free_sgpr 24
		.amdhsa_reserve_vcc 1
		.amdhsa_reserve_flat_scratch 0
		.amdhsa_float_round_mode_32 0
		.amdhsa_float_round_mode_16_64 0
		.amdhsa_float_denorm_mode_32 3
		.amdhsa_float_denorm_mode_16_64 3
		.amdhsa_dx10_clamp 1
		.amdhsa_ieee_mode 1
		.amdhsa_fp16_overflow 0
		.amdhsa_exception_fp_ieee_invalid_op 0
		.amdhsa_exception_fp_denorm_src 0
		.amdhsa_exception_fp_ieee_div_zero 0
		.amdhsa_exception_fp_ieee_overflow 0
		.amdhsa_exception_fp_ieee_underflow 0
		.amdhsa_exception_fp_ieee_inexact 0
		.amdhsa_exception_int_div_zero 0
	.end_amdhsa_kernel
	.section	.text._ZN9rocsolver6v33100L18getri_kernel_smallILi33E19rocblas_complex_numIfEPS3_EEvT1_iilPiilS6_bb,"axG",@progbits,_ZN9rocsolver6v33100L18getri_kernel_smallILi33E19rocblas_complex_numIfEPS3_EEvT1_iilPiilS6_bb,comdat
.Lfunc_end32:
	.size	_ZN9rocsolver6v33100L18getri_kernel_smallILi33E19rocblas_complex_numIfEPS3_EEvT1_iilPiilS6_bb, .Lfunc_end32-_ZN9rocsolver6v33100L18getri_kernel_smallILi33E19rocblas_complex_numIfEPS3_EEvT1_iilPiilS6_bb
                                        ; -- End function
	.set _ZN9rocsolver6v33100L18getri_kernel_smallILi33E19rocblas_complex_numIfEPS3_EEvT1_iilPiilS6_bb.num_vgpr, 198
	.set _ZN9rocsolver6v33100L18getri_kernel_smallILi33E19rocblas_complex_numIfEPS3_EEvT1_iilPiilS6_bb.num_agpr, 0
	.set _ZN9rocsolver6v33100L18getri_kernel_smallILi33E19rocblas_complex_numIfEPS3_EEvT1_iilPiilS6_bb.numbered_sgpr, 24
	.set _ZN9rocsolver6v33100L18getri_kernel_smallILi33E19rocblas_complex_numIfEPS3_EEvT1_iilPiilS6_bb.num_named_barrier, 0
	.set _ZN9rocsolver6v33100L18getri_kernel_smallILi33E19rocblas_complex_numIfEPS3_EEvT1_iilPiilS6_bb.private_seg_size, 272
	.set _ZN9rocsolver6v33100L18getri_kernel_smallILi33E19rocblas_complex_numIfEPS3_EEvT1_iilPiilS6_bb.uses_vcc, 1
	.set _ZN9rocsolver6v33100L18getri_kernel_smallILi33E19rocblas_complex_numIfEPS3_EEvT1_iilPiilS6_bb.uses_flat_scratch, 0
	.set _ZN9rocsolver6v33100L18getri_kernel_smallILi33E19rocblas_complex_numIfEPS3_EEvT1_iilPiilS6_bb.has_dyn_sized_stack, 0
	.set _ZN9rocsolver6v33100L18getri_kernel_smallILi33E19rocblas_complex_numIfEPS3_EEvT1_iilPiilS6_bb.has_recursion, 0
	.set _ZN9rocsolver6v33100L18getri_kernel_smallILi33E19rocblas_complex_numIfEPS3_EEvT1_iilPiilS6_bb.has_indirect_call, 0
	.section	.AMDGPU.csdata,"",@progbits
; Kernel info:
; codeLenInByte = 46852
; TotalNumSgprs: 28
; NumVgprs: 198
; ScratchSize: 272
; MemoryBound: 0
; FloatMode: 240
; IeeeMode: 1
; LDSByteSize: 536 bytes/workgroup (compile time only)
; SGPRBlocks: 3
; VGPRBlocks: 49
; NumSGPRsForWavesPerEU: 28
; NumVGPRsForWavesPerEU: 198
; Occupancy: 1
; WaveLimiterHint : 1
; COMPUTE_PGM_RSRC2:SCRATCH_EN: 1
; COMPUTE_PGM_RSRC2:USER_SGPR: 6
; COMPUTE_PGM_RSRC2:TRAP_HANDLER: 0
; COMPUTE_PGM_RSRC2:TGID_X_EN: 1
; COMPUTE_PGM_RSRC2:TGID_Y_EN: 0
; COMPUTE_PGM_RSRC2:TGID_Z_EN: 0
; COMPUTE_PGM_RSRC2:TIDIG_COMP_CNT: 0
	.section	.text._ZN9rocsolver6v33100L18getri_kernel_smallILi34E19rocblas_complex_numIfEPS3_EEvT1_iilPiilS6_bb,"axG",@progbits,_ZN9rocsolver6v33100L18getri_kernel_smallILi34E19rocblas_complex_numIfEPS3_EEvT1_iilPiilS6_bb,comdat
	.globl	_ZN9rocsolver6v33100L18getri_kernel_smallILi34E19rocblas_complex_numIfEPS3_EEvT1_iilPiilS6_bb ; -- Begin function _ZN9rocsolver6v33100L18getri_kernel_smallILi34E19rocblas_complex_numIfEPS3_EEvT1_iilPiilS6_bb
	.p2align	8
	.type	_ZN9rocsolver6v33100L18getri_kernel_smallILi34E19rocblas_complex_numIfEPS3_EEvT1_iilPiilS6_bb,@function
_ZN9rocsolver6v33100L18getri_kernel_smallILi34E19rocblas_complex_numIfEPS3_EEvT1_iilPiilS6_bb: ; @_ZN9rocsolver6v33100L18getri_kernel_smallILi34E19rocblas_complex_numIfEPS3_EEvT1_iilPiilS6_bb
; %bb.0:
	s_add_u32 s0, s0, s7
	s_addc_u32 s1, s1, 0
	v_cmp_gt_u32_e32 vcc, 34, v0
	s_and_saveexec_b64 s[8:9], vcc
	s_cbranch_execz .LBB33_150
; %bb.1:
	s_load_dword s12, s[4:5], 0x38
	s_load_dwordx4 s[16:19], s[4:5], 0x10
	s_load_dwordx4 s[8:11], s[4:5], 0x28
                                        ; implicit-def: $sgpr20_sgpr21
	s_waitcnt lgkmcnt(0)
	s_bitcmp1_b32 s12, 8
	s_cselect_b64 s[22:23], -1, 0
	s_ashr_i32 s7, s6, 31
	s_bfe_u32 s12, s12, 0x10008
	s_cmp_eq_u32 s12, 0
	s_cbranch_scc1 .LBB33_3
; %bb.2:
	s_load_dword s12, s[4:5], 0x20
	s_mul_i32 s13, s8, s7
	s_mul_hi_u32 s14, s8, s6
	s_mul_i32 s9, s9, s6
	s_add_i32 s14, s14, s13
	s_add_i32 s9, s14, s9
	s_mul_i32 s8, s8, s6
	s_waitcnt lgkmcnt(0)
	s_ashr_i32 s13, s12, 31
	s_lshl_b64 s[8:9], s[8:9], 2
	s_add_u32 s14, s18, s8
	s_addc_u32 s15, s19, s9
	s_lshl_b64 s[8:9], s[12:13], 2
	s_add_u32 s20, s14, s8
	s_addc_u32 s21, s15, s9
.LBB33_3:
	s_load_dwordx4 s[12:15], s[4:5], 0x0
	s_load_dword s8, s[4:5], 0x38
	s_mul_i32 s9, s16, s7
	s_mul_hi_u32 s18, s16, s6
	s_add_i32 s9, s18, s9
	s_waitcnt lgkmcnt(0)
	s_ashr_i32 s5, s14, 31
	s_mov_b32 s4, s14
	s_mul_i32 s14, s17, s6
	s_add_i32 s17, s9, s14
	s_mul_i32 s16, s16, s6
	s_lshl_b64 s[16:17], s[16:17], 3
	s_add_u32 s9, s12, s16
	s_addc_u32 s12, s13, s17
	s_lshl_b64 s[4:5], s[4:5], 3
	s_add_u32 s4, s9, s4
	s_addc_u32 s5, s12, s5
	s_add_i32 s9, s15, s15
	v_add_u32_e32 v3, s9, v0
	v_ashrrev_i32_e32 v4, 31, v3
	v_lshlrev_b64 v[1:2], 3, v[3:4]
	v_add_u32_e32 v5, s15, v3
	v_mov_b32_e32 v4, s5
	v_add_co_u32_e32 v1, vcc, s4, v1
	v_ashrrev_i32_e32 v6, 31, v5
	v_addc_co_u32_e32 v2, vcc, v4, v2, vcc
	v_lshlrev_b64 v[3:4], 3, v[5:6]
	v_add_u32_e32 v7, s15, v5
	v_mov_b32_e32 v6, s5
	v_add_co_u32_e32 v3, vcc, s4, v3
	v_ashrrev_i32_e32 v8, 31, v7
	v_addc_co_u32_e32 v4, vcc, v6, v4, vcc
	;; [unrolled: 6-line block ×8, first 2 shown]
	v_lshlrev_b64 v[17:18], 3, v[19:20]
	v_mov_b32_e32 v21, s5
	v_add_co_u32_e32 v17, vcc, s4, v17
	v_addc_co_u32_e32 v18, vcc, v21, v18, vcc
	v_add_u32_e32 v21, s15, v19
	v_ashrrev_i32_e32 v22, 31, v21
	v_lshlrev_b64 v[19:20], 3, v[21:22]
	v_mov_b32_e32 v23, s5
	v_add_co_u32_e32 v19, vcc, s4, v19
	v_addc_co_u32_e32 v20, vcc, v23, v20, vcc
	v_add_u32_e32 v23, s15, v21
	v_ashrrev_i32_e32 v24, 31, v23
	;; [unrolled: 6-line block ×19, first 2 shown]
	v_lshlrev_b64 v[55:56], 3, v[57:58]
	v_mov_b32_e32 v59, s5
	v_add_co_u32_e32 v55, vcc, s4, v55
	v_addc_co_u32_e32 v56, vcc, v59, v56, vcc
	v_lshlrev_b32_e32 v71, 3, v0
	v_mov_b32_e32 v58, s5
	v_add_co_u32_e32 v59, vcc, s4, v71
	s_ashr_i32 s13, s15, 31
	s_mov_b32 s12, s15
	v_addc_co_u32_e32 v60, vcc, 0, v58, vcc
	s_lshl_b64 s[12:13], s[12:13], 3
	v_add_u32_e32 v63, s15, v57
	v_mov_b32_e32 v58, s13
	v_add_co_u32_e32 v61, vcc, s12, v59
	v_ashrrev_i32_e32 v64, 31, v63
	v_addc_co_u32_e32 v62, vcc, v60, v58, vcc
	v_lshlrev_b64 v[57:58], 3, v[63:64]
	v_mov_b32_e32 v65, s5
	v_add_co_u32_e32 v57, vcc, s4, v57
	v_addc_co_u32_e32 v58, vcc, v65, v58, vcc
	v_add_u32_e32 v65, s15, v63
	v_ashrrev_i32_e32 v66, 31, v65
	v_lshlrev_b64 v[63:64], 3, v[65:66]
	v_mov_b32_e32 v67, s5
	v_add_co_u32_e32 v63, vcc, s4, v63
	v_addc_co_u32_e32 v64, vcc, v67, v64, vcc
	v_add_u32_e32 v67, s15, v65
	v_ashrrev_i32_e32 v68, 31, v67
	v_lshlrev_b64 v[65:66], 3, v[67:68]
	v_mov_b32_e32 v120, s5
	v_add_co_u32_e32 v65, vcc, s4, v65
	global_load_dwordx2 v[69:70], v71, s[4:5]
	global_load_dwordx2 v[74:75], v[1:2], off
	global_load_dwordx2 v[76:77], v[3:4], off
	;; [unrolled: 1-line block ×24, first 2 shown]
	v_addc_co_u32_e32 v66, vcc, v120, v66, vcc
	global_load_dwordx2 v[120:121], v[47:48], off
	global_load_dwordx2 v[122:123], v[49:50], off
	;; [unrolled: 1-line block ×8, first 2 shown]
	v_add_u32_e32 v67, s15, v67
	v_ashrrev_i32_e32 v68, 31, v67
	v_lshlrev_b64 v[67:68], 3, v[67:68]
	v_mov_b32_e32 v136, s5
	v_add_co_u32_e32 v67, vcc, s4, v67
	v_addc_co_u32_e32 v68, vcc, v136, v68, vcc
	global_load_dwordx2 v[136:137], v[67:68], off
	s_bitcmp0_b32 s8, 0
	s_mov_b64 s[8:9], -1
	s_waitcnt vmcnt(33)
	buffer_store_dword v70, off, s[0:3], 0 offset:4
	buffer_store_dword v69, off, s[0:3], 0
	s_waitcnt vmcnt(31)
	buffer_store_dword v73, off, s[0:3], 0 offset:12
	buffer_store_dword v72, off, s[0:3], 0 offset:8
	;; [unrolled: 1-line block ×8, first 2 shown]
	s_waitcnt vmcnt(38)
	buffer_store_dword v81, off, s[0:3], 0 offset:44
	buffer_store_dword v80, off, s[0:3], 0 offset:40
	s_waitcnt vmcnt(39)
	buffer_store_dword v83, off, s[0:3], 0 offset:52
	buffer_store_dword v82, off, s[0:3], 0 offset:48
	;; [unrolled: 3-line block ×26, first 2 shown]
	buffer_store_dword v133, off, s[0:3], 0 offset:252
	buffer_store_dword v132, off, s[0:3], 0 offset:248
	s_waitcnt vmcnt(62)
	buffer_store_dword v135, off, s[0:3], 0 offset:260
	buffer_store_dword v134, off, s[0:3], 0 offset:256
	;; [unrolled: 1-line block ×4, first 2 shown]
	s_cbranch_scc1 .LBB33_148
; %bb.4:
	v_cmp_eq_u32_e64 s[4:5], 0, v0
	s_and_saveexec_b64 s[8:9], s[4:5]
; %bb.5:
	v_mov_b32_e32 v69, 0
	ds_write_b32 v69, v69 offset:544
; %bb.6:
	s_or_b64 exec, exec, s[8:9]
	v_mov_b32_e32 v69, 0
	v_lshl_add_u32 v73, v0, 3, v69
	s_waitcnt lgkmcnt(0)
	; wave barrier
	buffer_load_dword v69, v73, s[0:3], 0 offen
	buffer_load_dword v70, v73, s[0:3], 0 offen offset:4
	s_waitcnt vmcnt(1)
	v_cmp_eq_f32_e32 vcc, 0, v69
	s_waitcnt vmcnt(0)
	v_cmp_eq_f32_e64 s[8:9], 0, v70
	s_and_b64 s[8:9], vcc, s[8:9]
	s_and_saveexec_b64 s[12:13], s[8:9]
	s_cbranch_execz .LBB33_10
; %bb.7:
	v_mov_b32_e32 v69, 0
	ds_read_b32 v72, v69 offset:544
	v_add_u32_e32 v70, 1, v0
	s_waitcnt lgkmcnt(0)
	v_readfirstlane_b32 s8, v72
	s_cmp_eq_u32 s8, 0
	s_cselect_b64 s[14:15], -1, 0
	v_cmp_gt_i32_e32 vcc, s8, v70
	s_or_b64 s[14:15], s[14:15], vcc
	s_and_b64 exec, exec, s[14:15]
	s_cbranch_execz .LBB33_10
; %bb.8:
	s_mov_b64 s[14:15], 0
	v_mov_b32_e32 v72, s8
.LBB33_9:                               ; =>This Inner Loop Header: Depth=1
	ds_cmpst_rtn_b32 v72, v69, v72, v70 offset:544
	s_waitcnt lgkmcnt(0)
	v_cmp_ne_u32_e32 vcc, 0, v72
	v_cmp_le_i32_e64 s[8:9], v72, v70
	s_and_b64 s[8:9], vcc, s[8:9]
	s_and_b64 s[8:9], exec, s[8:9]
	s_or_b64 s[14:15], s[8:9], s[14:15]
	s_andn2_b64 exec, exec, s[14:15]
	s_cbranch_execnz .LBB33_9
.LBB33_10:
	s_or_b64 exec, exec, s[12:13]
	v_mov_b32_e32 v70, 0
	; wave barrier
	ds_read_b32 v69, v70 offset:544
	s_and_saveexec_b64 s[8:9], s[4:5]
	s_cbranch_execz .LBB33_12
; %bb.11:
	s_lshl_b64 s[12:13], s[6:7], 2
	s_add_u32 s12, s10, s12
	s_addc_u32 s13, s11, s13
	s_waitcnt lgkmcnt(0)
	global_store_dword v70, v69, s[12:13]
.LBB33_12:
	s_or_b64 exec, exec, s[8:9]
	s_waitcnt lgkmcnt(0)
	v_cmp_ne_u32_e32 vcc, 0, v69
	s_mov_b64 s[8:9], 0
	s_cbranch_vccnz .LBB33_148
; %bb.13:
	buffer_load_dword v70, v73, s[0:3], 0 offen
	buffer_load_dword v72, v73, s[0:3], 0 offen offset:4
                                        ; implicit-def: $vgpr75
                                        ; implicit-def: $vgpr74
                                        ; implicit-def: $vgpr69
	s_waitcnt vmcnt(0)
	v_cmp_ngt_f32_e64 s[8:9], |v70|, |v72|
	s_and_saveexec_b64 s[12:13], s[8:9]
	s_xor_b64 s[8:9], exec, s[12:13]
	s_cbranch_execz .LBB33_15
; %bb.14:
	v_div_scale_f32 v69, s[12:13], v72, v72, v70
	v_div_scale_f32 v74, vcc, v70, v72, v70
	v_rcp_f32_e32 v75, v69
	v_fma_f32 v76, -v69, v75, 1.0
	v_fmac_f32_e32 v75, v76, v75
	v_mul_f32_e32 v76, v74, v75
	v_fma_f32 v77, -v69, v76, v74
	v_fmac_f32_e32 v76, v77, v75
	v_fma_f32 v69, -v69, v76, v74
	v_div_fmas_f32 v69, v69, v75, v76
	v_div_fixup_f32 v69, v69, v72, v70
	v_fmac_f32_e32 v72, v70, v69
	v_div_scale_f32 v70, s[12:13], v72, v72, 1.0
	v_div_scale_f32 v74, vcc, 1.0, v72, 1.0
	v_rcp_f32_e32 v75, v70
	v_fma_f32 v76, -v70, v75, 1.0
	v_fmac_f32_e32 v75, v76, v75
	v_mul_f32_e32 v76, v74, v75
	v_fma_f32 v77, -v70, v76, v74
	v_fmac_f32_e32 v76, v77, v75
	v_fma_f32 v70, -v70, v76, v74
	v_div_fmas_f32 v70, v70, v75, v76
	v_div_fixup_f32 v70, v70, v72, 1.0
	v_mul_f32_e32 v75, v69, v70
	v_xor_b32_e32 v74, 0x80000000, v70
	v_xor_b32_e32 v69, 0x80000000, v75
                                        ; implicit-def: $vgpr70
                                        ; implicit-def: $vgpr72
.LBB33_15:
	s_andn2_saveexec_b64 s[8:9], s[8:9]
	s_cbranch_execz .LBB33_17
; %bb.16:
	v_div_scale_f32 v69, s[12:13], v70, v70, v72
	v_div_scale_f32 v74, vcc, v72, v70, v72
	v_rcp_f32_e32 v75, v69
	v_fma_f32 v76, -v69, v75, 1.0
	v_fmac_f32_e32 v75, v76, v75
	v_mul_f32_e32 v76, v74, v75
	v_fma_f32 v77, -v69, v76, v74
	v_fmac_f32_e32 v76, v77, v75
	v_fma_f32 v69, -v69, v76, v74
	v_div_fmas_f32 v69, v69, v75, v76
	v_div_fixup_f32 v74, v69, v70, v72
	v_fmac_f32_e32 v70, v72, v74
	v_div_scale_f32 v69, s[12:13], v70, v70, 1.0
	v_div_scale_f32 v72, vcc, 1.0, v70, 1.0
	v_rcp_f32_e32 v75, v69
	v_fma_f32 v76, -v69, v75, 1.0
	v_fmac_f32_e32 v75, v76, v75
	v_mul_f32_e32 v76, v72, v75
	v_fma_f32 v77, -v69, v76, v72
	v_fmac_f32_e32 v76, v77, v75
	v_fma_f32 v69, -v69, v76, v72
	v_div_fmas_f32 v69, v69, v75, v76
	v_div_fixup_f32 v75, v69, v70, 1.0
	v_xor_b32_e32 v69, 0x80000000, v75
	v_mul_f32_e64 v74, v74, -v75
.LBB33_17:
	s_or_b64 exec, exec, s[8:9]
	buffer_store_dword v75, v73, s[0:3], 0 offen
	buffer_store_dword v74, v73, s[0:3], 0 offen offset:4
	buffer_load_dword v76, off, s[0:3], 0 offset:12
	s_nop 0
	buffer_load_dword v75, off, s[0:3], 0 offset:8
	v_xor_b32_e32 v70, 0x80000000, v74
	v_add_u32_e32 v72, 0x110, v71
	s_waitcnt vmcnt(0)
	ds_write2_b64 v71, v[69:70], v[75:76] offset1:34
	s_waitcnt lgkmcnt(0)
	; wave barrier
	s_and_saveexec_b64 s[8:9], s[4:5]
	s_cbranch_execz .LBB33_19
; %bb.18:
	buffer_load_dword v76, v73, s[0:3], 0 offen offset:4
	buffer_load_dword v77, v73, s[0:3], 0 offen
	ds_read_b64 v[69:70], v72
	v_mov_b32_e32 v74, 0
	ds_read_b64 v[74:75], v74 offset:8
	s_waitcnt vmcnt(1) lgkmcnt(1)
	v_mul_f32_e32 v78, v70, v76
	v_mul_f32_e32 v76, v69, v76
	s_waitcnt vmcnt(0)
	v_fmac_f32_e32 v76, v70, v77
	v_fma_f32 v69, v69, v77, -v78
	v_add_f32_e32 v70, 0, v76
	v_add_f32_e32 v69, 0, v69
	s_waitcnt lgkmcnt(0)
	v_mul_f32_e32 v76, v70, v75
	v_mul_f32_e32 v75, v69, v75
	v_fma_f32 v69, v69, v74, -v76
	v_fmac_f32_e32 v75, v70, v74
	buffer_store_dword v69, off, s[0:3], 0 offset:8
	buffer_store_dword v75, off, s[0:3], 0 offset:12
.LBB33_19:
	s_or_b64 exec, exec, s[8:9]
	; wave barrier
	buffer_load_dword v69, off, s[0:3], 0 offset:16
	buffer_load_dword v70, off, s[0:3], 0 offset:20
	v_cmp_gt_u32_e32 vcc, 2, v0
	s_waitcnt vmcnt(0)
	ds_write_b64 v72, v[69:70]
	s_waitcnt lgkmcnt(0)
	; wave barrier
	s_and_saveexec_b64 s[8:9], vcc
	s_cbranch_execz .LBB33_23
; %bb.20:
	buffer_load_dword v74, v73, s[0:3], 0 offen offset:4
	buffer_load_dword v75, v73, s[0:3], 0 offen
	ds_read_b64 v[69:70], v72
	s_waitcnt vmcnt(1) lgkmcnt(0)
	v_mul_f32_e32 v73, v70, v74
	v_mul_f32_e32 v74, v69, v74
	s_waitcnt vmcnt(0)
	v_fma_f32 v69, v69, v75, -v73
	v_fmac_f32_e32 v74, v70, v75
	v_add_f32_e32 v70, 0, v69
	v_add_f32_e32 v69, 0, v74
	s_and_saveexec_b64 s[12:13], s[4:5]
	s_cbranch_execz .LBB33_22
; %bb.21:
	buffer_load_dword v75, off, s[0:3], 0 offset:12
	buffer_load_dword v76, off, s[0:3], 0 offset:8
	v_mov_b32_e32 v73, 0
	ds_read_b64 v[73:74], v73 offset:280
	s_waitcnt vmcnt(1) lgkmcnt(0)
	v_mul_f32_e32 v77, v73, v75
	v_mul_f32_e32 v75, v74, v75
	s_waitcnt vmcnt(0)
	v_fmac_f32_e32 v77, v74, v76
	v_fma_f32 v73, v73, v76, -v75
	v_add_f32_e32 v69, v69, v77
	v_add_f32_e32 v70, v70, v73
.LBB33_22:
	s_or_b64 exec, exec, s[12:13]
	v_mov_b32_e32 v73, 0
	ds_read_b64 v[73:74], v73 offset:16
	s_waitcnt lgkmcnt(0)
	v_mul_f32_e32 v75, v69, v74
	v_mul_f32_e32 v74, v70, v74
	v_fma_f32 v70, v70, v73, -v75
	v_fmac_f32_e32 v74, v69, v73
	buffer_store_dword v70, off, s[0:3], 0 offset:16
	buffer_store_dword v74, off, s[0:3], 0 offset:20
.LBB33_23:
	s_or_b64 exec, exec, s[8:9]
	; wave barrier
	buffer_load_dword v69, off, s[0:3], 0 offset:24
	buffer_load_dword v70, off, s[0:3], 0 offset:28
	v_cmp_gt_u32_e32 vcc, 3, v0
	s_waitcnt vmcnt(0)
	ds_write_b64 v72, v[69:70]
	v_add_u32_e32 v69, -1, v0
	s_waitcnt lgkmcnt(0)
	; wave barrier
	s_and_saveexec_b64 s[4:5], vcc
	s_cbranch_execz .LBB33_27
; %bb.24:
	v_add_u32_e32 v73, -1, v0
	v_add_u32_e32 v74, 0x110, v71
	v_mov_b32_e32 v75, v71
	v_mov_b32_e32 v70, 0
	s_mov_b64 s[8:9], 0
	v_mov_b32_e32 v76, 0
.LBB33_25:                              ; =>This Inner Loop Header: Depth=1
	buffer_load_dword v79, v75, s[0:3], 0 offen offset:4
	buffer_load_dword v80, v75, s[0:3], 0 offen
	ds_read_b64 v[77:78], v74
	v_add_u32_e32 v73, 1, v73
	v_cmp_lt_u32_e32 vcc, 1, v73
	v_add_u32_e32 v74, 8, v74
	v_add_u32_e32 v75, 8, v75
	s_or_b64 s[8:9], vcc, s[8:9]
	s_waitcnt vmcnt(1) lgkmcnt(0)
	v_mul_f32_e32 v81, v78, v79
	v_mul_f32_e32 v79, v77, v79
	s_waitcnt vmcnt(0)
	v_fma_f32 v77, v77, v80, -v81
	v_fmac_f32_e32 v79, v78, v80
	v_add_f32_e32 v76, v76, v77
	v_add_f32_e32 v70, v70, v79
	s_andn2_b64 exec, exec, s[8:9]
	s_cbranch_execnz .LBB33_25
; %bb.26:
	s_or_b64 exec, exec, s[8:9]
	v_mov_b32_e32 v73, 0
	ds_read_b64 v[73:74], v73 offset:24
	s_waitcnt lgkmcnt(0)
	v_mul_f32_e32 v75, v70, v74
	v_mul_f32_e32 v74, v76, v74
	v_fma_f32 v75, v76, v73, -v75
	v_fmac_f32_e32 v74, v70, v73
	buffer_store_dword v75, off, s[0:3], 0 offset:24
	buffer_store_dword v74, off, s[0:3], 0 offset:28
.LBB33_27:
	s_or_b64 exec, exec, s[4:5]
	; wave barrier
	buffer_load_dword v73, off, s[0:3], 0 offset:32
	buffer_load_dword v74, off, s[0:3], 0 offset:36
	v_cmp_gt_u32_e32 vcc, 4, v0
	s_waitcnt vmcnt(0)
	ds_write_b64 v72, v[73:74]
	s_waitcnt lgkmcnt(0)
	; wave barrier
	s_and_saveexec_b64 s[4:5], vcc
	s_cbranch_execz .LBB33_31
; %bb.28:
	v_add_u32_e32 v73, -1, v0
	v_add_u32_e32 v74, 0x110, v71
	v_mov_b32_e32 v75, v71
	v_mov_b32_e32 v70, 0
	s_mov_b64 s[8:9], 0
	v_mov_b32_e32 v76, 0
.LBB33_29:                              ; =>This Inner Loop Header: Depth=1
	buffer_load_dword v79, v75, s[0:3], 0 offen offset:4
	buffer_load_dword v80, v75, s[0:3], 0 offen
	ds_read_b64 v[77:78], v74
	v_add_u32_e32 v73, 1, v73
	v_cmp_lt_u32_e32 vcc, 2, v73
	v_add_u32_e32 v74, 8, v74
	v_add_u32_e32 v75, 8, v75
	s_or_b64 s[8:9], vcc, s[8:9]
	s_waitcnt vmcnt(1) lgkmcnt(0)
	v_mul_f32_e32 v81, v78, v79
	v_mul_f32_e32 v79, v77, v79
	s_waitcnt vmcnt(0)
	v_fma_f32 v77, v77, v80, -v81
	v_fmac_f32_e32 v79, v78, v80
	v_add_f32_e32 v76, v76, v77
	v_add_f32_e32 v70, v70, v79
	s_andn2_b64 exec, exec, s[8:9]
	s_cbranch_execnz .LBB33_29
; %bb.30:
	s_or_b64 exec, exec, s[8:9]
	v_mov_b32_e32 v73, 0
	ds_read_b64 v[73:74], v73 offset:32
	s_waitcnt lgkmcnt(0)
	v_mul_f32_e32 v75, v70, v74
	v_mul_f32_e32 v74, v76, v74
	v_fma_f32 v75, v76, v73, -v75
	v_fmac_f32_e32 v74, v70, v73
	buffer_store_dword v75, off, s[0:3], 0 offset:32
	buffer_store_dword v74, off, s[0:3], 0 offset:36
.LBB33_31:
	s_or_b64 exec, exec, s[4:5]
	; wave barrier
	buffer_load_dword v73, off, s[0:3], 0 offset:40
	buffer_load_dword v74, off, s[0:3], 0 offset:44
	v_cmp_gt_u32_e32 vcc, 5, v0
	s_waitcnt vmcnt(0)
	ds_write_b64 v72, v[73:74]
	;; [unrolled: 49-line block ×19, first 2 shown]
	s_waitcnt lgkmcnt(0)
	; wave barrier
	s_and_saveexec_b64 s[4:5], vcc
	s_cbranch_execz .LBB33_103
; %bb.100:
	v_add_u32_e32 v73, -1, v0
	v_add_u32_e32 v74, 0x110, v71
	v_mov_b32_e32 v75, v71
	v_mov_b32_e32 v70, 0
	s_mov_b64 s[8:9], 0
	v_mov_b32_e32 v76, 0
.LBB33_101:                             ; =>This Inner Loop Header: Depth=1
	buffer_load_dword v79, v75, s[0:3], 0 offen offset:4
	buffer_load_dword v80, v75, s[0:3], 0 offen
	ds_read_b64 v[77:78], v74
	v_add_u32_e32 v73, 1, v73
	v_cmp_lt_u32_e32 vcc, 20, v73
	v_add_u32_e32 v74, 8, v74
	v_add_u32_e32 v75, 8, v75
	s_or_b64 s[8:9], vcc, s[8:9]
	s_waitcnt vmcnt(1) lgkmcnt(0)
	v_mul_f32_e32 v81, v78, v79
	v_mul_f32_e32 v79, v77, v79
	s_waitcnt vmcnt(0)
	v_fma_f32 v77, v77, v80, -v81
	v_fmac_f32_e32 v79, v78, v80
	v_add_f32_e32 v76, v76, v77
	v_add_f32_e32 v70, v70, v79
	s_andn2_b64 exec, exec, s[8:9]
	s_cbranch_execnz .LBB33_101
; %bb.102:
	s_or_b64 exec, exec, s[8:9]
	v_mov_b32_e32 v73, 0
	ds_read_b64 v[73:74], v73 offset:176
	s_waitcnt lgkmcnt(0)
	v_mul_f32_e32 v75, v70, v74
	v_mul_f32_e32 v74, v76, v74
	v_fma_f32 v75, v76, v73, -v75
	v_fmac_f32_e32 v74, v70, v73
	buffer_store_dword v75, off, s[0:3], 0 offset:176
	buffer_store_dword v74, off, s[0:3], 0 offset:180
.LBB33_103:
	s_or_b64 exec, exec, s[4:5]
	; wave barrier
	buffer_load_dword v73, off, s[0:3], 0 offset:184
	buffer_load_dword v74, off, s[0:3], 0 offset:188
	v_cmp_gt_u32_e32 vcc, 23, v0
	s_waitcnt vmcnt(0)
	ds_write_b64 v72, v[73:74]
	s_waitcnt lgkmcnt(0)
	; wave barrier
	s_and_saveexec_b64 s[4:5], vcc
	s_cbranch_execz .LBB33_107
; %bb.104:
	v_add_u32_e32 v73, -1, v0
	v_add_u32_e32 v74, 0x110, v71
	v_mov_b32_e32 v75, v71
	v_mov_b32_e32 v70, 0
	s_mov_b64 s[8:9], 0
	v_mov_b32_e32 v76, 0
.LBB33_105:                             ; =>This Inner Loop Header: Depth=1
	buffer_load_dword v79, v75, s[0:3], 0 offen offset:4
	buffer_load_dword v80, v75, s[0:3], 0 offen
	ds_read_b64 v[77:78], v74
	v_add_u32_e32 v73, 1, v73
	v_cmp_lt_u32_e32 vcc, 21, v73
	v_add_u32_e32 v74, 8, v74
	v_add_u32_e32 v75, 8, v75
	s_or_b64 s[8:9], vcc, s[8:9]
	s_waitcnt vmcnt(1) lgkmcnt(0)
	v_mul_f32_e32 v81, v78, v79
	v_mul_f32_e32 v79, v77, v79
	s_waitcnt vmcnt(0)
	v_fma_f32 v77, v77, v80, -v81
	v_fmac_f32_e32 v79, v78, v80
	v_add_f32_e32 v76, v76, v77
	v_add_f32_e32 v70, v70, v79
	s_andn2_b64 exec, exec, s[8:9]
	s_cbranch_execnz .LBB33_105
; %bb.106:
	s_or_b64 exec, exec, s[8:9]
	v_mov_b32_e32 v73, 0
	ds_read_b64 v[73:74], v73 offset:184
	s_waitcnt lgkmcnt(0)
	v_mul_f32_e32 v75, v70, v74
	v_mul_f32_e32 v74, v76, v74
	v_fma_f32 v75, v76, v73, -v75
	v_fmac_f32_e32 v74, v70, v73
	buffer_store_dword v75, off, s[0:3], 0 offset:184
	buffer_store_dword v74, off, s[0:3], 0 offset:188
.LBB33_107:
	s_or_b64 exec, exec, s[4:5]
	; wave barrier
	buffer_load_dword v73, off, s[0:3], 0 offset:192
	buffer_load_dword v74, off, s[0:3], 0 offset:196
	v_cmp_gt_u32_e32 vcc, 24, v0
	s_waitcnt vmcnt(0)
	ds_write_b64 v72, v[73:74]
	;; [unrolled: 49-line block ×10, first 2 shown]
	s_waitcnt lgkmcnt(0)
	; wave barrier
	s_and_saveexec_b64 s[4:5], vcc
	s_cbranch_execz .LBB33_143
; %bb.140:
	v_add_u32_e32 v73, -1, v0
	v_add_u32_e32 v74, 0x110, v71
	v_mov_b32_e32 v75, v71
	v_mov_b32_e32 v70, 0
	s_mov_b64 s[8:9], 0
	v_mov_b32_e32 v76, 0
.LBB33_141:                             ; =>This Inner Loop Header: Depth=1
	buffer_load_dword v79, v75, s[0:3], 0 offen offset:4
	buffer_load_dword v80, v75, s[0:3], 0 offen
	ds_read_b64 v[77:78], v74
	v_add_u32_e32 v73, 1, v73
	v_cmp_lt_u32_e32 vcc, 30, v73
	v_add_u32_e32 v74, 8, v74
	v_add_u32_e32 v75, 8, v75
	s_or_b64 s[8:9], vcc, s[8:9]
	s_waitcnt vmcnt(1) lgkmcnt(0)
	v_mul_f32_e32 v81, v78, v79
	v_mul_f32_e32 v79, v77, v79
	s_waitcnt vmcnt(0)
	v_fma_f32 v77, v77, v80, -v81
	v_fmac_f32_e32 v79, v78, v80
	v_add_f32_e32 v76, v76, v77
	v_add_f32_e32 v70, v70, v79
	s_andn2_b64 exec, exec, s[8:9]
	s_cbranch_execnz .LBB33_141
; %bb.142:
	s_or_b64 exec, exec, s[8:9]
	v_mov_b32_e32 v73, 0
	ds_read_b64 v[73:74], v73 offset:256
	s_waitcnt lgkmcnt(0)
	v_mul_f32_e32 v75, v70, v74
	v_mul_f32_e32 v74, v76, v74
	v_fma_f32 v75, v76, v73, -v75
	v_fmac_f32_e32 v74, v70, v73
	buffer_store_dword v75, off, s[0:3], 0 offset:256
	buffer_store_dword v74, off, s[0:3], 0 offset:260
.LBB33_143:
	s_or_b64 exec, exec, s[4:5]
	; wave barrier
	buffer_load_dword v73, off, s[0:3], 0 offset:264
	buffer_load_dword v74, off, s[0:3], 0 offset:268
	v_cmp_ne_u32_e32 vcc, 33, v0
	s_waitcnt vmcnt(0)
	ds_write_b64 v72, v[73:74]
	s_waitcnt lgkmcnt(0)
	; wave barrier
	s_and_saveexec_b64 s[4:5], vcc
	s_cbranch_execz .LBB33_147
; %bb.144:
	v_add_u32_e32 v72, 0x110, v71
	v_mov_b32_e32 v70, 0
	s_mov_b64 s[8:9], 0
	v_mov_b32_e32 v73, 0
.LBB33_145:                             ; =>This Inner Loop Header: Depth=1
	buffer_load_dword v76, v71, s[0:3], 0 offen offset:4
	buffer_load_dword v77, v71, s[0:3], 0 offen
	ds_read_b64 v[74:75], v72
	v_add_u32_e32 v69, 1, v69
	v_cmp_lt_u32_e32 vcc, 31, v69
	v_add_u32_e32 v72, 8, v72
	v_add_u32_e32 v71, 8, v71
	s_or_b64 s[8:9], vcc, s[8:9]
	s_waitcnt vmcnt(1) lgkmcnt(0)
	v_mul_f32_e32 v78, v75, v76
	v_mul_f32_e32 v76, v74, v76
	s_waitcnt vmcnt(0)
	v_fma_f32 v74, v74, v77, -v78
	v_fmac_f32_e32 v76, v75, v77
	v_add_f32_e32 v73, v73, v74
	v_add_f32_e32 v70, v70, v76
	s_andn2_b64 exec, exec, s[8:9]
	s_cbranch_execnz .LBB33_145
; %bb.146:
	s_or_b64 exec, exec, s[8:9]
	v_mov_b32_e32 v69, 0
	ds_read_b64 v[71:72], v69 offset:264
	s_waitcnt lgkmcnt(0)
	v_mul_f32_e32 v69, v70, v72
	v_mul_f32_e32 v72, v73, v72
	v_fma_f32 v69, v73, v71, -v69
	v_fmac_f32_e32 v72, v70, v71
	buffer_store_dword v69, off, s[0:3], 0 offset:264
	buffer_store_dword v72, off, s[0:3], 0 offset:268
.LBB33_147:
	s_or_b64 exec, exec, s[4:5]
	s_mov_b64 s[8:9], -1
	; wave barrier
.LBB33_148:
	s_and_b64 vcc, exec, s[8:9]
	s_cbranch_vccz .LBB33_150
; %bb.149:
	s_lshl_b64 s[4:5], s[6:7], 2
	s_add_u32 s4, s10, s4
	s_addc_u32 s5, s11, s5
	v_mov_b32_e32 v69, 0
	global_load_dword v69, v69, s[4:5]
	s_waitcnt vmcnt(0)
	v_cmp_ne_u32_e32 vcc, 0, v69
	s_cbranch_vccz .LBB33_151
.LBB33_150:
	s_endpgm
.LBB33_151:
	v_mov_b32_e32 v69, 0x110
	v_lshl_add_u32 v69, v0, 3, v69
	v_cmp_eq_u32_e32 vcc, 33, v0
	s_and_saveexec_b64 s[4:5], vcc
	s_cbranch_execz .LBB33_153
; %bb.152:
	buffer_load_dword v70, off, s[0:3], 0 offset:256
	buffer_load_dword v71, off, s[0:3], 0 offset:260
	v_mov_b32_e32 v72, 0
	buffer_store_dword v72, off, s[0:3], 0 offset:256
	buffer_store_dword v72, off, s[0:3], 0 offset:260
	s_waitcnt vmcnt(2)
	ds_write_b64 v69, v[70:71]
.LBB33_153:
	s_or_b64 exec, exec, s[4:5]
	s_waitcnt lgkmcnt(0)
	; wave barrier
	buffer_load_dword v73, off, s[0:3], 0 offset:268
	buffer_load_dword v74, off, s[0:3], 0 offset:264
	;; [unrolled: 1-line block ×4, first 2 shown]
	v_mov_b32_e32 v70, 0
	ds_read_b64 v[71:72], v70 offset:536
	v_cmp_lt_u32_e32 vcc, 31, v0
	s_waitcnt vmcnt(3) lgkmcnt(0)
	v_mul_f32_e32 v77, v71, v73
	v_mul_f32_e32 v73, v72, v73
	s_waitcnt vmcnt(2)
	v_fma_f32 v71, v71, v74, -v73
	v_fmac_f32_e32 v77, v72, v74
	v_add_f32_e32 v71, 0, v71
	v_add_f32_e32 v72, 0, v77
	s_waitcnt vmcnt(1)
	v_sub_f32_e32 v71, v75, v71
	s_waitcnt vmcnt(0)
	v_sub_f32_e32 v72, v76, v72
	buffer_store_dword v71, off, s[0:3], 0 offset:256
	buffer_store_dword v72, off, s[0:3], 0 offset:260
	s_and_saveexec_b64 s[4:5], vcc
	s_cbranch_execz .LBB33_155
; %bb.154:
	buffer_load_dword v71, off, s[0:3], 0 offset:248
	buffer_load_dword v72, off, s[0:3], 0 offset:252
	s_waitcnt vmcnt(0)
	ds_write_b64 v69, v[71:72]
	buffer_store_dword v70, off, s[0:3], 0 offset:248
	buffer_store_dword v70, off, s[0:3], 0 offset:252
.LBB33_155:
	s_or_b64 exec, exec, s[4:5]
	s_waitcnt lgkmcnt(0)
	; wave barrier
	buffer_load_dword v74, off, s[0:3], 0 offset:260
	buffer_load_dword v75, off, s[0:3], 0 offset:268
	;; [unrolled: 1-line block ×6, first 2 shown]
	ds_read_b128 v[70:73], v70 offset:528
	v_cmp_lt_u32_e32 vcc, 30, v0
	s_waitcnt vmcnt(5) lgkmcnt(0)
	v_mul_f32_e32 v80, v70, v74
	v_mul_f32_e32 v74, v71, v74
	s_waitcnt vmcnt(4)
	v_mul_f32_e32 v81, v72, v75
	v_mul_f32_e32 v75, v73, v75
	s_waitcnt vmcnt(3)
	v_fma_f32 v70, v70, v76, -v74
	v_fmac_f32_e32 v80, v71, v76
	s_waitcnt vmcnt(2)
	v_fma_f32 v71, v72, v77, -v75
	v_add_f32_e32 v70, 0, v70
	v_fmac_f32_e32 v81, v73, v77
	v_add_f32_e32 v72, 0, v80
	v_add_f32_e32 v70, v70, v71
	;; [unrolled: 1-line block ×3, first 2 shown]
	s_waitcnt vmcnt(1)
	v_sub_f32_e32 v70, v78, v70
	s_waitcnt vmcnt(0)
	v_sub_f32_e32 v71, v79, v72
	buffer_store_dword v70, off, s[0:3], 0 offset:248
	buffer_store_dword v71, off, s[0:3], 0 offset:252
	s_and_saveexec_b64 s[4:5], vcc
	s_cbranch_execz .LBB33_157
; %bb.156:
	buffer_load_dword v70, off, s[0:3], 0 offset:240
	buffer_load_dword v71, off, s[0:3], 0 offset:244
	v_mov_b32_e32 v72, 0
	buffer_store_dword v72, off, s[0:3], 0 offset:240
	buffer_store_dword v72, off, s[0:3], 0 offset:244
	s_waitcnt vmcnt(2)
	ds_write_b64 v69, v[70:71]
.LBB33_157:
	s_or_b64 exec, exec, s[4:5]
	s_waitcnt lgkmcnt(0)
	; wave barrier
	buffer_load_dword v77, off, s[0:3], 0 offset:252
	buffer_load_dword v78, off, s[0:3], 0 offset:260
	;; [unrolled: 1-line block ×8, first 2 shown]
	v_mov_b32_e32 v70, 0
	ds_read2_b64 v[71:74], v70 offset0:65 offset1:66
	ds_read_b64 v[75:76], v70 offset:536
	v_cmp_lt_u32_e32 vcc, 29, v0
	s_waitcnt vmcnt(7) lgkmcnt(1)
	v_mul_f32_e32 v85, v71, v77
	v_mul_f32_e32 v77, v72, v77
	s_waitcnt vmcnt(6)
	v_mul_f32_e32 v86, v73, v78
	v_mul_f32_e32 v78, v74, v78
	s_waitcnt vmcnt(4)
	v_fma_f32 v71, v71, v80, -v77
	s_waitcnt lgkmcnt(0)
	v_mul_f32_e32 v87, v75, v79
	v_mul_f32_e32 v79, v76, v79
	v_fmac_f32_e32 v85, v72, v80
	s_waitcnt vmcnt(3)
	v_fma_f32 v72, v73, v81, -v78
	v_add_f32_e32 v71, 0, v71
	v_fmac_f32_e32 v86, v74, v81
	s_waitcnt vmcnt(2)
	v_fma_f32 v73, v75, v82, -v79
	v_add_f32_e32 v74, 0, v85
	v_add_f32_e32 v71, v71, v72
	v_fmac_f32_e32 v87, v76, v82
	v_add_f32_e32 v74, v74, v86
	v_add_f32_e32 v71, v71, v73
	;; [unrolled: 1-line block ×3, first 2 shown]
	s_waitcnt vmcnt(1)
	v_sub_f32_e32 v71, v83, v71
	s_waitcnt vmcnt(0)
	v_sub_f32_e32 v72, v84, v72
	buffer_store_dword v71, off, s[0:3], 0 offset:240
	buffer_store_dword v72, off, s[0:3], 0 offset:244
	s_and_saveexec_b64 s[4:5], vcc
	s_cbranch_execz .LBB33_159
; %bb.158:
	buffer_load_dword v71, off, s[0:3], 0 offset:232
	buffer_load_dword v72, off, s[0:3], 0 offset:236
	s_waitcnt vmcnt(0)
	ds_write_b64 v69, v[71:72]
	buffer_store_dword v70, off, s[0:3], 0 offset:232
	buffer_store_dword v70, off, s[0:3], 0 offset:236
.LBB33_159:
	s_or_b64 exec, exec, s[4:5]
	s_waitcnt lgkmcnt(0)
	; wave barrier
	buffer_load_dword v79, off, s[0:3], 0 offset:244
	buffer_load_dword v80, off, s[0:3], 0 offset:252
	;; [unrolled: 1-line block ×10, first 2 shown]
	ds_read_b128 v[71:74], v70 offset:512
	ds_read_b128 v[75:78], v70 offset:528
	v_cmp_lt_u32_e32 vcc, 28, v0
	s_waitcnt vmcnt(9) lgkmcnt(1)
	v_mul_f32_e32 v70, v71, v79
	v_mul_f32_e32 v79, v72, v79
	s_waitcnt vmcnt(8)
	v_mul_f32_e32 v89, v73, v80
	v_mul_f32_e32 v80, v74, v80
	s_waitcnt vmcnt(5)
	v_fma_f32 v71, v71, v83, -v79
	s_waitcnt lgkmcnt(0)
	v_mul_f32_e32 v90, v75, v81
	v_mul_f32_e32 v81, v76, v81
	v_fmac_f32_e32 v70, v72, v83
	s_waitcnt vmcnt(4)
	v_fma_f32 v72, v73, v84, -v80
	v_add_f32_e32 v71, 0, v71
	v_mul_f32_e32 v91, v77, v82
	v_mul_f32_e32 v82, v78, v82
	v_fmac_f32_e32 v89, v74, v84
	s_waitcnt vmcnt(3)
	v_fma_f32 v73, v75, v85, -v81
	v_add_f32_e32 v70, 0, v70
	v_add_f32_e32 v71, v71, v72
	v_fmac_f32_e32 v90, v76, v85
	s_waitcnt vmcnt(2)
	v_fma_f32 v74, v77, v86, -v82
	v_add_f32_e32 v70, v70, v89
	v_add_f32_e32 v71, v71, v73
	v_fmac_f32_e32 v91, v78, v86
	v_add_f32_e32 v70, v70, v90
	v_add_f32_e32 v71, v71, v74
	;; [unrolled: 1-line block ×3, first 2 shown]
	s_waitcnt vmcnt(1)
	v_sub_f32_e32 v71, v87, v71
	s_waitcnt vmcnt(0)
	v_sub_f32_e32 v70, v88, v70
	buffer_store_dword v71, off, s[0:3], 0 offset:232
	buffer_store_dword v70, off, s[0:3], 0 offset:236
	s_and_saveexec_b64 s[4:5], vcc
	s_cbranch_execz .LBB33_161
; %bb.160:
	buffer_load_dword v70, off, s[0:3], 0 offset:224
	buffer_load_dword v71, off, s[0:3], 0 offset:228
	v_mov_b32_e32 v72, 0
	buffer_store_dword v72, off, s[0:3], 0 offset:224
	buffer_store_dword v72, off, s[0:3], 0 offset:228
	s_waitcnt vmcnt(2)
	ds_write_b64 v69, v[70:71]
.LBB33_161:
	s_or_b64 exec, exec, s[4:5]
	s_waitcnt lgkmcnt(0)
	; wave barrier
	buffer_load_dword v81, off, s[0:3], 0 offset:236
	buffer_load_dword v82, off, s[0:3], 0 offset:244
	;; [unrolled: 1-line block ×12, first 2 shown]
	v_mov_b32_e32 v70, 0
	ds_read2_b64 v[71:74], v70 offset0:63 offset1:64
	ds_read2_b64 v[75:78], v70 offset0:65 offset1:66
	ds_read_b64 v[79:80], v70 offset:536
	v_cmp_lt_u32_e32 vcc, 27, v0
	s_waitcnt vmcnt(11) lgkmcnt(2)
	v_mul_f32_e32 v93, v71, v81
	v_mul_f32_e32 v81, v72, v81
	s_waitcnt vmcnt(10)
	v_mul_f32_e32 v94, v73, v82
	v_mul_f32_e32 v82, v74, v82
	s_waitcnt vmcnt(9) lgkmcnt(1)
	v_mul_f32_e32 v95, v75, v83
	s_waitcnt vmcnt(6)
	v_fma_f32 v71, v71, v86, -v81
	v_mul_f32_e32 v83, v76, v83
	v_fmac_f32_e32 v93, v72, v86
	s_waitcnt vmcnt(5)
	v_fma_f32 v72, v73, v87, -v82
	v_add_f32_e32 v71, 0, v71
	v_mul_f32_e32 v96, v77, v84
	v_mul_f32_e32 v84, v78, v84
	v_fmac_f32_e32 v94, v74, v87
	s_waitcnt vmcnt(4)
	v_fmac_f32_e32 v95, v76, v88
	v_fma_f32 v73, v75, v88, -v83
	v_add_f32_e32 v76, 0, v93
	v_add_f32_e32 v71, v71, v72
	s_waitcnt lgkmcnt(0)
	v_mul_f32_e32 v97, v79, v85
	v_mul_f32_e32 v85, v80, v85
	s_waitcnt vmcnt(3)
	v_fma_f32 v74, v77, v89, -v84
	v_add_f32_e32 v76, v76, v94
	v_add_f32_e32 v71, v71, v73
	v_fmac_f32_e32 v96, v78, v89
	s_waitcnt vmcnt(2)
	v_fma_f32 v75, v79, v90, -v85
	v_add_f32_e32 v72, v76, v95
	v_add_f32_e32 v71, v71, v74
	v_fmac_f32_e32 v97, v80, v90
	v_add_f32_e32 v72, v72, v96
	v_add_f32_e32 v71, v71, v75
	;; [unrolled: 1-line block ×3, first 2 shown]
	s_waitcnt vmcnt(1)
	v_sub_f32_e32 v71, v91, v71
	s_waitcnt vmcnt(0)
	v_sub_f32_e32 v72, v92, v72
	buffer_store_dword v71, off, s[0:3], 0 offset:224
	buffer_store_dword v72, off, s[0:3], 0 offset:228
	s_and_saveexec_b64 s[4:5], vcc
	s_cbranch_execz .LBB33_163
; %bb.162:
	buffer_load_dword v71, off, s[0:3], 0 offset:216
	buffer_load_dword v72, off, s[0:3], 0 offset:220
	s_waitcnt vmcnt(0)
	ds_write_b64 v69, v[71:72]
	buffer_store_dword v70, off, s[0:3], 0 offset:216
	buffer_store_dword v70, off, s[0:3], 0 offset:220
.LBB33_163:
	s_or_b64 exec, exec, s[4:5]
	s_waitcnt lgkmcnt(0)
	; wave barrier
	buffer_load_dword v83, off, s[0:3], 0 offset:228
	buffer_load_dword v84, off, s[0:3], 0 offset:236
	;; [unrolled: 1-line block ×14, first 2 shown]
	ds_read_b128 v[71:74], v70 offset:496
	ds_read_b128 v[75:78], v70 offset:512
	;; [unrolled: 1-line block ×3, first 2 shown]
	v_cmp_lt_u32_e32 vcc, 26, v0
	s_waitcnt vmcnt(13) lgkmcnt(2)
	v_mul_f32_e32 v70, v71, v83
	v_mul_f32_e32 v83, v72, v83
	s_waitcnt vmcnt(12)
	v_mul_f32_e32 v97, v73, v84
	v_mul_f32_e32 v84, v74, v84
	s_waitcnt vmcnt(11) lgkmcnt(1)
	v_mul_f32_e32 v98, v75, v85
	v_mul_f32_e32 v85, v76, v85
	s_waitcnt vmcnt(7)
	v_fma_f32 v71, v71, v89, -v83
	v_fmac_f32_e32 v70, v72, v89
	s_waitcnt vmcnt(6)
	v_fma_f32 v72, v73, v90, -v84
	v_add_f32_e32 v71, 0, v71
	v_mul_f32_e32 v99, v77, v86
	v_mul_f32_e32 v86, v78, v86
	v_fmac_f32_e32 v97, v74, v90
	s_waitcnt vmcnt(5)
	v_fma_f32 v73, v75, v91, -v85
	v_add_f32_e32 v70, 0, v70
	v_add_f32_e32 v71, v71, v72
	s_waitcnt lgkmcnt(0)
	v_mul_f32_e32 v100, v79, v87
	v_mul_f32_e32 v87, v80, v87
	v_fmac_f32_e32 v98, v76, v91
	s_waitcnt vmcnt(4)
	v_fma_f32 v74, v77, v92, -v86
	v_add_f32_e32 v70, v70, v97
	v_add_f32_e32 v71, v71, v73
	v_mul_f32_e32 v101, v81, v88
	v_mul_f32_e32 v88, v82, v88
	v_fmac_f32_e32 v99, v78, v92
	s_waitcnt vmcnt(3)
	v_fma_f32 v75, v79, v93, -v87
	v_add_f32_e32 v70, v70, v98
	v_add_f32_e32 v71, v71, v74
	v_fmac_f32_e32 v100, v80, v93
	s_waitcnt vmcnt(2)
	v_fma_f32 v76, v81, v94, -v88
	v_add_f32_e32 v70, v70, v99
	v_add_f32_e32 v71, v71, v75
	v_fmac_f32_e32 v101, v82, v94
	v_add_f32_e32 v70, v70, v100
	v_add_f32_e32 v71, v71, v76
	;; [unrolled: 1-line block ×3, first 2 shown]
	s_waitcnt vmcnt(1)
	v_sub_f32_e32 v71, v95, v71
	s_waitcnt vmcnt(0)
	v_sub_f32_e32 v70, v96, v70
	buffer_store_dword v71, off, s[0:3], 0 offset:216
	buffer_store_dword v70, off, s[0:3], 0 offset:220
	s_and_saveexec_b64 s[4:5], vcc
	s_cbranch_execz .LBB33_165
; %bb.164:
	buffer_load_dword v70, off, s[0:3], 0 offset:208
	buffer_load_dword v71, off, s[0:3], 0 offset:212
	v_mov_b32_e32 v72, 0
	buffer_store_dword v72, off, s[0:3], 0 offset:208
	buffer_store_dword v72, off, s[0:3], 0 offset:212
	s_waitcnt vmcnt(2)
	ds_write_b64 v69, v[70:71]
.LBB33_165:
	s_or_b64 exec, exec, s[4:5]
	s_waitcnt lgkmcnt(0)
	; wave barrier
	buffer_load_dword v85, off, s[0:3], 0 offset:220
	buffer_load_dword v86, off, s[0:3], 0 offset:228
	;; [unrolled: 1-line block ×16, first 2 shown]
	v_mov_b32_e32 v70, 0
	ds_read2_b64 v[71:74], v70 offset0:61 offset1:62
	ds_read2_b64 v[75:78], v70 offset0:63 offset1:64
	;; [unrolled: 1-line block ×3, first 2 shown]
	ds_read_b64 v[83:84], v70 offset:536
	v_cmp_lt_u32_e32 vcc, 25, v0
	s_waitcnt vmcnt(15) lgkmcnt(3)
	v_mul_f32_e32 v101, v71, v85
	v_mul_f32_e32 v85, v72, v85
	s_waitcnt vmcnt(14)
	v_mul_f32_e32 v102, v73, v86
	v_mul_f32_e32 v86, v74, v86
	s_waitcnt vmcnt(13) lgkmcnt(2)
	v_mul_f32_e32 v103, v75, v87
	s_waitcnt vmcnt(12)
	v_mul_f32_e32 v104, v77, v88
	v_mul_f32_e32 v87, v76, v87
	s_waitcnt vmcnt(8)
	v_fma_f32 v71, v71, v92, -v85
	v_fmac_f32_e32 v101, v72, v92
	s_waitcnt vmcnt(7)
	v_fma_f32 v72, v73, v93, -v86
	v_add_f32_e32 v71, 0, v71
	v_mul_f32_e32 v88, v78, v88
	v_fmac_f32_e32 v102, v74, v93
	s_waitcnt vmcnt(5)
	v_fmac_f32_e32 v104, v78, v95
	v_fma_f32 v73, v75, v94, -v87
	v_add_f32_e32 v78, 0, v101
	v_add_f32_e32 v71, v71, v72
	s_waitcnt lgkmcnt(1)
	v_mul_f32_e32 v105, v79, v89
	v_mul_f32_e32 v89, v80, v89
	v_fmac_f32_e32 v103, v76, v94
	v_fma_f32 v74, v77, v95, -v88
	v_add_f32_e32 v78, v78, v102
	v_add_f32_e32 v71, v71, v73
	v_mul_f32_e32 v106, v81, v90
	v_mul_f32_e32 v90, v82, v90
	s_waitcnt vmcnt(4)
	v_fma_f32 v75, v79, v96, -v89
	v_add_f32_e32 v72, v78, v103
	v_add_f32_e32 v71, v71, v74
	s_waitcnt lgkmcnt(0)
	v_mul_f32_e32 v107, v83, v91
	v_mul_f32_e32 v91, v84, v91
	v_fmac_f32_e32 v105, v80, v96
	s_waitcnt vmcnt(3)
	v_fma_f32 v76, v81, v97, -v90
	v_add_f32_e32 v72, v72, v104
	v_add_f32_e32 v71, v71, v75
	v_fmac_f32_e32 v106, v82, v97
	s_waitcnt vmcnt(2)
	v_fma_f32 v77, v83, v98, -v91
	v_add_f32_e32 v72, v72, v105
	v_add_f32_e32 v71, v71, v76
	v_fmac_f32_e32 v107, v84, v98
	v_add_f32_e32 v72, v72, v106
	v_add_f32_e32 v71, v71, v77
	;; [unrolled: 1-line block ×3, first 2 shown]
	s_waitcnt vmcnt(1)
	v_sub_f32_e32 v71, v99, v71
	s_waitcnt vmcnt(0)
	v_sub_f32_e32 v72, v100, v72
	buffer_store_dword v71, off, s[0:3], 0 offset:208
	buffer_store_dword v72, off, s[0:3], 0 offset:212
	s_and_saveexec_b64 s[4:5], vcc
	s_cbranch_execz .LBB33_167
; %bb.166:
	buffer_load_dword v71, off, s[0:3], 0 offset:200
	buffer_load_dword v72, off, s[0:3], 0 offset:204
	s_waitcnt vmcnt(0)
	ds_write_b64 v69, v[71:72]
	buffer_store_dword v70, off, s[0:3], 0 offset:200
	buffer_store_dword v70, off, s[0:3], 0 offset:204
.LBB33_167:
	s_or_b64 exec, exec, s[4:5]
	s_waitcnt lgkmcnt(0)
	; wave barrier
	buffer_load_dword v87, off, s[0:3], 0 offset:212
	buffer_load_dword v88, off, s[0:3], 0 offset:220
	;; [unrolled: 1-line block ×18, first 2 shown]
	ds_read_b128 v[71:74], v70 offset:480
	ds_read_b128 v[75:78], v70 offset:496
	;; [unrolled: 1-line block ×4, first 2 shown]
	v_cmp_lt_u32_e32 vcc, 24, v0
	s_waitcnt vmcnt(17) lgkmcnt(3)
	v_mul_f32_e32 v70, v71, v87
	v_mul_f32_e32 v87, v72, v87
	s_waitcnt vmcnt(16)
	v_mul_f32_e32 v105, v73, v88
	v_mul_f32_e32 v88, v74, v88
	s_waitcnt vmcnt(15) lgkmcnt(2)
	v_mul_f32_e32 v106, v75, v89
	v_mul_f32_e32 v89, v76, v89
	s_waitcnt vmcnt(14)
	v_mul_f32_e32 v107, v77, v90
	v_mul_f32_e32 v90, v78, v90
	s_waitcnt vmcnt(9)
	v_fma_f32 v71, v71, v95, -v87
	v_fmac_f32_e32 v70, v72, v95
	s_waitcnt vmcnt(8)
	v_fma_f32 v72, v73, v96, -v88
	v_add_f32_e32 v71, 0, v71
	v_fmac_f32_e32 v105, v74, v96
	s_waitcnt vmcnt(7)
	v_fma_f32 v73, v75, v97, -v89
	v_add_f32_e32 v70, 0, v70
	v_add_f32_e32 v71, v71, v72
	s_waitcnt lgkmcnt(1)
	v_mul_f32_e32 v108, v79, v91
	v_mul_f32_e32 v91, v80, v91
	v_fmac_f32_e32 v106, v76, v97
	s_waitcnt vmcnt(6)
	v_fma_f32 v74, v77, v98, -v90
	v_add_f32_e32 v70, v70, v105
	v_add_f32_e32 v71, v71, v73
	v_mul_f32_e32 v109, v81, v92
	v_mul_f32_e32 v92, v82, v92
	v_fmac_f32_e32 v107, v78, v98
	s_waitcnt vmcnt(5)
	v_fma_f32 v75, v79, v99, -v91
	v_add_f32_e32 v70, v70, v106
	v_add_f32_e32 v71, v71, v74
	s_waitcnt lgkmcnt(0)
	v_mul_f32_e32 v110, v83, v93
	v_mul_f32_e32 v93, v84, v93
	v_fmac_f32_e32 v108, v80, v99
	s_waitcnt vmcnt(4)
	v_fma_f32 v76, v81, v100, -v92
	v_add_f32_e32 v70, v70, v107
	v_add_f32_e32 v71, v71, v75
	v_mul_f32_e32 v111, v85, v94
	v_mul_f32_e32 v94, v86, v94
	v_fmac_f32_e32 v109, v82, v100
	s_waitcnt vmcnt(3)
	v_fma_f32 v77, v83, v101, -v93
	v_add_f32_e32 v70, v70, v108
	v_add_f32_e32 v71, v71, v76
	v_fmac_f32_e32 v110, v84, v101
	s_waitcnt vmcnt(2)
	v_fma_f32 v78, v85, v102, -v94
	v_add_f32_e32 v70, v70, v109
	v_add_f32_e32 v71, v71, v77
	v_fmac_f32_e32 v111, v86, v102
	v_add_f32_e32 v70, v70, v110
	v_add_f32_e32 v71, v71, v78
	;; [unrolled: 1-line block ×3, first 2 shown]
	s_waitcnt vmcnt(1)
	v_sub_f32_e32 v71, v103, v71
	s_waitcnt vmcnt(0)
	v_sub_f32_e32 v70, v104, v70
	buffer_store_dword v71, off, s[0:3], 0 offset:200
	buffer_store_dword v70, off, s[0:3], 0 offset:204
	s_and_saveexec_b64 s[4:5], vcc
	s_cbranch_execz .LBB33_169
; %bb.168:
	buffer_load_dword v70, off, s[0:3], 0 offset:192
	buffer_load_dword v71, off, s[0:3], 0 offset:196
	v_mov_b32_e32 v72, 0
	buffer_store_dword v72, off, s[0:3], 0 offset:192
	buffer_store_dword v72, off, s[0:3], 0 offset:196
	s_waitcnt vmcnt(2)
	ds_write_b64 v69, v[70:71]
.LBB33_169:
	s_or_b64 exec, exec, s[4:5]
	s_waitcnt lgkmcnt(0)
	; wave barrier
	buffer_load_dword v89, off, s[0:3], 0 offset:204
	buffer_load_dword v90, off, s[0:3], 0 offset:212
	;; [unrolled: 1-line block ×20, first 2 shown]
	v_mov_b32_e32 v70, 0
	ds_read2_b64 v[71:74], v70 offset0:59 offset1:60
	ds_read2_b64 v[75:78], v70 offset0:61 offset1:62
	;; [unrolled: 1-line block ×4, first 2 shown]
	ds_read_b64 v[87:88], v70 offset:536
	v_cmp_lt_u32_e32 vcc, 23, v0
	s_waitcnt vmcnt(19) lgkmcnt(4)
	v_mul_f32_e32 v109, v71, v89
	v_mul_f32_e32 v89, v72, v89
	s_waitcnt vmcnt(18)
	v_mul_f32_e32 v110, v73, v90
	v_mul_f32_e32 v90, v74, v90
	s_waitcnt vmcnt(17) lgkmcnt(3)
	v_mul_f32_e32 v111, v75, v91
	s_waitcnt vmcnt(15) lgkmcnt(2)
	v_mul_f32_e32 v113, v79, v93
	v_mul_f32_e32 v91, v76, v91
	;; [unrolled: 1-line block ×4, first 2 shown]
	s_waitcnt vmcnt(10)
	v_fma_f32 v71, v71, v98, -v89
	v_fmac_f32_e32 v109, v72, v98
	s_waitcnt vmcnt(9)
	v_fma_f32 v72, v73, v99, -v90
	v_add_f32_e32 v71, 0, v71
	v_mul_f32_e32 v93, v80, v93
	v_fmac_f32_e32 v110, v74, v99
	s_waitcnt vmcnt(6)
	v_fmac_f32_e32 v113, v80, v102
	v_fma_f32 v73, v75, v100, -v91
	v_add_f32_e32 v80, 0, v109
	v_add_f32_e32 v71, v71, v72
	v_fmac_f32_e32 v111, v76, v100
	v_fma_f32 v74, v77, v101, -v92
	v_add_f32_e32 v80, v80, v110
	v_add_f32_e32 v71, v71, v73
	v_mul_f32_e32 v114, v81, v94
	v_mul_f32_e32 v94, v82, v94
	v_fmac_f32_e32 v112, v78, v101
	v_fma_f32 v75, v79, v102, -v93
	v_add_f32_e32 v72, v80, v111
	v_add_f32_e32 v71, v71, v74
	s_waitcnt lgkmcnt(1)
	v_mul_f32_e32 v115, v83, v95
	v_mul_f32_e32 v95, v84, v95
	s_waitcnt vmcnt(5)
	v_fma_f32 v76, v81, v103, -v94
	v_add_f32_e32 v72, v72, v112
	v_add_f32_e32 v71, v71, v75
	v_mul_f32_e32 v116, v85, v96
	v_mul_f32_e32 v96, v86, v96
	v_fmac_f32_e32 v114, v82, v103
	s_waitcnt vmcnt(4)
	v_fma_f32 v77, v83, v104, -v95
	v_add_f32_e32 v72, v72, v113
	v_add_f32_e32 v71, v71, v76
	s_waitcnt lgkmcnt(0)
	v_mul_f32_e32 v117, v87, v97
	v_mul_f32_e32 v97, v88, v97
	v_fmac_f32_e32 v115, v84, v104
	s_waitcnt vmcnt(3)
	v_fma_f32 v78, v85, v105, -v96
	v_add_f32_e32 v72, v72, v114
	v_add_f32_e32 v71, v71, v77
	v_fmac_f32_e32 v116, v86, v105
	s_waitcnt vmcnt(2)
	v_fma_f32 v79, v87, v106, -v97
	v_add_f32_e32 v72, v72, v115
	v_add_f32_e32 v71, v71, v78
	v_fmac_f32_e32 v117, v88, v106
	v_add_f32_e32 v72, v72, v116
	v_add_f32_e32 v71, v71, v79
	;; [unrolled: 1-line block ×3, first 2 shown]
	s_waitcnt vmcnt(1)
	v_sub_f32_e32 v71, v107, v71
	s_waitcnt vmcnt(0)
	v_sub_f32_e32 v72, v108, v72
	buffer_store_dword v71, off, s[0:3], 0 offset:192
	buffer_store_dword v72, off, s[0:3], 0 offset:196
	s_and_saveexec_b64 s[4:5], vcc
	s_cbranch_execz .LBB33_171
; %bb.170:
	buffer_load_dword v71, off, s[0:3], 0 offset:184
	buffer_load_dword v72, off, s[0:3], 0 offset:188
	s_waitcnt vmcnt(0)
	ds_write_b64 v69, v[71:72]
	buffer_store_dword v70, off, s[0:3], 0 offset:184
	buffer_store_dword v70, off, s[0:3], 0 offset:188
.LBB33_171:
	s_or_b64 exec, exec, s[4:5]
	s_waitcnt lgkmcnt(0)
	; wave barrier
	buffer_load_dword v91, off, s[0:3], 0 offset:196
	buffer_load_dword v92, off, s[0:3], 0 offset:204
	buffer_load_dword v93, off, s[0:3], 0 offset:212
	buffer_load_dword v94, off, s[0:3], 0 offset:220
	buffer_load_dword v95, off, s[0:3], 0 offset:228
	buffer_load_dword v96, off, s[0:3], 0 offset:236
	buffer_load_dword v97, off, s[0:3], 0 offset:244
	buffer_load_dword v98, off, s[0:3], 0 offset:252
	buffer_load_dword v99, off, s[0:3], 0 offset:260
	buffer_load_dword v100, off, s[0:3], 0 offset:268
	buffer_load_dword v101, off, s[0:3], 0 offset:192
	buffer_load_dword v102, off, s[0:3], 0 offset:200
	buffer_load_dword v103, off, s[0:3], 0 offset:208
	buffer_load_dword v104, off, s[0:3], 0 offset:216
	buffer_load_dword v105, off, s[0:3], 0 offset:224
	buffer_load_dword v106, off, s[0:3], 0 offset:232
	buffer_load_dword v107, off, s[0:3], 0 offset:240
	buffer_load_dword v108, off, s[0:3], 0 offset:248
	buffer_load_dword v109, off, s[0:3], 0 offset:256
	buffer_load_dword v110, off, s[0:3], 0 offset:264
	buffer_load_dword v111, off, s[0:3], 0 offset:184
	buffer_load_dword v112, off, s[0:3], 0 offset:188
	ds_read_b128 v[71:74], v70 offset:464
	ds_read_b128 v[75:78], v70 offset:480
	ds_read_b128 v[79:82], v70 offset:496
	ds_read_b128 v[83:86], v70 offset:512
	ds_read_b128 v[87:90], v70 offset:528
	v_cmp_lt_u32_e32 vcc, 22, v0
	s_waitcnt vmcnt(21) lgkmcnt(4)
	v_mul_f32_e32 v70, v71, v91
	v_mul_f32_e32 v91, v72, v91
	s_waitcnt vmcnt(20)
	v_mul_f32_e32 v113, v73, v92
	v_mul_f32_e32 v92, v74, v92
	s_waitcnt vmcnt(19) lgkmcnt(3)
	v_mul_f32_e32 v114, v75, v93
	v_mul_f32_e32 v93, v76, v93
	s_waitcnt vmcnt(18)
	v_mul_f32_e32 v115, v77, v94
	v_mul_f32_e32 v94, v78, v94
	s_waitcnt vmcnt(17) lgkmcnt(2)
	v_mul_f32_e32 v116, v79, v95
	v_mul_f32_e32 v95, v80, v95
	s_waitcnt vmcnt(11)
	v_fma_f32 v71, v71, v101, -v91
	v_fmac_f32_e32 v70, v72, v101
	s_waitcnt vmcnt(10)
	v_fma_f32 v72, v73, v102, -v92
	v_add_f32_e32 v71, 0, v71
	v_fmac_f32_e32 v113, v74, v102
	s_waitcnt vmcnt(9)
	v_fma_f32 v73, v75, v103, -v93
	v_add_f32_e32 v70, 0, v70
	v_add_f32_e32 v71, v71, v72
	v_fmac_f32_e32 v114, v76, v103
	s_waitcnt vmcnt(8)
	v_fma_f32 v74, v77, v104, -v94
	v_add_f32_e32 v70, v70, v113
	v_add_f32_e32 v71, v71, v73
	v_mul_f32_e32 v117, v81, v96
	v_mul_f32_e32 v96, v82, v96
	v_fmac_f32_e32 v115, v78, v104
	s_waitcnt vmcnt(7)
	v_fma_f32 v75, v79, v105, -v95
	v_add_f32_e32 v70, v70, v114
	v_add_f32_e32 v71, v71, v74
	s_waitcnt lgkmcnt(1)
	v_mul_f32_e32 v118, v83, v97
	v_mul_f32_e32 v97, v84, v97
	v_fmac_f32_e32 v116, v80, v105
	s_waitcnt vmcnt(6)
	v_fma_f32 v76, v81, v106, -v96
	v_add_f32_e32 v70, v70, v115
	v_add_f32_e32 v71, v71, v75
	v_mul_f32_e32 v119, v85, v98
	v_mul_f32_e32 v98, v86, v98
	v_fmac_f32_e32 v117, v82, v106
	s_waitcnt vmcnt(5)
	v_fma_f32 v77, v83, v107, -v97
	v_add_f32_e32 v70, v70, v116
	v_add_f32_e32 v71, v71, v76
	s_waitcnt lgkmcnt(0)
	v_mul_f32_e32 v120, v87, v99
	v_mul_f32_e32 v99, v88, v99
	v_fmac_f32_e32 v118, v84, v107
	s_waitcnt vmcnt(4)
	v_fma_f32 v78, v85, v108, -v98
	v_add_f32_e32 v70, v70, v117
	v_add_f32_e32 v71, v71, v77
	v_mul_f32_e32 v121, v89, v100
	v_mul_f32_e32 v100, v90, v100
	v_fmac_f32_e32 v119, v86, v108
	s_waitcnt vmcnt(3)
	v_fma_f32 v79, v87, v109, -v99
	v_add_f32_e32 v70, v70, v118
	v_add_f32_e32 v71, v71, v78
	v_fmac_f32_e32 v120, v88, v109
	s_waitcnt vmcnt(2)
	v_fma_f32 v80, v89, v110, -v100
	v_add_f32_e32 v70, v70, v119
	v_add_f32_e32 v71, v71, v79
	v_fmac_f32_e32 v121, v90, v110
	v_add_f32_e32 v70, v70, v120
	v_add_f32_e32 v71, v71, v80
	;; [unrolled: 1-line block ×3, first 2 shown]
	s_waitcnt vmcnt(1)
	v_sub_f32_e32 v71, v111, v71
	s_waitcnt vmcnt(0)
	v_sub_f32_e32 v70, v112, v70
	buffer_store_dword v71, off, s[0:3], 0 offset:184
	buffer_store_dword v70, off, s[0:3], 0 offset:188
	s_and_saveexec_b64 s[4:5], vcc
	s_cbranch_execz .LBB33_173
; %bb.172:
	buffer_load_dword v70, off, s[0:3], 0 offset:176
	buffer_load_dword v71, off, s[0:3], 0 offset:180
	v_mov_b32_e32 v72, 0
	buffer_store_dword v72, off, s[0:3], 0 offset:176
	buffer_store_dword v72, off, s[0:3], 0 offset:180
	s_waitcnt vmcnt(2)
	ds_write_b64 v69, v[70:71]
.LBB33_173:
	s_or_b64 exec, exec, s[4:5]
	v_mov_b32_e32 v70, 0
	s_waitcnt lgkmcnt(0)
	; wave barrier
	ds_read2_b64 v[71:74], v70 offset0:57 offset1:58
	buffer_load_dword v93, off, s[0:3], 0 offset:176
	buffer_load_dword v94, off, s[0:3], 0 offset:180
	;; [unrolled: 1-line block ×16, first 2 shown]
	v_cmp_lt_u32_e32 vcc, 21, v0
	s_waitcnt vmcnt(12) lgkmcnt(0)
	v_mul_f32_e32 v75, v71, v96
	v_fmac_f32_e32 v75, v72, v95
	s_waitcnt vmcnt(10)
	v_mul_f32_e32 v76, v73, v98
	v_add_f32_e32 v75, 0, v75
	v_fmac_f32_e32 v76, v74, v97
	v_add_f32_e32 v79, v75, v76
	ds_read2_b64 v[75:78], v70 offset0:59 offset1:60
	v_mul_f32_e32 v72, v72, v96
	v_fma_f32 v71, v71, v95, -v72
	v_mul_f32_e32 v72, v74, v98
	v_add_f32_e32 v71, 0, v71
	s_waitcnt vmcnt(8) lgkmcnt(0)
	v_mul_f32_e32 v80, v75, v100
	v_fmac_f32_e32 v80, v76, v99
	v_add_f32_e32 v79, v79, v80
	s_waitcnt vmcnt(6)
	v_mul_f32_e32 v80, v77, v102
	v_fmac_f32_e32 v80, v78, v101
	v_add_f32_e32 v83, v79, v80
	ds_read2_b64 v[79:82], v70 offset0:61 offset1:62
	v_fma_f32 v72, v73, v97, -v72
	v_add_f32_e32 v71, v71, v72
	v_mul_f32_e32 v72, v76, v100
	v_fma_f32 v72, v75, v99, -v72
	s_waitcnt vmcnt(4) lgkmcnt(0)
	v_mul_f32_e32 v84, v79, v104
	v_fmac_f32_e32 v84, v80, v103
	v_add_f32_e32 v83, v83, v84
	s_waitcnt vmcnt(2)
	v_mul_f32_e32 v84, v81, v106
	v_fmac_f32_e32 v84, v82, v105
	v_add_f32_e32 v87, v83, v84
	ds_read2_b64 v[83:86], v70 offset0:63 offset1:64
	buffer_load_dword v109, off, s[0:3], 0 offset:240
	buffer_load_dword v110, off, s[0:3], 0 offset:244
	v_add_f32_e32 v71, v71, v72
	v_mul_f32_e32 v72, v78, v102
	v_fma_f32 v72, v77, v101, -v72
	s_waitcnt vmcnt(2) lgkmcnt(0)
	v_mul_f32_e32 v88, v83, v108
	v_fmac_f32_e32 v88, v84, v107
	v_add_f32_e32 v87, v87, v88
	v_add_f32_e32 v71, v71, v72
	v_mul_f32_e32 v72, v80, v104
	v_fma_f32 v72, v79, v103, -v72
	v_add_f32_e32 v71, v71, v72
	v_mul_f32_e32 v72, v82, v106
	v_fma_f32 v72, v81, v105, -v72
	;; [unrolled: 3-line block ×3, first 2 shown]
	v_add_f32_e32 v71, v71, v72
	s_waitcnt vmcnt(0)
	v_mul_f32_e32 v88, v85, v110
	v_fmac_f32_e32 v88, v86, v109
	v_add_f32_e32 v91, v87, v88
	ds_read2_b64 v[87:90], v70 offset0:65 offset1:66
	buffer_load_dword v111, off, s[0:3], 0 offset:248
	buffer_load_dword v112, off, s[0:3], 0 offset:252
	;; [unrolled: 1-line block ×4, first 2 shown]
	v_mul_f32_e32 v72, v86, v110
	v_fma_f32 v72, v85, v109, -v72
	v_add_f32_e32 v71, v71, v72
	s_waitcnt vmcnt(2) lgkmcnt(0)
	v_mul_f32_e32 v92, v87, v112
	v_fmac_f32_e32 v92, v88, v111
	v_add_f32_e32 v91, v91, v92
	s_waitcnt vmcnt(0)
	v_mul_f32_e32 v92, v89, v114
	v_fmac_f32_e32 v92, v90, v113
	v_add_f32_e32 v115, v91, v92
	ds_read_b64 v[91:92], v70 offset:536
	buffer_load_dword v116, off, s[0:3], 0 offset:264
	buffer_load_dword v117, off, s[0:3], 0 offset:268
	v_mul_f32_e32 v72, v88, v112
	v_fma_f32 v72, v87, v111, -v72
	v_add_f32_e32 v71, v71, v72
	v_mul_f32_e32 v72, v90, v114
	v_fma_f32 v72, v89, v113, -v72
	v_add_f32_e32 v71, v71, v72
	s_waitcnt vmcnt(0) lgkmcnt(0)
	v_mul_f32_e32 v72, v92, v117
	v_mul_f32_e32 v118, v91, v117
	v_fma_f32 v72, v91, v116, -v72
	v_fmac_f32_e32 v118, v92, v116
	v_add_f32_e32 v71, v71, v72
	v_add_f32_e32 v115, v115, v118
	v_sub_f32_e32 v71, v93, v71
	v_sub_f32_e32 v72, v94, v115
	buffer_store_dword v71, off, s[0:3], 0 offset:176
	buffer_store_dword v72, off, s[0:3], 0 offset:180
	s_and_saveexec_b64 s[4:5], vcc
	s_cbranch_execz .LBB33_175
; %bb.174:
	buffer_load_dword v71, off, s[0:3], 0 offset:168
	buffer_load_dword v72, off, s[0:3], 0 offset:172
	s_waitcnt vmcnt(0)
	ds_write_b64 v69, v[71:72]
	buffer_store_dword v70, off, s[0:3], 0 offset:168
	buffer_store_dword v70, off, s[0:3], 0 offset:172
.LBB33_175:
	s_or_b64 exec, exec, s[4:5]
	s_waitcnt lgkmcnt(0)
	; wave barrier
	ds_read_b128 v[71:74], v70 offset:448
	ds_read_b128 v[75:78], v70 offset:464
	;; [unrolled: 1-line block ×4, first 2 shown]
	buffer_load_dword v95, off, s[0:3], 0 offset:168
	buffer_load_dword v96, off, s[0:3], 0 offset:172
	;; [unrolled: 1-line block ×18, first 2 shown]
	v_cmp_lt_u32_e32 vcc, 20, v0
	s_waitcnt vmcnt(14) lgkmcnt(3)
	v_mul_f32_e32 v87, v71, v98
	v_fmac_f32_e32 v87, v72, v97
	s_waitcnt vmcnt(12)
	v_mul_f32_e32 v88, v73, v100
	v_add_f32_e32 v87, 0, v87
	v_fmac_f32_e32 v88, v74, v99
	v_add_f32_e32 v87, v87, v88
	s_waitcnt vmcnt(10) lgkmcnt(2)
	v_mul_f32_e32 v88, v75, v102
	v_fmac_f32_e32 v88, v76, v101
	v_add_f32_e32 v87, v87, v88
	s_waitcnt vmcnt(8)
	v_mul_f32_e32 v88, v77, v104
	v_fmac_f32_e32 v88, v78, v103
	v_add_f32_e32 v87, v87, v88
	s_waitcnt vmcnt(6) lgkmcnt(1)
	v_mul_f32_e32 v88, v79, v106
	v_fmac_f32_e32 v88, v80, v105
	v_add_f32_e32 v87, v87, v88
	s_waitcnt vmcnt(4)
	v_mul_f32_e32 v88, v81, v108
	;; [unrolled: 8-line block ×3, first 2 shown]
	v_fmac_f32_e32 v88, v86, v111
	v_add_f32_e32 v91, v87, v88
	ds_read_b128 v[87:90], v70 offset:512
	buffer_load_dword v113, off, s[0:3], 0 offset:240
	buffer_load_dword v114, off, s[0:3], 0 offset:244
	;; [unrolled: 1-line block ×4, first 2 shown]
	v_mul_f32_e32 v72, v72, v98
	v_fma_f32 v71, v71, v97, -v72
	v_mul_f32_e32 v72, v74, v100
	v_add_f32_e32 v71, 0, v71
	v_fma_f32 v72, v73, v99, -v72
	v_add_f32_e32 v71, v71, v72
	v_mul_f32_e32 v72, v76, v102
	v_fma_f32 v72, v75, v101, -v72
	v_add_f32_e32 v71, v71, v72
	v_mul_f32_e32 v72, v78, v104
	;; [unrolled: 3-line block ×6, first 2 shown]
	v_fma_f32 v72, v85, v111, -v72
	v_add_f32_e32 v71, v71, v72
	s_waitcnt vmcnt(2) lgkmcnt(0)
	v_mul_f32_e32 v92, v87, v114
	v_fmac_f32_e32 v92, v88, v113
	v_add_f32_e32 v91, v91, v92
	s_waitcnt vmcnt(0)
	v_mul_f32_e32 v92, v89, v116
	v_fmac_f32_e32 v92, v90, v115
	v_add_f32_e32 v117, v91, v92
	ds_read_b128 v[91:94], v70 offset:528
	buffer_load_dword v70, off, s[0:3], 0 offset:256
	buffer_load_dword v118, off, s[0:3], 0 offset:260
	v_mul_f32_e32 v72, v88, v114
	v_fma_f32 v72, v87, v113, -v72
	v_add_f32_e32 v71, v71, v72
	v_mul_f32_e32 v72, v90, v116
	v_fma_f32 v72, v89, v115, -v72
	v_add_f32_e32 v71, v71, v72
	s_waitcnt vmcnt(0) lgkmcnt(0)
	v_mul_f32_e32 v119, v91, v118
	v_fmac_f32_e32 v119, v92, v70
	v_add_f32_e32 v117, v117, v119
	buffer_load_dword v119, off, s[0:3], 0 offset:264
	buffer_load_dword v120, off, s[0:3], 0 offset:268
	v_mul_f32_e32 v72, v92, v118
	v_fma_f32 v70, v91, v70, -v72
	v_add_f32_e32 v70, v71, v70
	s_waitcnt vmcnt(0)
	v_mul_f32_e32 v71, v94, v120
	v_mul_f32_e32 v121, v93, v120
	v_fma_f32 v71, v93, v119, -v71
	v_fmac_f32_e32 v121, v94, v119
	v_add_f32_e32 v70, v70, v71
	v_add_f32_e32 v117, v117, v121
	v_sub_f32_e32 v70, v95, v70
	v_sub_f32_e32 v71, v96, v117
	buffer_store_dword v70, off, s[0:3], 0 offset:168
	buffer_store_dword v71, off, s[0:3], 0 offset:172
	s_and_saveexec_b64 s[4:5], vcc
	s_cbranch_execz .LBB33_177
; %bb.176:
	buffer_load_dword v70, off, s[0:3], 0 offset:160
	buffer_load_dword v71, off, s[0:3], 0 offset:164
	v_mov_b32_e32 v72, 0
	buffer_store_dword v72, off, s[0:3], 0 offset:160
	buffer_store_dword v72, off, s[0:3], 0 offset:164
	s_waitcnt vmcnt(2)
	ds_write_b64 v69, v[70:71]
.LBB33_177:
	s_or_b64 exec, exec, s[4:5]
	v_mov_b32_e32 v70, 0
	s_waitcnt lgkmcnt(0)
	; wave barrier
	ds_read2_b64 v[71:74], v70 offset0:55 offset1:56
	buffer_load_dword v97, off, s[0:3], 0 offset:160
	buffer_load_dword v98, off, s[0:3], 0 offset:164
	;; [unrolled: 1-line block ×16, first 2 shown]
	v_cmp_lt_u32_e32 vcc, 19, v0
	s_waitcnt vmcnt(12) lgkmcnt(0)
	v_mul_f32_e32 v75, v71, v100
	v_fmac_f32_e32 v75, v72, v99
	s_waitcnt vmcnt(10)
	v_mul_f32_e32 v76, v73, v102
	v_add_f32_e32 v75, 0, v75
	v_fmac_f32_e32 v76, v74, v101
	v_add_f32_e32 v79, v75, v76
	ds_read2_b64 v[75:78], v70 offset0:57 offset1:58
	v_mul_f32_e32 v72, v72, v100
	v_fma_f32 v71, v71, v99, -v72
	v_mul_f32_e32 v72, v74, v102
	v_add_f32_e32 v71, 0, v71
	s_waitcnt vmcnt(8) lgkmcnt(0)
	v_mul_f32_e32 v80, v75, v104
	v_fmac_f32_e32 v80, v76, v103
	v_add_f32_e32 v79, v79, v80
	s_waitcnt vmcnt(6)
	v_mul_f32_e32 v80, v77, v106
	v_fmac_f32_e32 v80, v78, v105
	v_add_f32_e32 v83, v79, v80
	ds_read2_b64 v[79:82], v70 offset0:59 offset1:60
	v_fma_f32 v72, v73, v101, -v72
	v_add_f32_e32 v71, v71, v72
	v_mul_f32_e32 v72, v76, v104
	v_fma_f32 v72, v75, v103, -v72
	s_waitcnt vmcnt(4) lgkmcnt(0)
	v_mul_f32_e32 v84, v79, v108
	v_fmac_f32_e32 v84, v80, v107
	v_add_f32_e32 v83, v83, v84
	s_waitcnt vmcnt(2)
	v_mul_f32_e32 v84, v81, v110
	v_fmac_f32_e32 v84, v82, v109
	v_add_f32_e32 v87, v83, v84
	ds_read2_b64 v[83:86], v70 offset0:61 offset1:62
	buffer_load_dword v113, off, s[0:3], 0 offset:224
	buffer_load_dword v114, off, s[0:3], 0 offset:228
	v_add_f32_e32 v71, v71, v72
	v_mul_f32_e32 v72, v78, v106
	v_fma_f32 v72, v77, v105, -v72
	s_waitcnt vmcnt(2) lgkmcnt(0)
	v_mul_f32_e32 v88, v83, v112
	v_fmac_f32_e32 v88, v84, v111
	v_add_f32_e32 v87, v87, v88
	v_add_f32_e32 v71, v71, v72
	v_mul_f32_e32 v72, v80, v108
	v_fma_f32 v72, v79, v107, -v72
	v_add_f32_e32 v71, v71, v72
	v_mul_f32_e32 v72, v82, v110
	v_fma_f32 v72, v81, v109, -v72
	;; [unrolled: 3-line block ×3, first 2 shown]
	v_add_f32_e32 v71, v71, v72
	s_waitcnt vmcnt(0)
	v_mul_f32_e32 v88, v85, v114
	v_fmac_f32_e32 v88, v86, v113
	v_add_f32_e32 v91, v87, v88
	ds_read2_b64 v[87:90], v70 offset0:63 offset1:64
	buffer_load_dword v115, off, s[0:3], 0 offset:232
	buffer_load_dword v116, off, s[0:3], 0 offset:236
	buffer_load_dword v117, off, s[0:3], 0 offset:240
	buffer_load_dword v118, off, s[0:3], 0 offset:244
	v_mul_f32_e32 v72, v86, v114
	v_fma_f32 v72, v85, v113, -v72
	v_add_f32_e32 v71, v71, v72
	s_waitcnt vmcnt(2) lgkmcnt(0)
	v_mul_f32_e32 v92, v87, v116
	v_fmac_f32_e32 v92, v88, v115
	v_add_f32_e32 v91, v91, v92
	s_waitcnt vmcnt(0)
	v_mul_f32_e32 v92, v89, v118
	v_fmac_f32_e32 v92, v90, v117
	v_add_f32_e32 v95, v91, v92
	ds_read2_b64 v[91:94], v70 offset0:65 offset1:66
	buffer_load_dword v119, off, s[0:3], 0 offset:248
	buffer_load_dword v120, off, s[0:3], 0 offset:252
	;; [unrolled: 1-line block ×4, first 2 shown]
	v_mul_f32_e32 v72, v88, v116
	v_fma_f32 v72, v87, v115, -v72
	v_add_f32_e32 v71, v71, v72
	v_mul_f32_e32 v72, v90, v118
	v_fma_f32 v72, v89, v117, -v72
	v_add_f32_e32 v71, v71, v72
	s_waitcnt vmcnt(2) lgkmcnt(0)
	v_mul_f32_e32 v96, v91, v120
	v_fmac_f32_e32 v96, v92, v119
	v_add_f32_e32 v95, v95, v96
	s_waitcnt vmcnt(0)
	v_mul_f32_e32 v96, v93, v122
	v_fmac_f32_e32 v96, v94, v121
	v_add_f32_e32 v123, v95, v96
	ds_read_b64 v[95:96], v70 offset:536
	buffer_load_dword v124, off, s[0:3], 0 offset:264
	buffer_load_dword v125, off, s[0:3], 0 offset:268
	v_mul_f32_e32 v72, v92, v120
	v_fma_f32 v72, v91, v119, -v72
	v_add_f32_e32 v71, v71, v72
	v_mul_f32_e32 v72, v94, v122
	v_fma_f32 v72, v93, v121, -v72
	v_add_f32_e32 v71, v71, v72
	s_waitcnt vmcnt(0) lgkmcnt(0)
	v_mul_f32_e32 v72, v96, v125
	v_mul_f32_e32 v126, v95, v125
	v_fma_f32 v72, v95, v124, -v72
	v_fmac_f32_e32 v126, v96, v124
	v_add_f32_e32 v71, v71, v72
	v_add_f32_e32 v123, v123, v126
	v_sub_f32_e32 v71, v97, v71
	v_sub_f32_e32 v72, v98, v123
	buffer_store_dword v71, off, s[0:3], 0 offset:160
	buffer_store_dword v72, off, s[0:3], 0 offset:164
	s_and_saveexec_b64 s[4:5], vcc
	s_cbranch_execz .LBB33_179
; %bb.178:
	buffer_load_dword v71, off, s[0:3], 0 offset:152
	buffer_load_dword v72, off, s[0:3], 0 offset:156
	s_waitcnt vmcnt(0)
	ds_write_b64 v69, v[71:72]
	buffer_store_dword v70, off, s[0:3], 0 offset:152
	buffer_store_dword v70, off, s[0:3], 0 offset:156
.LBB33_179:
	s_or_b64 exec, exec, s[4:5]
	s_waitcnt lgkmcnt(0)
	; wave barrier
	buffer_load_dword v99, off, s[0:3], 0 offset:164
	buffer_load_dword v100, off, s[0:3], 0 offset:172
	;; [unrolled: 1-line block ×30, first 2 shown]
	ds_read_b128 v[71:74], v70 offset:432
	ds_read_b128 v[75:78], v70 offset:448
	ds_read_b128 v[79:82], v70 offset:464
	ds_read_b128 v[83:86], v70 offset:480
	ds_read_b128 v[87:90], v70 offset:496
	ds_read_b128 v[91:94], v70 offset:512
	ds_read_b128 v[95:98], v70 offset:528
	v_cmp_lt_u32_e32 vcc, 18, v0
	s_waitcnt vmcnt(29) lgkmcnt(6)
	v_mul_f32_e32 v70, v71, v99
	v_mul_f32_e32 v99, v72, v99
	s_waitcnt vmcnt(28)
	v_mul_f32_e32 v129, v73, v100
	v_mul_f32_e32 v100, v74, v100
	s_waitcnt vmcnt(27) lgkmcnt(5)
	v_mul_f32_e32 v130, v75, v101
	v_mul_f32_e32 v101, v76, v101
	s_waitcnt vmcnt(26)
	v_mul_f32_e32 v131, v77, v102
	v_mul_f32_e32 v102, v78, v102
	s_waitcnt vmcnt(25) lgkmcnt(4)
	v_mul_f32_e32 v132, v79, v103
	v_mul_f32_e32 v103, v80, v103
	s_waitcnt vmcnt(24)
	v_mul_f32_e32 v133, v81, v104
	s_waitcnt vmcnt(23) lgkmcnt(3)
	v_mul_f32_e32 v134, v83, v105
	s_waitcnt vmcnt(22)
	v_mul_f32_e32 v135, v85, v106
	s_waitcnt vmcnt(21) lgkmcnt(2)
	v_mul_f32_e32 v136, v87, v107
	s_waitcnt vmcnt(15)
	v_fma_f32 v71, v71, v113, -v99
	v_fmac_f32_e32 v70, v72, v113
	s_waitcnt vmcnt(14)
	v_fma_f32 v72, v73, v114, -v100
	v_add_f32_e32 v71, 0, v71
	s_waitcnt vmcnt(13)
	v_fma_f32 v73, v75, v115, -v101
	v_add_f32_e32 v71, v71, v72
	v_fmac_f32_e32 v129, v74, v114
	s_waitcnt vmcnt(12)
	v_fma_f32 v74, v77, v116, -v102
	v_add_f32_e32 v71, v71, v73
	s_waitcnt vmcnt(11)
	v_fma_f32 v75, v79, v117, -v103
	v_add_f32_e32 v71, v71, v74
	v_mul_f32_e32 v72, v82, v104
	v_add_f32_e32 v71, v71, v75
	s_waitcnt vmcnt(10)
	v_fma_f32 v72, v81, v118, -v72
	v_add_f32_e32 v71, v71, v72
	v_mul_f32_e32 v72, v84, v105
	s_waitcnt vmcnt(9)
	v_fma_f32 v72, v83, v119, -v72
	v_add_f32_e32 v71, v71, v72
	v_mul_f32_e32 v72, v86, v106
	s_waitcnt vmcnt(8)
	v_fma_f32 v72, v85, v120, -v72
	v_add_f32_e32 v70, 0, v70
	v_add_f32_e32 v71, v71, v72
	v_mul_f32_e32 v72, v88, v107
	v_fmac_f32_e32 v130, v76, v115
	v_add_f32_e32 v70, v70, v129
	s_waitcnt vmcnt(7)
	v_fma_f32 v72, v87, v121, -v72
	v_fmac_f32_e32 v131, v78, v116
	v_add_f32_e32 v70, v70, v130
	v_add_f32_e32 v71, v71, v72
	v_mul_f32_e32 v72, v90, v108
	v_fmac_f32_e32 v132, v80, v117
	v_add_f32_e32 v70, v70, v131
	s_waitcnt vmcnt(6)
	v_fma_f32 v72, v89, v122, -v72
	v_fmac_f32_e32 v133, v82, v118
	v_add_f32_e32 v70, v70, v132
	v_add_f32_e32 v71, v71, v72
	s_waitcnt lgkmcnt(1)
	v_mul_f32_e32 v72, v92, v109
	v_fmac_f32_e32 v134, v84, v119
	v_add_f32_e32 v70, v70, v133
	s_waitcnt vmcnt(5)
	v_fma_f32 v72, v91, v123, -v72
	v_fmac_f32_e32 v135, v86, v120
	v_add_f32_e32 v70, v70, v134
	v_add_f32_e32 v71, v71, v72
	v_mul_f32_e32 v72, v94, v110
	v_mul_f32_e32 v137, v89, v108
	v_fmac_f32_e32 v136, v88, v121
	v_add_f32_e32 v70, v70, v135
	s_waitcnt vmcnt(4)
	v_fma_f32 v72, v93, v124, -v72
	v_mul_f32_e32 v138, v91, v109
	v_fmac_f32_e32 v137, v90, v122
	v_add_f32_e32 v70, v70, v136
	v_add_f32_e32 v71, v71, v72
	s_waitcnt lgkmcnt(0)
	v_mul_f32_e32 v72, v96, v111
	v_mul_f32_e32 v139, v93, v110
	v_fmac_f32_e32 v138, v92, v123
	v_add_f32_e32 v70, v70, v137
	s_waitcnt vmcnt(3)
	v_fma_f32 v72, v95, v125, -v72
	v_mul_f32_e32 v140, v95, v111
	v_fmac_f32_e32 v139, v94, v124
	v_add_f32_e32 v70, v70, v138
	v_add_f32_e32 v71, v71, v72
	v_mul_f32_e32 v72, v98, v112
	v_mul_f32_e32 v141, v97, v112
	v_fmac_f32_e32 v140, v96, v125
	v_add_f32_e32 v70, v70, v139
	s_waitcnt vmcnt(2)
	v_fma_f32 v72, v97, v126, -v72
	v_fmac_f32_e32 v141, v98, v126
	v_add_f32_e32 v70, v70, v140
	v_add_f32_e32 v71, v71, v72
	;; [unrolled: 1-line block ×3, first 2 shown]
	s_waitcnt vmcnt(1)
	v_sub_f32_e32 v71, v127, v71
	s_waitcnt vmcnt(0)
	v_sub_f32_e32 v70, v128, v70
	buffer_store_dword v71, off, s[0:3], 0 offset:152
	buffer_store_dword v70, off, s[0:3], 0 offset:156
	s_and_saveexec_b64 s[4:5], vcc
	s_cbranch_execz .LBB33_181
; %bb.180:
	buffer_load_dword v70, off, s[0:3], 0 offset:144
	buffer_load_dword v71, off, s[0:3], 0 offset:148
	v_mov_b32_e32 v72, 0
	buffer_store_dword v72, off, s[0:3], 0 offset:144
	buffer_store_dword v72, off, s[0:3], 0 offset:148
	s_waitcnt vmcnt(2)
	ds_write_b64 v69, v[70:71]
.LBB33_181:
	s_or_b64 exec, exec, s[4:5]
	s_waitcnt lgkmcnt(0)
	; wave barrier
	buffer_load_dword v101, off, s[0:3], 0 offset:156
	buffer_load_dword v102, off, s[0:3], 0 offset:164
	;; [unrolled: 1-line block ×32, first 2 shown]
	v_mov_b32_e32 v70, 0
	ds_read2_b64 v[71:74], v70 offset0:53 offset1:54
	ds_read2_b64 v[75:78], v70 offset0:55 offset1:56
	;; [unrolled: 1-line block ×7, first 2 shown]
	ds_read_b64 v[99:100], v70 offset:536
	v_cmp_lt_u32_e32 vcc, 17, v0
	s_waitcnt vmcnt(31) lgkmcnt(7)
	v_mul_f32_e32 v133, v71, v101
	v_mul_f32_e32 v101, v72, v101
	s_waitcnt vmcnt(30)
	v_mul_f32_e32 v134, v73, v102
	v_mul_f32_e32 v102, v74, v102
	s_waitcnt vmcnt(29) lgkmcnt(6)
	v_mul_f32_e32 v135, v75, v103
	v_mul_f32_e32 v103, v76, v103
	s_waitcnt vmcnt(28)
	v_mul_f32_e32 v136, v77, v104
	s_waitcnt vmcnt(27) lgkmcnt(5)
	v_mul_f32_e32 v137, v79, v105
	s_waitcnt vmcnt(26)
	v_mul_f32_e32 v138, v81, v106
	s_waitcnt vmcnt(25) lgkmcnt(4)
	;; [unrolled: 4-line block ×4, first 2 shown]
	v_mul_f32_e32 v143, v91, v111
	s_waitcnt vmcnt(20)
	v_mul_f32_e32 v144, v93, v112
	s_waitcnt vmcnt(16)
	v_fma_f32 v71, v71, v116, -v101
	v_fmac_f32_e32 v133, v72, v116
	s_waitcnt vmcnt(15)
	v_fma_f32 v72, v73, v117, -v102
	v_add_f32_e32 v71, 0, v71
	s_waitcnt vmcnt(14)
	v_fma_f32 v73, v75, v118, -v103
	v_add_f32_e32 v71, v71, v72
	v_add_f32_e32 v71, v71, v73
	v_mul_f32_e32 v73, v78, v104
	s_waitcnt vmcnt(13)
	v_fma_f32 v73, v77, v119, -v73
	v_add_f32_e32 v71, v71, v73
	v_mul_f32_e32 v73, v80, v105
	s_waitcnt vmcnt(12)
	v_fma_f32 v73, v79, v120, -v73
	;; [unrolled: 4-line block ×5, first 2 shown]
	v_add_f32_e32 v71, v71, v73
	v_mul_f32_e32 v73, v88, v109
	v_fmac_f32_e32 v134, v74, v117
	v_add_f32_e32 v74, 0, v133
	s_waitcnt vmcnt(8)
	v_fma_f32 v73, v87, v124, -v73
	v_fmac_f32_e32 v135, v76, v118
	v_add_f32_e32 v74, v74, v134
	v_add_f32_e32 v71, v71, v73
	v_mul_f32_e32 v73, v90, v110
	v_fmac_f32_e32 v136, v78, v119
	v_add_f32_e32 v72, v74, v135
	s_waitcnt vmcnt(7)
	v_fma_f32 v73, v89, v125, -v73
	v_fmac_f32_e32 v137, v80, v120
	v_add_f32_e32 v72, v72, v136
	;; [unrolled: 8-line block ×4, first 2 shown]
	v_add_f32_e32 v71, v71, v73
	s_waitcnt lgkmcnt(1)
	v_mul_f32_e32 v73, v96, v113
	v_fmac_f32_e32 v142, v90, v125
	v_add_f32_e32 v72, v72, v141
	s_waitcnt vmcnt(4)
	v_fma_f32 v73, v95, v128, -v73
	v_fmac_f32_e32 v143, v92, v126
	v_add_f32_e32 v72, v72, v142
	v_add_f32_e32 v71, v71, v73
	v_mul_f32_e32 v73, v98, v114
	v_mul_f32_e32 v145, v95, v113
	v_fmac_f32_e32 v144, v94, v127
	v_add_f32_e32 v72, v72, v143
	s_waitcnt vmcnt(3)
	v_fma_f32 v73, v97, v129, -v73
	v_mul_f32_e32 v146, v97, v114
	v_fmac_f32_e32 v145, v96, v128
	v_add_f32_e32 v72, v72, v144
	v_add_f32_e32 v71, v71, v73
	s_waitcnt lgkmcnt(0)
	v_mul_f32_e32 v73, v100, v115
	v_mul_f32_e32 v147, v99, v115
	v_fmac_f32_e32 v146, v98, v129
	v_add_f32_e32 v72, v72, v145
	s_waitcnt vmcnt(2)
	v_fma_f32 v73, v99, v130, -v73
	v_fmac_f32_e32 v147, v100, v130
	v_add_f32_e32 v72, v72, v146
	v_add_f32_e32 v71, v71, v73
	;; [unrolled: 1-line block ×3, first 2 shown]
	s_waitcnt vmcnt(1)
	v_sub_f32_e32 v71, v131, v71
	s_waitcnt vmcnt(0)
	v_sub_f32_e32 v72, v132, v72
	buffer_store_dword v71, off, s[0:3], 0 offset:144
	buffer_store_dword v72, off, s[0:3], 0 offset:148
	s_and_saveexec_b64 s[4:5], vcc
	s_cbranch_execz .LBB33_183
; %bb.182:
	buffer_load_dword v71, off, s[0:3], 0 offset:136
	buffer_load_dword v72, off, s[0:3], 0 offset:140
	s_waitcnt vmcnt(0)
	ds_write_b64 v69, v[71:72]
	buffer_store_dword v70, off, s[0:3], 0 offset:136
	buffer_store_dword v70, off, s[0:3], 0 offset:140
.LBB33_183:
	s_or_b64 exec, exec, s[4:5]
	s_waitcnt lgkmcnt(0)
	; wave barrier
	buffer_load_dword v103, off, s[0:3], 0 offset:148
	buffer_load_dword v104, off, s[0:3], 0 offset:156
	;; [unrolled: 1-line block ×34, first 2 shown]
	ds_read_b128 v[71:74], v70 offset:416
	ds_read_b128 v[75:78], v70 offset:432
	;; [unrolled: 1-line block ×8, first 2 shown]
	v_cmp_lt_u32_e32 vcc, 16, v0
	s_waitcnt vmcnt(33) lgkmcnt(7)
	v_mul_f32_e32 v70, v71, v103
	v_mul_f32_e32 v103, v72, v103
	s_waitcnt vmcnt(32)
	v_mul_f32_e32 v137, v73, v104
	v_mul_f32_e32 v104, v74, v104
	s_waitcnt vmcnt(31) lgkmcnt(6)
	v_mul_f32_e32 v138, v75, v105
	s_waitcnt vmcnt(30)
	v_mul_f32_e32 v139, v77, v106
	s_waitcnt vmcnt(29) lgkmcnt(5)
	v_mul_f32_e32 v140, v79, v107
	s_waitcnt vmcnt(28)
	;; [unrolled: 4-line block ×6, first 2 shown]
	v_mul_f32_e32 v149, v97, v116
	s_waitcnt vmcnt(17)
	v_fma_f32 v71, v71, v119, -v103
	v_fmac_f32_e32 v70, v72, v119
	s_waitcnt vmcnt(16)
	v_fma_f32 v72, v73, v120, -v104
	v_add_f32_e32 v71, 0, v71
	v_add_f32_e32 v71, v71, v72
	v_mul_f32_e32 v72, v76, v105
	s_waitcnt vmcnt(15)
	v_fma_f32 v72, v75, v121, -v72
	v_add_f32_e32 v71, v71, v72
	v_mul_f32_e32 v72, v78, v106
	s_waitcnt vmcnt(14)
	v_fma_f32 v72, v77, v122, -v72
	;; [unrolled: 4-line block ×7, first 2 shown]
	v_fmac_f32_e32 v137, v74, v120
	v_add_f32_e32 v70, 0, v70
	v_add_f32_e32 v71, v71, v72
	v_mul_f32_e32 v72, v90, v112
	v_fmac_f32_e32 v138, v76, v121
	v_add_f32_e32 v70, v70, v137
	s_waitcnt vmcnt(8)
	v_fma_f32 v72, v89, v128, -v72
	v_fmac_f32_e32 v139, v78, v122
	v_add_f32_e32 v70, v70, v138
	v_add_f32_e32 v71, v71, v72
	v_mul_f32_e32 v72, v92, v113
	v_fmac_f32_e32 v140, v80, v123
	v_add_f32_e32 v70, v70, v139
	s_waitcnt vmcnt(7)
	v_fma_f32 v72, v91, v129, -v72
	;; [unrolled: 8-line block ×5, first 2 shown]
	v_fmac_f32_e32 v147, v94, v130
	v_add_f32_e32 v70, v70, v146
	v_add_f32_e32 v71, v71, v72
	s_waitcnt lgkmcnt(0)
	v_mul_f32_e32 v72, v100, v117
	v_fmac_f32_e32 v148, v96, v131
	v_add_f32_e32 v70, v70, v147
	s_waitcnt vmcnt(3)
	v_fma_f32 v72, v99, v133, -v72
	v_mul_f32_e32 v150, v99, v117
	v_fmac_f32_e32 v149, v98, v132
	v_add_f32_e32 v70, v70, v148
	v_add_f32_e32 v71, v71, v72
	v_mul_f32_e32 v72, v102, v118
	v_mul_f32_e32 v151, v101, v118
	v_fmac_f32_e32 v150, v100, v133
	v_add_f32_e32 v70, v70, v149
	s_waitcnt vmcnt(2)
	v_fma_f32 v72, v101, v134, -v72
	v_fmac_f32_e32 v151, v102, v134
	v_add_f32_e32 v70, v70, v150
	v_add_f32_e32 v71, v71, v72
	;; [unrolled: 1-line block ×3, first 2 shown]
	s_waitcnt vmcnt(1)
	v_sub_f32_e32 v71, v135, v71
	s_waitcnt vmcnt(0)
	v_sub_f32_e32 v70, v136, v70
	buffer_store_dword v71, off, s[0:3], 0 offset:136
	buffer_store_dword v70, off, s[0:3], 0 offset:140
	s_and_saveexec_b64 s[4:5], vcc
	s_cbranch_execz .LBB33_185
; %bb.184:
	buffer_load_dword v70, off, s[0:3], 0 offset:128
	buffer_load_dword v71, off, s[0:3], 0 offset:132
	v_mov_b32_e32 v72, 0
	buffer_store_dword v72, off, s[0:3], 0 offset:128
	buffer_store_dword v72, off, s[0:3], 0 offset:132
	s_waitcnt vmcnt(2)
	ds_write_b64 v69, v[70:71]
.LBB33_185:
	s_or_b64 exec, exec, s[4:5]
	s_waitcnt lgkmcnt(0)
	; wave barrier
	buffer_load_dword v105, off, s[0:3], 0 offset:140
	buffer_load_dword v106, off, s[0:3], 0 offset:148
	;; [unrolled: 1-line block ×36, first 2 shown]
	v_mov_b32_e32 v70, 0
	ds_read2_b64 v[71:74], v70 offset0:51 offset1:52
	ds_read2_b64 v[75:78], v70 offset0:53 offset1:54
	;; [unrolled: 1-line block ×8, first 2 shown]
	ds_read_b64 v[103:104], v70 offset:536
	v_cmp_lt_u32_e32 vcc, 15, v0
	s_waitcnt vmcnt(35) lgkmcnt(8)
	v_mul_f32_e32 v141, v71, v105
	s_waitcnt vmcnt(34)
	v_mul_f32_e32 v142, v73, v106
	s_waitcnt vmcnt(33) lgkmcnt(7)
	v_mul_f32_e32 v143, v75, v107
	s_waitcnt vmcnt(32)
	v_mul_f32_e32 v144, v77, v108
	;; [unrolled: 4-line block ×8, first 2 shown]
	s_waitcnt vmcnt(19) lgkmcnt(0)
	v_mul_f32_e32 v157, v103, v121
	s_waitcnt vmcnt(18)
	v_fmac_f32_e32 v141, v72, v122
	v_mul_f32_e32 v72, v72, v105
	v_fma_f32 v71, v71, v122, -v72
	v_mul_f32_e32 v72, v74, v106
	v_add_f32_e32 v71, 0, v71
	s_waitcnt vmcnt(17)
	v_fma_f32 v72, v73, v123, -v72
	v_add_f32_e32 v71, v71, v72
	v_mul_f32_e32 v72, v76, v107
	s_waitcnt vmcnt(16)
	v_fma_f32 v72, v75, v124, -v72
	v_add_f32_e32 v71, v71, v72
	v_mul_f32_e32 v72, v78, v108
	;; [unrolled: 4-line block ×8, first 2 shown]
	v_fmac_f32_e32 v142, v74, v123
	v_add_f32_e32 v141, 0, v141
	s_waitcnt vmcnt(9)
	v_fma_f32 v72, v89, v131, -v72
	v_fmac_f32_e32 v143, v76, v124
	v_add_f32_e32 v141, v141, v142
	v_add_f32_e32 v71, v71, v72
	v_mul_f32_e32 v72, v92, v115
	v_fmac_f32_e32 v144, v78, v125
	v_add_f32_e32 v141, v141, v143
	s_waitcnt vmcnt(8)
	v_fma_f32 v72, v91, v132, -v72
	v_fmac_f32_e32 v145, v80, v126
	v_add_f32_e32 v141, v141, v144
	v_add_f32_e32 v71, v71, v72
	v_mul_f32_e32 v72, v94, v116
	;; [unrolled: 8-line block ×7, first 2 shown]
	v_fmac_f32_e32 v156, v102, v137
	v_add_f32_e32 v141, v141, v155
	s_waitcnt vmcnt(2)
	v_fma_f32 v72, v103, v138, -v72
	v_fmac_f32_e32 v157, v104, v138
	v_add_f32_e32 v141, v141, v156
	v_add_f32_e32 v71, v71, v72
	;; [unrolled: 1-line block ×3, first 2 shown]
	s_waitcnt vmcnt(1)
	v_sub_f32_e32 v71, v139, v71
	s_waitcnt vmcnt(0)
	v_sub_f32_e32 v72, v140, v141
	buffer_store_dword v71, off, s[0:3], 0 offset:128
	buffer_store_dword v72, off, s[0:3], 0 offset:132
	s_and_saveexec_b64 s[4:5], vcc
	s_cbranch_execz .LBB33_187
; %bb.186:
	buffer_load_dword v71, off, s[0:3], 0 offset:120
	buffer_load_dword v72, off, s[0:3], 0 offset:124
	s_waitcnt vmcnt(0)
	ds_write_b64 v69, v[71:72]
	buffer_store_dword v70, off, s[0:3], 0 offset:120
	buffer_store_dword v70, off, s[0:3], 0 offset:124
.LBB33_187:
	s_or_b64 exec, exec, s[4:5]
	s_waitcnt lgkmcnt(0)
	; wave barrier
	buffer_load_dword v107, off, s[0:3], 0 offset:132
	buffer_load_dword v108, off, s[0:3], 0 offset:140
	;; [unrolled: 1-line block ×38, first 2 shown]
	ds_read_b128 v[71:74], v70 offset:400
	ds_read_b128 v[75:78], v70 offset:416
	;; [unrolled: 1-line block ×9, first 2 shown]
	v_cmp_lt_u32_e32 vcc, 14, v0
	s_waitcnt vmcnt(37) lgkmcnt(8)
	v_mul_f32_e32 v70, v71, v107
	s_waitcnt vmcnt(36)
	v_mul_f32_e32 v145, v73, v108
	s_waitcnt vmcnt(35) lgkmcnt(7)
	v_mul_f32_e32 v146, v75, v109
	s_waitcnt vmcnt(34)
	v_mul_f32_e32 v147, v77, v110
	;; [unrolled: 4-line block ×8, first 2 shown]
	s_waitcnt vmcnt(21) lgkmcnt(0)
	v_mul_f32_e32 v160, v103, v123
	s_waitcnt vmcnt(20)
	v_fmac_f32_e32 v70, v72, v124
	v_mul_f32_e32 v72, v72, v107
	v_fma_f32 v71, v71, v124, -v72
	v_mul_f32_e32 v72, v74, v108
	v_add_f32_e32 v71, 0, v71
	s_waitcnt vmcnt(19)
	v_fma_f32 v72, v73, v125, -v72
	v_add_f32_e32 v71, v71, v72
	v_mul_f32_e32 v72, v76, v109
	s_waitcnt vmcnt(18)
	v_fma_f32 v72, v75, v126, -v72
	v_add_f32_e32 v71, v71, v72
	v_mul_f32_e32 v72, v78, v110
	;; [unrolled: 4-line block ×8, first 2 shown]
	s_waitcnt vmcnt(11)
	v_fma_f32 v72, v89, v133, -v72
	v_fmac_f32_e32 v145, v74, v125
	v_add_f32_e32 v70, 0, v70
	v_add_f32_e32 v71, v71, v72
	v_mul_f32_e32 v72, v92, v117
	v_fmac_f32_e32 v146, v76, v126
	v_add_f32_e32 v70, v70, v145
	s_waitcnt vmcnt(10)
	v_fma_f32 v72, v91, v134, -v72
	v_fmac_f32_e32 v147, v78, v127
	v_add_f32_e32 v70, v70, v146
	v_add_f32_e32 v71, v71, v72
	v_mul_f32_e32 v72, v94, v118
	v_fmac_f32_e32 v148, v80, v128
	v_add_f32_e32 v70, v70, v147
	;; [unrolled: 8-line block ×7, first 2 shown]
	s_waitcnt vmcnt(4)
	v_fma_f32 v72, v103, v140, -v72
	v_fmac_f32_e32 v159, v102, v139
	v_add_f32_e32 v70, v70, v158
	v_add_f32_e32 v71, v71, v72
	s_waitcnt vmcnt(3)
	v_mul_f32_e32 v72, v106, v141
	v_add_f32_e32 v70, v70, v159
	v_fmac_f32_e32 v160, v104, v140
	v_mul_f32_e32 v145, v105, v141
	s_waitcnt vmcnt(2)
	v_fma_f32 v72, v105, v142, -v72
	v_add_f32_e32 v70, v70, v160
	v_fmac_f32_e32 v145, v106, v142
	v_add_f32_e32 v71, v71, v72
	v_add_f32_e32 v70, v70, v145
	s_waitcnt vmcnt(1)
	v_sub_f32_e32 v71, v143, v71
	s_waitcnt vmcnt(0)
	v_sub_f32_e32 v70, v144, v70
	buffer_store_dword v71, off, s[0:3], 0 offset:120
	buffer_store_dword v70, off, s[0:3], 0 offset:124
	s_and_saveexec_b64 s[4:5], vcc
	s_cbranch_execz .LBB33_189
; %bb.188:
	buffer_load_dword v70, off, s[0:3], 0 offset:112
	buffer_load_dword v71, off, s[0:3], 0 offset:116
	v_mov_b32_e32 v72, 0
	buffer_store_dword v72, off, s[0:3], 0 offset:112
	buffer_store_dword v72, off, s[0:3], 0 offset:116
	s_waitcnt vmcnt(2)
	ds_write_b64 v69, v[70:71]
.LBB33_189:
	s_or_b64 exec, exec, s[4:5]
	s_waitcnt lgkmcnt(0)
	; wave barrier
	buffer_load_dword v109, off, s[0:3], 0 offset:124
	buffer_load_dword v110, off, s[0:3], 0 offset:132
	;; [unrolled: 1-line block ×40, first 2 shown]
	v_mov_b32_e32 v70, 0
	ds_read2_b64 v[71:74], v70 offset0:49 offset1:50
	ds_read2_b64 v[75:78], v70 offset0:51 offset1:52
	;; [unrolled: 1-line block ×9, first 2 shown]
	v_cmp_lt_u32_e32 vcc, 13, v0
	s_waitcnt vmcnt(39) lgkmcnt(8)
	v_mul_f32_e32 v107, v71, v109
	s_waitcnt vmcnt(38)
	v_mul_f32_e32 v108, v73, v110
	s_waitcnt vmcnt(37) lgkmcnt(7)
	v_mul_f32_e32 v149, v75, v111
	s_waitcnt vmcnt(36)
	v_mul_f32_e32 v150, v77, v112
	;; [unrolled: 4-line block ×7, first 2 shown]
	s_waitcnt vmcnt(25) lgkmcnt(1)
	v_mul_f32_e32 v161, v99, v123
	s_waitcnt vmcnt(24)
	v_fmac_f32_e32 v107, v72, v124
	v_mul_f32_e32 v72, v72, v109
	v_fma_f32 v71, v71, v124, -v72
	v_mul_f32_e32 v72, v74, v110
	v_add_f32_e32 v71, 0, v71
	s_waitcnt vmcnt(23)
	v_fma_f32 v72, v73, v125, -v72
	v_add_f32_e32 v71, v71, v72
	v_mul_f32_e32 v72, v76, v111
	s_waitcnt vmcnt(22)
	v_fma_f32 v72, v75, v126, -v72
	v_add_f32_e32 v71, v71, v72
	v_mul_f32_e32 v72, v78, v112
	;; [unrolled: 4-line block ×6, first 2 shown]
	s_waitcnt vmcnt(17)
	v_fma_f32 v72, v85, v131, -v72
	v_fmac_f32_e32 v108, v74, v125
	v_add_f32_e32 v107, 0, v107
	v_add_f32_e32 v71, v71, v72
	v_mul_f32_e32 v72, v88, v117
	v_fmac_f32_e32 v149, v76, v126
	v_add_f32_e32 v107, v107, v108
	s_waitcnt vmcnt(16)
	v_fma_f32 v72, v87, v132, -v72
	v_fmac_f32_e32 v150, v78, v127
	v_add_f32_e32 v107, v107, v149
	v_add_f32_e32 v71, v71, v72
	v_mul_f32_e32 v72, v90, v118
	v_fmac_f32_e32 v151, v80, v128
	v_add_f32_e32 v107, v107, v150
	;; [unrolled: 8-line block ×6, first 2 shown]
	s_waitcnt vmcnt(11)
	v_fma_f32 v72, v97, v137, -v72
	v_fmac_f32_e32 v160, v98, v137
	v_add_f32_e32 v107, v107, v159
	v_add_f32_e32 v71, v71, v72
	v_mul_f32_e32 v72, v100, v123
	s_waitcnt vmcnt(10)
	v_fmac_f32_e32 v161, v100, v138
	v_add_f32_e32 v107, v107, v160
	s_waitcnt vmcnt(9)
	v_mul_f32_e32 v108, v101, v139
	v_fma_f32 v72, v99, v138, -v72
	v_add_f32_e32 v107, v107, v161
	s_waitcnt vmcnt(8)
	v_fmac_f32_e32 v108, v102, v140
	v_add_f32_e32 v71, v71, v72
	v_mul_f32_e32 v72, v102, v139
	v_add_f32_e32 v149, v107, v108
	ds_read_b64 v[107:108], v70 offset:536
	v_fma_f32 v72, v101, v140, -v72
	v_add_f32_e32 v71, v71, v72
	s_waitcnt vmcnt(7) lgkmcnt(1)
	v_mul_f32_e32 v72, v104, v141
	v_mul_f32_e32 v150, v103, v141
	s_waitcnt vmcnt(6)
	v_fma_f32 v72, v103, v142, -v72
	v_fmac_f32_e32 v150, v104, v142
	v_add_f32_e32 v71, v71, v72
	s_waitcnt vmcnt(5)
	v_mul_f32_e32 v72, v106, v143
	v_add_f32_e32 v149, v149, v150
	v_mul_f32_e32 v150, v105, v143
	s_waitcnt vmcnt(4)
	v_fma_f32 v72, v105, v144, -v72
	v_fmac_f32_e32 v150, v106, v144
	v_add_f32_e32 v71, v71, v72
	s_waitcnt vmcnt(3) lgkmcnt(0)
	v_mul_f32_e32 v72, v108, v145
	v_add_f32_e32 v149, v149, v150
	v_mul_f32_e32 v150, v107, v145
	s_waitcnt vmcnt(2)
	v_fma_f32 v72, v107, v146, -v72
	v_fmac_f32_e32 v150, v108, v146
	v_add_f32_e32 v71, v71, v72
	v_add_f32_e32 v149, v149, v150
	s_waitcnt vmcnt(1)
	v_sub_f32_e32 v71, v147, v71
	s_waitcnt vmcnt(0)
	v_sub_f32_e32 v72, v148, v149
	buffer_store_dword v71, off, s[0:3], 0 offset:112
	buffer_store_dword v72, off, s[0:3], 0 offset:116
	s_and_saveexec_b64 s[4:5], vcc
	s_cbranch_execz .LBB33_191
; %bb.190:
	buffer_load_dword v71, off, s[0:3], 0 offset:104
	buffer_load_dword v72, off, s[0:3], 0 offset:108
	s_waitcnt vmcnt(0)
	ds_write_b64 v69, v[71:72]
	buffer_store_dword v70, off, s[0:3], 0 offset:104
	buffer_store_dword v70, off, s[0:3], 0 offset:108
.LBB33_191:
	s_or_b64 exec, exec, s[4:5]
	s_waitcnt lgkmcnt(0)
	; wave barrier
	buffer_load_dword v111, off, s[0:3], 0 offset:116
	buffer_load_dword v112, off, s[0:3], 0 offset:124
	;; [unrolled: 1-line block ×42, first 2 shown]
	ds_read_b128 v[71:74], v70 offset:384
	ds_read_b128 v[75:78], v70 offset:400
	;; [unrolled: 1-line block ×8, first 2 shown]
	v_cmp_lt_u32_e32 vcc, 12, v0
	s_waitcnt vmcnt(41) lgkmcnt(7)
	v_mul_f32_e32 v103, v71, v111
	s_waitcnt vmcnt(40)
	v_mul_f32_e32 v104, v73, v112
	s_waitcnt vmcnt(39) lgkmcnt(6)
	v_mul_f32_e32 v105, v75, v113
	s_waitcnt vmcnt(38)
	v_mul_f32_e32 v106, v77, v114
	;; [unrolled: 4-line block ×7, first 2 shown]
	s_waitcnt vmcnt(27) lgkmcnt(0)
	v_mul_f32_e32 v159, v99, v125
	s_waitcnt vmcnt(26)
	v_fmac_f32_e32 v103, v72, v126
	v_mul_f32_e32 v72, v72, v111
	v_fma_f32 v71, v71, v126, -v72
	v_mul_f32_e32 v72, v74, v112
	v_add_f32_e32 v71, 0, v71
	s_waitcnt vmcnt(25)
	v_fma_f32 v72, v73, v127, -v72
	v_add_f32_e32 v71, v71, v72
	v_mul_f32_e32 v72, v76, v113
	s_waitcnt vmcnt(24)
	v_fma_f32 v72, v75, v128, -v72
	v_add_f32_e32 v71, v71, v72
	v_mul_f32_e32 v72, v78, v114
	;; [unrolled: 4-line block ×5, first 2 shown]
	v_fmac_f32_e32 v104, v74, v127
	v_add_f32_e32 v103, 0, v103
	s_waitcnt vmcnt(20)
	v_fma_f32 v72, v83, v132, -v72
	v_fmac_f32_e32 v105, v76, v128
	v_add_f32_e32 v103, v103, v104
	v_add_f32_e32 v71, v71, v72
	v_mul_f32_e32 v72, v86, v118
	v_fmac_f32_e32 v106, v78, v129
	v_add_f32_e32 v103, v103, v105
	s_waitcnt vmcnt(19)
	v_fma_f32 v72, v85, v133, -v72
	v_fmac_f32_e32 v107, v80, v130
	v_add_f32_e32 v103, v103, v106
	v_add_f32_e32 v71, v71, v72
	v_mul_f32_e32 v72, v88, v119
	;; [unrolled: 8-line block ×5, first 2 shown]
	s_waitcnt vmcnt(15)
	v_fmac_f32_e32 v156, v94, v137
	v_add_f32_e32 v103, v103, v155
	v_fma_f32 v72, v93, v137, -v72
	s_waitcnt vmcnt(14)
	v_fmac_f32_e32 v157, v96, v138
	v_add_f32_e32 v103, v103, v156
	v_add_f32_e32 v71, v71, v72
	v_mul_f32_e32 v72, v96, v123
	s_waitcnt vmcnt(13)
	v_fmac_f32_e32 v158, v98, v139
	v_add_f32_e32 v103, v103, v157
	v_fma_f32 v72, v95, v138, -v72
	s_waitcnt vmcnt(12)
	v_fmac_f32_e32 v159, v100, v140
	v_add_f32_e32 v103, v103, v158
	v_add_f32_e32 v71, v71, v72
	v_mul_f32_e32 v72, v98, v124
	v_add_f32_e32 v107, v103, v159
	ds_read_b128 v[103:106], v70 offset:512
	v_fma_f32 v72, v97, v139, -v72
	v_add_f32_e32 v71, v71, v72
	v_mul_f32_e32 v72, v100, v125
	s_waitcnt vmcnt(11)
	v_mul_f32_e32 v108, v101, v141
	v_fma_f32 v72, v99, v140, -v72
	s_waitcnt vmcnt(10)
	v_fmac_f32_e32 v108, v102, v142
	v_add_f32_e32 v71, v71, v72
	v_mul_f32_e32 v72, v102, v141
	v_add_f32_e32 v153, v107, v108
	ds_read_b128 v[107:110], v70 offset:528
	v_fma_f32 v72, v101, v142, -v72
	v_add_f32_e32 v71, v71, v72
	s_waitcnt vmcnt(9) lgkmcnt(1)
	v_mul_f32_e32 v72, v104, v143
	v_mul_f32_e32 v70, v103, v143
	s_waitcnt vmcnt(8)
	v_fma_f32 v72, v103, v144, -v72
	v_fmac_f32_e32 v70, v104, v144
	v_add_f32_e32 v71, v71, v72
	s_waitcnt vmcnt(7)
	v_mul_f32_e32 v72, v106, v145
	v_add_f32_e32 v70, v153, v70
	v_mul_f32_e32 v153, v105, v145
	s_waitcnt vmcnt(6)
	v_fma_f32 v72, v105, v146, -v72
	v_fmac_f32_e32 v153, v106, v146
	v_add_f32_e32 v71, v71, v72
	s_waitcnt vmcnt(5) lgkmcnt(0)
	v_mul_f32_e32 v72, v108, v147
	v_add_f32_e32 v70, v70, v153
	v_mul_f32_e32 v153, v107, v147
	s_waitcnt vmcnt(4)
	v_fma_f32 v72, v107, v148, -v72
	v_fmac_f32_e32 v153, v108, v148
	v_add_f32_e32 v71, v71, v72
	s_waitcnt vmcnt(3)
	v_mul_f32_e32 v72, v110, v149
	v_add_f32_e32 v70, v70, v153
	v_mul_f32_e32 v153, v109, v149
	s_waitcnt vmcnt(2)
	v_fma_f32 v72, v109, v150, -v72
	v_fmac_f32_e32 v153, v110, v150
	v_add_f32_e32 v71, v71, v72
	v_add_f32_e32 v70, v70, v153
	s_waitcnt vmcnt(1)
	v_sub_f32_e32 v71, v151, v71
	s_waitcnt vmcnt(0)
	v_sub_f32_e32 v70, v152, v70
	buffer_store_dword v71, off, s[0:3], 0 offset:104
	buffer_store_dword v70, off, s[0:3], 0 offset:108
	s_and_saveexec_b64 s[4:5], vcc
	s_cbranch_execz .LBB33_193
; %bb.192:
	buffer_load_dword v70, off, s[0:3], 0 offset:96
	buffer_load_dword v71, off, s[0:3], 0 offset:100
	v_mov_b32_e32 v72, 0
	buffer_store_dword v72, off, s[0:3], 0 offset:96
	buffer_store_dword v72, off, s[0:3], 0 offset:100
	s_waitcnt vmcnt(2)
	ds_write_b64 v69, v[70:71]
.LBB33_193:
	s_or_b64 exec, exec, s[4:5]
	s_waitcnt lgkmcnt(0)
	; wave barrier
	buffer_load_dword v113, off, s[0:3], 0 offset:108
	buffer_load_dword v114, off, s[0:3], 0 offset:116
	;; [unrolled: 1-line block ×44, first 2 shown]
	v_mov_b32_e32 v70, 0
	ds_read2_b64 v[71:74], v70 offset0:47 offset1:48
	ds_read2_b64 v[75:78], v70 offset0:49 offset1:50
	;; [unrolled: 1-line block ×8, first 2 shown]
	v_cmp_lt_u32_e32 vcc, 11, v0
	s_waitcnt vmcnt(43) lgkmcnt(7)
	v_mul_f32_e32 v103, v71, v113
	s_waitcnt vmcnt(42)
	v_mul_f32_e32 v104, v73, v114
	s_waitcnt vmcnt(41) lgkmcnt(6)
	v_mul_f32_e32 v105, v75, v115
	s_waitcnt vmcnt(40)
	v_mul_f32_e32 v106, v77, v116
	;; [unrolled: 4-line block ×7, first 2 shown]
	s_waitcnt vmcnt(29)
	v_fmac_f32_e32 v103, v72, v127
	v_mul_f32_e32 v72, v72, v113
	v_fma_f32 v71, v71, v127, -v72
	v_mul_f32_e32 v72, v74, v114
	v_add_f32_e32 v71, 0, v71
	s_waitcnt vmcnt(28)
	v_fma_f32 v72, v73, v128, -v72
	v_add_f32_e32 v71, v71, v72
	v_mul_f32_e32 v72, v76, v115
	s_waitcnt vmcnt(27)
	v_fma_f32 v72, v75, v129, -v72
	v_add_f32_e32 v71, v71, v72
	v_mul_f32_e32 v72, v78, v116
	;; [unrolled: 4-line block ×4, first 2 shown]
	s_waitcnt vmcnt(24)
	v_fma_f32 v72, v81, v132, -v72
	v_fmac_f32_e32 v104, v74, v128
	v_add_f32_e32 v103, 0, v103
	v_add_f32_e32 v71, v71, v72
	v_mul_f32_e32 v72, v84, v119
	v_fmac_f32_e32 v105, v76, v129
	v_add_f32_e32 v103, v103, v104
	s_waitcnt vmcnt(23)
	v_fma_f32 v72, v83, v133, -v72
	v_fmac_f32_e32 v106, v78, v130
	v_add_f32_e32 v103, v103, v105
	v_add_f32_e32 v71, v71, v72
	v_mul_f32_e32 v72, v86, v120
	v_fmac_f32_e32 v107, v80, v131
	v_add_f32_e32 v103, v103, v106
	;; [unrolled: 8-line block ×4, first 2 shown]
	s_waitcnt vmcnt(20)
	v_fma_f32 v72, v89, v136, -v72
	v_fmac_f32_e32 v112, v90, v136
	v_add_f32_e32 v103, v103, v111
	v_add_f32_e32 v71, v71, v72
	v_mul_f32_e32 v72, v92, v123
	s_waitcnt vmcnt(19)
	v_fmac_f32_e32 v157, v92, v137
	v_add_f32_e32 v103, v103, v112
	v_fma_f32 v72, v91, v137, -v72
	s_waitcnt vmcnt(18)
	v_fmac_f32_e32 v158, v94, v138
	v_add_f32_e32 v103, v103, v157
	v_add_f32_e32 v71, v71, v72
	v_mul_f32_e32 v72, v94, v124
	s_waitcnt vmcnt(17)
	v_fmac_f32_e32 v159, v96, v139
	v_add_f32_e32 v103, v103, v158
	v_fma_f32 v72, v93, v138, -v72
	v_add_f32_e32 v103, v103, v159
	s_waitcnt vmcnt(16)
	v_fmac_f32_e32 v160, v98, v140
	s_waitcnt vmcnt(15) lgkmcnt(0)
	v_mul_f32_e32 v104, v99, v141
	v_add_f32_e32 v71, v71, v72
	v_mul_f32_e32 v72, v96, v125
	v_add_f32_e32 v103, v103, v160
	s_waitcnt vmcnt(14)
	v_fmac_f32_e32 v104, v100, v142
	v_fma_f32 v72, v95, v139, -v72
	v_add_f32_e32 v107, v103, v104
	ds_read2_b64 v[103:106], v70 offset0:63 offset1:64
	v_add_f32_e32 v71, v71, v72
	v_mul_f32_e32 v72, v98, v126
	v_fma_f32 v72, v97, v140, -v72
	v_add_f32_e32 v71, v71, v72
	v_mul_f32_e32 v72, v100, v141
	s_waitcnt vmcnt(13)
	v_mul_f32_e32 v108, v101, v143
	v_fma_f32 v72, v99, v142, -v72
	s_waitcnt vmcnt(12)
	v_fmac_f32_e32 v108, v102, v144
	v_add_f32_e32 v71, v71, v72
	v_mul_f32_e32 v72, v102, v143
	v_add_f32_e32 v111, v107, v108
	ds_read2_b64 v[107:110], v70 offset0:65 offset1:66
	s_waitcnt vmcnt(11) lgkmcnt(1)
	v_mul_f32_e32 v112, v103, v145
	v_fma_f32 v72, v101, v144, -v72
	s_waitcnt vmcnt(10)
	v_fmac_f32_e32 v112, v104, v146
	v_add_f32_e32 v71, v71, v72
	v_mul_f32_e32 v72, v104, v145
	v_add_f32_e32 v111, v111, v112
	s_waitcnt vmcnt(9)
	v_mul_f32_e32 v112, v105, v147
	v_fma_f32 v72, v103, v146, -v72
	s_waitcnt vmcnt(8)
	v_fmac_f32_e32 v112, v106, v148
	v_add_f32_e32 v71, v71, v72
	v_mul_f32_e32 v72, v106, v147
	v_add_f32_e32 v157, v111, v112
	ds_read_b64 v[111:112], v70 offset:536
	v_fma_f32 v72, v105, v148, -v72
	v_add_f32_e32 v71, v71, v72
	s_waitcnt vmcnt(7) lgkmcnt(1)
	v_mul_f32_e32 v72, v108, v149
	v_mul_f32_e32 v158, v107, v149
	s_waitcnt vmcnt(6)
	v_fma_f32 v72, v107, v150, -v72
	v_fmac_f32_e32 v158, v108, v150
	v_add_f32_e32 v71, v71, v72
	s_waitcnt vmcnt(5)
	v_mul_f32_e32 v72, v110, v151
	v_add_f32_e32 v157, v157, v158
	v_mul_f32_e32 v158, v109, v151
	s_waitcnt vmcnt(4)
	v_fma_f32 v72, v109, v152, -v72
	v_fmac_f32_e32 v158, v110, v152
	v_add_f32_e32 v71, v71, v72
	s_waitcnt vmcnt(3) lgkmcnt(0)
	v_mul_f32_e32 v72, v112, v153
	v_add_f32_e32 v157, v157, v158
	v_mul_f32_e32 v158, v111, v153
	s_waitcnt vmcnt(2)
	v_fma_f32 v72, v111, v154, -v72
	v_fmac_f32_e32 v158, v112, v154
	v_add_f32_e32 v71, v71, v72
	v_add_f32_e32 v157, v157, v158
	s_waitcnt vmcnt(1)
	v_sub_f32_e32 v71, v155, v71
	s_waitcnt vmcnt(0)
	v_sub_f32_e32 v72, v156, v157
	buffer_store_dword v71, off, s[0:3], 0 offset:96
	buffer_store_dword v72, off, s[0:3], 0 offset:100
	s_and_saveexec_b64 s[4:5], vcc
	s_cbranch_execz .LBB33_195
; %bb.194:
	buffer_load_dword v71, off, s[0:3], 0 offset:88
	buffer_load_dword v72, off, s[0:3], 0 offset:92
	s_waitcnt vmcnt(0)
	ds_write_b64 v69, v[71:72]
	buffer_store_dword v70, off, s[0:3], 0 offset:88
	buffer_store_dword v70, off, s[0:3], 0 offset:92
.LBB33_195:
	s_or_b64 exec, exec, s[4:5]
	s_waitcnt lgkmcnt(0)
	; wave barrier
	buffer_load_dword v115, off, s[0:3], 0 offset:100
	buffer_load_dword v116, off, s[0:3], 0 offset:108
	;; [unrolled: 1-line block ×46, first 2 shown]
	ds_read_b128 v[71:74], v70 offset:368
	ds_read_b128 v[75:78], v70 offset:384
	;; [unrolled: 1-line block ×8, first 2 shown]
	v_cmp_lt_u32_e32 vcc, 10, v0
	s_waitcnt vmcnt(45) lgkmcnt(7)
	v_mul_f32_e32 v103, v71, v115
	s_waitcnt vmcnt(44)
	v_mul_f32_e32 v104, v73, v116
	s_waitcnt vmcnt(43) lgkmcnt(6)
	v_mul_f32_e32 v105, v75, v117
	s_waitcnt vmcnt(42)
	v_mul_f32_e32 v106, v77, v118
	;; [unrolled: 4-line block ×6, first 2 shown]
	s_waitcnt vmcnt(33) lgkmcnt(1)
	v_mul_f32_e32 v161, v95, v127
	s_waitcnt vmcnt(32)
	v_fmac_f32_e32 v103, v72, v128
	v_mul_f32_e32 v72, v72, v115
	v_fma_f32 v71, v71, v128, -v72
	v_mul_f32_e32 v72, v74, v116
	v_add_f32_e32 v71, 0, v71
	s_waitcnt vmcnt(31)
	v_fma_f32 v72, v73, v129, -v72
	v_add_f32_e32 v71, v71, v72
	v_mul_f32_e32 v72, v76, v117
	s_waitcnt vmcnt(30)
	v_fma_f32 v72, v75, v130, -v72
	v_add_f32_e32 v71, v71, v72
	v_mul_f32_e32 v72, v78, v118
	;; [unrolled: 4-line block ×4, first 2 shown]
	v_fmac_f32_e32 v104, v74, v129
	v_add_f32_e32 v103, 0, v103
	s_waitcnt vmcnt(27)
	v_fma_f32 v72, v81, v133, -v72
	v_fmac_f32_e32 v105, v76, v130
	v_add_f32_e32 v103, v103, v104
	v_add_f32_e32 v71, v71, v72
	v_mul_f32_e32 v72, v84, v121
	v_fmac_f32_e32 v106, v78, v131
	v_add_f32_e32 v103, v103, v105
	s_waitcnt vmcnt(26)
	v_fma_f32 v72, v83, v134, -v72
	v_fmac_f32_e32 v107, v80, v132
	v_add_f32_e32 v103, v103, v106
	v_add_f32_e32 v71, v71, v72
	v_mul_f32_e32 v72, v86, v122
	;; [unrolled: 8-line block ×4, first 2 shown]
	s_waitcnt vmcnt(23)
	v_fmac_f32_e32 v112, v90, v137
	v_add_f32_e32 v103, v103, v111
	v_fma_f32 v72, v89, v137, -v72
	s_waitcnt vmcnt(22)
	v_fmac_f32_e32 v113, v92, v138
	v_add_f32_e32 v103, v103, v112
	v_add_f32_e32 v71, v71, v72
	v_mul_f32_e32 v72, v92, v125
	s_waitcnt vmcnt(21)
	v_fmac_f32_e32 v114, v94, v139
	v_add_f32_e32 v103, v103, v113
	v_fma_f32 v72, v91, v138, -v72
	s_waitcnt vmcnt(20)
	v_fmac_f32_e32 v161, v96, v140
	v_add_f32_e32 v103, v103, v114
	s_waitcnt vmcnt(19)
	v_mul_f32_e32 v104, v97, v141
	v_add_f32_e32 v71, v71, v72
	v_mul_f32_e32 v72, v94, v126
	v_add_f32_e32 v103, v103, v161
	s_waitcnt vmcnt(18)
	v_fmac_f32_e32 v104, v98, v142
	v_fma_f32 v72, v93, v139, -v72
	v_add_f32_e32 v103, v103, v104
	s_waitcnt vmcnt(17) lgkmcnt(0)
	v_mul_f32_e32 v104, v99, v143
	v_add_f32_e32 v71, v71, v72
	v_mul_f32_e32 v72, v96, v127
	s_waitcnt vmcnt(16)
	v_fmac_f32_e32 v104, v100, v144
	v_fma_f32 v72, v95, v140, -v72
	v_add_f32_e32 v107, v103, v104
	ds_read_b128 v[103:106], v70 offset:496
	v_add_f32_e32 v71, v71, v72
	v_mul_f32_e32 v72, v98, v141
	v_fma_f32 v72, v97, v142, -v72
	v_add_f32_e32 v71, v71, v72
	v_mul_f32_e32 v72, v100, v143
	s_waitcnt vmcnt(15)
	v_mul_f32_e32 v108, v101, v145
	v_fma_f32 v72, v99, v144, -v72
	s_waitcnt vmcnt(14)
	v_fmac_f32_e32 v108, v102, v146
	v_add_f32_e32 v71, v71, v72
	v_mul_f32_e32 v72, v102, v145
	v_add_f32_e32 v111, v107, v108
	ds_read_b128 v[107:110], v70 offset:512
	s_waitcnt vmcnt(13) lgkmcnt(1)
	v_mul_f32_e32 v112, v103, v147
	v_fma_f32 v72, v101, v146, -v72
	s_waitcnt vmcnt(12)
	v_fmac_f32_e32 v112, v104, v148
	v_add_f32_e32 v71, v71, v72
	v_mul_f32_e32 v72, v104, v147
	v_add_f32_e32 v111, v111, v112
	s_waitcnt vmcnt(11)
	v_mul_f32_e32 v112, v105, v149
	v_fma_f32 v72, v103, v148, -v72
	s_waitcnt vmcnt(10)
	v_fmac_f32_e32 v112, v106, v150
	v_add_f32_e32 v71, v71, v72
	v_mul_f32_e32 v72, v106, v149
	v_add_f32_e32 v161, v111, v112
	ds_read_b128 v[111:114], v70 offset:528
	v_fma_f32 v72, v105, v150, -v72
	v_add_f32_e32 v71, v71, v72
	s_waitcnt vmcnt(9) lgkmcnt(1)
	v_mul_f32_e32 v72, v108, v151
	v_mul_f32_e32 v162, v107, v151
	s_waitcnt vmcnt(8)
	v_fma_f32 v72, v107, v152, -v72
	v_fmac_f32_e32 v162, v108, v152
	v_add_f32_e32 v71, v71, v72
	s_waitcnt vmcnt(7)
	v_mul_f32_e32 v72, v110, v153
	v_add_f32_e32 v70, v161, v162
	v_mul_f32_e32 v161, v109, v153
	s_waitcnt vmcnt(6)
	v_fma_f32 v72, v109, v154, -v72
	v_fmac_f32_e32 v161, v110, v154
	v_add_f32_e32 v71, v71, v72
	s_waitcnt vmcnt(5) lgkmcnt(0)
	v_mul_f32_e32 v72, v112, v155
	v_add_f32_e32 v70, v70, v161
	v_mul_f32_e32 v161, v111, v155
	s_waitcnt vmcnt(4)
	v_fma_f32 v72, v111, v156, -v72
	v_fmac_f32_e32 v161, v112, v156
	v_add_f32_e32 v71, v71, v72
	s_waitcnt vmcnt(3)
	v_mul_f32_e32 v72, v114, v157
	v_add_f32_e32 v70, v70, v161
	v_mul_f32_e32 v161, v113, v157
	s_waitcnt vmcnt(2)
	v_fma_f32 v72, v113, v158, -v72
	v_fmac_f32_e32 v161, v114, v158
	v_add_f32_e32 v71, v71, v72
	v_add_f32_e32 v70, v70, v161
	s_waitcnt vmcnt(1)
	v_sub_f32_e32 v71, v159, v71
	s_waitcnt vmcnt(0)
	v_sub_f32_e32 v70, v160, v70
	buffer_store_dword v71, off, s[0:3], 0 offset:88
	buffer_store_dword v70, off, s[0:3], 0 offset:92
	s_and_saveexec_b64 s[4:5], vcc
	s_cbranch_execz .LBB33_197
; %bb.196:
	buffer_load_dword v70, off, s[0:3], 0 offset:80
	buffer_load_dword v71, off, s[0:3], 0 offset:84
	v_mov_b32_e32 v72, 0
	buffer_store_dword v72, off, s[0:3], 0 offset:80
	buffer_store_dword v72, off, s[0:3], 0 offset:84
	s_waitcnt vmcnt(2)
	ds_write_b64 v69, v[70:71]
.LBB33_197:
	s_or_b64 exec, exec, s[4:5]
	s_waitcnt lgkmcnt(0)
	; wave barrier
	buffer_load_dword v117, off, s[0:3], 0 offset:92
	buffer_load_dword v118, off, s[0:3], 0 offset:100
	;; [unrolled: 1-line block ×48, first 2 shown]
	v_mov_b32_e32 v70, 0
	ds_read2_b64 v[71:74], v70 offset0:45 offset1:46
	ds_read2_b64 v[75:78], v70 offset0:47 offset1:48
	;; [unrolled: 1-line block ×7, first 2 shown]
	v_cmp_lt_u32_e32 vcc, 9, v0
	s_waitcnt vmcnt(47) lgkmcnt(6)
	v_mul_f32_e32 v99, v71, v117
	s_waitcnt vmcnt(46)
	v_mul_f32_e32 v100, v73, v118
	s_waitcnt vmcnt(45) lgkmcnt(5)
	v_mul_f32_e32 v101, v75, v119
	s_waitcnt vmcnt(44)
	v_mul_f32_e32 v102, v77, v120
	;; [unrolled: 4-line block ×6, first 2 shown]
	s_waitcnt vmcnt(35)
	v_fmac_f32_e32 v99, v72, v129
	v_mul_f32_e32 v72, v72, v117
	v_fma_f32 v71, v71, v129, -v72
	v_mul_f32_e32 v72, v74, v118
	v_add_f32_e32 v71, 0, v71
	s_waitcnt vmcnt(34)
	v_fma_f32 v72, v73, v130, -v72
	v_add_f32_e32 v71, v71, v72
	v_mul_f32_e32 v72, v76, v119
	s_waitcnt vmcnt(33)
	v_fma_f32 v72, v75, v131, -v72
	v_fmac_f32_e32 v100, v74, v130
	v_add_f32_e32 v99, 0, v99
	v_add_f32_e32 v71, v71, v72
	v_mul_f32_e32 v72, v78, v120
	v_fmac_f32_e32 v101, v76, v131
	v_add_f32_e32 v99, v99, v100
	s_waitcnt vmcnt(32)
	v_fma_f32 v72, v77, v132, -v72
	v_fmac_f32_e32 v102, v78, v132
	v_add_f32_e32 v99, v99, v101
	v_add_f32_e32 v71, v71, v72
	v_mul_f32_e32 v72, v80, v121
	s_waitcnt vmcnt(31)
	v_fmac_f32_e32 v103, v80, v133
	v_add_f32_e32 v99, v99, v102
	v_fma_f32 v72, v79, v133, -v72
	s_waitcnt vmcnt(30)
	v_fmac_f32_e32 v104, v82, v134
	v_add_f32_e32 v99, v99, v103
	v_add_f32_e32 v71, v71, v72
	v_mul_f32_e32 v72, v82, v122
	s_waitcnt vmcnt(29)
	v_fmac_f32_e32 v105, v84, v135
	v_add_f32_e32 v99, v99, v104
	v_fma_f32 v72, v81, v134, -v72
	s_waitcnt vmcnt(28)
	;; [unrolled: 9-line block ×4, first 2 shown]
	v_fmac_f32_e32 v110, v94, v140
	v_add_f32_e32 v99, v99, v109
	v_add_f32_e32 v71, v71, v72
	v_mul_f32_e32 v72, v88, v125
	v_add_f32_e32 v103, v99, v110
	ds_read2_b64 v[99:102], v70 offset0:59 offset1:60
	v_fma_f32 v72, v87, v137, -v72
	s_waitcnt vmcnt(23) lgkmcnt(1)
	v_mul_f32_e32 v104, v95, v141
	v_add_f32_e32 v71, v71, v72
	v_mul_f32_e32 v72, v90, v126
	s_waitcnt vmcnt(22)
	v_fmac_f32_e32 v104, v96, v142
	v_fma_f32 v72, v89, v138, -v72
	v_add_f32_e32 v103, v103, v104
	s_waitcnt vmcnt(21)
	v_mul_f32_e32 v104, v97, v143
	v_add_f32_e32 v71, v71, v72
	v_mul_f32_e32 v72, v92, v127
	s_waitcnt vmcnt(20)
	v_fmac_f32_e32 v104, v98, v144
	v_fma_f32 v72, v91, v139, -v72
	v_add_f32_e32 v103, v103, v104
	s_waitcnt vmcnt(19) lgkmcnt(0)
	v_mul_f32_e32 v104, v99, v145
	v_add_f32_e32 v71, v71, v72
	v_mul_f32_e32 v72, v94, v128
	s_waitcnt vmcnt(18)
	v_fmac_f32_e32 v104, v100, v146
	v_fma_f32 v72, v93, v140, -v72
	v_add_f32_e32 v107, v103, v104
	ds_read2_b64 v[103:106], v70 offset0:61 offset1:62
	v_add_f32_e32 v71, v71, v72
	v_mul_f32_e32 v72, v96, v141
	v_fma_f32 v72, v95, v142, -v72
	s_waitcnt vmcnt(17)
	v_mul_f32_e32 v108, v101, v147
	v_add_f32_e32 v71, v71, v72
	v_mul_f32_e32 v72, v98, v143
	s_waitcnt vmcnt(16)
	v_fmac_f32_e32 v108, v102, v148
	v_fma_f32 v72, v97, v144, -v72
	v_add_f32_e32 v111, v107, v108
	ds_read2_b64 v[107:110], v70 offset0:63 offset1:64
	v_add_f32_e32 v71, v71, v72
	v_mul_f32_e32 v72, v100, v145
	s_waitcnt vmcnt(15) lgkmcnt(1)
	v_mul_f32_e32 v112, v103, v149
	v_fma_f32 v72, v99, v146, -v72
	s_waitcnt vmcnt(14)
	v_fmac_f32_e32 v112, v104, v150
	v_add_f32_e32 v71, v71, v72
	v_mul_f32_e32 v72, v102, v147
	v_add_f32_e32 v111, v111, v112
	s_waitcnt vmcnt(13)
	v_mul_f32_e32 v112, v105, v151
	v_fma_f32 v72, v101, v148, -v72
	s_waitcnt vmcnt(12)
	v_fmac_f32_e32 v112, v106, v152
	v_add_f32_e32 v71, v71, v72
	v_mul_f32_e32 v72, v104, v149
	v_add_f32_e32 v111, v111, v112
	s_waitcnt vmcnt(11) lgkmcnt(0)
	v_mul_f32_e32 v112, v107, v153
	v_fma_f32 v72, v103, v150, -v72
	s_waitcnt vmcnt(10)
	v_fmac_f32_e32 v112, v108, v154
	v_add_f32_e32 v71, v71, v72
	v_mul_f32_e32 v72, v106, v151
	v_add_f32_e32 v115, v111, v112
	ds_read2_b64 v[111:114], v70 offset0:65 offset1:66
	v_fma_f32 v72, v105, v152, -v72
	v_add_f32_e32 v71, v71, v72
	v_mul_f32_e32 v72, v108, v153
	s_waitcnt vmcnt(9)
	v_mul_f32_e32 v116, v109, v155
	v_fma_f32 v72, v107, v154, -v72
	s_waitcnt vmcnt(8)
	v_fmac_f32_e32 v116, v110, v156
	v_add_f32_e32 v71, v71, v72
	v_mul_f32_e32 v72, v110, v155
	v_add_f32_e32 v165, v115, v116
	ds_read_b64 v[115:116], v70 offset:536
	v_fma_f32 v72, v109, v156, -v72
	v_add_f32_e32 v71, v71, v72
	s_waitcnt vmcnt(6) lgkmcnt(1)
	v_mul_f32_e32 v72, v112, v158
	v_mul_f32_e32 v166, v111, v158
	v_fma_f32 v72, v111, v157, -v72
	v_fmac_f32_e32 v166, v112, v157
	v_add_f32_e32 v71, v71, v72
	s_waitcnt vmcnt(3)
	v_mul_f32_e32 v72, v114, v161
	v_add_f32_e32 v165, v165, v166
	v_mul_f32_e32 v166, v113, v161
	s_waitcnt vmcnt(2)
	v_fma_f32 v72, v113, v162, -v72
	v_fmac_f32_e32 v166, v114, v162
	v_add_f32_e32 v71, v71, v72
	s_waitcnt vmcnt(0) lgkmcnt(0)
	v_mul_f32_e32 v72, v116, v164
	v_add_f32_e32 v165, v165, v166
	v_mul_f32_e32 v166, v115, v164
	v_fma_f32 v72, v115, v163, -v72
	v_fmac_f32_e32 v166, v116, v163
	v_add_f32_e32 v71, v71, v72
	v_add_f32_e32 v165, v165, v166
	v_sub_f32_e32 v71, v159, v71
	v_sub_f32_e32 v72, v160, v165
	buffer_store_dword v71, off, s[0:3], 0 offset:80
	buffer_store_dword v72, off, s[0:3], 0 offset:84
	s_and_saveexec_b64 s[4:5], vcc
	s_cbranch_execz .LBB33_199
; %bb.198:
	buffer_load_dword v71, off, s[0:3], 0 offset:72
	buffer_load_dword v72, off, s[0:3], 0 offset:76
	s_waitcnt vmcnt(0)
	ds_write_b64 v69, v[71:72]
	buffer_store_dword v70, off, s[0:3], 0 offset:72
	buffer_store_dword v70, off, s[0:3], 0 offset:76
.LBB33_199:
	s_or_b64 exec, exec, s[4:5]
	s_waitcnt lgkmcnt(0)
	; wave barrier
	buffer_load_dword v119, off, s[0:3], 0 offset:84
	buffer_load_dword v120, off, s[0:3], 0 offset:92
	;; [unrolled: 1-line block ×48, first 2 shown]
	ds_read_b128 v[71:74], v70 offset:352
	ds_read_b128 v[75:78], v70 offset:368
	buffer_load_dword v167, off, s[0:3], 0 offset:264
	buffer_load_dword v168, off, s[0:3], 0 offset:268
	ds_read_b128 v[79:82], v70 offset:384
	ds_read_b128 v[83:86], v70 offset:400
	;; [unrolled: 1-line block ×5, first 2 shown]
	v_cmp_lt_u32_e32 vcc, 8, v0
	s_waitcnt vmcnt(49) lgkmcnt(6)
	v_mul_f32_e32 v99, v71, v119
	s_waitcnt vmcnt(48)
	v_mul_f32_e32 v100, v73, v120
	s_waitcnt vmcnt(47) lgkmcnt(5)
	v_mul_f32_e32 v101, v75, v121
	s_waitcnt vmcnt(46)
	v_mul_f32_e32 v102, v77, v122
	;; [unrolled: 4-line block ×6, first 2 shown]
	s_waitcnt vmcnt(37)
	v_fmac_f32_e32 v99, v72, v131
	v_mul_f32_e32 v72, v72, v119
	v_fma_f32 v71, v71, v131, -v72
	v_mul_f32_e32 v72, v74, v120
	v_add_f32_e32 v71, 0, v71
	s_waitcnt vmcnt(36)
	v_fma_f32 v72, v73, v132, -v72
	v_add_f32_e32 v71, v71, v72
	v_mul_f32_e32 v72, v76, v121
	s_waitcnt vmcnt(35)
	v_fma_f32 v72, v75, v133, -v72
	v_fmac_f32_e32 v100, v74, v132
	v_add_f32_e32 v99, 0, v99
	v_add_f32_e32 v71, v71, v72
	v_mul_f32_e32 v72, v78, v122
	v_fmac_f32_e32 v101, v76, v133
	v_add_f32_e32 v99, v99, v100
	s_waitcnt vmcnt(34)
	v_fma_f32 v72, v77, v134, -v72
	v_fmac_f32_e32 v102, v78, v134
	v_add_f32_e32 v99, v99, v101
	v_add_f32_e32 v71, v71, v72
	v_mul_f32_e32 v72, v80, v123
	s_waitcnt vmcnt(33)
	v_fmac_f32_e32 v103, v80, v135
	v_add_f32_e32 v99, v99, v102
	v_fma_f32 v72, v79, v135, -v72
	s_waitcnt vmcnt(32)
	v_fmac_f32_e32 v104, v82, v136
	v_add_f32_e32 v99, v99, v103
	v_add_f32_e32 v71, v71, v72
	v_mul_f32_e32 v72, v82, v124
	s_waitcnt vmcnt(31)
	v_fmac_f32_e32 v105, v84, v137
	v_add_f32_e32 v99, v99, v104
	v_fma_f32 v72, v81, v136, -v72
	s_waitcnt vmcnt(30)
	;; [unrolled: 9-line block ×3, first 2 shown]
	v_fmac_f32_e32 v108, v90, v140
	v_add_f32_e32 v99, v99, v107
	v_add_f32_e32 v71, v71, v72
	v_mul_f32_e32 v72, v86, v126
	s_waitcnt vmcnt(27)
	v_fmac_f32_e32 v109, v92, v141
	v_add_f32_e32 v99, v99, v108
	v_fma_f32 v72, v85, v138, -v72
	v_add_f32_e32 v99, v99, v109
	s_waitcnt vmcnt(26)
	v_fmac_f32_e32 v110, v94, v142
	v_add_f32_e32 v71, v71, v72
	v_mul_f32_e32 v72, v88, v127
	v_add_f32_e32 v103, v99, v110
	ds_read_b128 v[99:102], v70 offset:464
	v_fma_f32 v72, v87, v139, -v72
	s_waitcnt vmcnt(25) lgkmcnt(1)
	v_mul_f32_e32 v104, v95, v143
	v_add_f32_e32 v71, v71, v72
	v_mul_f32_e32 v72, v90, v128
	s_waitcnt vmcnt(24)
	v_fmac_f32_e32 v104, v96, v144
	v_fma_f32 v72, v89, v140, -v72
	v_add_f32_e32 v103, v103, v104
	s_waitcnt vmcnt(23)
	v_mul_f32_e32 v104, v97, v145
	v_add_f32_e32 v71, v71, v72
	v_mul_f32_e32 v72, v92, v129
	s_waitcnt vmcnt(22)
	v_fmac_f32_e32 v104, v98, v146
	v_fma_f32 v72, v91, v141, -v72
	v_add_f32_e32 v103, v103, v104
	s_waitcnt vmcnt(21) lgkmcnt(0)
	v_mul_f32_e32 v104, v99, v147
	v_add_f32_e32 v71, v71, v72
	v_mul_f32_e32 v72, v94, v130
	s_waitcnt vmcnt(20)
	v_fmac_f32_e32 v104, v100, v148
	v_fma_f32 v72, v93, v142, -v72
	v_add_f32_e32 v107, v103, v104
	ds_read_b128 v[103:106], v70 offset:480
	v_add_f32_e32 v71, v71, v72
	v_mul_f32_e32 v72, v96, v143
	v_fma_f32 v72, v95, v144, -v72
	s_waitcnt vmcnt(19)
	v_mul_f32_e32 v108, v101, v149
	v_add_f32_e32 v71, v71, v72
	v_mul_f32_e32 v72, v98, v145
	s_waitcnt vmcnt(18)
	v_fmac_f32_e32 v108, v102, v150
	v_fma_f32 v72, v97, v146, -v72
	v_add_f32_e32 v111, v107, v108
	ds_read_b128 v[107:110], v70 offset:496
	v_add_f32_e32 v71, v71, v72
	v_mul_f32_e32 v72, v100, v147
	s_waitcnt vmcnt(17) lgkmcnt(1)
	v_mul_f32_e32 v112, v103, v151
	v_fma_f32 v72, v99, v148, -v72
	s_waitcnt vmcnt(16)
	v_fmac_f32_e32 v112, v104, v152
	v_add_f32_e32 v71, v71, v72
	v_mul_f32_e32 v72, v102, v149
	v_add_f32_e32 v111, v111, v112
	s_waitcnt vmcnt(15)
	v_mul_f32_e32 v112, v105, v153
	v_fma_f32 v72, v101, v150, -v72
	s_waitcnt vmcnt(14)
	v_fmac_f32_e32 v112, v106, v154
	v_add_f32_e32 v71, v71, v72
	v_mul_f32_e32 v72, v104, v151
	v_add_f32_e32 v111, v111, v112
	s_waitcnt vmcnt(13) lgkmcnt(0)
	v_mul_f32_e32 v112, v107, v155
	v_fma_f32 v72, v103, v152, -v72
	s_waitcnt vmcnt(12)
	v_fmac_f32_e32 v112, v108, v156
	v_add_f32_e32 v71, v71, v72
	v_mul_f32_e32 v72, v106, v153
	v_add_f32_e32 v115, v111, v112
	ds_read_b128 v[111:114], v70 offset:512
	v_fma_f32 v72, v105, v154, -v72
	v_add_f32_e32 v71, v71, v72
	v_mul_f32_e32 v72, v108, v155
	s_waitcnt vmcnt(11)
	v_mul_f32_e32 v116, v109, v157
	v_fma_f32 v72, v107, v156, -v72
	s_waitcnt vmcnt(10)
	v_fmac_f32_e32 v116, v110, v158
	v_add_f32_e32 v71, v71, v72
	v_mul_f32_e32 v72, v110, v157
	v_add_f32_e32 v169, v115, v116
	ds_read_b128 v[115:118], v70 offset:528
	v_fma_f32 v72, v109, v158, -v72
	v_add_f32_e32 v71, v71, v72
	s_waitcnt vmcnt(7) lgkmcnt(1)
	v_mul_f32_e32 v72, v112, v161
	v_mul_f32_e32 v70, v111, v161
	s_waitcnt vmcnt(6)
	v_fma_f32 v72, v111, v162, -v72
	v_fmac_f32_e32 v70, v112, v162
	v_add_f32_e32 v71, v71, v72
	s_waitcnt vmcnt(4)
	v_mul_f32_e32 v72, v114, v164
	v_add_f32_e32 v70, v169, v70
	v_mul_f32_e32 v169, v113, v164
	v_fma_f32 v72, v113, v163, -v72
	v_fmac_f32_e32 v169, v114, v163
	v_add_f32_e32 v71, v71, v72
	s_waitcnt vmcnt(2) lgkmcnt(0)
	v_mul_f32_e32 v72, v116, v166
	v_add_f32_e32 v70, v70, v169
	v_mul_f32_e32 v169, v115, v166
	v_fma_f32 v72, v115, v165, -v72
	v_fmac_f32_e32 v169, v116, v165
	v_add_f32_e32 v71, v71, v72
	s_waitcnt vmcnt(0)
	v_mul_f32_e32 v72, v118, v168
	v_add_f32_e32 v70, v70, v169
	v_mul_f32_e32 v169, v117, v168
	v_fma_f32 v72, v117, v167, -v72
	v_fmac_f32_e32 v169, v118, v167
	v_add_f32_e32 v71, v71, v72
	v_add_f32_e32 v70, v70, v169
	v_sub_f32_e32 v71, v159, v71
	v_sub_f32_e32 v70, v160, v70
	buffer_store_dword v71, off, s[0:3], 0 offset:72
	buffer_store_dword v70, off, s[0:3], 0 offset:76
	s_and_saveexec_b64 s[4:5], vcc
	s_cbranch_execz .LBB33_201
; %bb.200:
	buffer_load_dword v70, off, s[0:3], 0 offset:64
	buffer_load_dword v71, off, s[0:3], 0 offset:68
	v_mov_b32_e32 v72, 0
	buffer_store_dword v72, off, s[0:3], 0 offset:64
	buffer_store_dword v72, off, s[0:3], 0 offset:68
	s_waitcnt vmcnt(2)
	ds_write_b64 v69, v[70:71]
.LBB33_201:
	s_or_b64 exec, exec, s[4:5]
	s_waitcnt lgkmcnt(0)
	; wave barrier
	buffer_load_dword v121, off, s[0:3], 0 offset:76
	buffer_load_dword v122, off, s[0:3], 0 offset:84
	;; [unrolled: 1-line block ×52, first 2 shown]
	v_mov_b32_e32 v70, 0
	ds_read2_b64 v[71:74], v70 offset0:43 offset1:44
	ds_read2_b64 v[75:78], v70 offset0:45 offset1:46
	;; [unrolled: 1-line block ×6, first 2 shown]
	v_cmp_lt_u32_e32 vcc, 7, v0
	s_waitcnt vmcnt(51) lgkmcnt(5)
	v_mul_f32_e32 v95, v71, v121
	s_waitcnt vmcnt(50)
	v_mul_f32_e32 v96, v73, v122
	s_waitcnt vmcnt(49) lgkmcnt(4)
	v_mul_f32_e32 v97, v75, v123
	s_waitcnt vmcnt(48)
	v_mul_f32_e32 v98, v77, v124
	s_waitcnt vmcnt(47) lgkmcnt(3)
	v_mul_f32_e32 v99, v79, v125
	s_waitcnt vmcnt(46)
	v_mul_f32_e32 v100, v81, v126
	s_waitcnt vmcnt(45) lgkmcnt(2)
	v_mul_f32_e32 v101, v83, v127
	s_waitcnt vmcnt(44)
	v_mul_f32_e32 v102, v85, v128
	s_waitcnt vmcnt(43) lgkmcnt(1)
	v_mul_f32_e32 v103, v87, v129
	s_waitcnt vmcnt(42)
	v_mul_f32_e32 v104, v89, v130
	s_waitcnt vmcnt(41) lgkmcnt(0)
	v_mul_f32_e32 v105, v91, v131
	s_waitcnt vmcnt(40)
	v_fmac_f32_e32 v95, v72, v132
	v_mul_f32_e32 v72, v72, v121
	s_waitcnt vmcnt(39)
	v_fmac_f32_e32 v96, v74, v133
	v_add_f32_e32 v95, 0, v95
	v_fma_f32 v71, v71, v132, -v72
	v_mul_f32_e32 v72, v74, v122
	s_waitcnt vmcnt(38)
	v_fmac_f32_e32 v97, v76, v134
	v_add_f32_e32 v95, v95, v96
	v_add_f32_e32 v71, 0, v71
	v_fma_f32 v72, v73, v133, -v72
	s_waitcnt vmcnt(37)
	v_fmac_f32_e32 v98, v78, v135
	v_add_f32_e32 v95, v95, v97
	v_add_f32_e32 v71, v71, v72
	v_mul_f32_e32 v72, v76, v123
	s_waitcnt vmcnt(36)
	v_fmac_f32_e32 v99, v80, v136
	v_add_f32_e32 v95, v95, v98
	v_fma_f32 v72, v75, v134, -v72
	s_waitcnt vmcnt(35)
	v_fmac_f32_e32 v100, v82, v137
	v_add_f32_e32 v95, v95, v99
	v_add_f32_e32 v71, v71, v72
	v_mul_f32_e32 v72, v78, v124
	s_waitcnt vmcnt(34)
	v_fmac_f32_e32 v101, v84, v138
	v_add_f32_e32 v95, v95, v100
	v_fma_f32 v72, v77, v135, -v72
	s_waitcnt vmcnt(33)
	v_fmac_f32_e32 v102, v86, v139
	v_add_f32_e32 v95, v95, v101
	v_add_f32_e32 v71, v71, v72
	v_mul_f32_e32 v72, v80, v125
	s_waitcnt vmcnt(32)
	v_fmac_f32_e32 v103, v88, v140
	v_add_f32_e32 v95, v95, v102
	v_fma_f32 v72, v79, v136, -v72
	s_waitcnt vmcnt(31)
	v_fmac_f32_e32 v104, v90, v141
	v_add_f32_e32 v95, v95, v103
	v_add_f32_e32 v71, v71, v72
	v_mul_f32_e32 v72, v82, v126
	v_add_f32_e32 v95, v95, v104
	s_waitcnt vmcnt(30)
	v_fmac_f32_e32 v105, v92, v142
	v_fma_f32 v72, v81, v137, -v72
	v_add_f32_e32 v99, v95, v105
	ds_read2_b64 v[95:98], v70 offset0:55 offset1:56
	v_add_f32_e32 v71, v71, v72
	v_mul_f32_e32 v72, v84, v127
	v_fma_f32 v72, v83, v138, -v72
	s_waitcnt vmcnt(29)
	v_mul_f32_e32 v100, v93, v143
	v_add_f32_e32 v71, v71, v72
	v_mul_f32_e32 v72, v86, v128
	s_waitcnt vmcnt(28)
	v_fmac_f32_e32 v100, v94, v144
	v_fma_f32 v72, v85, v139, -v72
	v_add_f32_e32 v103, v99, v100
	ds_read2_b64 v[99:102], v70 offset0:57 offset1:58
	v_add_f32_e32 v71, v71, v72
	v_mul_f32_e32 v72, v88, v129
	s_waitcnt vmcnt(27) lgkmcnt(1)
	v_mul_f32_e32 v104, v95, v145
	v_fma_f32 v72, v87, v140, -v72
	s_waitcnt vmcnt(26)
	v_fmac_f32_e32 v104, v96, v146
	v_add_f32_e32 v71, v71, v72
	v_mul_f32_e32 v72, v90, v130
	v_add_f32_e32 v103, v103, v104
	s_waitcnt vmcnt(25)
	v_mul_f32_e32 v104, v97, v147
	v_fma_f32 v72, v89, v141, -v72
	s_waitcnt vmcnt(24)
	v_fmac_f32_e32 v104, v98, v148
	v_add_f32_e32 v71, v71, v72
	v_mul_f32_e32 v72, v92, v131
	v_add_f32_e32 v103, v103, v104
	s_waitcnt vmcnt(23) lgkmcnt(0)
	v_mul_f32_e32 v104, v99, v149
	v_fma_f32 v72, v91, v142, -v72
	s_waitcnt vmcnt(22)
	v_fmac_f32_e32 v104, v100, v150
	v_add_f32_e32 v71, v71, v72
	v_mul_f32_e32 v72, v94, v143
	v_add_f32_e32 v107, v103, v104
	ds_read2_b64 v[103:106], v70 offset0:59 offset1:60
	v_fma_f32 v72, v93, v144, -v72
	v_add_f32_e32 v71, v71, v72
	v_mul_f32_e32 v72, v96, v145
	s_waitcnt vmcnt(21)
	v_mul_f32_e32 v108, v101, v151
	v_fma_f32 v72, v95, v146, -v72
	s_waitcnt vmcnt(20)
	v_fmac_f32_e32 v108, v102, v152
	v_add_f32_e32 v71, v71, v72
	v_mul_f32_e32 v72, v98, v147
	v_add_f32_e32 v111, v107, v108
	ds_read2_b64 v[107:110], v70 offset0:61 offset1:62
	v_fma_f32 v72, v97, v148, -v72
	s_waitcnt vmcnt(19) lgkmcnt(1)
	v_mul_f32_e32 v112, v103, v153
	v_add_f32_e32 v71, v71, v72
	v_mul_f32_e32 v72, v100, v149
	s_waitcnt vmcnt(18)
	v_fmac_f32_e32 v112, v104, v154
	v_fma_f32 v72, v99, v150, -v72
	v_add_f32_e32 v111, v111, v112
	s_waitcnt vmcnt(17)
	v_mul_f32_e32 v112, v105, v155
	v_add_f32_e32 v71, v71, v72
	v_mul_f32_e32 v72, v102, v151
	s_waitcnt vmcnt(16)
	v_fmac_f32_e32 v112, v106, v156
	v_fma_f32 v72, v101, v152, -v72
	v_add_f32_e32 v111, v111, v112
	s_waitcnt vmcnt(14) lgkmcnt(0)
	v_mul_f32_e32 v112, v107, v158
	v_add_f32_e32 v71, v71, v72
	v_mul_f32_e32 v72, v104, v153
	v_fmac_f32_e32 v112, v108, v157
	v_fma_f32 v72, v103, v154, -v72
	v_add_f32_e32 v115, v111, v112
	ds_read2_b64 v[111:114], v70 offset0:63 offset1:64
	v_add_f32_e32 v71, v71, v72
	v_mul_f32_e32 v72, v106, v155
	v_fma_f32 v72, v105, v156, -v72
	v_add_f32_e32 v71, v71, v72
	v_mul_f32_e32 v72, v108, v158
	s_waitcnt vmcnt(11)
	v_mul_f32_e32 v116, v109, v161
	v_fma_f32 v72, v107, v157, -v72
	s_waitcnt vmcnt(10)
	v_fmac_f32_e32 v116, v110, v162
	v_add_f32_e32 v71, v71, v72
	v_mul_f32_e32 v72, v110, v161
	v_add_f32_e32 v119, v115, v116
	ds_read2_b64 v[115:118], v70 offset0:65 offset1:66
	s_waitcnt vmcnt(8) lgkmcnt(1)
	v_mul_f32_e32 v120, v111, v164
	v_fma_f32 v72, v109, v162, -v72
	v_fmac_f32_e32 v120, v112, v163
	v_add_f32_e32 v71, v71, v72
	v_mul_f32_e32 v72, v112, v164
	v_add_f32_e32 v119, v119, v120
	s_waitcnt vmcnt(6)
	v_mul_f32_e32 v120, v113, v166
	v_fma_f32 v72, v111, v163, -v72
	v_fmac_f32_e32 v120, v114, v165
	v_add_f32_e32 v71, v71, v72
	v_mul_f32_e32 v72, v114, v166
	v_add_f32_e32 v173, v119, v120
	ds_read_b64 v[119:120], v70 offset:536
	v_fma_f32 v72, v113, v165, -v72
	v_add_f32_e32 v71, v71, v72
	s_waitcnt vmcnt(4) lgkmcnt(1)
	v_mul_f32_e32 v72, v116, v168
	v_mul_f32_e32 v174, v115, v168
	v_fma_f32 v72, v115, v167, -v72
	v_fmac_f32_e32 v174, v116, v167
	v_add_f32_e32 v71, v71, v72
	s_waitcnt vmcnt(2)
	v_mul_f32_e32 v72, v118, v170
	v_add_f32_e32 v173, v173, v174
	v_mul_f32_e32 v174, v117, v170
	v_fma_f32 v72, v117, v169, -v72
	v_fmac_f32_e32 v174, v118, v169
	v_add_f32_e32 v71, v71, v72
	s_waitcnt vmcnt(0) lgkmcnt(0)
	v_mul_f32_e32 v72, v120, v172
	v_add_f32_e32 v173, v173, v174
	v_mul_f32_e32 v174, v119, v172
	v_fma_f32 v72, v119, v171, -v72
	v_fmac_f32_e32 v174, v120, v171
	v_add_f32_e32 v71, v71, v72
	v_add_f32_e32 v173, v173, v174
	v_sub_f32_e32 v71, v159, v71
	v_sub_f32_e32 v72, v160, v173
	buffer_store_dword v71, off, s[0:3], 0 offset:64
	buffer_store_dword v72, off, s[0:3], 0 offset:68
	s_and_saveexec_b64 s[4:5], vcc
	s_cbranch_execz .LBB33_203
; %bb.202:
	buffer_load_dword v71, off, s[0:3], 0 offset:56
	buffer_load_dword v72, off, s[0:3], 0 offset:60
	s_waitcnt vmcnt(0)
	ds_write_b64 v69, v[71:72]
	buffer_store_dword v70, off, s[0:3], 0 offset:56
	buffer_store_dword v70, off, s[0:3], 0 offset:60
.LBB33_203:
	s_or_b64 exec, exec, s[4:5]
	s_waitcnt lgkmcnt(0)
	; wave barrier
	buffer_load_dword v123, off, s[0:3], 0 offset:68
	buffer_load_dword v124, off, s[0:3], 0 offset:76
	;; [unrolled: 1-line block ×42, first 2 shown]
	ds_read_b128 v[71:74], v70 offset:336
	ds_read_b128 v[75:78], v70 offset:352
	;; [unrolled: 1-line block ×4, first 2 shown]
	buffer_load_dword v165, off, s[0:3], 0 offset:228
	buffer_load_dword v166, off, s[0:3], 0 offset:224
	buffer_load_dword v167, off, s[0:3], 0 offset:232
	buffer_load_dword v168, off, s[0:3], 0 offset:236
	buffer_load_dword v169, off, s[0:3], 0 offset:240
	buffer_load_dword v170, off, s[0:3], 0 offset:244
	ds_read_b128 v[87:90], v70 offset:400
	ds_read_b128 v[91:94], v70 offset:416
	buffer_load_dword v171, off, s[0:3], 0 offset:248
	buffer_load_dword v172, off, s[0:3], 0 offset:252
	;; [unrolled: 1-line block ×6, first 2 shown]
	v_cmp_lt_u32_e32 vcc, 6, v0
	s_waitcnt vmcnt(53) lgkmcnt(5)
	v_mul_f32_e32 v95, v71, v123
	s_waitcnt vmcnt(52)
	v_mul_f32_e32 v96, v73, v124
	s_waitcnt vmcnt(51) lgkmcnt(4)
	v_mul_f32_e32 v97, v75, v125
	s_waitcnt vmcnt(50)
	v_mul_f32_e32 v98, v77, v126
	;; [unrolled: 4-line block ×5, first 2 shown]
	s_waitcnt vmcnt(43)
	v_fmac_f32_e32 v95, v72, v133
	v_mul_f32_e32 v72, v72, v123
	s_waitcnt vmcnt(42)
	v_fmac_f32_e32 v96, v74, v134
	v_add_f32_e32 v95, 0, v95
	v_fma_f32 v71, v71, v133, -v72
	v_mul_f32_e32 v72, v74, v124
	s_waitcnt vmcnt(41)
	v_fmac_f32_e32 v97, v76, v135
	v_add_f32_e32 v95, v95, v96
	v_add_f32_e32 v71, 0, v71
	v_fma_f32 v72, v73, v134, -v72
	s_waitcnt vmcnt(40)
	v_fmac_f32_e32 v98, v78, v136
	v_add_f32_e32 v95, v95, v97
	v_add_f32_e32 v71, v71, v72
	v_mul_f32_e32 v72, v76, v125
	s_waitcnt vmcnt(39)
	v_fmac_f32_e32 v99, v80, v137
	v_add_f32_e32 v95, v95, v98
	v_fma_f32 v72, v75, v135, -v72
	s_waitcnt vmcnt(38)
	v_fmac_f32_e32 v100, v82, v138
	v_add_f32_e32 v95, v95, v99
	v_add_f32_e32 v71, v71, v72
	v_mul_f32_e32 v72, v78, v126
	s_waitcnt vmcnt(37)
	v_fmac_f32_e32 v101, v84, v139
	;; [unrolled: 9-line block ×3, first 2 shown]
	v_add_f32_e32 v95, v95, v102
	v_fma_f32 v72, v79, v137, -v72
	s_waitcnt vmcnt(34)
	v_fmac_f32_e32 v104, v90, v142
	v_add_f32_e32 v95, v95, v103
	s_waitcnt vmcnt(33) lgkmcnt(0)
	v_mul_f32_e32 v96, v91, v143
	v_add_f32_e32 v71, v71, v72
	v_mul_f32_e32 v72, v82, v128
	v_add_f32_e32 v95, v95, v104
	s_waitcnt vmcnt(32)
	v_fmac_f32_e32 v96, v92, v144
	v_fma_f32 v72, v81, v138, -v72
	v_add_f32_e32 v99, v95, v96
	ds_read_b128 v[95:98], v70 offset:432
	v_add_f32_e32 v71, v71, v72
	v_mul_f32_e32 v72, v84, v129
	v_fma_f32 v72, v83, v139, -v72
	s_waitcnt vmcnt(31)
	v_mul_f32_e32 v100, v93, v145
	v_add_f32_e32 v71, v71, v72
	v_mul_f32_e32 v72, v86, v130
	s_waitcnt vmcnt(30)
	v_fmac_f32_e32 v100, v94, v146
	v_fma_f32 v72, v85, v140, -v72
	v_add_f32_e32 v103, v99, v100
	ds_read_b128 v[99:102], v70 offset:448
	v_add_f32_e32 v71, v71, v72
	v_mul_f32_e32 v72, v88, v131
	s_waitcnt vmcnt(29) lgkmcnt(1)
	v_mul_f32_e32 v104, v95, v147
	v_fma_f32 v72, v87, v141, -v72
	s_waitcnt vmcnt(28)
	v_fmac_f32_e32 v104, v96, v148
	v_add_f32_e32 v71, v71, v72
	v_mul_f32_e32 v72, v90, v132
	v_add_f32_e32 v103, v103, v104
	s_waitcnt vmcnt(27)
	v_mul_f32_e32 v104, v97, v149
	v_fma_f32 v72, v89, v142, -v72
	s_waitcnt vmcnt(26)
	v_fmac_f32_e32 v104, v98, v150
	v_add_f32_e32 v71, v71, v72
	v_mul_f32_e32 v72, v92, v143
	v_add_f32_e32 v103, v103, v104
	s_waitcnt vmcnt(25) lgkmcnt(0)
	v_mul_f32_e32 v104, v99, v151
	v_fma_f32 v72, v91, v144, -v72
	s_waitcnt vmcnt(24)
	v_fmac_f32_e32 v104, v100, v152
	v_add_f32_e32 v71, v71, v72
	v_mul_f32_e32 v72, v94, v145
	v_add_f32_e32 v107, v103, v104
	ds_read_b128 v[103:106], v70 offset:464
	v_fma_f32 v72, v93, v146, -v72
	v_add_f32_e32 v71, v71, v72
	v_mul_f32_e32 v72, v96, v147
	s_waitcnt vmcnt(23)
	v_mul_f32_e32 v108, v101, v153
	v_fma_f32 v72, v95, v148, -v72
	s_waitcnt vmcnt(22)
	v_fmac_f32_e32 v108, v102, v154
	v_add_f32_e32 v71, v71, v72
	v_mul_f32_e32 v72, v98, v149
	v_add_f32_e32 v111, v107, v108
	ds_read_b128 v[107:110], v70 offset:480
	v_fma_f32 v72, v97, v150, -v72
	s_waitcnt vmcnt(21) lgkmcnt(1)
	v_mul_f32_e32 v112, v103, v155
	v_add_f32_e32 v71, v71, v72
	v_mul_f32_e32 v72, v100, v151
	s_waitcnt vmcnt(20)
	v_fmac_f32_e32 v112, v104, v156
	v_fma_f32 v72, v99, v152, -v72
	v_add_f32_e32 v111, v111, v112
	s_waitcnt vmcnt(18)
	v_mul_f32_e32 v112, v105, v158
	v_add_f32_e32 v71, v71, v72
	v_mul_f32_e32 v72, v102, v153
	v_fmac_f32_e32 v112, v106, v157
	v_fma_f32 v72, v101, v154, -v72
	v_add_f32_e32 v111, v111, v112
	s_waitcnt vmcnt(15) lgkmcnt(0)
	v_mul_f32_e32 v112, v107, v161
	v_add_f32_e32 v71, v71, v72
	v_mul_f32_e32 v72, v104, v155
	s_waitcnt vmcnt(14)
	v_fmac_f32_e32 v112, v108, v162
	v_fma_f32 v72, v103, v156, -v72
	v_add_f32_e32 v115, v111, v112
	ds_read_b128 v[111:114], v70 offset:496
	v_add_f32_e32 v71, v71, v72
	v_mul_f32_e32 v72, v106, v158
	v_fma_f32 v72, v105, v157, -v72
	v_add_f32_e32 v71, v71, v72
	v_mul_f32_e32 v72, v108, v161
	s_waitcnt vmcnt(12)
	v_mul_f32_e32 v116, v109, v164
	v_fma_f32 v72, v107, v162, -v72
	v_fmac_f32_e32 v116, v110, v163
	v_add_f32_e32 v71, v71, v72
	v_mul_f32_e32 v72, v110, v164
	v_add_f32_e32 v119, v115, v116
	ds_read_b128 v[115:118], v70 offset:512
	s_waitcnt vmcnt(11) lgkmcnt(1)
	v_mul_f32_e32 v120, v111, v165
	v_fma_f32 v72, v109, v163, -v72
	s_waitcnt vmcnt(10)
	v_fmac_f32_e32 v120, v112, v166
	v_add_f32_e32 v71, v71, v72
	v_mul_f32_e32 v72, v112, v165
	v_add_f32_e32 v119, v119, v120
	s_waitcnt vmcnt(8)
	v_mul_f32_e32 v120, v113, v168
	v_fma_f32 v72, v111, v166, -v72
	v_fmac_f32_e32 v120, v114, v167
	v_add_f32_e32 v71, v71, v72
	v_mul_f32_e32 v72, v114, v168
	v_add_f32_e32 v177, v119, v120
	ds_read_b128 v[119:122], v70 offset:528
	v_fma_f32 v72, v113, v167, -v72
	v_add_f32_e32 v71, v71, v72
	s_waitcnt vmcnt(6) lgkmcnt(1)
	v_mul_f32_e32 v72, v116, v170
	v_mul_f32_e32 v178, v115, v170
	v_fma_f32 v72, v115, v169, -v72
	v_fmac_f32_e32 v178, v116, v169
	v_add_f32_e32 v71, v71, v72
	s_waitcnt vmcnt(4)
	v_mul_f32_e32 v72, v118, v172
	v_add_f32_e32 v70, v177, v178
	v_mul_f32_e32 v177, v117, v172
	v_fma_f32 v72, v117, v171, -v72
	v_fmac_f32_e32 v177, v118, v171
	v_add_f32_e32 v71, v71, v72
	s_waitcnt vmcnt(2) lgkmcnt(0)
	v_mul_f32_e32 v72, v120, v174
	v_add_f32_e32 v70, v70, v177
	v_mul_f32_e32 v177, v119, v174
	v_fma_f32 v72, v119, v173, -v72
	v_fmac_f32_e32 v177, v120, v173
	v_add_f32_e32 v71, v71, v72
	s_waitcnt vmcnt(0)
	v_mul_f32_e32 v72, v122, v176
	v_add_f32_e32 v70, v70, v177
	v_mul_f32_e32 v177, v121, v176
	v_fma_f32 v72, v121, v175, -v72
	v_fmac_f32_e32 v177, v122, v175
	v_add_f32_e32 v71, v71, v72
	v_add_f32_e32 v70, v70, v177
	v_sub_f32_e32 v71, v159, v71
	v_sub_f32_e32 v70, v160, v70
	buffer_store_dword v71, off, s[0:3], 0 offset:56
	buffer_store_dword v70, off, s[0:3], 0 offset:60
	s_and_saveexec_b64 s[4:5], vcc
	s_cbranch_execz .LBB33_205
; %bb.204:
	buffer_load_dword v70, off, s[0:3], 0 offset:48
	buffer_load_dword v71, off, s[0:3], 0 offset:52
	v_mov_b32_e32 v72, 0
	buffer_store_dword v72, off, s[0:3], 0 offset:48
	buffer_store_dword v72, off, s[0:3], 0 offset:52
	s_waitcnt vmcnt(2)
	ds_write_b64 v69, v[70:71]
.LBB33_205:
	s_or_b64 exec, exec, s[4:5]
	s_waitcnt lgkmcnt(0)
	; wave barrier
	buffer_load_dword v125, off, s[0:3], 0 offset:60
	buffer_load_dword v126, off, s[0:3], 0 offset:68
	;; [unrolled: 1-line block ×56, first 2 shown]
	v_mov_b32_e32 v70, 0
	ds_read2_b64 v[71:74], v70 offset0:41 offset1:42
	ds_read2_b64 v[75:78], v70 offset0:43 offset1:44
	ds_read2_b64 v[79:82], v70 offset0:45 offset1:46
	ds_read2_b64 v[83:86], v70 offset0:47 offset1:48
	ds_read2_b64 v[87:90], v70 offset0:49 offset1:50
	ds_read2_b64 v[91:94], v70 offset0:51 offset1:52
	v_cmp_lt_u32_e32 vcc, 5, v0
	s_waitcnt vmcnt(55) lgkmcnt(5)
	v_mul_f32_e32 v95, v71, v125
	s_waitcnt vmcnt(54)
	v_mul_f32_e32 v96, v73, v126
	s_waitcnt vmcnt(53) lgkmcnt(4)
	v_mul_f32_e32 v97, v75, v127
	s_waitcnt vmcnt(52)
	v_mul_f32_e32 v98, v77, v128
	;; [unrolled: 4-line block ×4, first 2 shown]
	s_waitcnt vmcnt(47) lgkmcnt(1)
	v_mul_f32_e32 v103, v87, v133
	s_waitcnt vmcnt(46)
	v_fmac_f32_e32 v95, v72, v134
	s_waitcnt vmcnt(45)
	v_fmac_f32_e32 v96, v74, v135
	v_add_f32_e32 v95, 0, v95
	s_waitcnt vmcnt(44)
	v_fmac_f32_e32 v97, v76, v136
	v_add_f32_e32 v95, v95, v96
	;; [unrolled: 3-line block ×3, first 2 shown]
	v_mul_f32_e32 v72, v72, v125
	s_waitcnt vmcnt(42)
	v_fmac_f32_e32 v99, v80, v138
	v_add_f32_e32 v95, v95, v98
	v_fma_f32 v71, v71, v134, -v72
	v_mul_f32_e32 v72, v74, v126
	s_waitcnt vmcnt(41)
	v_fmac_f32_e32 v100, v82, v139
	v_add_f32_e32 v95, v95, v99
	v_add_f32_e32 v71, 0, v71
	v_fma_f32 v72, v73, v135, -v72
	s_waitcnt vmcnt(40)
	v_fmac_f32_e32 v101, v84, v140
	v_add_f32_e32 v95, v95, v100
	v_add_f32_e32 v71, v71, v72
	v_mul_f32_e32 v72, v76, v127
	s_waitcnt vmcnt(39)
	v_fmac_f32_e32 v102, v86, v141
	v_add_f32_e32 v95, v95, v101
	v_fma_f32 v72, v75, v136, -v72
	v_add_f32_e32 v95, v95, v102
	s_waitcnt vmcnt(38)
	v_fmac_f32_e32 v103, v88, v142
	s_waitcnt vmcnt(37)
	v_mul_f32_e32 v96, v89, v143
	v_add_f32_e32 v71, v71, v72
	v_mul_f32_e32 v72, v78, v128
	v_add_f32_e32 v95, v95, v103
	s_waitcnt vmcnt(36)
	v_fmac_f32_e32 v96, v90, v144
	v_fma_f32 v72, v77, v137, -v72
	v_add_f32_e32 v95, v95, v96
	s_waitcnt vmcnt(35) lgkmcnt(0)
	v_mul_f32_e32 v96, v91, v145
	v_add_f32_e32 v71, v71, v72
	v_mul_f32_e32 v72, v80, v129
	s_waitcnt vmcnt(34)
	v_fmac_f32_e32 v96, v92, v146
	v_fma_f32 v72, v79, v138, -v72
	v_add_f32_e32 v99, v95, v96
	ds_read2_b64 v[95:98], v70 offset0:53 offset1:54
	v_add_f32_e32 v71, v71, v72
	v_mul_f32_e32 v72, v82, v130
	v_fma_f32 v72, v81, v139, -v72
	s_waitcnt vmcnt(33)
	v_mul_f32_e32 v100, v93, v147
	v_add_f32_e32 v71, v71, v72
	v_mul_f32_e32 v72, v84, v131
	s_waitcnt vmcnt(32)
	v_fmac_f32_e32 v100, v94, v148
	v_fma_f32 v72, v83, v140, -v72
	v_add_f32_e32 v103, v99, v100
	ds_read2_b64 v[99:102], v70 offset0:55 offset1:56
	v_add_f32_e32 v71, v71, v72
	v_mul_f32_e32 v72, v86, v132
	s_waitcnt vmcnt(31) lgkmcnt(1)
	v_mul_f32_e32 v104, v95, v149
	v_fma_f32 v72, v85, v141, -v72
	s_waitcnt vmcnt(30)
	v_fmac_f32_e32 v104, v96, v150
	v_add_f32_e32 v71, v71, v72
	v_mul_f32_e32 v72, v88, v133
	v_add_f32_e32 v103, v103, v104
	s_waitcnt vmcnt(29)
	v_mul_f32_e32 v104, v97, v151
	v_fma_f32 v72, v87, v142, -v72
	s_waitcnt vmcnt(28)
	v_fmac_f32_e32 v104, v98, v152
	v_add_f32_e32 v71, v71, v72
	v_mul_f32_e32 v72, v90, v143
	v_add_f32_e32 v103, v103, v104
	s_waitcnt vmcnt(27) lgkmcnt(0)
	v_mul_f32_e32 v104, v99, v153
	v_fma_f32 v72, v89, v144, -v72
	s_waitcnt vmcnt(26)
	v_fmac_f32_e32 v104, v100, v154
	v_add_f32_e32 v71, v71, v72
	v_mul_f32_e32 v72, v92, v145
	v_add_f32_e32 v107, v103, v104
	ds_read2_b64 v[103:106], v70 offset0:57 offset1:58
	v_fma_f32 v72, v91, v146, -v72
	v_add_f32_e32 v71, v71, v72
	v_mul_f32_e32 v72, v94, v147
	s_waitcnt vmcnt(24)
	v_mul_f32_e32 v108, v101, v156
	v_fma_f32 v72, v93, v148, -v72
	v_fmac_f32_e32 v108, v102, v155
	v_add_f32_e32 v71, v71, v72
	v_mul_f32_e32 v72, v96, v149
	v_add_f32_e32 v111, v107, v108
	ds_read2_b64 v[107:110], v70 offset0:59 offset1:60
	v_fma_f32 v72, v95, v150, -v72
	s_waitcnt vmcnt(21) lgkmcnt(1)
	v_mul_f32_e32 v112, v103, v159
	v_add_f32_e32 v71, v71, v72
	v_mul_f32_e32 v72, v98, v151
	s_waitcnt vmcnt(20)
	v_fmac_f32_e32 v112, v104, v160
	v_fma_f32 v72, v97, v152, -v72
	v_add_f32_e32 v111, v111, v112
	s_waitcnt vmcnt(18)
	v_mul_f32_e32 v112, v105, v162
	v_add_f32_e32 v71, v71, v72
	v_mul_f32_e32 v72, v100, v153
	v_fmac_f32_e32 v112, v106, v161
	v_fma_f32 v72, v99, v154, -v72
	v_add_f32_e32 v111, v111, v112
	s_waitcnt vmcnt(16) lgkmcnt(0)
	v_mul_f32_e32 v112, v107, v164
	v_add_f32_e32 v71, v71, v72
	v_mul_f32_e32 v72, v102, v156
	v_fmac_f32_e32 v112, v108, v163
	v_fma_f32 v72, v101, v155, -v72
	v_add_f32_e32 v115, v111, v112
	ds_read2_b64 v[111:114], v70 offset0:61 offset1:62
	v_add_f32_e32 v71, v71, v72
	v_mul_f32_e32 v72, v104, v159
	v_fma_f32 v72, v103, v160, -v72
	s_waitcnt vmcnt(14)
	v_mul_f32_e32 v116, v109, v166
	v_add_f32_e32 v71, v71, v72
	v_mul_f32_e32 v72, v106, v162
	v_fmac_f32_e32 v116, v110, v165
	v_fma_f32 v72, v105, v161, -v72
	v_add_f32_e32 v119, v115, v116
	ds_read2_b64 v[115:118], v70 offset0:63 offset1:64
	v_add_f32_e32 v71, v71, v72
	v_mul_f32_e32 v72, v108, v164
	s_waitcnt vmcnt(12) lgkmcnt(1)
	v_mul_f32_e32 v120, v111, v168
	v_fma_f32 v72, v107, v163, -v72
	v_fmac_f32_e32 v120, v112, v167
	v_add_f32_e32 v71, v71, v72
	v_mul_f32_e32 v72, v110, v166
	v_add_f32_e32 v119, v119, v120
	s_waitcnt vmcnt(10)
	v_mul_f32_e32 v120, v113, v170
	v_fma_f32 v72, v109, v165, -v72
	v_fmac_f32_e32 v120, v114, v169
	v_add_f32_e32 v71, v71, v72
	v_mul_f32_e32 v72, v112, v168
	v_add_f32_e32 v119, v119, v120
	s_waitcnt vmcnt(8) lgkmcnt(0)
	v_mul_f32_e32 v120, v115, v172
	v_fma_f32 v72, v111, v167, -v72
	v_fmac_f32_e32 v120, v116, v171
	v_add_f32_e32 v71, v71, v72
	v_mul_f32_e32 v72, v114, v170
	v_add_f32_e32 v123, v119, v120
	ds_read2_b64 v[119:122], v70 offset0:65 offset1:66
	v_fma_f32 v72, v113, v169, -v72
	v_add_f32_e32 v71, v71, v72
	v_mul_f32_e32 v72, v116, v172
	s_waitcnt vmcnt(6)
	v_mul_f32_e32 v124, v117, v174
	v_fma_f32 v72, v115, v171, -v72
	v_fmac_f32_e32 v124, v118, v173
	v_add_f32_e32 v71, v71, v72
	v_mul_f32_e32 v72, v118, v174
	v_add_f32_e32 v181, v123, v124
	ds_read_b64 v[123:124], v70 offset:536
	v_fma_f32 v72, v117, v173, -v72
	v_add_f32_e32 v71, v71, v72
	s_waitcnt vmcnt(4) lgkmcnt(1)
	v_mul_f32_e32 v72, v120, v176
	v_mul_f32_e32 v182, v119, v176
	v_fma_f32 v72, v119, v175, -v72
	v_fmac_f32_e32 v182, v120, v175
	v_add_f32_e32 v71, v71, v72
	s_waitcnt vmcnt(2)
	v_mul_f32_e32 v72, v122, v178
	v_add_f32_e32 v181, v181, v182
	v_mul_f32_e32 v182, v121, v178
	v_fma_f32 v72, v121, v177, -v72
	v_fmac_f32_e32 v182, v122, v177
	v_add_f32_e32 v71, v71, v72
	s_waitcnt vmcnt(0) lgkmcnt(0)
	v_mul_f32_e32 v72, v124, v180
	v_add_f32_e32 v181, v181, v182
	v_mul_f32_e32 v182, v123, v180
	v_fma_f32 v72, v123, v179, -v72
	v_fmac_f32_e32 v182, v124, v179
	v_add_f32_e32 v71, v71, v72
	v_add_f32_e32 v181, v181, v182
	v_sub_f32_e32 v71, v157, v71
	v_sub_f32_e32 v72, v158, v181
	buffer_store_dword v71, off, s[0:3], 0 offset:48
	buffer_store_dword v72, off, s[0:3], 0 offset:52
	s_and_saveexec_b64 s[4:5], vcc
	s_cbranch_execz .LBB33_207
; %bb.206:
	buffer_load_dword v71, off, s[0:3], 0 offset:40
	buffer_load_dword v72, off, s[0:3], 0 offset:44
	s_waitcnt vmcnt(0)
	ds_write_b64 v69, v[71:72]
	buffer_store_dword v70, off, s[0:3], 0 offset:40
	buffer_store_dword v70, off, s[0:3], 0 offset:44
.LBB33_207:
	s_or_b64 exec, exec, s[4:5]
	s_waitcnt lgkmcnt(0)
	; wave barrier
	buffer_load_dword v127, off, s[0:3], 0 offset:52
	buffer_load_dword v128, off, s[0:3], 0 offset:60
	;; [unrolled: 1-line block ×34, first 2 shown]
	ds_read_b128 v[71:74], v70 offset:320
	ds_read_b128 v[75:78], v70 offset:336
	buffer_load_dword v161, off, s[0:3], 0 offset:180
	buffer_load_dword v162, off, s[0:3], 0 offset:176
	;; [unrolled: 1-line block ×6, first 2 shown]
	ds_read_b128 v[79:82], v70 offset:352
	ds_read_b128 v[83:86], v70 offset:368
	;; [unrolled: 1-line block ×4, first 2 shown]
	buffer_load_dword v167, off, s[0:3], 0 offset:204
	buffer_load_dword v168, off, s[0:3], 0 offset:200
	;; [unrolled: 1-line block ×18, first 2 shown]
	v_cmp_lt_u32_e32 vcc, 4, v0
	s_waitcnt vmcnt(57) lgkmcnt(5)
	v_mul_f32_e32 v95, v71, v127
	s_waitcnt vmcnt(56)
	v_mul_f32_e32 v96, v73, v128
	s_waitcnt vmcnt(55) lgkmcnt(4)
	v_mul_f32_e32 v97, v75, v129
	s_waitcnt vmcnt(54)
	v_mul_f32_e32 v98, v77, v130
	;; [unrolled: 4-line block ×4, first 2 shown]
	s_waitcnt vmcnt(49)
	v_fmac_f32_e32 v95, v72, v135
	s_waitcnt vmcnt(48)
	v_fmac_f32_e32 v96, v74, v136
	v_add_f32_e32 v95, 0, v95
	s_waitcnt vmcnt(47)
	v_fmac_f32_e32 v97, v76, v137
	v_add_f32_e32 v95, v95, v96
	;; [unrolled: 3-line block ×4, first 2 shown]
	v_mul_f32_e32 v72, v72, v127
	s_waitcnt vmcnt(44)
	v_fmac_f32_e32 v100, v82, v140
	v_add_f32_e32 v95, v95, v99
	v_fma_f32 v71, v71, v135, -v72
	v_mul_f32_e32 v72, v74, v128
	s_waitcnt vmcnt(43)
	v_fmac_f32_e32 v101, v84, v141
	v_add_f32_e32 v95, v95, v100
	v_add_f32_e32 v71, 0, v71
	v_fma_f32 v72, v73, v136, -v72
	s_waitcnt vmcnt(42)
	v_fmac_f32_e32 v102, v86, v142
	v_add_f32_e32 v95, v95, v101
	s_waitcnt vmcnt(41) lgkmcnt(1)
	v_mul_f32_e32 v96, v87, v143
	v_add_f32_e32 v71, v71, v72
	v_mul_f32_e32 v72, v76, v129
	v_add_f32_e32 v95, v95, v102
	s_waitcnt vmcnt(40)
	v_fmac_f32_e32 v96, v88, v144
	v_fma_f32 v72, v75, v137, -v72
	v_add_f32_e32 v95, v95, v96
	s_waitcnt vmcnt(39)
	v_mul_f32_e32 v96, v89, v145
	v_add_f32_e32 v71, v71, v72
	v_mul_f32_e32 v72, v78, v130
	s_waitcnt vmcnt(38)
	v_fmac_f32_e32 v96, v90, v146
	v_fma_f32 v72, v77, v138, -v72
	v_add_f32_e32 v95, v95, v96
	s_waitcnt vmcnt(37) lgkmcnt(0)
	v_mul_f32_e32 v96, v91, v147
	v_add_f32_e32 v71, v71, v72
	v_mul_f32_e32 v72, v80, v131
	s_waitcnt vmcnt(36)
	v_fmac_f32_e32 v96, v92, v148
	v_fma_f32 v72, v79, v139, -v72
	v_add_f32_e32 v99, v95, v96
	ds_read_b128 v[95:98], v70 offset:416
	v_add_f32_e32 v71, v71, v72
	v_mul_f32_e32 v72, v82, v132
	v_fma_f32 v72, v81, v140, -v72
	s_waitcnt vmcnt(35)
	v_mul_f32_e32 v100, v93, v149
	v_add_f32_e32 v71, v71, v72
	v_mul_f32_e32 v72, v84, v133
	s_waitcnt vmcnt(34)
	v_fmac_f32_e32 v100, v94, v150
	v_fma_f32 v72, v83, v141, -v72
	v_add_f32_e32 v103, v99, v100
	ds_read_b128 v[99:102], v70 offset:432
	v_add_f32_e32 v71, v71, v72
	v_mul_f32_e32 v72, v86, v134
	s_waitcnt vmcnt(33) lgkmcnt(1)
	v_mul_f32_e32 v104, v95, v151
	v_fma_f32 v72, v85, v142, -v72
	s_waitcnt vmcnt(32)
	v_fmac_f32_e32 v104, v96, v152
	v_add_f32_e32 v71, v71, v72
	v_mul_f32_e32 v72, v88, v143
	v_add_f32_e32 v103, v103, v104
	s_waitcnt vmcnt(31)
	v_mul_f32_e32 v104, v97, v153
	v_fma_f32 v72, v87, v144, -v72
	s_waitcnt vmcnt(30)
	v_fmac_f32_e32 v104, v98, v154
	v_add_f32_e32 v71, v71, v72
	v_mul_f32_e32 v72, v90, v145
	v_add_f32_e32 v103, v103, v104
	s_waitcnt vmcnt(29) lgkmcnt(0)
	v_mul_f32_e32 v104, v99, v155
	v_fma_f32 v72, v89, v146, -v72
	s_waitcnt vmcnt(28)
	v_fmac_f32_e32 v104, v100, v156
	v_add_f32_e32 v71, v71, v72
	v_mul_f32_e32 v72, v92, v147
	v_add_f32_e32 v107, v103, v104
	ds_read_b128 v[103:106], v70 offset:448
	v_fma_f32 v72, v91, v148, -v72
	v_add_f32_e32 v71, v71, v72
	v_mul_f32_e32 v72, v94, v149
	s_waitcnt vmcnt(25)
	v_mul_f32_e32 v108, v101, v159
	v_fma_f32 v72, v93, v150, -v72
	s_waitcnt vmcnt(24)
	v_fmac_f32_e32 v108, v102, v160
	v_add_f32_e32 v71, v71, v72
	v_mul_f32_e32 v72, v96, v151
	v_add_f32_e32 v111, v107, v108
	ds_read_b128 v[107:110], v70 offset:464
	v_fma_f32 v72, v95, v152, -v72
	s_waitcnt vmcnt(23) lgkmcnt(1)
	v_mul_f32_e32 v112, v103, v161
	v_add_f32_e32 v71, v71, v72
	v_mul_f32_e32 v72, v98, v153
	s_waitcnt vmcnt(22)
	v_fmac_f32_e32 v112, v104, v162
	v_fma_f32 v72, v97, v154, -v72
	v_add_f32_e32 v111, v111, v112
	s_waitcnt vmcnt(20)
	v_mul_f32_e32 v112, v105, v164
	v_add_f32_e32 v71, v71, v72
	v_mul_f32_e32 v72, v100, v155
	v_fmac_f32_e32 v112, v106, v163
	v_fma_f32 v72, v99, v156, -v72
	v_add_f32_e32 v111, v111, v112
	s_waitcnt vmcnt(18) lgkmcnt(0)
	v_mul_f32_e32 v112, v107, v166
	v_add_f32_e32 v71, v71, v72
	v_mul_f32_e32 v72, v102, v159
	v_fmac_f32_e32 v112, v108, v165
	v_fma_f32 v72, v101, v160, -v72
	v_add_f32_e32 v115, v111, v112
	ds_read_b128 v[111:114], v70 offset:480
	v_add_f32_e32 v71, v71, v72
	v_mul_f32_e32 v72, v104, v161
	v_fma_f32 v72, v103, v162, -v72
	s_waitcnt vmcnt(17)
	v_mul_f32_e32 v116, v109, v167
	v_add_f32_e32 v71, v71, v72
	v_mul_f32_e32 v72, v106, v164
	s_waitcnt vmcnt(16)
	v_fmac_f32_e32 v116, v110, v168
	v_fma_f32 v72, v105, v163, -v72
	v_add_f32_e32 v119, v115, v116
	ds_read_b128 v[115:118], v70 offset:496
	v_add_f32_e32 v71, v71, v72
	v_mul_f32_e32 v72, v108, v166
	s_waitcnt vmcnt(14) lgkmcnt(1)
	v_mul_f32_e32 v120, v111, v170
	v_fma_f32 v72, v107, v165, -v72
	v_fmac_f32_e32 v120, v112, v169
	v_add_f32_e32 v71, v71, v72
	v_mul_f32_e32 v72, v110, v167
	v_add_f32_e32 v119, v119, v120
	s_waitcnt vmcnt(12)
	v_mul_f32_e32 v120, v113, v172
	v_fma_f32 v72, v109, v168, -v72
	v_fmac_f32_e32 v120, v114, v171
	v_add_f32_e32 v71, v71, v72
	v_mul_f32_e32 v72, v112, v170
	v_add_f32_e32 v119, v119, v120
	s_waitcnt vmcnt(10) lgkmcnt(0)
	v_mul_f32_e32 v120, v115, v174
	v_fma_f32 v72, v111, v169, -v72
	v_fmac_f32_e32 v120, v116, v173
	v_add_f32_e32 v71, v71, v72
	v_mul_f32_e32 v72, v114, v172
	v_add_f32_e32 v123, v119, v120
	ds_read_b128 v[119:122], v70 offset:512
	v_fma_f32 v72, v113, v171, -v72
	v_add_f32_e32 v71, v71, v72
	v_mul_f32_e32 v72, v116, v174
	s_waitcnt vmcnt(8)
	v_mul_f32_e32 v124, v117, v176
	v_fma_f32 v72, v115, v173, -v72
	v_fmac_f32_e32 v124, v118, v175
	v_add_f32_e32 v71, v71, v72
	v_mul_f32_e32 v72, v118, v176
	v_add_f32_e32 v185, v123, v124
	ds_read_b128 v[123:126], v70 offset:528
	v_fma_f32 v72, v117, v175, -v72
	v_add_f32_e32 v71, v71, v72
	s_waitcnt vmcnt(6) lgkmcnt(1)
	v_mul_f32_e32 v72, v120, v178
	v_mul_f32_e32 v70, v119, v178
	v_fma_f32 v72, v119, v177, -v72
	v_fmac_f32_e32 v70, v120, v177
	v_add_f32_e32 v71, v71, v72
	s_waitcnt vmcnt(4)
	v_mul_f32_e32 v72, v122, v180
	v_add_f32_e32 v70, v185, v70
	v_mul_f32_e32 v185, v121, v180
	v_fma_f32 v72, v121, v179, -v72
	v_fmac_f32_e32 v185, v122, v179
	v_add_f32_e32 v71, v71, v72
	s_waitcnt vmcnt(2) lgkmcnt(0)
	v_mul_f32_e32 v72, v124, v182
	v_add_f32_e32 v70, v70, v185
	v_mul_f32_e32 v185, v123, v182
	v_fma_f32 v72, v123, v181, -v72
	v_fmac_f32_e32 v185, v124, v181
	v_add_f32_e32 v71, v71, v72
	s_waitcnt vmcnt(0)
	v_mul_f32_e32 v72, v126, v184
	v_add_f32_e32 v70, v70, v185
	v_mul_f32_e32 v185, v125, v184
	v_fma_f32 v72, v125, v183, -v72
	v_fmac_f32_e32 v185, v126, v183
	v_add_f32_e32 v71, v71, v72
	v_add_f32_e32 v70, v70, v185
	v_sub_f32_e32 v71, v157, v71
	v_sub_f32_e32 v70, v158, v70
	buffer_store_dword v71, off, s[0:3], 0 offset:40
	buffer_store_dword v70, off, s[0:3], 0 offset:44
	s_and_saveexec_b64 s[4:5], vcc
	s_cbranch_execz .LBB33_209
; %bb.208:
	buffer_load_dword v70, off, s[0:3], 0 offset:32
	buffer_load_dword v71, off, s[0:3], 0 offset:36
	v_mov_b32_e32 v72, 0
	buffer_store_dword v72, off, s[0:3], 0 offset:32
	buffer_store_dword v72, off, s[0:3], 0 offset:36
	s_waitcnt vmcnt(2)
	ds_write_b64 v69, v[70:71]
.LBB33_209:
	s_or_b64 exec, exec, s[4:5]
	s_waitcnt lgkmcnt(0)
	; wave barrier
	buffer_load_dword v129, off, s[0:3], 0 offset:44
	buffer_load_dword v130, off, s[0:3], 0 offset:52
	;; [unrolled: 1-line block ×60, first 2 shown]
	v_mov_b32_e32 v70, 0
	ds_read2_b64 v[71:74], v70 offset0:39 offset1:40
	ds_read2_b64 v[75:78], v70 offset0:41 offset1:42
	;; [unrolled: 1-line block ×5, first 2 shown]
	v_cmp_lt_u32_e32 vcc, 3, v0
	s_waitcnt vmcnt(59) lgkmcnt(4)
	v_mul_f32_e32 v91, v71, v129
	s_waitcnt vmcnt(58)
	v_mul_f32_e32 v92, v73, v130
	s_waitcnt vmcnt(57) lgkmcnt(3)
	v_mul_f32_e32 v93, v75, v131
	s_waitcnt vmcnt(56)
	v_mul_f32_e32 v94, v77, v132
	;; [unrolled: 4-line block ×3, first 2 shown]
	s_waitcnt vmcnt(53) lgkmcnt(1)
	v_mul_f32_e32 v97, v83, v135
	s_waitcnt vmcnt(52)
	v_fmac_f32_e32 v91, v72, v136
	s_waitcnt vmcnt(51)
	v_fmac_f32_e32 v92, v74, v137
	v_add_f32_e32 v91, 0, v91
	s_waitcnt vmcnt(50)
	v_fmac_f32_e32 v93, v76, v138
	v_add_f32_e32 v91, v91, v92
	;; [unrolled: 3-line block ×6, first 2 shown]
	s_waitcnt vmcnt(45)
	v_mul_f32_e32 v92, v85, v143
	v_add_f32_e32 v91, v91, v97
	s_waitcnt vmcnt(44)
	v_fmac_f32_e32 v92, v86, v144
	v_mul_f32_e32 v72, v72, v129
	v_add_f32_e32 v95, v91, v92
	ds_read2_b64 v[91:94], v70 offset0:49 offset1:50
	v_fma_f32 v71, v71, v136, -v72
	v_mul_f32_e32 v72, v74, v130
	s_waitcnt vmcnt(43) lgkmcnt(1)
	v_mul_f32_e32 v96, v87, v145
	v_add_f32_e32 v71, 0, v71
	v_fma_f32 v72, v73, v137, -v72
	s_waitcnt vmcnt(42)
	v_fmac_f32_e32 v96, v88, v146
	v_add_f32_e32 v71, v71, v72
	v_mul_f32_e32 v72, v76, v131
	v_add_f32_e32 v95, v95, v96
	s_waitcnt vmcnt(41)
	v_mul_f32_e32 v96, v89, v147
	v_fma_f32 v72, v75, v138, -v72
	s_waitcnt vmcnt(40)
	v_fmac_f32_e32 v96, v90, v148
	v_add_f32_e32 v71, v71, v72
	v_mul_f32_e32 v72, v78, v132
	v_add_f32_e32 v95, v95, v96
	s_waitcnt vmcnt(39) lgkmcnt(0)
	v_mul_f32_e32 v96, v91, v149
	v_fma_f32 v72, v77, v139, -v72
	s_waitcnt vmcnt(38)
	v_fmac_f32_e32 v96, v92, v150
	v_add_f32_e32 v71, v71, v72
	v_mul_f32_e32 v72, v80, v133
	v_add_f32_e32 v99, v95, v96
	ds_read2_b64 v[95:98], v70 offset0:51 offset1:52
	v_fma_f32 v72, v79, v140, -v72
	v_add_f32_e32 v71, v71, v72
	v_mul_f32_e32 v72, v82, v134
	s_waitcnt vmcnt(37)
	v_mul_f32_e32 v100, v93, v151
	v_fma_f32 v72, v81, v141, -v72
	s_waitcnt vmcnt(36)
	v_fmac_f32_e32 v100, v94, v152
	v_add_f32_e32 v71, v71, v72
	v_mul_f32_e32 v72, v84, v135
	v_add_f32_e32 v103, v99, v100
	ds_read2_b64 v[99:102], v70 offset0:53 offset1:54
	v_fma_f32 v72, v83, v142, -v72
	s_waitcnt vmcnt(34) lgkmcnt(1)
	v_mul_f32_e32 v104, v95, v154
	v_add_f32_e32 v71, v71, v72
	v_mul_f32_e32 v72, v86, v143
	v_fmac_f32_e32 v104, v96, v153
	v_fma_f32 v72, v85, v144, -v72
	v_add_f32_e32 v103, v103, v104
	s_waitcnt vmcnt(31)
	v_mul_f32_e32 v104, v97, v157
	v_add_f32_e32 v71, v71, v72
	v_mul_f32_e32 v72, v88, v145
	s_waitcnt vmcnt(30)
	v_fmac_f32_e32 v104, v98, v158
	v_fma_f32 v72, v87, v146, -v72
	v_add_f32_e32 v103, v103, v104
	s_waitcnt vmcnt(28) lgkmcnt(0)
	v_mul_f32_e32 v104, v99, v160
	v_add_f32_e32 v71, v71, v72
	v_mul_f32_e32 v72, v90, v147
	v_fmac_f32_e32 v104, v100, v159
	v_fma_f32 v72, v89, v148, -v72
	v_add_f32_e32 v107, v103, v104
	ds_read2_b64 v[103:106], v70 offset0:55 offset1:56
	v_add_f32_e32 v71, v71, v72
	v_mul_f32_e32 v72, v92, v149
	v_fma_f32 v72, v91, v150, -v72
	s_waitcnt vmcnt(26)
	v_mul_f32_e32 v108, v101, v162
	v_add_f32_e32 v71, v71, v72
	v_mul_f32_e32 v72, v94, v151
	v_fmac_f32_e32 v108, v102, v161
	v_fma_f32 v72, v93, v152, -v72
	v_add_f32_e32 v111, v107, v108
	ds_read2_b64 v[107:110], v70 offset0:57 offset1:58
	v_add_f32_e32 v71, v71, v72
	v_mul_f32_e32 v72, v96, v154
	s_waitcnt vmcnt(24) lgkmcnt(1)
	v_mul_f32_e32 v112, v103, v164
	v_fma_f32 v72, v95, v153, -v72
	v_fmac_f32_e32 v112, v104, v163
	v_add_f32_e32 v71, v71, v72
	v_mul_f32_e32 v72, v98, v157
	v_add_f32_e32 v111, v111, v112
	s_waitcnt vmcnt(22)
	v_mul_f32_e32 v112, v105, v166
	v_fma_f32 v72, v97, v158, -v72
	v_fmac_f32_e32 v112, v106, v165
	v_add_f32_e32 v71, v71, v72
	v_mul_f32_e32 v72, v100, v160
	v_add_f32_e32 v111, v111, v112
	s_waitcnt vmcnt(20) lgkmcnt(0)
	v_mul_f32_e32 v112, v107, v168
	v_fma_f32 v72, v99, v159, -v72
	v_fmac_f32_e32 v112, v108, v167
	v_add_f32_e32 v71, v71, v72
	v_mul_f32_e32 v72, v102, v162
	v_add_f32_e32 v115, v111, v112
	ds_read2_b64 v[111:114], v70 offset0:59 offset1:60
	v_fma_f32 v72, v101, v161, -v72
	v_add_f32_e32 v71, v71, v72
	v_mul_f32_e32 v72, v104, v164
	s_waitcnt vmcnt(18)
	v_mul_f32_e32 v116, v109, v170
	v_fma_f32 v72, v103, v163, -v72
	v_fmac_f32_e32 v116, v110, v169
	v_add_f32_e32 v71, v71, v72
	v_mul_f32_e32 v72, v106, v166
	v_add_f32_e32 v119, v115, v116
	ds_read2_b64 v[115:118], v70 offset0:61 offset1:62
	v_fma_f32 v72, v105, v165, -v72
	s_waitcnt vmcnt(16) lgkmcnt(1)
	v_mul_f32_e32 v120, v111, v172
	v_add_f32_e32 v71, v71, v72
	v_mul_f32_e32 v72, v108, v168
	v_fmac_f32_e32 v120, v112, v171
	v_fma_f32 v72, v107, v167, -v72
	v_add_f32_e32 v119, v119, v120
	s_waitcnt vmcnt(14)
	v_mul_f32_e32 v120, v113, v174
	v_add_f32_e32 v71, v71, v72
	v_mul_f32_e32 v72, v110, v170
	v_fmac_f32_e32 v120, v114, v173
	v_fma_f32 v72, v109, v169, -v72
	v_add_f32_e32 v119, v119, v120
	s_waitcnt vmcnt(12) lgkmcnt(0)
	v_mul_f32_e32 v120, v115, v176
	v_add_f32_e32 v71, v71, v72
	v_mul_f32_e32 v72, v112, v172
	v_fmac_f32_e32 v120, v116, v175
	v_fma_f32 v72, v111, v171, -v72
	v_add_f32_e32 v123, v119, v120
	ds_read2_b64 v[119:122], v70 offset0:63 offset1:64
	v_add_f32_e32 v71, v71, v72
	v_mul_f32_e32 v72, v114, v174
	v_fma_f32 v72, v113, v173, -v72
	v_add_f32_e32 v71, v71, v72
	v_mul_f32_e32 v72, v116, v176
	s_waitcnt vmcnt(10)
	v_mul_f32_e32 v124, v117, v178
	v_fma_f32 v72, v115, v175, -v72
	v_fmac_f32_e32 v124, v118, v177
	v_add_f32_e32 v71, v71, v72
	v_mul_f32_e32 v72, v118, v178
	v_add_f32_e32 v127, v123, v124
	ds_read2_b64 v[123:126], v70 offset0:65 offset1:66
	s_waitcnt vmcnt(8) lgkmcnt(1)
	v_mul_f32_e32 v128, v119, v180
	v_fma_f32 v72, v117, v177, -v72
	v_fmac_f32_e32 v128, v120, v179
	v_add_f32_e32 v71, v71, v72
	v_mul_f32_e32 v72, v120, v180
	v_add_f32_e32 v127, v127, v128
	s_waitcnt vmcnt(6)
	v_mul_f32_e32 v128, v121, v182
	v_fma_f32 v72, v119, v179, -v72
	v_fmac_f32_e32 v128, v122, v181
	v_add_f32_e32 v71, v71, v72
	v_mul_f32_e32 v72, v122, v182
	v_add_f32_e32 v189, v127, v128
	ds_read_b64 v[127:128], v70 offset:536
	v_fma_f32 v72, v121, v181, -v72
	v_add_f32_e32 v71, v71, v72
	s_waitcnt vmcnt(4) lgkmcnt(1)
	v_mul_f32_e32 v72, v124, v184
	v_mul_f32_e32 v190, v123, v184
	v_fma_f32 v72, v123, v183, -v72
	v_fmac_f32_e32 v190, v124, v183
	v_add_f32_e32 v71, v71, v72
	s_waitcnt vmcnt(2)
	v_mul_f32_e32 v72, v126, v186
	v_add_f32_e32 v189, v189, v190
	v_mul_f32_e32 v190, v125, v186
	v_fma_f32 v72, v125, v185, -v72
	v_fmac_f32_e32 v190, v126, v185
	v_add_f32_e32 v71, v71, v72
	s_waitcnt vmcnt(0) lgkmcnt(0)
	v_mul_f32_e32 v72, v128, v188
	v_add_f32_e32 v189, v189, v190
	v_mul_f32_e32 v190, v127, v188
	v_fma_f32 v72, v127, v187, -v72
	v_fmac_f32_e32 v190, v128, v187
	v_add_f32_e32 v71, v71, v72
	v_add_f32_e32 v189, v189, v190
	v_sub_f32_e32 v71, v155, v71
	v_sub_f32_e32 v72, v156, v189
	buffer_store_dword v71, off, s[0:3], 0 offset:32
	buffer_store_dword v72, off, s[0:3], 0 offset:36
	s_and_saveexec_b64 s[4:5], vcc
	s_cbranch_execz .LBB33_211
; %bb.210:
	buffer_load_dword v71, off, s[0:3], 0 offset:24
	buffer_load_dword v72, off, s[0:3], 0 offset:28
	s_waitcnt vmcnt(0)
	ds_write_b64 v69, v[71:72]
	buffer_store_dword v70, off, s[0:3], 0 offset:24
	buffer_store_dword v70, off, s[0:3], 0 offset:28
.LBB33_211:
	s_or_b64 exec, exec, s[4:5]
	s_waitcnt lgkmcnt(0)
	; wave barrier
	buffer_load_dword v131, off, s[0:3], 0 offset:36
	buffer_load_dword v132, off, s[0:3], 0 offset:44
	;; [unrolled: 1-line block ×32, first 2 shown]
	ds_read_b128 v[71:74], v70 offset:304
	ds_read_b128 v[75:78], v70 offset:320
	;; [unrolled: 1-line block ×4, first 2 shown]
	buffer_load_dword v163, off, s[0:3], 0 offset:156
	buffer_load_dword v164, off, s[0:3], 0 offset:152
	;; [unrolled: 1-line block ×30, first 2 shown]
	v_cmp_lt_u32_e32 vcc, 2, v0
	s_waitcnt vmcnt(61) lgkmcnt(3)
	v_mul_f32_e32 v87, v71, v131
	s_waitcnt vmcnt(60)
	v_mul_f32_e32 v88, v73, v132
	s_waitcnt vmcnt(59) lgkmcnt(2)
	v_mul_f32_e32 v89, v75, v133
	s_waitcnt vmcnt(58)
	v_mul_f32_e32 v90, v77, v134
	;; [unrolled: 4-line block ×3, first 2 shown]
	s_waitcnt vmcnt(55) lgkmcnt(0)
	v_mul_f32_e32 v93, v83, v137
	s_waitcnt vmcnt(54)
	v_fmac_f32_e32 v87, v72, v138
	s_waitcnt vmcnt(53)
	v_fmac_f32_e32 v88, v74, v139
	v_add_f32_e32 v87, 0, v87
	s_waitcnt vmcnt(52)
	v_fmac_f32_e32 v89, v76, v140
	v_add_f32_e32 v87, v87, v88
	;; [unrolled: 3-line block ×6, first 2 shown]
	v_add_f32_e32 v91, v87, v93
	ds_read_b128 v[87:90], v70 offset:368
	s_waitcnt vmcnt(47)
	v_mul_f32_e32 v92, v85, v145
	s_waitcnt vmcnt(46)
	v_fmac_f32_e32 v92, v86, v146
	v_mul_f32_e32 v72, v72, v131
	v_add_f32_e32 v95, v91, v92
	ds_read_b128 v[91:94], v70 offset:384
	v_fma_f32 v71, v71, v138, -v72
	v_mul_f32_e32 v72, v74, v132
	s_waitcnt vmcnt(45) lgkmcnt(1)
	v_mul_f32_e32 v96, v87, v147
	v_add_f32_e32 v71, 0, v71
	v_fma_f32 v72, v73, v139, -v72
	s_waitcnt vmcnt(44)
	v_fmac_f32_e32 v96, v88, v148
	v_add_f32_e32 v71, v71, v72
	v_mul_f32_e32 v72, v76, v133
	v_add_f32_e32 v95, v95, v96
	s_waitcnt vmcnt(43)
	v_mul_f32_e32 v96, v89, v149
	v_fma_f32 v72, v75, v140, -v72
	s_waitcnt vmcnt(42)
	v_fmac_f32_e32 v96, v90, v150
	v_add_f32_e32 v71, v71, v72
	v_mul_f32_e32 v72, v78, v134
	v_add_f32_e32 v95, v95, v96
	s_waitcnt vmcnt(41) lgkmcnt(0)
	v_mul_f32_e32 v96, v91, v151
	v_fma_f32 v72, v77, v141, -v72
	s_waitcnt vmcnt(40)
	v_fmac_f32_e32 v96, v92, v152
	v_add_f32_e32 v71, v71, v72
	v_mul_f32_e32 v72, v80, v135
	v_add_f32_e32 v99, v95, v96
	ds_read_b128 v[95:98], v70 offset:400
	v_fma_f32 v72, v79, v142, -v72
	v_add_f32_e32 v71, v71, v72
	v_mul_f32_e32 v72, v82, v136
	s_waitcnt vmcnt(39)
	v_mul_f32_e32 v100, v93, v153
	v_fma_f32 v72, v81, v143, -v72
	s_waitcnt vmcnt(38)
	v_fmac_f32_e32 v100, v94, v154
	v_add_f32_e32 v71, v71, v72
	v_mul_f32_e32 v72, v84, v137
	v_add_f32_e32 v103, v99, v100
	ds_read_b128 v[99:102], v70 offset:416
	v_fma_f32 v72, v83, v144, -v72
	s_waitcnt vmcnt(35) lgkmcnt(1)
	v_mul_f32_e32 v104, v95, v157
	v_add_f32_e32 v71, v71, v72
	v_mul_f32_e32 v72, v86, v145
	s_waitcnt vmcnt(34)
	v_fmac_f32_e32 v104, v96, v158
	v_fma_f32 v72, v85, v146, -v72
	v_add_f32_e32 v103, v103, v104
	s_waitcnt vmcnt(32)
	v_mul_f32_e32 v104, v97, v160
	v_add_f32_e32 v71, v71, v72
	v_mul_f32_e32 v72, v88, v147
	v_fmac_f32_e32 v104, v98, v159
	v_fma_f32 v72, v87, v148, -v72
	v_add_f32_e32 v103, v103, v104
	s_waitcnt vmcnt(30) lgkmcnt(0)
	v_mul_f32_e32 v104, v99, v162
	v_add_f32_e32 v71, v71, v72
	v_mul_f32_e32 v72, v90, v149
	v_fmac_f32_e32 v104, v100, v161
	v_fma_f32 v72, v89, v150, -v72
	v_add_f32_e32 v107, v103, v104
	ds_read_b128 v[103:106], v70 offset:432
	v_add_f32_e32 v71, v71, v72
	v_mul_f32_e32 v72, v92, v151
	v_fma_f32 v72, v91, v152, -v72
	s_waitcnt vmcnt(29)
	v_mul_f32_e32 v108, v101, v163
	v_add_f32_e32 v71, v71, v72
	v_mul_f32_e32 v72, v94, v153
	s_waitcnt vmcnt(28)
	v_fmac_f32_e32 v108, v102, v164
	v_fma_f32 v72, v93, v154, -v72
	v_add_f32_e32 v111, v107, v108
	ds_read_b128 v[107:110], v70 offset:448
	v_add_f32_e32 v71, v71, v72
	v_mul_f32_e32 v72, v96, v157
	s_waitcnt vmcnt(26) lgkmcnt(1)
	v_mul_f32_e32 v112, v103, v166
	v_fma_f32 v72, v95, v158, -v72
	v_fmac_f32_e32 v112, v104, v165
	v_add_f32_e32 v71, v71, v72
	v_mul_f32_e32 v72, v98, v160
	v_add_f32_e32 v111, v111, v112
	s_waitcnt vmcnt(24)
	v_mul_f32_e32 v112, v105, v168
	v_fma_f32 v72, v97, v159, -v72
	v_fmac_f32_e32 v112, v106, v167
	v_add_f32_e32 v71, v71, v72
	v_mul_f32_e32 v72, v100, v162
	v_add_f32_e32 v111, v111, v112
	s_waitcnt vmcnt(22) lgkmcnt(0)
	v_mul_f32_e32 v112, v107, v170
	v_fma_f32 v72, v99, v161, -v72
	v_fmac_f32_e32 v112, v108, v169
	v_add_f32_e32 v71, v71, v72
	v_mul_f32_e32 v72, v102, v163
	v_add_f32_e32 v115, v111, v112
	ds_read_b128 v[111:114], v70 offset:464
	v_fma_f32 v72, v101, v164, -v72
	v_add_f32_e32 v71, v71, v72
	v_mul_f32_e32 v72, v104, v166
	s_waitcnt vmcnt(20)
	v_mul_f32_e32 v116, v109, v172
	v_fma_f32 v72, v103, v165, -v72
	v_fmac_f32_e32 v116, v110, v171
	v_add_f32_e32 v71, v71, v72
	v_mul_f32_e32 v72, v106, v168
	v_add_f32_e32 v119, v115, v116
	ds_read_b128 v[115:118], v70 offset:480
	v_fma_f32 v72, v105, v167, -v72
	s_waitcnt vmcnt(18) lgkmcnt(1)
	v_mul_f32_e32 v120, v111, v174
	v_add_f32_e32 v71, v71, v72
	v_mul_f32_e32 v72, v108, v170
	v_fmac_f32_e32 v120, v112, v173
	v_fma_f32 v72, v107, v169, -v72
	v_add_f32_e32 v119, v119, v120
	s_waitcnt vmcnt(16)
	v_mul_f32_e32 v120, v113, v176
	v_add_f32_e32 v71, v71, v72
	v_mul_f32_e32 v72, v110, v172
	v_fmac_f32_e32 v120, v114, v175
	v_fma_f32 v72, v109, v171, -v72
	v_add_f32_e32 v119, v119, v120
	s_waitcnt vmcnt(14) lgkmcnt(0)
	v_mul_f32_e32 v120, v115, v178
	v_add_f32_e32 v71, v71, v72
	v_mul_f32_e32 v72, v112, v174
	v_fmac_f32_e32 v120, v116, v177
	v_fma_f32 v72, v111, v173, -v72
	v_add_f32_e32 v123, v119, v120
	ds_read_b128 v[119:122], v70 offset:496
	v_add_f32_e32 v71, v71, v72
	v_mul_f32_e32 v72, v114, v176
	v_fma_f32 v72, v113, v175, -v72
	v_add_f32_e32 v71, v71, v72
	v_mul_f32_e32 v72, v116, v178
	s_waitcnt vmcnt(12)
	v_mul_f32_e32 v124, v117, v180
	v_fma_f32 v72, v115, v177, -v72
	v_fmac_f32_e32 v124, v118, v179
	v_add_f32_e32 v71, v71, v72
	v_mul_f32_e32 v72, v118, v180
	v_add_f32_e32 v127, v123, v124
	ds_read_b128 v[123:126], v70 offset:512
	s_waitcnt vmcnt(10) lgkmcnt(1)
	v_mul_f32_e32 v128, v119, v182
	v_fma_f32 v72, v117, v179, -v72
	v_fmac_f32_e32 v128, v120, v181
	v_add_f32_e32 v71, v71, v72
	v_mul_f32_e32 v72, v120, v182
	v_add_f32_e32 v127, v127, v128
	s_waitcnt vmcnt(8)
	v_mul_f32_e32 v128, v121, v184
	v_fma_f32 v72, v119, v181, -v72
	v_fmac_f32_e32 v128, v122, v183
	v_add_f32_e32 v71, v71, v72
	v_mul_f32_e32 v72, v122, v184
	v_add_f32_e32 v193, v127, v128
	ds_read_b128 v[127:130], v70 offset:528
	v_fma_f32 v72, v121, v183, -v72
	v_add_f32_e32 v71, v71, v72
	s_waitcnt vmcnt(6) lgkmcnt(1)
	v_mul_f32_e32 v72, v124, v186
	v_mul_f32_e32 v194, v123, v186
	v_fma_f32 v72, v123, v185, -v72
	v_fmac_f32_e32 v194, v124, v185
	v_add_f32_e32 v71, v71, v72
	s_waitcnt vmcnt(4)
	v_mul_f32_e32 v72, v126, v188
	v_add_f32_e32 v70, v193, v194
	v_mul_f32_e32 v193, v125, v188
	v_fma_f32 v72, v125, v187, -v72
	v_fmac_f32_e32 v193, v126, v187
	v_add_f32_e32 v71, v71, v72
	s_waitcnt vmcnt(2) lgkmcnt(0)
	v_mul_f32_e32 v72, v128, v190
	v_add_f32_e32 v70, v70, v193
	v_mul_f32_e32 v193, v127, v190
	v_fma_f32 v72, v127, v189, -v72
	v_fmac_f32_e32 v193, v128, v189
	v_add_f32_e32 v71, v71, v72
	s_waitcnt vmcnt(0)
	v_mul_f32_e32 v72, v130, v192
	v_add_f32_e32 v70, v70, v193
	v_mul_f32_e32 v193, v129, v192
	v_fma_f32 v72, v129, v191, -v72
	v_fmac_f32_e32 v193, v130, v191
	v_add_f32_e32 v71, v71, v72
	v_add_f32_e32 v70, v70, v193
	v_sub_f32_e32 v71, v155, v71
	v_sub_f32_e32 v70, v156, v70
	buffer_store_dword v71, off, s[0:3], 0 offset:24
	buffer_store_dword v70, off, s[0:3], 0 offset:28
	s_and_saveexec_b64 s[4:5], vcc
	s_cbranch_execz .LBB33_213
; %bb.212:
	buffer_load_dword v70, off, s[0:3], 0 offset:16
	buffer_load_dword v71, off, s[0:3], 0 offset:20
	v_mov_b32_e32 v72, 0
	buffer_store_dword v72, off, s[0:3], 0 offset:16
	buffer_store_dword v72, off, s[0:3], 0 offset:20
	s_waitcnt vmcnt(2)
	ds_write_b64 v69, v[70:71]
.LBB33_213:
	s_or_b64 exec, exec, s[4:5]
	s_waitcnt lgkmcnt(0)
	; wave barrier
	buffer_load_dword v133, off, s[0:3], 0 offset:28
	buffer_load_dword v134, off, s[0:3], 0 offset:36
	;; [unrolled: 1-line block ×56, first 2 shown]
	v_mov_b32_e32 v70, 0
	ds_read2_b64 v[71:74], v70 offset0:37 offset1:38
	buffer_load_dword v189, off, s[0:3], 0 offset:240
	buffer_load_dword v190, off, s[0:3], 0 offset:244
	;; [unrolled: 1-line block ×4, first 2 shown]
	ds_read2_b64 v[75:78], v70 offset0:39 offset1:40
	ds_read2_b64 v[79:82], v70 offset0:41 offset1:42
	;; [unrolled: 1-line block ×3, first 2 shown]
	v_cmp_lt_u32_e32 vcc, 1, v0
	s_waitcnt vmcnt(59) lgkmcnt(3)
	v_mul_f32_e32 v87, v71, v133
	s_waitcnt vmcnt(58)
	v_mul_f32_e32 v88, v73, v134
	s_waitcnt vmcnt(57) lgkmcnt(2)
	v_mul_f32_e32 v89, v75, v135
	s_waitcnt vmcnt(56)
	v_mul_f32_e32 v90, v77, v136
	;; [unrolled: 4-line block ×4, first 2 shown]
	s_waitcnt vmcnt(51)
	v_fmac_f32_e32 v87, v72, v141
	s_waitcnt vmcnt(50)
	v_fmac_f32_e32 v88, v74, v142
	v_add_f32_e32 v87, 0, v87
	s_waitcnt vmcnt(49)
	v_fmac_f32_e32 v89, v76, v143
	v_add_f32_e32 v87, v87, v88
	;; [unrolled: 3-line block ×6, first 2 shown]
	v_add_f32_e32 v91, v87, v93
	ds_read2_b64 v[87:90], v70 offset0:45 offset1:46
	buffer_load_dword v193, off, s[0:3], 0 offset:260
	buffer_load_dword v194, off, s[0:3], 0 offset:256
	;; [unrolled: 1-line block ×4, first 2 shown]
	s_waitcnt vmcnt(48)
	v_fmac_f32_e32 v94, v86, v148
	v_add_f32_e32 v95, v91, v94
	ds_read2_b64 v[91:94], v70 offset0:47 offset1:48
	s_waitcnt vmcnt(47) lgkmcnt(1)
	v_mul_f32_e32 v96, v87, v149
	v_mul_f32_e32 v72, v72, v133
	s_waitcnt vmcnt(46)
	v_fmac_f32_e32 v96, v88, v150
	v_fma_f32 v71, v71, v141, -v72
	v_mul_f32_e32 v72, v74, v134
	v_add_f32_e32 v95, v95, v96
	s_waitcnt vmcnt(45)
	v_mul_f32_e32 v96, v89, v151
	v_add_f32_e32 v71, 0, v71
	v_fma_f32 v72, v73, v142, -v72
	s_waitcnt vmcnt(44)
	v_fmac_f32_e32 v96, v90, v152
	v_add_f32_e32 v71, v71, v72
	v_mul_f32_e32 v72, v76, v135
	v_add_f32_e32 v95, v95, v96
	s_waitcnt vmcnt(42) lgkmcnt(0)
	v_mul_f32_e32 v96, v91, v154
	v_fma_f32 v72, v75, v143, -v72
	v_fmac_f32_e32 v96, v92, v153
	v_add_f32_e32 v71, v71, v72
	v_mul_f32_e32 v72, v78, v136
	v_add_f32_e32 v99, v95, v96
	ds_read2_b64 v[95:98], v70 offset0:49 offset1:50
	v_fma_f32 v72, v77, v144, -v72
	v_add_f32_e32 v71, v71, v72
	v_mul_f32_e32 v72, v80, v137
	s_waitcnt vmcnt(39)
	v_mul_f32_e32 v100, v93, v157
	v_fma_f32 v72, v79, v145, -v72
	s_waitcnt vmcnt(38)
	v_fmac_f32_e32 v100, v94, v158
	v_add_f32_e32 v71, v71, v72
	v_mul_f32_e32 v72, v82, v138
	v_add_f32_e32 v103, v99, v100
	ds_read2_b64 v[99:102], v70 offset0:51 offset1:52
	v_fma_f32 v72, v81, v146, -v72
	s_waitcnt vmcnt(36) lgkmcnt(1)
	v_mul_f32_e32 v104, v95, v160
	v_add_f32_e32 v71, v71, v72
	v_mul_f32_e32 v72, v84, v139
	v_fmac_f32_e32 v104, v96, v159
	v_fma_f32 v72, v83, v147, -v72
	v_add_f32_e32 v103, v103, v104
	s_waitcnt vmcnt(34)
	v_mul_f32_e32 v104, v97, v162
	v_add_f32_e32 v71, v71, v72
	v_mul_f32_e32 v72, v86, v140
	v_fmac_f32_e32 v104, v98, v161
	v_fma_f32 v72, v85, v148, -v72
	v_add_f32_e32 v103, v103, v104
	s_waitcnt vmcnt(32) lgkmcnt(0)
	v_mul_f32_e32 v104, v99, v164
	v_add_f32_e32 v71, v71, v72
	v_mul_f32_e32 v72, v88, v149
	v_fmac_f32_e32 v104, v100, v163
	v_fma_f32 v72, v87, v150, -v72
	v_add_f32_e32 v107, v103, v104
	ds_read2_b64 v[103:106], v70 offset0:53 offset1:54
	v_add_f32_e32 v71, v71, v72
	v_mul_f32_e32 v72, v90, v151
	v_fma_f32 v72, v89, v152, -v72
	s_waitcnt vmcnt(30)
	v_mul_f32_e32 v108, v101, v166
	v_add_f32_e32 v71, v71, v72
	v_mul_f32_e32 v72, v92, v154
	v_fmac_f32_e32 v108, v102, v165
	v_fma_f32 v72, v91, v153, -v72
	v_add_f32_e32 v111, v107, v108
	ds_read2_b64 v[107:110], v70 offset0:55 offset1:56
	v_add_f32_e32 v71, v71, v72
	v_mul_f32_e32 v72, v94, v157
	s_waitcnt vmcnt(28) lgkmcnt(1)
	v_mul_f32_e32 v112, v103, v168
	v_fma_f32 v72, v93, v158, -v72
	v_fmac_f32_e32 v112, v104, v167
	v_add_f32_e32 v71, v71, v72
	v_mul_f32_e32 v72, v96, v160
	v_add_f32_e32 v111, v111, v112
	s_waitcnt vmcnt(26)
	v_mul_f32_e32 v112, v105, v170
	v_fma_f32 v72, v95, v159, -v72
	v_fmac_f32_e32 v112, v106, v169
	v_add_f32_e32 v71, v71, v72
	v_mul_f32_e32 v72, v98, v162
	v_add_f32_e32 v111, v111, v112
	s_waitcnt vmcnt(24) lgkmcnt(0)
	v_mul_f32_e32 v112, v107, v172
	v_fma_f32 v72, v97, v161, -v72
	v_fmac_f32_e32 v112, v108, v171
	v_add_f32_e32 v71, v71, v72
	v_mul_f32_e32 v72, v100, v164
	v_add_f32_e32 v115, v111, v112
	ds_read2_b64 v[111:114], v70 offset0:57 offset1:58
	v_fma_f32 v72, v99, v163, -v72
	v_add_f32_e32 v71, v71, v72
	v_mul_f32_e32 v72, v102, v166
	s_waitcnt vmcnt(22)
	v_mul_f32_e32 v116, v109, v174
	v_fma_f32 v72, v101, v165, -v72
	v_fmac_f32_e32 v116, v110, v173
	v_add_f32_e32 v71, v71, v72
	v_mul_f32_e32 v72, v104, v168
	v_add_f32_e32 v119, v115, v116
	ds_read2_b64 v[115:118], v70 offset0:59 offset1:60
	v_fma_f32 v72, v103, v167, -v72
	s_waitcnt vmcnt(20) lgkmcnt(1)
	v_mul_f32_e32 v120, v111, v176
	v_add_f32_e32 v71, v71, v72
	v_mul_f32_e32 v72, v106, v170
	v_fmac_f32_e32 v120, v112, v175
	v_fma_f32 v72, v105, v169, -v72
	v_add_f32_e32 v119, v119, v120
	s_waitcnt vmcnt(18)
	v_mul_f32_e32 v120, v113, v178
	v_add_f32_e32 v71, v71, v72
	v_mul_f32_e32 v72, v108, v172
	v_fmac_f32_e32 v120, v114, v177
	v_fma_f32 v72, v107, v171, -v72
	v_add_f32_e32 v119, v119, v120
	s_waitcnt vmcnt(16) lgkmcnt(0)
	v_mul_f32_e32 v120, v115, v180
	v_add_f32_e32 v71, v71, v72
	v_mul_f32_e32 v72, v110, v174
	v_fmac_f32_e32 v120, v116, v179
	v_fma_f32 v72, v109, v173, -v72
	v_add_f32_e32 v123, v119, v120
	ds_read2_b64 v[119:122], v70 offset0:61 offset1:62
	v_add_f32_e32 v71, v71, v72
	v_mul_f32_e32 v72, v112, v176
	v_fma_f32 v72, v111, v175, -v72
	s_waitcnt vmcnt(14)
	v_mul_f32_e32 v124, v117, v182
	v_add_f32_e32 v71, v71, v72
	v_mul_f32_e32 v72, v114, v178
	v_fmac_f32_e32 v124, v118, v181
	v_fma_f32 v72, v113, v177, -v72
	v_add_f32_e32 v127, v123, v124
	ds_read2_b64 v[123:126], v70 offset0:63 offset1:64
	v_add_f32_e32 v71, v71, v72
	v_mul_f32_e32 v72, v116, v180
	s_waitcnt vmcnt(12) lgkmcnt(1)
	v_mul_f32_e32 v128, v119, v184
	v_fma_f32 v72, v115, v179, -v72
	v_fmac_f32_e32 v128, v120, v183
	v_add_f32_e32 v71, v71, v72
	v_mul_f32_e32 v72, v118, v182
	v_add_f32_e32 v127, v127, v128
	s_waitcnt vmcnt(10)
	v_mul_f32_e32 v128, v121, v186
	v_fma_f32 v72, v117, v181, -v72
	v_fmac_f32_e32 v128, v122, v185
	v_add_f32_e32 v71, v71, v72
	v_mul_f32_e32 v72, v120, v184
	v_add_f32_e32 v127, v127, v128
	s_waitcnt vmcnt(8) lgkmcnt(0)
	v_mul_f32_e32 v128, v123, v188
	v_fma_f32 v72, v119, v183, -v72
	v_fmac_f32_e32 v128, v124, v187
	v_add_f32_e32 v71, v71, v72
	v_mul_f32_e32 v72, v122, v186
	v_add_f32_e32 v131, v127, v128
	ds_read2_b64 v[127:130], v70 offset0:65 offset1:66
	v_fma_f32 v72, v121, v185, -v72
	v_add_f32_e32 v71, v71, v72
	v_mul_f32_e32 v72, v124, v188
	s_waitcnt vmcnt(6)
	v_mul_f32_e32 v132, v125, v190
	v_fma_f32 v72, v123, v187, -v72
	v_fmac_f32_e32 v132, v126, v189
	v_add_f32_e32 v71, v71, v72
	v_mul_f32_e32 v72, v126, v190
	v_add_f32_e32 v197, v131, v132
	ds_read_b64 v[131:132], v70 offset:536
	v_fma_f32 v72, v125, v189, -v72
	v_add_f32_e32 v71, v71, v72
	s_waitcnt vmcnt(4) lgkmcnt(1)
	v_mul_f32_e32 v72, v128, v192
	v_mul_f32_e32 v198, v127, v192
	v_fma_f32 v72, v127, v191, -v72
	v_fmac_f32_e32 v198, v128, v191
	v_add_f32_e32 v71, v71, v72
	s_waitcnt vmcnt(3)
	v_mul_f32_e32 v72, v130, v193
	v_add_f32_e32 v197, v197, v198
	v_mul_f32_e32 v198, v129, v193
	s_waitcnt vmcnt(2)
	v_fma_f32 v72, v129, v194, -v72
	v_fmac_f32_e32 v198, v130, v194
	v_add_f32_e32 v71, v71, v72
	s_waitcnt vmcnt(0) lgkmcnt(0)
	v_mul_f32_e32 v72, v132, v196
	v_add_f32_e32 v197, v197, v198
	v_mul_f32_e32 v198, v131, v196
	v_fma_f32 v72, v131, v195, -v72
	v_fmac_f32_e32 v198, v132, v195
	v_add_f32_e32 v71, v71, v72
	v_add_f32_e32 v197, v197, v198
	v_sub_f32_e32 v71, v155, v71
	v_sub_f32_e32 v72, v156, v197
	buffer_store_dword v71, off, s[0:3], 0 offset:16
	buffer_store_dword v72, off, s[0:3], 0 offset:20
	s_and_saveexec_b64 s[4:5], vcc
	s_cbranch_execz .LBB33_215
; %bb.214:
	buffer_load_dword v71, off, s[0:3], 0 offset:8
	buffer_load_dword v72, off, s[0:3], 0 offset:12
	s_waitcnt vmcnt(0)
	ds_write_b64 v69, v[71:72]
	buffer_store_dword v70, off, s[0:3], 0 offset:8
	buffer_store_dword v70, off, s[0:3], 0 offset:12
.LBB33_215:
	s_or_b64 exec, exec, s[4:5]
	s_waitcnt lgkmcnt(0)
	; wave barrier
	buffer_load_dword v135, off, s[0:3], 0 offset:20
	buffer_load_dword v136, off, s[0:3], 0 offset:28
	;; [unrolled: 1-line block ×26, first 2 shown]
	ds_read_b128 v[71:74], v70 offset:288
	ds_read_b128 v[75:78], v70 offset:304
	;; [unrolled: 1-line block ×4, first 2 shown]
	buffer_load_dword v161, off, s[0:3], 0 offset:116
	buffer_load_dword v162, off, s[0:3], 0 offset:112
	;; [unrolled: 1-line block ×34, first 2 shown]
	v_cmp_ne_u32_e32 vcc, 0, v0
	s_waitcnt vmcnt(59) lgkmcnt(3)
	v_mul_f32_e32 v87, v71, v135
	s_waitcnt vmcnt(58)
	v_mul_f32_e32 v88, v73, v136
	s_waitcnt vmcnt(57) lgkmcnt(2)
	v_mul_f32_e32 v89, v75, v137
	s_waitcnt vmcnt(56)
	v_mul_f32_e32 v90, v77, v138
	;; [unrolled: 4-line block ×4, first 2 shown]
	s_waitcnt vmcnt(51)
	v_fmac_f32_e32 v87, v72, v143
	s_waitcnt vmcnt(50)
	v_fmac_f32_e32 v88, v74, v144
	v_add_f32_e32 v87, 0, v87
	s_waitcnt vmcnt(49)
	v_fmac_f32_e32 v89, v76, v145
	v_add_f32_e32 v87, v87, v88
	;; [unrolled: 3-line block ×7, first 2 shown]
	v_add_f32_e32 v95, v87, v94
	ds_read_b128 v[87:90], v70 offset:352
	buffer_load_dword v195, off, s[0:3], 0 offset:252
	buffer_load_dword v196, off, s[0:3], 0 offset:248
	;; [unrolled: 1-line block ×4, first 2 shown]
	ds_read_b128 v[91:94], v70 offset:368
	buffer_load_dword v199, off, s[0:3], 0 offset:264
	buffer_load_dword v200, off, s[0:3], 0 offset:268
	v_mul_f32_e32 v72, v72, v135
	s_waitcnt vmcnt(49) lgkmcnt(1)
	v_mul_f32_e32 v96, v87, v151
	s_waitcnt vmcnt(48)
	v_fmac_f32_e32 v96, v88, v152
	v_fma_f32 v71, v71, v143, -v72
	v_mul_f32_e32 v72, v74, v136
	v_add_f32_e32 v95, v95, v96
	s_waitcnt vmcnt(46)
	v_mul_f32_e32 v96, v89, v154
	v_add_f32_e32 v71, 0, v71
	v_fma_f32 v72, v73, v144, -v72
	v_fmac_f32_e32 v96, v90, v153
	v_add_f32_e32 v71, v71, v72
	v_mul_f32_e32 v72, v76, v137
	v_add_f32_e32 v95, v95, v96
	s_waitcnt vmcnt(43) lgkmcnt(0)
	v_mul_f32_e32 v96, v91, v157
	v_fma_f32 v72, v75, v145, -v72
	s_waitcnt vmcnt(42)
	v_fmac_f32_e32 v96, v92, v158
	v_add_f32_e32 v71, v71, v72
	v_mul_f32_e32 v72, v78, v138
	v_add_f32_e32 v99, v95, v96
	ds_read_b128 v[95:98], v70 offset:384
	v_fma_f32 v72, v77, v146, -v72
	v_add_f32_e32 v71, v71, v72
	v_mul_f32_e32 v72, v80, v139
	s_waitcnt vmcnt(40)
	v_mul_f32_e32 v100, v93, v160
	v_fma_f32 v72, v79, v147, -v72
	v_fmac_f32_e32 v100, v94, v159
	v_add_f32_e32 v71, v71, v72
	v_mul_f32_e32 v72, v82, v140
	v_add_f32_e32 v103, v99, v100
	ds_read_b128 v[99:102], v70 offset:400
	v_fma_f32 v72, v81, v148, -v72
	s_waitcnt vmcnt(39) lgkmcnt(1)
	v_mul_f32_e32 v104, v95, v161
	v_add_f32_e32 v71, v71, v72
	v_mul_f32_e32 v72, v84, v141
	s_waitcnt vmcnt(38)
	v_fmac_f32_e32 v104, v96, v162
	v_fma_f32 v72, v83, v149, -v72
	v_add_f32_e32 v103, v103, v104
	s_waitcnt vmcnt(36)
	v_mul_f32_e32 v104, v97, v164
	v_add_f32_e32 v71, v71, v72
	v_mul_f32_e32 v72, v86, v142
	v_fmac_f32_e32 v104, v98, v163
	v_fma_f32 v72, v85, v150, -v72
	v_add_f32_e32 v103, v103, v104
	s_waitcnt vmcnt(34) lgkmcnt(0)
	v_mul_f32_e32 v104, v99, v166
	v_add_f32_e32 v71, v71, v72
	v_mul_f32_e32 v72, v88, v151
	v_fmac_f32_e32 v104, v100, v165
	v_fma_f32 v72, v87, v152, -v72
	v_add_f32_e32 v107, v103, v104
	ds_read_b128 v[103:106], v70 offset:416
	v_add_f32_e32 v71, v71, v72
	v_mul_f32_e32 v72, v90, v154
	v_fma_f32 v72, v89, v153, -v72
	s_waitcnt vmcnt(32)
	v_mul_f32_e32 v108, v101, v168
	v_add_f32_e32 v71, v71, v72
	v_mul_f32_e32 v72, v92, v157
	v_fmac_f32_e32 v108, v102, v167
	v_fma_f32 v72, v91, v158, -v72
	v_add_f32_e32 v111, v107, v108
	ds_read_b128 v[107:110], v70 offset:432
	v_add_f32_e32 v71, v71, v72
	v_mul_f32_e32 v72, v94, v160
	s_waitcnt vmcnt(30) lgkmcnt(1)
	v_mul_f32_e32 v112, v103, v170
	v_fma_f32 v72, v93, v159, -v72
	v_fmac_f32_e32 v112, v104, v169
	v_add_f32_e32 v71, v71, v72
	v_mul_f32_e32 v72, v96, v161
	v_add_f32_e32 v111, v111, v112
	s_waitcnt vmcnt(28)
	v_mul_f32_e32 v112, v105, v172
	v_fma_f32 v72, v95, v162, -v72
	v_fmac_f32_e32 v112, v106, v171
	v_add_f32_e32 v71, v71, v72
	v_mul_f32_e32 v72, v98, v164
	v_add_f32_e32 v111, v111, v112
	s_waitcnt vmcnt(26) lgkmcnt(0)
	v_mul_f32_e32 v112, v107, v174
	v_fma_f32 v72, v97, v163, -v72
	v_fmac_f32_e32 v112, v108, v173
	v_add_f32_e32 v71, v71, v72
	v_mul_f32_e32 v72, v100, v166
	v_add_f32_e32 v115, v111, v112
	ds_read_b128 v[111:114], v70 offset:448
	v_fma_f32 v72, v99, v165, -v72
	v_add_f32_e32 v71, v71, v72
	v_mul_f32_e32 v72, v102, v168
	s_waitcnt vmcnt(24)
	v_mul_f32_e32 v116, v109, v176
	v_fma_f32 v72, v101, v167, -v72
	v_fmac_f32_e32 v116, v110, v175
	v_add_f32_e32 v71, v71, v72
	v_mul_f32_e32 v72, v104, v170
	v_add_f32_e32 v119, v115, v116
	ds_read_b128 v[115:118], v70 offset:464
	v_fma_f32 v72, v103, v169, -v72
	s_waitcnt vmcnt(22) lgkmcnt(1)
	v_mul_f32_e32 v120, v111, v178
	v_add_f32_e32 v71, v71, v72
	v_mul_f32_e32 v72, v106, v172
	v_fmac_f32_e32 v120, v112, v177
	v_fma_f32 v72, v105, v171, -v72
	v_add_f32_e32 v119, v119, v120
	s_waitcnt vmcnt(20)
	v_mul_f32_e32 v120, v113, v180
	v_add_f32_e32 v71, v71, v72
	v_mul_f32_e32 v72, v108, v174
	v_fmac_f32_e32 v120, v114, v179
	v_fma_f32 v72, v107, v173, -v72
	v_add_f32_e32 v119, v119, v120
	s_waitcnt vmcnt(18) lgkmcnt(0)
	v_mul_f32_e32 v120, v115, v182
	v_add_f32_e32 v71, v71, v72
	v_mul_f32_e32 v72, v110, v176
	v_fmac_f32_e32 v120, v116, v181
	v_fma_f32 v72, v109, v175, -v72
	v_add_f32_e32 v123, v119, v120
	ds_read_b128 v[119:122], v70 offset:480
	v_add_f32_e32 v71, v71, v72
	v_mul_f32_e32 v72, v112, v178
	v_fma_f32 v72, v111, v177, -v72
	s_waitcnt vmcnt(16)
	v_mul_f32_e32 v124, v117, v184
	v_add_f32_e32 v71, v71, v72
	v_mul_f32_e32 v72, v114, v180
	v_fmac_f32_e32 v124, v118, v183
	v_fma_f32 v72, v113, v179, -v72
	v_add_f32_e32 v127, v123, v124
	ds_read_b128 v[123:126], v70 offset:496
	v_add_f32_e32 v71, v71, v72
	v_mul_f32_e32 v72, v116, v182
	s_waitcnt vmcnt(14) lgkmcnt(1)
	v_mul_f32_e32 v128, v119, v186
	v_fma_f32 v72, v115, v181, -v72
	v_fmac_f32_e32 v128, v120, v185
	v_add_f32_e32 v71, v71, v72
	v_mul_f32_e32 v72, v118, v184
	v_add_f32_e32 v127, v127, v128
	s_waitcnt vmcnt(12)
	v_mul_f32_e32 v128, v121, v188
	v_fma_f32 v72, v117, v183, -v72
	v_fmac_f32_e32 v128, v122, v187
	v_add_f32_e32 v71, v71, v72
	v_mul_f32_e32 v72, v120, v186
	v_add_f32_e32 v127, v127, v128
	s_waitcnt vmcnt(10) lgkmcnt(0)
	v_mul_f32_e32 v128, v123, v190
	v_fma_f32 v72, v119, v185, -v72
	v_fmac_f32_e32 v128, v124, v189
	v_add_f32_e32 v71, v71, v72
	v_mul_f32_e32 v72, v122, v188
	v_add_f32_e32 v131, v127, v128
	ds_read_b128 v[127:130], v70 offset:512
	v_fma_f32 v72, v121, v187, -v72
	v_add_f32_e32 v71, v71, v72
	v_mul_f32_e32 v72, v124, v190
	s_waitcnt vmcnt(8)
	v_mul_f32_e32 v132, v125, v192
	v_fma_f32 v72, v123, v189, -v72
	v_fmac_f32_e32 v132, v126, v191
	v_add_f32_e32 v71, v71, v72
	v_mul_f32_e32 v72, v126, v192
	v_add_f32_e32 v201, v131, v132
	ds_read_b128 v[131:134], v70 offset:528
	v_fma_f32 v72, v125, v191, -v72
	v_add_f32_e32 v71, v71, v72
	s_waitcnt vmcnt(6) lgkmcnt(1)
	v_mul_f32_e32 v72, v128, v194
	v_mul_f32_e32 v70, v127, v194
	v_fma_f32 v72, v127, v193, -v72
	v_fmac_f32_e32 v70, v128, v193
	v_add_f32_e32 v71, v71, v72
	s_waitcnt vmcnt(5)
	v_mul_f32_e32 v72, v130, v195
	v_add_f32_e32 v70, v201, v70
	v_mul_f32_e32 v201, v129, v195
	s_waitcnt vmcnt(4)
	v_fma_f32 v72, v129, v196, -v72
	v_fmac_f32_e32 v201, v130, v196
	v_add_f32_e32 v71, v71, v72
	s_waitcnt vmcnt(2) lgkmcnt(0)
	v_mul_f32_e32 v72, v132, v198
	v_add_f32_e32 v70, v70, v201
	v_mul_f32_e32 v201, v131, v198
	v_fma_f32 v72, v131, v197, -v72
	v_fmac_f32_e32 v201, v132, v197
	v_add_f32_e32 v71, v71, v72
	s_waitcnt vmcnt(0)
	v_mul_f32_e32 v72, v134, v200
	v_add_f32_e32 v70, v70, v201
	v_mul_f32_e32 v201, v133, v200
	v_fma_f32 v72, v133, v199, -v72
	v_fmac_f32_e32 v201, v134, v199
	v_add_f32_e32 v71, v71, v72
	v_add_f32_e32 v70, v70, v201
	v_sub_f32_e32 v71, v155, v71
	v_sub_f32_e32 v70, v156, v70
	buffer_store_dword v71, off, s[0:3], 0 offset:8
	buffer_store_dword v70, off, s[0:3], 0 offset:12
	s_and_saveexec_b64 s[4:5], vcc
	s_cbranch_execz .LBB33_217
; %bb.216:
	buffer_load_dword v70, off, s[0:3], 0
	buffer_load_dword v71, off, s[0:3], 0 offset:4
	v_mov_b32_e32 v0, 0
	buffer_store_dword v0, off, s[0:3], 0
	buffer_store_dword v0, off, s[0:3], 0 offset:4
	s_waitcnt vmcnt(2)
	ds_write_b64 v69, v[70:71]
.LBB33_217:
	s_or_b64 exec, exec, s[4:5]
	s_waitcnt lgkmcnt(0)
	; wave barrier
	buffer_load_dword v135, off, s[0:3], 0 offset:12
	buffer_load_dword v136, off, s[0:3], 0 offset:20
	;; [unrolled: 1-line block ×19, first 2 shown]
	buffer_load_dword v154, off, s[0:3], 0
	buffer_load_dword v155, off, s[0:3], 0 offset:4
	buffer_load_dword v156, off, s[0:3], 0 offset:80
	;; [unrolled: 1-line block ×38, first 2 shown]
	v_mov_b32_e32 v0, 0
	ds_read2_b64 v[69:72], v0 offset0:35 offset1:36
	ds_read2_b64 v[73:76], v0 offset0:37 offset1:38
	;; [unrolled: 1-line block ×5, first 2 shown]
	buffer_load_dword v193, off, s[0:3], 0 offset:232
	buffer_load_dword v194, off, s[0:3], 0 offset:236
	s_and_b64 vcc, exec, s[22:23]
	s_waitcnt vmcnt(59) lgkmcnt(4)
	v_mul_f32_e32 v89, v69, v135
	s_waitcnt vmcnt(58)
	v_mul_f32_e32 v90, v71, v136
	s_waitcnt vmcnt(57) lgkmcnt(3)
	v_mul_f32_e32 v91, v73, v137
	s_waitcnt vmcnt(56)
	v_mul_f32_e32 v92, v75, v138
	;; [unrolled: 4-line block ×4, first 2 shown]
	s_waitcnt vmcnt(51)
	v_fmac_f32_e32 v89, v70, v143
	s_waitcnt vmcnt(50)
	v_fmac_f32_e32 v90, v72, v144
	v_add_f32_e32 v89, 0, v89
	s_waitcnt vmcnt(49)
	v_fmac_f32_e32 v91, v74, v145
	v_add_f32_e32 v89, v89, v90
	;; [unrolled: 3-line block ×7, first 2 shown]
	v_add_f32_e32 v93, v89, v96
	ds_read2_b64 v[89:92], v0 offset0:45 offset1:46
	buffer_load_dword v195, off, s[0:3], 0 offset:244
	buffer_load_dword v196, off, s[0:3], 0 offset:240
	;; [unrolled: 1-line block ×8, first 2 shown]
	s_waitcnt vmcnt(51) lgkmcnt(1)
	v_mul_f32_e32 v94, v85, v151
	s_waitcnt vmcnt(50)
	v_fmac_f32_e32 v94, v86, v152
	v_mul_f32_e32 v70, v70, v135
	v_add_f32_e32 v93, v93, v94
	s_waitcnt vmcnt(49)
	v_mul_f32_e32 v94, v87, v153
	v_fma_f32 v69, v69, v143, -v70
	v_mul_f32_e32 v70, v72, v136
	s_waitcnt vmcnt(46)
	v_fmac_f32_e32 v94, v88, v156
	v_add_f32_e32 v69, 0, v69
	v_fma_f32 v70, v71, v144, -v70
	v_add_f32_e32 v93, v93, v94
	s_waitcnt vmcnt(44) lgkmcnt(0)
	v_mul_f32_e32 v94, v89, v158
	v_add_f32_e32 v69, v69, v70
	v_mul_f32_e32 v70, v74, v137
	v_fmac_f32_e32 v94, v90, v157
	v_fma_f32 v70, v73, v145, -v70
	v_add_f32_e32 v97, v93, v94
	ds_read2_b64 v[93:96], v0 offset0:47 offset1:48
	v_add_f32_e32 v69, v69, v70
	v_mul_f32_e32 v70, v76, v138
	v_fma_f32 v70, v75, v146, -v70
	s_waitcnt vmcnt(42)
	v_mul_f32_e32 v98, v91, v160
	v_add_f32_e32 v69, v69, v70
	v_mul_f32_e32 v70, v78, v139
	v_fmac_f32_e32 v98, v92, v159
	v_fma_f32 v70, v77, v147, -v70
	v_add_f32_e32 v101, v97, v98
	ds_read2_b64 v[97:100], v0 offset0:49 offset1:50
	v_add_f32_e32 v69, v69, v70
	v_mul_f32_e32 v70, v80, v140
	s_waitcnt vmcnt(40) lgkmcnt(1)
	v_mul_f32_e32 v102, v93, v162
	v_fma_f32 v70, v79, v148, -v70
	v_fmac_f32_e32 v102, v94, v161
	v_add_f32_e32 v69, v69, v70
	v_mul_f32_e32 v70, v82, v141
	v_add_f32_e32 v101, v101, v102
	s_waitcnt vmcnt(38)
	v_mul_f32_e32 v102, v95, v164
	v_fma_f32 v70, v81, v149, -v70
	v_fmac_f32_e32 v102, v96, v163
	v_add_f32_e32 v69, v69, v70
	v_mul_f32_e32 v70, v84, v142
	v_add_f32_e32 v101, v101, v102
	s_waitcnt vmcnt(36) lgkmcnt(0)
	v_mul_f32_e32 v102, v97, v166
	v_fma_f32 v70, v83, v150, -v70
	v_fmac_f32_e32 v102, v98, v165
	v_add_f32_e32 v69, v69, v70
	v_mul_f32_e32 v70, v86, v151
	v_add_f32_e32 v105, v101, v102
	ds_read2_b64 v[101:104], v0 offset0:51 offset1:52
	v_fma_f32 v70, v85, v152, -v70
	v_add_f32_e32 v69, v69, v70
	v_mul_f32_e32 v70, v88, v153
	s_waitcnt vmcnt(34)
	v_mul_f32_e32 v106, v99, v168
	v_fma_f32 v70, v87, v156, -v70
	v_fmac_f32_e32 v106, v100, v167
	v_add_f32_e32 v69, v69, v70
	v_mul_f32_e32 v70, v90, v158
	v_add_f32_e32 v109, v105, v106
	ds_read2_b64 v[105:108], v0 offset0:53 offset1:54
	v_fma_f32 v70, v89, v157, -v70
	s_waitcnt vmcnt(32) lgkmcnt(1)
	v_mul_f32_e32 v110, v101, v170
	v_add_f32_e32 v69, v69, v70
	v_mul_f32_e32 v70, v92, v160
	v_fmac_f32_e32 v110, v102, v169
	v_fma_f32 v70, v91, v159, -v70
	v_add_f32_e32 v109, v109, v110
	s_waitcnt vmcnt(30)
	v_mul_f32_e32 v110, v103, v172
	v_add_f32_e32 v69, v69, v70
	v_mul_f32_e32 v70, v94, v162
	v_fmac_f32_e32 v110, v104, v171
	v_fma_f32 v70, v93, v161, -v70
	v_add_f32_e32 v109, v109, v110
	s_waitcnt vmcnt(28) lgkmcnt(0)
	v_mul_f32_e32 v110, v105, v174
	v_add_f32_e32 v69, v69, v70
	v_mul_f32_e32 v70, v96, v164
	v_fmac_f32_e32 v110, v106, v173
	v_fma_f32 v70, v95, v163, -v70
	v_add_f32_e32 v113, v109, v110
	ds_read2_b64 v[109:112], v0 offset0:55 offset1:56
	v_add_f32_e32 v69, v69, v70
	v_mul_f32_e32 v70, v98, v166
	v_fma_f32 v70, v97, v165, -v70
	s_waitcnt vmcnt(26)
	v_mul_f32_e32 v114, v107, v176
	v_add_f32_e32 v69, v69, v70
	v_mul_f32_e32 v70, v100, v168
	v_fmac_f32_e32 v114, v108, v175
	v_fma_f32 v70, v99, v167, -v70
	v_add_f32_e32 v117, v113, v114
	ds_read2_b64 v[113:116], v0 offset0:57 offset1:58
	v_add_f32_e32 v69, v69, v70
	v_mul_f32_e32 v70, v102, v170
	s_waitcnt vmcnt(24) lgkmcnt(1)
	v_mul_f32_e32 v118, v109, v178
	v_fma_f32 v70, v101, v169, -v70
	v_fmac_f32_e32 v118, v110, v177
	v_add_f32_e32 v69, v69, v70
	v_mul_f32_e32 v70, v104, v172
	v_add_f32_e32 v117, v117, v118
	s_waitcnt vmcnt(22)
	v_mul_f32_e32 v118, v111, v180
	v_fma_f32 v70, v103, v171, -v70
	v_fmac_f32_e32 v118, v112, v179
	v_add_f32_e32 v69, v69, v70
	v_mul_f32_e32 v70, v106, v174
	v_add_f32_e32 v117, v117, v118
	s_waitcnt vmcnt(20) lgkmcnt(0)
	v_mul_f32_e32 v118, v113, v182
	v_fma_f32 v70, v105, v173, -v70
	v_fmac_f32_e32 v118, v114, v181
	v_add_f32_e32 v69, v69, v70
	v_mul_f32_e32 v70, v108, v176
	v_add_f32_e32 v121, v117, v118
	ds_read2_b64 v[117:120], v0 offset0:59 offset1:60
	v_fma_f32 v70, v107, v175, -v70
	v_add_f32_e32 v69, v69, v70
	v_mul_f32_e32 v70, v110, v178
	s_waitcnt vmcnt(18)
	v_mul_f32_e32 v122, v115, v184
	v_fma_f32 v70, v109, v177, -v70
	v_fmac_f32_e32 v122, v116, v183
	v_add_f32_e32 v69, v69, v70
	v_mul_f32_e32 v70, v112, v180
	v_add_f32_e32 v125, v121, v122
	ds_read2_b64 v[121:124], v0 offset0:61 offset1:62
	v_fma_f32 v70, v111, v179, -v70
	s_waitcnt vmcnt(16) lgkmcnt(1)
	v_mul_f32_e32 v126, v117, v186
	v_add_f32_e32 v69, v69, v70
	v_mul_f32_e32 v70, v114, v182
	v_fmac_f32_e32 v126, v118, v185
	v_fma_f32 v70, v113, v181, -v70
	v_add_f32_e32 v125, v125, v126
	s_waitcnt vmcnt(14)
	v_mul_f32_e32 v126, v119, v188
	v_add_f32_e32 v69, v69, v70
	v_mul_f32_e32 v70, v116, v184
	v_fmac_f32_e32 v126, v120, v187
	v_fma_f32 v70, v115, v183, -v70
	v_add_f32_e32 v125, v125, v126
	s_waitcnt vmcnt(12) lgkmcnt(0)
	v_mul_f32_e32 v126, v121, v190
	v_add_f32_e32 v69, v69, v70
	v_mul_f32_e32 v70, v118, v186
	v_fmac_f32_e32 v126, v122, v189
	v_fma_f32 v70, v117, v185, -v70
	v_add_f32_e32 v129, v125, v126
	ds_read2_b64 v[125:128], v0 offset0:63 offset1:64
	v_add_f32_e32 v69, v69, v70
	v_mul_f32_e32 v70, v120, v188
	v_fma_f32 v70, v119, v187, -v70
	v_add_f32_e32 v69, v69, v70
	v_mul_f32_e32 v70, v122, v190
	s_waitcnt vmcnt(10)
	v_mul_f32_e32 v130, v123, v192
	v_fma_f32 v70, v121, v189, -v70
	v_fmac_f32_e32 v130, v124, v191
	v_add_f32_e32 v69, v69, v70
	v_mul_f32_e32 v70, v124, v192
	v_add_f32_e32 v133, v129, v130
	ds_read2_b64 v[129:132], v0 offset0:65 offset1:66
	s_waitcnt vmcnt(8) lgkmcnt(1)
	v_mul_f32_e32 v134, v125, v194
	v_fma_f32 v70, v123, v191, -v70
	v_fmac_f32_e32 v134, v126, v193
	v_add_f32_e32 v69, v69, v70
	v_mul_f32_e32 v70, v126, v194
	v_add_f32_e32 v133, v133, v134
	s_waitcnt vmcnt(7)
	v_mul_f32_e32 v134, v127, v195
	v_fma_f32 v70, v125, v193, -v70
	s_waitcnt vmcnt(6)
	v_fmac_f32_e32 v134, v128, v196
	v_add_f32_e32 v69, v69, v70
	v_mul_f32_e32 v70, v128, v195
	v_add_f32_e32 v203, v133, v134
	ds_read_b64 v[133:134], v0 offset:536
	v_fma_f32 v70, v127, v196, -v70
	v_add_f32_e32 v69, v69, v70
	s_waitcnt vmcnt(4) lgkmcnt(1)
	v_mul_f32_e32 v70, v130, v198
	v_mul_f32_e32 v204, v129, v198
	v_fma_f32 v70, v129, v197, -v70
	v_fmac_f32_e32 v204, v130, v197
	v_add_f32_e32 v69, v69, v70
	s_waitcnt vmcnt(3)
	v_mul_f32_e32 v70, v132, v199
	v_add_f32_e32 v203, v203, v204
	v_mul_f32_e32 v204, v131, v199
	s_waitcnt vmcnt(2)
	v_fma_f32 v70, v131, v200, -v70
	v_fmac_f32_e32 v204, v132, v200
	v_add_f32_e32 v69, v69, v70
	s_waitcnt vmcnt(0) lgkmcnt(0)
	v_mul_f32_e32 v70, v134, v202
	v_add_f32_e32 v203, v203, v204
	v_mul_f32_e32 v204, v133, v202
	v_fma_f32 v70, v133, v201, -v70
	v_fmac_f32_e32 v204, v134, v201
	v_add_f32_e32 v69, v69, v70
	v_add_f32_e32 v203, v203, v204
	v_sub_f32_e32 v69, v154, v69
	v_sub_f32_e32 v70, v155, v203
	buffer_store_dword v69, off, s[0:3], 0
	buffer_store_dword v70, off, s[0:3], 0 offset:4
	s_cbranch_vccz .LBB33_284
; %bb.218:
	global_load_dword v0, v0, s[20:21] offset:128
	s_waitcnt vmcnt(0)
	v_add_u32_e32 v0, -1, v0
	v_cmp_ne_u32_e32 vcc, 32, v0
	s_cbranch_vccz .LBB33_220
; %bb.219:
	v_lshlrev_b32_e32 v0, 3, v0
	buffer_load_dword v69, v0, s[0:3], 0 offen
	buffer_load_dword v70, v0, s[0:3], 0 offen offset:4
	buffer_load_dword v71, off, s[0:3], 0 offset:260
	buffer_load_dword v72, off, s[0:3], 0 offset:256
	s_waitcnt vmcnt(3)
	buffer_store_dword v69, off, s[0:3], 0 offset:256
	s_waitcnt vmcnt(3)
	buffer_store_dword v70, off, s[0:3], 0 offset:260
	s_waitcnt vmcnt(3)
	buffer_store_dword v71, v0, s[0:3], 0 offen offset:4
	s_waitcnt vmcnt(3)
	buffer_store_dword v72, v0, s[0:3], 0 offen
.LBB33_220:
	v_mov_b32_e32 v0, 0
	global_load_dword v69, v0, s[20:21] offset:124
	s_waitcnt vmcnt(0)
	v_add_u32_e32 v69, -1, v69
	v_cmp_eq_u32_e32 vcc, 31, v69
	s_cbranch_vccnz .LBB33_222
; %bb.221:
	v_lshlrev_b32_e32 v69, 3, v69
	buffer_load_dword v70, v69, s[0:3], 0 offen
	buffer_load_dword v71, v69, s[0:3], 0 offen offset:4
	buffer_load_dword v72, off, s[0:3], 0 offset:248
	buffer_load_dword v73, off, s[0:3], 0 offset:252
	s_waitcnt vmcnt(3)
	buffer_store_dword v70, off, s[0:3], 0 offset:248
	s_waitcnt vmcnt(3)
	buffer_store_dword v71, off, s[0:3], 0 offset:252
	s_waitcnt vmcnt(3)
	buffer_store_dword v72, v69, s[0:3], 0 offen
	s_waitcnt vmcnt(3)
	buffer_store_dword v73, v69, s[0:3], 0 offen offset:4
.LBB33_222:
	global_load_dword v0, v0, s[20:21] offset:120
	s_waitcnt vmcnt(0)
	v_add_u32_e32 v0, -1, v0
	v_cmp_eq_u32_e32 vcc, 30, v0
	s_cbranch_vccnz .LBB33_224
; %bb.223:
	v_lshlrev_b32_e32 v0, 3, v0
	buffer_load_dword v69, v0, s[0:3], 0 offen
	buffer_load_dword v70, v0, s[0:3], 0 offen offset:4
	buffer_load_dword v71, off, s[0:3], 0 offset:244
	buffer_load_dword v72, off, s[0:3], 0 offset:240
	s_waitcnt vmcnt(3)
	buffer_store_dword v69, off, s[0:3], 0 offset:240
	s_waitcnt vmcnt(3)
	buffer_store_dword v70, off, s[0:3], 0 offset:244
	s_waitcnt vmcnt(3)
	buffer_store_dword v71, v0, s[0:3], 0 offen offset:4
	s_waitcnt vmcnt(3)
	buffer_store_dword v72, v0, s[0:3], 0 offen
.LBB33_224:
	v_mov_b32_e32 v0, 0
	global_load_dword v69, v0, s[20:21] offset:116
	s_waitcnt vmcnt(0)
	v_add_u32_e32 v69, -1, v69
	v_cmp_eq_u32_e32 vcc, 29, v69
	s_cbranch_vccnz .LBB33_226
; %bb.225:
	v_lshlrev_b32_e32 v69, 3, v69
	buffer_load_dword v70, v69, s[0:3], 0 offen
	buffer_load_dword v71, v69, s[0:3], 0 offen offset:4
	buffer_load_dword v72, off, s[0:3], 0 offset:232
	buffer_load_dword v73, off, s[0:3], 0 offset:236
	s_waitcnt vmcnt(3)
	buffer_store_dword v70, off, s[0:3], 0 offset:232
	s_waitcnt vmcnt(3)
	buffer_store_dword v71, off, s[0:3], 0 offset:236
	s_waitcnt vmcnt(3)
	buffer_store_dword v72, v69, s[0:3], 0 offen
	s_waitcnt vmcnt(3)
	buffer_store_dword v73, v69, s[0:3], 0 offen offset:4
.LBB33_226:
	global_load_dword v0, v0, s[20:21] offset:112
	s_waitcnt vmcnt(0)
	v_add_u32_e32 v0, -1, v0
	v_cmp_eq_u32_e32 vcc, 28, v0
	s_cbranch_vccnz .LBB33_228
; %bb.227:
	v_lshlrev_b32_e32 v0, 3, v0
	buffer_load_dword v69, v0, s[0:3], 0 offen
	buffer_load_dword v70, v0, s[0:3], 0 offen offset:4
	buffer_load_dword v71, off, s[0:3], 0 offset:228
	buffer_load_dword v72, off, s[0:3], 0 offset:224
	s_waitcnt vmcnt(3)
	buffer_store_dword v69, off, s[0:3], 0 offset:224
	s_waitcnt vmcnt(3)
	buffer_store_dword v70, off, s[0:3], 0 offset:228
	s_waitcnt vmcnt(3)
	buffer_store_dword v71, v0, s[0:3], 0 offen offset:4
	s_waitcnt vmcnt(3)
	buffer_store_dword v72, v0, s[0:3], 0 offen
.LBB33_228:
	v_mov_b32_e32 v0, 0
	global_load_dword v69, v0, s[20:21] offset:108
	s_waitcnt vmcnt(0)
	v_add_u32_e32 v69, -1, v69
	v_cmp_eq_u32_e32 vcc, 27, v69
	s_cbranch_vccnz .LBB33_230
; %bb.229:
	v_lshlrev_b32_e32 v69, 3, v69
	buffer_load_dword v70, v69, s[0:3], 0 offen
	buffer_load_dword v71, v69, s[0:3], 0 offen offset:4
	buffer_load_dword v72, off, s[0:3], 0 offset:216
	buffer_load_dword v73, off, s[0:3], 0 offset:220
	s_waitcnt vmcnt(3)
	buffer_store_dword v70, off, s[0:3], 0 offset:216
	s_waitcnt vmcnt(3)
	buffer_store_dword v71, off, s[0:3], 0 offset:220
	s_waitcnt vmcnt(3)
	buffer_store_dword v72, v69, s[0:3], 0 offen
	s_waitcnt vmcnt(3)
	buffer_store_dword v73, v69, s[0:3], 0 offen offset:4
.LBB33_230:
	global_load_dword v0, v0, s[20:21] offset:104
	s_waitcnt vmcnt(0)
	v_add_u32_e32 v0, -1, v0
	v_cmp_eq_u32_e32 vcc, 26, v0
	s_cbranch_vccnz .LBB33_232
; %bb.231:
	v_lshlrev_b32_e32 v0, 3, v0
	buffer_load_dword v69, v0, s[0:3], 0 offen
	buffer_load_dword v70, v0, s[0:3], 0 offen offset:4
	buffer_load_dword v71, off, s[0:3], 0 offset:212
	buffer_load_dword v72, off, s[0:3], 0 offset:208
	s_waitcnt vmcnt(3)
	buffer_store_dword v69, off, s[0:3], 0 offset:208
	s_waitcnt vmcnt(3)
	buffer_store_dword v70, off, s[0:3], 0 offset:212
	s_waitcnt vmcnt(3)
	buffer_store_dword v71, v0, s[0:3], 0 offen offset:4
	s_waitcnt vmcnt(3)
	buffer_store_dword v72, v0, s[0:3], 0 offen
.LBB33_232:
	v_mov_b32_e32 v0, 0
	global_load_dword v69, v0, s[20:21] offset:100
	s_waitcnt vmcnt(0)
	v_add_u32_e32 v69, -1, v69
	v_cmp_eq_u32_e32 vcc, 25, v69
	s_cbranch_vccnz .LBB33_234
; %bb.233:
	v_lshlrev_b32_e32 v69, 3, v69
	buffer_load_dword v70, v69, s[0:3], 0 offen
	buffer_load_dword v71, v69, s[0:3], 0 offen offset:4
	buffer_load_dword v72, off, s[0:3], 0 offset:200
	buffer_load_dword v73, off, s[0:3], 0 offset:204
	s_waitcnt vmcnt(3)
	buffer_store_dword v70, off, s[0:3], 0 offset:200
	s_waitcnt vmcnt(3)
	buffer_store_dword v71, off, s[0:3], 0 offset:204
	s_waitcnt vmcnt(3)
	buffer_store_dword v72, v69, s[0:3], 0 offen
	s_waitcnt vmcnt(3)
	buffer_store_dword v73, v69, s[0:3], 0 offen offset:4
.LBB33_234:
	global_load_dword v0, v0, s[20:21] offset:96
	s_waitcnt vmcnt(0)
	v_add_u32_e32 v0, -1, v0
	v_cmp_eq_u32_e32 vcc, 24, v0
	s_cbranch_vccnz .LBB33_236
; %bb.235:
	v_lshlrev_b32_e32 v0, 3, v0
	buffer_load_dword v69, v0, s[0:3], 0 offen
	buffer_load_dword v70, v0, s[0:3], 0 offen offset:4
	buffer_load_dword v71, off, s[0:3], 0 offset:196
	buffer_load_dword v72, off, s[0:3], 0 offset:192
	s_waitcnt vmcnt(3)
	buffer_store_dword v69, off, s[0:3], 0 offset:192
	s_waitcnt vmcnt(3)
	buffer_store_dword v70, off, s[0:3], 0 offset:196
	s_waitcnt vmcnt(3)
	buffer_store_dword v71, v0, s[0:3], 0 offen offset:4
	s_waitcnt vmcnt(3)
	buffer_store_dword v72, v0, s[0:3], 0 offen
.LBB33_236:
	v_mov_b32_e32 v0, 0
	global_load_dword v69, v0, s[20:21] offset:92
	s_waitcnt vmcnt(0)
	v_add_u32_e32 v69, -1, v69
	v_cmp_eq_u32_e32 vcc, 23, v69
	s_cbranch_vccnz .LBB33_238
; %bb.237:
	v_lshlrev_b32_e32 v69, 3, v69
	buffer_load_dword v70, v69, s[0:3], 0 offen
	buffer_load_dword v71, v69, s[0:3], 0 offen offset:4
	buffer_load_dword v72, off, s[0:3], 0 offset:184
	buffer_load_dword v73, off, s[0:3], 0 offset:188
	s_waitcnt vmcnt(3)
	buffer_store_dword v70, off, s[0:3], 0 offset:184
	s_waitcnt vmcnt(3)
	buffer_store_dword v71, off, s[0:3], 0 offset:188
	s_waitcnt vmcnt(3)
	buffer_store_dword v72, v69, s[0:3], 0 offen
	s_waitcnt vmcnt(3)
	buffer_store_dword v73, v69, s[0:3], 0 offen offset:4
.LBB33_238:
	global_load_dword v0, v0, s[20:21] offset:88
	s_waitcnt vmcnt(0)
	v_add_u32_e32 v0, -1, v0
	v_cmp_eq_u32_e32 vcc, 22, v0
	s_cbranch_vccnz .LBB33_240
; %bb.239:
	v_lshlrev_b32_e32 v0, 3, v0
	buffer_load_dword v69, v0, s[0:3], 0 offen
	buffer_load_dword v70, v0, s[0:3], 0 offen offset:4
	buffer_load_dword v71, off, s[0:3], 0 offset:180
	buffer_load_dword v72, off, s[0:3], 0 offset:176
	s_waitcnt vmcnt(3)
	buffer_store_dword v69, off, s[0:3], 0 offset:176
	s_waitcnt vmcnt(3)
	buffer_store_dword v70, off, s[0:3], 0 offset:180
	s_waitcnt vmcnt(3)
	buffer_store_dword v71, v0, s[0:3], 0 offen offset:4
	s_waitcnt vmcnt(3)
	buffer_store_dword v72, v0, s[0:3], 0 offen
.LBB33_240:
	v_mov_b32_e32 v0, 0
	global_load_dword v69, v0, s[20:21] offset:84
	s_waitcnt vmcnt(0)
	v_add_u32_e32 v69, -1, v69
	v_cmp_eq_u32_e32 vcc, 21, v69
	s_cbranch_vccnz .LBB33_242
; %bb.241:
	v_lshlrev_b32_e32 v69, 3, v69
	buffer_load_dword v70, v69, s[0:3], 0 offen
	buffer_load_dword v71, v69, s[0:3], 0 offen offset:4
	buffer_load_dword v72, off, s[0:3], 0 offset:168
	buffer_load_dword v73, off, s[0:3], 0 offset:172
	s_waitcnt vmcnt(3)
	buffer_store_dword v70, off, s[0:3], 0 offset:168
	s_waitcnt vmcnt(3)
	buffer_store_dword v71, off, s[0:3], 0 offset:172
	s_waitcnt vmcnt(3)
	buffer_store_dword v72, v69, s[0:3], 0 offen
	s_waitcnt vmcnt(3)
	buffer_store_dword v73, v69, s[0:3], 0 offen offset:4
.LBB33_242:
	global_load_dword v0, v0, s[20:21] offset:80
	s_waitcnt vmcnt(0)
	v_add_u32_e32 v0, -1, v0
	v_cmp_eq_u32_e32 vcc, 20, v0
	s_cbranch_vccnz .LBB33_244
; %bb.243:
	v_lshlrev_b32_e32 v0, 3, v0
	buffer_load_dword v69, v0, s[0:3], 0 offen
	buffer_load_dword v70, v0, s[0:3], 0 offen offset:4
	buffer_load_dword v71, off, s[0:3], 0 offset:164
	buffer_load_dword v72, off, s[0:3], 0 offset:160
	s_waitcnt vmcnt(3)
	buffer_store_dword v69, off, s[0:3], 0 offset:160
	s_waitcnt vmcnt(3)
	buffer_store_dword v70, off, s[0:3], 0 offset:164
	s_waitcnt vmcnt(3)
	buffer_store_dword v71, v0, s[0:3], 0 offen offset:4
	s_waitcnt vmcnt(3)
	buffer_store_dword v72, v0, s[0:3], 0 offen
.LBB33_244:
	v_mov_b32_e32 v0, 0
	global_load_dword v69, v0, s[20:21] offset:76
	s_waitcnt vmcnt(0)
	v_add_u32_e32 v69, -1, v69
	v_cmp_eq_u32_e32 vcc, 19, v69
	s_cbranch_vccnz .LBB33_246
; %bb.245:
	v_lshlrev_b32_e32 v69, 3, v69
	buffer_load_dword v70, v69, s[0:3], 0 offen
	buffer_load_dword v71, v69, s[0:3], 0 offen offset:4
	buffer_load_dword v72, off, s[0:3], 0 offset:152
	buffer_load_dword v73, off, s[0:3], 0 offset:156
	s_waitcnt vmcnt(3)
	buffer_store_dword v70, off, s[0:3], 0 offset:152
	s_waitcnt vmcnt(3)
	buffer_store_dword v71, off, s[0:3], 0 offset:156
	s_waitcnt vmcnt(3)
	buffer_store_dword v72, v69, s[0:3], 0 offen
	s_waitcnt vmcnt(3)
	buffer_store_dword v73, v69, s[0:3], 0 offen offset:4
.LBB33_246:
	global_load_dword v0, v0, s[20:21] offset:72
	s_waitcnt vmcnt(0)
	v_add_u32_e32 v0, -1, v0
	v_cmp_eq_u32_e32 vcc, 18, v0
	s_cbranch_vccnz .LBB33_248
; %bb.247:
	v_lshlrev_b32_e32 v0, 3, v0
	buffer_load_dword v69, v0, s[0:3], 0 offen
	buffer_load_dword v70, v0, s[0:3], 0 offen offset:4
	buffer_load_dword v71, off, s[0:3], 0 offset:148
	buffer_load_dword v72, off, s[0:3], 0 offset:144
	s_waitcnt vmcnt(3)
	buffer_store_dword v69, off, s[0:3], 0 offset:144
	s_waitcnt vmcnt(3)
	buffer_store_dword v70, off, s[0:3], 0 offset:148
	s_waitcnt vmcnt(3)
	buffer_store_dword v71, v0, s[0:3], 0 offen offset:4
	s_waitcnt vmcnt(3)
	buffer_store_dword v72, v0, s[0:3], 0 offen
.LBB33_248:
	v_mov_b32_e32 v0, 0
	global_load_dword v69, v0, s[20:21] offset:68
	s_waitcnt vmcnt(0)
	v_add_u32_e32 v69, -1, v69
	v_cmp_eq_u32_e32 vcc, 17, v69
	s_cbranch_vccnz .LBB33_250
; %bb.249:
	v_lshlrev_b32_e32 v69, 3, v69
	buffer_load_dword v70, v69, s[0:3], 0 offen
	buffer_load_dword v71, v69, s[0:3], 0 offen offset:4
	buffer_load_dword v72, off, s[0:3], 0 offset:136
	buffer_load_dword v73, off, s[0:3], 0 offset:140
	s_waitcnt vmcnt(3)
	buffer_store_dword v70, off, s[0:3], 0 offset:136
	s_waitcnt vmcnt(3)
	buffer_store_dword v71, off, s[0:3], 0 offset:140
	s_waitcnt vmcnt(3)
	buffer_store_dword v72, v69, s[0:3], 0 offen
	s_waitcnt vmcnt(3)
	buffer_store_dword v73, v69, s[0:3], 0 offen offset:4
.LBB33_250:
	global_load_dword v0, v0, s[20:21] offset:64
	s_waitcnt vmcnt(0)
	v_add_u32_e32 v0, -1, v0
	v_cmp_eq_u32_e32 vcc, 16, v0
	s_cbranch_vccnz .LBB33_252
; %bb.251:
	v_lshlrev_b32_e32 v0, 3, v0
	buffer_load_dword v69, v0, s[0:3], 0 offen
	buffer_load_dword v70, v0, s[0:3], 0 offen offset:4
	buffer_load_dword v71, off, s[0:3], 0 offset:132
	buffer_load_dword v72, off, s[0:3], 0 offset:128
	s_waitcnt vmcnt(3)
	buffer_store_dword v69, off, s[0:3], 0 offset:128
	s_waitcnt vmcnt(3)
	buffer_store_dword v70, off, s[0:3], 0 offset:132
	s_waitcnt vmcnt(3)
	buffer_store_dword v71, v0, s[0:3], 0 offen offset:4
	s_waitcnt vmcnt(3)
	buffer_store_dword v72, v0, s[0:3], 0 offen
.LBB33_252:
	v_mov_b32_e32 v0, 0
	global_load_dword v69, v0, s[20:21] offset:60
	s_waitcnt vmcnt(0)
	v_add_u32_e32 v69, -1, v69
	v_cmp_eq_u32_e32 vcc, 15, v69
	s_cbranch_vccnz .LBB33_254
; %bb.253:
	v_lshlrev_b32_e32 v69, 3, v69
	buffer_load_dword v70, v69, s[0:3], 0 offen
	buffer_load_dword v71, v69, s[0:3], 0 offen offset:4
	buffer_load_dword v72, off, s[0:3], 0 offset:120
	buffer_load_dword v73, off, s[0:3], 0 offset:124
	s_waitcnt vmcnt(3)
	buffer_store_dword v70, off, s[0:3], 0 offset:120
	s_waitcnt vmcnt(3)
	buffer_store_dword v71, off, s[0:3], 0 offset:124
	s_waitcnt vmcnt(3)
	buffer_store_dword v72, v69, s[0:3], 0 offen
	s_waitcnt vmcnt(3)
	buffer_store_dword v73, v69, s[0:3], 0 offen offset:4
.LBB33_254:
	global_load_dword v0, v0, s[20:21] offset:56
	s_waitcnt vmcnt(0)
	v_add_u32_e32 v0, -1, v0
	v_cmp_eq_u32_e32 vcc, 14, v0
	s_cbranch_vccnz .LBB33_256
; %bb.255:
	v_lshlrev_b32_e32 v0, 3, v0
	buffer_load_dword v69, v0, s[0:3], 0 offen
	buffer_load_dword v70, v0, s[0:3], 0 offen offset:4
	buffer_load_dword v71, off, s[0:3], 0 offset:116
	buffer_load_dword v72, off, s[0:3], 0 offset:112
	s_waitcnt vmcnt(3)
	buffer_store_dword v69, off, s[0:3], 0 offset:112
	s_waitcnt vmcnt(3)
	buffer_store_dword v70, off, s[0:3], 0 offset:116
	s_waitcnt vmcnt(3)
	buffer_store_dword v71, v0, s[0:3], 0 offen offset:4
	s_waitcnt vmcnt(3)
	buffer_store_dword v72, v0, s[0:3], 0 offen
.LBB33_256:
	v_mov_b32_e32 v0, 0
	global_load_dword v69, v0, s[20:21] offset:52
	s_waitcnt vmcnt(0)
	v_add_u32_e32 v69, -1, v69
	v_cmp_eq_u32_e32 vcc, 13, v69
	s_cbranch_vccnz .LBB33_258
; %bb.257:
	v_lshlrev_b32_e32 v69, 3, v69
	buffer_load_dword v70, v69, s[0:3], 0 offen
	buffer_load_dword v71, v69, s[0:3], 0 offen offset:4
	buffer_load_dword v72, off, s[0:3], 0 offset:104
	buffer_load_dword v73, off, s[0:3], 0 offset:108
	s_waitcnt vmcnt(3)
	buffer_store_dword v70, off, s[0:3], 0 offset:104
	s_waitcnt vmcnt(3)
	buffer_store_dword v71, off, s[0:3], 0 offset:108
	s_waitcnt vmcnt(3)
	buffer_store_dword v72, v69, s[0:3], 0 offen
	s_waitcnt vmcnt(3)
	buffer_store_dword v73, v69, s[0:3], 0 offen offset:4
.LBB33_258:
	global_load_dword v0, v0, s[20:21] offset:48
	s_waitcnt vmcnt(0)
	v_add_u32_e32 v0, -1, v0
	v_cmp_eq_u32_e32 vcc, 12, v0
	s_cbranch_vccnz .LBB33_260
; %bb.259:
	v_lshlrev_b32_e32 v0, 3, v0
	buffer_load_dword v69, v0, s[0:3], 0 offen
	buffer_load_dword v70, v0, s[0:3], 0 offen offset:4
	buffer_load_dword v71, off, s[0:3], 0 offset:100
	buffer_load_dword v72, off, s[0:3], 0 offset:96
	s_waitcnt vmcnt(3)
	buffer_store_dword v69, off, s[0:3], 0 offset:96
	s_waitcnt vmcnt(3)
	buffer_store_dword v70, off, s[0:3], 0 offset:100
	s_waitcnt vmcnt(3)
	buffer_store_dword v71, v0, s[0:3], 0 offen offset:4
	s_waitcnt vmcnt(3)
	buffer_store_dword v72, v0, s[0:3], 0 offen
.LBB33_260:
	v_mov_b32_e32 v0, 0
	global_load_dword v69, v0, s[20:21] offset:44
	s_waitcnt vmcnt(0)
	v_add_u32_e32 v69, -1, v69
	v_cmp_eq_u32_e32 vcc, 11, v69
	s_cbranch_vccnz .LBB33_262
; %bb.261:
	v_lshlrev_b32_e32 v69, 3, v69
	buffer_load_dword v70, v69, s[0:3], 0 offen
	buffer_load_dword v71, v69, s[0:3], 0 offen offset:4
	buffer_load_dword v72, off, s[0:3], 0 offset:88
	buffer_load_dword v73, off, s[0:3], 0 offset:92
	s_waitcnt vmcnt(3)
	buffer_store_dword v70, off, s[0:3], 0 offset:88
	s_waitcnt vmcnt(3)
	buffer_store_dword v71, off, s[0:3], 0 offset:92
	s_waitcnt vmcnt(3)
	buffer_store_dword v72, v69, s[0:3], 0 offen
	s_waitcnt vmcnt(3)
	buffer_store_dword v73, v69, s[0:3], 0 offen offset:4
.LBB33_262:
	global_load_dword v0, v0, s[20:21] offset:40
	s_waitcnt vmcnt(0)
	v_add_u32_e32 v0, -1, v0
	v_cmp_eq_u32_e32 vcc, 10, v0
	s_cbranch_vccnz .LBB33_264
; %bb.263:
	v_lshlrev_b32_e32 v0, 3, v0
	buffer_load_dword v69, v0, s[0:3], 0 offen
	buffer_load_dword v70, v0, s[0:3], 0 offen offset:4
	buffer_load_dword v71, off, s[0:3], 0 offset:84
	buffer_load_dword v72, off, s[0:3], 0 offset:80
	s_waitcnt vmcnt(3)
	buffer_store_dword v69, off, s[0:3], 0 offset:80
	s_waitcnt vmcnt(3)
	buffer_store_dword v70, off, s[0:3], 0 offset:84
	s_waitcnt vmcnt(3)
	buffer_store_dword v71, v0, s[0:3], 0 offen offset:4
	s_waitcnt vmcnt(3)
	buffer_store_dword v72, v0, s[0:3], 0 offen
.LBB33_264:
	v_mov_b32_e32 v0, 0
	global_load_dword v69, v0, s[20:21] offset:36
	s_waitcnt vmcnt(0)
	v_add_u32_e32 v69, -1, v69
	v_cmp_eq_u32_e32 vcc, 9, v69
	s_cbranch_vccnz .LBB33_266
; %bb.265:
	v_lshlrev_b32_e32 v69, 3, v69
	buffer_load_dword v70, v69, s[0:3], 0 offen
	buffer_load_dword v71, v69, s[0:3], 0 offen offset:4
	buffer_load_dword v72, off, s[0:3], 0 offset:72
	buffer_load_dword v73, off, s[0:3], 0 offset:76
	s_waitcnt vmcnt(3)
	buffer_store_dword v70, off, s[0:3], 0 offset:72
	s_waitcnt vmcnt(3)
	buffer_store_dword v71, off, s[0:3], 0 offset:76
	s_waitcnt vmcnt(3)
	buffer_store_dword v72, v69, s[0:3], 0 offen
	s_waitcnt vmcnt(3)
	buffer_store_dword v73, v69, s[0:3], 0 offen offset:4
.LBB33_266:
	global_load_dword v0, v0, s[20:21] offset:32
	s_waitcnt vmcnt(0)
	v_add_u32_e32 v0, -1, v0
	v_cmp_eq_u32_e32 vcc, 8, v0
	s_cbranch_vccnz .LBB33_268
; %bb.267:
	v_lshlrev_b32_e32 v0, 3, v0
	buffer_load_dword v69, v0, s[0:3], 0 offen
	buffer_load_dword v70, v0, s[0:3], 0 offen offset:4
	buffer_load_dword v71, off, s[0:3], 0 offset:68
	buffer_load_dword v72, off, s[0:3], 0 offset:64
	s_waitcnt vmcnt(3)
	buffer_store_dword v69, off, s[0:3], 0 offset:64
	s_waitcnt vmcnt(3)
	buffer_store_dword v70, off, s[0:3], 0 offset:68
	s_waitcnt vmcnt(3)
	buffer_store_dword v71, v0, s[0:3], 0 offen offset:4
	s_waitcnt vmcnt(3)
	buffer_store_dword v72, v0, s[0:3], 0 offen
.LBB33_268:
	v_mov_b32_e32 v0, 0
	global_load_dword v69, v0, s[20:21] offset:28
	s_waitcnt vmcnt(0)
	v_add_u32_e32 v69, -1, v69
	v_cmp_eq_u32_e32 vcc, 7, v69
	s_cbranch_vccnz .LBB33_270
; %bb.269:
	v_lshlrev_b32_e32 v69, 3, v69
	buffer_load_dword v70, v69, s[0:3], 0 offen
	buffer_load_dword v71, v69, s[0:3], 0 offen offset:4
	buffer_load_dword v72, off, s[0:3], 0 offset:56
	buffer_load_dword v73, off, s[0:3], 0 offset:60
	s_waitcnt vmcnt(3)
	buffer_store_dword v70, off, s[0:3], 0 offset:56
	s_waitcnt vmcnt(3)
	buffer_store_dword v71, off, s[0:3], 0 offset:60
	s_waitcnt vmcnt(3)
	buffer_store_dword v72, v69, s[0:3], 0 offen
	s_waitcnt vmcnt(3)
	buffer_store_dword v73, v69, s[0:3], 0 offen offset:4
.LBB33_270:
	global_load_dword v0, v0, s[20:21] offset:24
	s_waitcnt vmcnt(0)
	v_add_u32_e32 v0, -1, v0
	v_cmp_eq_u32_e32 vcc, 6, v0
	s_cbranch_vccnz .LBB33_272
; %bb.271:
	v_lshlrev_b32_e32 v0, 3, v0
	buffer_load_dword v69, v0, s[0:3], 0 offen
	buffer_load_dword v70, v0, s[0:3], 0 offen offset:4
	buffer_load_dword v71, off, s[0:3], 0 offset:52
	buffer_load_dword v72, off, s[0:3], 0 offset:48
	s_waitcnt vmcnt(3)
	buffer_store_dword v69, off, s[0:3], 0 offset:48
	s_waitcnt vmcnt(3)
	buffer_store_dword v70, off, s[0:3], 0 offset:52
	s_waitcnt vmcnt(3)
	buffer_store_dword v71, v0, s[0:3], 0 offen offset:4
	s_waitcnt vmcnt(3)
	buffer_store_dword v72, v0, s[0:3], 0 offen
.LBB33_272:
	v_mov_b32_e32 v0, 0
	global_load_dword v69, v0, s[20:21] offset:20
	s_waitcnt vmcnt(0)
	v_add_u32_e32 v69, -1, v69
	v_cmp_eq_u32_e32 vcc, 5, v69
	s_cbranch_vccnz .LBB33_274
; %bb.273:
	v_lshlrev_b32_e32 v69, 3, v69
	buffer_load_dword v70, v69, s[0:3], 0 offen
	buffer_load_dword v71, v69, s[0:3], 0 offen offset:4
	buffer_load_dword v72, off, s[0:3], 0 offset:40
	buffer_load_dword v73, off, s[0:3], 0 offset:44
	s_waitcnt vmcnt(3)
	buffer_store_dword v70, off, s[0:3], 0 offset:40
	s_waitcnt vmcnt(3)
	buffer_store_dword v71, off, s[0:3], 0 offset:44
	s_waitcnt vmcnt(3)
	buffer_store_dword v72, v69, s[0:3], 0 offen
	s_waitcnt vmcnt(3)
	buffer_store_dword v73, v69, s[0:3], 0 offen offset:4
.LBB33_274:
	global_load_dword v0, v0, s[20:21] offset:16
	s_waitcnt vmcnt(0)
	v_add_u32_e32 v0, -1, v0
	v_cmp_eq_u32_e32 vcc, 4, v0
	s_cbranch_vccnz .LBB33_276
; %bb.275:
	v_lshlrev_b32_e32 v0, 3, v0
	buffer_load_dword v69, v0, s[0:3], 0 offen
	buffer_load_dword v70, v0, s[0:3], 0 offen offset:4
	buffer_load_dword v71, off, s[0:3], 0 offset:36
	buffer_load_dword v72, off, s[0:3], 0 offset:32
	s_waitcnt vmcnt(3)
	buffer_store_dword v69, off, s[0:3], 0 offset:32
	s_waitcnt vmcnt(3)
	buffer_store_dword v70, off, s[0:3], 0 offset:36
	s_waitcnt vmcnt(3)
	buffer_store_dword v71, v0, s[0:3], 0 offen offset:4
	s_waitcnt vmcnt(3)
	buffer_store_dword v72, v0, s[0:3], 0 offen
.LBB33_276:
	v_mov_b32_e32 v0, 0
	global_load_dword v69, v0, s[20:21] offset:12
	s_waitcnt vmcnt(0)
	v_add_u32_e32 v69, -1, v69
	v_cmp_eq_u32_e32 vcc, 3, v69
	s_cbranch_vccnz .LBB33_278
; %bb.277:
	v_lshlrev_b32_e32 v69, 3, v69
	buffer_load_dword v70, v69, s[0:3], 0 offen
	buffer_load_dword v71, v69, s[0:3], 0 offen offset:4
	buffer_load_dword v72, off, s[0:3], 0 offset:24
	buffer_load_dword v73, off, s[0:3], 0 offset:28
	s_waitcnt vmcnt(3)
	buffer_store_dword v70, off, s[0:3], 0 offset:24
	s_waitcnt vmcnt(3)
	buffer_store_dword v71, off, s[0:3], 0 offset:28
	s_waitcnt vmcnt(3)
	buffer_store_dword v72, v69, s[0:3], 0 offen
	s_waitcnt vmcnt(3)
	buffer_store_dword v73, v69, s[0:3], 0 offen offset:4
.LBB33_278:
	global_load_dword v0, v0, s[20:21] offset:8
	s_waitcnt vmcnt(0)
	v_add_u32_e32 v0, -1, v0
	v_cmp_eq_u32_e32 vcc, 2, v0
	s_cbranch_vccnz .LBB33_280
; %bb.279:
	v_lshlrev_b32_e32 v0, 3, v0
	buffer_load_dword v69, v0, s[0:3], 0 offen
	buffer_load_dword v70, v0, s[0:3], 0 offen offset:4
	buffer_load_dword v71, off, s[0:3], 0 offset:20
	buffer_load_dword v72, off, s[0:3], 0 offset:16
	s_waitcnt vmcnt(3)
	buffer_store_dword v69, off, s[0:3], 0 offset:16
	s_waitcnt vmcnt(3)
	buffer_store_dword v70, off, s[0:3], 0 offset:20
	s_waitcnt vmcnt(3)
	buffer_store_dword v71, v0, s[0:3], 0 offen offset:4
	s_waitcnt vmcnt(3)
	buffer_store_dword v72, v0, s[0:3], 0 offen
.LBB33_280:
	v_mov_b32_e32 v0, 0
	global_load_dword v69, v0, s[20:21] offset:4
	s_waitcnt vmcnt(0)
	v_add_u32_e32 v69, -1, v69
	v_cmp_eq_u32_e32 vcc, 1, v69
	s_cbranch_vccnz .LBB33_282
; %bb.281:
	v_lshlrev_b32_e32 v69, 3, v69
	buffer_load_dword v70, v69, s[0:3], 0 offen
	buffer_load_dword v71, v69, s[0:3], 0 offen offset:4
	buffer_load_dword v72, off, s[0:3], 0 offset:8
	buffer_load_dword v73, off, s[0:3], 0 offset:12
	s_waitcnt vmcnt(3)
	buffer_store_dword v70, off, s[0:3], 0 offset:8
	s_waitcnt vmcnt(3)
	buffer_store_dword v71, off, s[0:3], 0 offset:12
	s_waitcnt vmcnt(3)
	buffer_store_dword v72, v69, s[0:3], 0 offen
	s_waitcnt vmcnt(3)
	buffer_store_dword v73, v69, s[0:3], 0 offen offset:4
.LBB33_282:
	global_load_dword v0, v0, s[20:21]
	s_waitcnt vmcnt(0)
	v_add_u32_e32 v0, -1, v0
	v_cmp_eq_u32_e32 vcc, 0, v0
	s_cbranch_vccnz .LBB33_284
; %bb.283:
	v_lshlrev_b32_e32 v0, 3, v0
	buffer_load_dword v69, v0, s[0:3], 0 offen
	buffer_load_dword v70, v0, s[0:3], 0 offen offset:4
	buffer_load_dword v71, off, s[0:3], 0 offset:4
	buffer_load_dword v72, off, s[0:3], 0
	s_waitcnt vmcnt(3)
	buffer_store_dword v69, off, s[0:3], 0
	s_waitcnt vmcnt(3)
	buffer_store_dword v70, off, s[0:3], 0 offset:4
	s_waitcnt vmcnt(3)
	buffer_store_dword v71, v0, s[0:3], 0 offen offset:4
	s_waitcnt vmcnt(3)
	buffer_store_dword v72, v0, s[0:3], 0 offen
.LBB33_284:
	buffer_load_dword v69, off, s[0:3], 0
	buffer_load_dword v70, off, s[0:3], 0 offset:4
	buffer_load_dword v71, off, s[0:3], 0 offset:8
	s_nop 0
	buffer_load_dword v72, off, s[0:3], 0 offset:12
	buffer_load_dword v73, off, s[0:3], 0 offset:16
	buffer_load_dword v74, off, s[0:3], 0 offset:20
	buffer_load_dword v75, off, s[0:3], 0 offset:24
	buffer_load_dword v76, off, s[0:3], 0 offset:28
	buffer_load_dword v77, off, s[0:3], 0 offset:32
	buffer_load_dword v78, off, s[0:3], 0 offset:36
	buffer_load_dword v79, off, s[0:3], 0 offset:40
	buffer_load_dword v80, off, s[0:3], 0 offset:44
	buffer_load_dword v81, off, s[0:3], 0 offset:48
	buffer_load_dword v82, off, s[0:3], 0 offset:52
	buffer_load_dword v83, off, s[0:3], 0 offset:56
	buffer_load_dword v84, off, s[0:3], 0 offset:60
	buffer_load_dword v86, off, s[0:3], 0 offset:68
	buffer_load_dword v87, off, s[0:3], 0 offset:72
	buffer_load_dword v88, off, s[0:3], 0 offset:76
	buffer_load_dword v89, off, s[0:3], 0 offset:80
	buffer_load_dword v90, off, s[0:3], 0 offset:84
	buffer_load_dword v91, off, s[0:3], 0 offset:88
	buffer_load_dword v92, off, s[0:3], 0 offset:92
	buffer_load_dword v85, off, s[0:3], 0 offset:64
	buffer_load_dword v93, off, s[0:3], 0 offset:96
	buffer_load_dword v94, off, s[0:3], 0 offset:100
	buffer_load_dword v95, off, s[0:3], 0 offset:104
	buffer_load_dword v96, off, s[0:3], 0 offset:108
	buffer_load_dword v97, off, s[0:3], 0 offset:112
	buffer_load_dword v98, off, s[0:3], 0 offset:116
	buffer_load_dword v99, off, s[0:3], 0 offset:120
	buffer_load_dword v100, off, s[0:3], 0 offset:124
	buffer_load_dword v101, off, s[0:3], 0 offset:128
	buffer_load_dword v102, off, s[0:3], 0 offset:132
	buffer_load_dword v103, off, s[0:3], 0 offset:136
	buffer_load_dword v104, off, s[0:3], 0 offset:140
	buffer_load_dword v105, off, s[0:3], 0 offset:144
	buffer_load_dword v106, off, s[0:3], 0 offset:148
	buffer_load_dword v107, off, s[0:3], 0 offset:152
	buffer_load_dword v108, off, s[0:3], 0 offset:156
	buffer_load_dword v109, off, s[0:3], 0 offset:160
	buffer_load_dword v110, off, s[0:3], 0 offset:164
	buffer_load_dword v111, off, s[0:3], 0 offset:168
	buffer_load_dword v112, off, s[0:3], 0 offset:172
	buffer_load_dword v113, off, s[0:3], 0 offset:176
	buffer_load_dword v114, off, s[0:3], 0 offset:180
	buffer_load_dword v115, off, s[0:3], 0 offset:184
	buffer_load_dword v116, off, s[0:3], 0 offset:188
	buffer_load_dword v117, off, s[0:3], 0 offset:192
	buffer_load_dword v118, off, s[0:3], 0 offset:196
	buffer_load_dword v119, off, s[0:3], 0 offset:200
	buffer_load_dword v120, off, s[0:3], 0 offset:204
	buffer_load_dword v121, off, s[0:3], 0 offset:208
	buffer_load_dword v122, off, s[0:3], 0 offset:212
	buffer_load_dword v123, off, s[0:3], 0 offset:216
	buffer_load_dword v124, off, s[0:3], 0 offset:220
	buffer_load_dword v125, off, s[0:3], 0 offset:224
	buffer_load_dword v126, off, s[0:3], 0 offset:228
	buffer_load_dword v127, off, s[0:3], 0 offset:232
	buffer_load_dword v128, off, s[0:3], 0 offset:236
	buffer_load_dword v129, off, s[0:3], 0 offset:240
	buffer_load_dword v130, off, s[0:3], 0 offset:244
	buffer_load_dword v131, off, s[0:3], 0 offset:248
	buffer_load_dword v132, off, s[0:3], 0 offset:252
	buffer_load_dword v133, off, s[0:3], 0 offset:256
	buffer_load_dword v134, off, s[0:3], 0 offset:260
	buffer_load_dword v135, off, s[0:3], 0 offset:264
	buffer_load_dword v136, off, s[0:3], 0 offset:268
	s_waitcnt vmcnt(62)
	global_store_dwordx2 v[59:60], v[69:70], off
	global_store_dwordx2 v[61:62], v[71:72], off
	;; [unrolled: 1-line block ×3, first 2 shown]
	s_waitcnt vmcnt(62)
	global_store_dwordx2 v[3:4], v[75:76], off
	s_waitcnt vmcnt(62)
	global_store_dwordx2 v[5:6], v[77:78], off
	;; [unrolled: 2-line block ×6, first 2 shown]
	global_store_dwordx2 v[15:16], v[87:88], off
	global_store_dwordx2 v[17:18], v[89:90], off
	global_store_dwordx2 v[19:20], v[91:92], off
	s_waitcnt vmcnt(54)
	global_store_dwordx2 v[21:22], v[93:94], off
	s_waitcnt vmcnt(53)
	global_store_dwordx2 v[23:24], v[95:96], off
	;; [unrolled: 2-line block ×22, first 2 shown]
	s_endpgm
	.section	.rodata,"a",@progbits
	.p2align	6, 0x0
	.amdhsa_kernel _ZN9rocsolver6v33100L18getri_kernel_smallILi34E19rocblas_complex_numIfEPS3_EEvT1_iilPiilS6_bb
		.amdhsa_group_segment_fixed_size 548
		.amdhsa_private_segment_fixed_size 288
		.amdhsa_kernarg_size 60
		.amdhsa_user_sgpr_count 6
		.amdhsa_user_sgpr_private_segment_buffer 1
		.amdhsa_user_sgpr_dispatch_ptr 0
		.amdhsa_user_sgpr_queue_ptr 0
		.amdhsa_user_sgpr_kernarg_segment_ptr 1
		.amdhsa_user_sgpr_dispatch_id 0
		.amdhsa_user_sgpr_flat_scratch_init 0
		.amdhsa_user_sgpr_private_segment_size 0
		.amdhsa_uses_dynamic_stack 0
		.amdhsa_system_sgpr_private_segment_wavefront_offset 1
		.amdhsa_system_sgpr_workgroup_id_x 1
		.amdhsa_system_sgpr_workgroup_id_y 0
		.amdhsa_system_sgpr_workgroup_id_z 0
		.amdhsa_system_sgpr_workgroup_info 0
		.amdhsa_system_vgpr_workitem_id 0
		.amdhsa_next_free_vgpr 205
		.amdhsa_next_free_sgpr 24
		.amdhsa_reserve_vcc 1
		.amdhsa_reserve_flat_scratch 0
		.amdhsa_float_round_mode_32 0
		.amdhsa_float_round_mode_16_64 0
		.amdhsa_float_denorm_mode_32 3
		.amdhsa_float_denorm_mode_16_64 3
		.amdhsa_dx10_clamp 1
		.amdhsa_ieee_mode 1
		.amdhsa_fp16_overflow 0
		.amdhsa_exception_fp_ieee_invalid_op 0
		.amdhsa_exception_fp_denorm_src 0
		.amdhsa_exception_fp_ieee_div_zero 0
		.amdhsa_exception_fp_ieee_overflow 0
		.amdhsa_exception_fp_ieee_underflow 0
		.amdhsa_exception_fp_ieee_inexact 0
		.amdhsa_exception_int_div_zero 0
	.end_amdhsa_kernel
	.section	.text._ZN9rocsolver6v33100L18getri_kernel_smallILi34E19rocblas_complex_numIfEPS3_EEvT1_iilPiilS6_bb,"axG",@progbits,_ZN9rocsolver6v33100L18getri_kernel_smallILi34E19rocblas_complex_numIfEPS3_EEvT1_iilPiilS6_bb,comdat
.Lfunc_end33:
	.size	_ZN9rocsolver6v33100L18getri_kernel_smallILi34E19rocblas_complex_numIfEPS3_EEvT1_iilPiilS6_bb, .Lfunc_end33-_ZN9rocsolver6v33100L18getri_kernel_smallILi34E19rocblas_complex_numIfEPS3_EEvT1_iilPiilS6_bb
                                        ; -- End function
	.set _ZN9rocsolver6v33100L18getri_kernel_smallILi34E19rocblas_complex_numIfEPS3_EEvT1_iilPiilS6_bb.num_vgpr, 205
	.set _ZN9rocsolver6v33100L18getri_kernel_smallILi34E19rocblas_complex_numIfEPS3_EEvT1_iilPiilS6_bb.num_agpr, 0
	.set _ZN9rocsolver6v33100L18getri_kernel_smallILi34E19rocblas_complex_numIfEPS3_EEvT1_iilPiilS6_bb.numbered_sgpr, 24
	.set _ZN9rocsolver6v33100L18getri_kernel_smallILi34E19rocblas_complex_numIfEPS3_EEvT1_iilPiilS6_bb.num_named_barrier, 0
	.set _ZN9rocsolver6v33100L18getri_kernel_smallILi34E19rocblas_complex_numIfEPS3_EEvT1_iilPiilS6_bb.private_seg_size, 288
	.set _ZN9rocsolver6v33100L18getri_kernel_smallILi34E19rocblas_complex_numIfEPS3_EEvT1_iilPiilS6_bb.uses_vcc, 1
	.set _ZN9rocsolver6v33100L18getri_kernel_smallILi34E19rocblas_complex_numIfEPS3_EEvT1_iilPiilS6_bb.uses_flat_scratch, 0
	.set _ZN9rocsolver6v33100L18getri_kernel_smallILi34E19rocblas_complex_numIfEPS3_EEvT1_iilPiilS6_bb.has_dyn_sized_stack, 0
	.set _ZN9rocsolver6v33100L18getri_kernel_smallILi34E19rocblas_complex_numIfEPS3_EEvT1_iilPiilS6_bb.has_recursion, 0
	.set _ZN9rocsolver6v33100L18getri_kernel_smallILi34E19rocblas_complex_numIfEPS3_EEvT1_iilPiilS6_bb.has_indirect_call, 0
	.section	.AMDGPU.csdata,"",@progbits
; Kernel info:
; codeLenInByte = 49084
; TotalNumSgprs: 28
; NumVgprs: 205
; ScratchSize: 288
; MemoryBound: 0
; FloatMode: 240
; IeeeMode: 1
; LDSByteSize: 548 bytes/workgroup (compile time only)
; SGPRBlocks: 3
; VGPRBlocks: 51
; NumSGPRsForWavesPerEU: 28
; NumVGPRsForWavesPerEU: 205
; Occupancy: 1
; WaveLimiterHint : 1
; COMPUTE_PGM_RSRC2:SCRATCH_EN: 1
; COMPUTE_PGM_RSRC2:USER_SGPR: 6
; COMPUTE_PGM_RSRC2:TRAP_HANDLER: 0
; COMPUTE_PGM_RSRC2:TGID_X_EN: 1
; COMPUTE_PGM_RSRC2:TGID_Y_EN: 0
; COMPUTE_PGM_RSRC2:TGID_Z_EN: 0
; COMPUTE_PGM_RSRC2:TIDIG_COMP_CNT: 0
	.section	.text._ZN9rocsolver6v33100L18getri_kernel_smallILi35E19rocblas_complex_numIfEPS3_EEvT1_iilPiilS6_bb,"axG",@progbits,_ZN9rocsolver6v33100L18getri_kernel_smallILi35E19rocblas_complex_numIfEPS3_EEvT1_iilPiilS6_bb,comdat
	.globl	_ZN9rocsolver6v33100L18getri_kernel_smallILi35E19rocblas_complex_numIfEPS3_EEvT1_iilPiilS6_bb ; -- Begin function _ZN9rocsolver6v33100L18getri_kernel_smallILi35E19rocblas_complex_numIfEPS3_EEvT1_iilPiilS6_bb
	.p2align	8
	.type	_ZN9rocsolver6v33100L18getri_kernel_smallILi35E19rocblas_complex_numIfEPS3_EEvT1_iilPiilS6_bb,@function
_ZN9rocsolver6v33100L18getri_kernel_smallILi35E19rocblas_complex_numIfEPS3_EEvT1_iilPiilS6_bb: ; @_ZN9rocsolver6v33100L18getri_kernel_smallILi35E19rocblas_complex_numIfEPS3_EEvT1_iilPiilS6_bb
; %bb.0:
	s_add_u32 s0, s0, s7
	s_addc_u32 s1, s1, 0
	v_cmp_gt_u32_e32 vcc, 35, v0
	s_and_saveexec_b64 s[8:9], vcc
	s_cbranch_execz .LBB34_154
; %bb.1:
	s_load_dword s12, s[4:5], 0x38
	s_load_dwordx4 s[16:19], s[4:5], 0x10
	s_load_dwordx4 s[8:11], s[4:5], 0x28
                                        ; implicit-def: $sgpr20_sgpr21
	s_waitcnt lgkmcnt(0)
	s_bitcmp1_b32 s12, 8
	s_cselect_b64 s[22:23], -1, 0
	s_ashr_i32 s7, s6, 31
	s_bfe_u32 s12, s12, 0x10008
	s_cmp_eq_u32 s12, 0
	s_cbranch_scc1 .LBB34_3
; %bb.2:
	s_load_dword s12, s[4:5], 0x20
	s_mul_i32 s13, s8, s7
	s_mul_hi_u32 s14, s8, s6
	s_mul_i32 s9, s9, s6
	s_add_i32 s14, s14, s13
	s_add_i32 s9, s14, s9
	s_mul_i32 s8, s8, s6
	s_waitcnt lgkmcnt(0)
	s_ashr_i32 s13, s12, 31
	s_lshl_b64 s[8:9], s[8:9], 2
	s_add_u32 s14, s18, s8
	s_addc_u32 s15, s19, s9
	s_lshl_b64 s[8:9], s[12:13], 2
	s_add_u32 s20, s14, s8
	s_addc_u32 s21, s15, s9
.LBB34_3:
	s_load_dwordx4 s[12:15], s[4:5], 0x0
	s_load_dword s8, s[4:5], 0x38
	s_mul_i32 s9, s16, s7
	s_mul_hi_u32 s18, s16, s6
	s_add_i32 s9, s18, s9
	s_waitcnt lgkmcnt(0)
	s_ashr_i32 s5, s14, 31
	s_mov_b32 s4, s14
	s_mul_i32 s14, s17, s6
	s_add_i32 s17, s9, s14
	s_mul_i32 s16, s16, s6
	s_lshl_b64 s[16:17], s[16:17], 3
	s_add_u32 s9, s12, s16
	s_addc_u32 s12, s13, s17
	s_lshl_b64 s[4:5], s[4:5], 3
	s_add_u32 s4, s9, s4
	s_addc_u32 s5, s12, s5
	s_add_i32 s9, s15, s15
	v_add_u32_e32 v3, s9, v0
	v_ashrrev_i32_e32 v4, 31, v3
	v_lshlrev_b64 v[1:2], 3, v[3:4]
	v_add_u32_e32 v5, s15, v3
	v_mov_b32_e32 v4, s5
	v_add_co_u32_e32 v1, vcc, s4, v1
	v_ashrrev_i32_e32 v6, 31, v5
	v_addc_co_u32_e32 v2, vcc, v4, v2, vcc
	v_lshlrev_b64 v[3:4], 3, v[5:6]
	v_add_u32_e32 v7, s15, v5
	v_mov_b32_e32 v6, s5
	v_add_co_u32_e32 v3, vcc, s4, v3
	v_ashrrev_i32_e32 v8, 31, v7
	v_addc_co_u32_e32 v4, vcc, v6, v4, vcc
	;; [unrolled: 6-line block ×8, first 2 shown]
	v_lshlrev_b64 v[17:18], 3, v[19:20]
	v_mov_b32_e32 v21, s5
	v_add_co_u32_e32 v17, vcc, s4, v17
	v_addc_co_u32_e32 v18, vcc, v21, v18, vcc
	v_add_u32_e32 v21, s15, v19
	v_ashrrev_i32_e32 v22, 31, v21
	v_lshlrev_b64 v[19:20], 3, v[21:22]
	v_mov_b32_e32 v23, s5
	v_add_co_u32_e32 v19, vcc, s4, v19
	v_addc_co_u32_e32 v20, vcc, v23, v20, vcc
	v_add_u32_e32 v23, s15, v21
	v_ashrrev_i32_e32 v24, 31, v23
	;; [unrolled: 6-line block ×19, first 2 shown]
	v_lshlrev_b64 v[55:56], 3, v[57:58]
	v_mov_b32_e32 v59, s5
	v_add_co_u32_e32 v55, vcc, s4, v55
	v_addc_co_u32_e32 v56, vcc, v59, v56, vcc
	v_lshlrev_b32_e32 v73, 3, v0
	v_add_u32_e32 v63, s15, v57
	v_mov_b32_e32 v60, s5
	v_add_co_u32_e32 v59, vcc, s4, v73
	s_ashr_i32 s13, s15, 31
	s_mov_b32 s12, s15
	v_ashrrev_i32_e32 v64, 31, v63
	v_addc_co_u32_e32 v60, vcc, 0, v60, vcc
	s_lshl_b64 s[12:13], s[12:13], 3
	v_lshlrev_b64 v[57:58], 3, v[63:64]
	v_mov_b32_e32 v62, s13
	v_add_co_u32_e32 v61, vcc, s12, v59
	v_addc_co_u32_e32 v62, vcc, v60, v62, vcc
	v_mov_b32_e32 v65, s5
	v_add_co_u32_e32 v57, vcc, s4, v57
	v_addc_co_u32_e32 v58, vcc, v65, v58, vcc
	v_add_u32_e32 v65, s15, v63
	v_ashrrev_i32_e32 v66, 31, v65
	v_lshlrev_b64 v[63:64], 3, v[65:66]
	v_mov_b32_e32 v67, s5
	v_add_co_u32_e32 v63, vcc, s4, v63
	v_addc_co_u32_e32 v64, vcc, v67, v64, vcc
	v_add_u32_e32 v67, s15, v65
	v_ashrrev_i32_e32 v68, 31, v67
	v_lshlrev_b64 v[65:66], 3, v[67:68]
	;; [unrolled: 6-line block ×3, first 2 shown]
	v_mov_b32_e32 v124, s5
	v_add_co_u32_e32 v67, vcc, s4, v67
	global_load_dwordx2 v[71:72], v73, s[4:5]
	global_load_dwordx2 v[76:77], v[1:2], off
	global_load_dwordx2 v[78:79], v[3:4], off
	;; [unrolled: 1-line block ×25, first 2 shown]
	v_addc_co_u32_e32 v68, vcc, v124, v68, vcc
	global_load_dwordx2 v[124:125], v[49:50], off
	global_load_dwordx2 v[126:127], v[51:52], off
	;; [unrolled: 1-line block ×8, first 2 shown]
	v_add_u32_e32 v69, s15, v69
	v_ashrrev_i32_e32 v70, 31, v69
	v_lshlrev_b64 v[69:70], 3, v[69:70]
	v_mov_b32_e32 v140, s5
	v_add_co_u32_e32 v69, vcc, s4, v69
	v_addc_co_u32_e32 v70, vcc, v140, v70, vcc
	global_load_dwordx2 v[140:141], v[69:70], off
	s_bitcmp0_b32 s8, 0
	s_mov_b64 s[8:9], -1
	s_waitcnt vmcnt(34)
	buffer_store_dword v72, off, s[0:3], 0 offset:4
	buffer_store_dword v71, off, s[0:3], 0
	s_waitcnt vmcnt(32)
	buffer_store_dword v75, off, s[0:3], 0 offset:12
	buffer_store_dword v74, off, s[0:3], 0 offset:8
	;; [unrolled: 1-line block ×8, first 2 shown]
	s_waitcnt vmcnt(39)
	buffer_store_dword v83, off, s[0:3], 0 offset:44
	buffer_store_dword v82, off, s[0:3], 0 offset:40
	s_waitcnt vmcnt(40)
	buffer_store_dword v85, off, s[0:3], 0 offset:52
	buffer_store_dword v84, off, s[0:3], 0 offset:48
	;; [unrolled: 3-line block ×25, first 2 shown]
	buffer_store_dword v132, off, s[0:3], 0 offset:240
	buffer_store_dword v133, off, s[0:3], 0 offset:244
	s_waitcnt vmcnt(62)
	buffer_store_dword v135, off, s[0:3], 0 offset:252
	buffer_store_dword v134, off, s[0:3], 0 offset:248
	;; [unrolled: 1-line block ×8, first 2 shown]
	s_cbranch_scc1 .LBB34_152
; %bb.4:
	v_cmp_eq_u32_e64 s[4:5], 0, v0
	s_and_saveexec_b64 s[8:9], s[4:5]
; %bb.5:
	v_mov_b32_e32 v71, 0
	ds_write_b32 v71, v71 offset:280
; %bb.6:
	s_or_b64 exec, exec, s[8:9]
	v_mov_b32_e32 v71, 0
	v_lshl_add_u32 v75, v0, 3, v71
	s_waitcnt lgkmcnt(0)
	; wave barrier
	buffer_load_dword v71, v75, s[0:3], 0 offen
	buffer_load_dword v72, v75, s[0:3], 0 offen offset:4
	s_waitcnt vmcnt(1)
	v_cmp_eq_f32_e32 vcc, 0, v71
	s_waitcnt vmcnt(0)
	v_cmp_eq_f32_e64 s[8:9], 0, v72
	s_and_b64 s[8:9], vcc, s[8:9]
	s_and_saveexec_b64 s[12:13], s[8:9]
	s_cbranch_execz .LBB34_10
; %bb.7:
	v_mov_b32_e32 v71, 0
	ds_read_b32 v74, v71 offset:280
	v_add_u32_e32 v72, 1, v0
	s_waitcnt lgkmcnt(0)
	v_readfirstlane_b32 s8, v74
	s_cmp_eq_u32 s8, 0
	s_cselect_b64 s[14:15], -1, 0
	v_cmp_gt_i32_e32 vcc, s8, v72
	s_or_b64 s[14:15], s[14:15], vcc
	s_and_b64 exec, exec, s[14:15]
	s_cbranch_execz .LBB34_10
; %bb.8:
	s_mov_b64 s[14:15], 0
	v_mov_b32_e32 v74, s8
.LBB34_9:                               ; =>This Inner Loop Header: Depth=1
	ds_cmpst_rtn_b32 v74, v71, v74, v72 offset:280
	s_waitcnt lgkmcnt(0)
	v_cmp_ne_u32_e32 vcc, 0, v74
	v_cmp_le_i32_e64 s[8:9], v74, v72
	s_and_b64 s[8:9], vcc, s[8:9]
	s_and_b64 s[8:9], exec, s[8:9]
	s_or_b64 s[14:15], s[8:9], s[14:15]
	s_andn2_b64 exec, exec, s[14:15]
	s_cbranch_execnz .LBB34_9
.LBB34_10:
	s_or_b64 exec, exec, s[12:13]
	v_mov_b32_e32 v72, 0
	; wave barrier
	ds_read_b32 v71, v72 offset:280
	s_and_saveexec_b64 s[8:9], s[4:5]
	s_cbranch_execz .LBB34_12
; %bb.11:
	s_lshl_b64 s[12:13], s[6:7], 2
	s_add_u32 s12, s10, s12
	s_addc_u32 s13, s11, s13
	s_waitcnt lgkmcnt(0)
	global_store_dword v72, v71, s[12:13]
.LBB34_12:
	s_or_b64 exec, exec, s[8:9]
	s_waitcnt lgkmcnt(0)
	v_cmp_ne_u32_e32 vcc, 0, v71
	s_mov_b64 s[8:9], 0
	s_cbranch_vccnz .LBB34_152
; %bb.13:
	buffer_load_dword v72, v75, s[0:3], 0 offen
	buffer_load_dword v74, v75, s[0:3], 0 offen offset:4
                                        ; implicit-def: $vgpr77
                                        ; implicit-def: $vgpr76
                                        ; implicit-def: $vgpr71
	s_waitcnt vmcnt(0)
	v_cmp_ngt_f32_e64 s[8:9], |v72|, |v74|
	s_and_saveexec_b64 s[12:13], s[8:9]
	s_xor_b64 s[8:9], exec, s[12:13]
	s_cbranch_execz .LBB34_15
; %bb.14:
	v_div_scale_f32 v71, s[12:13], v74, v74, v72
	v_div_scale_f32 v76, vcc, v72, v74, v72
	v_rcp_f32_e32 v77, v71
	v_fma_f32 v78, -v71, v77, 1.0
	v_fmac_f32_e32 v77, v78, v77
	v_mul_f32_e32 v78, v76, v77
	v_fma_f32 v79, -v71, v78, v76
	v_fmac_f32_e32 v78, v79, v77
	v_fma_f32 v71, -v71, v78, v76
	v_div_fmas_f32 v71, v71, v77, v78
	v_div_fixup_f32 v71, v71, v74, v72
	v_fmac_f32_e32 v74, v72, v71
	v_div_scale_f32 v72, s[12:13], v74, v74, 1.0
	v_div_scale_f32 v76, vcc, 1.0, v74, 1.0
	v_rcp_f32_e32 v77, v72
	v_fma_f32 v78, -v72, v77, 1.0
	v_fmac_f32_e32 v77, v78, v77
	v_mul_f32_e32 v78, v76, v77
	v_fma_f32 v79, -v72, v78, v76
	v_fmac_f32_e32 v78, v79, v77
	v_fma_f32 v72, -v72, v78, v76
	v_div_fmas_f32 v72, v72, v77, v78
	v_div_fixup_f32 v72, v72, v74, 1.0
	v_mul_f32_e32 v77, v71, v72
	v_xor_b32_e32 v76, 0x80000000, v72
	v_xor_b32_e32 v71, 0x80000000, v77
                                        ; implicit-def: $vgpr72
                                        ; implicit-def: $vgpr74
.LBB34_15:
	s_andn2_saveexec_b64 s[8:9], s[8:9]
	s_cbranch_execz .LBB34_17
; %bb.16:
	v_div_scale_f32 v71, s[12:13], v72, v72, v74
	v_div_scale_f32 v76, vcc, v74, v72, v74
	v_rcp_f32_e32 v77, v71
	v_fma_f32 v78, -v71, v77, 1.0
	v_fmac_f32_e32 v77, v78, v77
	v_mul_f32_e32 v78, v76, v77
	v_fma_f32 v79, -v71, v78, v76
	v_fmac_f32_e32 v78, v79, v77
	v_fma_f32 v71, -v71, v78, v76
	v_div_fmas_f32 v71, v71, v77, v78
	v_div_fixup_f32 v76, v71, v72, v74
	v_fmac_f32_e32 v72, v74, v76
	v_div_scale_f32 v71, s[12:13], v72, v72, 1.0
	v_div_scale_f32 v74, vcc, 1.0, v72, 1.0
	v_rcp_f32_e32 v77, v71
	v_fma_f32 v78, -v71, v77, 1.0
	v_fmac_f32_e32 v77, v78, v77
	v_mul_f32_e32 v78, v74, v77
	v_fma_f32 v79, -v71, v78, v74
	v_fmac_f32_e32 v78, v79, v77
	v_fma_f32 v71, -v71, v78, v74
	v_div_fmas_f32 v71, v71, v77, v78
	v_div_fixup_f32 v77, v71, v72, 1.0
	v_xor_b32_e32 v71, 0x80000000, v77
	v_mul_f32_e64 v76, v76, -v77
.LBB34_17:
	s_or_b64 exec, exec, s[8:9]
	buffer_store_dword v77, v75, s[0:3], 0 offen
	buffer_store_dword v76, v75, s[0:3], 0 offen offset:4
	buffer_load_dword v78, off, s[0:3], 0 offset:12
	s_nop 0
	buffer_load_dword v77, off, s[0:3], 0 offset:8
	v_xor_b32_e32 v72, 0x80000000, v76
	v_add_u32_e32 v74, 0x120, v73
	s_waitcnt vmcnt(0)
	ds_write2_b64 v73, v[71:72], v[77:78] offset1:36
	s_waitcnt lgkmcnt(0)
	; wave barrier
	s_and_saveexec_b64 s[8:9], s[4:5]
	s_cbranch_execz .LBB34_19
; %bb.18:
	buffer_load_dword v78, v75, s[0:3], 0 offen offset:4
	buffer_load_dword v79, v75, s[0:3], 0 offen
	ds_read_b64 v[71:72], v74
	v_mov_b32_e32 v76, 0
	ds_read_b64 v[76:77], v76 offset:8
	s_waitcnt vmcnt(1) lgkmcnt(1)
	v_mul_f32_e32 v80, v72, v78
	v_mul_f32_e32 v78, v71, v78
	s_waitcnt vmcnt(0)
	v_fmac_f32_e32 v78, v72, v79
	v_fma_f32 v71, v71, v79, -v80
	v_add_f32_e32 v72, 0, v78
	v_add_f32_e32 v71, 0, v71
	s_waitcnt lgkmcnt(0)
	v_mul_f32_e32 v78, v72, v77
	v_mul_f32_e32 v77, v71, v77
	v_fma_f32 v71, v71, v76, -v78
	v_fmac_f32_e32 v77, v72, v76
	buffer_store_dword v71, off, s[0:3], 0 offset:8
	buffer_store_dword v77, off, s[0:3], 0 offset:12
.LBB34_19:
	s_or_b64 exec, exec, s[8:9]
	; wave barrier
	buffer_load_dword v71, off, s[0:3], 0 offset:16
	buffer_load_dword v72, off, s[0:3], 0 offset:20
	v_cmp_gt_u32_e32 vcc, 2, v0
	s_waitcnt vmcnt(0)
	ds_write_b64 v74, v[71:72]
	s_waitcnt lgkmcnt(0)
	; wave barrier
	s_and_saveexec_b64 s[8:9], vcc
	s_cbranch_execz .LBB34_23
; %bb.20:
	buffer_load_dword v76, v75, s[0:3], 0 offen offset:4
	buffer_load_dword v77, v75, s[0:3], 0 offen
	ds_read_b64 v[71:72], v74
	s_waitcnt vmcnt(1) lgkmcnt(0)
	v_mul_f32_e32 v75, v72, v76
	v_mul_f32_e32 v76, v71, v76
	s_waitcnt vmcnt(0)
	v_fma_f32 v71, v71, v77, -v75
	v_fmac_f32_e32 v76, v72, v77
	v_add_f32_e32 v72, 0, v71
	v_add_f32_e32 v71, 0, v76
	s_and_saveexec_b64 s[12:13], s[4:5]
	s_cbranch_execz .LBB34_22
; %bb.21:
	buffer_load_dword v77, off, s[0:3], 0 offset:12
	buffer_load_dword v78, off, s[0:3], 0 offset:8
	v_mov_b32_e32 v75, 0
	ds_read_b64 v[75:76], v75 offset:296
	s_waitcnt vmcnt(1) lgkmcnt(0)
	v_mul_f32_e32 v79, v75, v77
	v_mul_f32_e32 v77, v76, v77
	s_waitcnt vmcnt(0)
	v_fmac_f32_e32 v79, v76, v78
	v_fma_f32 v75, v75, v78, -v77
	v_add_f32_e32 v71, v71, v79
	v_add_f32_e32 v72, v72, v75
.LBB34_22:
	s_or_b64 exec, exec, s[12:13]
	v_mov_b32_e32 v75, 0
	ds_read_b64 v[75:76], v75 offset:16
	s_waitcnt lgkmcnt(0)
	v_mul_f32_e32 v77, v71, v76
	v_mul_f32_e32 v76, v72, v76
	v_fma_f32 v72, v72, v75, -v77
	v_fmac_f32_e32 v76, v71, v75
	buffer_store_dword v72, off, s[0:3], 0 offset:16
	buffer_store_dword v76, off, s[0:3], 0 offset:20
.LBB34_23:
	s_or_b64 exec, exec, s[8:9]
	; wave barrier
	buffer_load_dword v71, off, s[0:3], 0 offset:24
	buffer_load_dword v72, off, s[0:3], 0 offset:28
	v_cmp_gt_u32_e32 vcc, 3, v0
	s_waitcnt vmcnt(0)
	ds_write_b64 v74, v[71:72]
	v_add_u32_e32 v71, -1, v0
	s_waitcnt lgkmcnt(0)
	; wave barrier
	s_and_saveexec_b64 s[4:5], vcc
	s_cbranch_execz .LBB34_27
; %bb.24:
	v_add_u32_e32 v75, -1, v0
	v_add_u32_e32 v76, 0x120, v73
	v_mov_b32_e32 v77, v73
	v_mov_b32_e32 v72, 0
	s_mov_b64 s[8:9], 0
	v_mov_b32_e32 v78, 0
.LBB34_25:                              ; =>This Inner Loop Header: Depth=1
	buffer_load_dword v81, v77, s[0:3], 0 offen offset:4
	buffer_load_dword v82, v77, s[0:3], 0 offen
	ds_read_b64 v[79:80], v76
	v_add_u32_e32 v75, 1, v75
	v_cmp_lt_u32_e32 vcc, 1, v75
	v_add_u32_e32 v76, 8, v76
	v_add_u32_e32 v77, 8, v77
	s_or_b64 s[8:9], vcc, s[8:9]
	s_waitcnt vmcnt(1) lgkmcnt(0)
	v_mul_f32_e32 v83, v80, v81
	v_mul_f32_e32 v81, v79, v81
	s_waitcnt vmcnt(0)
	v_fma_f32 v79, v79, v82, -v83
	v_fmac_f32_e32 v81, v80, v82
	v_add_f32_e32 v78, v78, v79
	v_add_f32_e32 v72, v72, v81
	s_andn2_b64 exec, exec, s[8:9]
	s_cbranch_execnz .LBB34_25
; %bb.26:
	s_or_b64 exec, exec, s[8:9]
	v_mov_b32_e32 v75, 0
	ds_read_b64 v[75:76], v75 offset:24
	s_waitcnt lgkmcnt(0)
	v_mul_f32_e32 v77, v72, v76
	v_mul_f32_e32 v76, v78, v76
	v_fma_f32 v77, v78, v75, -v77
	v_fmac_f32_e32 v76, v72, v75
	buffer_store_dword v77, off, s[0:3], 0 offset:24
	buffer_store_dword v76, off, s[0:3], 0 offset:28
.LBB34_27:
	s_or_b64 exec, exec, s[4:5]
	; wave barrier
	buffer_load_dword v75, off, s[0:3], 0 offset:32
	buffer_load_dword v76, off, s[0:3], 0 offset:36
	v_cmp_gt_u32_e32 vcc, 4, v0
	s_waitcnt vmcnt(0)
	ds_write_b64 v74, v[75:76]
	s_waitcnt lgkmcnt(0)
	; wave barrier
	s_and_saveexec_b64 s[4:5], vcc
	s_cbranch_execz .LBB34_31
; %bb.28:
	v_add_u32_e32 v75, -1, v0
	v_add_u32_e32 v76, 0x120, v73
	v_mov_b32_e32 v77, v73
	v_mov_b32_e32 v72, 0
	s_mov_b64 s[8:9], 0
	v_mov_b32_e32 v78, 0
.LBB34_29:                              ; =>This Inner Loop Header: Depth=1
	buffer_load_dword v81, v77, s[0:3], 0 offen offset:4
	buffer_load_dword v82, v77, s[0:3], 0 offen
	ds_read_b64 v[79:80], v76
	v_add_u32_e32 v75, 1, v75
	v_cmp_lt_u32_e32 vcc, 2, v75
	v_add_u32_e32 v76, 8, v76
	v_add_u32_e32 v77, 8, v77
	s_or_b64 s[8:9], vcc, s[8:9]
	s_waitcnt vmcnt(1) lgkmcnt(0)
	v_mul_f32_e32 v83, v80, v81
	v_mul_f32_e32 v81, v79, v81
	s_waitcnt vmcnt(0)
	v_fma_f32 v79, v79, v82, -v83
	v_fmac_f32_e32 v81, v80, v82
	v_add_f32_e32 v78, v78, v79
	v_add_f32_e32 v72, v72, v81
	s_andn2_b64 exec, exec, s[8:9]
	s_cbranch_execnz .LBB34_29
; %bb.30:
	s_or_b64 exec, exec, s[8:9]
	v_mov_b32_e32 v75, 0
	ds_read_b64 v[75:76], v75 offset:32
	s_waitcnt lgkmcnt(0)
	v_mul_f32_e32 v77, v72, v76
	v_mul_f32_e32 v76, v78, v76
	v_fma_f32 v77, v78, v75, -v77
	v_fmac_f32_e32 v76, v72, v75
	buffer_store_dword v77, off, s[0:3], 0 offset:32
	buffer_store_dword v76, off, s[0:3], 0 offset:36
.LBB34_31:
	s_or_b64 exec, exec, s[4:5]
	; wave barrier
	buffer_load_dword v75, off, s[0:3], 0 offset:40
	buffer_load_dword v76, off, s[0:3], 0 offset:44
	v_cmp_gt_u32_e32 vcc, 5, v0
	s_waitcnt vmcnt(0)
	ds_write_b64 v74, v[75:76]
	;; [unrolled: 49-line block ×19, first 2 shown]
	s_waitcnt lgkmcnt(0)
	; wave barrier
	s_and_saveexec_b64 s[4:5], vcc
	s_cbranch_execz .LBB34_103
; %bb.100:
	v_add_u32_e32 v75, -1, v0
	v_add_u32_e32 v76, 0x120, v73
	v_mov_b32_e32 v77, v73
	v_mov_b32_e32 v72, 0
	s_mov_b64 s[8:9], 0
	v_mov_b32_e32 v78, 0
.LBB34_101:                             ; =>This Inner Loop Header: Depth=1
	buffer_load_dword v81, v77, s[0:3], 0 offen offset:4
	buffer_load_dword v82, v77, s[0:3], 0 offen
	ds_read_b64 v[79:80], v76
	v_add_u32_e32 v75, 1, v75
	v_cmp_lt_u32_e32 vcc, 20, v75
	v_add_u32_e32 v76, 8, v76
	v_add_u32_e32 v77, 8, v77
	s_or_b64 s[8:9], vcc, s[8:9]
	s_waitcnt vmcnt(1) lgkmcnt(0)
	v_mul_f32_e32 v83, v80, v81
	v_mul_f32_e32 v81, v79, v81
	s_waitcnt vmcnt(0)
	v_fma_f32 v79, v79, v82, -v83
	v_fmac_f32_e32 v81, v80, v82
	v_add_f32_e32 v78, v78, v79
	v_add_f32_e32 v72, v72, v81
	s_andn2_b64 exec, exec, s[8:9]
	s_cbranch_execnz .LBB34_101
; %bb.102:
	s_or_b64 exec, exec, s[8:9]
	v_mov_b32_e32 v75, 0
	ds_read_b64 v[75:76], v75 offset:176
	s_waitcnt lgkmcnt(0)
	v_mul_f32_e32 v77, v72, v76
	v_mul_f32_e32 v76, v78, v76
	v_fma_f32 v77, v78, v75, -v77
	v_fmac_f32_e32 v76, v72, v75
	buffer_store_dword v77, off, s[0:3], 0 offset:176
	buffer_store_dword v76, off, s[0:3], 0 offset:180
.LBB34_103:
	s_or_b64 exec, exec, s[4:5]
	; wave barrier
	buffer_load_dword v75, off, s[0:3], 0 offset:184
	buffer_load_dword v76, off, s[0:3], 0 offset:188
	v_cmp_gt_u32_e32 vcc, 23, v0
	s_waitcnt vmcnt(0)
	ds_write_b64 v74, v[75:76]
	s_waitcnt lgkmcnt(0)
	; wave barrier
	s_and_saveexec_b64 s[4:5], vcc
	s_cbranch_execz .LBB34_107
; %bb.104:
	v_add_u32_e32 v75, -1, v0
	v_add_u32_e32 v76, 0x120, v73
	v_mov_b32_e32 v77, v73
	v_mov_b32_e32 v72, 0
	s_mov_b64 s[8:9], 0
	v_mov_b32_e32 v78, 0
.LBB34_105:                             ; =>This Inner Loop Header: Depth=1
	buffer_load_dword v81, v77, s[0:3], 0 offen offset:4
	buffer_load_dword v82, v77, s[0:3], 0 offen
	ds_read_b64 v[79:80], v76
	v_add_u32_e32 v75, 1, v75
	v_cmp_lt_u32_e32 vcc, 21, v75
	v_add_u32_e32 v76, 8, v76
	v_add_u32_e32 v77, 8, v77
	s_or_b64 s[8:9], vcc, s[8:9]
	s_waitcnt vmcnt(1) lgkmcnt(0)
	v_mul_f32_e32 v83, v80, v81
	v_mul_f32_e32 v81, v79, v81
	s_waitcnt vmcnt(0)
	v_fma_f32 v79, v79, v82, -v83
	v_fmac_f32_e32 v81, v80, v82
	v_add_f32_e32 v78, v78, v79
	v_add_f32_e32 v72, v72, v81
	s_andn2_b64 exec, exec, s[8:9]
	s_cbranch_execnz .LBB34_105
; %bb.106:
	s_or_b64 exec, exec, s[8:9]
	v_mov_b32_e32 v75, 0
	ds_read_b64 v[75:76], v75 offset:184
	s_waitcnt lgkmcnt(0)
	v_mul_f32_e32 v77, v72, v76
	v_mul_f32_e32 v76, v78, v76
	v_fma_f32 v77, v78, v75, -v77
	v_fmac_f32_e32 v76, v72, v75
	buffer_store_dword v77, off, s[0:3], 0 offset:184
	buffer_store_dword v76, off, s[0:3], 0 offset:188
.LBB34_107:
	s_or_b64 exec, exec, s[4:5]
	; wave barrier
	buffer_load_dword v75, off, s[0:3], 0 offset:192
	buffer_load_dword v76, off, s[0:3], 0 offset:196
	v_cmp_gt_u32_e32 vcc, 24, v0
	s_waitcnt vmcnt(0)
	ds_write_b64 v74, v[75:76]
	;; [unrolled: 49-line block ×11, first 2 shown]
	s_waitcnt lgkmcnt(0)
	; wave barrier
	s_and_saveexec_b64 s[4:5], vcc
	s_cbranch_execz .LBB34_147
; %bb.144:
	v_add_u32_e32 v75, -1, v0
	v_add_u32_e32 v76, 0x120, v73
	v_mov_b32_e32 v77, v73
	v_mov_b32_e32 v72, 0
	s_mov_b64 s[8:9], 0
	v_mov_b32_e32 v78, 0
.LBB34_145:                             ; =>This Inner Loop Header: Depth=1
	buffer_load_dword v81, v77, s[0:3], 0 offen offset:4
	buffer_load_dword v82, v77, s[0:3], 0 offen
	ds_read_b64 v[79:80], v76
	v_add_u32_e32 v75, 1, v75
	v_cmp_lt_u32_e32 vcc, 31, v75
	v_add_u32_e32 v76, 8, v76
	v_add_u32_e32 v77, 8, v77
	s_or_b64 s[8:9], vcc, s[8:9]
	s_waitcnt vmcnt(1) lgkmcnt(0)
	v_mul_f32_e32 v83, v80, v81
	v_mul_f32_e32 v81, v79, v81
	s_waitcnt vmcnt(0)
	v_fma_f32 v79, v79, v82, -v83
	v_fmac_f32_e32 v81, v80, v82
	v_add_f32_e32 v78, v78, v79
	v_add_f32_e32 v72, v72, v81
	s_andn2_b64 exec, exec, s[8:9]
	s_cbranch_execnz .LBB34_145
; %bb.146:
	s_or_b64 exec, exec, s[8:9]
	v_mov_b32_e32 v75, 0
	ds_read_b64 v[75:76], v75 offset:264
	s_waitcnt lgkmcnt(0)
	v_mul_f32_e32 v77, v72, v76
	v_mul_f32_e32 v76, v78, v76
	v_fma_f32 v77, v78, v75, -v77
	v_fmac_f32_e32 v76, v72, v75
	buffer_store_dword v77, off, s[0:3], 0 offset:264
	buffer_store_dword v76, off, s[0:3], 0 offset:268
.LBB34_147:
	s_or_b64 exec, exec, s[4:5]
	; wave barrier
	buffer_load_dword v75, off, s[0:3], 0 offset:272
	buffer_load_dword v76, off, s[0:3], 0 offset:276
	v_cmp_ne_u32_e32 vcc, 34, v0
	s_waitcnt vmcnt(0)
	ds_write_b64 v74, v[75:76]
	s_waitcnt lgkmcnt(0)
	; wave barrier
	s_and_saveexec_b64 s[4:5], vcc
	s_cbranch_execz .LBB34_151
; %bb.148:
	v_add_u32_e32 v74, 0x120, v73
	v_mov_b32_e32 v72, 0
	s_mov_b64 s[8:9], 0
	v_mov_b32_e32 v75, 0
.LBB34_149:                             ; =>This Inner Loop Header: Depth=1
	buffer_load_dword v78, v73, s[0:3], 0 offen offset:4
	buffer_load_dword v79, v73, s[0:3], 0 offen
	ds_read_b64 v[76:77], v74
	v_add_u32_e32 v71, 1, v71
	v_cmp_lt_u32_e32 vcc, 32, v71
	v_add_u32_e32 v74, 8, v74
	v_add_u32_e32 v73, 8, v73
	s_or_b64 s[8:9], vcc, s[8:9]
	s_waitcnt vmcnt(1) lgkmcnt(0)
	v_mul_f32_e32 v80, v77, v78
	v_mul_f32_e32 v78, v76, v78
	s_waitcnt vmcnt(0)
	v_fma_f32 v76, v76, v79, -v80
	v_fmac_f32_e32 v78, v77, v79
	v_add_f32_e32 v75, v75, v76
	v_add_f32_e32 v72, v72, v78
	s_andn2_b64 exec, exec, s[8:9]
	s_cbranch_execnz .LBB34_149
; %bb.150:
	s_or_b64 exec, exec, s[8:9]
	v_mov_b32_e32 v71, 0
	ds_read_b64 v[73:74], v71 offset:272
	s_waitcnt lgkmcnt(0)
	v_mul_f32_e32 v71, v72, v74
	v_mul_f32_e32 v74, v75, v74
	v_fma_f32 v71, v75, v73, -v71
	v_fmac_f32_e32 v74, v72, v73
	buffer_store_dword v71, off, s[0:3], 0 offset:272
	buffer_store_dword v74, off, s[0:3], 0 offset:276
.LBB34_151:
	s_or_b64 exec, exec, s[4:5]
	s_mov_b64 s[8:9], -1
	; wave barrier
.LBB34_152:
	s_and_b64 vcc, exec, s[8:9]
	s_cbranch_vccz .LBB34_154
; %bb.153:
	s_lshl_b64 s[4:5], s[6:7], 2
	s_add_u32 s4, s10, s4
	s_addc_u32 s5, s11, s5
	v_mov_b32_e32 v71, 0
	global_load_dword v71, v71, s[4:5]
	s_waitcnt vmcnt(0)
	v_cmp_ne_u32_e32 vcc, 0, v71
	s_cbranch_vccz .LBB34_155
.LBB34_154:
	s_endpgm
.LBB34_155:
	v_mov_b32_e32 v71, 0x120
	v_lshl_add_u32 v71, v0, 3, v71
	v_cmp_eq_u32_e32 vcc, 34, v0
	s_and_saveexec_b64 s[4:5], vcc
	s_cbranch_execz .LBB34_157
; %bb.156:
	buffer_load_dword v72, off, s[0:3], 0 offset:264
	buffer_load_dword v73, off, s[0:3], 0 offset:268
	v_mov_b32_e32 v74, 0
	buffer_store_dword v74, off, s[0:3], 0 offset:264
	buffer_store_dword v74, off, s[0:3], 0 offset:268
	s_waitcnt vmcnt(2)
	ds_write_b64 v71, v[72:73]
.LBB34_157:
	s_or_b64 exec, exec, s[4:5]
	s_waitcnt lgkmcnt(0)
	; wave barrier
	buffer_load_dword v75, off, s[0:3], 0 offset:276
	buffer_load_dword v76, off, s[0:3], 0 offset:272
	;; [unrolled: 1-line block ×4, first 2 shown]
	v_mov_b32_e32 v72, 0
	ds_read_b64 v[73:74], v72 offset:560
	v_cmp_lt_u32_e32 vcc, 32, v0
	s_waitcnt vmcnt(3) lgkmcnt(0)
	v_mul_f32_e32 v79, v73, v75
	v_mul_f32_e32 v75, v74, v75
	s_waitcnt vmcnt(2)
	v_fma_f32 v73, v73, v76, -v75
	v_fmac_f32_e32 v79, v74, v76
	v_add_f32_e32 v73, 0, v73
	v_add_f32_e32 v74, 0, v79
	s_waitcnt vmcnt(1)
	v_sub_f32_e32 v73, v77, v73
	s_waitcnt vmcnt(0)
	v_sub_f32_e32 v74, v78, v74
	buffer_store_dword v73, off, s[0:3], 0 offset:264
	buffer_store_dword v74, off, s[0:3], 0 offset:268
	s_and_saveexec_b64 s[4:5], vcc
	s_cbranch_execz .LBB34_159
; %bb.158:
	buffer_load_dword v73, off, s[0:3], 0 offset:256
	buffer_load_dword v74, off, s[0:3], 0 offset:260
	s_waitcnt vmcnt(0)
	ds_write_b64 v71, v[73:74]
	buffer_store_dword v72, off, s[0:3], 0 offset:256
	buffer_store_dword v72, off, s[0:3], 0 offset:260
.LBB34_159:
	s_or_b64 exec, exec, s[4:5]
	s_waitcnt lgkmcnt(0)
	; wave barrier
	buffer_load_dword v76, off, s[0:3], 0 offset:268
	buffer_load_dword v77, off, s[0:3], 0 offset:276
	;; [unrolled: 1-line block ×6, first 2 shown]
	ds_read2_b64 v[72:75], v72 offset0:69 offset1:70
	v_cmp_lt_u32_e32 vcc, 31, v0
	s_waitcnt vmcnt(5) lgkmcnt(0)
	v_mul_f32_e32 v82, v72, v76
	v_mul_f32_e32 v76, v73, v76
	s_waitcnt vmcnt(4)
	v_mul_f32_e32 v83, v74, v77
	v_mul_f32_e32 v77, v75, v77
	s_waitcnt vmcnt(3)
	v_fma_f32 v72, v72, v78, -v76
	v_fmac_f32_e32 v82, v73, v78
	s_waitcnt vmcnt(2)
	v_fma_f32 v73, v74, v79, -v77
	v_add_f32_e32 v72, 0, v72
	v_fmac_f32_e32 v83, v75, v79
	v_add_f32_e32 v74, 0, v82
	v_add_f32_e32 v72, v72, v73
	;; [unrolled: 1-line block ×3, first 2 shown]
	s_waitcnt vmcnt(1)
	v_sub_f32_e32 v72, v80, v72
	s_waitcnt vmcnt(0)
	v_sub_f32_e32 v73, v81, v74
	buffer_store_dword v72, off, s[0:3], 0 offset:256
	buffer_store_dword v73, off, s[0:3], 0 offset:260
	s_and_saveexec_b64 s[4:5], vcc
	s_cbranch_execz .LBB34_161
; %bb.160:
	buffer_load_dword v72, off, s[0:3], 0 offset:248
	buffer_load_dword v73, off, s[0:3], 0 offset:252
	v_mov_b32_e32 v74, 0
	buffer_store_dword v74, off, s[0:3], 0 offset:248
	buffer_store_dword v74, off, s[0:3], 0 offset:252
	s_waitcnt vmcnt(2)
	ds_write_b64 v71, v[72:73]
.LBB34_161:
	s_or_b64 exec, exec, s[4:5]
	s_waitcnt lgkmcnt(0)
	; wave barrier
	buffer_load_dword v79, off, s[0:3], 0 offset:260
	buffer_load_dword v80, off, s[0:3], 0 offset:268
	buffer_load_dword v81, off, s[0:3], 0 offset:276
	buffer_load_dword v82, off, s[0:3], 0 offset:256
	buffer_load_dword v83, off, s[0:3], 0 offset:264
	buffer_load_dword v84, off, s[0:3], 0 offset:272
	buffer_load_dword v85, off, s[0:3], 0 offset:248
	buffer_load_dword v86, off, s[0:3], 0 offset:252
	v_mov_b32_e32 v72, 0
	ds_read_b128 v[73:76], v72 offset:544
	ds_read_b64 v[77:78], v72 offset:560
	v_cmp_lt_u32_e32 vcc, 30, v0
	s_waitcnt vmcnt(7) lgkmcnt(1)
	v_mul_f32_e32 v87, v73, v79
	v_mul_f32_e32 v79, v74, v79
	s_waitcnt vmcnt(6)
	v_mul_f32_e32 v88, v75, v80
	v_mul_f32_e32 v80, v76, v80
	s_waitcnt vmcnt(4)
	v_fma_f32 v73, v73, v82, -v79
	s_waitcnt lgkmcnt(0)
	v_mul_f32_e32 v89, v77, v81
	v_mul_f32_e32 v81, v78, v81
	v_fmac_f32_e32 v87, v74, v82
	s_waitcnt vmcnt(3)
	v_fma_f32 v74, v75, v83, -v80
	v_add_f32_e32 v73, 0, v73
	v_fmac_f32_e32 v88, v76, v83
	s_waitcnt vmcnt(2)
	v_fma_f32 v75, v77, v84, -v81
	v_add_f32_e32 v76, 0, v87
	v_add_f32_e32 v73, v73, v74
	v_fmac_f32_e32 v89, v78, v84
	v_add_f32_e32 v76, v76, v88
	v_add_f32_e32 v73, v73, v75
	;; [unrolled: 1-line block ×3, first 2 shown]
	s_waitcnt vmcnt(1)
	v_sub_f32_e32 v73, v85, v73
	s_waitcnt vmcnt(0)
	v_sub_f32_e32 v74, v86, v74
	buffer_store_dword v73, off, s[0:3], 0 offset:248
	buffer_store_dword v74, off, s[0:3], 0 offset:252
	s_and_saveexec_b64 s[4:5], vcc
	s_cbranch_execz .LBB34_163
; %bb.162:
	buffer_load_dword v73, off, s[0:3], 0 offset:240
	buffer_load_dword v74, off, s[0:3], 0 offset:244
	s_waitcnt vmcnt(0)
	ds_write_b64 v71, v[73:74]
	buffer_store_dword v72, off, s[0:3], 0 offset:240
	buffer_store_dword v72, off, s[0:3], 0 offset:244
.LBB34_163:
	s_or_b64 exec, exec, s[4:5]
	s_waitcnt lgkmcnt(0)
	; wave barrier
	buffer_load_dword v81, off, s[0:3], 0 offset:252
	buffer_load_dword v82, off, s[0:3], 0 offset:260
	buffer_load_dword v83, off, s[0:3], 0 offset:268
	buffer_load_dword v84, off, s[0:3], 0 offset:276
	buffer_load_dword v85, off, s[0:3], 0 offset:248
	buffer_load_dword v86, off, s[0:3], 0 offset:256
	buffer_load_dword v87, off, s[0:3], 0 offset:264
	buffer_load_dword v88, off, s[0:3], 0 offset:272
	buffer_load_dword v89, off, s[0:3], 0 offset:240
	buffer_load_dword v90, off, s[0:3], 0 offset:244
	ds_read2_b64 v[73:76], v72 offset0:67 offset1:68
	ds_read2_b64 v[77:80], v72 offset0:69 offset1:70
	v_cmp_lt_u32_e32 vcc, 29, v0
	s_waitcnt vmcnt(9) lgkmcnt(1)
	v_mul_f32_e32 v72, v73, v81
	v_mul_f32_e32 v81, v74, v81
	s_waitcnt vmcnt(8)
	v_mul_f32_e32 v91, v75, v82
	v_mul_f32_e32 v82, v76, v82
	s_waitcnt vmcnt(5)
	v_fma_f32 v73, v73, v85, -v81
	s_waitcnt lgkmcnt(0)
	v_mul_f32_e32 v92, v77, v83
	v_mul_f32_e32 v83, v78, v83
	v_fmac_f32_e32 v72, v74, v85
	s_waitcnt vmcnt(4)
	v_fma_f32 v74, v75, v86, -v82
	v_add_f32_e32 v73, 0, v73
	v_mul_f32_e32 v93, v79, v84
	v_mul_f32_e32 v84, v80, v84
	v_fmac_f32_e32 v91, v76, v86
	s_waitcnt vmcnt(3)
	v_fma_f32 v75, v77, v87, -v83
	v_add_f32_e32 v72, 0, v72
	v_add_f32_e32 v73, v73, v74
	v_fmac_f32_e32 v92, v78, v87
	s_waitcnt vmcnt(2)
	v_fma_f32 v76, v79, v88, -v84
	v_add_f32_e32 v72, v72, v91
	v_add_f32_e32 v73, v73, v75
	v_fmac_f32_e32 v93, v80, v88
	v_add_f32_e32 v72, v72, v92
	v_add_f32_e32 v73, v73, v76
	;; [unrolled: 1-line block ×3, first 2 shown]
	s_waitcnt vmcnt(1)
	v_sub_f32_e32 v73, v89, v73
	s_waitcnt vmcnt(0)
	v_sub_f32_e32 v72, v90, v72
	buffer_store_dword v73, off, s[0:3], 0 offset:240
	buffer_store_dword v72, off, s[0:3], 0 offset:244
	s_and_saveexec_b64 s[4:5], vcc
	s_cbranch_execz .LBB34_165
; %bb.164:
	buffer_load_dword v72, off, s[0:3], 0 offset:232
	buffer_load_dword v73, off, s[0:3], 0 offset:236
	v_mov_b32_e32 v74, 0
	buffer_store_dword v74, off, s[0:3], 0 offset:232
	buffer_store_dword v74, off, s[0:3], 0 offset:236
	s_waitcnt vmcnt(2)
	ds_write_b64 v71, v[72:73]
.LBB34_165:
	s_or_b64 exec, exec, s[4:5]
	s_waitcnt lgkmcnt(0)
	; wave barrier
	buffer_load_dword v83, off, s[0:3], 0 offset:244
	buffer_load_dword v84, off, s[0:3], 0 offset:252
	;; [unrolled: 1-line block ×12, first 2 shown]
	v_mov_b32_e32 v72, 0
	ds_read_b128 v[73:76], v72 offset:528
	ds_read_b128 v[77:80], v72 offset:544
	ds_read_b64 v[81:82], v72 offset:560
	v_cmp_lt_u32_e32 vcc, 28, v0
	s_waitcnt vmcnt(11) lgkmcnt(2)
	v_mul_f32_e32 v95, v73, v83
	v_mul_f32_e32 v83, v74, v83
	s_waitcnt vmcnt(10)
	v_mul_f32_e32 v96, v75, v84
	v_mul_f32_e32 v84, v76, v84
	s_waitcnt vmcnt(9) lgkmcnt(1)
	v_mul_f32_e32 v97, v77, v85
	s_waitcnt vmcnt(6)
	v_fma_f32 v73, v73, v88, -v83
	v_mul_f32_e32 v85, v78, v85
	v_fmac_f32_e32 v95, v74, v88
	s_waitcnt vmcnt(5)
	v_fma_f32 v74, v75, v89, -v84
	v_add_f32_e32 v73, 0, v73
	v_mul_f32_e32 v98, v79, v86
	v_mul_f32_e32 v86, v80, v86
	v_fmac_f32_e32 v96, v76, v89
	s_waitcnt vmcnt(4)
	v_fmac_f32_e32 v97, v78, v90
	v_fma_f32 v75, v77, v90, -v85
	v_add_f32_e32 v78, 0, v95
	v_add_f32_e32 v73, v73, v74
	s_waitcnt lgkmcnt(0)
	v_mul_f32_e32 v99, v81, v87
	v_mul_f32_e32 v87, v82, v87
	s_waitcnt vmcnt(3)
	v_fma_f32 v76, v79, v91, -v86
	v_add_f32_e32 v78, v78, v96
	v_add_f32_e32 v73, v73, v75
	v_fmac_f32_e32 v98, v80, v91
	s_waitcnt vmcnt(2)
	v_fma_f32 v77, v81, v92, -v87
	v_add_f32_e32 v74, v78, v97
	v_add_f32_e32 v73, v73, v76
	v_fmac_f32_e32 v99, v82, v92
	v_add_f32_e32 v74, v74, v98
	v_add_f32_e32 v73, v73, v77
	v_add_f32_e32 v74, v74, v99
	s_waitcnt vmcnt(1)
	v_sub_f32_e32 v73, v93, v73
	s_waitcnt vmcnt(0)
	v_sub_f32_e32 v74, v94, v74
	buffer_store_dword v73, off, s[0:3], 0 offset:232
	buffer_store_dword v74, off, s[0:3], 0 offset:236
	s_and_saveexec_b64 s[4:5], vcc
	s_cbranch_execz .LBB34_167
; %bb.166:
	buffer_load_dword v73, off, s[0:3], 0 offset:224
	buffer_load_dword v74, off, s[0:3], 0 offset:228
	s_waitcnt vmcnt(0)
	ds_write_b64 v71, v[73:74]
	buffer_store_dword v72, off, s[0:3], 0 offset:224
	buffer_store_dword v72, off, s[0:3], 0 offset:228
.LBB34_167:
	s_or_b64 exec, exec, s[4:5]
	s_waitcnt lgkmcnt(0)
	; wave barrier
	buffer_load_dword v85, off, s[0:3], 0 offset:236
	buffer_load_dword v86, off, s[0:3], 0 offset:244
	;; [unrolled: 1-line block ×14, first 2 shown]
	ds_read2_b64 v[73:76], v72 offset0:65 offset1:66
	ds_read2_b64 v[77:80], v72 offset0:67 offset1:68
	;; [unrolled: 1-line block ×3, first 2 shown]
	v_cmp_lt_u32_e32 vcc, 27, v0
	s_waitcnt vmcnt(13) lgkmcnt(2)
	v_mul_f32_e32 v72, v73, v85
	v_mul_f32_e32 v85, v74, v85
	s_waitcnt vmcnt(12)
	v_mul_f32_e32 v99, v75, v86
	v_mul_f32_e32 v86, v76, v86
	s_waitcnt vmcnt(11) lgkmcnt(1)
	v_mul_f32_e32 v100, v77, v87
	v_mul_f32_e32 v87, v78, v87
	s_waitcnt vmcnt(7)
	v_fma_f32 v73, v73, v91, -v85
	v_fmac_f32_e32 v72, v74, v91
	s_waitcnt vmcnt(6)
	v_fma_f32 v74, v75, v92, -v86
	v_add_f32_e32 v73, 0, v73
	v_mul_f32_e32 v101, v79, v88
	v_mul_f32_e32 v88, v80, v88
	v_fmac_f32_e32 v99, v76, v92
	s_waitcnt vmcnt(5)
	v_fma_f32 v75, v77, v93, -v87
	v_add_f32_e32 v72, 0, v72
	v_add_f32_e32 v73, v73, v74
	s_waitcnt lgkmcnt(0)
	v_mul_f32_e32 v102, v81, v89
	v_mul_f32_e32 v89, v82, v89
	v_fmac_f32_e32 v100, v78, v93
	s_waitcnt vmcnt(4)
	v_fma_f32 v76, v79, v94, -v88
	v_add_f32_e32 v72, v72, v99
	v_add_f32_e32 v73, v73, v75
	v_mul_f32_e32 v103, v83, v90
	v_mul_f32_e32 v90, v84, v90
	v_fmac_f32_e32 v101, v80, v94
	s_waitcnt vmcnt(3)
	v_fma_f32 v77, v81, v95, -v89
	v_add_f32_e32 v72, v72, v100
	v_add_f32_e32 v73, v73, v76
	v_fmac_f32_e32 v102, v82, v95
	s_waitcnt vmcnt(2)
	v_fma_f32 v78, v83, v96, -v90
	v_add_f32_e32 v72, v72, v101
	v_add_f32_e32 v73, v73, v77
	v_fmac_f32_e32 v103, v84, v96
	v_add_f32_e32 v72, v72, v102
	v_add_f32_e32 v73, v73, v78
	;; [unrolled: 1-line block ×3, first 2 shown]
	s_waitcnt vmcnt(1)
	v_sub_f32_e32 v73, v97, v73
	s_waitcnt vmcnt(0)
	v_sub_f32_e32 v72, v98, v72
	buffer_store_dword v73, off, s[0:3], 0 offset:224
	buffer_store_dword v72, off, s[0:3], 0 offset:228
	s_and_saveexec_b64 s[4:5], vcc
	s_cbranch_execz .LBB34_169
; %bb.168:
	buffer_load_dword v72, off, s[0:3], 0 offset:216
	buffer_load_dword v73, off, s[0:3], 0 offset:220
	v_mov_b32_e32 v74, 0
	buffer_store_dword v74, off, s[0:3], 0 offset:216
	buffer_store_dword v74, off, s[0:3], 0 offset:220
	s_waitcnt vmcnt(2)
	ds_write_b64 v71, v[72:73]
.LBB34_169:
	s_or_b64 exec, exec, s[4:5]
	s_waitcnt lgkmcnt(0)
	; wave barrier
	buffer_load_dword v87, off, s[0:3], 0 offset:228
	buffer_load_dword v88, off, s[0:3], 0 offset:236
	;; [unrolled: 1-line block ×16, first 2 shown]
	v_mov_b32_e32 v72, 0
	ds_read_b128 v[73:76], v72 offset:512
	ds_read_b128 v[77:80], v72 offset:528
	;; [unrolled: 1-line block ×3, first 2 shown]
	ds_read_b64 v[85:86], v72 offset:560
	v_cmp_lt_u32_e32 vcc, 26, v0
	s_waitcnt vmcnt(15) lgkmcnt(3)
	v_mul_f32_e32 v103, v73, v87
	v_mul_f32_e32 v87, v74, v87
	s_waitcnt vmcnt(14)
	v_mul_f32_e32 v104, v75, v88
	v_mul_f32_e32 v88, v76, v88
	s_waitcnt vmcnt(13) lgkmcnt(2)
	v_mul_f32_e32 v105, v77, v89
	s_waitcnt vmcnt(12)
	v_mul_f32_e32 v106, v79, v90
	v_mul_f32_e32 v89, v78, v89
	s_waitcnt vmcnt(8)
	v_fma_f32 v73, v73, v94, -v87
	v_fmac_f32_e32 v103, v74, v94
	s_waitcnt vmcnt(7)
	v_fma_f32 v74, v75, v95, -v88
	v_add_f32_e32 v73, 0, v73
	v_mul_f32_e32 v90, v80, v90
	v_fmac_f32_e32 v104, v76, v95
	s_waitcnt vmcnt(5)
	v_fmac_f32_e32 v106, v80, v97
	v_fma_f32 v75, v77, v96, -v89
	v_add_f32_e32 v80, 0, v103
	v_add_f32_e32 v73, v73, v74
	s_waitcnt lgkmcnt(1)
	v_mul_f32_e32 v107, v81, v91
	v_mul_f32_e32 v91, v82, v91
	v_fmac_f32_e32 v105, v78, v96
	v_fma_f32 v76, v79, v97, -v90
	v_add_f32_e32 v80, v80, v104
	v_add_f32_e32 v73, v73, v75
	v_mul_f32_e32 v108, v83, v92
	v_mul_f32_e32 v92, v84, v92
	s_waitcnt vmcnt(4)
	v_fma_f32 v77, v81, v98, -v91
	v_add_f32_e32 v74, v80, v105
	v_add_f32_e32 v73, v73, v76
	s_waitcnt lgkmcnt(0)
	v_mul_f32_e32 v109, v85, v93
	v_mul_f32_e32 v93, v86, v93
	v_fmac_f32_e32 v107, v82, v98
	s_waitcnt vmcnt(3)
	v_fma_f32 v78, v83, v99, -v92
	v_add_f32_e32 v74, v74, v106
	v_add_f32_e32 v73, v73, v77
	v_fmac_f32_e32 v108, v84, v99
	s_waitcnt vmcnt(2)
	v_fma_f32 v79, v85, v100, -v93
	v_add_f32_e32 v74, v74, v107
	v_add_f32_e32 v73, v73, v78
	v_fmac_f32_e32 v109, v86, v100
	v_add_f32_e32 v74, v74, v108
	v_add_f32_e32 v73, v73, v79
	;; [unrolled: 1-line block ×3, first 2 shown]
	s_waitcnt vmcnt(1)
	v_sub_f32_e32 v73, v101, v73
	s_waitcnt vmcnt(0)
	v_sub_f32_e32 v74, v102, v74
	buffer_store_dword v73, off, s[0:3], 0 offset:216
	buffer_store_dword v74, off, s[0:3], 0 offset:220
	s_and_saveexec_b64 s[4:5], vcc
	s_cbranch_execz .LBB34_171
; %bb.170:
	buffer_load_dword v73, off, s[0:3], 0 offset:208
	buffer_load_dword v74, off, s[0:3], 0 offset:212
	s_waitcnt vmcnt(0)
	ds_write_b64 v71, v[73:74]
	buffer_store_dword v72, off, s[0:3], 0 offset:208
	buffer_store_dword v72, off, s[0:3], 0 offset:212
.LBB34_171:
	s_or_b64 exec, exec, s[4:5]
	s_waitcnt lgkmcnt(0)
	; wave barrier
	buffer_load_dword v89, off, s[0:3], 0 offset:220
	buffer_load_dword v90, off, s[0:3], 0 offset:228
	;; [unrolled: 1-line block ×18, first 2 shown]
	ds_read2_b64 v[73:76], v72 offset0:63 offset1:64
	ds_read2_b64 v[77:80], v72 offset0:65 offset1:66
	;; [unrolled: 1-line block ×4, first 2 shown]
	v_cmp_lt_u32_e32 vcc, 25, v0
	s_waitcnt vmcnt(17) lgkmcnt(3)
	v_mul_f32_e32 v72, v73, v89
	v_mul_f32_e32 v89, v74, v89
	s_waitcnt vmcnt(16)
	v_mul_f32_e32 v107, v75, v90
	v_mul_f32_e32 v90, v76, v90
	s_waitcnt vmcnt(15) lgkmcnt(2)
	v_mul_f32_e32 v108, v77, v91
	v_mul_f32_e32 v91, v78, v91
	s_waitcnt vmcnt(14)
	v_mul_f32_e32 v109, v79, v92
	v_mul_f32_e32 v92, v80, v92
	s_waitcnt vmcnt(9)
	v_fma_f32 v73, v73, v97, -v89
	v_fmac_f32_e32 v72, v74, v97
	s_waitcnt vmcnt(8)
	v_fma_f32 v74, v75, v98, -v90
	v_add_f32_e32 v73, 0, v73
	v_fmac_f32_e32 v107, v76, v98
	s_waitcnt vmcnt(7)
	v_fma_f32 v75, v77, v99, -v91
	v_add_f32_e32 v72, 0, v72
	v_add_f32_e32 v73, v73, v74
	s_waitcnt lgkmcnt(1)
	v_mul_f32_e32 v110, v81, v93
	v_mul_f32_e32 v93, v82, v93
	v_fmac_f32_e32 v108, v78, v99
	s_waitcnt vmcnt(6)
	v_fma_f32 v76, v79, v100, -v92
	v_add_f32_e32 v72, v72, v107
	v_add_f32_e32 v73, v73, v75
	v_mul_f32_e32 v111, v83, v94
	v_mul_f32_e32 v94, v84, v94
	v_fmac_f32_e32 v109, v80, v100
	s_waitcnt vmcnt(5)
	v_fma_f32 v77, v81, v101, -v93
	v_add_f32_e32 v72, v72, v108
	v_add_f32_e32 v73, v73, v76
	s_waitcnt lgkmcnt(0)
	v_mul_f32_e32 v112, v85, v95
	v_mul_f32_e32 v95, v86, v95
	v_fmac_f32_e32 v110, v82, v101
	s_waitcnt vmcnt(4)
	v_fma_f32 v78, v83, v102, -v94
	v_add_f32_e32 v72, v72, v109
	v_add_f32_e32 v73, v73, v77
	v_mul_f32_e32 v113, v87, v96
	v_mul_f32_e32 v96, v88, v96
	v_fmac_f32_e32 v111, v84, v102
	s_waitcnt vmcnt(3)
	v_fma_f32 v79, v85, v103, -v95
	v_add_f32_e32 v72, v72, v110
	v_add_f32_e32 v73, v73, v78
	v_fmac_f32_e32 v112, v86, v103
	s_waitcnt vmcnt(2)
	v_fma_f32 v80, v87, v104, -v96
	v_add_f32_e32 v72, v72, v111
	v_add_f32_e32 v73, v73, v79
	v_fmac_f32_e32 v113, v88, v104
	v_add_f32_e32 v72, v72, v112
	v_add_f32_e32 v73, v73, v80
	;; [unrolled: 1-line block ×3, first 2 shown]
	s_waitcnt vmcnt(1)
	v_sub_f32_e32 v73, v105, v73
	s_waitcnt vmcnt(0)
	v_sub_f32_e32 v72, v106, v72
	buffer_store_dword v73, off, s[0:3], 0 offset:208
	buffer_store_dword v72, off, s[0:3], 0 offset:212
	s_and_saveexec_b64 s[4:5], vcc
	s_cbranch_execz .LBB34_173
; %bb.172:
	buffer_load_dword v72, off, s[0:3], 0 offset:200
	buffer_load_dword v73, off, s[0:3], 0 offset:204
	v_mov_b32_e32 v74, 0
	buffer_store_dword v74, off, s[0:3], 0 offset:200
	buffer_store_dword v74, off, s[0:3], 0 offset:204
	s_waitcnt vmcnt(2)
	ds_write_b64 v71, v[72:73]
.LBB34_173:
	s_or_b64 exec, exec, s[4:5]
	s_waitcnt lgkmcnt(0)
	; wave barrier
	buffer_load_dword v91, off, s[0:3], 0 offset:212
	buffer_load_dword v92, off, s[0:3], 0 offset:220
	;; [unrolled: 1-line block ×20, first 2 shown]
	v_mov_b32_e32 v72, 0
	ds_read_b128 v[73:76], v72 offset:496
	ds_read_b128 v[77:80], v72 offset:512
	;; [unrolled: 1-line block ×4, first 2 shown]
	ds_read_b64 v[89:90], v72 offset:560
	v_cmp_lt_u32_e32 vcc, 24, v0
	s_waitcnt vmcnt(19) lgkmcnt(4)
	v_mul_f32_e32 v111, v73, v91
	v_mul_f32_e32 v91, v74, v91
	s_waitcnt vmcnt(18)
	v_mul_f32_e32 v112, v75, v92
	v_mul_f32_e32 v92, v76, v92
	s_waitcnt vmcnt(17) lgkmcnt(3)
	v_mul_f32_e32 v113, v77, v93
	s_waitcnt vmcnt(15) lgkmcnt(2)
	v_mul_f32_e32 v115, v81, v95
	v_mul_f32_e32 v93, v78, v93
	v_mul_f32_e32 v114, v79, v94
	v_mul_f32_e32 v94, v80, v94
	s_waitcnt vmcnt(10)
	v_fma_f32 v73, v73, v100, -v91
	v_fmac_f32_e32 v111, v74, v100
	s_waitcnt vmcnt(9)
	v_fma_f32 v74, v75, v101, -v92
	v_add_f32_e32 v73, 0, v73
	v_mul_f32_e32 v95, v82, v95
	v_fmac_f32_e32 v112, v76, v101
	s_waitcnt vmcnt(6)
	v_fmac_f32_e32 v115, v82, v104
	v_fma_f32 v75, v77, v102, -v93
	v_add_f32_e32 v82, 0, v111
	v_add_f32_e32 v73, v73, v74
	v_fmac_f32_e32 v113, v78, v102
	v_fma_f32 v76, v79, v103, -v94
	v_add_f32_e32 v82, v82, v112
	v_add_f32_e32 v73, v73, v75
	v_mul_f32_e32 v116, v83, v96
	v_mul_f32_e32 v96, v84, v96
	v_fmac_f32_e32 v114, v80, v103
	v_fma_f32 v77, v81, v104, -v95
	v_add_f32_e32 v74, v82, v113
	v_add_f32_e32 v73, v73, v76
	s_waitcnt lgkmcnt(1)
	v_mul_f32_e32 v117, v85, v97
	v_mul_f32_e32 v97, v86, v97
	s_waitcnt vmcnt(5)
	v_fma_f32 v78, v83, v105, -v96
	v_add_f32_e32 v74, v74, v114
	v_add_f32_e32 v73, v73, v77
	v_mul_f32_e32 v118, v87, v98
	v_mul_f32_e32 v98, v88, v98
	v_fmac_f32_e32 v116, v84, v105
	s_waitcnt vmcnt(4)
	v_fma_f32 v79, v85, v106, -v97
	v_add_f32_e32 v74, v74, v115
	v_add_f32_e32 v73, v73, v78
	s_waitcnt lgkmcnt(0)
	v_mul_f32_e32 v119, v89, v99
	v_mul_f32_e32 v99, v90, v99
	v_fmac_f32_e32 v117, v86, v106
	s_waitcnt vmcnt(3)
	v_fma_f32 v80, v87, v107, -v98
	v_add_f32_e32 v74, v74, v116
	v_add_f32_e32 v73, v73, v79
	v_fmac_f32_e32 v118, v88, v107
	s_waitcnt vmcnt(2)
	v_fma_f32 v81, v89, v108, -v99
	v_add_f32_e32 v74, v74, v117
	v_add_f32_e32 v73, v73, v80
	v_fmac_f32_e32 v119, v90, v108
	v_add_f32_e32 v74, v74, v118
	v_add_f32_e32 v73, v73, v81
	;; [unrolled: 1-line block ×3, first 2 shown]
	s_waitcnt vmcnt(1)
	v_sub_f32_e32 v73, v109, v73
	s_waitcnt vmcnt(0)
	v_sub_f32_e32 v74, v110, v74
	buffer_store_dword v73, off, s[0:3], 0 offset:200
	buffer_store_dword v74, off, s[0:3], 0 offset:204
	s_and_saveexec_b64 s[4:5], vcc
	s_cbranch_execz .LBB34_175
; %bb.174:
	buffer_load_dword v73, off, s[0:3], 0 offset:192
	buffer_load_dword v74, off, s[0:3], 0 offset:196
	s_waitcnt vmcnt(0)
	ds_write_b64 v71, v[73:74]
	buffer_store_dword v72, off, s[0:3], 0 offset:192
	buffer_store_dword v72, off, s[0:3], 0 offset:196
.LBB34_175:
	s_or_b64 exec, exec, s[4:5]
	s_waitcnt lgkmcnt(0)
	; wave barrier
	buffer_load_dword v93, off, s[0:3], 0 offset:204
	buffer_load_dword v94, off, s[0:3], 0 offset:212
	;; [unrolled: 1-line block ×22, first 2 shown]
	ds_read2_b64 v[73:76], v72 offset0:61 offset1:62
	ds_read2_b64 v[77:80], v72 offset0:63 offset1:64
	ds_read2_b64 v[81:84], v72 offset0:65 offset1:66
	ds_read2_b64 v[85:88], v72 offset0:67 offset1:68
	ds_read2_b64 v[89:92], v72 offset0:69 offset1:70
	v_cmp_lt_u32_e32 vcc, 23, v0
	s_waitcnt vmcnt(21) lgkmcnt(4)
	v_mul_f32_e32 v72, v73, v93
	v_mul_f32_e32 v93, v74, v93
	s_waitcnt vmcnt(20)
	v_mul_f32_e32 v115, v75, v94
	v_mul_f32_e32 v94, v76, v94
	s_waitcnt vmcnt(19) lgkmcnt(3)
	v_mul_f32_e32 v116, v77, v95
	v_mul_f32_e32 v95, v78, v95
	s_waitcnt vmcnt(18)
	v_mul_f32_e32 v117, v79, v96
	v_mul_f32_e32 v96, v80, v96
	s_waitcnt vmcnt(17) lgkmcnt(2)
	v_mul_f32_e32 v118, v81, v97
	v_mul_f32_e32 v97, v82, v97
	s_waitcnt vmcnt(11)
	v_fma_f32 v73, v73, v103, -v93
	v_fmac_f32_e32 v72, v74, v103
	s_waitcnt vmcnt(10)
	v_fma_f32 v74, v75, v104, -v94
	v_add_f32_e32 v73, 0, v73
	v_fmac_f32_e32 v115, v76, v104
	s_waitcnt vmcnt(9)
	v_fma_f32 v75, v77, v105, -v95
	v_add_f32_e32 v72, 0, v72
	v_add_f32_e32 v73, v73, v74
	v_fmac_f32_e32 v116, v78, v105
	s_waitcnt vmcnt(8)
	v_fma_f32 v76, v79, v106, -v96
	v_add_f32_e32 v72, v72, v115
	v_add_f32_e32 v73, v73, v75
	v_mul_f32_e32 v119, v83, v98
	v_mul_f32_e32 v98, v84, v98
	v_fmac_f32_e32 v117, v80, v106
	s_waitcnt vmcnt(7)
	v_fma_f32 v77, v81, v107, -v97
	v_add_f32_e32 v72, v72, v116
	v_add_f32_e32 v73, v73, v76
	s_waitcnt lgkmcnt(1)
	v_mul_f32_e32 v120, v85, v99
	v_mul_f32_e32 v99, v86, v99
	v_fmac_f32_e32 v118, v82, v107
	s_waitcnt vmcnt(6)
	v_fma_f32 v78, v83, v108, -v98
	v_add_f32_e32 v72, v72, v117
	v_add_f32_e32 v73, v73, v77
	v_mul_f32_e32 v121, v87, v100
	v_mul_f32_e32 v100, v88, v100
	v_fmac_f32_e32 v119, v84, v108
	s_waitcnt vmcnt(5)
	v_fma_f32 v79, v85, v109, -v99
	v_add_f32_e32 v72, v72, v118
	v_add_f32_e32 v73, v73, v78
	s_waitcnt lgkmcnt(0)
	v_mul_f32_e32 v122, v89, v101
	v_mul_f32_e32 v101, v90, v101
	v_fmac_f32_e32 v120, v86, v109
	s_waitcnt vmcnt(4)
	v_fma_f32 v80, v87, v110, -v100
	v_add_f32_e32 v72, v72, v119
	v_add_f32_e32 v73, v73, v79
	v_mul_f32_e32 v123, v91, v102
	v_mul_f32_e32 v102, v92, v102
	v_fmac_f32_e32 v121, v88, v110
	s_waitcnt vmcnt(3)
	v_fma_f32 v81, v89, v111, -v101
	v_add_f32_e32 v72, v72, v120
	v_add_f32_e32 v73, v73, v80
	v_fmac_f32_e32 v122, v90, v111
	s_waitcnt vmcnt(2)
	v_fma_f32 v82, v91, v112, -v102
	v_add_f32_e32 v72, v72, v121
	v_add_f32_e32 v73, v73, v81
	v_fmac_f32_e32 v123, v92, v112
	v_add_f32_e32 v72, v72, v122
	v_add_f32_e32 v73, v73, v82
	;; [unrolled: 1-line block ×3, first 2 shown]
	s_waitcnt vmcnt(1)
	v_sub_f32_e32 v73, v113, v73
	s_waitcnt vmcnt(0)
	v_sub_f32_e32 v72, v114, v72
	buffer_store_dword v73, off, s[0:3], 0 offset:192
	buffer_store_dword v72, off, s[0:3], 0 offset:196
	s_and_saveexec_b64 s[4:5], vcc
	s_cbranch_execz .LBB34_177
; %bb.176:
	buffer_load_dword v72, off, s[0:3], 0 offset:184
	buffer_load_dword v73, off, s[0:3], 0 offset:188
	v_mov_b32_e32 v74, 0
	buffer_store_dword v74, off, s[0:3], 0 offset:184
	buffer_store_dword v74, off, s[0:3], 0 offset:188
	s_waitcnt vmcnt(2)
	ds_write_b64 v71, v[72:73]
.LBB34_177:
	s_or_b64 exec, exec, s[4:5]
	v_mov_b32_e32 v72, 0
	s_waitcnt lgkmcnt(0)
	; wave barrier
	ds_read_b128 v[73:76], v72 offset:480
	ds_read_b128 v[77:80], v72 offset:496
	;; [unrolled: 1-line block ×4, first 2 shown]
	buffer_load_dword v95, off, s[0:3], 0 offset:184
	buffer_load_dword v96, off, s[0:3], 0 offset:188
	;; [unrolled: 1-line block ×18, first 2 shown]
	v_cmp_lt_u32_e32 vcc, 22, v0
	s_waitcnt vmcnt(14) lgkmcnt(3)
	v_mul_f32_e32 v89, v73, v98
	v_fmac_f32_e32 v89, v74, v97
	s_waitcnt vmcnt(12)
	v_mul_f32_e32 v90, v75, v100
	v_add_f32_e32 v89, 0, v89
	v_fmac_f32_e32 v90, v76, v99
	v_add_f32_e32 v89, v89, v90
	s_waitcnt vmcnt(10) lgkmcnt(2)
	v_mul_f32_e32 v90, v77, v102
	v_fmac_f32_e32 v90, v78, v101
	v_add_f32_e32 v89, v89, v90
	s_waitcnt vmcnt(8)
	v_mul_f32_e32 v90, v79, v104
	v_fmac_f32_e32 v90, v80, v103
	v_add_f32_e32 v89, v89, v90
	s_waitcnt vmcnt(6) lgkmcnt(1)
	v_mul_f32_e32 v90, v81, v106
	v_fmac_f32_e32 v90, v82, v105
	v_add_f32_e32 v89, v89, v90
	s_waitcnt vmcnt(4)
	v_mul_f32_e32 v90, v83, v108
	v_fmac_f32_e32 v90, v84, v107
	v_add_f32_e32 v89, v89, v90
	s_waitcnt vmcnt(2) lgkmcnt(0)
	v_mul_f32_e32 v90, v85, v110
	v_fmac_f32_e32 v90, v86, v109
	v_add_f32_e32 v89, v89, v90
	s_waitcnt vmcnt(0)
	v_mul_f32_e32 v90, v87, v112
	v_fmac_f32_e32 v90, v88, v111
	v_add_f32_e32 v93, v89, v90
	ds_read_b128 v[89:92], v72 offset:544
	buffer_load_dword v113, off, s[0:3], 0 offset:256
	buffer_load_dword v114, off, s[0:3], 0 offset:260
	;; [unrolled: 1-line block ×4, first 2 shown]
	v_mul_f32_e32 v74, v74, v98
	v_fma_f32 v73, v73, v97, -v74
	v_mul_f32_e32 v74, v76, v100
	v_add_f32_e32 v73, 0, v73
	v_fma_f32 v74, v75, v99, -v74
	v_add_f32_e32 v73, v73, v74
	v_mul_f32_e32 v74, v78, v102
	v_fma_f32 v74, v77, v101, -v74
	v_add_f32_e32 v73, v73, v74
	v_mul_f32_e32 v74, v80, v104
	;; [unrolled: 3-line block ×6, first 2 shown]
	v_fma_f32 v74, v87, v111, -v74
	v_add_f32_e32 v73, v73, v74
	s_waitcnt vmcnt(2) lgkmcnt(0)
	v_mul_f32_e32 v94, v89, v114
	v_fmac_f32_e32 v94, v90, v113
	v_add_f32_e32 v93, v93, v94
	s_waitcnt vmcnt(0)
	v_mul_f32_e32 v94, v91, v116
	v_fmac_f32_e32 v94, v92, v115
	v_add_f32_e32 v117, v93, v94
	ds_read_b64 v[93:94], v72 offset:560
	buffer_load_dword v118, off, s[0:3], 0 offset:272
	buffer_load_dword v119, off, s[0:3], 0 offset:276
	v_mul_f32_e32 v74, v90, v114
	v_fma_f32 v74, v89, v113, -v74
	v_add_f32_e32 v73, v73, v74
	v_mul_f32_e32 v74, v92, v116
	v_fma_f32 v74, v91, v115, -v74
	v_add_f32_e32 v73, v73, v74
	s_waitcnt vmcnt(0) lgkmcnt(0)
	v_mul_f32_e32 v74, v94, v119
	v_mul_f32_e32 v120, v93, v119
	v_fma_f32 v74, v93, v118, -v74
	v_fmac_f32_e32 v120, v94, v118
	v_add_f32_e32 v73, v73, v74
	v_add_f32_e32 v117, v117, v120
	v_sub_f32_e32 v73, v95, v73
	v_sub_f32_e32 v74, v96, v117
	buffer_store_dword v73, off, s[0:3], 0 offset:184
	buffer_store_dword v74, off, s[0:3], 0 offset:188
	s_and_saveexec_b64 s[4:5], vcc
	s_cbranch_execz .LBB34_179
; %bb.178:
	buffer_load_dword v73, off, s[0:3], 0 offset:176
	buffer_load_dword v74, off, s[0:3], 0 offset:180
	s_waitcnt vmcnt(0)
	ds_write_b64 v71, v[73:74]
	buffer_store_dword v72, off, s[0:3], 0 offset:176
	buffer_store_dword v72, off, s[0:3], 0 offset:180
.LBB34_179:
	s_or_b64 exec, exec, s[4:5]
	s_waitcnt lgkmcnt(0)
	; wave barrier
	ds_read2_b64 v[73:76], v72 offset0:59 offset1:60
	buffer_load_dword v97, off, s[0:3], 0 offset:176
	buffer_load_dword v98, off, s[0:3], 0 offset:180
	;; [unrolled: 1-line block ×16, first 2 shown]
	v_cmp_lt_u32_e32 vcc, 21, v0
	s_waitcnt vmcnt(12) lgkmcnt(0)
	v_mul_f32_e32 v77, v73, v100
	v_fmac_f32_e32 v77, v74, v99
	s_waitcnt vmcnt(10)
	v_mul_f32_e32 v78, v75, v102
	v_add_f32_e32 v77, 0, v77
	v_fmac_f32_e32 v78, v76, v101
	v_add_f32_e32 v81, v77, v78
	ds_read2_b64 v[77:80], v72 offset0:61 offset1:62
	v_mul_f32_e32 v74, v74, v100
	v_fma_f32 v73, v73, v99, -v74
	v_mul_f32_e32 v74, v76, v102
	v_add_f32_e32 v73, 0, v73
	s_waitcnt vmcnt(8) lgkmcnt(0)
	v_mul_f32_e32 v82, v77, v104
	v_fmac_f32_e32 v82, v78, v103
	v_add_f32_e32 v81, v81, v82
	s_waitcnt vmcnt(6)
	v_mul_f32_e32 v82, v79, v106
	v_fmac_f32_e32 v82, v80, v105
	v_add_f32_e32 v85, v81, v82
	ds_read2_b64 v[81:84], v72 offset0:63 offset1:64
	v_fma_f32 v74, v75, v101, -v74
	v_add_f32_e32 v73, v73, v74
	v_mul_f32_e32 v74, v78, v104
	v_fma_f32 v74, v77, v103, -v74
	s_waitcnt vmcnt(4) lgkmcnt(0)
	v_mul_f32_e32 v86, v81, v108
	v_fmac_f32_e32 v86, v82, v107
	v_add_f32_e32 v85, v85, v86
	s_waitcnt vmcnt(2)
	v_mul_f32_e32 v86, v83, v110
	v_fmac_f32_e32 v86, v84, v109
	v_add_f32_e32 v89, v85, v86
	ds_read2_b64 v[85:88], v72 offset0:65 offset1:66
	buffer_load_dword v113, off, s[0:3], 0 offset:240
	buffer_load_dword v114, off, s[0:3], 0 offset:244
	v_add_f32_e32 v73, v73, v74
	v_mul_f32_e32 v74, v80, v106
	v_fma_f32 v74, v79, v105, -v74
	s_waitcnt vmcnt(2) lgkmcnt(0)
	v_mul_f32_e32 v90, v85, v112
	v_fmac_f32_e32 v90, v86, v111
	v_add_f32_e32 v89, v89, v90
	v_add_f32_e32 v73, v73, v74
	v_mul_f32_e32 v74, v82, v108
	v_fma_f32 v74, v81, v107, -v74
	v_add_f32_e32 v73, v73, v74
	v_mul_f32_e32 v74, v84, v110
	v_fma_f32 v74, v83, v109, -v74
	;; [unrolled: 3-line block ×3, first 2 shown]
	v_add_f32_e32 v73, v73, v74
	s_waitcnt vmcnt(0)
	v_mul_f32_e32 v90, v87, v114
	v_fmac_f32_e32 v90, v88, v113
	v_add_f32_e32 v93, v89, v90
	ds_read2_b64 v[89:92], v72 offset0:67 offset1:68
	buffer_load_dword v115, off, s[0:3], 0 offset:248
	buffer_load_dword v116, off, s[0:3], 0 offset:252
	;; [unrolled: 1-line block ×4, first 2 shown]
	v_mul_f32_e32 v74, v88, v114
	v_fma_f32 v74, v87, v113, -v74
	v_add_f32_e32 v73, v73, v74
	s_waitcnt vmcnt(2) lgkmcnt(0)
	v_mul_f32_e32 v94, v89, v116
	v_fmac_f32_e32 v94, v90, v115
	v_add_f32_e32 v93, v93, v94
	s_waitcnt vmcnt(0)
	v_mul_f32_e32 v94, v91, v118
	v_fmac_f32_e32 v94, v92, v117
	v_add_f32_e32 v119, v93, v94
	ds_read2_b64 v[93:96], v72 offset0:69 offset1:70
	buffer_load_dword v72, off, s[0:3], 0 offset:264
	buffer_load_dword v120, off, s[0:3], 0 offset:268
	v_mul_f32_e32 v74, v90, v116
	v_fma_f32 v74, v89, v115, -v74
	v_add_f32_e32 v73, v73, v74
	v_mul_f32_e32 v74, v92, v118
	v_fma_f32 v74, v91, v117, -v74
	v_add_f32_e32 v73, v73, v74
	s_waitcnt vmcnt(0) lgkmcnt(0)
	v_mul_f32_e32 v121, v93, v120
	v_fmac_f32_e32 v121, v94, v72
	v_add_f32_e32 v119, v119, v121
	buffer_load_dword v121, off, s[0:3], 0 offset:272
	buffer_load_dword v122, off, s[0:3], 0 offset:276
	v_mul_f32_e32 v74, v94, v120
	v_fma_f32 v72, v93, v72, -v74
	v_add_f32_e32 v72, v73, v72
	s_waitcnt vmcnt(0)
	v_mul_f32_e32 v73, v96, v122
	v_mul_f32_e32 v123, v95, v122
	v_fma_f32 v73, v95, v121, -v73
	v_fmac_f32_e32 v123, v96, v121
	v_add_f32_e32 v72, v72, v73
	v_add_f32_e32 v119, v119, v123
	v_sub_f32_e32 v72, v97, v72
	v_sub_f32_e32 v73, v98, v119
	buffer_store_dword v72, off, s[0:3], 0 offset:176
	buffer_store_dword v73, off, s[0:3], 0 offset:180
	s_and_saveexec_b64 s[4:5], vcc
	s_cbranch_execz .LBB34_181
; %bb.180:
	buffer_load_dword v72, off, s[0:3], 0 offset:168
	buffer_load_dword v73, off, s[0:3], 0 offset:172
	v_mov_b32_e32 v74, 0
	buffer_store_dword v74, off, s[0:3], 0 offset:168
	buffer_store_dword v74, off, s[0:3], 0 offset:172
	s_waitcnt vmcnt(2)
	ds_write_b64 v71, v[72:73]
.LBB34_181:
	s_or_b64 exec, exec, s[4:5]
	s_waitcnt lgkmcnt(0)
	; wave barrier
	buffer_load_dword v99, off, s[0:3], 0 offset:180
	buffer_load_dword v100, off, s[0:3], 0 offset:188
	;; [unrolled: 1-line block ×28, first 2 shown]
	v_mov_b32_e32 v72, 0
	ds_read_b128 v[73:76], v72 offset:464
	ds_read_b128 v[77:80], v72 offset:480
	;; [unrolled: 1-line block ×6, first 2 shown]
	ds_read_b64 v[97:98], v72 offset:560
	v_cmp_lt_u32_e32 vcc, 20, v0
	s_waitcnt vmcnt(27) lgkmcnt(6)
	v_mul_f32_e32 v127, v73, v99
	v_mul_f32_e32 v99, v74, v99
	s_waitcnt vmcnt(26)
	v_mul_f32_e32 v128, v75, v100
	v_mul_f32_e32 v100, v76, v100
	s_waitcnt vmcnt(25) lgkmcnt(5)
	v_mul_f32_e32 v129, v77, v101
	v_mul_f32_e32 v101, v78, v101
	s_waitcnt vmcnt(24)
	v_mul_f32_e32 v130, v79, v102
	v_mul_f32_e32 v102, v80, v102
	;; [unrolled: 6-line block ×3, first 2 shown]
	s_waitcnt vmcnt(21) lgkmcnt(3)
	v_mul_f32_e32 v133, v85, v105
	s_waitcnt vmcnt(14)
	v_fma_f32 v73, v73, v112, -v99
	v_fmac_f32_e32 v127, v74, v112
	s_waitcnt vmcnt(13)
	v_fma_f32 v74, v75, v113, -v100
	v_add_f32_e32 v73, 0, v73
	s_waitcnt vmcnt(12)
	v_fma_f32 v75, v77, v114, -v101
	v_add_f32_e32 v73, v73, v74
	v_fmac_f32_e32 v128, v76, v113
	s_waitcnt vmcnt(11)
	v_fma_f32 v76, v79, v115, -v102
	v_add_f32_e32 v73, v73, v75
	s_waitcnt vmcnt(10)
	v_fma_f32 v77, v81, v116, -v103
	v_add_f32_e32 v73, v73, v76
	v_fmac_f32_e32 v129, v78, v114
	s_waitcnt vmcnt(9)
	v_fma_f32 v78, v83, v117, -v104
	v_add_f32_e32 v73, v73, v77
	v_mul_f32_e32 v75, v86, v105
	v_add_f32_e32 v73, v73, v78
	s_waitcnt vmcnt(8)
	v_fma_f32 v75, v85, v118, -v75
	v_add_f32_e32 v73, v73, v75
	v_mul_f32_e32 v75, v88, v106
	v_add_f32_e32 v79, 0, v127
	s_waitcnt vmcnt(7)
	v_fma_f32 v75, v87, v119, -v75
	v_add_f32_e32 v79, v79, v128
	v_add_f32_e32 v73, v73, v75
	s_waitcnt lgkmcnt(2)
	v_mul_f32_e32 v75, v90, v107
	v_fmac_f32_e32 v130, v80, v115
	v_add_f32_e32 v74, v79, v129
	s_waitcnt vmcnt(6)
	v_fma_f32 v75, v89, v120, -v75
	v_fmac_f32_e32 v131, v82, v116
	v_add_f32_e32 v74, v74, v130
	v_add_f32_e32 v73, v73, v75
	v_mul_f32_e32 v75, v92, v108
	v_fmac_f32_e32 v132, v84, v117
	v_add_f32_e32 v74, v74, v131
	s_waitcnt vmcnt(5)
	v_fma_f32 v75, v91, v121, -v75
	v_mul_f32_e32 v134, v87, v106
	v_fmac_f32_e32 v133, v86, v118
	v_add_f32_e32 v74, v74, v132
	v_add_f32_e32 v73, v73, v75
	s_waitcnt lgkmcnt(1)
	v_mul_f32_e32 v75, v94, v109
	v_mul_f32_e32 v135, v89, v107
	v_fmac_f32_e32 v134, v88, v119
	v_add_f32_e32 v74, v74, v133
	s_waitcnt vmcnt(4)
	v_fma_f32 v75, v93, v122, -v75
	v_mul_f32_e32 v136, v91, v108
	v_fmac_f32_e32 v135, v90, v120
	v_add_f32_e32 v74, v74, v134
	v_add_f32_e32 v73, v73, v75
	v_mul_f32_e32 v75, v96, v110
	v_mul_f32_e32 v137, v93, v109
	v_fmac_f32_e32 v136, v92, v121
	v_add_f32_e32 v74, v74, v135
	s_waitcnt vmcnt(3)
	v_fma_f32 v75, v95, v123, -v75
	v_mul_f32_e32 v138, v95, v110
	v_fmac_f32_e32 v137, v94, v122
	v_add_f32_e32 v74, v74, v136
	v_add_f32_e32 v73, v73, v75
	s_waitcnt lgkmcnt(0)
	v_mul_f32_e32 v75, v98, v111
	v_mul_f32_e32 v139, v97, v111
	v_fmac_f32_e32 v138, v96, v123
	v_add_f32_e32 v74, v74, v137
	s_waitcnt vmcnt(2)
	v_fma_f32 v75, v97, v124, -v75
	v_fmac_f32_e32 v139, v98, v124
	v_add_f32_e32 v74, v74, v138
	v_add_f32_e32 v73, v73, v75
	;; [unrolled: 1-line block ×3, first 2 shown]
	s_waitcnt vmcnt(1)
	v_sub_f32_e32 v73, v125, v73
	s_waitcnt vmcnt(0)
	v_sub_f32_e32 v74, v126, v74
	buffer_store_dword v73, off, s[0:3], 0 offset:168
	buffer_store_dword v74, off, s[0:3], 0 offset:172
	s_and_saveexec_b64 s[4:5], vcc
	s_cbranch_execz .LBB34_183
; %bb.182:
	buffer_load_dword v73, off, s[0:3], 0 offset:160
	buffer_load_dword v74, off, s[0:3], 0 offset:164
	s_waitcnt vmcnt(0)
	ds_write_b64 v71, v[73:74]
	buffer_store_dword v72, off, s[0:3], 0 offset:160
	buffer_store_dword v72, off, s[0:3], 0 offset:164
.LBB34_183:
	s_or_b64 exec, exec, s[4:5]
	s_waitcnt lgkmcnt(0)
	; wave barrier
	buffer_load_dword v101, off, s[0:3], 0 offset:172
	buffer_load_dword v102, off, s[0:3], 0 offset:180
	;; [unrolled: 1-line block ×30, first 2 shown]
	ds_read2_b64 v[73:76], v72 offset0:57 offset1:58
	ds_read2_b64 v[77:80], v72 offset0:59 offset1:60
	;; [unrolled: 1-line block ×7, first 2 shown]
	v_cmp_lt_u32_e32 vcc, 19, v0
	s_waitcnt vmcnt(29) lgkmcnt(6)
	v_mul_f32_e32 v72, v73, v101
	v_mul_f32_e32 v101, v74, v101
	s_waitcnt vmcnt(28)
	v_mul_f32_e32 v131, v75, v102
	v_mul_f32_e32 v102, v76, v102
	s_waitcnt vmcnt(27) lgkmcnt(5)
	v_mul_f32_e32 v132, v77, v103
	v_mul_f32_e32 v103, v78, v103
	s_waitcnt vmcnt(26)
	v_mul_f32_e32 v133, v79, v104
	v_mul_f32_e32 v104, v80, v104
	s_waitcnt vmcnt(25) lgkmcnt(4)
	v_mul_f32_e32 v134, v81, v105
	v_mul_f32_e32 v105, v82, v105
	s_waitcnt vmcnt(24)
	v_mul_f32_e32 v135, v83, v106
	s_waitcnt vmcnt(23) lgkmcnt(3)
	v_mul_f32_e32 v136, v85, v107
	s_waitcnt vmcnt(22)
	v_mul_f32_e32 v137, v87, v108
	s_waitcnt vmcnt(21) lgkmcnt(2)
	v_mul_f32_e32 v138, v89, v109
	s_waitcnt vmcnt(15)
	v_fma_f32 v73, v73, v115, -v101
	v_fmac_f32_e32 v72, v74, v115
	s_waitcnt vmcnt(14)
	v_fma_f32 v74, v75, v116, -v102
	v_add_f32_e32 v73, 0, v73
	s_waitcnt vmcnt(13)
	v_fma_f32 v75, v77, v117, -v103
	v_add_f32_e32 v73, v73, v74
	v_fmac_f32_e32 v131, v76, v116
	s_waitcnt vmcnt(12)
	v_fma_f32 v76, v79, v118, -v104
	v_add_f32_e32 v73, v73, v75
	s_waitcnt vmcnt(11)
	v_fma_f32 v77, v81, v119, -v105
	v_add_f32_e32 v73, v73, v76
	v_mul_f32_e32 v74, v84, v106
	v_add_f32_e32 v73, v73, v77
	s_waitcnt vmcnt(10)
	v_fma_f32 v74, v83, v120, -v74
	v_add_f32_e32 v73, v73, v74
	v_mul_f32_e32 v74, v86, v107
	s_waitcnt vmcnt(9)
	v_fma_f32 v74, v85, v121, -v74
	v_add_f32_e32 v73, v73, v74
	v_mul_f32_e32 v74, v88, v108
	s_waitcnt vmcnt(8)
	v_fma_f32 v74, v87, v122, -v74
	v_add_f32_e32 v72, 0, v72
	v_add_f32_e32 v73, v73, v74
	v_mul_f32_e32 v74, v90, v109
	v_fmac_f32_e32 v132, v78, v117
	v_add_f32_e32 v72, v72, v131
	s_waitcnt vmcnt(7)
	v_fma_f32 v74, v89, v123, -v74
	v_fmac_f32_e32 v133, v80, v118
	v_add_f32_e32 v72, v72, v132
	v_add_f32_e32 v73, v73, v74
	v_mul_f32_e32 v74, v92, v110
	v_fmac_f32_e32 v134, v82, v119
	v_add_f32_e32 v72, v72, v133
	s_waitcnt vmcnt(6)
	v_fma_f32 v74, v91, v124, -v74
	v_fmac_f32_e32 v135, v84, v120
	v_add_f32_e32 v72, v72, v134
	v_add_f32_e32 v73, v73, v74
	s_waitcnt lgkmcnt(1)
	v_mul_f32_e32 v74, v94, v111
	v_fmac_f32_e32 v136, v86, v121
	v_add_f32_e32 v72, v72, v135
	s_waitcnt vmcnt(5)
	v_fma_f32 v74, v93, v125, -v74
	v_fmac_f32_e32 v137, v88, v122
	v_add_f32_e32 v72, v72, v136
	v_add_f32_e32 v73, v73, v74
	v_mul_f32_e32 v74, v96, v112
	v_mul_f32_e32 v139, v91, v110
	v_fmac_f32_e32 v138, v90, v123
	v_add_f32_e32 v72, v72, v137
	s_waitcnt vmcnt(4)
	v_fma_f32 v74, v95, v126, -v74
	v_mul_f32_e32 v140, v93, v111
	v_fmac_f32_e32 v139, v92, v124
	v_add_f32_e32 v72, v72, v138
	v_add_f32_e32 v73, v73, v74
	s_waitcnt lgkmcnt(0)
	v_mul_f32_e32 v74, v98, v113
	v_mul_f32_e32 v141, v95, v112
	v_fmac_f32_e32 v140, v94, v125
	v_add_f32_e32 v72, v72, v139
	s_waitcnt vmcnt(3)
	v_fma_f32 v74, v97, v127, -v74
	v_mul_f32_e32 v142, v97, v113
	v_fmac_f32_e32 v141, v96, v126
	v_add_f32_e32 v72, v72, v140
	v_add_f32_e32 v73, v73, v74
	v_mul_f32_e32 v74, v100, v114
	v_mul_f32_e32 v143, v99, v114
	v_fmac_f32_e32 v142, v98, v127
	v_add_f32_e32 v72, v72, v141
	s_waitcnt vmcnt(2)
	v_fma_f32 v74, v99, v128, -v74
	v_fmac_f32_e32 v143, v100, v128
	v_add_f32_e32 v72, v72, v142
	v_add_f32_e32 v73, v73, v74
	v_add_f32_e32 v72, v72, v143
	s_waitcnt vmcnt(1)
	v_sub_f32_e32 v73, v129, v73
	s_waitcnt vmcnt(0)
	v_sub_f32_e32 v72, v130, v72
	buffer_store_dword v73, off, s[0:3], 0 offset:160
	buffer_store_dword v72, off, s[0:3], 0 offset:164
	s_and_saveexec_b64 s[4:5], vcc
	s_cbranch_execz .LBB34_185
; %bb.184:
	buffer_load_dword v72, off, s[0:3], 0 offset:152
	buffer_load_dword v73, off, s[0:3], 0 offset:156
	v_mov_b32_e32 v74, 0
	buffer_store_dword v74, off, s[0:3], 0 offset:152
	buffer_store_dword v74, off, s[0:3], 0 offset:156
	s_waitcnt vmcnt(2)
	ds_write_b64 v71, v[72:73]
.LBB34_185:
	s_or_b64 exec, exec, s[4:5]
	s_waitcnt lgkmcnt(0)
	; wave barrier
	buffer_load_dword v103, off, s[0:3], 0 offset:164
	buffer_load_dword v104, off, s[0:3], 0 offset:172
	;; [unrolled: 1-line block ×32, first 2 shown]
	v_mov_b32_e32 v72, 0
	ds_read_b128 v[73:76], v72 offset:448
	ds_read_b128 v[77:80], v72 offset:464
	;; [unrolled: 1-line block ×7, first 2 shown]
	ds_read_b64 v[101:102], v72 offset:560
	v_cmp_lt_u32_e32 vcc, 18, v0
	s_waitcnt vmcnt(31) lgkmcnt(7)
	v_mul_f32_e32 v135, v73, v103
	v_mul_f32_e32 v103, v74, v103
	s_waitcnt vmcnt(30)
	v_mul_f32_e32 v136, v75, v104
	v_mul_f32_e32 v104, v76, v104
	s_waitcnt vmcnt(29) lgkmcnt(6)
	v_mul_f32_e32 v137, v77, v105
	v_mul_f32_e32 v105, v78, v105
	s_waitcnt vmcnt(28)
	v_mul_f32_e32 v138, v79, v106
	s_waitcnt vmcnt(27) lgkmcnt(5)
	v_mul_f32_e32 v139, v81, v107
	s_waitcnt vmcnt(26)
	v_mul_f32_e32 v140, v83, v108
	s_waitcnt vmcnt(25) lgkmcnt(4)
	;; [unrolled: 4-line block ×4, first 2 shown]
	v_mul_f32_e32 v145, v93, v113
	s_waitcnt vmcnt(20)
	v_mul_f32_e32 v146, v95, v114
	s_waitcnt vmcnt(16)
	v_fma_f32 v73, v73, v118, -v103
	v_fmac_f32_e32 v135, v74, v118
	s_waitcnt vmcnt(15)
	v_fma_f32 v74, v75, v119, -v104
	v_add_f32_e32 v73, 0, v73
	s_waitcnt vmcnt(14)
	v_fma_f32 v75, v77, v120, -v105
	v_add_f32_e32 v73, v73, v74
	v_add_f32_e32 v73, v73, v75
	v_mul_f32_e32 v75, v80, v106
	s_waitcnt vmcnt(13)
	v_fma_f32 v75, v79, v121, -v75
	v_add_f32_e32 v73, v73, v75
	v_mul_f32_e32 v75, v82, v107
	s_waitcnt vmcnt(12)
	v_fma_f32 v75, v81, v122, -v75
	v_add_f32_e32 v73, v73, v75
	v_mul_f32_e32 v75, v84, v108
	s_waitcnt vmcnt(11)
	v_fma_f32 v75, v83, v123, -v75
	v_add_f32_e32 v73, v73, v75
	v_mul_f32_e32 v75, v86, v109
	s_waitcnt vmcnt(10)
	v_fma_f32 v75, v85, v124, -v75
	v_add_f32_e32 v73, v73, v75
	v_mul_f32_e32 v75, v88, v110
	s_waitcnt vmcnt(9)
	v_fma_f32 v75, v87, v125, -v75
	v_add_f32_e32 v73, v73, v75
	v_mul_f32_e32 v75, v90, v111
	v_fmac_f32_e32 v136, v76, v119
	v_add_f32_e32 v76, 0, v135
	s_waitcnt vmcnt(8)
	v_fma_f32 v75, v89, v126, -v75
	v_fmac_f32_e32 v137, v78, v120
	v_add_f32_e32 v76, v76, v136
	v_add_f32_e32 v73, v73, v75
	v_mul_f32_e32 v75, v92, v112
	v_fmac_f32_e32 v138, v80, v121
	v_add_f32_e32 v74, v76, v137
	s_waitcnt vmcnt(7)
	v_fma_f32 v75, v91, v127, -v75
	v_fmac_f32_e32 v139, v82, v122
	v_add_f32_e32 v74, v74, v138
	;; [unrolled: 8-line block ×4, first 2 shown]
	v_add_f32_e32 v73, v73, v75
	s_waitcnt lgkmcnt(1)
	v_mul_f32_e32 v75, v98, v115
	v_fmac_f32_e32 v144, v92, v127
	v_add_f32_e32 v74, v74, v143
	s_waitcnt vmcnt(4)
	v_fma_f32 v75, v97, v130, -v75
	v_fmac_f32_e32 v145, v94, v128
	v_add_f32_e32 v74, v74, v144
	v_add_f32_e32 v73, v73, v75
	v_mul_f32_e32 v75, v100, v116
	v_mul_f32_e32 v147, v97, v115
	v_fmac_f32_e32 v146, v96, v129
	v_add_f32_e32 v74, v74, v145
	s_waitcnt vmcnt(3)
	v_fma_f32 v75, v99, v131, -v75
	v_mul_f32_e32 v148, v99, v116
	v_fmac_f32_e32 v147, v98, v130
	v_add_f32_e32 v74, v74, v146
	v_add_f32_e32 v73, v73, v75
	s_waitcnt lgkmcnt(0)
	v_mul_f32_e32 v75, v102, v117
	v_mul_f32_e32 v149, v101, v117
	v_fmac_f32_e32 v148, v100, v131
	v_add_f32_e32 v74, v74, v147
	s_waitcnt vmcnt(2)
	v_fma_f32 v75, v101, v132, -v75
	v_fmac_f32_e32 v149, v102, v132
	v_add_f32_e32 v74, v74, v148
	v_add_f32_e32 v73, v73, v75
	;; [unrolled: 1-line block ×3, first 2 shown]
	s_waitcnt vmcnt(1)
	v_sub_f32_e32 v73, v133, v73
	s_waitcnt vmcnt(0)
	v_sub_f32_e32 v74, v134, v74
	buffer_store_dword v73, off, s[0:3], 0 offset:152
	buffer_store_dword v74, off, s[0:3], 0 offset:156
	s_and_saveexec_b64 s[4:5], vcc
	s_cbranch_execz .LBB34_187
; %bb.186:
	buffer_load_dword v73, off, s[0:3], 0 offset:144
	buffer_load_dword v74, off, s[0:3], 0 offset:148
	s_waitcnt vmcnt(0)
	ds_write_b64 v71, v[73:74]
	buffer_store_dword v72, off, s[0:3], 0 offset:144
	buffer_store_dword v72, off, s[0:3], 0 offset:148
.LBB34_187:
	s_or_b64 exec, exec, s[4:5]
	s_waitcnt lgkmcnt(0)
	; wave barrier
	buffer_load_dword v105, off, s[0:3], 0 offset:156
	buffer_load_dword v106, off, s[0:3], 0 offset:164
	;; [unrolled: 1-line block ×34, first 2 shown]
	ds_read2_b64 v[73:76], v72 offset0:55 offset1:56
	ds_read2_b64 v[77:80], v72 offset0:57 offset1:58
	;; [unrolled: 1-line block ×8, first 2 shown]
	v_cmp_lt_u32_e32 vcc, 17, v0
	s_waitcnt vmcnt(33) lgkmcnt(7)
	v_mul_f32_e32 v72, v73, v105
	v_mul_f32_e32 v105, v74, v105
	s_waitcnt vmcnt(32)
	v_mul_f32_e32 v139, v75, v106
	v_mul_f32_e32 v106, v76, v106
	s_waitcnt vmcnt(31) lgkmcnt(6)
	v_mul_f32_e32 v140, v77, v107
	s_waitcnt vmcnt(30)
	v_mul_f32_e32 v141, v79, v108
	s_waitcnt vmcnt(29) lgkmcnt(5)
	v_mul_f32_e32 v142, v81, v109
	s_waitcnt vmcnt(28)
	;; [unrolled: 4-line block ×6, first 2 shown]
	v_mul_f32_e32 v151, v99, v118
	s_waitcnt vmcnt(17)
	v_fma_f32 v73, v73, v121, -v105
	v_fmac_f32_e32 v72, v74, v121
	s_waitcnt vmcnt(16)
	v_fma_f32 v74, v75, v122, -v106
	v_add_f32_e32 v73, 0, v73
	v_add_f32_e32 v73, v73, v74
	v_mul_f32_e32 v74, v78, v107
	s_waitcnt vmcnt(15)
	v_fma_f32 v74, v77, v123, -v74
	v_add_f32_e32 v73, v73, v74
	v_mul_f32_e32 v74, v80, v108
	s_waitcnt vmcnt(14)
	v_fma_f32 v74, v79, v124, -v74
	;; [unrolled: 4-line block ×7, first 2 shown]
	v_fmac_f32_e32 v139, v76, v122
	v_add_f32_e32 v72, 0, v72
	v_add_f32_e32 v73, v73, v74
	v_mul_f32_e32 v74, v92, v114
	v_fmac_f32_e32 v140, v78, v123
	v_add_f32_e32 v72, v72, v139
	s_waitcnt vmcnt(8)
	v_fma_f32 v74, v91, v130, -v74
	v_fmac_f32_e32 v141, v80, v124
	v_add_f32_e32 v72, v72, v140
	v_add_f32_e32 v73, v73, v74
	v_mul_f32_e32 v74, v94, v115
	v_fmac_f32_e32 v142, v82, v125
	v_add_f32_e32 v72, v72, v141
	s_waitcnt vmcnt(7)
	v_fma_f32 v74, v93, v131, -v74
	;; [unrolled: 8-line block ×5, first 2 shown]
	v_fmac_f32_e32 v149, v96, v132
	v_add_f32_e32 v72, v72, v148
	v_add_f32_e32 v73, v73, v74
	s_waitcnt lgkmcnt(0)
	v_mul_f32_e32 v74, v102, v119
	v_fmac_f32_e32 v150, v98, v133
	v_add_f32_e32 v72, v72, v149
	s_waitcnt vmcnt(3)
	v_fma_f32 v74, v101, v135, -v74
	v_mul_f32_e32 v152, v101, v119
	v_fmac_f32_e32 v151, v100, v134
	v_add_f32_e32 v72, v72, v150
	v_add_f32_e32 v73, v73, v74
	v_mul_f32_e32 v74, v104, v120
	v_mul_f32_e32 v153, v103, v120
	v_fmac_f32_e32 v152, v102, v135
	v_add_f32_e32 v72, v72, v151
	s_waitcnt vmcnt(2)
	v_fma_f32 v74, v103, v136, -v74
	v_fmac_f32_e32 v153, v104, v136
	v_add_f32_e32 v72, v72, v152
	v_add_f32_e32 v73, v73, v74
	;; [unrolled: 1-line block ×3, first 2 shown]
	s_waitcnt vmcnt(1)
	v_sub_f32_e32 v73, v137, v73
	s_waitcnt vmcnt(0)
	v_sub_f32_e32 v72, v138, v72
	buffer_store_dword v73, off, s[0:3], 0 offset:144
	buffer_store_dword v72, off, s[0:3], 0 offset:148
	s_and_saveexec_b64 s[4:5], vcc
	s_cbranch_execz .LBB34_189
; %bb.188:
	buffer_load_dword v72, off, s[0:3], 0 offset:136
	buffer_load_dword v73, off, s[0:3], 0 offset:140
	v_mov_b32_e32 v74, 0
	buffer_store_dword v74, off, s[0:3], 0 offset:136
	buffer_store_dword v74, off, s[0:3], 0 offset:140
	s_waitcnt vmcnt(2)
	ds_write_b64 v71, v[72:73]
.LBB34_189:
	s_or_b64 exec, exec, s[4:5]
	s_waitcnt lgkmcnt(0)
	; wave barrier
	buffer_load_dword v107, off, s[0:3], 0 offset:148
	buffer_load_dword v108, off, s[0:3], 0 offset:156
	;; [unrolled: 1-line block ×36, first 2 shown]
	v_mov_b32_e32 v72, 0
	ds_read_b128 v[73:76], v72 offset:432
	ds_read_b128 v[77:80], v72 offset:448
	;; [unrolled: 1-line block ×8, first 2 shown]
	ds_read_b64 v[105:106], v72 offset:560
	v_cmp_lt_u32_e32 vcc, 16, v0
	s_waitcnt vmcnt(35) lgkmcnt(8)
	v_mul_f32_e32 v143, v73, v107
	s_waitcnt vmcnt(34)
	v_mul_f32_e32 v144, v75, v108
	s_waitcnt vmcnt(33) lgkmcnt(7)
	v_mul_f32_e32 v145, v77, v109
	s_waitcnt vmcnt(32)
	v_mul_f32_e32 v146, v79, v110
	;; [unrolled: 4-line block ×8, first 2 shown]
	s_waitcnt vmcnt(19) lgkmcnt(0)
	v_mul_f32_e32 v159, v105, v123
	s_waitcnt vmcnt(18)
	v_fmac_f32_e32 v143, v74, v124
	v_mul_f32_e32 v74, v74, v107
	v_fma_f32 v73, v73, v124, -v74
	v_mul_f32_e32 v74, v76, v108
	v_add_f32_e32 v73, 0, v73
	s_waitcnt vmcnt(17)
	v_fma_f32 v74, v75, v125, -v74
	v_add_f32_e32 v73, v73, v74
	v_mul_f32_e32 v74, v78, v109
	s_waitcnt vmcnt(16)
	v_fma_f32 v74, v77, v126, -v74
	v_add_f32_e32 v73, v73, v74
	v_mul_f32_e32 v74, v80, v110
	;; [unrolled: 4-line block ×8, first 2 shown]
	v_fmac_f32_e32 v144, v76, v125
	v_add_f32_e32 v143, 0, v143
	s_waitcnt vmcnt(9)
	v_fma_f32 v74, v91, v133, -v74
	v_fmac_f32_e32 v145, v78, v126
	v_add_f32_e32 v143, v143, v144
	v_add_f32_e32 v73, v73, v74
	v_mul_f32_e32 v74, v94, v117
	v_fmac_f32_e32 v146, v80, v127
	v_add_f32_e32 v143, v143, v145
	s_waitcnt vmcnt(8)
	v_fma_f32 v74, v93, v134, -v74
	v_fmac_f32_e32 v147, v82, v128
	v_add_f32_e32 v143, v143, v146
	v_add_f32_e32 v73, v73, v74
	v_mul_f32_e32 v74, v96, v118
	;; [unrolled: 8-line block ×7, first 2 shown]
	v_fmac_f32_e32 v158, v104, v139
	v_add_f32_e32 v143, v143, v157
	s_waitcnt vmcnt(2)
	v_fma_f32 v74, v105, v140, -v74
	v_fmac_f32_e32 v159, v106, v140
	v_add_f32_e32 v143, v143, v158
	v_add_f32_e32 v73, v73, v74
	;; [unrolled: 1-line block ×3, first 2 shown]
	s_waitcnt vmcnt(1)
	v_sub_f32_e32 v73, v141, v73
	s_waitcnt vmcnt(0)
	v_sub_f32_e32 v74, v142, v143
	buffer_store_dword v73, off, s[0:3], 0 offset:136
	buffer_store_dword v74, off, s[0:3], 0 offset:140
	s_and_saveexec_b64 s[4:5], vcc
	s_cbranch_execz .LBB34_191
; %bb.190:
	buffer_load_dword v73, off, s[0:3], 0 offset:128
	buffer_load_dword v74, off, s[0:3], 0 offset:132
	s_waitcnt vmcnt(0)
	ds_write_b64 v71, v[73:74]
	buffer_store_dword v72, off, s[0:3], 0 offset:128
	buffer_store_dword v72, off, s[0:3], 0 offset:132
.LBB34_191:
	s_or_b64 exec, exec, s[4:5]
	s_waitcnt lgkmcnt(0)
	; wave barrier
	buffer_load_dword v109, off, s[0:3], 0 offset:140
	buffer_load_dword v110, off, s[0:3], 0 offset:148
	;; [unrolled: 1-line block ×38, first 2 shown]
	ds_read2_b64 v[73:76], v72 offset0:53 offset1:54
	ds_read2_b64 v[77:80], v72 offset0:55 offset1:56
	;; [unrolled: 1-line block ×9, first 2 shown]
	v_cmp_lt_u32_e32 vcc, 15, v0
	s_waitcnt vmcnt(37) lgkmcnt(8)
	v_mul_f32_e32 v72, v73, v109
	s_waitcnt vmcnt(36)
	v_mul_f32_e32 v147, v75, v110
	s_waitcnt vmcnt(35) lgkmcnt(7)
	v_mul_f32_e32 v148, v77, v111
	s_waitcnt vmcnt(34)
	v_mul_f32_e32 v149, v79, v112
	;; [unrolled: 4-line block ×8, first 2 shown]
	s_waitcnt vmcnt(21) lgkmcnt(0)
	v_mul_f32_e32 v162, v105, v125
	s_waitcnt vmcnt(20)
	v_fmac_f32_e32 v72, v74, v126
	v_mul_f32_e32 v74, v74, v109
	v_fma_f32 v73, v73, v126, -v74
	v_mul_f32_e32 v74, v76, v110
	v_add_f32_e32 v73, 0, v73
	s_waitcnt vmcnt(19)
	v_fma_f32 v74, v75, v127, -v74
	v_add_f32_e32 v73, v73, v74
	v_mul_f32_e32 v74, v78, v111
	s_waitcnt vmcnt(18)
	v_fma_f32 v74, v77, v128, -v74
	v_add_f32_e32 v73, v73, v74
	v_mul_f32_e32 v74, v80, v112
	;; [unrolled: 4-line block ×8, first 2 shown]
	s_waitcnt vmcnt(11)
	v_fma_f32 v74, v91, v135, -v74
	v_fmac_f32_e32 v147, v76, v127
	v_add_f32_e32 v72, 0, v72
	v_add_f32_e32 v73, v73, v74
	v_mul_f32_e32 v74, v94, v119
	v_fmac_f32_e32 v148, v78, v128
	v_add_f32_e32 v72, v72, v147
	s_waitcnt vmcnt(10)
	v_fma_f32 v74, v93, v136, -v74
	v_fmac_f32_e32 v149, v80, v129
	v_add_f32_e32 v72, v72, v148
	v_add_f32_e32 v73, v73, v74
	v_mul_f32_e32 v74, v96, v120
	v_fmac_f32_e32 v150, v82, v130
	v_add_f32_e32 v72, v72, v149
	;; [unrolled: 8-line block ×7, first 2 shown]
	s_waitcnt vmcnt(4)
	v_fma_f32 v74, v105, v142, -v74
	v_fmac_f32_e32 v161, v104, v141
	v_add_f32_e32 v72, v72, v160
	v_add_f32_e32 v73, v73, v74
	s_waitcnt vmcnt(3)
	v_mul_f32_e32 v74, v108, v143
	v_add_f32_e32 v72, v72, v161
	v_fmac_f32_e32 v162, v106, v142
	v_mul_f32_e32 v147, v107, v143
	s_waitcnt vmcnt(2)
	v_fma_f32 v74, v107, v144, -v74
	v_add_f32_e32 v72, v72, v162
	v_fmac_f32_e32 v147, v108, v144
	v_add_f32_e32 v73, v73, v74
	v_add_f32_e32 v72, v72, v147
	s_waitcnt vmcnt(1)
	v_sub_f32_e32 v73, v145, v73
	s_waitcnt vmcnt(0)
	v_sub_f32_e32 v72, v146, v72
	buffer_store_dword v73, off, s[0:3], 0 offset:128
	buffer_store_dword v72, off, s[0:3], 0 offset:132
	s_and_saveexec_b64 s[4:5], vcc
	s_cbranch_execz .LBB34_193
; %bb.192:
	buffer_load_dword v72, off, s[0:3], 0 offset:120
	buffer_load_dword v73, off, s[0:3], 0 offset:124
	v_mov_b32_e32 v74, 0
	buffer_store_dword v74, off, s[0:3], 0 offset:120
	buffer_store_dword v74, off, s[0:3], 0 offset:124
	s_waitcnt vmcnt(2)
	ds_write_b64 v71, v[72:73]
.LBB34_193:
	s_or_b64 exec, exec, s[4:5]
	s_waitcnt lgkmcnt(0)
	; wave barrier
	buffer_load_dword v111, off, s[0:3], 0 offset:132
	buffer_load_dword v112, off, s[0:3], 0 offset:140
	;; [unrolled: 1-line block ×40, first 2 shown]
	v_mov_b32_e32 v72, 0
	ds_read_b128 v[73:76], v72 offset:416
	ds_read_b128 v[77:80], v72 offset:432
	;; [unrolled: 1-line block ×9, first 2 shown]
	v_cmp_lt_u32_e32 vcc, 14, v0
	s_waitcnt vmcnt(39) lgkmcnt(8)
	v_mul_f32_e32 v109, v73, v111
	s_waitcnt vmcnt(38)
	v_mul_f32_e32 v110, v75, v112
	s_waitcnt vmcnt(37) lgkmcnt(7)
	v_mul_f32_e32 v151, v77, v113
	s_waitcnt vmcnt(36)
	v_mul_f32_e32 v152, v79, v114
	;; [unrolled: 4-line block ×7, first 2 shown]
	s_waitcnt vmcnt(25) lgkmcnt(1)
	v_mul_f32_e32 v163, v101, v125
	s_waitcnt vmcnt(24)
	v_fmac_f32_e32 v109, v74, v126
	v_mul_f32_e32 v74, v74, v111
	v_fma_f32 v73, v73, v126, -v74
	v_mul_f32_e32 v74, v76, v112
	v_add_f32_e32 v73, 0, v73
	s_waitcnt vmcnt(23)
	v_fma_f32 v74, v75, v127, -v74
	v_add_f32_e32 v73, v73, v74
	v_mul_f32_e32 v74, v78, v113
	s_waitcnt vmcnt(22)
	v_fma_f32 v74, v77, v128, -v74
	v_add_f32_e32 v73, v73, v74
	v_mul_f32_e32 v74, v80, v114
	;; [unrolled: 4-line block ×6, first 2 shown]
	s_waitcnt vmcnt(17)
	v_fma_f32 v74, v87, v133, -v74
	v_fmac_f32_e32 v110, v76, v127
	v_add_f32_e32 v109, 0, v109
	v_add_f32_e32 v73, v73, v74
	v_mul_f32_e32 v74, v90, v119
	v_fmac_f32_e32 v151, v78, v128
	v_add_f32_e32 v109, v109, v110
	s_waitcnt vmcnt(16)
	v_fma_f32 v74, v89, v134, -v74
	v_fmac_f32_e32 v152, v80, v129
	v_add_f32_e32 v109, v109, v151
	v_add_f32_e32 v73, v73, v74
	v_mul_f32_e32 v74, v92, v120
	v_fmac_f32_e32 v153, v82, v130
	v_add_f32_e32 v109, v109, v152
	;; [unrolled: 8-line block ×6, first 2 shown]
	s_waitcnt vmcnt(11)
	v_fma_f32 v74, v99, v139, -v74
	v_fmac_f32_e32 v162, v100, v139
	v_add_f32_e32 v109, v109, v161
	v_add_f32_e32 v73, v73, v74
	v_mul_f32_e32 v74, v102, v125
	s_waitcnt vmcnt(10)
	v_fmac_f32_e32 v163, v102, v140
	v_add_f32_e32 v109, v109, v162
	s_waitcnt vmcnt(9)
	v_mul_f32_e32 v110, v103, v141
	v_fma_f32 v74, v101, v140, -v74
	v_add_f32_e32 v109, v109, v163
	s_waitcnt vmcnt(8)
	v_fmac_f32_e32 v110, v104, v142
	v_add_f32_e32 v73, v73, v74
	v_mul_f32_e32 v74, v104, v141
	v_add_f32_e32 v151, v109, v110
	ds_read_b64 v[109:110], v72 offset:560
	v_fma_f32 v74, v103, v142, -v74
	v_add_f32_e32 v73, v73, v74
	s_waitcnt vmcnt(7) lgkmcnt(1)
	v_mul_f32_e32 v74, v106, v143
	v_mul_f32_e32 v152, v105, v143
	s_waitcnt vmcnt(6)
	v_fma_f32 v74, v105, v144, -v74
	v_fmac_f32_e32 v152, v106, v144
	v_add_f32_e32 v73, v73, v74
	s_waitcnt vmcnt(5)
	v_mul_f32_e32 v74, v108, v145
	v_add_f32_e32 v151, v151, v152
	v_mul_f32_e32 v152, v107, v145
	s_waitcnt vmcnt(4)
	v_fma_f32 v74, v107, v146, -v74
	v_fmac_f32_e32 v152, v108, v146
	v_add_f32_e32 v73, v73, v74
	s_waitcnt vmcnt(3) lgkmcnt(0)
	v_mul_f32_e32 v74, v110, v147
	v_add_f32_e32 v151, v151, v152
	v_mul_f32_e32 v152, v109, v147
	s_waitcnt vmcnt(2)
	v_fma_f32 v74, v109, v148, -v74
	v_fmac_f32_e32 v152, v110, v148
	v_add_f32_e32 v73, v73, v74
	v_add_f32_e32 v151, v151, v152
	s_waitcnt vmcnt(1)
	v_sub_f32_e32 v73, v149, v73
	s_waitcnt vmcnt(0)
	v_sub_f32_e32 v74, v150, v151
	buffer_store_dword v73, off, s[0:3], 0 offset:120
	buffer_store_dword v74, off, s[0:3], 0 offset:124
	s_and_saveexec_b64 s[4:5], vcc
	s_cbranch_execz .LBB34_195
; %bb.194:
	buffer_load_dword v73, off, s[0:3], 0 offset:112
	buffer_load_dword v74, off, s[0:3], 0 offset:116
	s_waitcnt vmcnt(0)
	ds_write_b64 v71, v[73:74]
	buffer_store_dword v72, off, s[0:3], 0 offset:112
	buffer_store_dword v72, off, s[0:3], 0 offset:116
.LBB34_195:
	s_or_b64 exec, exec, s[4:5]
	s_waitcnt lgkmcnt(0)
	; wave barrier
	buffer_load_dword v113, off, s[0:3], 0 offset:124
	buffer_load_dword v114, off, s[0:3], 0 offset:132
	;; [unrolled: 1-line block ×42, first 2 shown]
	ds_read2_b64 v[73:76], v72 offset0:51 offset1:52
	ds_read2_b64 v[77:80], v72 offset0:53 offset1:54
	;; [unrolled: 1-line block ×8, first 2 shown]
	v_cmp_lt_u32_e32 vcc, 13, v0
	s_waitcnt vmcnt(41) lgkmcnt(7)
	v_mul_f32_e32 v105, v73, v113
	s_waitcnt vmcnt(40)
	v_mul_f32_e32 v106, v75, v114
	s_waitcnt vmcnt(39) lgkmcnt(6)
	v_mul_f32_e32 v107, v77, v115
	s_waitcnt vmcnt(38)
	v_mul_f32_e32 v108, v79, v116
	;; [unrolled: 4-line block ×7, first 2 shown]
	s_waitcnt vmcnt(27) lgkmcnt(0)
	v_mul_f32_e32 v161, v101, v127
	s_waitcnt vmcnt(26)
	v_fmac_f32_e32 v105, v74, v128
	v_mul_f32_e32 v74, v74, v113
	v_fma_f32 v73, v73, v128, -v74
	v_mul_f32_e32 v74, v76, v114
	v_add_f32_e32 v73, 0, v73
	s_waitcnt vmcnt(25)
	v_fma_f32 v74, v75, v129, -v74
	v_add_f32_e32 v73, v73, v74
	v_mul_f32_e32 v74, v78, v115
	s_waitcnt vmcnt(24)
	v_fma_f32 v74, v77, v130, -v74
	v_add_f32_e32 v73, v73, v74
	v_mul_f32_e32 v74, v80, v116
	;; [unrolled: 4-line block ×5, first 2 shown]
	v_fmac_f32_e32 v106, v76, v129
	v_add_f32_e32 v105, 0, v105
	s_waitcnt vmcnt(20)
	v_fma_f32 v74, v85, v134, -v74
	v_fmac_f32_e32 v107, v78, v130
	v_add_f32_e32 v105, v105, v106
	v_add_f32_e32 v73, v73, v74
	v_mul_f32_e32 v74, v88, v120
	v_fmac_f32_e32 v108, v80, v131
	v_add_f32_e32 v105, v105, v107
	s_waitcnt vmcnt(19)
	v_fma_f32 v74, v87, v135, -v74
	v_fmac_f32_e32 v109, v82, v132
	v_add_f32_e32 v105, v105, v108
	v_add_f32_e32 v73, v73, v74
	v_mul_f32_e32 v74, v90, v121
	v_fmac_f32_e32 v110, v84, v133
	v_add_f32_e32 v105, v105, v109
	s_waitcnt vmcnt(18)
	v_fma_f32 v74, v89, v136, -v74
	v_fmac_f32_e32 v111, v86, v134
	v_add_f32_e32 v105, v105, v110
	v_add_f32_e32 v73, v73, v74
	v_mul_f32_e32 v74, v92, v122
	v_fmac_f32_e32 v112, v88, v135
	v_add_f32_e32 v105, v105, v111
	s_waitcnt vmcnt(17)
	v_fma_f32 v74, v91, v137, -v74
	v_fmac_f32_e32 v155, v90, v136
	v_add_f32_e32 v105, v105, v112
	v_add_f32_e32 v73, v73, v74
	v_mul_f32_e32 v74, v94, v123
	v_fmac_f32_e32 v156, v92, v137
	v_add_f32_e32 v105, v105, v155
	s_waitcnt vmcnt(16)
	v_fma_f32 v74, v93, v138, -v74
	v_fmac_f32_e32 v157, v94, v138
	v_add_f32_e32 v105, v105, v156
	v_add_f32_e32 v73, v73, v74
	v_mul_f32_e32 v74, v96, v124
	s_waitcnt vmcnt(15)
	v_fmac_f32_e32 v158, v96, v139
	v_add_f32_e32 v105, v105, v157
	v_fma_f32 v74, v95, v139, -v74
	s_waitcnt vmcnt(14)
	v_fmac_f32_e32 v159, v98, v140
	v_add_f32_e32 v105, v105, v158
	v_add_f32_e32 v73, v73, v74
	v_mul_f32_e32 v74, v98, v125
	s_waitcnt vmcnt(13)
	v_fmac_f32_e32 v160, v100, v141
	v_add_f32_e32 v105, v105, v159
	v_fma_f32 v74, v97, v140, -v74
	s_waitcnt vmcnt(12)
	v_fmac_f32_e32 v161, v102, v142
	v_add_f32_e32 v105, v105, v160
	v_add_f32_e32 v73, v73, v74
	v_mul_f32_e32 v74, v100, v126
	v_add_f32_e32 v109, v105, v161
	ds_read2_b64 v[105:108], v72 offset0:67 offset1:68
	v_fma_f32 v74, v99, v141, -v74
	v_add_f32_e32 v73, v73, v74
	v_mul_f32_e32 v74, v102, v127
	s_waitcnt vmcnt(11)
	v_mul_f32_e32 v110, v103, v143
	v_fma_f32 v74, v101, v142, -v74
	s_waitcnt vmcnt(10)
	v_fmac_f32_e32 v110, v104, v144
	v_add_f32_e32 v73, v73, v74
	v_mul_f32_e32 v74, v104, v143
	v_add_f32_e32 v155, v109, v110
	ds_read2_b64 v[109:112], v72 offset0:69 offset1:70
	v_fma_f32 v74, v103, v144, -v74
	v_add_f32_e32 v73, v73, v74
	s_waitcnt vmcnt(9) lgkmcnt(1)
	v_mul_f32_e32 v74, v106, v145
	v_mul_f32_e32 v72, v105, v145
	s_waitcnt vmcnt(8)
	v_fma_f32 v74, v105, v146, -v74
	v_fmac_f32_e32 v72, v106, v146
	v_add_f32_e32 v73, v73, v74
	s_waitcnt vmcnt(7)
	v_mul_f32_e32 v74, v108, v147
	v_add_f32_e32 v72, v155, v72
	v_mul_f32_e32 v155, v107, v147
	s_waitcnt vmcnt(6)
	v_fma_f32 v74, v107, v148, -v74
	v_fmac_f32_e32 v155, v108, v148
	v_add_f32_e32 v73, v73, v74
	s_waitcnt vmcnt(5) lgkmcnt(0)
	v_mul_f32_e32 v74, v110, v149
	v_add_f32_e32 v72, v72, v155
	v_mul_f32_e32 v155, v109, v149
	s_waitcnt vmcnt(4)
	v_fma_f32 v74, v109, v150, -v74
	v_fmac_f32_e32 v155, v110, v150
	v_add_f32_e32 v73, v73, v74
	s_waitcnt vmcnt(3)
	v_mul_f32_e32 v74, v112, v151
	v_add_f32_e32 v72, v72, v155
	v_mul_f32_e32 v155, v111, v151
	s_waitcnt vmcnt(2)
	v_fma_f32 v74, v111, v152, -v74
	v_fmac_f32_e32 v155, v112, v152
	v_add_f32_e32 v73, v73, v74
	v_add_f32_e32 v72, v72, v155
	s_waitcnt vmcnt(1)
	v_sub_f32_e32 v73, v153, v73
	s_waitcnt vmcnt(0)
	v_sub_f32_e32 v72, v154, v72
	buffer_store_dword v73, off, s[0:3], 0 offset:112
	buffer_store_dword v72, off, s[0:3], 0 offset:116
	s_and_saveexec_b64 s[4:5], vcc
	s_cbranch_execz .LBB34_197
; %bb.196:
	buffer_load_dword v72, off, s[0:3], 0 offset:104
	buffer_load_dword v73, off, s[0:3], 0 offset:108
	v_mov_b32_e32 v74, 0
	buffer_store_dword v74, off, s[0:3], 0 offset:104
	buffer_store_dword v74, off, s[0:3], 0 offset:108
	s_waitcnt vmcnt(2)
	ds_write_b64 v71, v[72:73]
.LBB34_197:
	s_or_b64 exec, exec, s[4:5]
	s_waitcnt lgkmcnt(0)
	; wave barrier
	buffer_load_dword v115, off, s[0:3], 0 offset:116
	buffer_load_dword v116, off, s[0:3], 0 offset:124
	;; [unrolled: 1-line block ×44, first 2 shown]
	v_mov_b32_e32 v72, 0
	ds_read_b128 v[73:76], v72 offset:400
	ds_read_b128 v[77:80], v72 offset:416
	;; [unrolled: 1-line block ×8, first 2 shown]
	v_cmp_lt_u32_e32 vcc, 12, v0
	s_waitcnt vmcnt(43) lgkmcnt(7)
	v_mul_f32_e32 v105, v73, v115
	s_waitcnt vmcnt(42)
	v_mul_f32_e32 v106, v75, v116
	s_waitcnt vmcnt(41) lgkmcnt(6)
	v_mul_f32_e32 v107, v77, v117
	s_waitcnt vmcnt(40)
	v_mul_f32_e32 v108, v79, v118
	;; [unrolled: 4-line block ×7, first 2 shown]
	s_waitcnt vmcnt(29)
	v_fmac_f32_e32 v105, v74, v129
	v_mul_f32_e32 v74, v74, v115
	v_fma_f32 v73, v73, v129, -v74
	v_mul_f32_e32 v74, v76, v116
	v_add_f32_e32 v73, 0, v73
	s_waitcnt vmcnt(28)
	v_fma_f32 v74, v75, v130, -v74
	v_add_f32_e32 v73, v73, v74
	v_mul_f32_e32 v74, v78, v117
	s_waitcnt vmcnt(27)
	v_fma_f32 v74, v77, v131, -v74
	v_add_f32_e32 v73, v73, v74
	v_mul_f32_e32 v74, v80, v118
	s_waitcnt vmcnt(26)
	v_fma_f32 v74, v79, v132, -v74
	v_add_f32_e32 v73, v73, v74
	v_mul_f32_e32 v74, v82, v119
	s_waitcnt vmcnt(25)
	v_fma_f32 v74, v81, v133, -v74
	v_add_f32_e32 v73, v73, v74
	v_mul_f32_e32 v74, v84, v120
	s_waitcnt vmcnt(24)
	v_fma_f32 v74, v83, v134, -v74
	v_fmac_f32_e32 v106, v76, v130
	v_add_f32_e32 v105, 0, v105
	v_add_f32_e32 v73, v73, v74
	v_mul_f32_e32 v74, v86, v121
	v_fmac_f32_e32 v107, v78, v131
	v_add_f32_e32 v105, v105, v106
	s_waitcnt vmcnt(23)
	v_fma_f32 v74, v85, v135, -v74
	v_fmac_f32_e32 v108, v80, v132
	v_add_f32_e32 v105, v105, v107
	v_add_f32_e32 v73, v73, v74
	v_mul_f32_e32 v74, v88, v122
	v_fmac_f32_e32 v109, v82, v133
	v_add_f32_e32 v105, v105, v108
	;; [unrolled: 8-line block ×4, first 2 shown]
	s_waitcnt vmcnt(20)
	v_fma_f32 v74, v91, v138, -v74
	v_fmac_f32_e32 v114, v92, v138
	v_add_f32_e32 v105, v105, v113
	v_add_f32_e32 v73, v73, v74
	v_mul_f32_e32 v74, v94, v125
	s_waitcnt vmcnt(19)
	v_fmac_f32_e32 v159, v94, v139
	v_add_f32_e32 v105, v105, v114
	v_fma_f32 v74, v93, v139, -v74
	s_waitcnt vmcnt(18)
	v_fmac_f32_e32 v160, v96, v140
	v_add_f32_e32 v105, v105, v159
	v_add_f32_e32 v73, v73, v74
	v_mul_f32_e32 v74, v96, v126
	s_waitcnt vmcnt(17)
	v_fmac_f32_e32 v161, v98, v141
	v_add_f32_e32 v105, v105, v160
	v_fma_f32 v74, v95, v140, -v74
	v_add_f32_e32 v105, v105, v161
	s_waitcnt vmcnt(16)
	v_fmac_f32_e32 v162, v100, v142
	s_waitcnt vmcnt(15) lgkmcnt(0)
	v_mul_f32_e32 v106, v101, v143
	v_add_f32_e32 v73, v73, v74
	v_mul_f32_e32 v74, v98, v127
	v_add_f32_e32 v105, v105, v162
	s_waitcnt vmcnt(14)
	v_fmac_f32_e32 v106, v102, v144
	v_fma_f32 v74, v97, v141, -v74
	v_add_f32_e32 v109, v105, v106
	ds_read_b128 v[105:108], v72 offset:528
	v_add_f32_e32 v73, v73, v74
	v_mul_f32_e32 v74, v100, v128
	v_fma_f32 v74, v99, v142, -v74
	v_add_f32_e32 v73, v73, v74
	v_mul_f32_e32 v74, v102, v143
	s_waitcnt vmcnt(13)
	v_mul_f32_e32 v110, v103, v145
	v_fma_f32 v74, v101, v144, -v74
	s_waitcnt vmcnt(12)
	v_fmac_f32_e32 v110, v104, v146
	v_add_f32_e32 v73, v73, v74
	v_mul_f32_e32 v74, v104, v145
	v_add_f32_e32 v113, v109, v110
	ds_read_b128 v[109:112], v72 offset:544
	s_waitcnt vmcnt(11) lgkmcnt(1)
	v_mul_f32_e32 v114, v105, v147
	v_fma_f32 v74, v103, v146, -v74
	s_waitcnt vmcnt(10)
	v_fmac_f32_e32 v114, v106, v148
	v_add_f32_e32 v73, v73, v74
	v_mul_f32_e32 v74, v106, v147
	v_add_f32_e32 v113, v113, v114
	s_waitcnt vmcnt(9)
	v_mul_f32_e32 v114, v107, v149
	v_fma_f32 v74, v105, v148, -v74
	s_waitcnt vmcnt(8)
	v_fmac_f32_e32 v114, v108, v150
	v_add_f32_e32 v73, v73, v74
	v_mul_f32_e32 v74, v108, v149
	v_add_f32_e32 v159, v113, v114
	ds_read_b64 v[113:114], v72 offset:560
	v_fma_f32 v74, v107, v150, -v74
	v_add_f32_e32 v73, v73, v74
	s_waitcnt vmcnt(7) lgkmcnt(1)
	v_mul_f32_e32 v74, v110, v151
	v_mul_f32_e32 v160, v109, v151
	s_waitcnt vmcnt(6)
	v_fma_f32 v74, v109, v152, -v74
	v_fmac_f32_e32 v160, v110, v152
	v_add_f32_e32 v73, v73, v74
	s_waitcnt vmcnt(5)
	v_mul_f32_e32 v74, v112, v153
	v_add_f32_e32 v159, v159, v160
	v_mul_f32_e32 v160, v111, v153
	s_waitcnt vmcnt(4)
	v_fma_f32 v74, v111, v154, -v74
	v_fmac_f32_e32 v160, v112, v154
	v_add_f32_e32 v73, v73, v74
	s_waitcnt vmcnt(3) lgkmcnt(0)
	v_mul_f32_e32 v74, v114, v155
	v_add_f32_e32 v159, v159, v160
	v_mul_f32_e32 v160, v113, v155
	s_waitcnt vmcnt(2)
	v_fma_f32 v74, v113, v156, -v74
	v_fmac_f32_e32 v160, v114, v156
	v_add_f32_e32 v73, v73, v74
	v_add_f32_e32 v159, v159, v160
	s_waitcnt vmcnt(1)
	v_sub_f32_e32 v73, v157, v73
	s_waitcnt vmcnt(0)
	v_sub_f32_e32 v74, v158, v159
	buffer_store_dword v73, off, s[0:3], 0 offset:104
	buffer_store_dword v74, off, s[0:3], 0 offset:108
	s_and_saveexec_b64 s[4:5], vcc
	s_cbranch_execz .LBB34_199
; %bb.198:
	buffer_load_dword v73, off, s[0:3], 0 offset:96
	buffer_load_dword v74, off, s[0:3], 0 offset:100
	s_waitcnt vmcnt(0)
	ds_write_b64 v71, v[73:74]
	buffer_store_dword v72, off, s[0:3], 0 offset:96
	buffer_store_dword v72, off, s[0:3], 0 offset:100
.LBB34_199:
	s_or_b64 exec, exec, s[4:5]
	s_waitcnt lgkmcnt(0)
	; wave barrier
	buffer_load_dword v117, off, s[0:3], 0 offset:108
	buffer_load_dword v118, off, s[0:3], 0 offset:116
	;; [unrolled: 1-line block ×46, first 2 shown]
	ds_read2_b64 v[73:76], v72 offset0:49 offset1:50
	ds_read2_b64 v[77:80], v72 offset0:51 offset1:52
	;; [unrolled: 1-line block ×8, first 2 shown]
	v_cmp_lt_u32_e32 vcc, 11, v0
	s_waitcnt vmcnt(45) lgkmcnt(7)
	v_mul_f32_e32 v105, v73, v117
	s_waitcnt vmcnt(44)
	v_mul_f32_e32 v106, v75, v118
	s_waitcnt vmcnt(43) lgkmcnt(6)
	v_mul_f32_e32 v107, v77, v119
	s_waitcnt vmcnt(42)
	v_mul_f32_e32 v108, v79, v120
	;; [unrolled: 4-line block ×6, first 2 shown]
	s_waitcnt vmcnt(33) lgkmcnt(1)
	v_mul_f32_e32 v163, v97, v129
	s_waitcnt vmcnt(32)
	v_fmac_f32_e32 v105, v74, v130
	v_mul_f32_e32 v74, v74, v117
	v_fma_f32 v73, v73, v130, -v74
	v_mul_f32_e32 v74, v76, v118
	v_add_f32_e32 v73, 0, v73
	s_waitcnt vmcnt(31)
	v_fma_f32 v74, v75, v131, -v74
	v_add_f32_e32 v73, v73, v74
	v_mul_f32_e32 v74, v78, v119
	s_waitcnt vmcnt(30)
	v_fma_f32 v74, v77, v132, -v74
	v_add_f32_e32 v73, v73, v74
	v_mul_f32_e32 v74, v80, v120
	;; [unrolled: 4-line block ×4, first 2 shown]
	v_fmac_f32_e32 v106, v76, v131
	v_add_f32_e32 v105, 0, v105
	s_waitcnt vmcnt(27)
	v_fma_f32 v74, v83, v135, -v74
	v_fmac_f32_e32 v107, v78, v132
	v_add_f32_e32 v105, v105, v106
	v_add_f32_e32 v73, v73, v74
	v_mul_f32_e32 v74, v86, v123
	v_fmac_f32_e32 v108, v80, v133
	v_add_f32_e32 v105, v105, v107
	s_waitcnt vmcnt(26)
	v_fma_f32 v74, v85, v136, -v74
	v_fmac_f32_e32 v109, v82, v134
	v_add_f32_e32 v105, v105, v108
	v_add_f32_e32 v73, v73, v74
	v_mul_f32_e32 v74, v88, v124
	;; [unrolled: 8-line block ×4, first 2 shown]
	s_waitcnt vmcnt(23)
	v_fmac_f32_e32 v114, v92, v139
	v_add_f32_e32 v105, v105, v113
	v_fma_f32 v74, v91, v139, -v74
	s_waitcnt vmcnt(22)
	v_fmac_f32_e32 v115, v94, v140
	v_add_f32_e32 v105, v105, v114
	v_add_f32_e32 v73, v73, v74
	v_mul_f32_e32 v74, v94, v127
	s_waitcnt vmcnt(21)
	v_fmac_f32_e32 v116, v96, v141
	v_add_f32_e32 v105, v105, v115
	v_fma_f32 v74, v93, v140, -v74
	s_waitcnt vmcnt(20)
	v_fmac_f32_e32 v163, v98, v142
	v_add_f32_e32 v105, v105, v116
	s_waitcnt vmcnt(19)
	v_mul_f32_e32 v106, v99, v143
	v_add_f32_e32 v73, v73, v74
	v_mul_f32_e32 v74, v96, v128
	v_add_f32_e32 v105, v105, v163
	s_waitcnt vmcnt(18)
	v_fmac_f32_e32 v106, v100, v144
	v_fma_f32 v74, v95, v141, -v74
	v_add_f32_e32 v105, v105, v106
	s_waitcnt vmcnt(17) lgkmcnt(0)
	v_mul_f32_e32 v106, v101, v145
	v_add_f32_e32 v73, v73, v74
	v_mul_f32_e32 v74, v98, v129
	s_waitcnt vmcnt(16)
	v_fmac_f32_e32 v106, v102, v146
	v_fma_f32 v74, v97, v142, -v74
	v_add_f32_e32 v109, v105, v106
	ds_read2_b64 v[105:108], v72 offset0:65 offset1:66
	v_add_f32_e32 v73, v73, v74
	v_mul_f32_e32 v74, v100, v143
	v_fma_f32 v74, v99, v144, -v74
	v_add_f32_e32 v73, v73, v74
	v_mul_f32_e32 v74, v102, v145
	s_waitcnt vmcnt(15)
	v_mul_f32_e32 v110, v103, v147
	v_fma_f32 v74, v101, v146, -v74
	s_waitcnt vmcnt(14)
	v_fmac_f32_e32 v110, v104, v148
	v_add_f32_e32 v73, v73, v74
	v_mul_f32_e32 v74, v104, v147
	v_add_f32_e32 v113, v109, v110
	ds_read2_b64 v[109:112], v72 offset0:67 offset1:68
	s_waitcnt vmcnt(13) lgkmcnt(1)
	v_mul_f32_e32 v114, v105, v149
	v_fma_f32 v74, v103, v148, -v74
	s_waitcnt vmcnt(12)
	v_fmac_f32_e32 v114, v106, v150
	v_add_f32_e32 v73, v73, v74
	v_mul_f32_e32 v74, v106, v149
	v_add_f32_e32 v113, v113, v114
	s_waitcnt vmcnt(11)
	v_mul_f32_e32 v114, v107, v151
	v_fma_f32 v74, v105, v150, -v74
	s_waitcnt vmcnt(10)
	v_fmac_f32_e32 v114, v108, v152
	v_add_f32_e32 v73, v73, v74
	v_mul_f32_e32 v74, v108, v151
	v_add_f32_e32 v163, v113, v114
	ds_read2_b64 v[113:116], v72 offset0:69 offset1:70
	v_fma_f32 v74, v107, v152, -v74
	v_add_f32_e32 v73, v73, v74
	s_waitcnt vmcnt(9) lgkmcnt(1)
	v_mul_f32_e32 v74, v110, v153
	v_mul_f32_e32 v164, v109, v153
	s_waitcnt vmcnt(8)
	v_fma_f32 v74, v109, v154, -v74
	v_fmac_f32_e32 v164, v110, v154
	v_add_f32_e32 v73, v73, v74
	s_waitcnt vmcnt(7)
	v_mul_f32_e32 v74, v112, v155
	v_add_f32_e32 v72, v163, v164
	v_mul_f32_e32 v163, v111, v155
	s_waitcnt vmcnt(6)
	v_fma_f32 v74, v111, v156, -v74
	v_fmac_f32_e32 v163, v112, v156
	v_add_f32_e32 v73, v73, v74
	s_waitcnt vmcnt(5) lgkmcnt(0)
	v_mul_f32_e32 v74, v114, v157
	v_add_f32_e32 v72, v72, v163
	v_mul_f32_e32 v163, v113, v157
	s_waitcnt vmcnt(4)
	v_fma_f32 v74, v113, v158, -v74
	v_fmac_f32_e32 v163, v114, v158
	v_add_f32_e32 v73, v73, v74
	s_waitcnt vmcnt(3)
	v_mul_f32_e32 v74, v116, v159
	v_add_f32_e32 v72, v72, v163
	v_mul_f32_e32 v163, v115, v159
	s_waitcnt vmcnt(2)
	v_fma_f32 v74, v115, v160, -v74
	v_fmac_f32_e32 v163, v116, v160
	v_add_f32_e32 v73, v73, v74
	v_add_f32_e32 v72, v72, v163
	s_waitcnt vmcnt(1)
	v_sub_f32_e32 v73, v161, v73
	s_waitcnt vmcnt(0)
	v_sub_f32_e32 v72, v162, v72
	buffer_store_dword v73, off, s[0:3], 0 offset:96
	buffer_store_dword v72, off, s[0:3], 0 offset:100
	s_and_saveexec_b64 s[4:5], vcc
	s_cbranch_execz .LBB34_201
; %bb.200:
	buffer_load_dword v72, off, s[0:3], 0 offset:88
	buffer_load_dword v73, off, s[0:3], 0 offset:92
	v_mov_b32_e32 v74, 0
	buffer_store_dword v74, off, s[0:3], 0 offset:88
	buffer_store_dword v74, off, s[0:3], 0 offset:92
	s_waitcnt vmcnt(2)
	ds_write_b64 v71, v[72:73]
.LBB34_201:
	s_or_b64 exec, exec, s[4:5]
	s_waitcnt lgkmcnt(0)
	; wave barrier
	buffer_load_dword v119, off, s[0:3], 0 offset:100
	buffer_load_dword v120, off, s[0:3], 0 offset:108
	;; [unrolled: 1-line block ×48, first 2 shown]
	v_mov_b32_e32 v72, 0
	ds_read_b128 v[73:76], v72 offset:384
	ds_read_b128 v[77:80], v72 offset:400
	;; [unrolled: 1-line block ×7, first 2 shown]
	v_cmp_lt_u32_e32 vcc, 10, v0
	s_waitcnt vmcnt(47) lgkmcnt(6)
	v_mul_f32_e32 v101, v73, v119
	s_waitcnt vmcnt(46)
	v_mul_f32_e32 v102, v75, v120
	s_waitcnt vmcnt(45) lgkmcnt(5)
	v_mul_f32_e32 v103, v77, v121
	s_waitcnt vmcnt(44)
	v_mul_f32_e32 v104, v79, v122
	;; [unrolled: 4-line block ×6, first 2 shown]
	s_waitcnt vmcnt(35)
	v_fmac_f32_e32 v101, v74, v131
	v_mul_f32_e32 v74, v74, v119
	v_fma_f32 v73, v73, v131, -v74
	v_mul_f32_e32 v74, v76, v120
	v_add_f32_e32 v73, 0, v73
	s_waitcnt vmcnt(34)
	v_fma_f32 v74, v75, v132, -v74
	v_add_f32_e32 v73, v73, v74
	v_mul_f32_e32 v74, v78, v121
	s_waitcnt vmcnt(33)
	v_fma_f32 v74, v77, v133, -v74
	v_fmac_f32_e32 v102, v76, v132
	v_add_f32_e32 v101, 0, v101
	v_add_f32_e32 v73, v73, v74
	v_mul_f32_e32 v74, v80, v122
	v_fmac_f32_e32 v103, v78, v133
	v_add_f32_e32 v101, v101, v102
	s_waitcnt vmcnt(32)
	v_fma_f32 v74, v79, v134, -v74
	v_fmac_f32_e32 v104, v80, v134
	v_add_f32_e32 v101, v101, v103
	v_add_f32_e32 v73, v73, v74
	v_mul_f32_e32 v74, v82, v123
	s_waitcnt vmcnt(31)
	v_fmac_f32_e32 v105, v82, v135
	v_add_f32_e32 v101, v101, v104
	v_fma_f32 v74, v81, v135, -v74
	s_waitcnt vmcnt(30)
	v_fmac_f32_e32 v106, v84, v136
	v_add_f32_e32 v101, v101, v105
	v_add_f32_e32 v73, v73, v74
	v_mul_f32_e32 v74, v84, v124
	s_waitcnt vmcnt(29)
	v_fmac_f32_e32 v107, v86, v137
	v_add_f32_e32 v101, v101, v106
	v_fma_f32 v74, v83, v136, -v74
	s_waitcnt vmcnt(28)
	;; [unrolled: 9-line block ×4, first 2 shown]
	v_fmac_f32_e32 v112, v96, v142
	v_add_f32_e32 v101, v101, v111
	v_add_f32_e32 v73, v73, v74
	v_mul_f32_e32 v74, v90, v127
	v_add_f32_e32 v105, v101, v112
	ds_read_b128 v[101:104], v72 offset:496
	v_fma_f32 v74, v89, v139, -v74
	s_waitcnt vmcnt(23) lgkmcnt(1)
	v_mul_f32_e32 v106, v97, v143
	v_add_f32_e32 v73, v73, v74
	v_mul_f32_e32 v74, v92, v128
	s_waitcnt vmcnt(22)
	v_fmac_f32_e32 v106, v98, v144
	v_fma_f32 v74, v91, v140, -v74
	v_add_f32_e32 v105, v105, v106
	s_waitcnt vmcnt(21)
	v_mul_f32_e32 v106, v99, v145
	v_add_f32_e32 v73, v73, v74
	v_mul_f32_e32 v74, v94, v129
	s_waitcnt vmcnt(20)
	v_fmac_f32_e32 v106, v100, v146
	v_fma_f32 v74, v93, v141, -v74
	v_add_f32_e32 v105, v105, v106
	s_waitcnt vmcnt(19) lgkmcnt(0)
	v_mul_f32_e32 v106, v101, v147
	v_add_f32_e32 v73, v73, v74
	v_mul_f32_e32 v74, v96, v130
	s_waitcnt vmcnt(18)
	v_fmac_f32_e32 v106, v102, v148
	v_fma_f32 v74, v95, v142, -v74
	v_add_f32_e32 v109, v105, v106
	ds_read_b128 v[105:108], v72 offset:512
	v_add_f32_e32 v73, v73, v74
	v_mul_f32_e32 v74, v98, v143
	v_fma_f32 v74, v97, v144, -v74
	s_waitcnt vmcnt(17)
	v_mul_f32_e32 v110, v103, v149
	v_add_f32_e32 v73, v73, v74
	v_mul_f32_e32 v74, v100, v145
	s_waitcnt vmcnt(16)
	v_fmac_f32_e32 v110, v104, v150
	v_fma_f32 v74, v99, v146, -v74
	v_add_f32_e32 v113, v109, v110
	ds_read_b128 v[109:112], v72 offset:528
	v_add_f32_e32 v73, v73, v74
	v_mul_f32_e32 v74, v102, v147
	s_waitcnt vmcnt(15) lgkmcnt(1)
	v_mul_f32_e32 v114, v105, v151
	v_fma_f32 v74, v101, v148, -v74
	s_waitcnt vmcnt(14)
	v_fmac_f32_e32 v114, v106, v152
	v_add_f32_e32 v73, v73, v74
	v_mul_f32_e32 v74, v104, v149
	v_add_f32_e32 v113, v113, v114
	s_waitcnt vmcnt(13)
	v_mul_f32_e32 v114, v107, v153
	v_fma_f32 v74, v103, v150, -v74
	s_waitcnt vmcnt(12)
	v_fmac_f32_e32 v114, v108, v154
	v_add_f32_e32 v73, v73, v74
	v_mul_f32_e32 v74, v106, v151
	v_add_f32_e32 v113, v113, v114
	s_waitcnt vmcnt(11) lgkmcnt(0)
	v_mul_f32_e32 v114, v109, v155
	v_fma_f32 v74, v105, v152, -v74
	s_waitcnt vmcnt(10)
	v_fmac_f32_e32 v114, v110, v156
	v_add_f32_e32 v73, v73, v74
	v_mul_f32_e32 v74, v108, v153
	v_add_f32_e32 v117, v113, v114
	ds_read_b128 v[113:116], v72 offset:544
	v_fma_f32 v74, v107, v154, -v74
	v_add_f32_e32 v73, v73, v74
	v_mul_f32_e32 v74, v110, v155
	s_waitcnt vmcnt(9)
	v_mul_f32_e32 v118, v111, v157
	v_fma_f32 v74, v109, v156, -v74
	s_waitcnt vmcnt(8)
	v_fmac_f32_e32 v118, v112, v158
	v_add_f32_e32 v73, v73, v74
	v_mul_f32_e32 v74, v112, v157
	v_add_f32_e32 v167, v117, v118
	ds_read_b64 v[117:118], v72 offset:560
	v_fma_f32 v74, v111, v158, -v74
	v_add_f32_e32 v73, v73, v74
	s_waitcnt vmcnt(6) lgkmcnt(1)
	v_mul_f32_e32 v74, v114, v160
	v_mul_f32_e32 v168, v113, v160
	v_fma_f32 v74, v113, v159, -v74
	v_fmac_f32_e32 v168, v114, v159
	v_add_f32_e32 v73, v73, v74
	s_waitcnt vmcnt(3)
	v_mul_f32_e32 v74, v116, v163
	v_add_f32_e32 v167, v167, v168
	v_mul_f32_e32 v168, v115, v163
	s_waitcnt vmcnt(2)
	v_fma_f32 v74, v115, v164, -v74
	v_fmac_f32_e32 v168, v116, v164
	v_add_f32_e32 v73, v73, v74
	s_waitcnt vmcnt(0) lgkmcnt(0)
	v_mul_f32_e32 v74, v118, v166
	v_add_f32_e32 v167, v167, v168
	v_mul_f32_e32 v168, v117, v166
	v_fma_f32 v74, v117, v165, -v74
	v_fmac_f32_e32 v168, v118, v165
	v_add_f32_e32 v73, v73, v74
	v_add_f32_e32 v167, v167, v168
	v_sub_f32_e32 v73, v161, v73
	v_sub_f32_e32 v74, v162, v167
	buffer_store_dword v73, off, s[0:3], 0 offset:88
	buffer_store_dword v74, off, s[0:3], 0 offset:92
	s_and_saveexec_b64 s[4:5], vcc
	s_cbranch_execz .LBB34_203
; %bb.202:
	buffer_load_dword v73, off, s[0:3], 0 offset:80
	buffer_load_dword v74, off, s[0:3], 0 offset:84
	s_waitcnt vmcnt(0)
	ds_write_b64 v71, v[73:74]
	buffer_store_dword v72, off, s[0:3], 0 offset:80
	buffer_store_dword v72, off, s[0:3], 0 offset:84
.LBB34_203:
	s_or_b64 exec, exec, s[4:5]
	s_waitcnt lgkmcnt(0)
	; wave barrier
	buffer_load_dword v121, off, s[0:3], 0 offset:92
	buffer_load_dword v122, off, s[0:3], 0 offset:100
	;; [unrolled: 1-line block ×48, first 2 shown]
	ds_read2_b64 v[73:76], v72 offset0:47 offset1:48
	ds_read2_b64 v[77:80], v72 offset0:49 offset1:50
	buffer_load_dword v169, off, s[0:3], 0 offset:272
	buffer_load_dword v170, off, s[0:3], 0 offset:276
	ds_read2_b64 v[81:84], v72 offset0:51 offset1:52
	ds_read2_b64 v[85:88], v72 offset0:53 offset1:54
	;; [unrolled: 1-line block ×5, first 2 shown]
	v_cmp_lt_u32_e32 vcc, 9, v0
	s_waitcnt vmcnt(49) lgkmcnt(6)
	v_mul_f32_e32 v101, v73, v121
	s_waitcnt vmcnt(48)
	v_mul_f32_e32 v102, v75, v122
	s_waitcnt vmcnt(47) lgkmcnt(5)
	v_mul_f32_e32 v103, v77, v123
	s_waitcnt vmcnt(46)
	v_mul_f32_e32 v104, v79, v124
	;; [unrolled: 4-line block ×6, first 2 shown]
	s_waitcnt vmcnt(37)
	v_fmac_f32_e32 v101, v74, v133
	v_mul_f32_e32 v74, v74, v121
	v_fma_f32 v73, v73, v133, -v74
	v_mul_f32_e32 v74, v76, v122
	v_add_f32_e32 v73, 0, v73
	s_waitcnt vmcnt(36)
	v_fma_f32 v74, v75, v134, -v74
	v_add_f32_e32 v73, v73, v74
	v_mul_f32_e32 v74, v78, v123
	s_waitcnt vmcnt(35)
	v_fma_f32 v74, v77, v135, -v74
	v_fmac_f32_e32 v102, v76, v134
	v_add_f32_e32 v101, 0, v101
	v_add_f32_e32 v73, v73, v74
	v_mul_f32_e32 v74, v80, v124
	v_fmac_f32_e32 v103, v78, v135
	v_add_f32_e32 v101, v101, v102
	s_waitcnt vmcnt(34)
	v_fma_f32 v74, v79, v136, -v74
	v_fmac_f32_e32 v104, v80, v136
	v_add_f32_e32 v101, v101, v103
	v_add_f32_e32 v73, v73, v74
	v_mul_f32_e32 v74, v82, v125
	s_waitcnt vmcnt(33)
	v_fmac_f32_e32 v105, v82, v137
	v_add_f32_e32 v101, v101, v104
	v_fma_f32 v74, v81, v137, -v74
	s_waitcnt vmcnt(32)
	v_fmac_f32_e32 v106, v84, v138
	v_add_f32_e32 v101, v101, v105
	v_add_f32_e32 v73, v73, v74
	v_mul_f32_e32 v74, v84, v126
	s_waitcnt vmcnt(31)
	v_fmac_f32_e32 v107, v86, v139
	v_add_f32_e32 v101, v101, v106
	v_fma_f32 v74, v83, v138, -v74
	s_waitcnt vmcnt(30)
	;; [unrolled: 9-line block ×3, first 2 shown]
	v_fmac_f32_e32 v110, v92, v142
	v_add_f32_e32 v101, v101, v109
	v_add_f32_e32 v73, v73, v74
	v_mul_f32_e32 v74, v88, v128
	s_waitcnt vmcnt(27)
	v_fmac_f32_e32 v111, v94, v143
	v_add_f32_e32 v101, v101, v110
	v_fma_f32 v74, v87, v140, -v74
	v_add_f32_e32 v101, v101, v111
	s_waitcnt vmcnt(26)
	v_fmac_f32_e32 v112, v96, v144
	v_add_f32_e32 v73, v73, v74
	v_mul_f32_e32 v74, v90, v129
	v_add_f32_e32 v105, v101, v112
	ds_read2_b64 v[101:104], v72 offset0:61 offset1:62
	v_fma_f32 v74, v89, v141, -v74
	s_waitcnt vmcnt(25) lgkmcnt(1)
	v_mul_f32_e32 v106, v97, v145
	v_add_f32_e32 v73, v73, v74
	v_mul_f32_e32 v74, v92, v130
	s_waitcnt vmcnt(24)
	v_fmac_f32_e32 v106, v98, v146
	v_fma_f32 v74, v91, v142, -v74
	v_add_f32_e32 v105, v105, v106
	s_waitcnt vmcnt(23)
	v_mul_f32_e32 v106, v99, v147
	v_add_f32_e32 v73, v73, v74
	v_mul_f32_e32 v74, v94, v131
	s_waitcnt vmcnt(22)
	v_fmac_f32_e32 v106, v100, v148
	v_fma_f32 v74, v93, v143, -v74
	v_add_f32_e32 v105, v105, v106
	s_waitcnt vmcnt(21) lgkmcnt(0)
	v_mul_f32_e32 v106, v101, v149
	v_add_f32_e32 v73, v73, v74
	v_mul_f32_e32 v74, v96, v132
	s_waitcnt vmcnt(20)
	v_fmac_f32_e32 v106, v102, v150
	v_fma_f32 v74, v95, v144, -v74
	v_add_f32_e32 v109, v105, v106
	ds_read2_b64 v[105:108], v72 offset0:63 offset1:64
	v_add_f32_e32 v73, v73, v74
	v_mul_f32_e32 v74, v98, v145
	v_fma_f32 v74, v97, v146, -v74
	s_waitcnt vmcnt(19)
	v_mul_f32_e32 v110, v103, v151
	v_add_f32_e32 v73, v73, v74
	v_mul_f32_e32 v74, v100, v147
	s_waitcnt vmcnt(18)
	v_fmac_f32_e32 v110, v104, v152
	v_fma_f32 v74, v99, v148, -v74
	v_add_f32_e32 v113, v109, v110
	ds_read2_b64 v[109:112], v72 offset0:65 offset1:66
	v_add_f32_e32 v73, v73, v74
	v_mul_f32_e32 v74, v102, v149
	s_waitcnt vmcnt(17) lgkmcnt(1)
	v_mul_f32_e32 v114, v105, v153
	v_fma_f32 v74, v101, v150, -v74
	s_waitcnt vmcnt(16)
	v_fmac_f32_e32 v114, v106, v154
	v_add_f32_e32 v73, v73, v74
	v_mul_f32_e32 v74, v104, v151
	v_add_f32_e32 v113, v113, v114
	s_waitcnt vmcnt(15)
	v_mul_f32_e32 v114, v107, v155
	v_fma_f32 v74, v103, v152, -v74
	s_waitcnt vmcnt(14)
	v_fmac_f32_e32 v114, v108, v156
	v_add_f32_e32 v73, v73, v74
	v_mul_f32_e32 v74, v106, v153
	v_add_f32_e32 v113, v113, v114
	s_waitcnt vmcnt(13) lgkmcnt(0)
	v_mul_f32_e32 v114, v109, v157
	v_fma_f32 v74, v105, v154, -v74
	s_waitcnt vmcnt(12)
	v_fmac_f32_e32 v114, v110, v158
	v_add_f32_e32 v73, v73, v74
	v_mul_f32_e32 v74, v108, v155
	v_add_f32_e32 v117, v113, v114
	ds_read2_b64 v[113:116], v72 offset0:67 offset1:68
	v_fma_f32 v74, v107, v156, -v74
	v_add_f32_e32 v73, v73, v74
	v_mul_f32_e32 v74, v110, v157
	s_waitcnt vmcnt(11)
	v_mul_f32_e32 v118, v111, v159
	v_fma_f32 v74, v109, v158, -v74
	s_waitcnt vmcnt(10)
	v_fmac_f32_e32 v118, v112, v160
	v_add_f32_e32 v73, v73, v74
	v_mul_f32_e32 v74, v112, v159
	v_add_f32_e32 v171, v117, v118
	ds_read2_b64 v[117:120], v72 offset0:69 offset1:70
	v_fma_f32 v74, v111, v160, -v74
	v_add_f32_e32 v73, v73, v74
	s_waitcnt vmcnt(7) lgkmcnt(1)
	v_mul_f32_e32 v74, v114, v163
	v_mul_f32_e32 v72, v113, v163
	s_waitcnt vmcnt(6)
	v_fma_f32 v74, v113, v164, -v74
	v_fmac_f32_e32 v72, v114, v164
	v_add_f32_e32 v73, v73, v74
	s_waitcnt vmcnt(4)
	v_mul_f32_e32 v74, v116, v166
	v_add_f32_e32 v72, v171, v72
	v_mul_f32_e32 v171, v115, v166
	v_fma_f32 v74, v115, v165, -v74
	v_fmac_f32_e32 v171, v116, v165
	v_add_f32_e32 v73, v73, v74
	s_waitcnt vmcnt(2) lgkmcnt(0)
	v_mul_f32_e32 v74, v118, v168
	v_add_f32_e32 v72, v72, v171
	v_mul_f32_e32 v171, v117, v168
	v_fma_f32 v74, v117, v167, -v74
	v_fmac_f32_e32 v171, v118, v167
	v_add_f32_e32 v73, v73, v74
	s_waitcnt vmcnt(0)
	v_mul_f32_e32 v74, v120, v170
	v_add_f32_e32 v72, v72, v171
	v_mul_f32_e32 v171, v119, v170
	v_fma_f32 v74, v119, v169, -v74
	v_fmac_f32_e32 v171, v120, v169
	v_add_f32_e32 v73, v73, v74
	v_add_f32_e32 v72, v72, v171
	v_sub_f32_e32 v73, v161, v73
	v_sub_f32_e32 v72, v162, v72
	buffer_store_dword v73, off, s[0:3], 0 offset:80
	buffer_store_dword v72, off, s[0:3], 0 offset:84
	s_and_saveexec_b64 s[4:5], vcc
	s_cbranch_execz .LBB34_205
; %bb.204:
	buffer_load_dword v72, off, s[0:3], 0 offset:72
	buffer_load_dword v73, off, s[0:3], 0 offset:76
	v_mov_b32_e32 v74, 0
	buffer_store_dword v74, off, s[0:3], 0 offset:72
	buffer_store_dword v74, off, s[0:3], 0 offset:76
	s_waitcnt vmcnt(2)
	ds_write_b64 v71, v[72:73]
.LBB34_205:
	s_or_b64 exec, exec, s[4:5]
	s_waitcnt lgkmcnt(0)
	; wave barrier
	buffer_load_dword v123, off, s[0:3], 0 offset:84
	buffer_load_dword v124, off, s[0:3], 0 offset:92
	;; [unrolled: 1-line block ×52, first 2 shown]
	v_mov_b32_e32 v72, 0
	ds_read_b128 v[73:76], v72 offset:368
	ds_read_b128 v[77:80], v72 offset:384
	;; [unrolled: 1-line block ×6, first 2 shown]
	v_cmp_lt_u32_e32 vcc, 8, v0
	s_waitcnt vmcnt(51) lgkmcnt(5)
	v_mul_f32_e32 v97, v73, v123
	s_waitcnt vmcnt(50)
	v_mul_f32_e32 v98, v75, v124
	s_waitcnt vmcnt(49) lgkmcnt(4)
	v_mul_f32_e32 v99, v77, v125
	s_waitcnt vmcnt(48)
	v_mul_f32_e32 v100, v79, v126
	s_waitcnt vmcnt(47) lgkmcnt(3)
	v_mul_f32_e32 v101, v81, v127
	s_waitcnt vmcnt(46)
	v_mul_f32_e32 v102, v83, v128
	s_waitcnt vmcnt(45) lgkmcnt(2)
	v_mul_f32_e32 v103, v85, v129
	s_waitcnt vmcnt(44)
	v_mul_f32_e32 v104, v87, v130
	s_waitcnt vmcnt(43) lgkmcnt(1)
	v_mul_f32_e32 v105, v89, v131
	s_waitcnt vmcnt(42)
	v_mul_f32_e32 v106, v91, v132
	s_waitcnt vmcnt(41) lgkmcnt(0)
	v_mul_f32_e32 v107, v93, v133
	s_waitcnt vmcnt(40)
	v_fmac_f32_e32 v97, v74, v134
	v_mul_f32_e32 v74, v74, v123
	s_waitcnt vmcnt(39)
	v_fmac_f32_e32 v98, v76, v135
	v_add_f32_e32 v97, 0, v97
	v_fma_f32 v73, v73, v134, -v74
	v_mul_f32_e32 v74, v76, v124
	s_waitcnt vmcnt(38)
	v_fmac_f32_e32 v99, v78, v136
	v_add_f32_e32 v97, v97, v98
	v_add_f32_e32 v73, 0, v73
	v_fma_f32 v74, v75, v135, -v74
	s_waitcnt vmcnt(37)
	v_fmac_f32_e32 v100, v80, v137
	v_add_f32_e32 v97, v97, v99
	v_add_f32_e32 v73, v73, v74
	v_mul_f32_e32 v74, v78, v125
	s_waitcnt vmcnt(36)
	v_fmac_f32_e32 v101, v82, v138
	v_add_f32_e32 v97, v97, v100
	v_fma_f32 v74, v77, v136, -v74
	s_waitcnt vmcnt(35)
	v_fmac_f32_e32 v102, v84, v139
	v_add_f32_e32 v97, v97, v101
	v_add_f32_e32 v73, v73, v74
	v_mul_f32_e32 v74, v80, v126
	s_waitcnt vmcnt(34)
	v_fmac_f32_e32 v103, v86, v140
	;; [unrolled: 9-line block ×3, first 2 shown]
	v_add_f32_e32 v97, v97, v104
	v_fma_f32 v74, v81, v138, -v74
	s_waitcnt vmcnt(31)
	v_fmac_f32_e32 v106, v92, v143
	v_add_f32_e32 v97, v97, v105
	v_add_f32_e32 v73, v73, v74
	v_mul_f32_e32 v74, v84, v128
	v_add_f32_e32 v97, v97, v106
	s_waitcnt vmcnt(30)
	v_fmac_f32_e32 v107, v94, v144
	v_fma_f32 v74, v83, v139, -v74
	v_add_f32_e32 v101, v97, v107
	ds_read_b128 v[97:100], v72 offset:464
	v_add_f32_e32 v73, v73, v74
	v_mul_f32_e32 v74, v86, v129
	v_fma_f32 v74, v85, v140, -v74
	s_waitcnt vmcnt(29)
	v_mul_f32_e32 v102, v95, v145
	v_add_f32_e32 v73, v73, v74
	v_mul_f32_e32 v74, v88, v130
	s_waitcnt vmcnt(28)
	v_fmac_f32_e32 v102, v96, v146
	v_fma_f32 v74, v87, v141, -v74
	v_add_f32_e32 v105, v101, v102
	ds_read_b128 v[101:104], v72 offset:480
	v_add_f32_e32 v73, v73, v74
	v_mul_f32_e32 v74, v90, v131
	s_waitcnt vmcnt(27) lgkmcnt(1)
	v_mul_f32_e32 v106, v97, v147
	v_fma_f32 v74, v89, v142, -v74
	s_waitcnt vmcnt(26)
	v_fmac_f32_e32 v106, v98, v148
	v_add_f32_e32 v73, v73, v74
	v_mul_f32_e32 v74, v92, v132
	v_add_f32_e32 v105, v105, v106
	s_waitcnt vmcnt(25)
	v_mul_f32_e32 v106, v99, v149
	v_fma_f32 v74, v91, v143, -v74
	s_waitcnt vmcnt(24)
	v_fmac_f32_e32 v106, v100, v150
	v_add_f32_e32 v73, v73, v74
	v_mul_f32_e32 v74, v94, v133
	v_add_f32_e32 v105, v105, v106
	s_waitcnt vmcnt(23) lgkmcnt(0)
	v_mul_f32_e32 v106, v101, v151
	v_fma_f32 v74, v93, v144, -v74
	s_waitcnt vmcnt(22)
	v_fmac_f32_e32 v106, v102, v152
	v_add_f32_e32 v73, v73, v74
	v_mul_f32_e32 v74, v96, v145
	v_add_f32_e32 v109, v105, v106
	ds_read_b128 v[105:108], v72 offset:496
	v_fma_f32 v74, v95, v146, -v74
	v_add_f32_e32 v73, v73, v74
	v_mul_f32_e32 v74, v98, v147
	s_waitcnt vmcnt(21)
	v_mul_f32_e32 v110, v103, v153
	v_fma_f32 v74, v97, v148, -v74
	s_waitcnt vmcnt(20)
	v_fmac_f32_e32 v110, v104, v154
	v_add_f32_e32 v73, v73, v74
	v_mul_f32_e32 v74, v100, v149
	v_add_f32_e32 v113, v109, v110
	ds_read_b128 v[109:112], v72 offset:512
	v_fma_f32 v74, v99, v150, -v74
	s_waitcnt vmcnt(19) lgkmcnt(1)
	v_mul_f32_e32 v114, v105, v155
	v_add_f32_e32 v73, v73, v74
	v_mul_f32_e32 v74, v102, v151
	s_waitcnt vmcnt(18)
	v_fmac_f32_e32 v114, v106, v156
	v_fma_f32 v74, v101, v152, -v74
	v_add_f32_e32 v113, v113, v114
	s_waitcnt vmcnt(17)
	v_mul_f32_e32 v114, v107, v157
	v_add_f32_e32 v73, v73, v74
	v_mul_f32_e32 v74, v104, v153
	s_waitcnt vmcnt(16)
	v_fmac_f32_e32 v114, v108, v158
	v_fma_f32 v74, v103, v154, -v74
	v_add_f32_e32 v113, v113, v114
	s_waitcnt vmcnt(14) lgkmcnt(0)
	v_mul_f32_e32 v114, v109, v160
	v_add_f32_e32 v73, v73, v74
	v_mul_f32_e32 v74, v106, v155
	v_fmac_f32_e32 v114, v110, v159
	v_fma_f32 v74, v105, v156, -v74
	v_add_f32_e32 v117, v113, v114
	ds_read_b128 v[113:116], v72 offset:528
	v_add_f32_e32 v73, v73, v74
	v_mul_f32_e32 v74, v108, v157
	v_fma_f32 v74, v107, v158, -v74
	v_add_f32_e32 v73, v73, v74
	v_mul_f32_e32 v74, v110, v160
	s_waitcnt vmcnt(11)
	v_mul_f32_e32 v118, v111, v163
	v_fma_f32 v74, v109, v159, -v74
	s_waitcnt vmcnt(10)
	v_fmac_f32_e32 v118, v112, v164
	v_add_f32_e32 v73, v73, v74
	v_mul_f32_e32 v74, v112, v163
	v_add_f32_e32 v121, v117, v118
	ds_read_b128 v[117:120], v72 offset:544
	s_waitcnt vmcnt(8) lgkmcnt(1)
	v_mul_f32_e32 v122, v113, v166
	v_fma_f32 v74, v111, v164, -v74
	v_fmac_f32_e32 v122, v114, v165
	v_add_f32_e32 v73, v73, v74
	v_mul_f32_e32 v74, v114, v166
	v_add_f32_e32 v121, v121, v122
	s_waitcnt vmcnt(6)
	v_mul_f32_e32 v122, v115, v168
	v_fma_f32 v74, v113, v165, -v74
	v_fmac_f32_e32 v122, v116, v167
	v_add_f32_e32 v73, v73, v74
	v_mul_f32_e32 v74, v116, v168
	v_add_f32_e32 v175, v121, v122
	ds_read_b64 v[121:122], v72 offset:560
	v_fma_f32 v74, v115, v167, -v74
	v_add_f32_e32 v73, v73, v74
	s_waitcnt vmcnt(4) lgkmcnt(1)
	v_mul_f32_e32 v74, v118, v170
	v_mul_f32_e32 v176, v117, v170
	v_fma_f32 v74, v117, v169, -v74
	v_fmac_f32_e32 v176, v118, v169
	v_add_f32_e32 v73, v73, v74
	s_waitcnt vmcnt(2)
	v_mul_f32_e32 v74, v120, v172
	v_add_f32_e32 v175, v175, v176
	v_mul_f32_e32 v176, v119, v172
	v_fma_f32 v74, v119, v171, -v74
	v_fmac_f32_e32 v176, v120, v171
	v_add_f32_e32 v73, v73, v74
	s_waitcnt vmcnt(0) lgkmcnt(0)
	v_mul_f32_e32 v74, v122, v174
	v_add_f32_e32 v175, v175, v176
	v_mul_f32_e32 v176, v121, v174
	v_fma_f32 v74, v121, v173, -v74
	v_fmac_f32_e32 v176, v122, v173
	v_add_f32_e32 v73, v73, v74
	v_add_f32_e32 v175, v175, v176
	v_sub_f32_e32 v73, v161, v73
	v_sub_f32_e32 v74, v162, v175
	buffer_store_dword v73, off, s[0:3], 0 offset:72
	buffer_store_dword v74, off, s[0:3], 0 offset:76
	s_and_saveexec_b64 s[4:5], vcc
	s_cbranch_execz .LBB34_207
; %bb.206:
	buffer_load_dword v73, off, s[0:3], 0 offset:64
	buffer_load_dword v74, off, s[0:3], 0 offset:68
	s_waitcnt vmcnt(0)
	ds_write_b64 v71, v[73:74]
	buffer_store_dword v72, off, s[0:3], 0 offset:64
	buffer_store_dword v72, off, s[0:3], 0 offset:68
.LBB34_207:
	s_or_b64 exec, exec, s[4:5]
	s_waitcnt lgkmcnt(0)
	; wave barrier
	buffer_load_dword v125, off, s[0:3], 0 offset:76
	buffer_load_dword v126, off, s[0:3], 0 offset:84
	;; [unrolled: 1-line block ×42, first 2 shown]
	ds_read2_b64 v[73:76], v72 offset0:45 offset1:46
	ds_read2_b64 v[77:80], v72 offset0:47 offset1:48
	;; [unrolled: 1-line block ×4, first 2 shown]
	buffer_load_dword v167, off, s[0:3], 0 offset:236
	buffer_load_dword v168, off, s[0:3], 0 offset:232
	buffer_load_dword v169, off, s[0:3], 0 offset:240
	buffer_load_dword v170, off, s[0:3], 0 offset:244
	buffer_load_dword v171, off, s[0:3], 0 offset:248
	buffer_load_dword v172, off, s[0:3], 0 offset:252
	ds_read2_b64 v[89:92], v72 offset0:53 offset1:54
	ds_read2_b64 v[93:96], v72 offset0:55 offset1:56
	buffer_load_dword v173, off, s[0:3], 0 offset:256
	buffer_load_dword v174, off, s[0:3], 0 offset:260
	;; [unrolled: 1-line block ×6, first 2 shown]
	v_cmp_lt_u32_e32 vcc, 7, v0
	s_waitcnt vmcnt(53) lgkmcnt(5)
	v_mul_f32_e32 v97, v73, v125
	s_waitcnt vmcnt(52)
	v_mul_f32_e32 v98, v75, v126
	s_waitcnt vmcnt(51) lgkmcnt(4)
	v_mul_f32_e32 v99, v77, v127
	s_waitcnt vmcnt(50)
	v_mul_f32_e32 v100, v79, v128
	;; [unrolled: 4-line block ×5, first 2 shown]
	s_waitcnt vmcnt(43)
	v_fmac_f32_e32 v97, v74, v135
	v_mul_f32_e32 v74, v74, v125
	s_waitcnt vmcnt(42)
	v_fmac_f32_e32 v98, v76, v136
	v_add_f32_e32 v97, 0, v97
	v_fma_f32 v73, v73, v135, -v74
	v_mul_f32_e32 v74, v76, v126
	s_waitcnt vmcnt(41)
	v_fmac_f32_e32 v99, v78, v137
	v_add_f32_e32 v97, v97, v98
	v_add_f32_e32 v73, 0, v73
	v_fma_f32 v74, v75, v136, -v74
	s_waitcnt vmcnt(40)
	v_fmac_f32_e32 v100, v80, v138
	v_add_f32_e32 v97, v97, v99
	v_add_f32_e32 v73, v73, v74
	v_mul_f32_e32 v74, v78, v127
	s_waitcnt vmcnt(39)
	v_fmac_f32_e32 v101, v82, v139
	v_add_f32_e32 v97, v97, v100
	v_fma_f32 v74, v77, v137, -v74
	s_waitcnt vmcnt(38)
	v_fmac_f32_e32 v102, v84, v140
	v_add_f32_e32 v97, v97, v101
	v_add_f32_e32 v73, v73, v74
	v_mul_f32_e32 v74, v80, v128
	s_waitcnt vmcnt(37)
	v_fmac_f32_e32 v103, v86, v141
	;; [unrolled: 9-line block ×3, first 2 shown]
	v_add_f32_e32 v97, v97, v104
	v_fma_f32 v74, v81, v139, -v74
	s_waitcnt vmcnt(34)
	v_fmac_f32_e32 v106, v92, v144
	v_add_f32_e32 v97, v97, v105
	s_waitcnt vmcnt(33) lgkmcnt(0)
	v_mul_f32_e32 v98, v93, v145
	v_add_f32_e32 v73, v73, v74
	v_mul_f32_e32 v74, v84, v130
	v_add_f32_e32 v97, v97, v106
	s_waitcnt vmcnt(32)
	v_fmac_f32_e32 v98, v94, v146
	v_fma_f32 v74, v83, v140, -v74
	v_add_f32_e32 v101, v97, v98
	ds_read2_b64 v[97:100], v72 offset0:57 offset1:58
	v_add_f32_e32 v73, v73, v74
	v_mul_f32_e32 v74, v86, v131
	v_fma_f32 v74, v85, v141, -v74
	s_waitcnt vmcnt(31)
	v_mul_f32_e32 v102, v95, v147
	v_add_f32_e32 v73, v73, v74
	v_mul_f32_e32 v74, v88, v132
	s_waitcnt vmcnt(30)
	v_fmac_f32_e32 v102, v96, v148
	v_fma_f32 v74, v87, v142, -v74
	v_add_f32_e32 v105, v101, v102
	ds_read2_b64 v[101:104], v72 offset0:59 offset1:60
	v_add_f32_e32 v73, v73, v74
	v_mul_f32_e32 v74, v90, v133
	s_waitcnt vmcnt(29) lgkmcnt(1)
	v_mul_f32_e32 v106, v97, v149
	v_fma_f32 v74, v89, v143, -v74
	s_waitcnt vmcnt(28)
	v_fmac_f32_e32 v106, v98, v150
	v_add_f32_e32 v73, v73, v74
	v_mul_f32_e32 v74, v92, v134
	v_add_f32_e32 v105, v105, v106
	s_waitcnt vmcnt(27)
	v_mul_f32_e32 v106, v99, v151
	v_fma_f32 v74, v91, v144, -v74
	s_waitcnt vmcnt(26)
	v_fmac_f32_e32 v106, v100, v152
	v_add_f32_e32 v73, v73, v74
	v_mul_f32_e32 v74, v94, v145
	v_add_f32_e32 v105, v105, v106
	s_waitcnt vmcnt(25) lgkmcnt(0)
	v_mul_f32_e32 v106, v101, v153
	v_fma_f32 v74, v93, v146, -v74
	s_waitcnt vmcnt(24)
	v_fmac_f32_e32 v106, v102, v154
	v_add_f32_e32 v73, v73, v74
	v_mul_f32_e32 v74, v96, v147
	v_add_f32_e32 v109, v105, v106
	ds_read2_b64 v[105:108], v72 offset0:61 offset1:62
	v_fma_f32 v74, v95, v148, -v74
	v_add_f32_e32 v73, v73, v74
	v_mul_f32_e32 v74, v98, v149
	s_waitcnt vmcnt(23)
	v_mul_f32_e32 v110, v103, v155
	v_fma_f32 v74, v97, v150, -v74
	s_waitcnt vmcnt(22)
	v_fmac_f32_e32 v110, v104, v156
	v_add_f32_e32 v73, v73, v74
	v_mul_f32_e32 v74, v100, v151
	v_add_f32_e32 v113, v109, v110
	ds_read2_b64 v[109:112], v72 offset0:63 offset1:64
	v_fma_f32 v74, v99, v152, -v74
	s_waitcnt vmcnt(21) lgkmcnt(1)
	v_mul_f32_e32 v114, v105, v157
	v_add_f32_e32 v73, v73, v74
	v_mul_f32_e32 v74, v102, v153
	s_waitcnt vmcnt(20)
	v_fmac_f32_e32 v114, v106, v158
	v_fma_f32 v74, v101, v154, -v74
	v_add_f32_e32 v113, v113, v114
	s_waitcnt vmcnt(18)
	v_mul_f32_e32 v114, v107, v160
	v_add_f32_e32 v73, v73, v74
	v_mul_f32_e32 v74, v104, v155
	v_fmac_f32_e32 v114, v108, v159
	v_fma_f32 v74, v103, v156, -v74
	v_add_f32_e32 v113, v113, v114
	s_waitcnt vmcnt(15) lgkmcnt(0)
	v_mul_f32_e32 v114, v109, v163
	v_add_f32_e32 v73, v73, v74
	v_mul_f32_e32 v74, v106, v157
	s_waitcnt vmcnt(14)
	v_fmac_f32_e32 v114, v110, v164
	v_fma_f32 v74, v105, v158, -v74
	v_add_f32_e32 v117, v113, v114
	ds_read2_b64 v[113:116], v72 offset0:65 offset1:66
	v_add_f32_e32 v73, v73, v74
	v_mul_f32_e32 v74, v108, v160
	v_fma_f32 v74, v107, v159, -v74
	v_add_f32_e32 v73, v73, v74
	v_mul_f32_e32 v74, v110, v163
	s_waitcnt vmcnt(12)
	v_mul_f32_e32 v118, v111, v166
	v_fma_f32 v74, v109, v164, -v74
	v_fmac_f32_e32 v118, v112, v165
	v_add_f32_e32 v73, v73, v74
	v_mul_f32_e32 v74, v112, v166
	v_add_f32_e32 v121, v117, v118
	ds_read2_b64 v[117:120], v72 offset0:67 offset1:68
	s_waitcnt vmcnt(11) lgkmcnt(1)
	v_mul_f32_e32 v122, v113, v167
	v_fma_f32 v74, v111, v165, -v74
	s_waitcnt vmcnt(10)
	v_fmac_f32_e32 v122, v114, v168
	v_add_f32_e32 v73, v73, v74
	v_mul_f32_e32 v74, v114, v167
	v_add_f32_e32 v121, v121, v122
	s_waitcnt vmcnt(8)
	v_mul_f32_e32 v122, v115, v170
	v_fma_f32 v74, v113, v168, -v74
	v_fmac_f32_e32 v122, v116, v169
	v_add_f32_e32 v73, v73, v74
	v_mul_f32_e32 v74, v116, v170
	v_add_f32_e32 v179, v121, v122
	ds_read2_b64 v[121:124], v72 offset0:69 offset1:70
	v_fma_f32 v74, v115, v169, -v74
	v_add_f32_e32 v73, v73, v74
	s_waitcnt vmcnt(6) lgkmcnt(1)
	v_mul_f32_e32 v74, v118, v172
	v_mul_f32_e32 v180, v117, v172
	v_fma_f32 v74, v117, v171, -v74
	v_fmac_f32_e32 v180, v118, v171
	v_add_f32_e32 v73, v73, v74
	s_waitcnt vmcnt(4)
	v_mul_f32_e32 v74, v120, v174
	v_add_f32_e32 v72, v179, v180
	v_mul_f32_e32 v179, v119, v174
	v_fma_f32 v74, v119, v173, -v74
	v_fmac_f32_e32 v179, v120, v173
	v_add_f32_e32 v73, v73, v74
	s_waitcnt vmcnt(2) lgkmcnt(0)
	v_mul_f32_e32 v74, v122, v176
	v_add_f32_e32 v72, v72, v179
	v_mul_f32_e32 v179, v121, v176
	v_fma_f32 v74, v121, v175, -v74
	v_fmac_f32_e32 v179, v122, v175
	v_add_f32_e32 v73, v73, v74
	s_waitcnt vmcnt(0)
	v_mul_f32_e32 v74, v124, v178
	v_add_f32_e32 v72, v72, v179
	v_mul_f32_e32 v179, v123, v178
	v_fma_f32 v74, v123, v177, -v74
	v_fmac_f32_e32 v179, v124, v177
	v_add_f32_e32 v73, v73, v74
	v_add_f32_e32 v72, v72, v179
	v_sub_f32_e32 v73, v161, v73
	v_sub_f32_e32 v72, v162, v72
	buffer_store_dword v73, off, s[0:3], 0 offset:64
	buffer_store_dword v72, off, s[0:3], 0 offset:68
	s_and_saveexec_b64 s[4:5], vcc
	s_cbranch_execz .LBB34_209
; %bb.208:
	buffer_load_dword v72, off, s[0:3], 0 offset:56
	buffer_load_dword v73, off, s[0:3], 0 offset:60
	v_mov_b32_e32 v74, 0
	buffer_store_dword v74, off, s[0:3], 0 offset:56
	buffer_store_dword v74, off, s[0:3], 0 offset:60
	s_waitcnt vmcnt(2)
	ds_write_b64 v71, v[72:73]
.LBB34_209:
	s_or_b64 exec, exec, s[4:5]
	s_waitcnt lgkmcnt(0)
	; wave barrier
	buffer_load_dword v127, off, s[0:3], 0 offset:68
	buffer_load_dword v128, off, s[0:3], 0 offset:76
	;; [unrolled: 1-line block ×56, first 2 shown]
	v_mov_b32_e32 v72, 0
	ds_read_b128 v[73:76], v72 offset:352
	ds_read_b128 v[77:80], v72 offset:368
	ds_read_b128 v[81:84], v72 offset:384
	ds_read_b128 v[85:88], v72 offset:400
	ds_read_b128 v[89:92], v72 offset:416
	ds_read_b128 v[93:96], v72 offset:432
	v_cmp_lt_u32_e32 vcc, 6, v0
	s_waitcnt vmcnt(55) lgkmcnt(5)
	v_mul_f32_e32 v97, v73, v127
	s_waitcnt vmcnt(54)
	v_mul_f32_e32 v98, v75, v128
	s_waitcnt vmcnt(53) lgkmcnt(4)
	v_mul_f32_e32 v99, v77, v129
	s_waitcnt vmcnt(52)
	v_mul_f32_e32 v100, v79, v130
	;; [unrolled: 4-line block ×4, first 2 shown]
	s_waitcnt vmcnt(47) lgkmcnt(1)
	v_mul_f32_e32 v105, v89, v135
	s_waitcnt vmcnt(46)
	v_fmac_f32_e32 v97, v74, v136
	s_waitcnt vmcnt(45)
	v_fmac_f32_e32 v98, v76, v137
	v_add_f32_e32 v97, 0, v97
	s_waitcnt vmcnt(44)
	v_fmac_f32_e32 v99, v78, v138
	v_add_f32_e32 v97, v97, v98
	;; [unrolled: 3-line block ×3, first 2 shown]
	v_mul_f32_e32 v74, v74, v127
	s_waitcnt vmcnt(42)
	v_fmac_f32_e32 v101, v82, v140
	v_add_f32_e32 v97, v97, v100
	v_fma_f32 v73, v73, v136, -v74
	v_mul_f32_e32 v74, v76, v128
	s_waitcnt vmcnt(41)
	v_fmac_f32_e32 v102, v84, v141
	v_add_f32_e32 v97, v97, v101
	v_add_f32_e32 v73, 0, v73
	v_fma_f32 v74, v75, v137, -v74
	s_waitcnt vmcnt(40)
	v_fmac_f32_e32 v103, v86, v142
	v_add_f32_e32 v97, v97, v102
	v_add_f32_e32 v73, v73, v74
	v_mul_f32_e32 v74, v78, v129
	s_waitcnt vmcnt(39)
	v_fmac_f32_e32 v104, v88, v143
	v_add_f32_e32 v97, v97, v103
	v_fma_f32 v74, v77, v138, -v74
	v_add_f32_e32 v97, v97, v104
	s_waitcnt vmcnt(38)
	v_fmac_f32_e32 v105, v90, v144
	s_waitcnt vmcnt(37)
	v_mul_f32_e32 v98, v91, v145
	v_add_f32_e32 v73, v73, v74
	v_mul_f32_e32 v74, v80, v130
	v_add_f32_e32 v97, v97, v105
	s_waitcnt vmcnt(36)
	v_fmac_f32_e32 v98, v92, v146
	v_fma_f32 v74, v79, v139, -v74
	v_add_f32_e32 v97, v97, v98
	s_waitcnt vmcnt(35) lgkmcnt(0)
	v_mul_f32_e32 v98, v93, v147
	v_add_f32_e32 v73, v73, v74
	v_mul_f32_e32 v74, v82, v131
	s_waitcnt vmcnt(34)
	v_fmac_f32_e32 v98, v94, v148
	v_fma_f32 v74, v81, v140, -v74
	v_add_f32_e32 v101, v97, v98
	ds_read_b128 v[97:100], v72 offset:448
	v_add_f32_e32 v73, v73, v74
	v_mul_f32_e32 v74, v84, v132
	v_fma_f32 v74, v83, v141, -v74
	s_waitcnt vmcnt(33)
	v_mul_f32_e32 v102, v95, v149
	v_add_f32_e32 v73, v73, v74
	v_mul_f32_e32 v74, v86, v133
	s_waitcnt vmcnt(32)
	v_fmac_f32_e32 v102, v96, v150
	v_fma_f32 v74, v85, v142, -v74
	v_add_f32_e32 v105, v101, v102
	ds_read_b128 v[101:104], v72 offset:464
	v_add_f32_e32 v73, v73, v74
	v_mul_f32_e32 v74, v88, v134
	s_waitcnt vmcnt(31) lgkmcnt(1)
	v_mul_f32_e32 v106, v97, v151
	v_fma_f32 v74, v87, v143, -v74
	s_waitcnt vmcnt(30)
	v_fmac_f32_e32 v106, v98, v152
	v_add_f32_e32 v73, v73, v74
	v_mul_f32_e32 v74, v90, v135
	v_add_f32_e32 v105, v105, v106
	s_waitcnt vmcnt(29)
	v_mul_f32_e32 v106, v99, v153
	v_fma_f32 v74, v89, v144, -v74
	s_waitcnt vmcnt(28)
	v_fmac_f32_e32 v106, v100, v154
	v_add_f32_e32 v73, v73, v74
	v_mul_f32_e32 v74, v92, v145
	v_add_f32_e32 v105, v105, v106
	s_waitcnt vmcnt(27) lgkmcnt(0)
	v_mul_f32_e32 v106, v101, v155
	v_fma_f32 v74, v91, v146, -v74
	s_waitcnt vmcnt(26)
	v_fmac_f32_e32 v106, v102, v156
	v_add_f32_e32 v73, v73, v74
	v_mul_f32_e32 v74, v94, v147
	v_add_f32_e32 v109, v105, v106
	ds_read_b128 v[105:108], v72 offset:480
	v_fma_f32 v74, v93, v148, -v74
	v_add_f32_e32 v73, v73, v74
	v_mul_f32_e32 v74, v96, v149
	s_waitcnt vmcnt(24)
	v_mul_f32_e32 v110, v103, v158
	v_fma_f32 v74, v95, v150, -v74
	v_fmac_f32_e32 v110, v104, v157
	v_add_f32_e32 v73, v73, v74
	v_mul_f32_e32 v74, v98, v151
	v_add_f32_e32 v113, v109, v110
	ds_read_b128 v[109:112], v72 offset:496
	v_fma_f32 v74, v97, v152, -v74
	s_waitcnt vmcnt(21) lgkmcnt(1)
	v_mul_f32_e32 v114, v105, v161
	v_add_f32_e32 v73, v73, v74
	v_mul_f32_e32 v74, v100, v153
	s_waitcnt vmcnt(20)
	v_fmac_f32_e32 v114, v106, v162
	v_fma_f32 v74, v99, v154, -v74
	v_add_f32_e32 v113, v113, v114
	s_waitcnt vmcnt(18)
	v_mul_f32_e32 v114, v107, v164
	v_add_f32_e32 v73, v73, v74
	v_mul_f32_e32 v74, v102, v155
	v_fmac_f32_e32 v114, v108, v163
	v_fma_f32 v74, v101, v156, -v74
	v_add_f32_e32 v113, v113, v114
	s_waitcnt vmcnt(16) lgkmcnt(0)
	v_mul_f32_e32 v114, v109, v166
	v_add_f32_e32 v73, v73, v74
	v_mul_f32_e32 v74, v104, v158
	v_fmac_f32_e32 v114, v110, v165
	v_fma_f32 v74, v103, v157, -v74
	v_add_f32_e32 v117, v113, v114
	ds_read_b128 v[113:116], v72 offset:512
	v_add_f32_e32 v73, v73, v74
	v_mul_f32_e32 v74, v106, v161
	v_fma_f32 v74, v105, v162, -v74
	s_waitcnt vmcnt(14)
	v_mul_f32_e32 v118, v111, v168
	v_add_f32_e32 v73, v73, v74
	v_mul_f32_e32 v74, v108, v164
	v_fmac_f32_e32 v118, v112, v167
	v_fma_f32 v74, v107, v163, -v74
	v_add_f32_e32 v121, v117, v118
	ds_read_b128 v[117:120], v72 offset:528
	v_add_f32_e32 v73, v73, v74
	v_mul_f32_e32 v74, v110, v166
	s_waitcnt vmcnt(12) lgkmcnt(1)
	v_mul_f32_e32 v122, v113, v170
	v_fma_f32 v74, v109, v165, -v74
	v_fmac_f32_e32 v122, v114, v169
	v_add_f32_e32 v73, v73, v74
	v_mul_f32_e32 v74, v112, v168
	v_add_f32_e32 v121, v121, v122
	s_waitcnt vmcnt(10)
	v_mul_f32_e32 v122, v115, v172
	v_fma_f32 v74, v111, v167, -v74
	v_fmac_f32_e32 v122, v116, v171
	v_add_f32_e32 v73, v73, v74
	v_mul_f32_e32 v74, v114, v170
	v_add_f32_e32 v121, v121, v122
	s_waitcnt vmcnt(8) lgkmcnt(0)
	v_mul_f32_e32 v122, v117, v174
	v_fma_f32 v74, v113, v169, -v74
	v_fmac_f32_e32 v122, v118, v173
	v_add_f32_e32 v73, v73, v74
	v_mul_f32_e32 v74, v116, v172
	v_add_f32_e32 v125, v121, v122
	ds_read_b128 v[121:124], v72 offset:544
	v_fma_f32 v74, v115, v171, -v74
	v_add_f32_e32 v73, v73, v74
	v_mul_f32_e32 v74, v118, v174
	s_waitcnt vmcnt(6)
	v_mul_f32_e32 v126, v119, v176
	v_fma_f32 v74, v117, v173, -v74
	v_fmac_f32_e32 v126, v120, v175
	v_add_f32_e32 v73, v73, v74
	v_mul_f32_e32 v74, v120, v176
	v_add_f32_e32 v183, v125, v126
	ds_read_b64 v[125:126], v72 offset:560
	v_fma_f32 v74, v119, v175, -v74
	v_add_f32_e32 v73, v73, v74
	s_waitcnt vmcnt(4) lgkmcnt(1)
	v_mul_f32_e32 v74, v122, v178
	v_mul_f32_e32 v184, v121, v178
	v_fma_f32 v74, v121, v177, -v74
	v_fmac_f32_e32 v184, v122, v177
	v_add_f32_e32 v73, v73, v74
	s_waitcnt vmcnt(2)
	v_mul_f32_e32 v74, v124, v180
	v_add_f32_e32 v183, v183, v184
	v_mul_f32_e32 v184, v123, v180
	v_fma_f32 v74, v123, v179, -v74
	v_fmac_f32_e32 v184, v124, v179
	v_add_f32_e32 v73, v73, v74
	s_waitcnt vmcnt(0) lgkmcnt(0)
	v_mul_f32_e32 v74, v126, v182
	v_add_f32_e32 v183, v183, v184
	v_mul_f32_e32 v184, v125, v182
	v_fma_f32 v74, v125, v181, -v74
	v_fmac_f32_e32 v184, v126, v181
	v_add_f32_e32 v73, v73, v74
	v_add_f32_e32 v183, v183, v184
	v_sub_f32_e32 v73, v159, v73
	v_sub_f32_e32 v74, v160, v183
	buffer_store_dword v73, off, s[0:3], 0 offset:56
	buffer_store_dword v74, off, s[0:3], 0 offset:60
	s_and_saveexec_b64 s[4:5], vcc
	s_cbranch_execz .LBB34_211
; %bb.210:
	buffer_load_dword v73, off, s[0:3], 0 offset:48
	buffer_load_dword v74, off, s[0:3], 0 offset:52
	s_waitcnt vmcnt(0)
	ds_write_b64 v71, v[73:74]
	buffer_store_dword v72, off, s[0:3], 0 offset:48
	buffer_store_dword v72, off, s[0:3], 0 offset:52
.LBB34_211:
	s_or_b64 exec, exec, s[4:5]
	s_waitcnt lgkmcnt(0)
	; wave barrier
	buffer_load_dword v129, off, s[0:3], 0 offset:60
	buffer_load_dword v130, off, s[0:3], 0 offset:68
	;; [unrolled: 1-line block ×34, first 2 shown]
	ds_read2_b64 v[73:76], v72 offset0:43 offset1:44
	ds_read2_b64 v[77:80], v72 offset0:45 offset1:46
	buffer_load_dword v163, off, s[0:3], 0 offset:188
	buffer_load_dword v164, off, s[0:3], 0 offset:184
	;; [unrolled: 1-line block ×6, first 2 shown]
	ds_read2_b64 v[81:84], v72 offset0:47 offset1:48
	ds_read2_b64 v[85:88], v72 offset0:49 offset1:50
	;; [unrolled: 1-line block ×4, first 2 shown]
	buffer_load_dword v169, off, s[0:3], 0 offset:212
	buffer_load_dword v170, off, s[0:3], 0 offset:208
	;; [unrolled: 1-line block ×18, first 2 shown]
	v_cmp_lt_u32_e32 vcc, 5, v0
	s_waitcnt vmcnt(57) lgkmcnt(5)
	v_mul_f32_e32 v97, v73, v129
	s_waitcnt vmcnt(56)
	v_mul_f32_e32 v98, v75, v130
	s_waitcnt vmcnt(55) lgkmcnt(4)
	v_mul_f32_e32 v99, v77, v131
	s_waitcnt vmcnt(54)
	v_mul_f32_e32 v100, v79, v132
	;; [unrolled: 4-line block ×4, first 2 shown]
	s_waitcnt vmcnt(49)
	v_fmac_f32_e32 v97, v74, v137
	s_waitcnt vmcnt(48)
	v_fmac_f32_e32 v98, v76, v138
	v_add_f32_e32 v97, 0, v97
	s_waitcnt vmcnt(47)
	v_fmac_f32_e32 v99, v78, v139
	v_add_f32_e32 v97, v97, v98
	;; [unrolled: 3-line block ×4, first 2 shown]
	v_mul_f32_e32 v74, v74, v129
	s_waitcnt vmcnt(44)
	v_fmac_f32_e32 v102, v84, v142
	v_add_f32_e32 v97, v97, v101
	v_fma_f32 v73, v73, v137, -v74
	v_mul_f32_e32 v74, v76, v130
	s_waitcnt vmcnt(43)
	v_fmac_f32_e32 v103, v86, v143
	v_add_f32_e32 v97, v97, v102
	v_add_f32_e32 v73, 0, v73
	v_fma_f32 v74, v75, v138, -v74
	s_waitcnt vmcnt(42)
	v_fmac_f32_e32 v104, v88, v144
	v_add_f32_e32 v97, v97, v103
	s_waitcnt vmcnt(41) lgkmcnt(1)
	v_mul_f32_e32 v98, v89, v145
	v_add_f32_e32 v73, v73, v74
	v_mul_f32_e32 v74, v78, v131
	v_add_f32_e32 v97, v97, v104
	s_waitcnt vmcnt(40)
	v_fmac_f32_e32 v98, v90, v146
	v_fma_f32 v74, v77, v139, -v74
	v_add_f32_e32 v97, v97, v98
	s_waitcnt vmcnt(39)
	v_mul_f32_e32 v98, v91, v147
	v_add_f32_e32 v73, v73, v74
	v_mul_f32_e32 v74, v80, v132
	s_waitcnt vmcnt(38)
	v_fmac_f32_e32 v98, v92, v148
	v_fma_f32 v74, v79, v140, -v74
	v_add_f32_e32 v97, v97, v98
	s_waitcnt vmcnt(37) lgkmcnt(0)
	v_mul_f32_e32 v98, v93, v149
	v_add_f32_e32 v73, v73, v74
	v_mul_f32_e32 v74, v82, v133
	s_waitcnt vmcnt(36)
	v_fmac_f32_e32 v98, v94, v150
	v_fma_f32 v74, v81, v141, -v74
	v_add_f32_e32 v101, v97, v98
	ds_read2_b64 v[97:100], v72 offset0:55 offset1:56
	v_add_f32_e32 v73, v73, v74
	v_mul_f32_e32 v74, v84, v134
	v_fma_f32 v74, v83, v142, -v74
	s_waitcnt vmcnt(35)
	v_mul_f32_e32 v102, v95, v151
	v_add_f32_e32 v73, v73, v74
	v_mul_f32_e32 v74, v86, v135
	s_waitcnt vmcnt(34)
	v_fmac_f32_e32 v102, v96, v152
	v_fma_f32 v74, v85, v143, -v74
	v_add_f32_e32 v105, v101, v102
	ds_read2_b64 v[101:104], v72 offset0:57 offset1:58
	v_add_f32_e32 v73, v73, v74
	v_mul_f32_e32 v74, v88, v136
	s_waitcnt vmcnt(33) lgkmcnt(1)
	v_mul_f32_e32 v106, v97, v153
	v_fma_f32 v74, v87, v144, -v74
	s_waitcnt vmcnt(32)
	v_fmac_f32_e32 v106, v98, v154
	v_add_f32_e32 v73, v73, v74
	v_mul_f32_e32 v74, v90, v145
	v_add_f32_e32 v105, v105, v106
	s_waitcnt vmcnt(31)
	v_mul_f32_e32 v106, v99, v155
	v_fma_f32 v74, v89, v146, -v74
	s_waitcnt vmcnt(30)
	v_fmac_f32_e32 v106, v100, v156
	v_add_f32_e32 v73, v73, v74
	v_mul_f32_e32 v74, v92, v147
	v_add_f32_e32 v105, v105, v106
	s_waitcnt vmcnt(29) lgkmcnt(0)
	v_mul_f32_e32 v106, v101, v157
	v_fma_f32 v74, v91, v148, -v74
	s_waitcnt vmcnt(28)
	v_fmac_f32_e32 v106, v102, v158
	v_add_f32_e32 v73, v73, v74
	v_mul_f32_e32 v74, v94, v149
	v_add_f32_e32 v109, v105, v106
	ds_read2_b64 v[105:108], v72 offset0:59 offset1:60
	v_fma_f32 v74, v93, v150, -v74
	v_add_f32_e32 v73, v73, v74
	v_mul_f32_e32 v74, v96, v151
	s_waitcnt vmcnt(25)
	v_mul_f32_e32 v110, v103, v161
	v_fma_f32 v74, v95, v152, -v74
	s_waitcnt vmcnt(24)
	v_fmac_f32_e32 v110, v104, v162
	v_add_f32_e32 v73, v73, v74
	v_mul_f32_e32 v74, v98, v153
	v_add_f32_e32 v113, v109, v110
	ds_read2_b64 v[109:112], v72 offset0:61 offset1:62
	v_fma_f32 v74, v97, v154, -v74
	s_waitcnt vmcnt(23) lgkmcnt(1)
	v_mul_f32_e32 v114, v105, v163
	v_add_f32_e32 v73, v73, v74
	v_mul_f32_e32 v74, v100, v155
	s_waitcnt vmcnt(22)
	v_fmac_f32_e32 v114, v106, v164
	v_fma_f32 v74, v99, v156, -v74
	v_add_f32_e32 v113, v113, v114
	s_waitcnt vmcnt(20)
	v_mul_f32_e32 v114, v107, v166
	v_add_f32_e32 v73, v73, v74
	v_mul_f32_e32 v74, v102, v157
	v_fmac_f32_e32 v114, v108, v165
	v_fma_f32 v74, v101, v158, -v74
	v_add_f32_e32 v113, v113, v114
	s_waitcnt vmcnt(18) lgkmcnt(0)
	v_mul_f32_e32 v114, v109, v168
	v_add_f32_e32 v73, v73, v74
	v_mul_f32_e32 v74, v104, v161
	v_fmac_f32_e32 v114, v110, v167
	v_fma_f32 v74, v103, v162, -v74
	v_add_f32_e32 v117, v113, v114
	ds_read2_b64 v[113:116], v72 offset0:63 offset1:64
	v_add_f32_e32 v73, v73, v74
	v_mul_f32_e32 v74, v106, v163
	v_fma_f32 v74, v105, v164, -v74
	s_waitcnt vmcnt(17)
	v_mul_f32_e32 v118, v111, v169
	v_add_f32_e32 v73, v73, v74
	v_mul_f32_e32 v74, v108, v166
	s_waitcnt vmcnt(16)
	v_fmac_f32_e32 v118, v112, v170
	v_fma_f32 v74, v107, v165, -v74
	v_add_f32_e32 v121, v117, v118
	ds_read2_b64 v[117:120], v72 offset0:65 offset1:66
	v_add_f32_e32 v73, v73, v74
	v_mul_f32_e32 v74, v110, v168
	s_waitcnt vmcnt(14) lgkmcnt(1)
	v_mul_f32_e32 v122, v113, v172
	v_fma_f32 v74, v109, v167, -v74
	v_fmac_f32_e32 v122, v114, v171
	v_add_f32_e32 v73, v73, v74
	v_mul_f32_e32 v74, v112, v169
	v_add_f32_e32 v121, v121, v122
	s_waitcnt vmcnt(12)
	v_mul_f32_e32 v122, v115, v174
	v_fma_f32 v74, v111, v170, -v74
	v_fmac_f32_e32 v122, v116, v173
	v_add_f32_e32 v73, v73, v74
	v_mul_f32_e32 v74, v114, v172
	v_add_f32_e32 v121, v121, v122
	s_waitcnt vmcnt(10) lgkmcnt(0)
	v_mul_f32_e32 v122, v117, v176
	v_fma_f32 v74, v113, v171, -v74
	v_fmac_f32_e32 v122, v118, v175
	v_add_f32_e32 v73, v73, v74
	v_mul_f32_e32 v74, v116, v174
	v_add_f32_e32 v125, v121, v122
	ds_read2_b64 v[121:124], v72 offset0:67 offset1:68
	v_fma_f32 v74, v115, v173, -v74
	v_add_f32_e32 v73, v73, v74
	v_mul_f32_e32 v74, v118, v176
	s_waitcnt vmcnt(8)
	v_mul_f32_e32 v126, v119, v178
	v_fma_f32 v74, v117, v175, -v74
	v_fmac_f32_e32 v126, v120, v177
	v_add_f32_e32 v73, v73, v74
	v_mul_f32_e32 v74, v120, v178
	v_add_f32_e32 v187, v125, v126
	ds_read2_b64 v[125:128], v72 offset0:69 offset1:70
	v_fma_f32 v74, v119, v177, -v74
	v_add_f32_e32 v73, v73, v74
	s_waitcnt vmcnt(6) lgkmcnt(1)
	v_mul_f32_e32 v74, v122, v180
	v_mul_f32_e32 v72, v121, v180
	v_fma_f32 v74, v121, v179, -v74
	v_fmac_f32_e32 v72, v122, v179
	v_add_f32_e32 v73, v73, v74
	s_waitcnt vmcnt(4)
	v_mul_f32_e32 v74, v124, v182
	v_add_f32_e32 v72, v187, v72
	v_mul_f32_e32 v187, v123, v182
	v_fma_f32 v74, v123, v181, -v74
	v_fmac_f32_e32 v187, v124, v181
	v_add_f32_e32 v73, v73, v74
	s_waitcnt vmcnt(2) lgkmcnt(0)
	v_mul_f32_e32 v74, v126, v184
	v_add_f32_e32 v72, v72, v187
	v_mul_f32_e32 v187, v125, v184
	v_fma_f32 v74, v125, v183, -v74
	v_fmac_f32_e32 v187, v126, v183
	v_add_f32_e32 v73, v73, v74
	s_waitcnt vmcnt(0)
	v_mul_f32_e32 v74, v128, v186
	v_add_f32_e32 v72, v72, v187
	v_mul_f32_e32 v187, v127, v186
	v_fma_f32 v74, v127, v185, -v74
	v_fmac_f32_e32 v187, v128, v185
	v_add_f32_e32 v73, v73, v74
	v_add_f32_e32 v72, v72, v187
	v_sub_f32_e32 v73, v159, v73
	v_sub_f32_e32 v72, v160, v72
	buffer_store_dword v73, off, s[0:3], 0 offset:48
	buffer_store_dword v72, off, s[0:3], 0 offset:52
	s_and_saveexec_b64 s[4:5], vcc
	s_cbranch_execz .LBB34_213
; %bb.212:
	buffer_load_dword v72, off, s[0:3], 0 offset:40
	buffer_load_dword v73, off, s[0:3], 0 offset:44
	v_mov_b32_e32 v74, 0
	buffer_store_dword v74, off, s[0:3], 0 offset:40
	buffer_store_dword v74, off, s[0:3], 0 offset:44
	s_waitcnt vmcnt(2)
	ds_write_b64 v71, v[72:73]
.LBB34_213:
	s_or_b64 exec, exec, s[4:5]
	s_waitcnt lgkmcnt(0)
	; wave barrier
	buffer_load_dword v131, off, s[0:3], 0 offset:52
	buffer_load_dword v132, off, s[0:3], 0 offset:60
	buffer_load_dword v133, off, s[0:3], 0 offset:68
	buffer_load_dword v134, off, s[0:3], 0 offset:76
	buffer_load_dword v135, off, s[0:3], 0 offset:84
	buffer_load_dword v136, off, s[0:3], 0 offset:92
	buffer_load_dword v137, off, s[0:3], 0 offset:100
	buffer_load_dword v138, off, s[0:3], 0 offset:48
	buffer_load_dword v139, off, s[0:3], 0 offset:56
	buffer_load_dword v140, off, s[0:3], 0 offset:64
	buffer_load_dword v141, off, s[0:3], 0 offset:72
	buffer_load_dword v142, off, s[0:3], 0 offset:80
	buffer_load_dword v143, off, s[0:3], 0 offset:88
	buffer_load_dword v144, off, s[0:3], 0 offset:96
	buffer_load_dword v145, off, s[0:3], 0 offset:108
	buffer_load_dword v146, off, s[0:3], 0 offset:104
	buffer_load_dword v147, off, s[0:3], 0 offset:116
	buffer_load_dword v148, off, s[0:3], 0 offset:112
	buffer_load_dword v149, off, s[0:3], 0 offset:124
	buffer_load_dword v150, off, s[0:3], 0 offset:120
	buffer_load_dword v151, off, s[0:3], 0 offset:132
	buffer_load_dword v152, off, s[0:3], 0 offset:128
	buffer_load_dword v153, off, s[0:3], 0 offset:140
	buffer_load_dword v154, off, s[0:3], 0 offset:136
	buffer_load_dword v155, off, s[0:3], 0 offset:144
	buffer_load_dword v156, off, s[0:3], 0 offset:148
	buffer_load_dword v157, off, s[0:3], 0 offset:40
	buffer_load_dword v158, off, s[0:3], 0 offset:44
	buffer_load_dword v159, off, s[0:3], 0 offset:156
	buffer_load_dword v160, off, s[0:3], 0 offset:152
	buffer_load_dword v161, off, s[0:3], 0 offset:160
	buffer_load_dword v162, off, s[0:3], 0 offset:164
	buffer_load_dword v163, off, s[0:3], 0 offset:168
	buffer_load_dword v164, off, s[0:3], 0 offset:172
	buffer_load_dword v165, off, s[0:3], 0 offset:176
	buffer_load_dword v166, off, s[0:3], 0 offset:180
	buffer_load_dword v167, off, s[0:3], 0 offset:184
	buffer_load_dword v168, off, s[0:3], 0 offset:188
	buffer_load_dword v169, off, s[0:3], 0 offset:192
	buffer_load_dword v170, off, s[0:3], 0 offset:196
	buffer_load_dword v171, off, s[0:3], 0 offset:200
	buffer_load_dword v172, off, s[0:3], 0 offset:204
	buffer_load_dword v173, off, s[0:3], 0 offset:208
	buffer_load_dword v174, off, s[0:3], 0 offset:212
	buffer_load_dword v175, off, s[0:3], 0 offset:216
	buffer_load_dword v176, off, s[0:3], 0 offset:220
	buffer_load_dword v177, off, s[0:3], 0 offset:224
	buffer_load_dword v178, off, s[0:3], 0 offset:228
	buffer_load_dword v179, off, s[0:3], 0 offset:232
	buffer_load_dword v180, off, s[0:3], 0 offset:236
	buffer_load_dword v181, off, s[0:3], 0 offset:240
	buffer_load_dword v182, off, s[0:3], 0 offset:244
	buffer_load_dword v183, off, s[0:3], 0 offset:248
	buffer_load_dword v184, off, s[0:3], 0 offset:252
	buffer_load_dword v185, off, s[0:3], 0 offset:256
	buffer_load_dword v186, off, s[0:3], 0 offset:260
	buffer_load_dword v187, off, s[0:3], 0 offset:264
	buffer_load_dword v188, off, s[0:3], 0 offset:268
	buffer_load_dword v189, off, s[0:3], 0 offset:272
	buffer_load_dword v190, off, s[0:3], 0 offset:276
	v_mov_b32_e32 v72, 0
	ds_read_b128 v[73:76], v72 offset:336
	ds_read_b128 v[77:80], v72 offset:352
	;; [unrolled: 1-line block ×5, first 2 shown]
	v_cmp_lt_u32_e32 vcc, 4, v0
	s_waitcnt vmcnt(59) lgkmcnt(4)
	v_mul_f32_e32 v93, v73, v131
	s_waitcnt vmcnt(58)
	v_mul_f32_e32 v94, v75, v132
	s_waitcnt vmcnt(57) lgkmcnt(3)
	v_mul_f32_e32 v95, v77, v133
	s_waitcnt vmcnt(56)
	v_mul_f32_e32 v96, v79, v134
	;; [unrolled: 4-line block ×3, first 2 shown]
	s_waitcnt vmcnt(53) lgkmcnt(1)
	v_mul_f32_e32 v99, v85, v137
	s_waitcnt vmcnt(52)
	v_fmac_f32_e32 v93, v74, v138
	s_waitcnt vmcnt(51)
	v_fmac_f32_e32 v94, v76, v139
	v_add_f32_e32 v93, 0, v93
	s_waitcnt vmcnt(50)
	v_fmac_f32_e32 v95, v78, v140
	v_add_f32_e32 v93, v93, v94
	;; [unrolled: 3-line block ×6, first 2 shown]
	s_waitcnt vmcnt(45)
	v_mul_f32_e32 v94, v87, v145
	v_add_f32_e32 v93, v93, v99
	s_waitcnt vmcnt(44)
	v_fmac_f32_e32 v94, v88, v146
	v_mul_f32_e32 v74, v74, v131
	v_add_f32_e32 v97, v93, v94
	ds_read_b128 v[93:96], v72 offset:416
	v_fma_f32 v73, v73, v138, -v74
	v_mul_f32_e32 v74, v76, v132
	s_waitcnt vmcnt(43) lgkmcnt(1)
	v_mul_f32_e32 v98, v89, v147
	v_add_f32_e32 v73, 0, v73
	v_fma_f32 v74, v75, v139, -v74
	s_waitcnt vmcnt(42)
	v_fmac_f32_e32 v98, v90, v148
	v_add_f32_e32 v73, v73, v74
	v_mul_f32_e32 v74, v78, v133
	v_add_f32_e32 v97, v97, v98
	s_waitcnt vmcnt(41)
	v_mul_f32_e32 v98, v91, v149
	v_fma_f32 v74, v77, v140, -v74
	s_waitcnt vmcnt(40)
	v_fmac_f32_e32 v98, v92, v150
	v_add_f32_e32 v73, v73, v74
	v_mul_f32_e32 v74, v80, v134
	v_add_f32_e32 v97, v97, v98
	s_waitcnt vmcnt(39) lgkmcnt(0)
	v_mul_f32_e32 v98, v93, v151
	v_fma_f32 v74, v79, v141, -v74
	s_waitcnt vmcnt(38)
	v_fmac_f32_e32 v98, v94, v152
	v_add_f32_e32 v73, v73, v74
	v_mul_f32_e32 v74, v82, v135
	v_add_f32_e32 v101, v97, v98
	ds_read_b128 v[97:100], v72 offset:432
	v_fma_f32 v74, v81, v142, -v74
	v_add_f32_e32 v73, v73, v74
	v_mul_f32_e32 v74, v84, v136
	s_waitcnt vmcnt(37)
	v_mul_f32_e32 v102, v95, v153
	v_fma_f32 v74, v83, v143, -v74
	s_waitcnt vmcnt(36)
	v_fmac_f32_e32 v102, v96, v154
	v_add_f32_e32 v73, v73, v74
	v_mul_f32_e32 v74, v86, v137
	v_add_f32_e32 v105, v101, v102
	ds_read_b128 v[101:104], v72 offset:448
	v_fma_f32 v74, v85, v144, -v74
	s_waitcnt vmcnt(34) lgkmcnt(1)
	v_mul_f32_e32 v106, v97, v156
	v_add_f32_e32 v73, v73, v74
	v_mul_f32_e32 v74, v88, v145
	v_fmac_f32_e32 v106, v98, v155
	v_fma_f32 v74, v87, v146, -v74
	v_add_f32_e32 v105, v105, v106
	s_waitcnt vmcnt(31)
	v_mul_f32_e32 v106, v99, v159
	v_add_f32_e32 v73, v73, v74
	v_mul_f32_e32 v74, v90, v147
	s_waitcnt vmcnt(30)
	v_fmac_f32_e32 v106, v100, v160
	v_fma_f32 v74, v89, v148, -v74
	v_add_f32_e32 v105, v105, v106
	s_waitcnt vmcnt(28) lgkmcnt(0)
	v_mul_f32_e32 v106, v101, v162
	v_add_f32_e32 v73, v73, v74
	v_mul_f32_e32 v74, v92, v149
	v_fmac_f32_e32 v106, v102, v161
	v_fma_f32 v74, v91, v150, -v74
	v_add_f32_e32 v109, v105, v106
	ds_read_b128 v[105:108], v72 offset:464
	v_add_f32_e32 v73, v73, v74
	v_mul_f32_e32 v74, v94, v151
	v_fma_f32 v74, v93, v152, -v74
	s_waitcnt vmcnt(26)
	v_mul_f32_e32 v110, v103, v164
	v_add_f32_e32 v73, v73, v74
	v_mul_f32_e32 v74, v96, v153
	v_fmac_f32_e32 v110, v104, v163
	v_fma_f32 v74, v95, v154, -v74
	v_add_f32_e32 v113, v109, v110
	ds_read_b128 v[109:112], v72 offset:480
	v_add_f32_e32 v73, v73, v74
	v_mul_f32_e32 v74, v98, v156
	s_waitcnt vmcnt(24) lgkmcnt(1)
	v_mul_f32_e32 v114, v105, v166
	v_fma_f32 v74, v97, v155, -v74
	v_fmac_f32_e32 v114, v106, v165
	v_add_f32_e32 v73, v73, v74
	v_mul_f32_e32 v74, v100, v159
	v_add_f32_e32 v113, v113, v114
	s_waitcnt vmcnt(22)
	v_mul_f32_e32 v114, v107, v168
	v_fma_f32 v74, v99, v160, -v74
	v_fmac_f32_e32 v114, v108, v167
	v_add_f32_e32 v73, v73, v74
	v_mul_f32_e32 v74, v102, v162
	v_add_f32_e32 v113, v113, v114
	s_waitcnt vmcnt(20) lgkmcnt(0)
	v_mul_f32_e32 v114, v109, v170
	v_fma_f32 v74, v101, v161, -v74
	v_fmac_f32_e32 v114, v110, v169
	v_add_f32_e32 v73, v73, v74
	v_mul_f32_e32 v74, v104, v164
	v_add_f32_e32 v117, v113, v114
	ds_read_b128 v[113:116], v72 offset:496
	v_fma_f32 v74, v103, v163, -v74
	v_add_f32_e32 v73, v73, v74
	v_mul_f32_e32 v74, v106, v166
	s_waitcnt vmcnt(18)
	v_mul_f32_e32 v118, v111, v172
	v_fma_f32 v74, v105, v165, -v74
	v_fmac_f32_e32 v118, v112, v171
	v_add_f32_e32 v73, v73, v74
	v_mul_f32_e32 v74, v108, v168
	v_add_f32_e32 v121, v117, v118
	ds_read_b128 v[117:120], v72 offset:512
	v_fma_f32 v74, v107, v167, -v74
	s_waitcnt vmcnt(16) lgkmcnt(1)
	v_mul_f32_e32 v122, v113, v174
	v_add_f32_e32 v73, v73, v74
	v_mul_f32_e32 v74, v110, v170
	v_fmac_f32_e32 v122, v114, v173
	v_fma_f32 v74, v109, v169, -v74
	v_add_f32_e32 v121, v121, v122
	s_waitcnt vmcnt(14)
	v_mul_f32_e32 v122, v115, v176
	v_add_f32_e32 v73, v73, v74
	v_mul_f32_e32 v74, v112, v172
	v_fmac_f32_e32 v122, v116, v175
	v_fma_f32 v74, v111, v171, -v74
	v_add_f32_e32 v121, v121, v122
	s_waitcnt vmcnt(12) lgkmcnt(0)
	v_mul_f32_e32 v122, v117, v178
	v_add_f32_e32 v73, v73, v74
	v_mul_f32_e32 v74, v114, v174
	v_fmac_f32_e32 v122, v118, v177
	v_fma_f32 v74, v113, v173, -v74
	v_add_f32_e32 v125, v121, v122
	ds_read_b128 v[121:124], v72 offset:528
	v_add_f32_e32 v73, v73, v74
	v_mul_f32_e32 v74, v116, v176
	v_fma_f32 v74, v115, v175, -v74
	v_add_f32_e32 v73, v73, v74
	v_mul_f32_e32 v74, v118, v178
	s_waitcnt vmcnt(10)
	v_mul_f32_e32 v126, v119, v180
	v_fma_f32 v74, v117, v177, -v74
	v_fmac_f32_e32 v126, v120, v179
	v_add_f32_e32 v73, v73, v74
	v_mul_f32_e32 v74, v120, v180
	v_add_f32_e32 v129, v125, v126
	ds_read_b128 v[125:128], v72 offset:544
	s_waitcnt vmcnt(8) lgkmcnt(1)
	v_mul_f32_e32 v130, v121, v182
	v_fma_f32 v74, v119, v179, -v74
	v_fmac_f32_e32 v130, v122, v181
	v_add_f32_e32 v73, v73, v74
	v_mul_f32_e32 v74, v122, v182
	v_add_f32_e32 v129, v129, v130
	s_waitcnt vmcnt(6)
	v_mul_f32_e32 v130, v123, v184
	v_fma_f32 v74, v121, v181, -v74
	v_fmac_f32_e32 v130, v124, v183
	v_add_f32_e32 v73, v73, v74
	v_mul_f32_e32 v74, v124, v184
	v_add_f32_e32 v191, v129, v130
	ds_read_b64 v[129:130], v72 offset:560
	v_fma_f32 v74, v123, v183, -v74
	v_add_f32_e32 v73, v73, v74
	s_waitcnt vmcnt(4) lgkmcnt(1)
	v_mul_f32_e32 v74, v126, v186
	v_mul_f32_e32 v192, v125, v186
	v_fma_f32 v74, v125, v185, -v74
	v_fmac_f32_e32 v192, v126, v185
	v_add_f32_e32 v73, v73, v74
	s_waitcnt vmcnt(2)
	v_mul_f32_e32 v74, v128, v188
	v_add_f32_e32 v191, v191, v192
	v_mul_f32_e32 v192, v127, v188
	v_fma_f32 v74, v127, v187, -v74
	v_fmac_f32_e32 v192, v128, v187
	v_add_f32_e32 v73, v73, v74
	s_waitcnt vmcnt(0) lgkmcnt(0)
	v_mul_f32_e32 v74, v130, v190
	v_add_f32_e32 v191, v191, v192
	v_mul_f32_e32 v192, v129, v190
	v_fma_f32 v74, v129, v189, -v74
	v_fmac_f32_e32 v192, v130, v189
	v_add_f32_e32 v73, v73, v74
	v_add_f32_e32 v191, v191, v192
	v_sub_f32_e32 v73, v157, v73
	v_sub_f32_e32 v74, v158, v191
	buffer_store_dword v73, off, s[0:3], 0 offset:40
	buffer_store_dword v74, off, s[0:3], 0 offset:44
	s_and_saveexec_b64 s[4:5], vcc
	s_cbranch_execz .LBB34_215
; %bb.214:
	buffer_load_dword v73, off, s[0:3], 0 offset:32
	buffer_load_dword v74, off, s[0:3], 0 offset:36
	s_waitcnt vmcnt(0)
	ds_write_b64 v71, v[73:74]
	buffer_store_dword v72, off, s[0:3], 0 offset:32
	buffer_store_dword v72, off, s[0:3], 0 offset:36
.LBB34_215:
	s_or_b64 exec, exec, s[4:5]
	s_waitcnt lgkmcnt(0)
	; wave barrier
	buffer_load_dword v133, off, s[0:3], 0 offset:44
	buffer_load_dword v134, off, s[0:3], 0 offset:52
	;; [unrolled: 1-line block ×32, first 2 shown]
	ds_read2_b64 v[73:76], v72 offset0:41 offset1:42
	ds_read2_b64 v[77:80], v72 offset0:43 offset1:44
	ds_read2_b64 v[81:84], v72 offset0:45 offset1:46
	ds_read2_b64 v[85:88], v72 offset0:47 offset1:48
	buffer_load_dword v165, off, s[0:3], 0 offset:164
	buffer_load_dword v166, off, s[0:3], 0 offset:160
	;; [unrolled: 1-line block ×30, first 2 shown]
	v_cmp_lt_u32_e32 vcc, 3, v0
	s_waitcnt vmcnt(61) lgkmcnt(3)
	v_mul_f32_e32 v89, v73, v133
	s_waitcnt vmcnt(60)
	v_mul_f32_e32 v90, v75, v134
	s_waitcnt vmcnt(59) lgkmcnt(2)
	v_mul_f32_e32 v91, v77, v135
	s_waitcnt vmcnt(58)
	v_mul_f32_e32 v92, v79, v136
	;; [unrolled: 4-line block ×3, first 2 shown]
	s_waitcnt vmcnt(55) lgkmcnt(0)
	v_mul_f32_e32 v95, v85, v139
	s_waitcnt vmcnt(54)
	v_fmac_f32_e32 v89, v74, v140
	s_waitcnt vmcnt(53)
	v_fmac_f32_e32 v90, v76, v141
	v_add_f32_e32 v89, 0, v89
	s_waitcnt vmcnt(52)
	v_fmac_f32_e32 v91, v78, v142
	v_add_f32_e32 v89, v89, v90
	;; [unrolled: 3-line block ×6, first 2 shown]
	v_add_f32_e32 v93, v89, v95
	ds_read2_b64 v[89:92], v72 offset0:49 offset1:50
	s_waitcnt vmcnt(47)
	v_mul_f32_e32 v94, v87, v147
	s_waitcnt vmcnt(46)
	v_fmac_f32_e32 v94, v88, v148
	v_mul_f32_e32 v74, v74, v133
	v_add_f32_e32 v97, v93, v94
	ds_read2_b64 v[93:96], v72 offset0:51 offset1:52
	v_fma_f32 v73, v73, v140, -v74
	v_mul_f32_e32 v74, v76, v134
	s_waitcnt vmcnt(45) lgkmcnt(1)
	v_mul_f32_e32 v98, v89, v149
	v_add_f32_e32 v73, 0, v73
	v_fma_f32 v74, v75, v141, -v74
	s_waitcnt vmcnt(44)
	v_fmac_f32_e32 v98, v90, v150
	v_add_f32_e32 v73, v73, v74
	v_mul_f32_e32 v74, v78, v135
	v_add_f32_e32 v97, v97, v98
	s_waitcnt vmcnt(43)
	v_mul_f32_e32 v98, v91, v151
	v_fma_f32 v74, v77, v142, -v74
	s_waitcnt vmcnt(42)
	v_fmac_f32_e32 v98, v92, v152
	v_add_f32_e32 v73, v73, v74
	v_mul_f32_e32 v74, v80, v136
	v_add_f32_e32 v97, v97, v98
	s_waitcnt vmcnt(41) lgkmcnt(0)
	v_mul_f32_e32 v98, v93, v153
	v_fma_f32 v74, v79, v143, -v74
	s_waitcnt vmcnt(40)
	v_fmac_f32_e32 v98, v94, v154
	v_add_f32_e32 v73, v73, v74
	v_mul_f32_e32 v74, v82, v137
	v_add_f32_e32 v101, v97, v98
	ds_read2_b64 v[97:100], v72 offset0:53 offset1:54
	v_fma_f32 v74, v81, v144, -v74
	v_add_f32_e32 v73, v73, v74
	v_mul_f32_e32 v74, v84, v138
	s_waitcnt vmcnt(39)
	v_mul_f32_e32 v102, v95, v155
	v_fma_f32 v74, v83, v145, -v74
	s_waitcnt vmcnt(38)
	v_fmac_f32_e32 v102, v96, v156
	v_add_f32_e32 v73, v73, v74
	v_mul_f32_e32 v74, v86, v139
	v_add_f32_e32 v105, v101, v102
	ds_read2_b64 v[101:104], v72 offset0:55 offset1:56
	v_fma_f32 v74, v85, v146, -v74
	s_waitcnt vmcnt(35) lgkmcnt(1)
	v_mul_f32_e32 v106, v97, v159
	v_add_f32_e32 v73, v73, v74
	v_mul_f32_e32 v74, v88, v147
	s_waitcnt vmcnt(34)
	v_fmac_f32_e32 v106, v98, v160
	v_fma_f32 v74, v87, v148, -v74
	v_add_f32_e32 v105, v105, v106
	s_waitcnt vmcnt(32)
	v_mul_f32_e32 v106, v99, v162
	v_add_f32_e32 v73, v73, v74
	v_mul_f32_e32 v74, v90, v149
	v_fmac_f32_e32 v106, v100, v161
	v_fma_f32 v74, v89, v150, -v74
	v_add_f32_e32 v105, v105, v106
	s_waitcnt vmcnt(30) lgkmcnt(0)
	v_mul_f32_e32 v106, v101, v164
	v_add_f32_e32 v73, v73, v74
	v_mul_f32_e32 v74, v92, v151
	v_fmac_f32_e32 v106, v102, v163
	v_fma_f32 v74, v91, v152, -v74
	v_add_f32_e32 v109, v105, v106
	ds_read2_b64 v[105:108], v72 offset0:57 offset1:58
	v_add_f32_e32 v73, v73, v74
	v_mul_f32_e32 v74, v94, v153
	v_fma_f32 v74, v93, v154, -v74
	s_waitcnt vmcnt(29)
	v_mul_f32_e32 v110, v103, v165
	v_add_f32_e32 v73, v73, v74
	v_mul_f32_e32 v74, v96, v155
	s_waitcnt vmcnt(28)
	v_fmac_f32_e32 v110, v104, v166
	v_fma_f32 v74, v95, v156, -v74
	v_add_f32_e32 v113, v109, v110
	ds_read2_b64 v[109:112], v72 offset0:59 offset1:60
	v_add_f32_e32 v73, v73, v74
	v_mul_f32_e32 v74, v98, v159
	s_waitcnt vmcnt(26) lgkmcnt(1)
	v_mul_f32_e32 v114, v105, v168
	v_fma_f32 v74, v97, v160, -v74
	v_fmac_f32_e32 v114, v106, v167
	v_add_f32_e32 v73, v73, v74
	v_mul_f32_e32 v74, v100, v162
	v_add_f32_e32 v113, v113, v114
	s_waitcnt vmcnt(24)
	v_mul_f32_e32 v114, v107, v170
	v_fma_f32 v74, v99, v161, -v74
	v_fmac_f32_e32 v114, v108, v169
	v_add_f32_e32 v73, v73, v74
	v_mul_f32_e32 v74, v102, v164
	v_add_f32_e32 v113, v113, v114
	s_waitcnt vmcnt(22) lgkmcnt(0)
	v_mul_f32_e32 v114, v109, v172
	v_fma_f32 v74, v101, v163, -v74
	v_fmac_f32_e32 v114, v110, v171
	v_add_f32_e32 v73, v73, v74
	v_mul_f32_e32 v74, v104, v165
	v_add_f32_e32 v117, v113, v114
	ds_read2_b64 v[113:116], v72 offset0:61 offset1:62
	v_fma_f32 v74, v103, v166, -v74
	v_add_f32_e32 v73, v73, v74
	v_mul_f32_e32 v74, v106, v168
	s_waitcnt vmcnt(20)
	v_mul_f32_e32 v118, v111, v174
	v_fma_f32 v74, v105, v167, -v74
	v_fmac_f32_e32 v118, v112, v173
	v_add_f32_e32 v73, v73, v74
	v_mul_f32_e32 v74, v108, v170
	v_add_f32_e32 v121, v117, v118
	ds_read2_b64 v[117:120], v72 offset0:63 offset1:64
	v_fma_f32 v74, v107, v169, -v74
	s_waitcnt vmcnt(18) lgkmcnt(1)
	v_mul_f32_e32 v122, v113, v176
	v_add_f32_e32 v73, v73, v74
	v_mul_f32_e32 v74, v110, v172
	v_fmac_f32_e32 v122, v114, v175
	v_fma_f32 v74, v109, v171, -v74
	v_add_f32_e32 v121, v121, v122
	s_waitcnt vmcnt(16)
	v_mul_f32_e32 v122, v115, v178
	v_add_f32_e32 v73, v73, v74
	v_mul_f32_e32 v74, v112, v174
	v_fmac_f32_e32 v122, v116, v177
	v_fma_f32 v74, v111, v173, -v74
	v_add_f32_e32 v121, v121, v122
	s_waitcnt vmcnt(14) lgkmcnt(0)
	v_mul_f32_e32 v122, v117, v180
	v_add_f32_e32 v73, v73, v74
	v_mul_f32_e32 v74, v114, v176
	v_fmac_f32_e32 v122, v118, v179
	v_fma_f32 v74, v113, v175, -v74
	v_add_f32_e32 v125, v121, v122
	ds_read2_b64 v[121:124], v72 offset0:65 offset1:66
	v_add_f32_e32 v73, v73, v74
	v_mul_f32_e32 v74, v116, v178
	v_fma_f32 v74, v115, v177, -v74
	v_add_f32_e32 v73, v73, v74
	v_mul_f32_e32 v74, v118, v180
	s_waitcnt vmcnt(12)
	v_mul_f32_e32 v126, v119, v182
	v_fma_f32 v74, v117, v179, -v74
	v_fmac_f32_e32 v126, v120, v181
	v_add_f32_e32 v73, v73, v74
	v_mul_f32_e32 v74, v120, v182
	v_add_f32_e32 v129, v125, v126
	ds_read2_b64 v[125:128], v72 offset0:67 offset1:68
	s_waitcnt vmcnt(10) lgkmcnt(1)
	v_mul_f32_e32 v130, v121, v184
	v_fma_f32 v74, v119, v181, -v74
	v_fmac_f32_e32 v130, v122, v183
	v_add_f32_e32 v73, v73, v74
	v_mul_f32_e32 v74, v122, v184
	v_add_f32_e32 v129, v129, v130
	s_waitcnt vmcnt(8)
	v_mul_f32_e32 v130, v123, v186
	v_fma_f32 v74, v121, v183, -v74
	v_fmac_f32_e32 v130, v124, v185
	v_add_f32_e32 v73, v73, v74
	v_mul_f32_e32 v74, v124, v186
	v_add_f32_e32 v195, v129, v130
	ds_read2_b64 v[129:132], v72 offset0:69 offset1:70
	v_fma_f32 v74, v123, v185, -v74
	v_add_f32_e32 v73, v73, v74
	s_waitcnt vmcnt(6) lgkmcnt(1)
	v_mul_f32_e32 v74, v126, v188
	v_mul_f32_e32 v196, v125, v188
	v_fma_f32 v74, v125, v187, -v74
	v_fmac_f32_e32 v196, v126, v187
	v_add_f32_e32 v73, v73, v74
	s_waitcnt vmcnt(4)
	v_mul_f32_e32 v74, v128, v190
	v_add_f32_e32 v72, v195, v196
	v_mul_f32_e32 v195, v127, v190
	v_fma_f32 v74, v127, v189, -v74
	v_fmac_f32_e32 v195, v128, v189
	v_add_f32_e32 v73, v73, v74
	s_waitcnt vmcnt(2) lgkmcnt(0)
	v_mul_f32_e32 v74, v130, v192
	v_add_f32_e32 v72, v72, v195
	v_mul_f32_e32 v195, v129, v192
	v_fma_f32 v74, v129, v191, -v74
	v_fmac_f32_e32 v195, v130, v191
	v_add_f32_e32 v73, v73, v74
	s_waitcnt vmcnt(0)
	v_mul_f32_e32 v74, v132, v194
	v_add_f32_e32 v72, v72, v195
	v_mul_f32_e32 v195, v131, v194
	v_fma_f32 v74, v131, v193, -v74
	v_fmac_f32_e32 v195, v132, v193
	v_add_f32_e32 v73, v73, v74
	v_add_f32_e32 v72, v72, v195
	v_sub_f32_e32 v73, v157, v73
	v_sub_f32_e32 v72, v158, v72
	buffer_store_dword v73, off, s[0:3], 0 offset:32
	buffer_store_dword v72, off, s[0:3], 0 offset:36
	s_and_saveexec_b64 s[4:5], vcc
	s_cbranch_execz .LBB34_217
; %bb.216:
	buffer_load_dword v72, off, s[0:3], 0 offset:24
	buffer_load_dword v73, off, s[0:3], 0 offset:28
	v_mov_b32_e32 v74, 0
	buffer_store_dword v74, off, s[0:3], 0 offset:24
	buffer_store_dword v74, off, s[0:3], 0 offset:28
	s_waitcnt vmcnt(2)
	ds_write_b64 v71, v[72:73]
.LBB34_217:
	s_or_b64 exec, exec, s[4:5]
	s_waitcnt lgkmcnt(0)
	; wave barrier
	buffer_load_dword v135, off, s[0:3], 0 offset:36
	buffer_load_dword v136, off, s[0:3], 0 offset:44
	;; [unrolled: 1-line block ×56, first 2 shown]
	v_mov_b32_e32 v72, 0
	ds_read_b128 v[73:76], v72 offset:320
	buffer_load_dword v191, off, s[0:3], 0 offset:248
	buffer_load_dword v192, off, s[0:3], 0 offset:252
	;; [unrolled: 1-line block ×4, first 2 shown]
	ds_read_b128 v[77:80], v72 offset:336
	ds_read_b128 v[81:84], v72 offset:352
	;; [unrolled: 1-line block ×3, first 2 shown]
	v_cmp_lt_u32_e32 vcc, 2, v0
	s_waitcnt vmcnt(59) lgkmcnt(3)
	v_mul_f32_e32 v89, v73, v135
	s_waitcnt vmcnt(58)
	v_mul_f32_e32 v90, v75, v136
	s_waitcnt vmcnt(57) lgkmcnt(2)
	v_mul_f32_e32 v91, v77, v137
	s_waitcnt vmcnt(56)
	v_mul_f32_e32 v92, v79, v138
	;; [unrolled: 4-line block ×4, first 2 shown]
	s_waitcnt vmcnt(51)
	v_fmac_f32_e32 v89, v74, v143
	s_waitcnt vmcnt(50)
	v_fmac_f32_e32 v90, v76, v144
	v_add_f32_e32 v89, 0, v89
	s_waitcnt vmcnt(49)
	v_fmac_f32_e32 v91, v78, v145
	v_add_f32_e32 v89, v89, v90
	;; [unrolled: 3-line block ×6, first 2 shown]
	v_add_f32_e32 v93, v89, v95
	ds_read_b128 v[89:92], v72 offset:384
	buffer_load_dword v195, off, s[0:3], 0 offset:268
	buffer_load_dword v196, off, s[0:3], 0 offset:264
	;; [unrolled: 1-line block ×4, first 2 shown]
	s_waitcnt vmcnt(48)
	v_fmac_f32_e32 v96, v88, v150
	v_add_f32_e32 v97, v93, v96
	ds_read_b128 v[93:96], v72 offset:400
	s_waitcnt vmcnt(47) lgkmcnt(1)
	v_mul_f32_e32 v98, v89, v151
	v_mul_f32_e32 v74, v74, v135
	s_waitcnt vmcnt(46)
	v_fmac_f32_e32 v98, v90, v152
	v_fma_f32 v73, v73, v143, -v74
	v_mul_f32_e32 v74, v76, v136
	v_add_f32_e32 v97, v97, v98
	s_waitcnt vmcnt(45)
	v_mul_f32_e32 v98, v91, v153
	v_add_f32_e32 v73, 0, v73
	v_fma_f32 v74, v75, v144, -v74
	s_waitcnt vmcnt(44)
	v_fmac_f32_e32 v98, v92, v154
	v_add_f32_e32 v73, v73, v74
	v_mul_f32_e32 v74, v78, v137
	v_add_f32_e32 v97, v97, v98
	s_waitcnt vmcnt(42) lgkmcnt(0)
	v_mul_f32_e32 v98, v93, v156
	v_fma_f32 v74, v77, v145, -v74
	v_fmac_f32_e32 v98, v94, v155
	v_add_f32_e32 v73, v73, v74
	v_mul_f32_e32 v74, v80, v138
	v_add_f32_e32 v101, v97, v98
	ds_read_b128 v[97:100], v72 offset:416
	v_fma_f32 v74, v79, v146, -v74
	v_add_f32_e32 v73, v73, v74
	v_mul_f32_e32 v74, v82, v139
	s_waitcnt vmcnt(39)
	v_mul_f32_e32 v102, v95, v159
	v_fma_f32 v74, v81, v147, -v74
	s_waitcnt vmcnt(38)
	v_fmac_f32_e32 v102, v96, v160
	v_add_f32_e32 v73, v73, v74
	v_mul_f32_e32 v74, v84, v140
	v_add_f32_e32 v105, v101, v102
	ds_read_b128 v[101:104], v72 offset:432
	v_fma_f32 v74, v83, v148, -v74
	s_waitcnt vmcnt(36) lgkmcnt(1)
	v_mul_f32_e32 v106, v97, v162
	v_add_f32_e32 v73, v73, v74
	v_mul_f32_e32 v74, v86, v141
	v_fmac_f32_e32 v106, v98, v161
	v_fma_f32 v74, v85, v149, -v74
	v_add_f32_e32 v105, v105, v106
	s_waitcnt vmcnt(34)
	v_mul_f32_e32 v106, v99, v164
	v_add_f32_e32 v73, v73, v74
	v_mul_f32_e32 v74, v88, v142
	v_fmac_f32_e32 v106, v100, v163
	v_fma_f32 v74, v87, v150, -v74
	v_add_f32_e32 v105, v105, v106
	s_waitcnt vmcnt(32) lgkmcnt(0)
	v_mul_f32_e32 v106, v101, v166
	v_add_f32_e32 v73, v73, v74
	v_mul_f32_e32 v74, v90, v151
	v_fmac_f32_e32 v106, v102, v165
	v_fma_f32 v74, v89, v152, -v74
	v_add_f32_e32 v109, v105, v106
	ds_read_b128 v[105:108], v72 offset:448
	v_add_f32_e32 v73, v73, v74
	v_mul_f32_e32 v74, v92, v153
	v_fma_f32 v74, v91, v154, -v74
	s_waitcnt vmcnt(30)
	v_mul_f32_e32 v110, v103, v168
	v_add_f32_e32 v73, v73, v74
	v_mul_f32_e32 v74, v94, v156
	v_fmac_f32_e32 v110, v104, v167
	v_fma_f32 v74, v93, v155, -v74
	v_add_f32_e32 v113, v109, v110
	ds_read_b128 v[109:112], v72 offset:464
	v_add_f32_e32 v73, v73, v74
	v_mul_f32_e32 v74, v96, v159
	s_waitcnt vmcnt(28) lgkmcnt(1)
	v_mul_f32_e32 v114, v105, v170
	v_fma_f32 v74, v95, v160, -v74
	v_fmac_f32_e32 v114, v106, v169
	v_add_f32_e32 v73, v73, v74
	v_mul_f32_e32 v74, v98, v162
	v_add_f32_e32 v113, v113, v114
	s_waitcnt vmcnt(26)
	v_mul_f32_e32 v114, v107, v172
	v_fma_f32 v74, v97, v161, -v74
	v_fmac_f32_e32 v114, v108, v171
	v_add_f32_e32 v73, v73, v74
	v_mul_f32_e32 v74, v100, v164
	v_add_f32_e32 v113, v113, v114
	s_waitcnt vmcnt(24) lgkmcnt(0)
	v_mul_f32_e32 v114, v109, v174
	v_fma_f32 v74, v99, v163, -v74
	v_fmac_f32_e32 v114, v110, v173
	v_add_f32_e32 v73, v73, v74
	v_mul_f32_e32 v74, v102, v166
	v_add_f32_e32 v117, v113, v114
	ds_read_b128 v[113:116], v72 offset:480
	v_fma_f32 v74, v101, v165, -v74
	v_add_f32_e32 v73, v73, v74
	v_mul_f32_e32 v74, v104, v168
	s_waitcnt vmcnt(22)
	v_mul_f32_e32 v118, v111, v176
	v_fma_f32 v74, v103, v167, -v74
	v_fmac_f32_e32 v118, v112, v175
	v_add_f32_e32 v73, v73, v74
	v_mul_f32_e32 v74, v106, v170
	v_add_f32_e32 v121, v117, v118
	ds_read_b128 v[117:120], v72 offset:496
	v_fma_f32 v74, v105, v169, -v74
	s_waitcnt vmcnt(20) lgkmcnt(1)
	v_mul_f32_e32 v122, v113, v178
	v_add_f32_e32 v73, v73, v74
	v_mul_f32_e32 v74, v108, v172
	v_fmac_f32_e32 v122, v114, v177
	v_fma_f32 v74, v107, v171, -v74
	v_add_f32_e32 v121, v121, v122
	s_waitcnt vmcnt(18)
	v_mul_f32_e32 v122, v115, v180
	v_add_f32_e32 v73, v73, v74
	v_mul_f32_e32 v74, v110, v174
	v_fmac_f32_e32 v122, v116, v179
	v_fma_f32 v74, v109, v173, -v74
	v_add_f32_e32 v121, v121, v122
	s_waitcnt vmcnt(16) lgkmcnt(0)
	v_mul_f32_e32 v122, v117, v182
	v_add_f32_e32 v73, v73, v74
	v_mul_f32_e32 v74, v112, v176
	v_fmac_f32_e32 v122, v118, v181
	v_fma_f32 v74, v111, v175, -v74
	v_add_f32_e32 v125, v121, v122
	ds_read_b128 v[121:124], v72 offset:512
	v_add_f32_e32 v73, v73, v74
	v_mul_f32_e32 v74, v114, v178
	v_fma_f32 v74, v113, v177, -v74
	s_waitcnt vmcnt(14)
	v_mul_f32_e32 v126, v119, v184
	v_add_f32_e32 v73, v73, v74
	v_mul_f32_e32 v74, v116, v180
	v_fmac_f32_e32 v126, v120, v183
	v_fma_f32 v74, v115, v179, -v74
	v_add_f32_e32 v129, v125, v126
	ds_read_b128 v[125:128], v72 offset:528
	v_add_f32_e32 v73, v73, v74
	v_mul_f32_e32 v74, v118, v182
	s_waitcnt vmcnt(12) lgkmcnt(1)
	v_mul_f32_e32 v130, v121, v186
	v_fma_f32 v74, v117, v181, -v74
	v_fmac_f32_e32 v130, v122, v185
	v_add_f32_e32 v73, v73, v74
	v_mul_f32_e32 v74, v120, v184
	v_add_f32_e32 v129, v129, v130
	s_waitcnt vmcnt(10)
	v_mul_f32_e32 v130, v123, v188
	v_fma_f32 v74, v119, v183, -v74
	v_fmac_f32_e32 v130, v124, v187
	v_add_f32_e32 v73, v73, v74
	v_mul_f32_e32 v74, v122, v186
	v_add_f32_e32 v129, v129, v130
	s_waitcnt vmcnt(8) lgkmcnt(0)
	v_mul_f32_e32 v130, v125, v190
	v_fma_f32 v74, v121, v185, -v74
	v_fmac_f32_e32 v130, v126, v189
	v_add_f32_e32 v73, v73, v74
	v_mul_f32_e32 v74, v124, v188
	v_add_f32_e32 v133, v129, v130
	ds_read_b128 v[129:132], v72 offset:544
	v_fma_f32 v74, v123, v187, -v74
	v_add_f32_e32 v73, v73, v74
	v_mul_f32_e32 v74, v126, v190
	s_waitcnt vmcnt(6)
	v_mul_f32_e32 v134, v127, v192
	v_fma_f32 v74, v125, v189, -v74
	v_fmac_f32_e32 v134, v128, v191
	v_add_f32_e32 v73, v73, v74
	v_mul_f32_e32 v74, v128, v192
	v_add_f32_e32 v199, v133, v134
	ds_read_b64 v[133:134], v72 offset:560
	v_fma_f32 v74, v127, v191, -v74
	v_add_f32_e32 v73, v73, v74
	s_waitcnt vmcnt(4) lgkmcnt(1)
	v_mul_f32_e32 v74, v130, v194
	v_mul_f32_e32 v200, v129, v194
	v_fma_f32 v74, v129, v193, -v74
	v_fmac_f32_e32 v200, v130, v193
	v_add_f32_e32 v73, v73, v74
	s_waitcnt vmcnt(3)
	v_mul_f32_e32 v74, v132, v195
	v_add_f32_e32 v199, v199, v200
	v_mul_f32_e32 v200, v131, v195
	s_waitcnt vmcnt(2)
	v_fma_f32 v74, v131, v196, -v74
	v_fmac_f32_e32 v200, v132, v196
	v_add_f32_e32 v73, v73, v74
	s_waitcnt vmcnt(0) lgkmcnt(0)
	v_mul_f32_e32 v74, v134, v198
	v_add_f32_e32 v199, v199, v200
	v_mul_f32_e32 v200, v133, v198
	v_fma_f32 v74, v133, v197, -v74
	v_fmac_f32_e32 v200, v134, v197
	v_add_f32_e32 v73, v73, v74
	v_add_f32_e32 v199, v199, v200
	v_sub_f32_e32 v73, v157, v73
	v_sub_f32_e32 v74, v158, v199
	buffer_store_dword v73, off, s[0:3], 0 offset:24
	buffer_store_dword v74, off, s[0:3], 0 offset:28
	s_and_saveexec_b64 s[4:5], vcc
	s_cbranch_execz .LBB34_219
; %bb.218:
	buffer_load_dword v73, off, s[0:3], 0 offset:16
	buffer_load_dword v74, off, s[0:3], 0 offset:20
	s_waitcnt vmcnt(0)
	ds_write_b64 v71, v[73:74]
	buffer_store_dword v72, off, s[0:3], 0 offset:16
	buffer_store_dword v72, off, s[0:3], 0 offset:20
.LBB34_219:
	s_or_b64 exec, exec, s[4:5]
	s_waitcnt lgkmcnt(0)
	; wave barrier
	buffer_load_dword v137, off, s[0:3], 0 offset:28
	buffer_load_dword v138, off, s[0:3], 0 offset:36
	;; [unrolled: 1-line block ×26, first 2 shown]
	ds_read2_b64 v[73:76], v72 offset0:39 offset1:40
	ds_read2_b64 v[77:80], v72 offset0:41 offset1:42
	;; [unrolled: 1-line block ×4, first 2 shown]
	buffer_load_dword v163, off, s[0:3], 0 offset:124
	buffer_load_dword v164, off, s[0:3], 0 offset:120
	;; [unrolled: 1-line block ×34, first 2 shown]
	v_cmp_lt_u32_e32 vcc, 1, v0
	s_waitcnt vmcnt(59) lgkmcnt(3)
	v_mul_f32_e32 v89, v73, v137
	s_waitcnt vmcnt(58)
	v_mul_f32_e32 v90, v75, v138
	s_waitcnt vmcnt(57) lgkmcnt(2)
	v_mul_f32_e32 v91, v77, v139
	s_waitcnt vmcnt(56)
	v_mul_f32_e32 v92, v79, v140
	;; [unrolled: 4-line block ×4, first 2 shown]
	s_waitcnt vmcnt(51)
	v_fmac_f32_e32 v89, v74, v145
	s_waitcnt vmcnt(50)
	v_fmac_f32_e32 v90, v76, v146
	v_add_f32_e32 v89, 0, v89
	s_waitcnt vmcnt(49)
	v_fmac_f32_e32 v91, v78, v147
	v_add_f32_e32 v89, v89, v90
	s_waitcnt vmcnt(48)
	v_fmac_f32_e32 v92, v80, v148
	v_add_f32_e32 v89, v89, v91
	s_waitcnt vmcnt(47)
	v_fmac_f32_e32 v93, v82, v149
	v_add_f32_e32 v89, v89, v92
	s_waitcnt vmcnt(46)
	v_fmac_f32_e32 v94, v84, v150
	v_add_f32_e32 v89, v89, v93
	s_waitcnt vmcnt(45)
	v_fmac_f32_e32 v95, v86, v151
	v_add_f32_e32 v89, v89, v94
	s_waitcnt vmcnt(44)
	v_fmac_f32_e32 v96, v88, v152
	v_add_f32_e32 v89, v89, v95
	v_add_f32_e32 v97, v89, v96
	ds_read2_b64 v[89:92], v72 offset0:47 offset1:48
	buffer_load_dword v197, off, s[0:3], 0 offset:260
	buffer_load_dword v198, off, s[0:3], 0 offset:256
	;; [unrolled: 1-line block ×4, first 2 shown]
	ds_read2_b64 v[93:96], v72 offset0:49 offset1:50
	buffer_load_dword v201, off, s[0:3], 0 offset:272
	buffer_load_dword v202, off, s[0:3], 0 offset:276
	v_mul_f32_e32 v74, v74, v137
	s_waitcnt vmcnt(49) lgkmcnt(1)
	v_mul_f32_e32 v98, v89, v153
	s_waitcnt vmcnt(48)
	v_fmac_f32_e32 v98, v90, v154
	v_fma_f32 v73, v73, v145, -v74
	v_mul_f32_e32 v74, v76, v138
	v_add_f32_e32 v97, v97, v98
	s_waitcnt vmcnt(46)
	v_mul_f32_e32 v98, v91, v156
	v_add_f32_e32 v73, 0, v73
	v_fma_f32 v74, v75, v146, -v74
	v_fmac_f32_e32 v98, v92, v155
	v_add_f32_e32 v73, v73, v74
	v_mul_f32_e32 v74, v78, v139
	v_add_f32_e32 v97, v97, v98
	s_waitcnt vmcnt(43) lgkmcnt(0)
	v_mul_f32_e32 v98, v93, v159
	v_fma_f32 v74, v77, v147, -v74
	s_waitcnt vmcnt(42)
	v_fmac_f32_e32 v98, v94, v160
	v_add_f32_e32 v73, v73, v74
	v_mul_f32_e32 v74, v80, v140
	v_add_f32_e32 v101, v97, v98
	ds_read2_b64 v[97:100], v72 offset0:51 offset1:52
	v_fma_f32 v74, v79, v148, -v74
	v_add_f32_e32 v73, v73, v74
	v_mul_f32_e32 v74, v82, v141
	s_waitcnt vmcnt(40)
	v_mul_f32_e32 v102, v95, v162
	v_fma_f32 v74, v81, v149, -v74
	v_fmac_f32_e32 v102, v96, v161
	v_add_f32_e32 v73, v73, v74
	v_mul_f32_e32 v74, v84, v142
	v_add_f32_e32 v105, v101, v102
	ds_read2_b64 v[101:104], v72 offset0:53 offset1:54
	v_fma_f32 v74, v83, v150, -v74
	s_waitcnt vmcnt(39) lgkmcnt(1)
	v_mul_f32_e32 v106, v97, v163
	v_add_f32_e32 v73, v73, v74
	v_mul_f32_e32 v74, v86, v143
	s_waitcnt vmcnt(38)
	v_fmac_f32_e32 v106, v98, v164
	v_fma_f32 v74, v85, v151, -v74
	v_add_f32_e32 v105, v105, v106
	s_waitcnt vmcnt(36)
	v_mul_f32_e32 v106, v99, v166
	v_add_f32_e32 v73, v73, v74
	v_mul_f32_e32 v74, v88, v144
	v_fmac_f32_e32 v106, v100, v165
	v_fma_f32 v74, v87, v152, -v74
	v_add_f32_e32 v105, v105, v106
	s_waitcnt vmcnt(34) lgkmcnt(0)
	v_mul_f32_e32 v106, v101, v168
	v_add_f32_e32 v73, v73, v74
	v_mul_f32_e32 v74, v90, v153
	v_fmac_f32_e32 v106, v102, v167
	v_fma_f32 v74, v89, v154, -v74
	v_add_f32_e32 v109, v105, v106
	ds_read2_b64 v[105:108], v72 offset0:55 offset1:56
	v_add_f32_e32 v73, v73, v74
	v_mul_f32_e32 v74, v92, v156
	v_fma_f32 v74, v91, v155, -v74
	s_waitcnt vmcnt(32)
	v_mul_f32_e32 v110, v103, v170
	v_add_f32_e32 v73, v73, v74
	v_mul_f32_e32 v74, v94, v159
	v_fmac_f32_e32 v110, v104, v169
	v_fma_f32 v74, v93, v160, -v74
	v_add_f32_e32 v113, v109, v110
	ds_read2_b64 v[109:112], v72 offset0:57 offset1:58
	v_add_f32_e32 v73, v73, v74
	v_mul_f32_e32 v74, v96, v162
	s_waitcnt vmcnt(30) lgkmcnt(1)
	v_mul_f32_e32 v114, v105, v172
	v_fma_f32 v74, v95, v161, -v74
	v_fmac_f32_e32 v114, v106, v171
	v_add_f32_e32 v73, v73, v74
	v_mul_f32_e32 v74, v98, v163
	v_add_f32_e32 v113, v113, v114
	s_waitcnt vmcnt(28)
	v_mul_f32_e32 v114, v107, v174
	v_fma_f32 v74, v97, v164, -v74
	v_fmac_f32_e32 v114, v108, v173
	v_add_f32_e32 v73, v73, v74
	v_mul_f32_e32 v74, v100, v166
	v_add_f32_e32 v113, v113, v114
	s_waitcnt vmcnt(26) lgkmcnt(0)
	v_mul_f32_e32 v114, v109, v176
	v_fma_f32 v74, v99, v165, -v74
	v_fmac_f32_e32 v114, v110, v175
	v_add_f32_e32 v73, v73, v74
	v_mul_f32_e32 v74, v102, v168
	v_add_f32_e32 v117, v113, v114
	ds_read2_b64 v[113:116], v72 offset0:59 offset1:60
	v_fma_f32 v74, v101, v167, -v74
	v_add_f32_e32 v73, v73, v74
	v_mul_f32_e32 v74, v104, v170
	s_waitcnt vmcnt(24)
	v_mul_f32_e32 v118, v111, v178
	v_fma_f32 v74, v103, v169, -v74
	v_fmac_f32_e32 v118, v112, v177
	v_add_f32_e32 v73, v73, v74
	v_mul_f32_e32 v74, v106, v172
	v_add_f32_e32 v121, v117, v118
	ds_read2_b64 v[117:120], v72 offset0:61 offset1:62
	v_fma_f32 v74, v105, v171, -v74
	s_waitcnt vmcnt(22) lgkmcnt(1)
	v_mul_f32_e32 v122, v113, v180
	v_add_f32_e32 v73, v73, v74
	v_mul_f32_e32 v74, v108, v174
	v_fmac_f32_e32 v122, v114, v179
	v_fma_f32 v74, v107, v173, -v74
	v_add_f32_e32 v121, v121, v122
	s_waitcnt vmcnt(20)
	v_mul_f32_e32 v122, v115, v182
	v_add_f32_e32 v73, v73, v74
	v_mul_f32_e32 v74, v110, v176
	v_fmac_f32_e32 v122, v116, v181
	v_fma_f32 v74, v109, v175, -v74
	v_add_f32_e32 v121, v121, v122
	s_waitcnt vmcnt(18) lgkmcnt(0)
	v_mul_f32_e32 v122, v117, v184
	v_add_f32_e32 v73, v73, v74
	v_mul_f32_e32 v74, v112, v178
	v_fmac_f32_e32 v122, v118, v183
	v_fma_f32 v74, v111, v177, -v74
	v_add_f32_e32 v125, v121, v122
	ds_read2_b64 v[121:124], v72 offset0:63 offset1:64
	v_add_f32_e32 v73, v73, v74
	v_mul_f32_e32 v74, v114, v180
	v_fma_f32 v74, v113, v179, -v74
	s_waitcnt vmcnt(16)
	v_mul_f32_e32 v126, v119, v186
	v_add_f32_e32 v73, v73, v74
	v_mul_f32_e32 v74, v116, v182
	v_fmac_f32_e32 v126, v120, v185
	v_fma_f32 v74, v115, v181, -v74
	v_add_f32_e32 v129, v125, v126
	ds_read2_b64 v[125:128], v72 offset0:65 offset1:66
	v_add_f32_e32 v73, v73, v74
	v_mul_f32_e32 v74, v118, v184
	s_waitcnt vmcnt(14) lgkmcnt(1)
	v_mul_f32_e32 v130, v121, v188
	v_fma_f32 v74, v117, v183, -v74
	v_fmac_f32_e32 v130, v122, v187
	v_add_f32_e32 v73, v73, v74
	v_mul_f32_e32 v74, v120, v186
	v_add_f32_e32 v129, v129, v130
	s_waitcnt vmcnt(12)
	v_mul_f32_e32 v130, v123, v190
	v_fma_f32 v74, v119, v185, -v74
	v_fmac_f32_e32 v130, v124, v189
	v_add_f32_e32 v73, v73, v74
	v_mul_f32_e32 v74, v122, v188
	v_add_f32_e32 v129, v129, v130
	s_waitcnt vmcnt(10) lgkmcnt(0)
	v_mul_f32_e32 v130, v125, v192
	v_fma_f32 v74, v121, v187, -v74
	v_fmac_f32_e32 v130, v126, v191
	v_add_f32_e32 v73, v73, v74
	v_mul_f32_e32 v74, v124, v190
	v_add_f32_e32 v133, v129, v130
	ds_read2_b64 v[129:132], v72 offset0:67 offset1:68
	v_fma_f32 v74, v123, v189, -v74
	v_add_f32_e32 v73, v73, v74
	v_mul_f32_e32 v74, v126, v192
	s_waitcnt vmcnt(8)
	v_mul_f32_e32 v134, v127, v194
	v_fma_f32 v74, v125, v191, -v74
	v_fmac_f32_e32 v134, v128, v193
	v_add_f32_e32 v73, v73, v74
	v_mul_f32_e32 v74, v128, v194
	v_add_f32_e32 v203, v133, v134
	ds_read2_b64 v[133:136], v72 offset0:69 offset1:70
	v_fma_f32 v74, v127, v193, -v74
	v_add_f32_e32 v73, v73, v74
	s_waitcnt vmcnt(6) lgkmcnt(1)
	v_mul_f32_e32 v74, v130, v196
	v_mul_f32_e32 v72, v129, v196
	v_fma_f32 v74, v129, v195, -v74
	v_fmac_f32_e32 v72, v130, v195
	v_add_f32_e32 v73, v73, v74
	s_waitcnt vmcnt(5)
	v_mul_f32_e32 v74, v132, v197
	v_add_f32_e32 v72, v203, v72
	v_mul_f32_e32 v203, v131, v197
	s_waitcnt vmcnt(4)
	v_fma_f32 v74, v131, v198, -v74
	v_fmac_f32_e32 v203, v132, v198
	v_add_f32_e32 v73, v73, v74
	s_waitcnt vmcnt(2) lgkmcnt(0)
	v_mul_f32_e32 v74, v134, v200
	v_add_f32_e32 v72, v72, v203
	v_mul_f32_e32 v203, v133, v200
	v_fma_f32 v74, v133, v199, -v74
	v_fmac_f32_e32 v203, v134, v199
	v_add_f32_e32 v73, v73, v74
	s_waitcnt vmcnt(0)
	v_mul_f32_e32 v74, v136, v202
	v_add_f32_e32 v72, v72, v203
	v_mul_f32_e32 v203, v135, v202
	v_fma_f32 v74, v135, v201, -v74
	v_fmac_f32_e32 v203, v136, v201
	v_add_f32_e32 v73, v73, v74
	v_add_f32_e32 v72, v72, v203
	v_sub_f32_e32 v73, v157, v73
	v_sub_f32_e32 v72, v158, v72
	buffer_store_dword v73, off, s[0:3], 0 offset:16
	buffer_store_dword v72, off, s[0:3], 0 offset:20
	s_and_saveexec_b64 s[4:5], vcc
	s_cbranch_execz .LBB34_221
; %bb.220:
	buffer_load_dword v72, off, s[0:3], 0 offset:8
	buffer_load_dword v73, off, s[0:3], 0 offset:12
	v_mov_b32_e32 v74, 0
	buffer_store_dword v74, off, s[0:3], 0 offset:8
	buffer_store_dword v74, off, s[0:3], 0 offset:12
	s_waitcnt vmcnt(2)
	ds_write_b64 v71, v[72:73]
.LBB34_221:
	s_or_b64 exec, exec, s[4:5]
	s_waitcnt lgkmcnt(0)
	; wave barrier
	buffer_load_dword v139, off, s[0:3], 0 offset:20
	buffer_load_dword v140, off, s[0:3], 0 offset:28
	;; [unrolled: 1-line block ×58, first 2 shown]
	v_mov_b32_e32 v72, 0
	ds_read_b128 v[73:76], v72 offset:304
	ds_read_b128 v[77:80], v72 offset:320
	;; [unrolled: 1-line block ×5, first 2 shown]
	buffer_load_dword v197, off, s[0:3], 0 offset:240
	buffer_load_dword v198, off, s[0:3], 0 offset:244
	v_cmp_ne_u32_e32 vcc, 0, v0
	s_waitcnt vmcnt(59) lgkmcnt(4)
	v_mul_f32_e32 v93, v73, v139
	s_waitcnt vmcnt(58)
	v_mul_f32_e32 v94, v75, v140
	s_waitcnt vmcnt(57) lgkmcnt(3)
	v_mul_f32_e32 v95, v77, v141
	s_waitcnt vmcnt(56)
	v_mul_f32_e32 v96, v79, v142
	;; [unrolled: 4-line block ×4, first 2 shown]
	s_waitcnt vmcnt(51)
	v_fmac_f32_e32 v93, v74, v147
	s_waitcnt vmcnt(50)
	v_fmac_f32_e32 v94, v76, v148
	v_add_f32_e32 v93, 0, v93
	s_waitcnt vmcnt(49)
	v_fmac_f32_e32 v95, v78, v149
	v_add_f32_e32 v93, v93, v94
	;; [unrolled: 3-line block ×7, first 2 shown]
	v_add_f32_e32 v97, v93, v100
	ds_read_b128 v[93:96], v72 offset:384
	buffer_load_dword v199, off, s[0:3], 0 offset:252
	buffer_load_dword v200, off, s[0:3], 0 offset:248
	;; [unrolled: 1-line block ×8, first 2 shown]
	s_waitcnt vmcnt(51) lgkmcnt(1)
	v_mul_f32_e32 v98, v89, v155
	s_waitcnt vmcnt(50)
	v_fmac_f32_e32 v98, v90, v156
	v_mul_f32_e32 v74, v74, v139
	v_add_f32_e32 v97, v97, v98
	s_waitcnt vmcnt(49)
	v_mul_f32_e32 v98, v91, v157
	v_fma_f32 v73, v73, v147, -v74
	v_mul_f32_e32 v74, v76, v140
	s_waitcnt vmcnt(46)
	v_fmac_f32_e32 v98, v92, v160
	v_add_f32_e32 v73, 0, v73
	v_fma_f32 v74, v75, v148, -v74
	v_add_f32_e32 v97, v97, v98
	s_waitcnt vmcnt(44) lgkmcnt(0)
	v_mul_f32_e32 v98, v93, v162
	v_add_f32_e32 v73, v73, v74
	v_mul_f32_e32 v74, v78, v141
	v_fmac_f32_e32 v98, v94, v161
	v_fma_f32 v74, v77, v149, -v74
	v_add_f32_e32 v101, v97, v98
	ds_read_b128 v[97:100], v72 offset:400
	v_add_f32_e32 v73, v73, v74
	v_mul_f32_e32 v74, v80, v142
	v_fma_f32 v74, v79, v150, -v74
	s_waitcnt vmcnt(42)
	v_mul_f32_e32 v102, v95, v164
	v_add_f32_e32 v73, v73, v74
	v_mul_f32_e32 v74, v82, v143
	v_fmac_f32_e32 v102, v96, v163
	v_fma_f32 v74, v81, v151, -v74
	v_add_f32_e32 v105, v101, v102
	ds_read_b128 v[101:104], v72 offset:416
	v_add_f32_e32 v73, v73, v74
	v_mul_f32_e32 v74, v84, v144
	s_waitcnt vmcnt(40) lgkmcnt(1)
	v_mul_f32_e32 v106, v97, v166
	v_fma_f32 v74, v83, v152, -v74
	v_fmac_f32_e32 v106, v98, v165
	v_add_f32_e32 v73, v73, v74
	v_mul_f32_e32 v74, v86, v145
	v_add_f32_e32 v105, v105, v106
	s_waitcnt vmcnt(38)
	v_mul_f32_e32 v106, v99, v168
	v_fma_f32 v74, v85, v153, -v74
	v_fmac_f32_e32 v106, v100, v167
	v_add_f32_e32 v73, v73, v74
	v_mul_f32_e32 v74, v88, v146
	v_add_f32_e32 v105, v105, v106
	s_waitcnt vmcnt(36) lgkmcnt(0)
	v_mul_f32_e32 v106, v101, v170
	v_fma_f32 v74, v87, v154, -v74
	v_fmac_f32_e32 v106, v102, v169
	v_add_f32_e32 v73, v73, v74
	v_mul_f32_e32 v74, v90, v155
	v_add_f32_e32 v109, v105, v106
	ds_read_b128 v[105:108], v72 offset:432
	v_fma_f32 v74, v89, v156, -v74
	v_add_f32_e32 v73, v73, v74
	v_mul_f32_e32 v74, v92, v157
	s_waitcnt vmcnt(34)
	v_mul_f32_e32 v110, v103, v172
	v_fma_f32 v74, v91, v160, -v74
	v_fmac_f32_e32 v110, v104, v171
	v_add_f32_e32 v73, v73, v74
	v_mul_f32_e32 v74, v94, v162
	v_add_f32_e32 v113, v109, v110
	ds_read_b128 v[109:112], v72 offset:448
	v_fma_f32 v74, v93, v161, -v74
	s_waitcnt vmcnt(32) lgkmcnt(1)
	v_mul_f32_e32 v114, v105, v174
	v_add_f32_e32 v73, v73, v74
	v_mul_f32_e32 v74, v96, v164
	v_fmac_f32_e32 v114, v106, v173
	v_fma_f32 v74, v95, v163, -v74
	v_add_f32_e32 v113, v113, v114
	s_waitcnt vmcnt(30)
	v_mul_f32_e32 v114, v107, v176
	v_add_f32_e32 v73, v73, v74
	v_mul_f32_e32 v74, v98, v166
	v_fmac_f32_e32 v114, v108, v175
	v_fma_f32 v74, v97, v165, -v74
	v_add_f32_e32 v113, v113, v114
	s_waitcnt vmcnt(28) lgkmcnt(0)
	v_mul_f32_e32 v114, v109, v178
	v_add_f32_e32 v73, v73, v74
	v_mul_f32_e32 v74, v100, v168
	v_fmac_f32_e32 v114, v110, v177
	v_fma_f32 v74, v99, v167, -v74
	v_add_f32_e32 v117, v113, v114
	ds_read_b128 v[113:116], v72 offset:464
	v_add_f32_e32 v73, v73, v74
	v_mul_f32_e32 v74, v102, v170
	v_fma_f32 v74, v101, v169, -v74
	s_waitcnt vmcnt(26)
	v_mul_f32_e32 v118, v111, v180
	v_add_f32_e32 v73, v73, v74
	v_mul_f32_e32 v74, v104, v172
	v_fmac_f32_e32 v118, v112, v179
	v_fma_f32 v74, v103, v171, -v74
	v_add_f32_e32 v121, v117, v118
	ds_read_b128 v[117:120], v72 offset:480
	v_add_f32_e32 v73, v73, v74
	v_mul_f32_e32 v74, v106, v174
	s_waitcnt vmcnt(24) lgkmcnt(1)
	v_mul_f32_e32 v122, v113, v182
	v_fma_f32 v74, v105, v173, -v74
	v_fmac_f32_e32 v122, v114, v181
	v_add_f32_e32 v73, v73, v74
	v_mul_f32_e32 v74, v108, v176
	v_add_f32_e32 v121, v121, v122
	s_waitcnt vmcnt(22)
	v_mul_f32_e32 v122, v115, v184
	v_fma_f32 v74, v107, v175, -v74
	v_fmac_f32_e32 v122, v116, v183
	v_add_f32_e32 v73, v73, v74
	v_mul_f32_e32 v74, v110, v178
	v_add_f32_e32 v121, v121, v122
	s_waitcnt vmcnt(20) lgkmcnt(0)
	v_mul_f32_e32 v122, v117, v186
	v_fma_f32 v74, v109, v177, -v74
	v_fmac_f32_e32 v122, v118, v185
	v_add_f32_e32 v73, v73, v74
	v_mul_f32_e32 v74, v112, v180
	v_add_f32_e32 v125, v121, v122
	ds_read_b128 v[121:124], v72 offset:496
	v_fma_f32 v74, v111, v179, -v74
	v_add_f32_e32 v73, v73, v74
	v_mul_f32_e32 v74, v114, v182
	s_waitcnt vmcnt(18)
	v_mul_f32_e32 v126, v119, v188
	v_fma_f32 v74, v113, v181, -v74
	v_fmac_f32_e32 v126, v120, v187
	v_add_f32_e32 v73, v73, v74
	v_mul_f32_e32 v74, v116, v184
	v_add_f32_e32 v129, v125, v126
	ds_read_b128 v[125:128], v72 offset:512
	v_fma_f32 v74, v115, v183, -v74
	s_waitcnt vmcnt(16) lgkmcnt(1)
	v_mul_f32_e32 v130, v121, v190
	v_add_f32_e32 v73, v73, v74
	v_mul_f32_e32 v74, v118, v186
	v_fmac_f32_e32 v130, v122, v189
	v_fma_f32 v74, v117, v185, -v74
	v_add_f32_e32 v129, v129, v130
	s_waitcnt vmcnt(14)
	v_mul_f32_e32 v130, v123, v192
	v_add_f32_e32 v73, v73, v74
	v_mul_f32_e32 v74, v120, v188
	v_fmac_f32_e32 v130, v124, v191
	v_fma_f32 v74, v119, v187, -v74
	v_add_f32_e32 v129, v129, v130
	s_waitcnt vmcnt(12) lgkmcnt(0)
	v_mul_f32_e32 v130, v125, v194
	v_add_f32_e32 v73, v73, v74
	v_mul_f32_e32 v74, v122, v190
	v_fmac_f32_e32 v130, v126, v193
	v_fma_f32 v74, v121, v189, -v74
	v_add_f32_e32 v133, v129, v130
	ds_read_b128 v[129:132], v72 offset:528
	v_add_f32_e32 v73, v73, v74
	v_mul_f32_e32 v74, v124, v192
	v_fma_f32 v74, v123, v191, -v74
	v_add_f32_e32 v73, v73, v74
	v_mul_f32_e32 v74, v126, v194
	s_waitcnt vmcnt(10)
	v_mul_f32_e32 v134, v127, v196
	v_fma_f32 v74, v125, v193, -v74
	v_fmac_f32_e32 v134, v128, v195
	v_add_f32_e32 v73, v73, v74
	v_mul_f32_e32 v74, v128, v196
	v_add_f32_e32 v137, v133, v134
	ds_read_b128 v[133:136], v72 offset:544
	s_waitcnt vmcnt(8) lgkmcnt(1)
	v_mul_f32_e32 v138, v129, v198
	v_fma_f32 v74, v127, v195, -v74
	v_fmac_f32_e32 v138, v130, v197
	v_add_f32_e32 v73, v73, v74
	v_mul_f32_e32 v74, v130, v198
	v_add_f32_e32 v137, v137, v138
	s_waitcnt vmcnt(7)
	v_mul_f32_e32 v138, v131, v199
	v_fma_f32 v74, v129, v197, -v74
	s_waitcnt vmcnt(6)
	v_fmac_f32_e32 v138, v132, v200
	v_add_f32_e32 v73, v73, v74
	v_mul_f32_e32 v74, v132, v199
	v_add_f32_e32 v207, v137, v138
	ds_read_b64 v[137:138], v72 offset:560
	v_fma_f32 v74, v131, v200, -v74
	v_add_f32_e32 v73, v73, v74
	s_waitcnt vmcnt(4) lgkmcnt(1)
	v_mul_f32_e32 v74, v134, v202
	v_mul_f32_e32 v208, v133, v202
	v_fma_f32 v74, v133, v201, -v74
	v_fmac_f32_e32 v208, v134, v201
	v_add_f32_e32 v73, v73, v74
	s_waitcnt vmcnt(3)
	v_mul_f32_e32 v74, v136, v203
	v_add_f32_e32 v207, v207, v208
	v_mul_f32_e32 v208, v135, v203
	s_waitcnt vmcnt(2)
	v_fma_f32 v74, v135, v204, -v74
	v_fmac_f32_e32 v208, v136, v204
	v_add_f32_e32 v73, v73, v74
	s_waitcnt vmcnt(0) lgkmcnt(0)
	v_mul_f32_e32 v74, v138, v206
	v_add_f32_e32 v207, v207, v208
	v_mul_f32_e32 v208, v137, v206
	v_fma_f32 v74, v137, v205, -v74
	v_fmac_f32_e32 v208, v138, v205
	v_add_f32_e32 v73, v73, v74
	v_add_f32_e32 v207, v207, v208
	v_sub_f32_e32 v73, v158, v73
	v_sub_f32_e32 v74, v159, v207
	buffer_store_dword v73, off, s[0:3], 0 offset:8
	buffer_store_dword v74, off, s[0:3], 0 offset:12
	s_and_saveexec_b64 s[4:5], vcc
	s_cbranch_execz .LBB34_223
; %bb.222:
	buffer_load_dword v73, off, s[0:3], 0
	buffer_load_dword v74, off, s[0:3], 0 offset:4
	s_waitcnt vmcnt(0)
	ds_write_b64 v71, v[73:74]
	buffer_store_dword v72, off, s[0:3], 0
	buffer_store_dword v72, off, s[0:3], 0 offset:4
.LBB34_223:
	s_or_b64 exec, exec, s[4:5]
	s_waitcnt lgkmcnt(0)
	; wave barrier
	buffer_load_dword v0, off, s[0:3], 0 offset:12
	buffer_load_dword v71, off, s[0:3], 0 offset:20
	buffer_load_dword v141, off, s[0:3], 0 offset:28
	buffer_load_dword v142, off, s[0:3], 0 offset:36
	buffer_load_dword v143, off, s[0:3], 0 offset:44
	buffer_load_dword v144, off, s[0:3], 0 offset:52
	buffer_load_dword v145, off, s[0:3], 0 offset:60
	buffer_load_dword v146, off, s[0:3], 0 offset:68
	buffer_load_dword v147, off, s[0:3], 0 offset:8
	buffer_load_dword v148, off, s[0:3], 0 offset:16
	buffer_load_dword v149, off, s[0:3], 0 offset:24
	buffer_load_dword v150, off, s[0:3], 0 offset:32
	buffer_load_dword v151, off, s[0:3], 0 offset:40
	buffer_load_dword v152, off, s[0:3], 0 offset:48
	buffer_load_dword v153, off, s[0:3], 0 offset:56
	buffer_load_dword v154, off, s[0:3], 0 offset:64
	buffer_load_dword v155, off, s[0:3], 0 offset:76
	buffer_load_dword v156, off, s[0:3], 0 offset:72
	buffer_load_dword v157, off, s[0:3], 0 offset:84
	buffer_load_dword v158, off, s[0:3], 0 offset:80
	buffer_load_dword v159, off, s[0:3], 0
	buffer_load_dword v160, off, s[0:3], 0 offset:4
	buffer_load_dword v161, off, s[0:3], 0 offset:92
	;; [unrolled: 1-line block ×3, first 2 shown]
	ds_read2_b64 v[73:76], v72 offset0:37 offset1:38
	ds_read2_b64 v[77:80], v72 offset0:39 offset1:40
	;; [unrolled: 1-line block ×6, first 2 shown]
	buffer_load_dword v163, off, s[0:3], 0 offset:100
	buffer_load_dword v164, off, s[0:3], 0 offset:96
	;; [unrolled: 1-line block ×46, first 2 shown]
	s_and_b64 vcc, exec, s[22:23]
	s_waitcnt vmcnt(62) lgkmcnt(5)
	v_mul_f32_e32 v97, v73, v0
	v_mul_f32_e32 v98, v75, v71
	s_waitcnt lgkmcnt(4)
	v_mul_f32_e32 v99, v77, v141
	v_mul_f32_e32 v100, v79, v142
	s_waitcnt lgkmcnt(3)
	;; [unrolled: 3-line block ×3, first 2 shown]
	v_mul_f32_e32 v103, v85, v145
	v_mul_f32_e32 v104, v87, v146
	s_waitcnt vmcnt(61)
	v_fmac_f32_e32 v97, v74, v147
	s_waitcnt vmcnt(60)
	v_fmac_f32_e32 v98, v76, v148
	v_add_f32_e32 v97, 0, v97
	s_waitcnt vmcnt(59)
	v_fmac_f32_e32 v99, v78, v149
	v_add_f32_e32 v97, v97, v98
	;; [unrolled: 3-line block ×7, first 2 shown]
	s_waitcnt vmcnt(53) lgkmcnt(1)
	v_mul_f32_e32 v98, v89, v155
	v_add_f32_e32 v97, v97, v104
	s_waitcnt vmcnt(52)
	v_fmac_f32_e32 v98, v90, v156
	v_mul_f32_e32 v0, v74, v0
	v_add_f32_e32 v97, v97, v98
	s_waitcnt vmcnt(51)
	v_mul_f32_e32 v98, v91, v157
	v_fma_f32 v0, v73, v147, -v0
	v_mul_f32_e32 v71, v76, v71
	s_waitcnt vmcnt(50)
	v_fmac_f32_e32 v98, v92, v158
	v_add_f32_e32 v0, 0, v0
	v_fma_f32 v71, v75, v148, -v71
	v_add_f32_e32 v97, v97, v98
	s_waitcnt vmcnt(47) lgkmcnt(0)
	v_mul_f32_e32 v98, v93, v161
	v_add_f32_e32 v0, v0, v71
	v_mul_f32_e32 v71, v78, v141
	s_waitcnt vmcnt(46)
	v_fmac_f32_e32 v98, v94, v162
	v_fma_f32 v71, v77, v149, -v71
	v_add_f32_e32 v101, v97, v98
	ds_read2_b64 v[97:100], v72 offset0:49 offset1:50
	v_add_f32_e32 v0, v0, v71
	v_mul_f32_e32 v71, v80, v142
	v_fma_f32 v71, v79, v150, -v71
	s_waitcnt vmcnt(45)
	v_mul_f32_e32 v102, v95, v163
	v_add_f32_e32 v0, v0, v71
	v_mul_f32_e32 v71, v82, v143
	s_waitcnt vmcnt(44)
	v_fmac_f32_e32 v102, v96, v164
	v_fma_f32 v71, v81, v151, -v71
	v_add_f32_e32 v105, v101, v102
	ds_read2_b64 v[101:104], v72 offset0:51 offset1:52
	v_add_f32_e32 v0, v0, v71
	v_mul_f32_e32 v71, v84, v144
	s_waitcnt vmcnt(42) lgkmcnt(1)
	v_mul_f32_e32 v106, v97, v166
	v_fma_f32 v71, v83, v152, -v71
	v_fmac_f32_e32 v106, v98, v165
	v_add_f32_e32 v0, v0, v71
	v_mul_f32_e32 v71, v86, v145
	v_add_f32_e32 v105, v105, v106
	s_waitcnt vmcnt(40)
	v_mul_f32_e32 v106, v99, v168
	v_fma_f32 v71, v85, v153, -v71
	v_fmac_f32_e32 v106, v100, v167
	v_add_f32_e32 v0, v0, v71
	v_mul_f32_e32 v71, v88, v146
	v_add_f32_e32 v105, v105, v106
	s_waitcnt vmcnt(38) lgkmcnt(0)
	v_mul_f32_e32 v106, v101, v170
	v_fma_f32 v71, v87, v154, -v71
	v_fmac_f32_e32 v106, v102, v169
	v_add_f32_e32 v0, v0, v71
	v_mul_f32_e32 v71, v90, v155
	v_add_f32_e32 v109, v105, v106
	ds_read2_b64 v[105:108], v72 offset0:53 offset1:54
	v_fma_f32 v71, v89, v156, -v71
	v_add_f32_e32 v0, v0, v71
	v_mul_f32_e32 v71, v92, v157
	s_waitcnt vmcnt(36)
	v_mul_f32_e32 v110, v103, v172
	v_fma_f32 v71, v91, v158, -v71
	v_fmac_f32_e32 v110, v104, v171
	v_add_f32_e32 v0, v0, v71
	v_mul_f32_e32 v71, v94, v161
	v_add_f32_e32 v113, v109, v110
	ds_read2_b64 v[109:112], v72 offset0:55 offset1:56
	v_fma_f32 v71, v93, v162, -v71
	s_waitcnt vmcnt(34) lgkmcnt(1)
	v_mul_f32_e32 v114, v105, v174
	v_add_f32_e32 v0, v0, v71
	v_mul_f32_e32 v71, v96, v163
	v_fmac_f32_e32 v114, v106, v173
	v_fma_f32 v71, v95, v164, -v71
	v_add_f32_e32 v113, v113, v114
	s_waitcnt vmcnt(32)
	v_mul_f32_e32 v114, v107, v176
	v_add_f32_e32 v0, v0, v71
	v_mul_f32_e32 v71, v98, v166
	v_fmac_f32_e32 v114, v108, v175
	v_fma_f32 v71, v97, v165, -v71
	v_add_f32_e32 v113, v113, v114
	s_waitcnt vmcnt(30) lgkmcnt(0)
	v_mul_f32_e32 v114, v109, v178
	v_add_f32_e32 v0, v0, v71
	v_mul_f32_e32 v71, v100, v168
	v_fmac_f32_e32 v114, v110, v177
	v_fma_f32 v71, v99, v167, -v71
	v_add_f32_e32 v117, v113, v114
	ds_read2_b64 v[113:116], v72 offset0:57 offset1:58
	v_add_f32_e32 v0, v0, v71
	v_mul_f32_e32 v71, v102, v170
	v_fma_f32 v71, v101, v169, -v71
	s_waitcnt vmcnt(28)
	v_mul_f32_e32 v118, v111, v180
	v_add_f32_e32 v0, v0, v71
	v_mul_f32_e32 v71, v104, v172
	v_fmac_f32_e32 v118, v112, v179
	v_fma_f32 v71, v103, v171, -v71
	v_add_f32_e32 v121, v117, v118
	ds_read2_b64 v[117:120], v72 offset0:59 offset1:60
	v_add_f32_e32 v0, v0, v71
	v_mul_f32_e32 v71, v106, v174
	s_waitcnt vmcnt(26) lgkmcnt(1)
	v_mul_f32_e32 v122, v113, v182
	v_fma_f32 v71, v105, v173, -v71
	v_fmac_f32_e32 v122, v114, v181
	v_add_f32_e32 v0, v0, v71
	v_mul_f32_e32 v71, v108, v176
	v_add_f32_e32 v121, v121, v122
	s_waitcnt vmcnt(24)
	v_mul_f32_e32 v122, v115, v184
	v_fma_f32 v71, v107, v175, -v71
	v_fmac_f32_e32 v122, v116, v183
	v_add_f32_e32 v0, v0, v71
	v_mul_f32_e32 v71, v110, v178
	v_add_f32_e32 v121, v121, v122
	s_waitcnt vmcnt(22) lgkmcnt(0)
	v_mul_f32_e32 v122, v117, v186
	v_fma_f32 v71, v109, v177, -v71
	v_fmac_f32_e32 v122, v118, v185
	v_add_f32_e32 v0, v0, v71
	v_mul_f32_e32 v71, v112, v180
	v_add_f32_e32 v125, v121, v122
	ds_read2_b64 v[121:124], v72 offset0:61 offset1:62
	v_fma_f32 v71, v111, v179, -v71
	v_add_f32_e32 v0, v0, v71
	v_mul_f32_e32 v71, v114, v182
	s_waitcnt vmcnt(20)
	v_mul_f32_e32 v126, v119, v188
	v_fma_f32 v71, v113, v181, -v71
	v_fmac_f32_e32 v126, v120, v187
	v_add_f32_e32 v0, v0, v71
	v_mul_f32_e32 v71, v116, v184
	v_add_f32_e32 v129, v125, v126
	ds_read2_b64 v[125:128], v72 offset0:63 offset1:64
	v_fma_f32 v71, v115, v183, -v71
	s_waitcnt vmcnt(18) lgkmcnt(1)
	v_mul_f32_e32 v130, v121, v190
	v_add_f32_e32 v0, v0, v71
	v_mul_f32_e32 v71, v118, v186
	v_fmac_f32_e32 v130, v122, v189
	v_fma_f32 v71, v117, v185, -v71
	v_add_f32_e32 v129, v129, v130
	s_waitcnt vmcnt(16)
	v_mul_f32_e32 v130, v123, v192
	v_add_f32_e32 v0, v0, v71
	v_mul_f32_e32 v71, v120, v188
	v_fmac_f32_e32 v130, v124, v191
	v_fma_f32 v71, v119, v187, -v71
	v_add_f32_e32 v129, v129, v130
	s_waitcnt vmcnt(14) lgkmcnt(0)
	v_mul_f32_e32 v130, v125, v194
	v_add_f32_e32 v0, v0, v71
	v_mul_f32_e32 v71, v122, v190
	v_fmac_f32_e32 v130, v126, v193
	v_fma_f32 v71, v121, v189, -v71
	v_add_f32_e32 v133, v129, v130
	ds_read2_b64 v[129:132], v72 offset0:65 offset1:66
	v_add_f32_e32 v0, v0, v71
	v_mul_f32_e32 v71, v124, v192
	v_fma_f32 v71, v123, v191, -v71
	v_add_f32_e32 v0, v0, v71
	v_mul_f32_e32 v71, v126, v194
	s_waitcnt vmcnt(12)
	v_mul_f32_e32 v134, v127, v196
	v_fma_f32 v71, v125, v193, -v71
	v_fmac_f32_e32 v134, v128, v195
	v_add_f32_e32 v0, v0, v71
	v_mul_f32_e32 v71, v128, v196
	v_add_f32_e32 v137, v133, v134
	ds_read2_b64 v[133:136], v72 offset0:67 offset1:68
	s_waitcnt vmcnt(10) lgkmcnt(1)
	v_mul_f32_e32 v138, v129, v198
	v_fma_f32 v71, v127, v195, -v71
	v_fmac_f32_e32 v138, v130, v197
	v_add_f32_e32 v0, v0, v71
	v_mul_f32_e32 v71, v130, v198
	v_add_f32_e32 v137, v137, v138
	s_waitcnt vmcnt(9)
	v_mul_f32_e32 v138, v131, v199
	v_fma_f32 v71, v129, v197, -v71
	s_waitcnt vmcnt(8)
	v_fmac_f32_e32 v138, v132, v200
	v_add_f32_e32 v0, v0, v71
	v_mul_f32_e32 v71, v132, v199
	v_add_f32_e32 v209, v137, v138
	ds_read2_b64 v[137:140], v72 offset0:69 offset1:70
	v_fma_f32 v71, v131, v200, -v71
	v_add_f32_e32 v0, v0, v71
	s_waitcnt vmcnt(6) lgkmcnt(1)
	v_mul_f32_e32 v71, v134, v202
	v_mul_f32_e32 v210, v133, v202
	v_fma_f32 v71, v133, v201, -v71
	v_fmac_f32_e32 v210, v134, v201
	v_add_f32_e32 v0, v0, v71
	s_waitcnt vmcnt(4)
	v_mul_f32_e32 v71, v136, v204
	v_add_f32_e32 v72, v209, v210
	v_mul_f32_e32 v209, v135, v204
	v_fma_f32 v71, v135, v203, -v71
	v_fmac_f32_e32 v209, v136, v203
	v_add_f32_e32 v0, v0, v71
	s_waitcnt vmcnt(3) lgkmcnt(0)
	v_mul_f32_e32 v71, v138, v205
	v_add_f32_e32 v72, v72, v209
	v_mul_f32_e32 v209, v137, v205
	s_waitcnt vmcnt(2)
	v_fma_f32 v71, v137, v206, -v71
	v_fmac_f32_e32 v209, v138, v206
	v_add_f32_e32 v0, v0, v71
	s_waitcnt vmcnt(0)
	v_mul_f32_e32 v71, v140, v208
	v_add_f32_e32 v72, v72, v209
	v_mul_f32_e32 v209, v139, v208
	v_fma_f32 v71, v139, v207, -v71
	v_fmac_f32_e32 v209, v140, v207
	v_add_f32_e32 v0, v0, v71
	v_add_f32_e32 v72, v72, v209
	v_sub_f32_e32 v0, v159, v0
	v_sub_f32_e32 v71, v160, v72
	buffer_store_dword v0, off, s[0:3], 0
	buffer_store_dword v71, off, s[0:3], 0 offset:4
	s_cbranch_vccz .LBB34_292
; %bb.224:
	v_mov_b32_e32 v0, 0
	global_load_dword v71, v0, s[20:21] offset:132
	s_waitcnt vmcnt(0)
	v_add_u32_e32 v71, -1, v71
	v_cmp_ne_u32_e32 vcc, 33, v71
	s_cbranch_vccz .LBB34_226
; %bb.225:
	v_lshlrev_b32_e32 v71, 3, v71
	buffer_load_dword v72, v71, s[0:3], 0 offen
	buffer_load_dword v73, v71, s[0:3], 0 offen offset:4
	buffer_load_dword v74, off, s[0:3], 0 offset:264
	buffer_load_dword v75, off, s[0:3], 0 offset:268
	s_waitcnt vmcnt(3)
	buffer_store_dword v72, off, s[0:3], 0 offset:264
	s_waitcnt vmcnt(3)
	buffer_store_dword v73, off, s[0:3], 0 offset:268
	s_waitcnt vmcnt(3)
	buffer_store_dword v74, v71, s[0:3], 0 offen
	s_waitcnt vmcnt(3)
	buffer_store_dword v75, v71, s[0:3], 0 offen offset:4
.LBB34_226:
	global_load_dword v0, v0, s[20:21] offset:128
	s_waitcnt vmcnt(0)
	v_add_u32_e32 v0, -1, v0
	v_cmp_eq_u32_e32 vcc, 32, v0
	s_cbranch_vccnz .LBB34_228
; %bb.227:
	v_lshlrev_b32_e32 v0, 3, v0
	buffer_load_dword v71, v0, s[0:3], 0 offen
	buffer_load_dword v72, v0, s[0:3], 0 offen offset:4
	buffer_load_dword v73, off, s[0:3], 0 offset:260
	buffer_load_dword v74, off, s[0:3], 0 offset:256
	s_waitcnt vmcnt(3)
	buffer_store_dword v71, off, s[0:3], 0 offset:256
	s_waitcnt vmcnt(3)
	buffer_store_dword v72, off, s[0:3], 0 offset:260
	s_waitcnt vmcnt(3)
	buffer_store_dword v73, v0, s[0:3], 0 offen offset:4
	s_waitcnt vmcnt(3)
	buffer_store_dword v74, v0, s[0:3], 0 offen
.LBB34_228:
	v_mov_b32_e32 v0, 0
	global_load_dword v71, v0, s[20:21] offset:124
	s_waitcnt vmcnt(0)
	v_add_u32_e32 v71, -1, v71
	v_cmp_eq_u32_e32 vcc, 31, v71
	s_cbranch_vccnz .LBB34_230
; %bb.229:
	v_lshlrev_b32_e32 v71, 3, v71
	buffer_load_dword v72, v71, s[0:3], 0 offen
	buffer_load_dword v73, v71, s[0:3], 0 offen offset:4
	buffer_load_dword v74, off, s[0:3], 0 offset:248
	buffer_load_dword v75, off, s[0:3], 0 offset:252
	s_waitcnt vmcnt(3)
	buffer_store_dword v72, off, s[0:3], 0 offset:248
	s_waitcnt vmcnt(3)
	buffer_store_dword v73, off, s[0:3], 0 offset:252
	s_waitcnt vmcnt(3)
	buffer_store_dword v74, v71, s[0:3], 0 offen
	s_waitcnt vmcnt(3)
	buffer_store_dword v75, v71, s[0:3], 0 offen offset:4
.LBB34_230:
	global_load_dword v0, v0, s[20:21] offset:120
	s_waitcnt vmcnt(0)
	v_add_u32_e32 v0, -1, v0
	v_cmp_eq_u32_e32 vcc, 30, v0
	s_cbranch_vccnz .LBB34_232
; %bb.231:
	v_lshlrev_b32_e32 v0, 3, v0
	buffer_load_dword v71, v0, s[0:3], 0 offen
	buffer_load_dword v72, v0, s[0:3], 0 offen offset:4
	buffer_load_dword v73, off, s[0:3], 0 offset:244
	buffer_load_dword v74, off, s[0:3], 0 offset:240
	s_waitcnt vmcnt(3)
	buffer_store_dword v71, off, s[0:3], 0 offset:240
	s_waitcnt vmcnt(3)
	buffer_store_dword v72, off, s[0:3], 0 offset:244
	s_waitcnt vmcnt(3)
	buffer_store_dword v73, v0, s[0:3], 0 offen offset:4
	s_waitcnt vmcnt(3)
	buffer_store_dword v74, v0, s[0:3], 0 offen
.LBB34_232:
	v_mov_b32_e32 v0, 0
	global_load_dword v71, v0, s[20:21] offset:116
	s_waitcnt vmcnt(0)
	v_add_u32_e32 v71, -1, v71
	v_cmp_eq_u32_e32 vcc, 29, v71
	s_cbranch_vccnz .LBB34_234
; %bb.233:
	v_lshlrev_b32_e32 v71, 3, v71
	buffer_load_dword v72, v71, s[0:3], 0 offen
	buffer_load_dword v73, v71, s[0:3], 0 offen offset:4
	buffer_load_dword v74, off, s[0:3], 0 offset:232
	buffer_load_dword v75, off, s[0:3], 0 offset:236
	s_waitcnt vmcnt(3)
	buffer_store_dword v72, off, s[0:3], 0 offset:232
	s_waitcnt vmcnt(3)
	buffer_store_dword v73, off, s[0:3], 0 offset:236
	s_waitcnt vmcnt(3)
	buffer_store_dword v74, v71, s[0:3], 0 offen
	s_waitcnt vmcnt(3)
	buffer_store_dword v75, v71, s[0:3], 0 offen offset:4
.LBB34_234:
	;; [unrolled: 41-line block ×16, first 2 shown]
	global_load_dword v0, v0, s[20:21]
	s_waitcnt vmcnt(0)
	v_add_u32_e32 v0, -1, v0
	v_cmp_eq_u32_e32 vcc, 0, v0
	s_cbranch_vccnz .LBB34_292
; %bb.291:
	v_lshlrev_b32_e32 v0, 3, v0
	buffer_load_dword v71, v0, s[0:3], 0 offen
	buffer_load_dword v72, v0, s[0:3], 0 offen offset:4
	buffer_load_dword v73, off, s[0:3], 0 offset:4
	buffer_load_dword v74, off, s[0:3], 0
	s_waitcnt vmcnt(3)
	buffer_store_dword v71, off, s[0:3], 0
	s_waitcnt vmcnt(3)
	buffer_store_dword v72, off, s[0:3], 0 offset:4
	s_waitcnt vmcnt(3)
	buffer_store_dword v73, v0, s[0:3], 0 offen offset:4
	s_waitcnt vmcnt(3)
	buffer_store_dword v74, v0, s[0:3], 0 offen
.LBB34_292:
	buffer_load_dword v71, off, s[0:3], 0
	buffer_load_dword v72, off, s[0:3], 0 offset:4
	buffer_load_dword v73, off, s[0:3], 0 offset:8
	s_nop 0
	buffer_load_dword v74, off, s[0:3], 0 offset:12
	buffer_load_dword v75, off, s[0:3], 0 offset:16
	;; [unrolled: 1-line block ×67, first 2 shown]
	s_waitcnt vmcnt(62)
	global_store_dwordx2 v[59:60], v[71:72], off
	global_store_dwordx2 v[61:62], v[73:74], off
	;; [unrolled: 1-line block ×4, first 2 shown]
	s_waitcnt vmcnt(62)
	global_store_dwordx2 v[5:6], v[79:80], off
	global_store_dwordx2 v[7:8], v[81:82], off
	s_waitcnt vmcnt(62)
	global_store_dwordx2 v[9:10], v[83:84], off
	s_waitcnt vmcnt(61)
	;; [unrolled: 2-line block ×3, first 2 shown]
	global_store_dwordx2 v[13:14], v[87:88], off
	global_store_dwordx2 v[15:16], v[89:90], off
	;; [unrolled: 1-line block ×4, first 2 shown]
	s_waitcnt vmcnt(56)
	global_store_dwordx2 v[21:22], v[95:96], off
	s_waitcnt vmcnt(55)
	global_store_dwordx2 v[23:24], v[97:98], off
	s_waitcnt vmcnt(54)
	global_store_dwordx2 v[25:26], v[99:100], off
	s_waitcnt vmcnt(53)
	global_store_dwordx2 v[27:28], v[101:102], off
	s_waitcnt vmcnt(52)
	global_store_dwordx2 v[29:30], v[103:104], off
	s_waitcnt vmcnt(51)
	global_store_dwordx2 v[31:32], v[105:106], off
	s_waitcnt vmcnt(50)
	global_store_dwordx2 v[33:34], v[107:108], off
	s_waitcnt vmcnt(49)
	global_store_dwordx2 v[35:36], v[109:110], off
	s_waitcnt vmcnt(48)
	global_store_dwordx2 v[37:38], v[111:112], off
	s_waitcnt vmcnt(47)
	global_store_dwordx2 v[39:40], v[113:114], off
	s_waitcnt vmcnt(46)
	global_store_dwordx2 v[41:42], v[115:116], off
	s_waitcnt vmcnt(45)
	global_store_dwordx2 v[43:44], v[117:118], off
	s_waitcnt vmcnt(44)
	global_store_dwordx2 v[45:46], v[119:120], off
	s_waitcnt vmcnt(43)
	global_store_dwordx2 v[47:48], v[121:122], off
	s_waitcnt vmcnt(42)
	global_store_dwordx2 v[49:50], v[123:124], off
	s_waitcnt vmcnt(41)
	global_store_dwordx2 v[51:52], v[125:126], off
	s_waitcnt vmcnt(40)
	global_store_dwordx2 v[53:54], v[127:128], off
	s_waitcnt vmcnt(39)
	global_store_dwordx2 v[55:56], v[129:130], off
	s_waitcnt vmcnt(38)
	global_store_dwordx2 v[57:58], v[131:132], off
	s_waitcnt vmcnt(37)
	global_store_dwordx2 v[63:64], v[133:134], off
	s_waitcnt vmcnt(36)
	global_store_dwordx2 v[65:66], v[135:136], off
	s_waitcnt vmcnt(35)
	global_store_dwordx2 v[67:68], v[137:138], off
	s_waitcnt vmcnt(34)
	global_store_dwordx2 v[69:70], v[139:140], off
	s_endpgm
	.section	.rodata,"a",@progbits
	.p2align	6, 0x0
	.amdhsa_kernel _ZN9rocsolver6v33100L18getri_kernel_smallILi35E19rocblas_complex_numIfEPS3_EEvT1_iilPiilS6_bb
		.amdhsa_group_segment_fixed_size 568
		.amdhsa_private_segment_fixed_size 288
		.amdhsa_kernarg_size 60
		.amdhsa_user_sgpr_count 6
		.amdhsa_user_sgpr_private_segment_buffer 1
		.amdhsa_user_sgpr_dispatch_ptr 0
		.amdhsa_user_sgpr_queue_ptr 0
		.amdhsa_user_sgpr_kernarg_segment_ptr 1
		.amdhsa_user_sgpr_dispatch_id 0
		.amdhsa_user_sgpr_flat_scratch_init 0
		.amdhsa_user_sgpr_private_segment_size 0
		.amdhsa_uses_dynamic_stack 0
		.amdhsa_system_sgpr_private_segment_wavefront_offset 1
		.amdhsa_system_sgpr_workgroup_id_x 1
		.amdhsa_system_sgpr_workgroup_id_y 0
		.amdhsa_system_sgpr_workgroup_id_z 0
		.amdhsa_system_sgpr_workgroup_info 0
		.amdhsa_system_vgpr_workitem_id 0
		.amdhsa_next_free_vgpr 211
		.amdhsa_next_free_sgpr 24
		.amdhsa_reserve_vcc 1
		.amdhsa_reserve_flat_scratch 0
		.amdhsa_float_round_mode_32 0
		.amdhsa_float_round_mode_16_64 0
		.amdhsa_float_denorm_mode_32 3
		.amdhsa_float_denorm_mode_16_64 3
		.amdhsa_dx10_clamp 1
		.amdhsa_ieee_mode 1
		.amdhsa_fp16_overflow 0
		.amdhsa_exception_fp_ieee_invalid_op 0
		.amdhsa_exception_fp_denorm_src 0
		.amdhsa_exception_fp_ieee_div_zero 0
		.amdhsa_exception_fp_ieee_overflow 0
		.amdhsa_exception_fp_ieee_underflow 0
		.amdhsa_exception_fp_ieee_inexact 0
		.amdhsa_exception_int_div_zero 0
	.end_amdhsa_kernel
	.section	.text._ZN9rocsolver6v33100L18getri_kernel_smallILi35E19rocblas_complex_numIfEPS3_EEvT1_iilPiilS6_bb,"axG",@progbits,_ZN9rocsolver6v33100L18getri_kernel_smallILi35E19rocblas_complex_numIfEPS3_EEvT1_iilPiilS6_bb,comdat
.Lfunc_end34:
	.size	_ZN9rocsolver6v33100L18getri_kernel_smallILi35E19rocblas_complex_numIfEPS3_EEvT1_iilPiilS6_bb, .Lfunc_end34-_ZN9rocsolver6v33100L18getri_kernel_smallILi35E19rocblas_complex_numIfEPS3_EEvT1_iilPiilS6_bb
                                        ; -- End function
	.set _ZN9rocsolver6v33100L18getri_kernel_smallILi35E19rocblas_complex_numIfEPS3_EEvT1_iilPiilS6_bb.num_vgpr, 211
	.set _ZN9rocsolver6v33100L18getri_kernel_smallILi35E19rocblas_complex_numIfEPS3_EEvT1_iilPiilS6_bb.num_agpr, 0
	.set _ZN9rocsolver6v33100L18getri_kernel_smallILi35E19rocblas_complex_numIfEPS3_EEvT1_iilPiilS6_bb.numbered_sgpr, 24
	.set _ZN9rocsolver6v33100L18getri_kernel_smallILi35E19rocblas_complex_numIfEPS3_EEvT1_iilPiilS6_bb.num_named_barrier, 0
	.set _ZN9rocsolver6v33100L18getri_kernel_smallILi35E19rocblas_complex_numIfEPS3_EEvT1_iilPiilS6_bb.private_seg_size, 288
	.set _ZN9rocsolver6v33100L18getri_kernel_smallILi35E19rocblas_complex_numIfEPS3_EEvT1_iilPiilS6_bb.uses_vcc, 1
	.set _ZN9rocsolver6v33100L18getri_kernel_smallILi35E19rocblas_complex_numIfEPS3_EEvT1_iilPiilS6_bb.uses_flat_scratch, 0
	.set _ZN9rocsolver6v33100L18getri_kernel_smallILi35E19rocblas_complex_numIfEPS3_EEvT1_iilPiilS6_bb.has_dyn_sized_stack, 0
	.set _ZN9rocsolver6v33100L18getri_kernel_smallILi35E19rocblas_complex_numIfEPS3_EEvT1_iilPiilS6_bb.has_recursion, 0
	.set _ZN9rocsolver6v33100L18getri_kernel_smallILi35E19rocblas_complex_numIfEPS3_EEvT1_iilPiilS6_bb.has_indirect_call, 0
	.section	.AMDGPU.csdata,"",@progbits
; Kernel info:
; codeLenInByte = 51444
; TotalNumSgprs: 28
; NumVgprs: 211
; ScratchSize: 288
; MemoryBound: 0
; FloatMode: 240
; IeeeMode: 1
; LDSByteSize: 568 bytes/workgroup (compile time only)
; SGPRBlocks: 3
; VGPRBlocks: 52
; NumSGPRsForWavesPerEU: 28
; NumVGPRsForWavesPerEU: 211
; Occupancy: 1
; WaveLimiterHint : 1
; COMPUTE_PGM_RSRC2:SCRATCH_EN: 1
; COMPUTE_PGM_RSRC2:USER_SGPR: 6
; COMPUTE_PGM_RSRC2:TRAP_HANDLER: 0
; COMPUTE_PGM_RSRC2:TGID_X_EN: 1
; COMPUTE_PGM_RSRC2:TGID_Y_EN: 0
; COMPUTE_PGM_RSRC2:TGID_Z_EN: 0
; COMPUTE_PGM_RSRC2:TIDIG_COMP_CNT: 0
	.section	.text._ZN9rocsolver6v33100L18getri_kernel_smallILi36E19rocblas_complex_numIfEPS3_EEvT1_iilPiilS6_bb,"axG",@progbits,_ZN9rocsolver6v33100L18getri_kernel_smallILi36E19rocblas_complex_numIfEPS3_EEvT1_iilPiilS6_bb,comdat
	.globl	_ZN9rocsolver6v33100L18getri_kernel_smallILi36E19rocblas_complex_numIfEPS3_EEvT1_iilPiilS6_bb ; -- Begin function _ZN9rocsolver6v33100L18getri_kernel_smallILi36E19rocblas_complex_numIfEPS3_EEvT1_iilPiilS6_bb
	.p2align	8
	.type	_ZN9rocsolver6v33100L18getri_kernel_smallILi36E19rocblas_complex_numIfEPS3_EEvT1_iilPiilS6_bb,@function
_ZN9rocsolver6v33100L18getri_kernel_smallILi36E19rocblas_complex_numIfEPS3_EEvT1_iilPiilS6_bb: ; @_ZN9rocsolver6v33100L18getri_kernel_smallILi36E19rocblas_complex_numIfEPS3_EEvT1_iilPiilS6_bb
; %bb.0:
	s_add_u32 s0, s0, s7
	s_addc_u32 s1, s1, 0
	v_cmp_gt_u32_e32 vcc, 36, v0
	s_and_saveexec_b64 s[8:9], vcc
	s_cbranch_execz .LBB35_158
; %bb.1:
	s_load_dword s12, s[4:5], 0x38
	s_load_dwordx4 s[16:19], s[4:5], 0x10
	s_load_dwordx4 s[8:11], s[4:5], 0x28
                                        ; implicit-def: $sgpr20_sgpr21
	s_waitcnt lgkmcnt(0)
	s_bitcmp1_b32 s12, 8
	s_cselect_b64 s[22:23], -1, 0
	s_ashr_i32 s7, s6, 31
	s_bfe_u32 s12, s12, 0x10008
	s_cmp_eq_u32 s12, 0
	s_cbranch_scc1 .LBB35_3
; %bb.2:
	s_load_dword s12, s[4:5], 0x20
	s_mul_i32 s13, s8, s7
	s_mul_hi_u32 s14, s8, s6
	s_mul_i32 s9, s9, s6
	s_add_i32 s14, s14, s13
	s_add_i32 s9, s14, s9
	s_mul_i32 s8, s8, s6
	s_waitcnt lgkmcnt(0)
	s_ashr_i32 s13, s12, 31
	s_lshl_b64 s[8:9], s[8:9], 2
	s_add_u32 s14, s18, s8
	s_addc_u32 s15, s19, s9
	s_lshl_b64 s[8:9], s[12:13], 2
	s_add_u32 s20, s14, s8
	s_addc_u32 s21, s15, s9
.LBB35_3:
	s_load_dwordx4 s[12:15], s[4:5], 0x0
	s_load_dword s8, s[4:5], 0x38
	s_mul_i32 s9, s16, s7
	s_mul_hi_u32 s18, s16, s6
	s_add_i32 s9, s18, s9
	s_waitcnt lgkmcnt(0)
	s_ashr_i32 s5, s14, 31
	s_mov_b32 s4, s14
	s_mul_i32 s14, s17, s6
	s_add_i32 s17, s9, s14
	s_mul_i32 s16, s16, s6
	s_lshl_b64 s[16:17], s[16:17], 3
	s_add_u32 s9, s12, s16
	s_addc_u32 s12, s13, s17
	s_lshl_b64 s[4:5], s[4:5], 3
	s_add_u32 s4, s9, s4
	s_addc_u32 s5, s12, s5
	s_add_i32 s9, s15, s15
	v_add_u32_e32 v3, s9, v0
	v_ashrrev_i32_e32 v4, 31, v3
	v_lshlrev_b64 v[1:2], 3, v[3:4]
	v_add_u32_e32 v5, s15, v3
	v_mov_b32_e32 v4, s5
	v_add_co_u32_e32 v1, vcc, s4, v1
	v_ashrrev_i32_e32 v6, 31, v5
	v_addc_co_u32_e32 v2, vcc, v4, v2, vcc
	v_lshlrev_b64 v[3:4], 3, v[5:6]
	v_add_u32_e32 v7, s15, v5
	v_mov_b32_e32 v6, s5
	v_add_co_u32_e32 v3, vcc, s4, v3
	v_ashrrev_i32_e32 v8, 31, v7
	v_addc_co_u32_e32 v4, vcc, v6, v4, vcc
	;; [unrolled: 6-line block ×8, first 2 shown]
	v_lshlrev_b64 v[17:18], 3, v[19:20]
	v_mov_b32_e32 v21, s5
	v_add_co_u32_e32 v17, vcc, s4, v17
	v_addc_co_u32_e32 v18, vcc, v21, v18, vcc
	v_add_u32_e32 v21, s15, v19
	v_ashrrev_i32_e32 v22, 31, v21
	v_lshlrev_b64 v[19:20], 3, v[21:22]
	v_mov_b32_e32 v23, s5
	v_add_co_u32_e32 v19, vcc, s4, v19
	v_addc_co_u32_e32 v20, vcc, v23, v20, vcc
	v_add_u32_e32 v23, s15, v21
	v_ashrrev_i32_e32 v24, 31, v23
	;; [unrolled: 6-line block ×20, first 2 shown]
	v_lshlrev_b64 v[57:58], 3, v[59:60]
	v_mov_b32_e32 v61, s5
	v_add_co_u32_e32 v57, vcc, s4, v57
	v_addc_co_u32_e32 v58, vcc, v61, v58, vcc
	v_lshlrev_b32_e32 v75, 3, v0
	v_add_u32_e32 v65, s15, v59
	v_mov_b32_e32 v62, s5
	v_add_co_u32_e32 v61, vcc, s4, v75
	s_ashr_i32 s13, s15, 31
	s_mov_b32 s12, s15
	v_ashrrev_i32_e32 v66, 31, v65
	v_addc_co_u32_e32 v62, vcc, 0, v62, vcc
	s_lshl_b64 s[12:13], s[12:13], 3
	v_lshlrev_b64 v[59:60], 3, v[65:66]
	v_mov_b32_e32 v64, s13
	v_add_co_u32_e32 v63, vcc, s12, v61
	v_addc_co_u32_e32 v64, vcc, v62, v64, vcc
	v_mov_b32_e32 v67, s5
	v_add_co_u32_e32 v59, vcc, s4, v59
	v_addc_co_u32_e32 v60, vcc, v67, v60, vcc
	v_add_u32_e32 v67, s15, v65
	v_ashrrev_i32_e32 v68, 31, v67
	v_lshlrev_b64 v[65:66], 3, v[67:68]
	v_mov_b32_e32 v69, s5
	v_add_co_u32_e32 v65, vcc, s4, v65
	v_addc_co_u32_e32 v66, vcc, v69, v66, vcc
	v_add_u32_e32 v69, s15, v67
	v_ashrrev_i32_e32 v70, 31, v69
	v_lshlrev_b64 v[67:68], 3, v[69:70]
	;; [unrolled: 6-line block ×3, first 2 shown]
	v_mov_b32_e32 v128, s5
	v_add_co_u32_e32 v69, vcc, s4, v69
	global_load_dwordx2 v[73:74], v75, s[4:5]
	global_load_dwordx2 v[76:77], v[63:64], off
	global_load_dwordx2 v[78:79], v[1:2], off
	;; [unrolled: 1-line block ×26, first 2 shown]
	v_addc_co_u32_e32 v70, vcc, v128, v70, vcc
	global_load_dwordx2 v[128:129], v[51:52], off
	global_load_dwordx2 v[130:131], v[53:54], off
	;; [unrolled: 1-line block ×8, first 2 shown]
	v_add_u32_e32 v71, s15, v71
	v_ashrrev_i32_e32 v72, 31, v71
	v_lshlrev_b64 v[71:72], 3, v[71:72]
	v_mov_b32_e32 v144, s5
	v_add_co_u32_e32 v71, vcc, s4, v71
	v_addc_co_u32_e32 v72, vcc, v144, v72, vcc
	global_load_dwordx2 v[144:145], v[71:72], off
	s_bitcmp0_b32 s8, 0
	s_mov_b64 s[8:9], -1
	s_waitcnt vmcnt(35)
	buffer_store_dword v74, off, s[0:3], 0 offset:4
	buffer_store_dword v73, off, s[0:3], 0
	s_waitcnt vmcnt(36)
	buffer_store_dword v77, off, s[0:3], 0 offset:12
	buffer_store_dword v76, off, s[0:3], 0 offset:8
	s_waitcnt vmcnt(37)
	buffer_store_dword v79, off, s[0:3], 0 offset:20
	buffer_store_dword v78, off, s[0:3], 0 offset:16
	;; [unrolled: 3-line block ×28, first 2 shown]
	buffer_store_dword v132, off, s[0:3], 0 offset:232
	buffer_store_dword v133, off, s[0:3], 0 offset:236
	s_waitcnt vmcnt(62)
	buffer_store_dword v134, off, s[0:3], 0 offset:240
	buffer_store_dword v135, off, s[0:3], 0 offset:244
	;; [unrolled: 1-line block ×8, first 2 shown]
	s_waitcnt vmcnt(62)
	buffer_store_dword v142, off, s[0:3], 0 offset:272
	buffer_store_dword v143, off, s[0:3], 0 offset:276
	;; [unrolled: 1-line block ×4, first 2 shown]
	s_cbranch_scc1 .LBB35_156
; %bb.4:
	v_cmp_eq_u32_e64 s[4:5], 0, v0
	s_and_saveexec_b64 s[8:9], s[4:5]
; %bb.5:
	v_mov_b32_e32 v73, 0
	ds_write_b32 v73, v73 offset:576
; %bb.6:
	s_or_b64 exec, exec, s[8:9]
	v_mov_b32_e32 v73, 0
	v_lshl_add_u32 v77, v0, 3, v73
	s_waitcnt lgkmcnt(0)
	; wave barrier
	buffer_load_dword v73, v77, s[0:3], 0 offen
	buffer_load_dword v74, v77, s[0:3], 0 offen offset:4
	s_waitcnt vmcnt(1)
	v_cmp_eq_f32_e32 vcc, 0, v73
	s_waitcnt vmcnt(0)
	v_cmp_eq_f32_e64 s[8:9], 0, v74
	s_and_b64 s[8:9], vcc, s[8:9]
	s_and_saveexec_b64 s[12:13], s[8:9]
	s_cbranch_execz .LBB35_10
; %bb.7:
	v_mov_b32_e32 v73, 0
	ds_read_b32 v76, v73 offset:576
	v_add_u32_e32 v74, 1, v0
	s_waitcnt lgkmcnt(0)
	v_readfirstlane_b32 s8, v76
	s_cmp_eq_u32 s8, 0
	s_cselect_b64 s[14:15], -1, 0
	v_cmp_gt_i32_e32 vcc, s8, v74
	s_or_b64 s[14:15], s[14:15], vcc
	s_and_b64 exec, exec, s[14:15]
	s_cbranch_execz .LBB35_10
; %bb.8:
	s_mov_b64 s[14:15], 0
	v_mov_b32_e32 v76, s8
.LBB35_9:                               ; =>This Inner Loop Header: Depth=1
	ds_cmpst_rtn_b32 v76, v73, v76, v74 offset:576
	s_waitcnt lgkmcnt(0)
	v_cmp_ne_u32_e32 vcc, 0, v76
	v_cmp_le_i32_e64 s[8:9], v76, v74
	s_and_b64 s[8:9], vcc, s[8:9]
	s_and_b64 s[8:9], exec, s[8:9]
	s_or_b64 s[14:15], s[8:9], s[14:15]
	s_andn2_b64 exec, exec, s[14:15]
	s_cbranch_execnz .LBB35_9
.LBB35_10:
	s_or_b64 exec, exec, s[12:13]
	v_mov_b32_e32 v74, 0
	; wave barrier
	ds_read_b32 v73, v74 offset:576
	s_and_saveexec_b64 s[8:9], s[4:5]
	s_cbranch_execz .LBB35_12
; %bb.11:
	s_lshl_b64 s[12:13], s[6:7], 2
	s_add_u32 s12, s10, s12
	s_addc_u32 s13, s11, s13
	s_waitcnt lgkmcnt(0)
	global_store_dword v74, v73, s[12:13]
.LBB35_12:
	s_or_b64 exec, exec, s[8:9]
	s_waitcnt lgkmcnt(0)
	v_cmp_ne_u32_e32 vcc, 0, v73
	s_mov_b64 s[8:9], 0
	s_cbranch_vccnz .LBB35_156
; %bb.13:
	buffer_load_dword v74, v77, s[0:3], 0 offen
	buffer_load_dword v76, v77, s[0:3], 0 offen offset:4
                                        ; implicit-def: $vgpr79
                                        ; implicit-def: $vgpr78
                                        ; implicit-def: $vgpr73
	s_waitcnt vmcnt(0)
	v_cmp_ngt_f32_e64 s[8:9], |v74|, |v76|
	s_and_saveexec_b64 s[12:13], s[8:9]
	s_xor_b64 s[8:9], exec, s[12:13]
	s_cbranch_execz .LBB35_15
; %bb.14:
	v_div_scale_f32 v73, s[12:13], v76, v76, v74
	v_div_scale_f32 v78, vcc, v74, v76, v74
	v_rcp_f32_e32 v79, v73
	v_fma_f32 v80, -v73, v79, 1.0
	v_fmac_f32_e32 v79, v80, v79
	v_mul_f32_e32 v80, v78, v79
	v_fma_f32 v81, -v73, v80, v78
	v_fmac_f32_e32 v80, v81, v79
	v_fma_f32 v73, -v73, v80, v78
	v_div_fmas_f32 v73, v73, v79, v80
	v_div_fixup_f32 v73, v73, v76, v74
	v_fmac_f32_e32 v76, v74, v73
	v_div_scale_f32 v74, s[12:13], v76, v76, 1.0
	v_div_scale_f32 v78, vcc, 1.0, v76, 1.0
	v_rcp_f32_e32 v79, v74
	v_fma_f32 v80, -v74, v79, 1.0
	v_fmac_f32_e32 v79, v80, v79
	v_mul_f32_e32 v80, v78, v79
	v_fma_f32 v81, -v74, v80, v78
	v_fmac_f32_e32 v80, v81, v79
	v_fma_f32 v74, -v74, v80, v78
	v_div_fmas_f32 v74, v74, v79, v80
	v_div_fixup_f32 v74, v74, v76, 1.0
	v_mul_f32_e32 v79, v73, v74
	v_xor_b32_e32 v78, 0x80000000, v74
	v_xor_b32_e32 v73, 0x80000000, v79
                                        ; implicit-def: $vgpr74
                                        ; implicit-def: $vgpr76
.LBB35_15:
	s_andn2_saveexec_b64 s[8:9], s[8:9]
	s_cbranch_execz .LBB35_17
; %bb.16:
	v_div_scale_f32 v73, s[12:13], v74, v74, v76
	v_div_scale_f32 v78, vcc, v76, v74, v76
	v_rcp_f32_e32 v79, v73
	v_fma_f32 v80, -v73, v79, 1.0
	v_fmac_f32_e32 v79, v80, v79
	v_mul_f32_e32 v80, v78, v79
	v_fma_f32 v81, -v73, v80, v78
	v_fmac_f32_e32 v80, v81, v79
	v_fma_f32 v73, -v73, v80, v78
	v_div_fmas_f32 v73, v73, v79, v80
	v_div_fixup_f32 v78, v73, v74, v76
	v_fmac_f32_e32 v74, v76, v78
	v_div_scale_f32 v73, s[12:13], v74, v74, 1.0
	v_div_scale_f32 v76, vcc, 1.0, v74, 1.0
	v_rcp_f32_e32 v79, v73
	v_fma_f32 v80, -v73, v79, 1.0
	v_fmac_f32_e32 v79, v80, v79
	v_mul_f32_e32 v80, v76, v79
	v_fma_f32 v81, -v73, v80, v76
	v_fmac_f32_e32 v80, v81, v79
	v_fma_f32 v73, -v73, v80, v76
	v_div_fmas_f32 v73, v73, v79, v80
	v_div_fixup_f32 v79, v73, v74, 1.0
	v_xor_b32_e32 v73, 0x80000000, v79
	v_mul_f32_e64 v78, v78, -v79
.LBB35_17:
	s_or_b64 exec, exec, s[8:9]
	buffer_store_dword v79, v77, s[0:3], 0 offen
	buffer_store_dword v78, v77, s[0:3], 0 offen offset:4
	buffer_load_dword v80, off, s[0:3], 0 offset:12
	s_nop 0
	buffer_load_dword v79, off, s[0:3], 0 offset:8
	v_xor_b32_e32 v74, 0x80000000, v78
	v_add_u32_e32 v76, 0x120, v75
	s_waitcnt vmcnt(0)
	ds_write2_b64 v75, v[73:74], v[79:80] offset1:36
	s_waitcnt lgkmcnt(0)
	; wave barrier
	s_and_saveexec_b64 s[8:9], s[4:5]
	s_cbranch_execz .LBB35_19
; %bb.18:
	buffer_load_dword v80, v77, s[0:3], 0 offen offset:4
	buffer_load_dword v81, v77, s[0:3], 0 offen
	ds_read_b64 v[73:74], v76
	v_mov_b32_e32 v78, 0
	ds_read_b64 v[78:79], v78 offset:8
	s_waitcnt vmcnt(1) lgkmcnt(1)
	v_mul_f32_e32 v82, v74, v80
	v_mul_f32_e32 v80, v73, v80
	s_waitcnt vmcnt(0)
	v_fmac_f32_e32 v80, v74, v81
	v_fma_f32 v73, v73, v81, -v82
	v_add_f32_e32 v74, 0, v80
	v_add_f32_e32 v73, 0, v73
	s_waitcnt lgkmcnt(0)
	v_mul_f32_e32 v80, v74, v79
	v_mul_f32_e32 v79, v73, v79
	v_fma_f32 v73, v73, v78, -v80
	v_fmac_f32_e32 v79, v74, v78
	buffer_store_dword v73, off, s[0:3], 0 offset:8
	buffer_store_dword v79, off, s[0:3], 0 offset:12
.LBB35_19:
	s_or_b64 exec, exec, s[8:9]
	; wave barrier
	buffer_load_dword v73, off, s[0:3], 0 offset:16
	buffer_load_dword v74, off, s[0:3], 0 offset:20
	v_cmp_gt_u32_e32 vcc, 2, v0
	s_waitcnt vmcnt(0)
	ds_write_b64 v76, v[73:74]
	s_waitcnt lgkmcnt(0)
	; wave barrier
	s_and_saveexec_b64 s[8:9], vcc
	s_cbranch_execz .LBB35_23
; %bb.20:
	buffer_load_dword v78, v77, s[0:3], 0 offen offset:4
	buffer_load_dword v79, v77, s[0:3], 0 offen
	ds_read_b64 v[73:74], v76
	s_waitcnt vmcnt(1) lgkmcnt(0)
	v_mul_f32_e32 v77, v74, v78
	v_mul_f32_e32 v78, v73, v78
	s_waitcnt vmcnt(0)
	v_fma_f32 v73, v73, v79, -v77
	v_fmac_f32_e32 v78, v74, v79
	v_add_f32_e32 v74, 0, v73
	v_add_f32_e32 v73, 0, v78
	s_and_saveexec_b64 s[12:13], s[4:5]
	s_cbranch_execz .LBB35_22
; %bb.21:
	buffer_load_dword v79, off, s[0:3], 0 offset:12
	buffer_load_dword v80, off, s[0:3], 0 offset:8
	v_mov_b32_e32 v77, 0
	ds_read_b64 v[77:78], v77 offset:296
	s_waitcnt vmcnt(1) lgkmcnt(0)
	v_mul_f32_e32 v81, v77, v79
	v_mul_f32_e32 v79, v78, v79
	s_waitcnt vmcnt(0)
	v_fmac_f32_e32 v81, v78, v80
	v_fma_f32 v77, v77, v80, -v79
	v_add_f32_e32 v73, v73, v81
	v_add_f32_e32 v74, v74, v77
.LBB35_22:
	s_or_b64 exec, exec, s[12:13]
	v_mov_b32_e32 v77, 0
	ds_read_b64 v[77:78], v77 offset:16
	s_waitcnt lgkmcnt(0)
	v_mul_f32_e32 v79, v73, v78
	v_mul_f32_e32 v78, v74, v78
	v_fma_f32 v74, v74, v77, -v79
	v_fmac_f32_e32 v78, v73, v77
	buffer_store_dword v74, off, s[0:3], 0 offset:16
	buffer_store_dword v78, off, s[0:3], 0 offset:20
.LBB35_23:
	s_or_b64 exec, exec, s[8:9]
	; wave barrier
	buffer_load_dword v73, off, s[0:3], 0 offset:24
	buffer_load_dword v74, off, s[0:3], 0 offset:28
	v_cmp_gt_u32_e32 vcc, 3, v0
	s_waitcnt vmcnt(0)
	ds_write_b64 v76, v[73:74]
	v_add_u32_e32 v73, -1, v0
	s_waitcnt lgkmcnt(0)
	; wave barrier
	s_and_saveexec_b64 s[4:5], vcc
	s_cbranch_execz .LBB35_27
; %bb.24:
	v_add_u32_e32 v77, -1, v0
	v_add_u32_e32 v78, 0x120, v75
	v_mov_b32_e32 v79, v75
	v_mov_b32_e32 v74, 0
	s_mov_b64 s[8:9], 0
	v_mov_b32_e32 v80, 0
.LBB35_25:                              ; =>This Inner Loop Header: Depth=1
	buffer_load_dword v83, v79, s[0:3], 0 offen offset:4
	buffer_load_dword v84, v79, s[0:3], 0 offen
	ds_read_b64 v[81:82], v78
	v_add_u32_e32 v77, 1, v77
	v_cmp_lt_u32_e32 vcc, 1, v77
	v_add_u32_e32 v78, 8, v78
	v_add_u32_e32 v79, 8, v79
	s_or_b64 s[8:9], vcc, s[8:9]
	s_waitcnt vmcnt(1) lgkmcnt(0)
	v_mul_f32_e32 v85, v82, v83
	v_mul_f32_e32 v83, v81, v83
	s_waitcnt vmcnt(0)
	v_fma_f32 v81, v81, v84, -v85
	v_fmac_f32_e32 v83, v82, v84
	v_add_f32_e32 v80, v80, v81
	v_add_f32_e32 v74, v74, v83
	s_andn2_b64 exec, exec, s[8:9]
	s_cbranch_execnz .LBB35_25
; %bb.26:
	s_or_b64 exec, exec, s[8:9]
	v_mov_b32_e32 v77, 0
	ds_read_b64 v[77:78], v77 offset:24
	s_waitcnt lgkmcnt(0)
	v_mul_f32_e32 v79, v74, v78
	v_mul_f32_e32 v78, v80, v78
	v_fma_f32 v79, v80, v77, -v79
	v_fmac_f32_e32 v78, v74, v77
	buffer_store_dword v79, off, s[0:3], 0 offset:24
	buffer_store_dword v78, off, s[0:3], 0 offset:28
.LBB35_27:
	s_or_b64 exec, exec, s[4:5]
	; wave barrier
	buffer_load_dword v77, off, s[0:3], 0 offset:32
	buffer_load_dword v78, off, s[0:3], 0 offset:36
	v_cmp_gt_u32_e32 vcc, 4, v0
	s_waitcnt vmcnt(0)
	ds_write_b64 v76, v[77:78]
	s_waitcnt lgkmcnt(0)
	; wave barrier
	s_and_saveexec_b64 s[4:5], vcc
	s_cbranch_execz .LBB35_31
; %bb.28:
	v_add_u32_e32 v77, -1, v0
	v_add_u32_e32 v78, 0x120, v75
	v_mov_b32_e32 v79, v75
	v_mov_b32_e32 v74, 0
	s_mov_b64 s[8:9], 0
	v_mov_b32_e32 v80, 0
.LBB35_29:                              ; =>This Inner Loop Header: Depth=1
	buffer_load_dword v83, v79, s[0:3], 0 offen offset:4
	buffer_load_dword v84, v79, s[0:3], 0 offen
	ds_read_b64 v[81:82], v78
	v_add_u32_e32 v77, 1, v77
	v_cmp_lt_u32_e32 vcc, 2, v77
	v_add_u32_e32 v78, 8, v78
	v_add_u32_e32 v79, 8, v79
	s_or_b64 s[8:9], vcc, s[8:9]
	s_waitcnt vmcnt(1) lgkmcnt(0)
	v_mul_f32_e32 v85, v82, v83
	v_mul_f32_e32 v83, v81, v83
	s_waitcnt vmcnt(0)
	v_fma_f32 v81, v81, v84, -v85
	v_fmac_f32_e32 v83, v82, v84
	v_add_f32_e32 v80, v80, v81
	v_add_f32_e32 v74, v74, v83
	s_andn2_b64 exec, exec, s[8:9]
	s_cbranch_execnz .LBB35_29
; %bb.30:
	s_or_b64 exec, exec, s[8:9]
	v_mov_b32_e32 v77, 0
	ds_read_b64 v[77:78], v77 offset:32
	s_waitcnt lgkmcnt(0)
	v_mul_f32_e32 v79, v74, v78
	v_mul_f32_e32 v78, v80, v78
	v_fma_f32 v79, v80, v77, -v79
	v_fmac_f32_e32 v78, v74, v77
	buffer_store_dword v79, off, s[0:3], 0 offset:32
	buffer_store_dword v78, off, s[0:3], 0 offset:36
.LBB35_31:
	s_or_b64 exec, exec, s[4:5]
	; wave barrier
	buffer_load_dword v77, off, s[0:3], 0 offset:40
	buffer_load_dword v78, off, s[0:3], 0 offset:44
	v_cmp_gt_u32_e32 vcc, 5, v0
	s_waitcnt vmcnt(0)
	ds_write_b64 v76, v[77:78]
	;; [unrolled: 49-line block ×19, first 2 shown]
	s_waitcnt lgkmcnt(0)
	; wave barrier
	s_and_saveexec_b64 s[4:5], vcc
	s_cbranch_execz .LBB35_103
; %bb.100:
	v_add_u32_e32 v77, -1, v0
	v_add_u32_e32 v78, 0x120, v75
	v_mov_b32_e32 v79, v75
	v_mov_b32_e32 v74, 0
	s_mov_b64 s[8:9], 0
	v_mov_b32_e32 v80, 0
.LBB35_101:                             ; =>This Inner Loop Header: Depth=1
	buffer_load_dword v83, v79, s[0:3], 0 offen offset:4
	buffer_load_dword v84, v79, s[0:3], 0 offen
	ds_read_b64 v[81:82], v78
	v_add_u32_e32 v77, 1, v77
	v_cmp_lt_u32_e32 vcc, 20, v77
	v_add_u32_e32 v78, 8, v78
	v_add_u32_e32 v79, 8, v79
	s_or_b64 s[8:9], vcc, s[8:9]
	s_waitcnt vmcnt(1) lgkmcnt(0)
	v_mul_f32_e32 v85, v82, v83
	v_mul_f32_e32 v83, v81, v83
	s_waitcnt vmcnt(0)
	v_fma_f32 v81, v81, v84, -v85
	v_fmac_f32_e32 v83, v82, v84
	v_add_f32_e32 v80, v80, v81
	v_add_f32_e32 v74, v74, v83
	s_andn2_b64 exec, exec, s[8:9]
	s_cbranch_execnz .LBB35_101
; %bb.102:
	s_or_b64 exec, exec, s[8:9]
	v_mov_b32_e32 v77, 0
	ds_read_b64 v[77:78], v77 offset:176
	s_waitcnt lgkmcnt(0)
	v_mul_f32_e32 v79, v74, v78
	v_mul_f32_e32 v78, v80, v78
	v_fma_f32 v79, v80, v77, -v79
	v_fmac_f32_e32 v78, v74, v77
	buffer_store_dword v79, off, s[0:3], 0 offset:176
	buffer_store_dword v78, off, s[0:3], 0 offset:180
.LBB35_103:
	s_or_b64 exec, exec, s[4:5]
	; wave barrier
	buffer_load_dword v77, off, s[0:3], 0 offset:184
	buffer_load_dword v78, off, s[0:3], 0 offset:188
	v_cmp_gt_u32_e32 vcc, 23, v0
	s_waitcnt vmcnt(0)
	ds_write_b64 v76, v[77:78]
	s_waitcnt lgkmcnt(0)
	; wave barrier
	s_and_saveexec_b64 s[4:5], vcc
	s_cbranch_execz .LBB35_107
; %bb.104:
	v_add_u32_e32 v77, -1, v0
	v_add_u32_e32 v78, 0x120, v75
	v_mov_b32_e32 v79, v75
	v_mov_b32_e32 v74, 0
	s_mov_b64 s[8:9], 0
	v_mov_b32_e32 v80, 0
.LBB35_105:                             ; =>This Inner Loop Header: Depth=1
	buffer_load_dword v83, v79, s[0:3], 0 offen offset:4
	buffer_load_dword v84, v79, s[0:3], 0 offen
	ds_read_b64 v[81:82], v78
	v_add_u32_e32 v77, 1, v77
	v_cmp_lt_u32_e32 vcc, 21, v77
	v_add_u32_e32 v78, 8, v78
	v_add_u32_e32 v79, 8, v79
	s_or_b64 s[8:9], vcc, s[8:9]
	s_waitcnt vmcnt(1) lgkmcnt(0)
	v_mul_f32_e32 v85, v82, v83
	v_mul_f32_e32 v83, v81, v83
	s_waitcnt vmcnt(0)
	v_fma_f32 v81, v81, v84, -v85
	v_fmac_f32_e32 v83, v82, v84
	v_add_f32_e32 v80, v80, v81
	v_add_f32_e32 v74, v74, v83
	s_andn2_b64 exec, exec, s[8:9]
	s_cbranch_execnz .LBB35_105
; %bb.106:
	s_or_b64 exec, exec, s[8:9]
	v_mov_b32_e32 v77, 0
	ds_read_b64 v[77:78], v77 offset:184
	s_waitcnt lgkmcnt(0)
	v_mul_f32_e32 v79, v74, v78
	v_mul_f32_e32 v78, v80, v78
	v_fma_f32 v79, v80, v77, -v79
	v_fmac_f32_e32 v78, v74, v77
	buffer_store_dword v79, off, s[0:3], 0 offset:184
	buffer_store_dword v78, off, s[0:3], 0 offset:188
.LBB35_107:
	s_or_b64 exec, exec, s[4:5]
	; wave barrier
	buffer_load_dword v77, off, s[0:3], 0 offset:192
	buffer_load_dword v78, off, s[0:3], 0 offset:196
	v_cmp_gt_u32_e32 vcc, 24, v0
	s_waitcnt vmcnt(0)
	ds_write_b64 v76, v[77:78]
	;; [unrolled: 49-line block ×12, first 2 shown]
	s_waitcnt lgkmcnt(0)
	; wave barrier
	s_and_saveexec_b64 s[4:5], vcc
	s_cbranch_execz .LBB35_151
; %bb.148:
	v_add_u32_e32 v77, -1, v0
	v_add_u32_e32 v78, 0x120, v75
	v_mov_b32_e32 v79, v75
	v_mov_b32_e32 v74, 0
	s_mov_b64 s[8:9], 0
	v_mov_b32_e32 v80, 0
.LBB35_149:                             ; =>This Inner Loop Header: Depth=1
	buffer_load_dword v83, v79, s[0:3], 0 offen offset:4
	buffer_load_dword v84, v79, s[0:3], 0 offen
	ds_read_b64 v[81:82], v78
	v_add_u32_e32 v77, 1, v77
	v_cmp_lt_u32_e32 vcc, 32, v77
	v_add_u32_e32 v78, 8, v78
	v_add_u32_e32 v79, 8, v79
	s_or_b64 s[8:9], vcc, s[8:9]
	s_waitcnt vmcnt(1) lgkmcnt(0)
	v_mul_f32_e32 v85, v82, v83
	v_mul_f32_e32 v83, v81, v83
	s_waitcnt vmcnt(0)
	v_fma_f32 v81, v81, v84, -v85
	v_fmac_f32_e32 v83, v82, v84
	v_add_f32_e32 v80, v80, v81
	v_add_f32_e32 v74, v74, v83
	s_andn2_b64 exec, exec, s[8:9]
	s_cbranch_execnz .LBB35_149
; %bb.150:
	s_or_b64 exec, exec, s[8:9]
	v_mov_b32_e32 v77, 0
	ds_read_b64 v[77:78], v77 offset:272
	s_waitcnt lgkmcnt(0)
	v_mul_f32_e32 v79, v74, v78
	v_mul_f32_e32 v78, v80, v78
	v_fma_f32 v79, v80, v77, -v79
	v_fmac_f32_e32 v78, v74, v77
	buffer_store_dword v79, off, s[0:3], 0 offset:272
	buffer_store_dword v78, off, s[0:3], 0 offset:276
.LBB35_151:
	s_or_b64 exec, exec, s[4:5]
	; wave barrier
	buffer_load_dword v77, off, s[0:3], 0 offset:280
	buffer_load_dword v78, off, s[0:3], 0 offset:284
	v_cmp_ne_u32_e32 vcc, 35, v0
	s_waitcnt vmcnt(0)
	ds_write_b64 v76, v[77:78]
	s_waitcnt lgkmcnt(0)
	; wave barrier
	s_and_saveexec_b64 s[4:5], vcc
	s_cbranch_execz .LBB35_155
; %bb.152:
	v_add_u32_e32 v76, 0x120, v75
	v_mov_b32_e32 v74, 0
	s_mov_b64 s[8:9], 0
	v_mov_b32_e32 v77, 0
.LBB35_153:                             ; =>This Inner Loop Header: Depth=1
	buffer_load_dword v80, v75, s[0:3], 0 offen offset:4
	buffer_load_dword v81, v75, s[0:3], 0 offen
	ds_read_b64 v[78:79], v76
	v_add_u32_e32 v73, 1, v73
	v_cmp_lt_u32_e32 vcc, 33, v73
	v_add_u32_e32 v76, 8, v76
	v_add_u32_e32 v75, 8, v75
	s_or_b64 s[8:9], vcc, s[8:9]
	s_waitcnt vmcnt(1) lgkmcnt(0)
	v_mul_f32_e32 v82, v79, v80
	v_mul_f32_e32 v80, v78, v80
	s_waitcnt vmcnt(0)
	v_fma_f32 v78, v78, v81, -v82
	v_fmac_f32_e32 v80, v79, v81
	v_add_f32_e32 v77, v77, v78
	v_add_f32_e32 v74, v74, v80
	s_andn2_b64 exec, exec, s[8:9]
	s_cbranch_execnz .LBB35_153
; %bb.154:
	s_or_b64 exec, exec, s[8:9]
	v_mov_b32_e32 v73, 0
	ds_read_b64 v[75:76], v73 offset:280
	s_waitcnt lgkmcnt(0)
	v_mul_f32_e32 v73, v74, v76
	v_mul_f32_e32 v76, v77, v76
	v_fma_f32 v73, v77, v75, -v73
	v_fmac_f32_e32 v76, v74, v75
	buffer_store_dword v73, off, s[0:3], 0 offset:280
	buffer_store_dword v76, off, s[0:3], 0 offset:284
.LBB35_155:
	s_or_b64 exec, exec, s[4:5]
	s_mov_b64 s[8:9], -1
	; wave barrier
.LBB35_156:
	s_and_b64 vcc, exec, s[8:9]
	s_cbranch_vccz .LBB35_158
; %bb.157:
	s_lshl_b64 s[4:5], s[6:7], 2
	s_add_u32 s4, s10, s4
	s_addc_u32 s5, s11, s5
	v_mov_b32_e32 v73, 0
	global_load_dword v73, v73, s[4:5]
	s_waitcnt vmcnt(0)
	v_cmp_ne_u32_e32 vcc, 0, v73
	s_cbranch_vccz .LBB35_159
.LBB35_158:
	s_endpgm
.LBB35_159:
	v_mov_b32_e32 v73, 0x120
	v_lshl_add_u32 v73, v0, 3, v73
	v_cmp_eq_u32_e32 vcc, 35, v0
	s_and_saveexec_b64 s[4:5], vcc
	s_cbranch_execz .LBB35_161
; %bb.160:
	buffer_load_dword v74, off, s[0:3], 0 offset:272
	buffer_load_dword v75, off, s[0:3], 0 offset:276
	v_mov_b32_e32 v76, 0
	buffer_store_dword v76, off, s[0:3], 0 offset:272
	buffer_store_dword v76, off, s[0:3], 0 offset:276
	s_waitcnt vmcnt(2)
	ds_write_b64 v73, v[74:75]
.LBB35_161:
	s_or_b64 exec, exec, s[4:5]
	s_waitcnt lgkmcnt(0)
	; wave barrier
	buffer_load_dword v77, off, s[0:3], 0 offset:284
	buffer_load_dword v78, off, s[0:3], 0 offset:280
	;; [unrolled: 1-line block ×4, first 2 shown]
	v_mov_b32_e32 v74, 0
	ds_read_b64 v[75:76], v74 offset:568
	v_cmp_lt_u32_e32 vcc, 33, v0
	s_waitcnt vmcnt(3) lgkmcnt(0)
	v_mul_f32_e32 v81, v75, v77
	v_mul_f32_e32 v77, v76, v77
	s_waitcnt vmcnt(2)
	v_fma_f32 v75, v75, v78, -v77
	v_fmac_f32_e32 v81, v76, v78
	v_add_f32_e32 v75, 0, v75
	v_add_f32_e32 v76, 0, v81
	s_waitcnt vmcnt(1)
	v_sub_f32_e32 v75, v79, v75
	s_waitcnt vmcnt(0)
	v_sub_f32_e32 v76, v80, v76
	buffer_store_dword v75, off, s[0:3], 0 offset:272
	buffer_store_dword v76, off, s[0:3], 0 offset:276
	s_and_saveexec_b64 s[4:5], vcc
	s_cbranch_execz .LBB35_163
; %bb.162:
	buffer_load_dword v75, off, s[0:3], 0 offset:264
	buffer_load_dword v76, off, s[0:3], 0 offset:268
	s_waitcnt vmcnt(0)
	ds_write_b64 v73, v[75:76]
	buffer_store_dword v74, off, s[0:3], 0 offset:264
	buffer_store_dword v74, off, s[0:3], 0 offset:268
.LBB35_163:
	s_or_b64 exec, exec, s[4:5]
	s_waitcnt lgkmcnt(0)
	; wave barrier
	buffer_load_dword v78, off, s[0:3], 0 offset:276
	buffer_load_dword v79, off, s[0:3], 0 offset:284
	buffer_load_dword v80, off, s[0:3], 0 offset:272
	buffer_load_dword v81, off, s[0:3], 0 offset:280
	buffer_load_dword v82, off, s[0:3], 0 offset:264
	buffer_load_dword v83, off, s[0:3], 0 offset:268
	ds_read_b128 v[74:77], v74 offset:560
	v_cmp_lt_u32_e32 vcc, 32, v0
	s_waitcnt vmcnt(5) lgkmcnt(0)
	v_mul_f32_e32 v84, v74, v78
	v_mul_f32_e32 v78, v75, v78
	s_waitcnt vmcnt(4)
	v_mul_f32_e32 v85, v76, v79
	v_mul_f32_e32 v79, v77, v79
	s_waitcnt vmcnt(3)
	v_fma_f32 v74, v74, v80, -v78
	v_fmac_f32_e32 v84, v75, v80
	s_waitcnt vmcnt(2)
	v_fma_f32 v75, v76, v81, -v79
	v_add_f32_e32 v74, 0, v74
	v_fmac_f32_e32 v85, v77, v81
	v_add_f32_e32 v76, 0, v84
	v_add_f32_e32 v74, v74, v75
	;; [unrolled: 1-line block ×3, first 2 shown]
	s_waitcnt vmcnt(1)
	v_sub_f32_e32 v74, v82, v74
	s_waitcnt vmcnt(0)
	v_sub_f32_e32 v75, v83, v76
	buffer_store_dword v74, off, s[0:3], 0 offset:264
	buffer_store_dword v75, off, s[0:3], 0 offset:268
	s_and_saveexec_b64 s[4:5], vcc
	s_cbranch_execz .LBB35_165
; %bb.164:
	buffer_load_dword v74, off, s[0:3], 0 offset:256
	buffer_load_dword v75, off, s[0:3], 0 offset:260
	v_mov_b32_e32 v76, 0
	buffer_store_dword v76, off, s[0:3], 0 offset:256
	buffer_store_dword v76, off, s[0:3], 0 offset:260
	s_waitcnt vmcnt(2)
	ds_write_b64 v73, v[74:75]
.LBB35_165:
	s_or_b64 exec, exec, s[4:5]
	s_waitcnt lgkmcnt(0)
	; wave barrier
	buffer_load_dword v81, off, s[0:3], 0 offset:268
	buffer_load_dword v82, off, s[0:3], 0 offset:276
	;; [unrolled: 1-line block ×8, first 2 shown]
	v_mov_b32_e32 v74, 0
	ds_read2_b64 v[75:78], v74 offset0:69 offset1:70
	ds_read_b64 v[79:80], v74 offset:568
	v_cmp_lt_u32_e32 vcc, 31, v0
	s_waitcnt vmcnt(7) lgkmcnt(1)
	v_mul_f32_e32 v89, v75, v81
	v_mul_f32_e32 v81, v76, v81
	s_waitcnt vmcnt(6)
	v_mul_f32_e32 v90, v77, v82
	v_mul_f32_e32 v82, v78, v82
	s_waitcnt vmcnt(4)
	v_fma_f32 v75, v75, v84, -v81
	s_waitcnt lgkmcnt(0)
	v_mul_f32_e32 v91, v79, v83
	v_mul_f32_e32 v83, v80, v83
	v_fmac_f32_e32 v89, v76, v84
	s_waitcnt vmcnt(3)
	v_fma_f32 v76, v77, v85, -v82
	v_add_f32_e32 v75, 0, v75
	v_fmac_f32_e32 v90, v78, v85
	s_waitcnt vmcnt(2)
	v_fma_f32 v77, v79, v86, -v83
	v_add_f32_e32 v78, 0, v89
	v_add_f32_e32 v75, v75, v76
	v_fmac_f32_e32 v91, v80, v86
	v_add_f32_e32 v78, v78, v90
	v_add_f32_e32 v75, v75, v77
	;; [unrolled: 1-line block ×3, first 2 shown]
	s_waitcnt vmcnt(1)
	v_sub_f32_e32 v75, v87, v75
	s_waitcnt vmcnt(0)
	v_sub_f32_e32 v76, v88, v76
	buffer_store_dword v75, off, s[0:3], 0 offset:256
	buffer_store_dword v76, off, s[0:3], 0 offset:260
	s_and_saveexec_b64 s[4:5], vcc
	s_cbranch_execz .LBB35_167
; %bb.166:
	buffer_load_dword v75, off, s[0:3], 0 offset:248
	buffer_load_dword v76, off, s[0:3], 0 offset:252
	s_waitcnt vmcnt(0)
	ds_write_b64 v73, v[75:76]
	buffer_store_dword v74, off, s[0:3], 0 offset:248
	buffer_store_dword v74, off, s[0:3], 0 offset:252
.LBB35_167:
	s_or_b64 exec, exec, s[4:5]
	s_waitcnt lgkmcnt(0)
	; wave barrier
	buffer_load_dword v83, off, s[0:3], 0 offset:260
	buffer_load_dword v84, off, s[0:3], 0 offset:268
	;; [unrolled: 1-line block ×10, first 2 shown]
	ds_read_b128 v[75:78], v74 offset:544
	ds_read_b128 v[79:82], v74 offset:560
	v_cmp_lt_u32_e32 vcc, 30, v0
	s_waitcnt vmcnt(9) lgkmcnt(1)
	v_mul_f32_e32 v74, v75, v83
	v_mul_f32_e32 v83, v76, v83
	s_waitcnt vmcnt(8)
	v_mul_f32_e32 v93, v77, v84
	v_mul_f32_e32 v84, v78, v84
	s_waitcnt vmcnt(5)
	v_fma_f32 v75, v75, v87, -v83
	s_waitcnt lgkmcnt(0)
	v_mul_f32_e32 v94, v79, v85
	v_mul_f32_e32 v85, v80, v85
	v_fmac_f32_e32 v74, v76, v87
	s_waitcnt vmcnt(4)
	v_fma_f32 v76, v77, v88, -v84
	v_add_f32_e32 v75, 0, v75
	v_mul_f32_e32 v95, v81, v86
	v_mul_f32_e32 v86, v82, v86
	v_fmac_f32_e32 v93, v78, v88
	s_waitcnt vmcnt(3)
	v_fma_f32 v77, v79, v89, -v85
	v_add_f32_e32 v74, 0, v74
	v_add_f32_e32 v75, v75, v76
	v_fmac_f32_e32 v94, v80, v89
	s_waitcnt vmcnt(2)
	v_fma_f32 v78, v81, v90, -v86
	v_add_f32_e32 v74, v74, v93
	v_add_f32_e32 v75, v75, v77
	v_fmac_f32_e32 v95, v82, v90
	v_add_f32_e32 v74, v74, v94
	v_add_f32_e32 v75, v75, v78
	v_add_f32_e32 v74, v74, v95
	s_waitcnt vmcnt(1)
	v_sub_f32_e32 v75, v91, v75
	s_waitcnt vmcnt(0)
	v_sub_f32_e32 v74, v92, v74
	buffer_store_dword v75, off, s[0:3], 0 offset:248
	buffer_store_dword v74, off, s[0:3], 0 offset:252
	s_and_saveexec_b64 s[4:5], vcc
	s_cbranch_execz .LBB35_169
; %bb.168:
	buffer_load_dword v74, off, s[0:3], 0 offset:240
	buffer_load_dword v75, off, s[0:3], 0 offset:244
	v_mov_b32_e32 v76, 0
	buffer_store_dword v76, off, s[0:3], 0 offset:240
	buffer_store_dword v76, off, s[0:3], 0 offset:244
	s_waitcnt vmcnt(2)
	ds_write_b64 v73, v[74:75]
.LBB35_169:
	s_or_b64 exec, exec, s[4:5]
	s_waitcnt lgkmcnt(0)
	; wave barrier
	buffer_load_dword v85, off, s[0:3], 0 offset:252
	buffer_load_dword v86, off, s[0:3], 0 offset:260
	;; [unrolled: 1-line block ×12, first 2 shown]
	v_mov_b32_e32 v74, 0
	ds_read2_b64 v[75:78], v74 offset0:67 offset1:68
	ds_read2_b64 v[79:82], v74 offset0:69 offset1:70
	ds_read_b64 v[83:84], v74 offset:568
	v_cmp_lt_u32_e32 vcc, 29, v0
	s_waitcnt vmcnt(11) lgkmcnt(2)
	v_mul_f32_e32 v97, v75, v85
	v_mul_f32_e32 v85, v76, v85
	s_waitcnt vmcnt(10)
	v_mul_f32_e32 v98, v77, v86
	v_mul_f32_e32 v86, v78, v86
	s_waitcnt vmcnt(9) lgkmcnt(1)
	v_mul_f32_e32 v99, v79, v87
	s_waitcnt vmcnt(6)
	v_fma_f32 v75, v75, v90, -v85
	v_mul_f32_e32 v87, v80, v87
	v_fmac_f32_e32 v97, v76, v90
	s_waitcnt vmcnt(5)
	v_fma_f32 v76, v77, v91, -v86
	v_add_f32_e32 v75, 0, v75
	v_mul_f32_e32 v100, v81, v88
	v_mul_f32_e32 v88, v82, v88
	v_fmac_f32_e32 v98, v78, v91
	s_waitcnt vmcnt(4)
	v_fmac_f32_e32 v99, v80, v92
	v_fma_f32 v77, v79, v92, -v87
	v_add_f32_e32 v80, 0, v97
	v_add_f32_e32 v75, v75, v76
	s_waitcnt lgkmcnt(0)
	v_mul_f32_e32 v101, v83, v89
	v_mul_f32_e32 v89, v84, v89
	s_waitcnt vmcnt(3)
	v_fma_f32 v78, v81, v93, -v88
	v_add_f32_e32 v80, v80, v98
	v_add_f32_e32 v75, v75, v77
	v_fmac_f32_e32 v100, v82, v93
	s_waitcnt vmcnt(2)
	v_fma_f32 v79, v83, v94, -v89
	v_add_f32_e32 v76, v80, v99
	v_add_f32_e32 v75, v75, v78
	v_fmac_f32_e32 v101, v84, v94
	v_add_f32_e32 v76, v76, v100
	v_add_f32_e32 v75, v75, v79
	;; [unrolled: 1-line block ×3, first 2 shown]
	s_waitcnt vmcnt(1)
	v_sub_f32_e32 v75, v95, v75
	s_waitcnt vmcnt(0)
	v_sub_f32_e32 v76, v96, v76
	buffer_store_dword v75, off, s[0:3], 0 offset:240
	buffer_store_dword v76, off, s[0:3], 0 offset:244
	s_and_saveexec_b64 s[4:5], vcc
	s_cbranch_execz .LBB35_171
; %bb.170:
	buffer_load_dword v75, off, s[0:3], 0 offset:232
	buffer_load_dword v76, off, s[0:3], 0 offset:236
	s_waitcnt vmcnt(0)
	ds_write_b64 v73, v[75:76]
	buffer_store_dword v74, off, s[0:3], 0 offset:232
	buffer_store_dword v74, off, s[0:3], 0 offset:236
.LBB35_171:
	s_or_b64 exec, exec, s[4:5]
	s_waitcnt lgkmcnt(0)
	; wave barrier
	buffer_load_dword v87, off, s[0:3], 0 offset:244
	buffer_load_dword v88, off, s[0:3], 0 offset:252
	;; [unrolled: 1-line block ×14, first 2 shown]
	ds_read_b128 v[75:78], v74 offset:528
	ds_read_b128 v[79:82], v74 offset:544
	;; [unrolled: 1-line block ×3, first 2 shown]
	v_cmp_lt_u32_e32 vcc, 28, v0
	s_waitcnt vmcnt(13) lgkmcnt(2)
	v_mul_f32_e32 v74, v75, v87
	v_mul_f32_e32 v87, v76, v87
	s_waitcnt vmcnt(12)
	v_mul_f32_e32 v101, v77, v88
	v_mul_f32_e32 v88, v78, v88
	s_waitcnt vmcnt(11) lgkmcnt(1)
	v_mul_f32_e32 v102, v79, v89
	v_mul_f32_e32 v89, v80, v89
	s_waitcnt vmcnt(7)
	v_fma_f32 v75, v75, v93, -v87
	v_fmac_f32_e32 v74, v76, v93
	s_waitcnt vmcnt(6)
	v_fma_f32 v76, v77, v94, -v88
	v_add_f32_e32 v75, 0, v75
	v_mul_f32_e32 v103, v81, v90
	v_mul_f32_e32 v90, v82, v90
	v_fmac_f32_e32 v101, v78, v94
	s_waitcnt vmcnt(5)
	v_fma_f32 v77, v79, v95, -v89
	v_add_f32_e32 v74, 0, v74
	v_add_f32_e32 v75, v75, v76
	s_waitcnt lgkmcnt(0)
	v_mul_f32_e32 v104, v83, v91
	v_mul_f32_e32 v91, v84, v91
	v_fmac_f32_e32 v102, v80, v95
	s_waitcnt vmcnt(4)
	v_fma_f32 v78, v81, v96, -v90
	v_add_f32_e32 v74, v74, v101
	v_add_f32_e32 v75, v75, v77
	v_mul_f32_e32 v105, v85, v92
	v_mul_f32_e32 v92, v86, v92
	v_fmac_f32_e32 v103, v82, v96
	s_waitcnt vmcnt(3)
	v_fma_f32 v79, v83, v97, -v91
	v_add_f32_e32 v74, v74, v102
	v_add_f32_e32 v75, v75, v78
	v_fmac_f32_e32 v104, v84, v97
	s_waitcnt vmcnt(2)
	v_fma_f32 v80, v85, v98, -v92
	v_add_f32_e32 v74, v74, v103
	v_add_f32_e32 v75, v75, v79
	v_fmac_f32_e32 v105, v86, v98
	v_add_f32_e32 v74, v74, v104
	v_add_f32_e32 v75, v75, v80
	;; [unrolled: 1-line block ×3, first 2 shown]
	s_waitcnt vmcnt(1)
	v_sub_f32_e32 v75, v99, v75
	s_waitcnt vmcnt(0)
	v_sub_f32_e32 v74, v100, v74
	buffer_store_dword v75, off, s[0:3], 0 offset:232
	buffer_store_dword v74, off, s[0:3], 0 offset:236
	s_and_saveexec_b64 s[4:5], vcc
	s_cbranch_execz .LBB35_173
; %bb.172:
	buffer_load_dword v74, off, s[0:3], 0 offset:224
	buffer_load_dword v75, off, s[0:3], 0 offset:228
	v_mov_b32_e32 v76, 0
	buffer_store_dword v76, off, s[0:3], 0 offset:224
	buffer_store_dword v76, off, s[0:3], 0 offset:228
	s_waitcnt vmcnt(2)
	ds_write_b64 v73, v[74:75]
.LBB35_173:
	s_or_b64 exec, exec, s[4:5]
	s_waitcnt lgkmcnt(0)
	; wave barrier
	buffer_load_dword v89, off, s[0:3], 0 offset:236
	buffer_load_dword v90, off, s[0:3], 0 offset:244
	;; [unrolled: 1-line block ×16, first 2 shown]
	v_mov_b32_e32 v74, 0
	ds_read2_b64 v[75:78], v74 offset0:65 offset1:66
	ds_read2_b64 v[79:82], v74 offset0:67 offset1:68
	;; [unrolled: 1-line block ×3, first 2 shown]
	ds_read_b64 v[87:88], v74 offset:568
	v_cmp_lt_u32_e32 vcc, 27, v0
	s_waitcnt vmcnt(15) lgkmcnt(3)
	v_mul_f32_e32 v105, v75, v89
	v_mul_f32_e32 v89, v76, v89
	s_waitcnt vmcnt(14)
	v_mul_f32_e32 v106, v77, v90
	v_mul_f32_e32 v90, v78, v90
	s_waitcnt vmcnt(13) lgkmcnt(2)
	v_mul_f32_e32 v107, v79, v91
	s_waitcnt vmcnt(12)
	v_mul_f32_e32 v108, v81, v92
	v_mul_f32_e32 v91, v80, v91
	s_waitcnt vmcnt(8)
	v_fma_f32 v75, v75, v96, -v89
	v_fmac_f32_e32 v105, v76, v96
	s_waitcnt vmcnt(7)
	v_fma_f32 v76, v77, v97, -v90
	v_add_f32_e32 v75, 0, v75
	v_mul_f32_e32 v92, v82, v92
	v_fmac_f32_e32 v106, v78, v97
	s_waitcnt vmcnt(5)
	v_fmac_f32_e32 v108, v82, v99
	v_fma_f32 v77, v79, v98, -v91
	v_add_f32_e32 v82, 0, v105
	v_add_f32_e32 v75, v75, v76
	s_waitcnt lgkmcnt(1)
	v_mul_f32_e32 v109, v83, v93
	v_mul_f32_e32 v93, v84, v93
	v_fmac_f32_e32 v107, v80, v98
	v_fma_f32 v78, v81, v99, -v92
	v_add_f32_e32 v82, v82, v106
	v_add_f32_e32 v75, v75, v77
	v_mul_f32_e32 v110, v85, v94
	v_mul_f32_e32 v94, v86, v94
	s_waitcnt vmcnt(4)
	v_fma_f32 v79, v83, v100, -v93
	v_add_f32_e32 v76, v82, v107
	v_add_f32_e32 v75, v75, v78
	s_waitcnt lgkmcnt(0)
	v_mul_f32_e32 v111, v87, v95
	v_mul_f32_e32 v95, v88, v95
	v_fmac_f32_e32 v109, v84, v100
	s_waitcnt vmcnt(3)
	v_fma_f32 v80, v85, v101, -v94
	v_add_f32_e32 v76, v76, v108
	v_add_f32_e32 v75, v75, v79
	v_fmac_f32_e32 v110, v86, v101
	s_waitcnt vmcnt(2)
	v_fma_f32 v81, v87, v102, -v95
	v_add_f32_e32 v76, v76, v109
	v_add_f32_e32 v75, v75, v80
	v_fmac_f32_e32 v111, v88, v102
	v_add_f32_e32 v76, v76, v110
	v_add_f32_e32 v75, v75, v81
	v_add_f32_e32 v76, v76, v111
	s_waitcnt vmcnt(1)
	v_sub_f32_e32 v75, v103, v75
	s_waitcnt vmcnt(0)
	v_sub_f32_e32 v76, v104, v76
	buffer_store_dword v75, off, s[0:3], 0 offset:224
	buffer_store_dword v76, off, s[0:3], 0 offset:228
	s_and_saveexec_b64 s[4:5], vcc
	s_cbranch_execz .LBB35_175
; %bb.174:
	buffer_load_dword v75, off, s[0:3], 0 offset:216
	buffer_load_dword v76, off, s[0:3], 0 offset:220
	s_waitcnt vmcnt(0)
	ds_write_b64 v73, v[75:76]
	buffer_store_dword v74, off, s[0:3], 0 offset:216
	buffer_store_dword v74, off, s[0:3], 0 offset:220
.LBB35_175:
	s_or_b64 exec, exec, s[4:5]
	s_waitcnt lgkmcnt(0)
	; wave barrier
	buffer_load_dword v91, off, s[0:3], 0 offset:228
	buffer_load_dword v92, off, s[0:3], 0 offset:236
	;; [unrolled: 1-line block ×18, first 2 shown]
	ds_read_b128 v[75:78], v74 offset:512
	ds_read_b128 v[79:82], v74 offset:528
	;; [unrolled: 1-line block ×4, first 2 shown]
	v_cmp_lt_u32_e32 vcc, 26, v0
	s_waitcnt vmcnt(17) lgkmcnt(3)
	v_mul_f32_e32 v74, v75, v91
	v_mul_f32_e32 v91, v76, v91
	s_waitcnt vmcnt(16)
	v_mul_f32_e32 v109, v77, v92
	v_mul_f32_e32 v92, v78, v92
	s_waitcnt vmcnt(15) lgkmcnt(2)
	v_mul_f32_e32 v110, v79, v93
	v_mul_f32_e32 v93, v80, v93
	s_waitcnt vmcnt(14)
	v_mul_f32_e32 v111, v81, v94
	v_mul_f32_e32 v94, v82, v94
	s_waitcnt vmcnt(9)
	v_fma_f32 v75, v75, v99, -v91
	v_fmac_f32_e32 v74, v76, v99
	s_waitcnt vmcnt(8)
	v_fma_f32 v76, v77, v100, -v92
	v_add_f32_e32 v75, 0, v75
	v_fmac_f32_e32 v109, v78, v100
	s_waitcnt vmcnt(7)
	v_fma_f32 v77, v79, v101, -v93
	v_add_f32_e32 v74, 0, v74
	v_add_f32_e32 v75, v75, v76
	s_waitcnt lgkmcnt(1)
	v_mul_f32_e32 v112, v83, v95
	v_mul_f32_e32 v95, v84, v95
	v_fmac_f32_e32 v110, v80, v101
	s_waitcnt vmcnt(6)
	v_fma_f32 v78, v81, v102, -v94
	v_add_f32_e32 v74, v74, v109
	v_add_f32_e32 v75, v75, v77
	v_mul_f32_e32 v113, v85, v96
	v_mul_f32_e32 v96, v86, v96
	v_fmac_f32_e32 v111, v82, v102
	s_waitcnt vmcnt(5)
	v_fma_f32 v79, v83, v103, -v95
	v_add_f32_e32 v74, v74, v110
	v_add_f32_e32 v75, v75, v78
	s_waitcnt lgkmcnt(0)
	v_mul_f32_e32 v114, v87, v97
	v_mul_f32_e32 v97, v88, v97
	v_fmac_f32_e32 v112, v84, v103
	s_waitcnt vmcnt(4)
	v_fma_f32 v80, v85, v104, -v96
	v_add_f32_e32 v74, v74, v111
	v_add_f32_e32 v75, v75, v79
	v_mul_f32_e32 v115, v89, v98
	v_mul_f32_e32 v98, v90, v98
	v_fmac_f32_e32 v113, v86, v104
	s_waitcnt vmcnt(3)
	v_fma_f32 v81, v87, v105, -v97
	v_add_f32_e32 v74, v74, v112
	v_add_f32_e32 v75, v75, v80
	v_fmac_f32_e32 v114, v88, v105
	s_waitcnt vmcnt(2)
	v_fma_f32 v82, v89, v106, -v98
	v_add_f32_e32 v74, v74, v113
	v_add_f32_e32 v75, v75, v81
	v_fmac_f32_e32 v115, v90, v106
	v_add_f32_e32 v74, v74, v114
	v_add_f32_e32 v75, v75, v82
	;; [unrolled: 1-line block ×3, first 2 shown]
	s_waitcnt vmcnt(1)
	v_sub_f32_e32 v75, v107, v75
	s_waitcnt vmcnt(0)
	v_sub_f32_e32 v74, v108, v74
	buffer_store_dword v75, off, s[0:3], 0 offset:216
	buffer_store_dword v74, off, s[0:3], 0 offset:220
	s_and_saveexec_b64 s[4:5], vcc
	s_cbranch_execz .LBB35_177
; %bb.176:
	buffer_load_dword v74, off, s[0:3], 0 offset:208
	buffer_load_dword v75, off, s[0:3], 0 offset:212
	v_mov_b32_e32 v76, 0
	buffer_store_dword v76, off, s[0:3], 0 offset:208
	buffer_store_dword v76, off, s[0:3], 0 offset:212
	s_waitcnt vmcnt(2)
	ds_write_b64 v73, v[74:75]
.LBB35_177:
	s_or_b64 exec, exec, s[4:5]
	s_waitcnt lgkmcnt(0)
	; wave barrier
	buffer_load_dword v93, off, s[0:3], 0 offset:220
	buffer_load_dword v94, off, s[0:3], 0 offset:228
	;; [unrolled: 1-line block ×20, first 2 shown]
	v_mov_b32_e32 v74, 0
	ds_read2_b64 v[75:78], v74 offset0:63 offset1:64
	ds_read2_b64 v[79:82], v74 offset0:65 offset1:66
	;; [unrolled: 1-line block ×4, first 2 shown]
	ds_read_b64 v[91:92], v74 offset:568
	v_cmp_lt_u32_e32 vcc, 25, v0
	s_waitcnt vmcnt(19) lgkmcnt(4)
	v_mul_f32_e32 v113, v75, v93
	v_mul_f32_e32 v93, v76, v93
	s_waitcnt vmcnt(18)
	v_mul_f32_e32 v114, v77, v94
	v_mul_f32_e32 v94, v78, v94
	s_waitcnt vmcnt(17) lgkmcnt(3)
	v_mul_f32_e32 v115, v79, v95
	s_waitcnt vmcnt(15) lgkmcnt(2)
	v_mul_f32_e32 v117, v83, v97
	v_mul_f32_e32 v95, v80, v95
	;; [unrolled: 1-line block ×4, first 2 shown]
	s_waitcnt vmcnt(10)
	v_fma_f32 v75, v75, v102, -v93
	v_fmac_f32_e32 v113, v76, v102
	s_waitcnt vmcnt(9)
	v_fma_f32 v76, v77, v103, -v94
	v_add_f32_e32 v75, 0, v75
	v_mul_f32_e32 v97, v84, v97
	v_fmac_f32_e32 v114, v78, v103
	s_waitcnt vmcnt(6)
	v_fmac_f32_e32 v117, v84, v106
	v_fma_f32 v77, v79, v104, -v95
	v_add_f32_e32 v84, 0, v113
	v_add_f32_e32 v75, v75, v76
	v_fmac_f32_e32 v115, v80, v104
	v_fma_f32 v78, v81, v105, -v96
	v_add_f32_e32 v84, v84, v114
	v_add_f32_e32 v75, v75, v77
	v_mul_f32_e32 v118, v85, v98
	v_mul_f32_e32 v98, v86, v98
	v_fmac_f32_e32 v116, v82, v105
	v_fma_f32 v79, v83, v106, -v97
	v_add_f32_e32 v76, v84, v115
	v_add_f32_e32 v75, v75, v78
	s_waitcnt lgkmcnt(1)
	v_mul_f32_e32 v119, v87, v99
	v_mul_f32_e32 v99, v88, v99
	s_waitcnt vmcnt(5)
	v_fma_f32 v80, v85, v107, -v98
	v_add_f32_e32 v76, v76, v116
	v_add_f32_e32 v75, v75, v79
	v_mul_f32_e32 v120, v89, v100
	v_mul_f32_e32 v100, v90, v100
	v_fmac_f32_e32 v118, v86, v107
	s_waitcnt vmcnt(4)
	v_fma_f32 v81, v87, v108, -v99
	v_add_f32_e32 v76, v76, v117
	v_add_f32_e32 v75, v75, v80
	s_waitcnt lgkmcnt(0)
	v_mul_f32_e32 v121, v91, v101
	v_mul_f32_e32 v101, v92, v101
	v_fmac_f32_e32 v119, v88, v108
	s_waitcnt vmcnt(3)
	v_fma_f32 v82, v89, v109, -v100
	v_add_f32_e32 v76, v76, v118
	v_add_f32_e32 v75, v75, v81
	v_fmac_f32_e32 v120, v90, v109
	s_waitcnt vmcnt(2)
	v_fma_f32 v83, v91, v110, -v101
	v_add_f32_e32 v76, v76, v119
	v_add_f32_e32 v75, v75, v82
	v_fmac_f32_e32 v121, v92, v110
	v_add_f32_e32 v76, v76, v120
	v_add_f32_e32 v75, v75, v83
	;; [unrolled: 1-line block ×3, first 2 shown]
	s_waitcnt vmcnt(1)
	v_sub_f32_e32 v75, v111, v75
	s_waitcnt vmcnt(0)
	v_sub_f32_e32 v76, v112, v76
	buffer_store_dword v75, off, s[0:3], 0 offset:208
	buffer_store_dword v76, off, s[0:3], 0 offset:212
	s_and_saveexec_b64 s[4:5], vcc
	s_cbranch_execz .LBB35_179
; %bb.178:
	buffer_load_dword v75, off, s[0:3], 0 offset:200
	buffer_load_dword v76, off, s[0:3], 0 offset:204
	s_waitcnt vmcnt(0)
	ds_write_b64 v73, v[75:76]
	buffer_store_dword v74, off, s[0:3], 0 offset:200
	buffer_store_dword v74, off, s[0:3], 0 offset:204
.LBB35_179:
	s_or_b64 exec, exec, s[4:5]
	s_waitcnt lgkmcnt(0)
	; wave barrier
	buffer_load_dword v95, off, s[0:3], 0 offset:212
	buffer_load_dword v96, off, s[0:3], 0 offset:220
	;; [unrolled: 1-line block ×22, first 2 shown]
	ds_read_b128 v[75:78], v74 offset:496
	ds_read_b128 v[79:82], v74 offset:512
	;; [unrolled: 1-line block ×5, first 2 shown]
	v_cmp_lt_u32_e32 vcc, 24, v0
	s_waitcnt vmcnt(21) lgkmcnt(4)
	v_mul_f32_e32 v74, v75, v95
	v_mul_f32_e32 v95, v76, v95
	s_waitcnt vmcnt(20)
	v_mul_f32_e32 v117, v77, v96
	v_mul_f32_e32 v96, v78, v96
	s_waitcnt vmcnt(19) lgkmcnt(3)
	v_mul_f32_e32 v118, v79, v97
	v_mul_f32_e32 v97, v80, v97
	s_waitcnt vmcnt(18)
	v_mul_f32_e32 v119, v81, v98
	v_mul_f32_e32 v98, v82, v98
	s_waitcnt vmcnt(17) lgkmcnt(2)
	v_mul_f32_e32 v120, v83, v99
	v_mul_f32_e32 v99, v84, v99
	s_waitcnt vmcnt(11)
	v_fma_f32 v75, v75, v105, -v95
	v_fmac_f32_e32 v74, v76, v105
	s_waitcnt vmcnt(10)
	v_fma_f32 v76, v77, v106, -v96
	v_add_f32_e32 v75, 0, v75
	v_fmac_f32_e32 v117, v78, v106
	s_waitcnt vmcnt(9)
	v_fma_f32 v77, v79, v107, -v97
	v_add_f32_e32 v74, 0, v74
	v_add_f32_e32 v75, v75, v76
	v_fmac_f32_e32 v118, v80, v107
	s_waitcnt vmcnt(8)
	v_fma_f32 v78, v81, v108, -v98
	v_add_f32_e32 v74, v74, v117
	v_add_f32_e32 v75, v75, v77
	v_mul_f32_e32 v121, v85, v100
	v_mul_f32_e32 v100, v86, v100
	v_fmac_f32_e32 v119, v82, v108
	s_waitcnt vmcnt(7)
	v_fma_f32 v79, v83, v109, -v99
	v_add_f32_e32 v74, v74, v118
	v_add_f32_e32 v75, v75, v78
	s_waitcnt lgkmcnt(1)
	v_mul_f32_e32 v122, v87, v101
	v_mul_f32_e32 v101, v88, v101
	v_fmac_f32_e32 v120, v84, v109
	s_waitcnt vmcnt(6)
	v_fma_f32 v80, v85, v110, -v100
	v_add_f32_e32 v74, v74, v119
	v_add_f32_e32 v75, v75, v79
	v_mul_f32_e32 v123, v89, v102
	v_mul_f32_e32 v102, v90, v102
	v_fmac_f32_e32 v121, v86, v110
	s_waitcnt vmcnt(5)
	v_fma_f32 v81, v87, v111, -v101
	v_add_f32_e32 v74, v74, v120
	v_add_f32_e32 v75, v75, v80
	s_waitcnt lgkmcnt(0)
	v_mul_f32_e32 v124, v91, v103
	v_mul_f32_e32 v103, v92, v103
	v_fmac_f32_e32 v122, v88, v111
	s_waitcnt vmcnt(4)
	v_fma_f32 v82, v89, v112, -v102
	v_add_f32_e32 v74, v74, v121
	v_add_f32_e32 v75, v75, v81
	v_mul_f32_e32 v125, v93, v104
	v_mul_f32_e32 v104, v94, v104
	v_fmac_f32_e32 v123, v90, v112
	s_waitcnt vmcnt(3)
	v_fma_f32 v83, v91, v113, -v103
	v_add_f32_e32 v74, v74, v122
	v_add_f32_e32 v75, v75, v82
	v_fmac_f32_e32 v124, v92, v113
	s_waitcnt vmcnt(2)
	v_fma_f32 v84, v93, v114, -v104
	v_add_f32_e32 v74, v74, v123
	v_add_f32_e32 v75, v75, v83
	v_fmac_f32_e32 v125, v94, v114
	v_add_f32_e32 v74, v74, v124
	v_add_f32_e32 v75, v75, v84
	;; [unrolled: 1-line block ×3, first 2 shown]
	s_waitcnt vmcnt(1)
	v_sub_f32_e32 v75, v115, v75
	s_waitcnt vmcnt(0)
	v_sub_f32_e32 v74, v116, v74
	buffer_store_dword v75, off, s[0:3], 0 offset:200
	buffer_store_dword v74, off, s[0:3], 0 offset:204
	s_and_saveexec_b64 s[4:5], vcc
	s_cbranch_execz .LBB35_181
; %bb.180:
	buffer_load_dword v74, off, s[0:3], 0 offset:192
	buffer_load_dword v75, off, s[0:3], 0 offset:196
	v_mov_b32_e32 v76, 0
	buffer_store_dword v76, off, s[0:3], 0 offset:192
	buffer_store_dword v76, off, s[0:3], 0 offset:196
	s_waitcnt vmcnt(2)
	ds_write_b64 v73, v[74:75]
.LBB35_181:
	s_or_b64 exec, exec, s[4:5]
	v_mov_b32_e32 v74, 0
	s_waitcnt lgkmcnt(0)
	; wave barrier
	ds_read2_b64 v[75:78], v74 offset0:61 offset1:62
	buffer_load_dword v97, off, s[0:3], 0 offset:192
	buffer_load_dword v98, off, s[0:3], 0 offset:196
	;; [unrolled: 1-line block ×16, first 2 shown]
	v_cmp_lt_u32_e32 vcc, 23, v0
	s_waitcnt vmcnt(12) lgkmcnt(0)
	v_mul_f32_e32 v79, v75, v100
	v_fmac_f32_e32 v79, v76, v99
	s_waitcnt vmcnt(10)
	v_mul_f32_e32 v80, v77, v102
	v_add_f32_e32 v79, 0, v79
	v_fmac_f32_e32 v80, v78, v101
	v_add_f32_e32 v83, v79, v80
	ds_read2_b64 v[79:82], v74 offset0:63 offset1:64
	v_mul_f32_e32 v76, v76, v100
	v_fma_f32 v75, v75, v99, -v76
	v_mul_f32_e32 v76, v78, v102
	v_add_f32_e32 v75, 0, v75
	s_waitcnt vmcnt(8) lgkmcnt(0)
	v_mul_f32_e32 v84, v79, v104
	v_fmac_f32_e32 v84, v80, v103
	v_add_f32_e32 v83, v83, v84
	s_waitcnt vmcnt(6)
	v_mul_f32_e32 v84, v81, v106
	v_fmac_f32_e32 v84, v82, v105
	v_add_f32_e32 v87, v83, v84
	ds_read2_b64 v[83:86], v74 offset0:65 offset1:66
	v_fma_f32 v76, v77, v101, -v76
	v_add_f32_e32 v75, v75, v76
	v_mul_f32_e32 v76, v80, v104
	v_fma_f32 v76, v79, v103, -v76
	s_waitcnt vmcnt(4) lgkmcnt(0)
	v_mul_f32_e32 v88, v83, v108
	v_fmac_f32_e32 v88, v84, v107
	v_add_f32_e32 v87, v87, v88
	s_waitcnt vmcnt(2)
	v_mul_f32_e32 v88, v85, v110
	v_fmac_f32_e32 v88, v86, v109
	v_add_f32_e32 v91, v87, v88
	ds_read2_b64 v[87:90], v74 offset0:67 offset1:68
	buffer_load_dword v113, off, s[0:3], 0 offset:256
	buffer_load_dword v114, off, s[0:3], 0 offset:260
	v_add_f32_e32 v75, v75, v76
	v_mul_f32_e32 v76, v82, v106
	v_fma_f32 v76, v81, v105, -v76
	s_waitcnt vmcnt(2) lgkmcnt(0)
	v_mul_f32_e32 v92, v87, v112
	v_fmac_f32_e32 v92, v88, v111
	v_add_f32_e32 v91, v91, v92
	v_add_f32_e32 v75, v75, v76
	v_mul_f32_e32 v76, v84, v108
	v_fma_f32 v76, v83, v107, -v76
	v_add_f32_e32 v75, v75, v76
	v_mul_f32_e32 v76, v86, v110
	v_fma_f32 v76, v85, v109, -v76
	;; [unrolled: 3-line block ×3, first 2 shown]
	v_add_f32_e32 v75, v75, v76
	s_waitcnt vmcnt(0)
	v_mul_f32_e32 v92, v89, v114
	v_fmac_f32_e32 v92, v90, v113
	v_add_f32_e32 v95, v91, v92
	ds_read2_b64 v[91:94], v74 offset0:69 offset1:70
	buffer_load_dword v115, off, s[0:3], 0 offset:264
	buffer_load_dword v116, off, s[0:3], 0 offset:268
	buffer_load_dword v117, off, s[0:3], 0 offset:272
	buffer_load_dword v118, off, s[0:3], 0 offset:276
	v_mul_f32_e32 v76, v90, v114
	v_fma_f32 v76, v89, v113, -v76
	v_add_f32_e32 v75, v75, v76
	s_waitcnt vmcnt(2) lgkmcnt(0)
	v_mul_f32_e32 v96, v91, v116
	v_fmac_f32_e32 v96, v92, v115
	v_add_f32_e32 v95, v95, v96
	s_waitcnt vmcnt(0)
	v_mul_f32_e32 v96, v93, v118
	v_fmac_f32_e32 v96, v94, v117
	v_add_f32_e32 v119, v95, v96
	ds_read_b64 v[95:96], v74 offset:568
	buffer_load_dword v120, off, s[0:3], 0 offset:280
	buffer_load_dword v121, off, s[0:3], 0 offset:284
	v_mul_f32_e32 v76, v92, v116
	v_fma_f32 v76, v91, v115, -v76
	v_add_f32_e32 v75, v75, v76
	v_mul_f32_e32 v76, v94, v118
	v_fma_f32 v76, v93, v117, -v76
	v_add_f32_e32 v75, v75, v76
	s_waitcnt vmcnt(0) lgkmcnt(0)
	v_mul_f32_e32 v76, v96, v121
	v_mul_f32_e32 v122, v95, v121
	v_fma_f32 v76, v95, v120, -v76
	v_fmac_f32_e32 v122, v96, v120
	v_add_f32_e32 v75, v75, v76
	v_add_f32_e32 v119, v119, v122
	v_sub_f32_e32 v75, v97, v75
	v_sub_f32_e32 v76, v98, v119
	buffer_store_dword v75, off, s[0:3], 0 offset:192
	buffer_store_dword v76, off, s[0:3], 0 offset:196
	s_and_saveexec_b64 s[4:5], vcc
	s_cbranch_execz .LBB35_183
; %bb.182:
	buffer_load_dword v75, off, s[0:3], 0 offset:184
	buffer_load_dword v76, off, s[0:3], 0 offset:188
	s_waitcnt vmcnt(0)
	ds_write_b64 v73, v[75:76]
	buffer_store_dword v74, off, s[0:3], 0 offset:184
	buffer_store_dword v74, off, s[0:3], 0 offset:188
.LBB35_183:
	s_or_b64 exec, exec, s[4:5]
	s_waitcnt lgkmcnt(0)
	; wave barrier
	ds_read_b128 v[75:78], v74 offset:480
	ds_read_b128 v[79:82], v74 offset:496
	ds_read_b128 v[83:86], v74 offset:512
	ds_read_b128 v[87:90], v74 offset:528
	buffer_load_dword v99, off, s[0:3], 0 offset:184
	buffer_load_dword v100, off, s[0:3], 0 offset:188
	;; [unrolled: 1-line block ×18, first 2 shown]
	v_cmp_lt_u32_e32 vcc, 22, v0
	s_waitcnt vmcnt(14) lgkmcnt(3)
	v_mul_f32_e32 v91, v75, v102
	v_fmac_f32_e32 v91, v76, v101
	s_waitcnt vmcnt(12)
	v_mul_f32_e32 v92, v77, v104
	v_add_f32_e32 v91, 0, v91
	v_fmac_f32_e32 v92, v78, v103
	v_add_f32_e32 v91, v91, v92
	s_waitcnt vmcnt(10) lgkmcnt(2)
	v_mul_f32_e32 v92, v79, v106
	v_fmac_f32_e32 v92, v80, v105
	v_add_f32_e32 v91, v91, v92
	s_waitcnt vmcnt(8)
	v_mul_f32_e32 v92, v81, v108
	v_fmac_f32_e32 v92, v82, v107
	v_add_f32_e32 v91, v91, v92
	s_waitcnt vmcnt(6) lgkmcnt(1)
	v_mul_f32_e32 v92, v83, v110
	v_fmac_f32_e32 v92, v84, v109
	v_add_f32_e32 v91, v91, v92
	s_waitcnt vmcnt(4)
	v_mul_f32_e32 v92, v85, v112
	;; [unrolled: 8-line block ×3, first 2 shown]
	v_fmac_f32_e32 v92, v90, v115
	v_add_f32_e32 v95, v91, v92
	ds_read_b128 v[91:94], v74 offset:544
	buffer_load_dword v117, off, s[0:3], 0 offset:256
	buffer_load_dword v118, off, s[0:3], 0 offset:260
	;; [unrolled: 1-line block ×4, first 2 shown]
	v_mul_f32_e32 v76, v76, v102
	v_fma_f32 v75, v75, v101, -v76
	v_mul_f32_e32 v76, v78, v104
	v_add_f32_e32 v75, 0, v75
	v_fma_f32 v76, v77, v103, -v76
	v_add_f32_e32 v75, v75, v76
	v_mul_f32_e32 v76, v80, v106
	v_fma_f32 v76, v79, v105, -v76
	v_add_f32_e32 v75, v75, v76
	v_mul_f32_e32 v76, v82, v108
	;; [unrolled: 3-line block ×6, first 2 shown]
	v_fma_f32 v76, v89, v115, -v76
	v_add_f32_e32 v75, v75, v76
	s_waitcnt vmcnt(2) lgkmcnt(0)
	v_mul_f32_e32 v96, v91, v118
	v_fmac_f32_e32 v96, v92, v117
	v_add_f32_e32 v95, v95, v96
	s_waitcnt vmcnt(0)
	v_mul_f32_e32 v96, v93, v120
	v_fmac_f32_e32 v96, v94, v119
	v_add_f32_e32 v121, v95, v96
	ds_read_b128 v[95:98], v74 offset:560
	buffer_load_dword v74, off, s[0:3], 0 offset:272
	buffer_load_dword v122, off, s[0:3], 0 offset:276
	v_mul_f32_e32 v76, v92, v118
	v_fma_f32 v76, v91, v117, -v76
	v_add_f32_e32 v75, v75, v76
	v_mul_f32_e32 v76, v94, v120
	v_fma_f32 v76, v93, v119, -v76
	v_add_f32_e32 v75, v75, v76
	s_waitcnt vmcnt(0) lgkmcnt(0)
	v_mul_f32_e32 v123, v95, v122
	v_fmac_f32_e32 v123, v96, v74
	v_add_f32_e32 v121, v121, v123
	buffer_load_dword v123, off, s[0:3], 0 offset:280
	buffer_load_dword v124, off, s[0:3], 0 offset:284
	v_mul_f32_e32 v76, v96, v122
	v_fma_f32 v74, v95, v74, -v76
	v_add_f32_e32 v74, v75, v74
	s_waitcnt vmcnt(0)
	v_mul_f32_e32 v75, v98, v124
	v_mul_f32_e32 v125, v97, v124
	v_fma_f32 v75, v97, v123, -v75
	v_fmac_f32_e32 v125, v98, v123
	v_add_f32_e32 v74, v74, v75
	v_add_f32_e32 v121, v121, v125
	v_sub_f32_e32 v74, v99, v74
	v_sub_f32_e32 v75, v100, v121
	buffer_store_dword v74, off, s[0:3], 0 offset:184
	buffer_store_dword v75, off, s[0:3], 0 offset:188
	s_and_saveexec_b64 s[4:5], vcc
	s_cbranch_execz .LBB35_185
; %bb.184:
	buffer_load_dword v74, off, s[0:3], 0 offset:176
	buffer_load_dword v75, off, s[0:3], 0 offset:180
	v_mov_b32_e32 v76, 0
	buffer_store_dword v76, off, s[0:3], 0 offset:176
	buffer_store_dword v76, off, s[0:3], 0 offset:180
	s_waitcnt vmcnt(2)
	ds_write_b64 v73, v[74:75]
.LBB35_185:
	s_or_b64 exec, exec, s[4:5]
	s_waitcnt lgkmcnt(0)
	; wave barrier
	buffer_load_dword v101, off, s[0:3], 0 offset:188
	buffer_load_dword v102, off, s[0:3], 0 offset:196
	;; [unrolled: 1-line block ×28, first 2 shown]
	v_mov_b32_e32 v74, 0
	ds_read2_b64 v[75:78], v74 offset0:59 offset1:60
	ds_read2_b64 v[79:82], v74 offset0:61 offset1:62
	;; [unrolled: 1-line block ×6, first 2 shown]
	ds_read_b64 v[99:100], v74 offset:568
	v_cmp_lt_u32_e32 vcc, 21, v0
	s_waitcnt vmcnt(27) lgkmcnt(6)
	v_mul_f32_e32 v129, v75, v101
	v_mul_f32_e32 v101, v76, v101
	s_waitcnt vmcnt(26)
	v_mul_f32_e32 v130, v77, v102
	v_mul_f32_e32 v102, v78, v102
	s_waitcnt vmcnt(25) lgkmcnt(5)
	v_mul_f32_e32 v131, v79, v103
	v_mul_f32_e32 v103, v80, v103
	s_waitcnt vmcnt(24)
	v_mul_f32_e32 v132, v81, v104
	v_mul_f32_e32 v104, v82, v104
	;; [unrolled: 6-line block ×3, first 2 shown]
	s_waitcnt vmcnt(21) lgkmcnt(3)
	v_mul_f32_e32 v135, v87, v107
	s_waitcnt vmcnt(14)
	v_fma_f32 v75, v75, v114, -v101
	v_fmac_f32_e32 v129, v76, v114
	s_waitcnt vmcnt(13)
	v_fma_f32 v76, v77, v115, -v102
	v_add_f32_e32 v75, 0, v75
	s_waitcnt vmcnt(12)
	v_fma_f32 v77, v79, v116, -v103
	v_add_f32_e32 v75, v75, v76
	v_fmac_f32_e32 v130, v78, v115
	s_waitcnt vmcnt(11)
	v_fma_f32 v78, v81, v117, -v104
	v_add_f32_e32 v75, v75, v77
	s_waitcnt vmcnt(10)
	v_fma_f32 v79, v83, v118, -v105
	v_add_f32_e32 v75, v75, v78
	v_fmac_f32_e32 v131, v80, v116
	s_waitcnt vmcnt(9)
	v_fma_f32 v80, v85, v119, -v106
	v_add_f32_e32 v75, v75, v79
	v_mul_f32_e32 v77, v88, v107
	v_add_f32_e32 v75, v75, v80
	s_waitcnt vmcnt(8)
	v_fma_f32 v77, v87, v120, -v77
	v_add_f32_e32 v75, v75, v77
	v_mul_f32_e32 v77, v90, v108
	v_add_f32_e32 v81, 0, v129
	s_waitcnt vmcnt(7)
	v_fma_f32 v77, v89, v121, -v77
	v_add_f32_e32 v81, v81, v130
	v_add_f32_e32 v75, v75, v77
	s_waitcnt lgkmcnt(2)
	v_mul_f32_e32 v77, v92, v109
	v_fmac_f32_e32 v132, v82, v117
	v_add_f32_e32 v76, v81, v131
	s_waitcnt vmcnt(6)
	v_fma_f32 v77, v91, v122, -v77
	v_fmac_f32_e32 v133, v84, v118
	v_add_f32_e32 v76, v76, v132
	v_add_f32_e32 v75, v75, v77
	v_mul_f32_e32 v77, v94, v110
	v_fmac_f32_e32 v134, v86, v119
	v_add_f32_e32 v76, v76, v133
	s_waitcnt vmcnt(5)
	v_fma_f32 v77, v93, v123, -v77
	v_mul_f32_e32 v136, v89, v108
	v_fmac_f32_e32 v135, v88, v120
	v_add_f32_e32 v76, v76, v134
	v_add_f32_e32 v75, v75, v77
	s_waitcnt lgkmcnt(1)
	v_mul_f32_e32 v77, v96, v111
	v_mul_f32_e32 v137, v91, v109
	v_fmac_f32_e32 v136, v90, v121
	v_add_f32_e32 v76, v76, v135
	s_waitcnt vmcnt(4)
	v_fma_f32 v77, v95, v124, -v77
	v_mul_f32_e32 v138, v93, v110
	v_fmac_f32_e32 v137, v92, v122
	v_add_f32_e32 v76, v76, v136
	v_add_f32_e32 v75, v75, v77
	v_mul_f32_e32 v77, v98, v112
	v_mul_f32_e32 v139, v95, v111
	v_fmac_f32_e32 v138, v94, v123
	v_add_f32_e32 v76, v76, v137
	s_waitcnt vmcnt(3)
	v_fma_f32 v77, v97, v125, -v77
	v_mul_f32_e32 v140, v97, v112
	v_fmac_f32_e32 v139, v96, v124
	v_add_f32_e32 v76, v76, v138
	v_add_f32_e32 v75, v75, v77
	s_waitcnt lgkmcnt(0)
	v_mul_f32_e32 v77, v100, v113
	v_mul_f32_e32 v141, v99, v113
	v_fmac_f32_e32 v140, v98, v125
	v_add_f32_e32 v76, v76, v139
	s_waitcnt vmcnt(2)
	v_fma_f32 v77, v99, v126, -v77
	v_fmac_f32_e32 v141, v100, v126
	v_add_f32_e32 v76, v76, v140
	v_add_f32_e32 v75, v75, v77
	;; [unrolled: 1-line block ×3, first 2 shown]
	s_waitcnt vmcnt(1)
	v_sub_f32_e32 v75, v127, v75
	s_waitcnt vmcnt(0)
	v_sub_f32_e32 v76, v128, v76
	buffer_store_dword v75, off, s[0:3], 0 offset:176
	buffer_store_dword v76, off, s[0:3], 0 offset:180
	s_and_saveexec_b64 s[4:5], vcc
	s_cbranch_execz .LBB35_187
; %bb.186:
	buffer_load_dword v75, off, s[0:3], 0 offset:168
	buffer_load_dword v76, off, s[0:3], 0 offset:172
	s_waitcnt vmcnt(0)
	ds_write_b64 v73, v[75:76]
	buffer_store_dword v74, off, s[0:3], 0 offset:168
	buffer_store_dword v74, off, s[0:3], 0 offset:172
.LBB35_187:
	s_or_b64 exec, exec, s[4:5]
	s_waitcnt lgkmcnt(0)
	; wave barrier
	buffer_load_dword v103, off, s[0:3], 0 offset:180
	buffer_load_dword v104, off, s[0:3], 0 offset:188
	;; [unrolled: 1-line block ×30, first 2 shown]
	ds_read_b128 v[75:78], v74 offset:464
	ds_read_b128 v[79:82], v74 offset:480
	;; [unrolled: 1-line block ×7, first 2 shown]
	v_cmp_lt_u32_e32 vcc, 20, v0
	s_waitcnt vmcnt(29) lgkmcnt(6)
	v_mul_f32_e32 v74, v75, v103
	v_mul_f32_e32 v103, v76, v103
	s_waitcnt vmcnt(28)
	v_mul_f32_e32 v133, v77, v104
	v_mul_f32_e32 v104, v78, v104
	s_waitcnt vmcnt(27) lgkmcnt(5)
	v_mul_f32_e32 v134, v79, v105
	v_mul_f32_e32 v105, v80, v105
	s_waitcnt vmcnt(26)
	v_mul_f32_e32 v135, v81, v106
	v_mul_f32_e32 v106, v82, v106
	s_waitcnt vmcnt(25) lgkmcnt(4)
	v_mul_f32_e32 v136, v83, v107
	v_mul_f32_e32 v107, v84, v107
	s_waitcnt vmcnt(24)
	v_mul_f32_e32 v137, v85, v108
	s_waitcnt vmcnt(23) lgkmcnt(3)
	v_mul_f32_e32 v138, v87, v109
	s_waitcnt vmcnt(22)
	v_mul_f32_e32 v139, v89, v110
	s_waitcnt vmcnt(21) lgkmcnt(2)
	v_mul_f32_e32 v140, v91, v111
	s_waitcnt vmcnt(15)
	v_fma_f32 v75, v75, v117, -v103
	v_fmac_f32_e32 v74, v76, v117
	s_waitcnt vmcnt(14)
	v_fma_f32 v76, v77, v118, -v104
	v_add_f32_e32 v75, 0, v75
	s_waitcnt vmcnt(13)
	v_fma_f32 v77, v79, v119, -v105
	v_add_f32_e32 v75, v75, v76
	v_fmac_f32_e32 v133, v78, v118
	s_waitcnt vmcnt(12)
	v_fma_f32 v78, v81, v120, -v106
	v_add_f32_e32 v75, v75, v77
	s_waitcnt vmcnt(11)
	v_fma_f32 v79, v83, v121, -v107
	v_add_f32_e32 v75, v75, v78
	v_mul_f32_e32 v76, v86, v108
	v_add_f32_e32 v75, v75, v79
	s_waitcnt vmcnt(10)
	v_fma_f32 v76, v85, v122, -v76
	v_add_f32_e32 v75, v75, v76
	v_mul_f32_e32 v76, v88, v109
	s_waitcnt vmcnt(9)
	v_fma_f32 v76, v87, v123, -v76
	v_add_f32_e32 v75, v75, v76
	v_mul_f32_e32 v76, v90, v110
	s_waitcnt vmcnt(8)
	v_fma_f32 v76, v89, v124, -v76
	v_add_f32_e32 v74, 0, v74
	v_add_f32_e32 v75, v75, v76
	v_mul_f32_e32 v76, v92, v111
	v_fmac_f32_e32 v134, v80, v119
	v_add_f32_e32 v74, v74, v133
	s_waitcnt vmcnt(7)
	v_fma_f32 v76, v91, v125, -v76
	v_fmac_f32_e32 v135, v82, v120
	v_add_f32_e32 v74, v74, v134
	v_add_f32_e32 v75, v75, v76
	v_mul_f32_e32 v76, v94, v112
	v_fmac_f32_e32 v136, v84, v121
	v_add_f32_e32 v74, v74, v135
	s_waitcnt vmcnt(6)
	v_fma_f32 v76, v93, v126, -v76
	v_fmac_f32_e32 v137, v86, v122
	v_add_f32_e32 v74, v74, v136
	v_add_f32_e32 v75, v75, v76
	s_waitcnt lgkmcnt(1)
	v_mul_f32_e32 v76, v96, v113
	v_fmac_f32_e32 v138, v88, v123
	v_add_f32_e32 v74, v74, v137
	s_waitcnt vmcnt(5)
	v_fma_f32 v76, v95, v127, -v76
	v_fmac_f32_e32 v139, v90, v124
	v_add_f32_e32 v74, v74, v138
	v_add_f32_e32 v75, v75, v76
	v_mul_f32_e32 v76, v98, v114
	v_mul_f32_e32 v141, v93, v112
	v_fmac_f32_e32 v140, v92, v125
	v_add_f32_e32 v74, v74, v139
	s_waitcnt vmcnt(4)
	v_fma_f32 v76, v97, v128, -v76
	v_mul_f32_e32 v142, v95, v113
	v_fmac_f32_e32 v141, v94, v126
	v_add_f32_e32 v74, v74, v140
	v_add_f32_e32 v75, v75, v76
	s_waitcnt lgkmcnt(0)
	v_mul_f32_e32 v76, v100, v115
	v_mul_f32_e32 v143, v97, v114
	v_fmac_f32_e32 v142, v96, v127
	v_add_f32_e32 v74, v74, v141
	s_waitcnt vmcnt(3)
	v_fma_f32 v76, v99, v129, -v76
	v_mul_f32_e32 v144, v99, v115
	v_fmac_f32_e32 v143, v98, v128
	v_add_f32_e32 v74, v74, v142
	v_add_f32_e32 v75, v75, v76
	v_mul_f32_e32 v76, v102, v116
	v_mul_f32_e32 v145, v101, v116
	v_fmac_f32_e32 v144, v100, v129
	v_add_f32_e32 v74, v74, v143
	s_waitcnt vmcnt(2)
	v_fma_f32 v76, v101, v130, -v76
	v_fmac_f32_e32 v145, v102, v130
	v_add_f32_e32 v74, v74, v144
	v_add_f32_e32 v75, v75, v76
	;; [unrolled: 1-line block ×3, first 2 shown]
	s_waitcnt vmcnt(1)
	v_sub_f32_e32 v75, v131, v75
	s_waitcnt vmcnt(0)
	v_sub_f32_e32 v74, v132, v74
	buffer_store_dword v75, off, s[0:3], 0 offset:168
	buffer_store_dword v74, off, s[0:3], 0 offset:172
	s_and_saveexec_b64 s[4:5], vcc
	s_cbranch_execz .LBB35_189
; %bb.188:
	buffer_load_dword v74, off, s[0:3], 0 offset:160
	buffer_load_dword v75, off, s[0:3], 0 offset:164
	v_mov_b32_e32 v76, 0
	buffer_store_dword v76, off, s[0:3], 0 offset:160
	buffer_store_dword v76, off, s[0:3], 0 offset:164
	s_waitcnt vmcnt(2)
	ds_write_b64 v73, v[74:75]
.LBB35_189:
	s_or_b64 exec, exec, s[4:5]
	s_waitcnt lgkmcnt(0)
	; wave barrier
	buffer_load_dword v105, off, s[0:3], 0 offset:172
	buffer_load_dword v106, off, s[0:3], 0 offset:180
	;; [unrolled: 1-line block ×32, first 2 shown]
	v_mov_b32_e32 v74, 0
	ds_read2_b64 v[75:78], v74 offset0:57 offset1:58
	ds_read2_b64 v[79:82], v74 offset0:59 offset1:60
	;; [unrolled: 1-line block ×7, first 2 shown]
	ds_read_b64 v[103:104], v74 offset:568
	v_cmp_lt_u32_e32 vcc, 19, v0
	s_waitcnt vmcnt(31) lgkmcnt(7)
	v_mul_f32_e32 v137, v75, v105
	v_mul_f32_e32 v105, v76, v105
	s_waitcnt vmcnt(30)
	v_mul_f32_e32 v138, v77, v106
	v_mul_f32_e32 v106, v78, v106
	s_waitcnt vmcnt(29) lgkmcnt(6)
	v_mul_f32_e32 v139, v79, v107
	v_mul_f32_e32 v107, v80, v107
	s_waitcnt vmcnt(28)
	v_mul_f32_e32 v140, v81, v108
	s_waitcnt vmcnt(27) lgkmcnt(5)
	v_mul_f32_e32 v141, v83, v109
	s_waitcnt vmcnt(26)
	v_mul_f32_e32 v142, v85, v110
	s_waitcnt vmcnt(25) lgkmcnt(4)
	;; [unrolled: 4-line block ×4, first 2 shown]
	v_mul_f32_e32 v147, v95, v115
	s_waitcnt vmcnt(20)
	v_mul_f32_e32 v148, v97, v116
	s_waitcnt vmcnt(16)
	v_fma_f32 v75, v75, v120, -v105
	v_fmac_f32_e32 v137, v76, v120
	s_waitcnt vmcnt(15)
	v_fma_f32 v76, v77, v121, -v106
	v_add_f32_e32 v75, 0, v75
	s_waitcnt vmcnt(14)
	v_fma_f32 v77, v79, v122, -v107
	v_add_f32_e32 v75, v75, v76
	v_add_f32_e32 v75, v75, v77
	v_mul_f32_e32 v77, v82, v108
	s_waitcnt vmcnt(13)
	v_fma_f32 v77, v81, v123, -v77
	v_add_f32_e32 v75, v75, v77
	v_mul_f32_e32 v77, v84, v109
	s_waitcnt vmcnt(12)
	v_fma_f32 v77, v83, v124, -v77
	v_add_f32_e32 v75, v75, v77
	v_mul_f32_e32 v77, v86, v110
	s_waitcnt vmcnt(11)
	v_fma_f32 v77, v85, v125, -v77
	v_add_f32_e32 v75, v75, v77
	v_mul_f32_e32 v77, v88, v111
	s_waitcnt vmcnt(10)
	v_fma_f32 v77, v87, v126, -v77
	v_add_f32_e32 v75, v75, v77
	v_mul_f32_e32 v77, v90, v112
	s_waitcnt vmcnt(9)
	v_fma_f32 v77, v89, v127, -v77
	v_add_f32_e32 v75, v75, v77
	v_mul_f32_e32 v77, v92, v113
	v_fmac_f32_e32 v138, v78, v121
	v_add_f32_e32 v78, 0, v137
	s_waitcnt vmcnt(8)
	v_fma_f32 v77, v91, v128, -v77
	v_fmac_f32_e32 v139, v80, v122
	v_add_f32_e32 v78, v78, v138
	v_add_f32_e32 v75, v75, v77
	v_mul_f32_e32 v77, v94, v114
	v_fmac_f32_e32 v140, v82, v123
	v_add_f32_e32 v76, v78, v139
	s_waitcnt vmcnt(7)
	v_fma_f32 v77, v93, v129, -v77
	v_fmac_f32_e32 v141, v84, v124
	v_add_f32_e32 v76, v76, v140
	;; [unrolled: 8-line block ×4, first 2 shown]
	v_add_f32_e32 v75, v75, v77
	s_waitcnt lgkmcnt(1)
	v_mul_f32_e32 v77, v100, v117
	v_fmac_f32_e32 v146, v94, v129
	v_add_f32_e32 v76, v76, v145
	s_waitcnt vmcnt(4)
	v_fma_f32 v77, v99, v132, -v77
	v_fmac_f32_e32 v147, v96, v130
	v_add_f32_e32 v76, v76, v146
	v_add_f32_e32 v75, v75, v77
	v_mul_f32_e32 v77, v102, v118
	v_mul_f32_e32 v149, v99, v117
	v_fmac_f32_e32 v148, v98, v131
	v_add_f32_e32 v76, v76, v147
	s_waitcnt vmcnt(3)
	v_fma_f32 v77, v101, v133, -v77
	v_mul_f32_e32 v150, v101, v118
	v_fmac_f32_e32 v149, v100, v132
	v_add_f32_e32 v76, v76, v148
	v_add_f32_e32 v75, v75, v77
	s_waitcnt lgkmcnt(0)
	v_mul_f32_e32 v77, v104, v119
	v_mul_f32_e32 v151, v103, v119
	v_fmac_f32_e32 v150, v102, v133
	v_add_f32_e32 v76, v76, v149
	s_waitcnt vmcnt(2)
	v_fma_f32 v77, v103, v134, -v77
	v_fmac_f32_e32 v151, v104, v134
	v_add_f32_e32 v76, v76, v150
	v_add_f32_e32 v75, v75, v77
	;; [unrolled: 1-line block ×3, first 2 shown]
	s_waitcnt vmcnt(1)
	v_sub_f32_e32 v75, v135, v75
	s_waitcnt vmcnt(0)
	v_sub_f32_e32 v76, v136, v76
	buffer_store_dword v75, off, s[0:3], 0 offset:160
	buffer_store_dword v76, off, s[0:3], 0 offset:164
	s_and_saveexec_b64 s[4:5], vcc
	s_cbranch_execz .LBB35_191
; %bb.190:
	buffer_load_dword v75, off, s[0:3], 0 offset:152
	buffer_load_dword v76, off, s[0:3], 0 offset:156
	s_waitcnt vmcnt(0)
	ds_write_b64 v73, v[75:76]
	buffer_store_dword v74, off, s[0:3], 0 offset:152
	buffer_store_dword v74, off, s[0:3], 0 offset:156
.LBB35_191:
	s_or_b64 exec, exec, s[4:5]
	s_waitcnt lgkmcnt(0)
	; wave barrier
	buffer_load_dword v107, off, s[0:3], 0 offset:164
	buffer_load_dword v108, off, s[0:3], 0 offset:172
	;; [unrolled: 1-line block ×34, first 2 shown]
	ds_read_b128 v[75:78], v74 offset:448
	ds_read_b128 v[79:82], v74 offset:464
	;; [unrolled: 1-line block ×8, first 2 shown]
	v_cmp_lt_u32_e32 vcc, 18, v0
	s_waitcnt vmcnt(33) lgkmcnt(7)
	v_mul_f32_e32 v74, v75, v107
	v_mul_f32_e32 v107, v76, v107
	s_waitcnt vmcnt(32)
	v_mul_f32_e32 v141, v77, v108
	v_mul_f32_e32 v108, v78, v108
	s_waitcnt vmcnt(31) lgkmcnt(6)
	v_mul_f32_e32 v142, v79, v109
	s_waitcnt vmcnt(30)
	v_mul_f32_e32 v143, v81, v110
	s_waitcnt vmcnt(29) lgkmcnt(5)
	v_mul_f32_e32 v144, v83, v111
	s_waitcnt vmcnt(28)
	;; [unrolled: 4-line block ×6, first 2 shown]
	v_mul_f32_e32 v153, v101, v120
	s_waitcnt vmcnt(17)
	v_fma_f32 v75, v75, v123, -v107
	v_fmac_f32_e32 v74, v76, v123
	s_waitcnt vmcnt(16)
	v_fma_f32 v76, v77, v124, -v108
	v_add_f32_e32 v75, 0, v75
	v_add_f32_e32 v75, v75, v76
	v_mul_f32_e32 v76, v80, v109
	s_waitcnt vmcnt(15)
	v_fma_f32 v76, v79, v125, -v76
	v_add_f32_e32 v75, v75, v76
	v_mul_f32_e32 v76, v82, v110
	s_waitcnt vmcnt(14)
	v_fma_f32 v76, v81, v126, -v76
	;; [unrolled: 4-line block ×7, first 2 shown]
	v_fmac_f32_e32 v141, v78, v124
	v_add_f32_e32 v74, 0, v74
	v_add_f32_e32 v75, v75, v76
	v_mul_f32_e32 v76, v94, v116
	v_fmac_f32_e32 v142, v80, v125
	v_add_f32_e32 v74, v74, v141
	s_waitcnt vmcnt(8)
	v_fma_f32 v76, v93, v132, -v76
	v_fmac_f32_e32 v143, v82, v126
	v_add_f32_e32 v74, v74, v142
	v_add_f32_e32 v75, v75, v76
	v_mul_f32_e32 v76, v96, v117
	v_fmac_f32_e32 v144, v84, v127
	v_add_f32_e32 v74, v74, v143
	s_waitcnt vmcnt(7)
	v_fma_f32 v76, v95, v133, -v76
	;; [unrolled: 8-line block ×5, first 2 shown]
	v_fmac_f32_e32 v151, v98, v134
	v_add_f32_e32 v74, v74, v150
	v_add_f32_e32 v75, v75, v76
	s_waitcnt lgkmcnt(0)
	v_mul_f32_e32 v76, v104, v121
	v_fmac_f32_e32 v152, v100, v135
	v_add_f32_e32 v74, v74, v151
	s_waitcnt vmcnt(3)
	v_fma_f32 v76, v103, v137, -v76
	v_mul_f32_e32 v154, v103, v121
	v_fmac_f32_e32 v153, v102, v136
	v_add_f32_e32 v74, v74, v152
	v_add_f32_e32 v75, v75, v76
	v_mul_f32_e32 v76, v106, v122
	v_mul_f32_e32 v155, v105, v122
	v_fmac_f32_e32 v154, v104, v137
	v_add_f32_e32 v74, v74, v153
	s_waitcnt vmcnt(2)
	v_fma_f32 v76, v105, v138, -v76
	v_fmac_f32_e32 v155, v106, v138
	v_add_f32_e32 v74, v74, v154
	v_add_f32_e32 v75, v75, v76
	;; [unrolled: 1-line block ×3, first 2 shown]
	s_waitcnt vmcnt(1)
	v_sub_f32_e32 v75, v139, v75
	s_waitcnt vmcnt(0)
	v_sub_f32_e32 v74, v140, v74
	buffer_store_dword v75, off, s[0:3], 0 offset:152
	buffer_store_dword v74, off, s[0:3], 0 offset:156
	s_and_saveexec_b64 s[4:5], vcc
	s_cbranch_execz .LBB35_193
; %bb.192:
	buffer_load_dword v74, off, s[0:3], 0 offset:144
	buffer_load_dword v75, off, s[0:3], 0 offset:148
	v_mov_b32_e32 v76, 0
	buffer_store_dword v76, off, s[0:3], 0 offset:144
	buffer_store_dword v76, off, s[0:3], 0 offset:148
	s_waitcnt vmcnt(2)
	ds_write_b64 v73, v[74:75]
.LBB35_193:
	s_or_b64 exec, exec, s[4:5]
	s_waitcnt lgkmcnt(0)
	; wave barrier
	buffer_load_dword v109, off, s[0:3], 0 offset:156
	buffer_load_dword v110, off, s[0:3], 0 offset:164
	;; [unrolled: 1-line block ×36, first 2 shown]
	v_mov_b32_e32 v74, 0
	ds_read2_b64 v[75:78], v74 offset0:55 offset1:56
	ds_read2_b64 v[79:82], v74 offset0:57 offset1:58
	;; [unrolled: 1-line block ×8, first 2 shown]
	ds_read_b64 v[107:108], v74 offset:568
	v_cmp_lt_u32_e32 vcc, 17, v0
	s_waitcnt vmcnt(35) lgkmcnt(8)
	v_mul_f32_e32 v145, v75, v109
	s_waitcnt vmcnt(34)
	v_mul_f32_e32 v146, v77, v110
	s_waitcnt vmcnt(33) lgkmcnt(7)
	v_mul_f32_e32 v147, v79, v111
	s_waitcnt vmcnt(32)
	v_mul_f32_e32 v148, v81, v112
	;; [unrolled: 4-line block ×8, first 2 shown]
	s_waitcnt vmcnt(19) lgkmcnt(0)
	v_mul_f32_e32 v161, v107, v125
	s_waitcnt vmcnt(18)
	v_fmac_f32_e32 v145, v76, v126
	v_mul_f32_e32 v76, v76, v109
	v_fma_f32 v75, v75, v126, -v76
	v_mul_f32_e32 v76, v78, v110
	v_add_f32_e32 v75, 0, v75
	s_waitcnt vmcnt(17)
	v_fma_f32 v76, v77, v127, -v76
	v_add_f32_e32 v75, v75, v76
	v_mul_f32_e32 v76, v80, v111
	s_waitcnt vmcnt(16)
	v_fma_f32 v76, v79, v128, -v76
	v_add_f32_e32 v75, v75, v76
	v_mul_f32_e32 v76, v82, v112
	;; [unrolled: 4-line block ×8, first 2 shown]
	v_fmac_f32_e32 v146, v78, v127
	v_add_f32_e32 v145, 0, v145
	s_waitcnt vmcnt(9)
	v_fma_f32 v76, v93, v135, -v76
	v_fmac_f32_e32 v147, v80, v128
	v_add_f32_e32 v145, v145, v146
	v_add_f32_e32 v75, v75, v76
	v_mul_f32_e32 v76, v96, v119
	v_fmac_f32_e32 v148, v82, v129
	v_add_f32_e32 v145, v145, v147
	s_waitcnt vmcnt(8)
	v_fma_f32 v76, v95, v136, -v76
	v_fmac_f32_e32 v149, v84, v130
	v_add_f32_e32 v145, v145, v148
	v_add_f32_e32 v75, v75, v76
	v_mul_f32_e32 v76, v98, v120
	v_fmac_f32_e32 v150, v86, v131
	v_add_f32_e32 v145, v145, v149
	s_waitcnt vmcnt(7)
	v_fma_f32 v76, v97, v137, -v76
	v_fmac_f32_e32 v151, v88, v132
	v_add_f32_e32 v145, v145, v150
	v_add_f32_e32 v75, v75, v76
	v_mul_f32_e32 v76, v100, v121
	v_fmac_f32_e32 v152, v90, v133
	v_add_f32_e32 v145, v145, v151
	s_waitcnt vmcnt(6)
	v_fma_f32 v76, v99, v138, -v76
	v_fmac_f32_e32 v153, v92, v134
	v_add_f32_e32 v145, v145, v152
	v_add_f32_e32 v75, v75, v76
	v_mul_f32_e32 v76, v102, v122
	v_fmac_f32_e32 v154, v94, v135
	v_add_f32_e32 v145, v145, v153
	s_waitcnt vmcnt(5)
	v_fma_f32 v76, v101, v139, -v76
	v_fmac_f32_e32 v155, v96, v136
	v_add_f32_e32 v145, v145, v154
	v_add_f32_e32 v75, v75, v76
	v_mul_f32_e32 v76, v104, v123
	v_fmac_f32_e32 v156, v98, v137
	v_add_f32_e32 v145, v145, v155
	s_waitcnt vmcnt(4)
	v_fma_f32 v76, v103, v140, -v76
	v_fmac_f32_e32 v157, v100, v138
	v_add_f32_e32 v145, v145, v156
	v_add_f32_e32 v75, v75, v76
	v_mul_f32_e32 v76, v106, v124
	v_fmac_f32_e32 v158, v102, v139
	v_add_f32_e32 v145, v145, v157
	s_waitcnt vmcnt(3)
	v_fma_f32 v76, v105, v141, -v76
	v_fmac_f32_e32 v159, v104, v140
	v_add_f32_e32 v145, v145, v158
	v_add_f32_e32 v75, v75, v76
	v_mul_f32_e32 v76, v108, v125
	v_fmac_f32_e32 v160, v106, v141
	v_add_f32_e32 v145, v145, v159
	s_waitcnt vmcnt(2)
	v_fma_f32 v76, v107, v142, -v76
	v_fmac_f32_e32 v161, v108, v142
	v_add_f32_e32 v145, v145, v160
	v_add_f32_e32 v75, v75, v76
	;; [unrolled: 1-line block ×3, first 2 shown]
	s_waitcnt vmcnt(1)
	v_sub_f32_e32 v75, v143, v75
	s_waitcnt vmcnt(0)
	v_sub_f32_e32 v76, v144, v145
	buffer_store_dword v75, off, s[0:3], 0 offset:144
	buffer_store_dword v76, off, s[0:3], 0 offset:148
	s_and_saveexec_b64 s[4:5], vcc
	s_cbranch_execz .LBB35_195
; %bb.194:
	buffer_load_dword v75, off, s[0:3], 0 offset:136
	buffer_load_dword v76, off, s[0:3], 0 offset:140
	s_waitcnt vmcnt(0)
	ds_write_b64 v73, v[75:76]
	buffer_store_dword v74, off, s[0:3], 0 offset:136
	buffer_store_dword v74, off, s[0:3], 0 offset:140
.LBB35_195:
	s_or_b64 exec, exec, s[4:5]
	s_waitcnt lgkmcnt(0)
	; wave barrier
	buffer_load_dword v111, off, s[0:3], 0 offset:148
	buffer_load_dword v112, off, s[0:3], 0 offset:156
	;; [unrolled: 1-line block ×38, first 2 shown]
	ds_read_b128 v[75:78], v74 offset:432
	ds_read_b128 v[79:82], v74 offset:448
	;; [unrolled: 1-line block ×9, first 2 shown]
	v_cmp_lt_u32_e32 vcc, 16, v0
	s_waitcnt vmcnt(37) lgkmcnt(8)
	v_mul_f32_e32 v74, v75, v111
	s_waitcnt vmcnt(36)
	v_mul_f32_e32 v149, v77, v112
	s_waitcnt vmcnt(35) lgkmcnt(7)
	v_mul_f32_e32 v150, v79, v113
	s_waitcnt vmcnt(34)
	v_mul_f32_e32 v151, v81, v114
	;; [unrolled: 4-line block ×8, first 2 shown]
	s_waitcnt vmcnt(21) lgkmcnt(0)
	v_mul_f32_e32 v164, v107, v127
	s_waitcnt vmcnt(20)
	v_fmac_f32_e32 v74, v76, v128
	v_mul_f32_e32 v76, v76, v111
	v_fma_f32 v75, v75, v128, -v76
	v_mul_f32_e32 v76, v78, v112
	v_add_f32_e32 v75, 0, v75
	s_waitcnt vmcnt(19)
	v_fma_f32 v76, v77, v129, -v76
	v_add_f32_e32 v75, v75, v76
	v_mul_f32_e32 v76, v80, v113
	s_waitcnt vmcnt(18)
	v_fma_f32 v76, v79, v130, -v76
	v_add_f32_e32 v75, v75, v76
	v_mul_f32_e32 v76, v82, v114
	;; [unrolled: 4-line block ×8, first 2 shown]
	s_waitcnt vmcnt(11)
	v_fma_f32 v76, v93, v137, -v76
	v_fmac_f32_e32 v149, v78, v129
	v_add_f32_e32 v74, 0, v74
	v_add_f32_e32 v75, v75, v76
	v_mul_f32_e32 v76, v96, v121
	v_fmac_f32_e32 v150, v80, v130
	v_add_f32_e32 v74, v74, v149
	s_waitcnt vmcnt(10)
	v_fma_f32 v76, v95, v138, -v76
	v_fmac_f32_e32 v151, v82, v131
	v_add_f32_e32 v74, v74, v150
	v_add_f32_e32 v75, v75, v76
	v_mul_f32_e32 v76, v98, v122
	v_fmac_f32_e32 v152, v84, v132
	v_add_f32_e32 v74, v74, v151
	;; [unrolled: 8-line block ×7, first 2 shown]
	s_waitcnt vmcnt(4)
	v_fma_f32 v76, v107, v144, -v76
	v_fmac_f32_e32 v163, v106, v143
	v_add_f32_e32 v74, v74, v162
	v_add_f32_e32 v75, v75, v76
	s_waitcnt vmcnt(3)
	v_mul_f32_e32 v76, v110, v145
	v_add_f32_e32 v74, v74, v163
	v_fmac_f32_e32 v164, v108, v144
	v_mul_f32_e32 v149, v109, v145
	s_waitcnt vmcnt(2)
	v_fma_f32 v76, v109, v146, -v76
	v_add_f32_e32 v74, v74, v164
	v_fmac_f32_e32 v149, v110, v146
	v_add_f32_e32 v75, v75, v76
	v_add_f32_e32 v74, v74, v149
	s_waitcnt vmcnt(1)
	v_sub_f32_e32 v75, v147, v75
	s_waitcnt vmcnt(0)
	v_sub_f32_e32 v74, v148, v74
	buffer_store_dword v75, off, s[0:3], 0 offset:136
	buffer_store_dword v74, off, s[0:3], 0 offset:140
	s_and_saveexec_b64 s[4:5], vcc
	s_cbranch_execz .LBB35_197
; %bb.196:
	buffer_load_dword v74, off, s[0:3], 0 offset:128
	buffer_load_dword v75, off, s[0:3], 0 offset:132
	v_mov_b32_e32 v76, 0
	buffer_store_dword v76, off, s[0:3], 0 offset:128
	buffer_store_dword v76, off, s[0:3], 0 offset:132
	s_waitcnt vmcnt(2)
	ds_write_b64 v73, v[74:75]
.LBB35_197:
	s_or_b64 exec, exec, s[4:5]
	s_waitcnt lgkmcnt(0)
	; wave barrier
	buffer_load_dword v113, off, s[0:3], 0 offset:140
	buffer_load_dword v114, off, s[0:3], 0 offset:148
	;; [unrolled: 1-line block ×40, first 2 shown]
	v_mov_b32_e32 v74, 0
	ds_read2_b64 v[75:78], v74 offset0:53 offset1:54
	ds_read2_b64 v[79:82], v74 offset0:55 offset1:56
	;; [unrolled: 1-line block ×9, first 2 shown]
	v_cmp_lt_u32_e32 vcc, 15, v0
	s_waitcnt vmcnt(39) lgkmcnt(8)
	v_mul_f32_e32 v111, v75, v113
	s_waitcnt vmcnt(38)
	v_mul_f32_e32 v112, v77, v114
	s_waitcnt vmcnt(37) lgkmcnt(7)
	v_mul_f32_e32 v153, v79, v115
	s_waitcnt vmcnt(36)
	v_mul_f32_e32 v154, v81, v116
	;; [unrolled: 4-line block ×7, first 2 shown]
	s_waitcnt vmcnt(25) lgkmcnt(1)
	v_mul_f32_e32 v165, v103, v127
	s_waitcnt vmcnt(24)
	v_fmac_f32_e32 v111, v76, v128
	v_mul_f32_e32 v76, v76, v113
	v_fma_f32 v75, v75, v128, -v76
	v_mul_f32_e32 v76, v78, v114
	v_add_f32_e32 v75, 0, v75
	s_waitcnt vmcnt(23)
	v_fma_f32 v76, v77, v129, -v76
	v_add_f32_e32 v75, v75, v76
	v_mul_f32_e32 v76, v80, v115
	s_waitcnt vmcnt(22)
	v_fma_f32 v76, v79, v130, -v76
	v_add_f32_e32 v75, v75, v76
	v_mul_f32_e32 v76, v82, v116
	;; [unrolled: 4-line block ×6, first 2 shown]
	s_waitcnt vmcnt(17)
	v_fma_f32 v76, v89, v135, -v76
	v_fmac_f32_e32 v112, v78, v129
	v_add_f32_e32 v111, 0, v111
	v_add_f32_e32 v75, v75, v76
	v_mul_f32_e32 v76, v92, v121
	v_fmac_f32_e32 v153, v80, v130
	v_add_f32_e32 v111, v111, v112
	s_waitcnt vmcnt(16)
	v_fma_f32 v76, v91, v136, -v76
	v_fmac_f32_e32 v154, v82, v131
	v_add_f32_e32 v111, v111, v153
	v_add_f32_e32 v75, v75, v76
	v_mul_f32_e32 v76, v94, v122
	v_fmac_f32_e32 v155, v84, v132
	v_add_f32_e32 v111, v111, v154
	;; [unrolled: 8-line block ×6, first 2 shown]
	s_waitcnt vmcnt(11)
	v_fma_f32 v76, v101, v141, -v76
	v_fmac_f32_e32 v164, v102, v141
	v_add_f32_e32 v111, v111, v163
	v_add_f32_e32 v75, v75, v76
	v_mul_f32_e32 v76, v104, v127
	s_waitcnt vmcnt(10)
	v_fmac_f32_e32 v165, v104, v142
	v_add_f32_e32 v111, v111, v164
	s_waitcnt vmcnt(9)
	v_mul_f32_e32 v112, v105, v143
	v_fma_f32 v76, v103, v142, -v76
	v_add_f32_e32 v111, v111, v165
	s_waitcnt vmcnt(8)
	v_fmac_f32_e32 v112, v106, v144
	v_add_f32_e32 v75, v75, v76
	v_mul_f32_e32 v76, v106, v143
	v_add_f32_e32 v153, v111, v112
	ds_read_b64 v[111:112], v74 offset:568
	v_fma_f32 v76, v105, v144, -v76
	v_add_f32_e32 v75, v75, v76
	s_waitcnt vmcnt(7) lgkmcnt(1)
	v_mul_f32_e32 v76, v108, v145
	v_mul_f32_e32 v154, v107, v145
	s_waitcnt vmcnt(6)
	v_fma_f32 v76, v107, v146, -v76
	v_fmac_f32_e32 v154, v108, v146
	v_add_f32_e32 v75, v75, v76
	s_waitcnt vmcnt(5)
	v_mul_f32_e32 v76, v110, v147
	v_add_f32_e32 v153, v153, v154
	v_mul_f32_e32 v154, v109, v147
	s_waitcnt vmcnt(4)
	v_fma_f32 v76, v109, v148, -v76
	v_fmac_f32_e32 v154, v110, v148
	v_add_f32_e32 v75, v75, v76
	s_waitcnt vmcnt(3) lgkmcnt(0)
	v_mul_f32_e32 v76, v112, v149
	v_add_f32_e32 v153, v153, v154
	v_mul_f32_e32 v154, v111, v149
	s_waitcnt vmcnt(2)
	v_fma_f32 v76, v111, v150, -v76
	v_fmac_f32_e32 v154, v112, v150
	v_add_f32_e32 v75, v75, v76
	v_add_f32_e32 v153, v153, v154
	s_waitcnt vmcnt(1)
	v_sub_f32_e32 v75, v151, v75
	s_waitcnt vmcnt(0)
	v_sub_f32_e32 v76, v152, v153
	buffer_store_dword v75, off, s[0:3], 0 offset:128
	buffer_store_dword v76, off, s[0:3], 0 offset:132
	s_and_saveexec_b64 s[4:5], vcc
	s_cbranch_execz .LBB35_199
; %bb.198:
	buffer_load_dword v75, off, s[0:3], 0 offset:120
	buffer_load_dword v76, off, s[0:3], 0 offset:124
	s_waitcnt vmcnt(0)
	ds_write_b64 v73, v[75:76]
	buffer_store_dword v74, off, s[0:3], 0 offset:120
	buffer_store_dword v74, off, s[0:3], 0 offset:124
.LBB35_199:
	s_or_b64 exec, exec, s[4:5]
	s_waitcnt lgkmcnt(0)
	; wave barrier
	buffer_load_dword v115, off, s[0:3], 0 offset:132
	buffer_load_dword v116, off, s[0:3], 0 offset:140
	;; [unrolled: 1-line block ×42, first 2 shown]
	ds_read_b128 v[75:78], v74 offset:416
	ds_read_b128 v[79:82], v74 offset:432
	;; [unrolled: 1-line block ×8, first 2 shown]
	v_cmp_lt_u32_e32 vcc, 14, v0
	s_waitcnt vmcnt(41) lgkmcnt(7)
	v_mul_f32_e32 v107, v75, v115
	s_waitcnt vmcnt(40)
	v_mul_f32_e32 v108, v77, v116
	s_waitcnt vmcnt(39) lgkmcnt(6)
	v_mul_f32_e32 v109, v79, v117
	s_waitcnt vmcnt(38)
	v_mul_f32_e32 v110, v81, v118
	;; [unrolled: 4-line block ×7, first 2 shown]
	s_waitcnt vmcnt(27) lgkmcnt(0)
	v_mul_f32_e32 v163, v103, v129
	s_waitcnt vmcnt(26)
	v_fmac_f32_e32 v107, v76, v130
	v_mul_f32_e32 v76, v76, v115
	v_fma_f32 v75, v75, v130, -v76
	v_mul_f32_e32 v76, v78, v116
	v_add_f32_e32 v75, 0, v75
	s_waitcnt vmcnt(25)
	v_fma_f32 v76, v77, v131, -v76
	v_add_f32_e32 v75, v75, v76
	v_mul_f32_e32 v76, v80, v117
	s_waitcnt vmcnt(24)
	v_fma_f32 v76, v79, v132, -v76
	v_add_f32_e32 v75, v75, v76
	v_mul_f32_e32 v76, v82, v118
	;; [unrolled: 4-line block ×5, first 2 shown]
	v_fmac_f32_e32 v108, v78, v131
	v_add_f32_e32 v107, 0, v107
	s_waitcnt vmcnt(20)
	v_fma_f32 v76, v87, v136, -v76
	v_fmac_f32_e32 v109, v80, v132
	v_add_f32_e32 v107, v107, v108
	v_add_f32_e32 v75, v75, v76
	v_mul_f32_e32 v76, v90, v122
	v_fmac_f32_e32 v110, v82, v133
	v_add_f32_e32 v107, v107, v109
	s_waitcnt vmcnt(19)
	v_fma_f32 v76, v89, v137, -v76
	v_fmac_f32_e32 v111, v84, v134
	v_add_f32_e32 v107, v107, v110
	v_add_f32_e32 v75, v75, v76
	v_mul_f32_e32 v76, v92, v123
	;; [unrolled: 8-line block ×5, first 2 shown]
	s_waitcnt vmcnt(15)
	v_fmac_f32_e32 v160, v98, v141
	v_add_f32_e32 v107, v107, v159
	v_fma_f32 v76, v97, v141, -v76
	s_waitcnt vmcnt(14)
	v_fmac_f32_e32 v161, v100, v142
	v_add_f32_e32 v107, v107, v160
	v_add_f32_e32 v75, v75, v76
	v_mul_f32_e32 v76, v100, v127
	s_waitcnt vmcnt(13)
	v_fmac_f32_e32 v162, v102, v143
	v_add_f32_e32 v107, v107, v161
	v_fma_f32 v76, v99, v142, -v76
	s_waitcnt vmcnt(12)
	v_fmac_f32_e32 v163, v104, v144
	v_add_f32_e32 v107, v107, v162
	v_add_f32_e32 v75, v75, v76
	v_mul_f32_e32 v76, v102, v128
	v_add_f32_e32 v111, v107, v163
	ds_read_b128 v[107:110], v74 offset:544
	v_fma_f32 v76, v101, v143, -v76
	v_add_f32_e32 v75, v75, v76
	v_mul_f32_e32 v76, v104, v129
	s_waitcnt vmcnt(11)
	v_mul_f32_e32 v112, v105, v145
	v_fma_f32 v76, v103, v144, -v76
	s_waitcnt vmcnt(10)
	v_fmac_f32_e32 v112, v106, v146
	v_add_f32_e32 v75, v75, v76
	v_mul_f32_e32 v76, v106, v145
	v_add_f32_e32 v157, v111, v112
	ds_read_b128 v[111:114], v74 offset:560
	v_fma_f32 v76, v105, v146, -v76
	v_add_f32_e32 v75, v75, v76
	s_waitcnt vmcnt(9) lgkmcnt(1)
	v_mul_f32_e32 v76, v108, v147
	v_mul_f32_e32 v74, v107, v147
	s_waitcnt vmcnt(8)
	v_fma_f32 v76, v107, v148, -v76
	v_fmac_f32_e32 v74, v108, v148
	v_add_f32_e32 v75, v75, v76
	s_waitcnt vmcnt(7)
	v_mul_f32_e32 v76, v110, v149
	v_add_f32_e32 v74, v157, v74
	v_mul_f32_e32 v157, v109, v149
	s_waitcnt vmcnt(6)
	v_fma_f32 v76, v109, v150, -v76
	v_fmac_f32_e32 v157, v110, v150
	v_add_f32_e32 v75, v75, v76
	s_waitcnt vmcnt(5) lgkmcnt(0)
	v_mul_f32_e32 v76, v112, v151
	v_add_f32_e32 v74, v74, v157
	v_mul_f32_e32 v157, v111, v151
	s_waitcnt vmcnt(4)
	v_fma_f32 v76, v111, v152, -v76
	v_fmac_f32_e32 v157, v112, v152
	v_add_f32_e32 v75, v75, v76
	s_waitcnt vmcnt(3)
	v_mul_f32_e32 v76, v114, v153
	v_add_f32_e32 v74, v74, v157
	v_mul_f32_e32 v157, v113, v153
	s_waitcnt vmcnt(2)
	v_fma_f32 v76, v113, v154, -v76
	v_fmac_f32_e32 v157, v114, v154
	v_add_f32_e32 v75, v75, v76
	v_add_f32_e32 v74, v74, v157
	s_waitcnt vmcnt(1)
	v_sub_f32_e32 v75, v155, v75
	s_waitcnt vmcnt(0)
	v_sub_f32_e32 v74, v156, v74
	buffer_store_dword v75, off, s[0:3], 0 offset:120
	buffer_store_dword v74, off, s[0:3], 0 offset:124
	s_and_saveexec_b64 s[4:5], vcc
	s_cbranch_execz .LBB35_201
; %bb.200:
	buffer_load_dword v74, off, s[0:3], 0 offset:112
	buffer_load_dword v75, off, s[0:3], 0 offset:116
	v_mov_b32_e32 v76, 0
	buffer_store_dword v76, off, s[0:3], 0 offset:112
	buffer_store_dword v76, off, s[0:3], 0 offset:116
	s_waitcnt vmcnt(2)
	ds_write_b64 v73, v[74:75]
.LBB35_201:
	s_or_b64 exec, exec, s[4:5]
	s_waitcnt lgkmcnt(0)
	; wave barrier
	buffer_load_dword v117, off, s[0:3], 0 offset:124
	buffer_load_dword v118, off, s[0:3], 0 offset:132
	;; [unrolled: 1-line block ×44, first 2 shown]
	v_mov_b32_e32 v74, 0
	ds_read2_b64 v[75:78], v74 offset0:51 offset1:52
	ds_read2_b64 v[79:82], v74 offset0:53 offset1:54
	;; [unrolled: 1-line block ×8, first 2 shown]
	v_cmp_lt_u32_e32 vcc, 13, v0
	s_waitcnt vmcnt(43) lgkmcnt(7)
	v_mul_f32_e32 v107, v75, v117
	s_waitcnt vmcnt(42)
	v_mul_f32_e32 v108, v77, v118
	s_waitcnt vmcnt(41) lgkmcnt(6)
	v_mul_f32_e32 v109, v79, v119
	s_waitcnt vmcnt(40)
	v_mul_f32_e32 v110, v81, v120
	;; [unrolled: 4-line block ×7, first 2 shown]
	s_waitcnt vmcnt(29)
	v_fmac_f32_e32 v107, v76, v131
	v_mul_f32_e32 v76, v76, v117
	v_fma_f32 v75, v75, v131, -v76
	v_mul_f32_e32 v76, v78, v118
	v_add_f32_e32 v75, 0, v75
	s_waitcnt vmcnt(28)
	v_fma_f32 v76, v77, v132, -v76
	v_add_f32_e32 v75, v75, v76
	v_mul_f32_e32 v76, v80, v119
	s_waitcnt vmcnt(27)
	v_fma_f32 v76, v79, v133, -v76
	v_add_f32_e32 v75, v75, v76
	v_mul_f32_e32 v76, v82, v120
	;; [unrolled: 4-line block ×4, first 2 shown]
	s_waitcnt vmcnt(24)
	v_fma_f32 v76, v85, v136, -v76
	v_fmac_f32_e32 v108, v78, v132
	v_add_f32_e32 v107, 0, v107
	v_add_f32_e32 v75, v75, v76
	v_mul_f32_e32 v76, v88, v123
	v_fmac_f32_e32 v109, v80, v133
	v_add_f32_e32 v107, v107, v108
	s_waitcnt vmcnt(23)
	v_fma_f32 v76, v87, v137, -v76
	v_fmac_f32_e32 v110, v82, v134
	v_add_f32_e32 v107, v107, v109
	v_add_f32_e32 v75, v75, v76
	v_mul_f32_e32 v76, v90, v124
	v_fmac_f32_e32 v111, v84, v135
	v_add_f32_e32 v107, v107, v110
	s_waitcnt vmcnt(22)
	v_fma_f32 v76, v89, v138, -v76
	v_fmac_f32_e32 v112, v86, v136
	v_add_f32_e32 v107, v107, v111
	v_add_f32_e32 v75, v75, v76
	v_mul_f32_e32 v76, v92, v125
	v_fmac_f32_e32 v113, v88, v137
	v_add_f32_e32 v107, v107, v112
	s_waitcnt vmcnt(21)
	v_fma_f32 v76, v91, v139, -v76
	v_fmac_f32_e32 v114, v90, v138
	v_add_f32_e32 v107, v107, v113
	v_add_f32_e32 v75, v75, v76
	v_mul_f32_e32 v76, v94, v126
	v_fmac_f32_e32 v115, v92, v139
	v_add_f32_e32 v107, v107, v114
	s_waitcnt vmcnt(20)
	v_fma_f32 v76, v93, v140, -v76
	v_fmac_f32_e32 v116, v94, v140
	v_add_f32_e32 v107, v107, v115
	v_add_f32_e32 v75, v75, v76
	v_mul_f32_e32 v76, v96, v127
	s_waitcnt vmcnt(19)
	v_fmac_f32_e32 v161, v96, v141
	v_add_f32_e32 v107, v107, v116
	v_fma_f32 v76, v95, v141, -v76
	s_waitcnt vmcnt(18)
	v_fmac_f32_e32 v162, v98, v142
	v_add_f32_e32 v107, v107, v161
	v_add_f32_e32 v75, v75, v76
	v_mul_f32_e32 v76, v98, v128
	s_waitcnt vmcnt(17)
	v_fmac_f32_e32 v163, v100, v143
	v_add_f32_e32 v107, v107, v162
	v_fma_f32 v76, v97, v142, -v76
	v_add_f32_e32 v107, v107, v163
	s_waitcnt vmcnt(16)
	v_fmac_f32_e32 v164, v102, v144
	s_waitcnt vmcnt(15) lgkmcnt(0)
	v_mul_f32_e32 v108, v103, v145
	v_add_f32_e32 v75, v75, v76
	v_mul_f32_e32 v76, v100, v129
	v_add_f32_e32 v107, v107, v164
	s_waitcnt vmcnt(14)
	v_fmac_f32_e32 v108, v104, v146
	v_fma_f32 v76, v99, v143, -v76
	v_add_f32_e32 v111, v107, v108
	ds_read2_b64 v[107:110], v74 offset0:67 offset1:68
	v_add_f32_e32 v75, v75, v76
	v_mul_f32_e32 v76, v102, v130
	v_fma_f32 v76, v101, v144, -v76
	v_add_f32_e32 v75, v75, v76
	v_mul_f32_e32 v76, v104, v145
	s_waitcnt vmcnt(13)
	v_mul_f32_e32 v112, v105, v147
	v_fma_f32 v76, v103, v146, -v76
	s_waitcnt vmcnt(12)
	v_fmac_f32_e32 v112, v106, v148
	v_add_f32_e32 v75, v75, v76
	v_mul_f32_e32 v76, v106, v147
	v_add_f32_e32 v115, v111, v112
	ds_read2_b64 v[111:114], v74 offset0:69 offset1:70
	s_waitcnt vmcnt(11) lgkmcnt(1)
	v_mul_f32_e32 v116, v107, v149
	v_fma_f32 v76, v105, v148, -v76
	s_waitcnt vmcnt(10)
	v_fmac_f32_e32 v116, v108, v150
	v_add_f32_e32 v75, v75, v76
	v_mul_f32_e32 v76, v108, v149
	v_add_f32_e32 v115, v115, v116
	s_waitcnt vmcnt(9)
	v_mul_f32_e32 v116, v109, v151
	v_fma_f32 v76, v107, v150, -v76
	s_waitcnt vmcnt(8)
	v_fmac_f32_e32 v116, v110, v152
	v_add_f32_e32 v75, v75, v76
	v_mul_f32_e32 v76, v110, v151
	v_add_f32_e32 v161, v115, v116
	ds_read_b64 v[115:116], v74 offset:568
	v_fma_f32 v76, v109, v152, -v76
	v_add_f32_e32 v75, v75, v76
	s_waitcnt vmcnt(7) lgkmcnt(1)
	v_mul_f32_e32 v76, v112, v153
	v_mul_f32_e32 v162, v111, v153
	s_waitcnt vmcnt(6)
	v_fma_f32 v76, v111, v154, -v76
	v_fmac_f32_e32 v162, v112, v154
	v_add_f32_e32 v75, v75, v76
	s_waitcnt vmcnt(5)
	v_mul_f32_e32 v76, v114, v155
	v_add_f32_e32 v161, v161, v162
	v_mul_f32_e32 v162, v113, v155
	s_waitcnt vmcnt(4)
	v_fma_f32 v76, v113, v156, -v76
	v_fmac_f32_e32 v162, v114, v156
	v_add_f32_e32 v75, v75, v76
	s_waitcnt vmcnt(3) lgkmcnt(0)
	v_mul_f32_e32 v76, v116, v157
	v_add_f32_e32 v161, v161, v162
	v_mul_f32_e32 v162, v115, v157
	s_waitcnt vmcnt(2)
	v_fma_f32 v76, v115, v158, -v76
	v_fmac_f32_e32 v162, v116, v158
	v_add_f32_e32 v75, v75, v76
	v_add_f32_e32 v161, v161, v162
	s_waitcnt vmcnt(1)
	v_sub_f32_e32 v75, v159, v75
	s_waitcnt vmcnt(0)
	v_sub_f32_e32 v76, v160, v161
	buffer_store_dword v75, off, s[0:3], 0 offset:112
	buffer_store_dword v76, off, s[0:3], 0 offset:116
	s_and_saveexec_b64 s[4:5], vcc
	s_cbranch_execz .LBB35_203
; %bb.202:
	buffer_load_dword v75, off, s[0:3], 0 offset:104
	buffer_load_dword v76, off, s[0:3], 0 offset:108
	s_waitcnt vmcnt(0)
	ds_write_b64 v73, v[75:76]
	buffer_store_dword v74, off, s[0:3], 0 offset:104
	buffer_store_dword v74, off, s[0:3], 0 offset:108
.LBB35_203:
	s_or_b64 exec, exec, s[4:5]
	s_waitcnt lgkmcnt(0)
	; wave barrier
	buffer_load_dword v119, off, s[0:3], 0 offset:116
	buffer_load_dword v120, off, s[0:3], 0 offset:124
	;; [unrolled: 1-line block ×46, first 2 shown]
	ds_read_b128 v[75:78], v74 offset:400
	ds_read_b128 v[79:82], v74 offset:416
	;; [unrolled: 1-line block ×8, first 2 shown]
	v_cmp_lt_u32_e32 vcc, 12, v0
	s_waitcnt vmcnt(45) lgkmcnt(7)
	v_mul_f32_e32 v107, v75, v119
	s_waitcnt vmcnt(44)
	v_mul_f32_e32 v108, v77, v120
	s_waitcnt vmcnt(43) lgkmcnt(6)
	v_mul_f32_e32 v109, v79, v121
	s_waitcnt vmcnt(42)
	v_mul_f32_e32 v110, v81, v122
	;; [unrolled: 4-line block ×6, first 2 shown]
	s_waitcnt vmcnt(33) lgkmcnt(1)
	v_mul_f32_e32 v165, v99, v131
	s_waitcnt vmcnt(32)
	v_fmac_f32_e32 v107, v76, v132
	v_mul_f32_e32 v76, v76, v119
	v_fma_f32 v75, v75, v132, -v76
	v_mul_f32_e32 v76, v78, v120
	v_add_f32_e32 v75, 0, v75
	s_waitcnt vmcnt(31)
	v_fma_f32 v76, v77, v133, -v76
	v_add_f32_e32 v75, v75, v76
	v_mul_f32_e32 v76, v80, v121
	s_waitcnt vmcnt(30)
	v_fma_f32 v76, v79, v134, -v76
	v_add_f32_e32 v75, v75, v76
	v_mul_f32_e32 v76, v82, v122
	;; [unrolled: 4-line block ×4, first 2 shown]
	v_fmac_f32_e32 v108, v78, v133
	v_add_f32_e32 v107, 0, v107
	s_waitcnt vmcnt(27)
	v_fma_f32 v76, v85, v137, -v76
	v_fmac_f32_e32 v109, v80, v134
	v_add_f32_e32 v107, v107, v108
	v_add_f32_e32 v75, v75, v76
	v_mul_f32_e32 v76, v88, v125
	v_fmac_f32_e32 v110, v82, v135
	v_add_f32_e32 v107, v107, v109
	s_waitcnt vmcnt(26)
	v_fma_f32 v76, v87, v138, -v76
	v_fmac_f32_e32 v111, v84, v136
	v_add_f32_e32 v107, v107, v110
	v_add_f32_e32 v75, v75, v76
	v_mul_f32_e32 v76, v90, v126
	;; [unrolled: 8-line block ×4, first 2 shown]
	s_waitcnt vmcnt(23)
	v_fmac_f32_e32 v116, v94, v141
	v_add_f32_e32 v107, v107, v115
	v_fma_f32 v76, v93, v141, -v76
	s_waitcnt vmcnt(22)
	v_fmac_f32_e32 v117, v96, v142
	v_add_f32_e32 v107, v107, v116
	v_add_f32_e32 v75, v75, v76
	v_mul_f32_e32 v76, v96, v129
	s_waitcnt vmcnt(21)
	v_fmac_f32_e32 v118, v98, v143
	v_add_f32_e32 v107, v107, v117
	v_fma_f32 v76, v95, v142, -v76
	s_waitcnt vmcnt(20)
	v_fmac_f32_e32 v165, v100, v144
	v_add_f32_e32 v107, v107, v118
	s_waitcnt vmcnt(19)
	v_mul_f32_e32 v108, v101, v145
	v_add_f32_e32 v75, v75, v76
	v_mul_f32_e32 v76, v98, v130
	v_add_f32_e32 v107, v107, v165
	s_waitcnt vmcnt(18)
	v_fmac_f32_e32 v108, v102, v146
	v_fma_f32 v76, v97, v143, -v76
	v_add_f32_e32 v107, v107, v108
	s_waitcnt vmcnt(17) lgkmcnt(0)
	v_mul_f32_e32 v108, v103, v147
	v_add_f32_e32 v75, v75, v76
	v_mul_f32_e32 v76, v100, v131
	s_waitcnt vmcnt(16)
	v_fmac_f32_e32 v108, v104, v148
	v_fma_f32 v76, v99, v144, -v76
	v_add_f32_e32 v111, v107, v108
	ds_read_b128 v[107:110], v74 offset:528
	v_add_f32_e32 v75, v75, v76
	v_mul_f32_e32 v76, v102, v145
	v_fma_f32 v76, v101, v146, -v76
	v_add_f32_e32 v75, v75, v76
	v_mul_f32_e32 v76, v104, v147
	s_waitcnt vmcnt(15)
	v_mul_f32_e32 v112, v105, v149
	v_fma_f32 v76, v103, v148, -v76
	s_waitcnt vmcnt(14)
	v_fmac_f32_e32 v112, v106, v150
	v_add_f32_e32 v75, v75, v76
	v_mul_f32_e32 v76, v106, v149
	v_add_f32_e32 v115, v111, v112
	ds_read_b128 v[111:114], v74 offset:544
	s_waitcnt vmcnt(13) lgkmcnt(1)
	v_mul_f32_e32 v116, v107, v151
	v_fma_f32 v76, v105, v150, -v76
	s_waitcnt vmcnt(12)
	v_fmac_f32_e32 v116, v108, v152
	v_add_f32_e32 v75, v75, v76
	v_mul_f32_e32 v76, v108, v151
	v_add_f32_e32 v115, v115, v116
	s_waitcnt vmcnt(11)
	v_mul_f32_e32 v116, v109, v153
	v_fma_f32 v76, v107, v152, -v76
	s_waitcnt vmcnt(10)
	v_fmac_f32_e32 v116, v110, v154
	v_add_f32_e32 v75, v75, v76
	v_mul_f32_e32 v76, v110, v153
	v_add_f32_e32 v165, v115, v116
	ds_read_b128 v[115:118], v74 offset:560
	v_fma_f32 v76, v109, v154, -v76
	v_add_f32_e32 v75, v75, v76
	s_waitcnt vmcnt(9) lgkmcnt(1)
	v_mul_f32_e32 v76, v112, v155
	v_mul_f32_e32 v166, v111, v155
	s_waitcnt vmcnt(8)
	v_fma_f32 v76, v111, v156, -v76
	v_fmac_f32_e32 v166, v112, v156
	v_add_f32_e32 v75, v75, v76
	s_waitcnt vmcnt(7)
	v_mul_f32_e32 v76, v114, v157
	v_add_f32_e32 v74, v165, v166
	v_mul_f32_e32 v165, v113, v157
	s_waitcnt vmcnt(6)
	v_fma_f32 v76, v113, v158, -v76
	v_fmac_f32_e32 v165, v114, v158
	v_add_f32_e32 v75, v75, v76
	s_waitcnt vmcnt(5) lgkmcnt(0)
	v_mul_f32_e32 v76, v116, v159
	v_add_f32_e32 v74, v74, v165
	v_mul_f32_e32 v165, v115, v159
	s_waitcnt vmcnt(4)
	v_fma_f32 v76, v115, v160, -v76
	v_fmac_f32_e32 v165, v116, v160
	v_add_f32_e32 v75, v75, v76
	s_waitcnt vmcnt(3)
	v_mul_f32_e32 v76, v118, v161
	v_add_f32_e32 v74, v74, v165
	v_mul_f32_e32 v165, v117, v161
	s_waitcnt vmcnt(2)
	v_fma_f32 v76, v117, v162, -v76
	v_fmac_f32_e32 v165, v118, v162
	v_add_f32_e32 v75, v75, v76
	v_add_f32_e32 v74, v74, v165
	s_waitcnt vmcnt(1)
	v_sub_f32_e32 v75, v163, v75
	s_waitcnt vmcnt(0)
	v_sub_f32_e32 v74, v164, v74
	buffer_store_dword v75, off, s[0:3], 0 offset:104
	buffer_store_dword v74, off, s[0:3], 0 offset:108
	s_and_saveexec_b64 s[4:5], vcc
	s_cbranch_execz .LBB35_205
; %bb.204:
	buffer_load_dword v74, off, s[0:3], 0 offset:96
	buffer_load_dword v75, off, s[0:3], 0 offset:100
	v_mov_b32_e32 v76, 0
	buffer_store_dword v76, off, s[0:3], 0 offset:96
	buffer_store_dword v76, off, s[0:3], 0 offset:100
	s_waitcnt vmcnt(2)
	ds_write_b64 v73, v[74:75]
.LBB35_205:
	s_or_b64 exec, exec, s[4:5]
	s_waitcnt lgkmcnt(0)
	; wave barrier
	buffer_load_dword v121, off, s[0:3], 0 offset:108
	buffer_load_dword v122, off, s[0:3], 0 offset:116
	;; [unrolled: 1-line block ×48, first 2 shown]
	v_mov_b32_e32 v74, 0
	ds_read2_b64 v[75:78], v74 offset0:49 offset1:50
	ds_read2_b64 v[79:82], v74 offset0:51 offset1:52
	;; [unrolled: 1-line block ×7, first 2 shown]
	v_cmp_lt_u32_e32 vcc, 11, v0
	s_waitcnt vmcnt(47) lgkmcnt(6)
	v_mul_f32_e32 v103, v75, v121
	s_waitcnt vmcnt(46)
	v_mul_f32_e32 v104, v77, v122
	s_waitcnt vmcnt(45) lgkmcnt(5)
	v_mul_f32_e32 v105, v79, v123
	s_waitcnt vmcnt(44)
	v_mul_f32_e32 v106, v81, v124
	;; [unrolled: 4-line block ×6, first 2 shown]
	s_waitcnt vmcnt(35)
	v_fmac_f32_e32 v103, v76, v133
	v_mul_f32_e32 v76, v76, v121
	v_fma_f32 v75, v75, v133, -v76
	v_mul_f32_e32 v76, v78, v122
	v_add_f32_e32 v75, 0, v75
	s_waitcnt vmcnt(34)
	v_fma_f32 v76, v77, v134, -v76
	v_add_f32_e32 v75, v75, v76
	v_mul_f32_e32 v76, v80, v123
	s_waitcnt vmcnt(33)
	v_fma_f32 v76, v79, v135, -v76
	v_fmac_f32_e32 v104, v78, v134
	v_add_f32_e32 v103, 0, v103
	v_add_f32_e32 v75, v75, v76
	v_mul_f32_e32 v76, v82, v124
	v_fmac_f32_e32 v105, v80, v135
	v_add_f32_e32 v103, v103, v104
	s_waitcnt vmcnt(32)
	v_fma_f32 v76, v81, v136, -v76
	v_fmac_f32_e32 v106, v82, v136
	v_add_f32_e32 v103, v103, v105
	v_add_f32_e32 v75, v75, v76
	v_mul_f32_e32 v76, v84, v125
	s_waitcnt vmcnt(31)
	v_fmac_f32_e32 v107, v84, v137
	v_add_f32_e32 v103, v103, v106
	v_fma_f32 v76, v83, v137, -v76
	s_waitcnt vmcnt(30)
	v_fmac_f32_e32 v108, v86, v138
	v_add_f32_e32 v103, v103, v107
	v_add_f32_e32 v75, v75, v76
	v_mul_f32_e32 v76, v86, v126
	s_waitcnt vmcnt(29)
	v_fmac_f32_e32 v109, v88, v139
	v_add_f32_e32 v103, v103, v108
	v_fma_f32 v76, v85, v138, -v76
	s_waitcnt vmcnt(28)
	;; [unrolled: 9-line block ×4, first 2 shown]
	v_fmac_f32_e32 v114, v98, v144
	v_add_f32_e32 v103, v103, v113
	v_add_f32_e32 v75, v75, v76
	v_mul_f32_e32 v76, v92, v129
	v_add_f32_e32 v107, v103, v114
	ds_read2_b64 v[103:106], v74 offset0:63 offset1:64
	v_fma_f32 v76, v91, v141, -v76
	s_waitcnt vmcnt(23) lgkmcnt(1)
	v_mul_f32_e32 v108, v99, v145
	v_add_f32_e32 v75, v75, v76
	v_mul_f32_e32 v76, v94, v130
	s_waitcnt vmcnt(22)
	v_fmac_f32_e32 v108, v100, v146
	v_fma_f32 v76, v93, v142, -v76
	v_add_f32_e32 v107, v107, v108
	s_waitcnt vmcnt(21)
	v_mul_f32_e32 v108, v101, v147
	v_add_f32_e32 v75, v75, v76
	v_mul_f32_e32 v76, v96, v131
	s_waitcnt vmcnt(20)
	v_fmac_f32_e32 v108, v102, v148
	v_fma_f32 v76, v95, v143, -v76
	v_add_f32_e32 v107, v107, v108
	s_waitcnt vmcnt(19) lgkmcnt(0)
	v_mul_f32_e32 v108, v103, v149
	v_add_f32_e32 v75, v75, v76
	v_mul_f32_e32 v76, v98, v132
	s_waitcnt vmcnt(18)
	v_fmac_f32_e32 v108, v104, v150
	v_fma_f32 v76, v97, v144, -v76
	v_add_f32_e32 v111, v107, v108
	ds_read2_b64 v[107:110], v74 offset0:65 offset1:66
	v_add_f32_e32 v75, v75, v76
	v_mul_f32_e32 v76, v100, v145
	v_fma_f32 v76, v99, v146, -v76
	s_waitcnt vmcnt(17)
	v_mul_f32_e32 v112, v105, v151
	v_add_f32_e32 v75, v75, v76
	v_mul_f32_e32 v76, v102, v147
	s_waitcnt vmcnt(16)
	v_fmac_f32_e32 v112, v106, v152
	v_fma_f32 v76, v101, v148, -v76
	v_add_f32_e32 v115, v111, v112
	ds_read2_b64 v[111:114], v74 offset0:67 offset1:68
	v_add_f32_e32 v75, v75, v76
	v_mul_f32_e32 v76, v104, v149
	s_waitcnt vmcnt(15) lgkmcnt(1)
	v_mul_f32_e32 v116, v107, v153
	v_fma_f32 v76, v103, v150, -v76
	s_waitcnt vmcnt(14)
	v_fmac_f32_e32 v116, v108, v154
	v_add_f32_e32 v75, v75, v76
	v_mul_f32_e32 v76, v106, v151
	v_add_f32_e32 v115, v115, v116
	s_waitcnt vmcnt(13)
	v_mul_f32_e32 v116, v109, v155
	v_fma_f32 v76, v105, v152, -v76
	s_waitcnt vmcnt(12)
	v_fmac_f32_e32 v116, v110, v156
	v_add_f32_e32 v75, v75, v76
	v_mul_f32_e32 v76, v108, v153
	v_add_f32_e32 v115, v115, v116
	s_waitcnt vmcnt(11) lgkmcnt(0)
	v_mul_f32_e32 v116, v111, v157
	v_fma_f32 v76, v107, v154, -v76
	s_waitcnt vmcnt(10)
	v_fmac_f32_e32 v116, v112, v158
	v_add_f32_e32 v75, v75, v76
	v_mul_f32_e32 v76, v110, v155
	v_add_f32_e32 v119, v115, v116
	ds_read2_b64 v[115:118], v74 offset0:69 offset1:70
	v_fma_f32 v76, v109, v156, -v76
	v_add_f32_e32 v75, v75, v76
	v_mul_f32_e32 v76, v112, v157
	s_waitcnt vmcnt(9)
	v_mul_f32_e32 v120, v113, v159
	v_fma_f32 v76, v111, v158, -v76
	s_waitcnt vmcnt(8)
	v_fmac_f32_e32 v120, v114, v160
	v_add_f32_e32 v75, v75, v76
	v_mul_f32_e32 v76, v114, v159
	v_add_f32_e32 v169, v119, v120
	ds_read_b64 v[119:120], v74 offset:568
	v_fma_f32 v76, v113, v160, -v76
	v_add_f32_e32 v75, v75, v76
	s_waitcnt vmcnt(6) lgkmcnt(1)
	v_mul_f32_e32 v76, v116, v162
	v_mul_f32_e32 v170, v115, v162
	v_fma_f32 v76, v115, v161, -v76
	v_fmac_f32_e32 v170, v116, v161
	v_add_f32_e32 v75, v75, v76
	s_waitcnt vmcnt(3)
	v_mul_f32_e32 v76, v118, v165
	v_add_f32_e32 v169, v169, v170
	v_mul_f32_e32 v170, v117, v165
	s_waitcnt vmcnt(2)
	v_fma_f32 v76, v117, v166, -v76
	v_fmac_f32_e32 v170, v118, v166
	v_add_f32_e32 v75, v75, v76
	s_waitcnt vmcnt(0) lgkmcnt(0)
	v_mul_f32_e32 v76, v120, v168
	v_add_f32_e32 v169, v169, v170
	v_mul_f32_e32 v170, v119, v168
	v_fma_f32 v76, v119, v167, -v76
	v_fmac_f32_e32 v170, v120, v167
	v_add_f32_e32 v75, v75, v76
	v_add_f32_e32 v169, v169, v170
	v_sub_f32_e32 v75, v163, v75
	v_sub_f32_e32 v76, v164, v169
	buffer_store_dword v75, off, s[0:3], 0 offset:96
	buffer_store_dword v76, off, s[0:3], 0 offset:100
	s_and_saveexec_b64 s[4:5], vcc
	s_cbranch_execz .LBB35_207
; %bb.206:
	buffer_load_dword v75, off, s[0:3], 0 offset:88
	buffer_load_dword v76, off, s[0:3], 0 offset:92
	s_waitcnt vmcnt(0)
	ds_write_b64 v73, v[75:76]
	buffer_store_dword v74, off, s[0:3], 0 offset:88
	buffer_store_dword v74, off, s[0:3], 0 offset:92
.LBB35_207:
	s_or_b64 exec, exec, s[4:5]
	s_waitcnt lgkmcnt(0)
	; wave barrier
	buffer_load_dword v123, off, s[0:3], 0 offset:100
	buffer_load_dword v124, off, s[0:3], 0 offset:108
	buffer_load_dword v125, off, s[0:3], 0 offset:116
	buffer_load_dword v126, off, s[0:3], 0 offset:124
	buffer_load_dword v127, off, s[0:3], 0 offset:132
	buffer_load_dword v128, off, s[0:3], 0 offset:140
	buffer_load_dword v129, off, s[0:3], 0 offset:148
	buffer_load_dword v130, off, s[0:3], 0 offset:156
	buffer_load_dword v131, off, s[0:3], 0 offset:164
	buffer_load_dword v132, off, s[0:3], 0 offset:172
	buffer_load_dword v133, off, s[0:3], 0 offset:180
	buffer_load_dword v134, off, s[0:3], 0 offset:188
	buffer_load_dword v135, off, s[0:3], 0 offset:96
	buffer_load_dword v136, off, s[0:3], 0 offset:104
	buffer_load_dword v137, off, s[0:3], 0 offset:112
	buffer_load_dword v138, off, s[0:3], 0 offset:120
	buffer_load_dword v139, off, s[0:3], 0 offset:128
	buffer_load_dword v140, off, s[0:3], 0 offset:136
	buffer_load_dword v141, off, s[0:3], 0 offset:144
	buffer_load_dword v142, off, s[0:3], 0 offset:152
	buffer_load_dword v143, off, s[0:3], 0 offset:160
	buffer_load_dword v144, off, s[0:3], 0 offset:168
	buffer_load_dword v145, off, s[0:3], 0 offset:176
	buffer_load_dword v146, off, s[0:3], 0 offset:184
	buffer_load_dword v147, off, s[0:3], 0 offset:196
	buffer_load_dword v148, off, s[0:3], 0 offset:192
	buffer_load_dword v149, off, s[0:3], 0 offset:204
	buffer_load_dword v150, off, s[0:3], 0 offset:200
	buffer_load_dword v151, off, s[0:3], 0 offset:212
	buffer_load_dword v152, off, s[0:3], 0 offset:208
	buffer_load_dword v153, off, s[0:3], 0 offset:220
	buffer_load_dword v154, off, s[0:3], 0 offset:216
	buffer_load_dword v155, off, s[0:3], 0 offset:228
	buffer_load_dword v156, off, s[0:3], 0 offset:224
	buffer_load_dword v157, off, s[0:3], 0 offset:236
	buffer_load_dword v158, off, s[0:3], 0 offset:232
	buffer_load_dword v159, off, s[0:3], 0 offset:244
	buffer_load_dword v160, off, s[0:3], 0 offset:240
	buffer_load_dword v161, off, s[0:3], 0 offset:252
	buffer_load_dword v162, off, s[0:3], 0 offset:248
	buffer_load_dword v163, off, s[0:3], 0 offset:88
	buffer_load_dword v164, off, s[0:3], 0 offset:92
	buffer_load_dword v165, off, s[0:3], 0 offset:260
	buffer_load_dword v166, off, s[0:3], 0 offset:256
	buffer_load_dword v167, off, s[0:3], 0 offset:264
	buffer_load_dword v168, off, s[0:3], 0 offset:268
	buffer_load_dword v169, off, s[0:3], 0 offset:272
	buffer_load_dword v170, off, s[0:3], 0 offset:276
	ds_read_b128 v[75:78], v74 offset:384
	ds_read_b128 v[79:82], v74 offset:400
	buffer_load_dword v171, off, s[0:3], 0 offset:280
	buffer_load_dword v172, off, s[0:3], 0 offset:284
	ds_read_b128 v[83:86], v74 offset:416
	ds_read_b128 v[87:90], v74 offset:432
	;; [unrolled: 1-line block ×5, first 2 shown]
	v_cmp_lt_u32_e32 vcc, 10, v0
	s_waitcnt vmcnt(49) lgkmcnt(6)
	v_mul_f32_e32 v103, v75, v123
	s_waitcnt vmcnt(48)
	v_mul_f32_e32 v104, v77, v124
	s_waitcnt vmcnt(47) lgkmcnt(5)
	v_mul_f32_e32 v105, v79, v125
	s_waitcnt vmcnt(46)
	v_mul_f32_e32 v106, v81, v126
	;; [unrolled: 4-line block ×6, first 2 shown]
	s_waitcnt vmcnt(37)
	v_fmac_f32_e32 v103, v76, v135
	v_mul_f32_e32 v76, v76, v123
	v_fma_f32 v75, v75, v135, -v76
	v_mul_f32_e32 v76, v78, v124
	v_add_f32_e32 v75, 0, v75
	s_waitcnt vmcnt(36)
	v_fma_f32 v76, v77, v136, -v76
	v_add_f32_e32 v75, v75, v76
	v_mul_f32_e32 v76, v80, v125
	s_waitcnt vmcnt(35)
	v_fma_f32 v76, v79, v137, -v76
	v_fmac_f32_e32 v104, v78, v136
	v_add_f32_e32 v103, 0, v103
	v_add_f32_e32 v75, v75, v76
	v_mul_f32_e32 v76, v82, v126
	v_fmac_f32_e32 v105, v80, v137
	v_add_f32_e32 v103, v103, v104
	s_waitcnt vmcnt(34)
	v_fma_f32 v76, v81, v138, -v76
	v_fmac_f32_e32 v106, v82, v138
	v_add_f32_e32 v103, v103, v105
	v_add_f32_e32 v75, v75, v76
	v_mul_f32_e32 v76, v84, v127
	s_waitcnt vmcnt(33)
	v_fmac_f32_e32 v107, v84, v139
	v_add_f32_e32 v103, v103, v106
	v_fma_f32 v76, v83, v139, -v76
	s_waitcnt vmcnt(32)
	v_fmac_f32_e32 v108, v86, v140
	v_add_f32_e32 v103, v103, v107
	v_add_f32_e32 v75, v75, v76
	v_mul_f32_e32 v76, v86, v128
	s_waitcnt vmcnt(31)
	v_fmac_f32_e32 v109, v88, v141
	v_add_f32_e32 v103, v103, v108
	v_fma_f32 v76, v85, v140, -v76
	s_waitcnt vmcnt(30)
	;; [unrolled: 9-line block ×3, first 2 shown]
	v_fmac_f32_e32 v112, v94, v144
	v_add_f32_e32 v103, v103, v111
	v_add_f32_e32 v75, v75, v76
	v_mul_f32_e32 v76, v90, v130
	s_waitcnt vmcnt(27)
	v_fmac_f32_e32 v113, v96, v145
	v_add_f32_e32 v103, v103, v112
	v_fma_f32 v76, v89, v142, -v76
	v_add_f32_e32 v103, v103, v113
	s_waitcnt vmcnt(26)
	v_fmac_f32_e32 v114, v98, v146
	v_add_f32_e32 v75, v75, v76
	v_mul_f32_e32 v76, v92, v131
	v_add_f32_e32 v107, v103, v114
	ds_read_b128 v[103:106], v74 offset:496
	v_fma_f32 v76, v91, v143, -v76
	s_waitcnt vmcnt(25) lgkmcnt(1)
	v_mul_f32_e32 v108, v99, v147
	v_add_f32_e32 v75, v75, v76
	v_mul_f32_e32 v76, v94, v132
	s_waitcnt vmcnt(24)
	v_fmac_f32_e32 v108, v100, v148
	v_fma_f32 v76, v93, v144, -v76
	v_add_f32_e32 v107, v107, v108
	s_waitcnt vmcnt(23)
	v_mul_f32_e32 v108, v101, v149
	v_add_f32_e32 v75, v75, v76
	v_mul_f32_e32 v76, v96, v133
	s_waitcnt vmcnt(22)
	v_fmac_f32_e32 v108, v102, v150
	v_fma_f32 v76, v95, v145, -v76
	v_add_f32_e32 v107, v107, v108
	s_waitcnt vmcnt(21) lgkmcnt(0)
	v_mul_f32_e32 v108, v103, v151
	v_add_f32_e32 v75, v75, v76
	v_mul_f32_e32 v76, v98, v134
	s_waitcnt vmcnt(20)
	v_fmac_f32_e32 v108, v104, v152
	v_fma_f32 v76, v97, v146, -v76
	v_add_f32_e32 v111, v107, v108
	ds_read_b128 v[107:110], v74 offset:512
	v_add_f32_e32 v75, v75, v76
	v_mul_f32_e32 v76, v100, v147
	v_fma_f32 v76, v99, v148, -v76
	s_waitcnt vmcnt(19)
	v_mul_f32_e32 v112, v105, v153
	v_add_f32_e32 v75, v75, v76
	v_mul_f32_e32 v76, v102, v149
	s_waitcnt vmcnt(18)
	v_fmac_f32_e32 v112, v106, v154
	v_fma_f32 v76, v101, v150, -v76
	v_add_f32_e32 v115, v111, v112
	ds_read_b128 v[111:114], v74 offset:528
	v_add_f32_e32 v75, v75, v76
	v_mul_f32_e32 v76, v104, v151
	s_waitcnt vmcnt(17) lgkmcnt(1)
	v_mul_f32_e32 v116, v107, v155
	v_fma_f32 v76, v103, v152, -v76
	s_waitcnt vmcnt(16)
	v_fmac_f32_e32 v116, v108, v156
	v_add_f32_e32 v75, v75, v76
	v_mul_f32_e32 v76, v106, v153
	v_add_f32_e32 v115, v115, v116
	s_waitcnt vmcnt(15)
	v_mul_f32_e32 v116, v109, v157
	v_fma_f32 v76, v105, v154, -v76
	s_waitcnt vmcnt(14)
	v_fmac_f32_e32 v116, v110, v158
	v_add_f32_e32 v75, v75, v76
	v_mul_f32_e32 v76, v108, v155
	v_add_f32_e32 v115, v115, v116
	s_waitcnt vmcnt(13) lgkmcnt(0)
	v_mul_f32_e32 v116, v111, v159
	v_fma_f32 v76, v107, v156, -v76
	s_waitcnt vmcnt(12)
	v_fmac_f32_e32 v116, v112, v160
	v_add_f32_e32 v75, v75, v76
	v_mul_f32_e32 v76, v110, v157
	v_add_f32_e32 v119, v115, v116
	ds_read_b128 v[115:118], v74 offset:544
	v_fma_f32 v76, v109, v158, -v76
	v_add_f32_e32 v75, v75, v76
	v_mul_f32_e32 v76, v112, v159
	s_waitcnt vmcnt(11)
	v_mul_f32_e32 v120, v113, v161
	v_fma_f32 v76, v111, v160, -v76
	s_waitcnt vmcnt(10)
	v_fmac_f32_e32 v120, v114, v162
	v_add_f32_e32 v75, v75, v76
	v_mul_f32_e32 v76, v114, v161
	v_add_f32_e32 v173, v119, v120
	ds_read_b128 v[119:122], v74 offset:560
	v_fma_f32 v76, v113, v162, -v76
	v_add_f32_e32 v75, v75, v76
	s_waitcnt vmcnt(7) lgkmcnt(1)
	v_mul_f32_e32 v76, v116, v165
	v_mul_f32_e32 v74, v115, v165
	s_waitcnt vmcnt(6)
	v_fma_f32 v76, v115, v166, -v76
	v_fmac_f32_e32 v74, v116, v166
	v_add_f32_e32 v75, v75, v76
	s_waitcnt vmcnt(4)
	v_mul_f32_e32 v76, v118, v168
	v_add_f32_e32 v74, v173, v74
	v_mul_f32_e32 v173, v117, v168
	v_fma_f32 v76, v117, v167, -v76
	v_fmac_f32_e32 v173, v118, v167
	v_add_f32_e32 v75, v75, v76
	s_waitcnt vmcnt(2) lgkmcnt(0)
	v_mul_f32_e32 v76, v120, v170
	v_add_f32_e32 v74, v74, v173
	v_mul_f32_e32 v173, v119, v170
	v_fma_f32 v76, v119, v169, -v76
	v_fmac_f32_e32 v173, v120, v169
	v_add_f32_e32 v75, v75, v76
	s_waitcnt vmcnt(0)
	v_mul_f32_e32 v76, v122, v172
	v_add_f32_e32 v74, v74, v173
	v_mul_f32_e32 v173, v121, v172
	v_fma_f32 v76, v121, v171, -v76
	v_fmac_f32_e32 v173, v122, v171
	v_add_f32_e32 v75, v75, v76
	v_add_f32_e32 v74, v74, v173
	v_sub_f32_e32 v75, v163, v75
	v_sub_f32_e32 v74, v164, v74
	buffer_store_dword v75, off, s[0:3], 0 offset:88
	buffer_store_dword v74, off, s[0:3], 0 offset:92
	s_and_saveexec_b64 s[4:5], vcc
	s_cbranch_execz .LBB35_209
; %bb.208:
	buffer_load_dword v74, off, s[0:3], 0 offset:80
	buffer_load_dword v75, off, s[0:3], 0 offset:84
	v_mov_b32_e32 v76, 0
	buffer_store_dword v76, off, s[0:3], 0 offset:80
	buffer_store_dword v76, off, s[0:3], 0 offset:84
	s_waitcnt vmcnt(2)
	ds_write_b64 v73, v[74:75]
.LBB35_209:
	s_or_b64 exec, exec, s[4:5]
	s_waitcnt lgkmcnt(0)
	; wave barrier
	buffer_load_dword v125, off, s[0:3], 0 offset:92
	buffer_load_dword v126, off, s[0:3], 0 offset:100
	;; [unrolled: 1-line block ×52, first 2 shown]
	v_mov_b32_e32 v74, 0
	ds_read2_b64 v[75:78], v74 offset0:47 offset1:48
	ds_read2_b64 v[79:82], v74 offset0:49 offset1:50
	;; [unrolled: 1-line block ×6, first 2 shown]
	v_cmp_lt_u32_e32 vcc, 9, v0
	s_waitcnt vmcnt(51) lgkmcnt(5)
	v_mul_f32_e32 v99, v75, v125
	s_waitcnt vmcnt(50)
	v_mul_f32_e32 v100, v77, v126
	s_waitcnt vmcnt(49) lgkmcnt(4)
	v_mul_f32_e32 v101, v79, v127
	s_waitcnt vmcnt(48)
	v_mul_f32_e32 v102, v81, v128
	;; [unrolled: 4-line block ×5, first 2 shown]
	s_waitcnt vmcnt(41) lgkmcnt(0)
	v_mul_f32_e32 v109, v95, v135
	s_waitcnt vmcnt(40)
	v_fmac_f32_e32 v99, v76, v136
	v_mul_f32_e32 v76, v76, v125
	s_waitcnt vmcnt(39)
	v_fmac_f32_e32 v100, v78, v137
	v_add_f32_e32 v99, 0, v99
	v_fma_f32 v75, v75, v136, -v76
	v_mul_f32_e32 v76, v78, v126
	s_waitcnt vmcnt(38)
	v_fmac_f32_e32 v101, v80, v138
	v_add_f32_e32 v99, v99, v100
	v_add_f32_e32 v75, 0, v75
	v_fma_f32 v76, v77, v137, -v76
	s_waitcnt vmcnt(37)
	v_fmac_f32_e32 v102, v82, v139
	v_add_f32_e32 v99, v99, v101
	v_add_f32_e32 v75, v75, v76
	v_mul_f32_e32 v76, v80, v127
	s_waitcnt vmcnt(36)
	v_fmac_f32_e32 v103, v84, v140
	v_add_f32_e32 v99, v99, v102
	v_fma_f32 v76, v79, v138, -v76
	s_waitcnt vmcnt(35)
	v_fmac_f32_e32 v104, v86, v141
	v_add_f32_e32 v99, v99, v103
	v_add_f32_e32 v75, v75, v76
	v_mul_f32_e32 v76, v82, v128
	s_waitcnt vmcnt(34)
	v_fmac_f32_e32 v105, v88, v142
	;; [unrolled: 9-line block ×3, first 2 shown]
	v_add_f32_e32 v99, v99, v106
	v_fma_f32 v76, v83, v140, -v76
	s_waitcnt vmcnt(31)
	v_fmac_f32_e32 v108, v94, v145
	v_add_f32_e32 v99, v99, v107
	v_add_f32_e32 v75, v75, v76
	v_mul_f32_e32 v76, v86, v130
	v_add_f32_e32 v99, v99, v108
	s_waitcnt vmcnt(30)
	v_fmac_f32_e32 v109, v96, v146
	v_fma_f32 v76, v85, v141, -v76
	v_add_f32_e32 v103, v99, v109
	ds_read2_b64 v[99:102], v74 offset0:59 offset1:60
	v_add_f32_e32 v75, v75, v76
	v_mul_f32_e32 v76, v88, v131
	v_fma_f32 v76, v87, v142, -v76
	s_waitcnt vmcnt(29)
	v_mul_f32_e32 v104, v97, v147
	v_add_f32_e32 v75, v75, v76
	v_mul_f32_e32 v76, v90, v132
	s_waitcnt vmcnt(28)
	v_fmac_f32_e32 v104, v98, v148
	v_fma_f32 v76, v89, v143, -v76
	v_add_f32_e32 v107, v103, v104
	ds_read2_b64 v[103:106], v74 offset0:61 offset1:62
	v_add_f32_e32 v75, v75, v76
	v_mul_f32_e32 v76, v92, v133
	s_waitcnt vmcnt(27) lgkmcnt(1)
	v_mul_f32_e32 v108, v99, v149
	v_fma_f32 v76, v91, v144, -v76
	s_waitcnt vmcnt(26)
	v_fmac_f32_e32 v108, v100, v150
	v_add_f32_e32 v75, v75, v76
	v_mul_f32_e32 v76, v94, v134
	v_add_f32_e32 v107, v107, v108
	s_waitcnt vmcnt(25)
	v_mul_f32_e32 v108, v101, v151
	v_fma_f32 v76, v93, v145, -v76
	s_waitcnt vmcnt(24)
	v_fmac_f32_e32 v108, v102, v152
	v_add_f32_e32 v75, v75, v76
	v_mul_f32_e32 v76, v96, v135
	v_add_f32_e32 v107, v107, v108
	s_waitcnt vmcnt(23) lgkmcnt(0)
	v_mul_f32_e32 v108, v103, v153
	v_fma_f32 v76, v95, v146, -v76
	s_waitcnt vmcnt(22)
	v_fmac_f32_e32 v108, v104, v154
	v_add_f32_e32 v75, v75, v76
	v_mul_f32_e32 v76, v98, v147
	v_add_f32_e32 v111, v107, v108
	ds_read2_b64 v[107:110], v74 offset0:63 offset1:64
	v_fma_f32 v76, v97, v148, -v76
	v_add_f32_e32 v75, v75, v76
	v_mul_f32_e32 v76, v100, v149
	s_waitcnt vmcnt(21)
	v_mul_f32_e32 v112, v105, v155
	v_fma_f32 v76, v99, v150, -v76
	s_waitcnt vmcnt(20)
	v_fmac_f32_e32 v112, v106, v156
	v_add_f32_e32 v75, v75, v76
	v_mul_f32_e32 v76, v102, v151
	v_add_f32_e32 v115, v111, v112
	ds_read2_b64 v[111:114], v74 offset0:65 offset1:66
	v_fma_f32 v76, v101, v152, -v76
	s_waitcnt vmcnt(19) lgkmcnt(1)
	v_mul_f32_e32 v116, v107, v157
	v_add_f32_e32 v75, v75, v76
	v_mul_f32_e32 v76, v104, v153
	s_waitcnt vmcnt(18)
	v_fmac_f32_e32 v116, v108, v158
	v_fma_f32 v76, v103, v154, -v76
	v_add_f32_e32 v115, v115, v116
	s_waitcnt vmcnt(17)
	v_mul_f32_e32 v116, v109, v159
	v_add_f32_e32 v75, v75, v76
	v_mul_f32_e32 v76, v106, v155
	s_waitcnt vmcnt(16)
	v_fmac_f32_e32 v116, v110, v160
	v_fma_f32 v76, v105, v156, -v76
	v_add_f32_e32 v115, v115, v116
	s_waitcnt vmcnt(14) lgkmcnt(0)
	v_mul_f32_e32 v116, v111, v162
	v_add_f32_e32 v75, v75, v76
	v_mul_f32_e32 v76, v108, v157
	v_fmac_f32_e32 v116, v112, v161
	v_fma_f32 v76, v107, v158, -v76
	v_add_f32_e32 v119, v115, v116
	ds_read2_b64 v[115:118], v74 offset0:67 offset1:68
	v_add_f32_e32 v75, v75, v76
	v_mul_f32_e32 v76, v110, v159
	v_fma_f32 v76, v109, v160, -v76
	v_add_f32_e32 v75, v75, v76
	v_mul_f32_e32 v76, v112, v162
	s_waitcnt vmcnt(11)
	v_mul_f32_e32 v120, v113, v165
	v_fma_f32 v76, v111, v161, -v76
	s_waitcnt vmcnt(10)
	v_fmac_f32_e32 v120, v114, v166
	v_add_f32_e32 v75, v75, v76
	v_mul_f32_e32 v76, v114, v165
	v_add_f32_e32 v123, v119, v120
	ds_read2_b64 v[119:122], v74 offset0:69 offset1:70
	s_waitcnt vmcnt(8) lgkmcnt(1)
	v_mul_f32_e32 v124, v115, v168
	v_fma_f32 v76, v113, v166, -v76
	v_fmac_f32_e32 v124, v116, v167
	v_add_f32_e32 v75, v75, v76
	v_mul_f32_e32 v76, v116, v168
	v_add_f32_e32 v123, v123, v124
	s_waitcnt vmcnt(6)
	v_mul_f32_e32 v124, v117, v170
	v_fma_f32 v76, v115, v167, -v76
	v_fmac_f32_e32 v124, v118, v169
	v_add_f32_e32 v75, v75, v76
	v_mul_f32_e32 v76, v118, v170
	v_add_f32_e32 v177, v123, v124
	ds_read_b64 v[123:124], v74 offset:568
	v_fma_f32 v76, v117, v169, -v76
	v_add_f32_e32 v75, v75, v76
	s_waitcnt vmcnt(4) lgkmcnt(1)
	v_mul_f32_e32 v76, v120, v172
	v_mul_f32_e32 v178, v119, v172
	v_fma_f32 v76, v119, v171, -v76
	v_fmac_f32_e32 v178, v120, v171
	v_add_f32_e32 v75, v75, v76
	s_waitcnt vmcnt(2)
	v_mul_f32_e32 v76, v122, v174
	v_add_f32_e32 v177, v177, v178
	v_mul_f32_e32 v178, v121, v174
	v_fma_f32 v76, v121, v173, -v76
	v_fmac_f32_e32 v178, v122, v173
	v_add_f32_e32 v75, v75, v76
	s_waitcnt vmcnt(0) lgkmcnt(0)
	v_mul_f32_e32 v76, v124, v176
	v_add_f32_e32 v177, v177, v178
	v_mul_f32_e32 v178, v123, v176
	v_fma_f32 v76, v123, v175, -v76
	v_fmac_f32_e32 v178, v124, v175
	v_add_f32_e32 v75, v75, v76
	v_add_f32_e32 v177, v177, v178
	v_sub_f32_e32 v75, v163, v75
	v_sub_f32_e32 v76, v164, v177
	buffer_store_dword v75, off, s[0:3], 0 offset:80
	buffer_store_dword v76, off, s[0:3], 0 offset:84
	s_and_saveexec_b64 s[4:5], vcc
	s_cbranch_execz .LBB35_211
; %bb.210:
	buffer_load_dword v75, off, s[0:3], 0 offset:72
	buffer_load_dword v76, off, s[0:3], 0 offset:76
	s_waitcnt vmcnt(0)
	ds_write_b64 v73, v[75:76]
	buffer_store_dword v74, off, s[0:3], 0 offset:72
	buffer_store_dword v74, off, s[0:3], 0 offset:76
.LBB35_211:
	s_or_b64 exec, exec, s[4:5]
	s_waitcnt lgkmcnt(0)
	; wave barrier
	buffer_load_dword v127, off, s[0:3], 0 offset:84
	buffer_load_dword v128, off, s[0:3], 0 offset:92
	;; [unrolled: 1-line block ×42, first 2 shown]
	ds_read_b128 v[75:78], v74 offset:368
	ds_read_b128 v[79:82], v74 offset:384
	;; [unrolled: 1-line block ×4, first 2 shown]
	buffer_load_dword v169, off, s[0:3], 0 offset:244
	buffer_load_dword v170, off, s[0:3], 0 offset:240
	;; [unrolled: 1-line block ×6, first 2 shown]
	ds_read_b128 v[91:94], v74 offset:432
	ds_read_b128 v[95:98], v74 offset:448
	buffer_load_dword v175, off, s[0:3], 0 offset:264
	buffer_load_dword v176, off, s[0:3], 0 offset:268
	;; [unrolled: 1-line block ×6, first 2 shown]
	v_cmp_lt_u32_e32 vcc, 8, v0
	s_waitcnt vmcnt(53) lgkmcnt(5)
	v_mul_f32_e32 v99, v75, v127
	s_waitcnt vmcnt(52)
	v_mul_f32_e32 v100, v77, v128
	s_waitcnt vmcnt(51) lgkmcnt(4)
	v_mul_f32_e32 v101, v79, v129
	s_waitcnt vmcnt(50)
	v_mul_f32_e32 v102, v81, v130
	;; [unrolled: 4-line block ×5, first 2 shown]
	s_waitcnt vmcnt(43)
	v_fmac_f32_e32 v99, v76, v137
	v_mul_f32_e32 v76, v76, v127
	s_waitcnt vmcnt(42)
	v_fmac_f32_e32 v100, v78, v138
	v_add_f32_e32 v99, 0, v99
	v_fma_f32 v75, v75, v137, -v76
	v_mul_f32_e32 v76, v78, v128
	s_waitcnt vmcnt(41)
	v_fmac_f32_e32 v101, v80, v139
	v_add_f32_e32 v99, v99, v100
	v_add_f32_e32 v75, 0, v75
	v_fma_f32 v76, v77, v138, -v76
	s_waitcnt vmcnt(40)
	v_fmac_f32_e32 v102, v82, v140
	v_add_f32_e32 v99, v99, v101
	v_add_f32_e32 v75, v75, v76
	v_mul_f32_e32 v76, v80, v129
	s_waitcnt vmcnt(39)
	v_fmac_f32_e32 v103, v84, v141
	v_add_f32_e32 v99, v99, v102
	v_fma_f32 v76, v79, v139, -v76
	s_waitcnt vmcnt(38)
	v_fmac_f32_e32 v104, v86, v142
	v_add_f32_e32 v99, v99, v103
	v_add_f32_e32 v75, v75, v76
	v_mul_f32_e32 v76, v82, v130
	s_waitcnt vmcnt(37)
	v_fmac_f32_e32 v105, v88, v143
	v_add_f32_e32 v99, v99, v104
	v_fma_f32 v76, v81, v140, -v76
	s_waitcnt vmcnt(36)
	v_fmac_f32_e32 v106, v90, v144
	v_add_f32_e32 v99, v99, v105
	v_add_f32_e32 v75, v75, v76
	v_mul_f32_e32 v76, v84, v131
	s_waitcnt vmcnt(35)
	v_fmac_f32_e32 v107, v92, v145
	v_add_f32_e32 v99, v99, v106
	v_fma_f32 v76, v83, v141, -v76
	s_waitcnt vmcnt(34)
	v_fmac_f32_e32 v108, v94, v146
	v_add_f32_e32 v99, v99, v107
	s_waitcnt vmcnt(33) lgkmcnt(0)
	v_mul_f32_e32 v100, v95, v147
	v_add_f32_e32 v75, v75, v76
	v_mul_f32_e32 v76, v86, v132
	v_add_f32_e32 v99, v99, v108
	s_waitcnt vmcnt(32)
	v_fmac_f32_e32 v100, v96, v148
	v_fma_f32 v76, v85, v142, -v76
	v_add_f32_e32 v103, v99, v100
	ds_read_b128 v[99:102], v74 offset:464
	v_add_f32_e32 v75, v75, v76
	v_mul_f32_e32 v76, v88, v133
	v_fma_f32 v76, v87, v143, -v76
	s_waitcnt vmcnt(31)
	v_mul_f32_e32 v104, v97, v149
	v_add_f32_e32 v75, v75, v76
	v_mul_f32_e32 v76, v90, v134
	s_waitcnt vmcnt(30)
	v_fmac_f32_e32 v104, v98, v150
	v_fma_f32 v76, v89, v144, -v76
	v_add_f32_e32 v107, v103, v104
	ds_read_b128 v[103:106], v74 offset:480
	v_add_f32_e32 v75, v75, v76
	v_mul_f32_e32 v76, v92, v135
	s_waitcnt vmcnt(29) lgkmcnt(1)
	v_mul_f32_e32 v108, v99, v151
	v_fma_f32 v76, v91, v145, -v76
	s_waitcnt vmcnt(28)
	v_fmac_f32_e32 v108, v100, v152
	v_add_f32_e32 v75, v75, v76
	v_mul_f32_e32 v76, v94, v136
	v_add_f32_e32 v107, v107, v108
	s_waitcnt vmcnt(27)
	v_mul_f32_e32 v108, v101, v153
	v_fma_f32 v76, v93, v146, -v76
	s_waitcnt vmcnt(26)
	v_fmac_f32_e32 v108, v102, v154
	v_add_f32_e32 v75, v75, v76
	v_mul_f32_e32 v76, v96, v147
	v_add_f32_e32 v107, v107, v108
	s_waitcnt vmcnt(25) lgkmcnt(0)
	v_mul_f32_e32 v108, v103, v155
	v_fma_f32 v76, v95, v148, -v76
	s_waitcnt vmcnt(24)
	v_fmac_f32_e32 v108, v104, v156
	v_add_f32_e32 v75, v75, v76
	v_mul_f32_e32 v76, v98, v149
	v_add_f32_e32 v111, v107, v108
	ds_read_b128 v[107:110], v74 offset:496
	v_fma_f32 v76, v97, v150, -v76
	v_add_f32_e32 v75, v75, v76
	v_mul_f32_e32 v76, v100, v151
	s_waitcnt vmcnt(23)
	v_mul_f32_e32 v112, v105, v157
	v_fma_f32 v76, v99, v152, -v76
	s_waitcnt vmcnt(22)
	v_fmac_f32_e32 v112, v106, v158
	v_add_f32_e32 v75, v75, v76
	v_mul_f32_e32 v76, v102, v153
	v_add_f32_e32 v115, v111, v112
	ds_read_b128 v[111:114], v74 offset:512
	v_fma_f32 v76, v101, v154, -v76
	s_waitcnt vmcnt(21) lgkmcnt(1)
	v_mul_f32_e32 v116, v107, v159
	v_add_f32_e32 v75, v75, v76
	v_mul_f32_e32 v76, v104, v155
	s_waitcnt vmcnt(20)
	v_fmac_f32_e32 v116, v108, v160
	v_fma_f32 v76, v103, v156, -v76
	v_add_f32_e32 v115, v115, v116
	s_waitcnt vmcnt(18)
	v_mul_f32_e32 v116, v109, v162
	v_add_f32_e32 v75, v75, v76
	v_mul_f32_e32 v76, v106, v157
	v_fmac_f32_e32 v116, v110, v161
	v_fma_f32 v76, v105, v158, -v76
	v_add_f32_e32 v115, v115, v116
	s_waitcnt vmcnt(15) lgkmcnt(0)
	v_mul_f32_e32 v116, v111, v165
	v_add_f32_e32 v75, v75, v76
	v_mul_f32_e32 v76, v108, v159
	s_waitcnt vmcnt(14)
	v_fmac_f32_e32 v116, v112, v166
	v_fma_f32 v76, v107, v160, -v76
	v_add_f32_e32 v119, v115, v116
	ds_read_b128 v[115:118], v74 offset:528
	v_add_f32_e32 v75, v75, v76
	v_mul_f32_e32 v76, v110, v162
	v_fma_f32 v76, v109, v161, -v76
	v_add_f32_e32 v75, v75, v76
	v_mul_f32_e32 v76, v112, v165
	s_waitcnt vmcnt(12)
	v_mul_f32_e32 v120, v113, v168
	v_fma_f32 v76, v111, v166, -v76
	v_fmac_f32_e32 v120, v114, v167
	v_add_f32_e32 v75, v75, v76
	v_mul_f32_e32 v76, v114, v168
	v_add_f32_e32 v123, v119, v120
	ds_read_b128 v[119:122], v74 offset:544
	s_waitcnt vmcnt(11) lgkmcnt(1)
	v_mul_f32_e32 v124, v115, v169
	v_fma_f32 v76, v113, v167, -v76
	s_waitcnt vmcnt(10)
	v_fmac_f32_e32 v124, v116, v170
	v_add_f32_e32 v75, v75, v76
	v_mul_f32_e32 v76, v116, v169
	v_add_f32_e32 v123, v123, v124
	s_waitcnt vmcnt(8)
	v_mul_f32_e32 v124, v117, v172
	v_fma_f32 v76, v115, v170, -v76
	v_fmac_f32_e32 v124, v118, v171
	v_add_f32_e32 v75, v75, v76
	v_mul_f32_e32 v76, v118, v172
	v_add_f32_e32 v181, v123, v124
	ds_read_b128 v[123:126], v74 offset:560
	v_fma_f32 v76, v117, v171, -v76
	v_add_f32_e32 v75, v75, v76
	s_waitcnt vmcnt(6) lgkmcnt(1)
	v_mul_f32_e32 v76, v120, v174
	v_mul_f32_e32 v182, v119, v174
	v_fma_f32 v76, v119, v173, -v76
	v_fmac_f32_e32 v182, v120, v173
	v_add_f32_e32 v75, v75, v76
	s_waitcnt vmcnt(4)
	v_mul_f32_e32 v76, v122, v176
	v_add_f32_e32 v74, v181, v182
	v_mul_f32_e32 v181, v121, v176
	v_fma_f32 v76, v121, v175, -v76
	v_fmac_f32_e32 v181, v122, v175
	v_add_f32_e32 v75, v75, v76
	s_waitcnt vmcnt(2) lgkmcnt(0)
	v_mul_f32_e32 v76, v124, v178
	v_add_f32_e32 v74, v74, v181
	v_mul_f32_e32 v181, v123, v178
	v_fma_f32 v76, v123, v177, -v76
	v_fmac_f32_e32 v181, v124, v177
	v_add_f32_e32 v75, v75, v76
	s_waitcnt vmcnt(0)
	v_mul_f32_e32 v76, v126, v180
	v_add_f32_e32 v74, v74, v181
	v_mul_f32_e32 v181, v125, v180
	v_fma_f32 v76, v125, v179, -v76
	v_fmac_f32_e32 v181, v126, v179
	v_add_f32_e32 v75, v75, v76
	v_add_f32_e32 v74, v74, v181
	v_sub_f32_e32 v75, v163, v75
	v_sub_f32_e32 v74, v164, v74
	buffer_store_dword v75, off, s[0:3], 0 offset:72
	buffer_store_dword v74, off, s[0:3], 0 offset:76
	s_and_saveexec_b64 s[4:5], vcc
	s_cbranch_execz .LBB35_213
; %bb.212:
	buffer_load_dword v74, off, s[0:3], 0 offset:64
	buffer_load_dword v75, off, s[0:3], 0 offset:68
	v_mov_b32_e32 v76, 0
	buffer_store_dword v76, off, s[0:3], 0 offset:64
	buffer_store_dword v76, off, s[0:3], 0 offset:68
	s_waitcnt vmcnt(2)
	ds_write_b64 v73, v[74:75]
.LBB35_213:
	s_or_b64 exec, exec, s[4:5]
	s_waitcnt lgkmcnt(0)
	; wave barrier
	buffer_load_dword v129, off, s[0:3], 0 offset:76
	buffer_load_dword v130, off, s[0:3], 0 offset:84
	;; [unrolled: 1-line block ×56, first 2 shown]
	v_mov_b32_e32 v74, 0
	ds_read2_b64 v[75:78], v74 offset0:45 offset1:46
	ds_read2_b64 v[79:82], v74 offset0:47 offset1:48
	;; [unrolled: 1-line block ×6, first 2 shown]
	v_cmp_lt_u32_e32 vcc, 7, v0
	s_waitcnt vmcnt(55) lgkmcnt(5)
	v_mul_f32_e32 v99, v75, v129
	s_waitcnt vmcnt(54)
	v_mul_f32_e32 v100, v77, v130
	s_waitcnt vmcnt(53) lgkmcnt(4)
	v_mul_f32_e32 v101, v79, v131
	s_waitcnt vmcnt(52)
	v_mul_f32_e32 v102, v81, v132
	;; [unrolled: 4-line block ×4, first 2 shown]
	s_waitcnt vmcnt(47) lgkmcnt(1)
	v_mul_f32_e32 v107, v91, v137
	s_waitcnt vmcnt(46)
	v_fmac_f32_e32 v99, v76, v138
	s_waitcnt vmcnt(45)
	v_fmac_f32_e32 v100, v78, v139
	v_add_f32_e32 v99, 0, v99
	s_waitcnt vmcnt(44)
	v_fmac_f32_e32 v101, v80, v140
	v_add_f32_e32 v99, v99, v100
	;; [unrolled: 3-line block ×3, first 2 shown]
	v_mul_f32_e32 v76, v76, v129
	s_waitcnt vmcnt(42)
	v_fmac_f32_e32 v103, v84, v142
	v_add_f32_e32 v99, v99, v102
	v_fma_f32 v75, v75, v138, -v76
	v_mul_f32_e32 v76, v78, v130
	s_waitcnt vmcnt(41)
	v_fmac_f32_e32 v104, v86, v143
	v_add_f32_e32 v99, v99, v103
	v_add_f32_e32 v75, 0, v75
	v_fma_f32 v76, v77, v139, -v76
	s_waitcnt vmcnt(40)
	v_fmac_f32_e32 v105, v88, v144
	v_add_f32_e32 v99, v99, v104
	v_add_f32_e32 v75, v75, v76
	v_mul_f32_e32 v76, v80, v131
	s_waitcnt vmcnt(39)
	v_fmac_f32_e32 v106, v90, v145
	v_add_f32_e32 v99, v99, v105
	v_fma_f32 v76, v79, v140, -v76
	v_add_f32_e32 v99, v99, v106
	s_waitcnt vmcnt(38)
	v_fmac_f32_e32 v107, v92, v146
	s_waitcnt vmcnt(37)
	v_mul_f32_e32 v100, v93, v147
	v_add_f32_e32 v75, v75, v76
	v_mul_f32_e32 v76, v82, v132
	v_add_f32_e32 v99, v99, v107
	s_waitcnt vmcnt(36)
	v_fmac_f32_e32 v100, v94, v148
	v_fma_f32 v76, v81, v141, -v76
	v_add_f32_e32 v99, v99, v100
	s_waitcnt vmcnt(35) lgkmcnt(0)
	v_mul_f32_e32 v100, v95, v149
	v_add_f32_e32 v75, v75, v76
	v_mul_f32_e32 v76, v84, v133
	s_waitcnt vmcnt(34)
	v_fmac_f32_e32 v100, v96, v150
	v_fma_f32 v76, v83, v142, -v76
	v_add_f32_e32 v103, v99, v100
	ds_read2_b64 v[99:102], v74 offset0:57 offset1:58
	v_add_f32_e32 v75, v75, v76
	v_mul_f32_e32 v76, v86, v134
	v_fma_f32 v76, v85, v143, -v76
	s_waitcnt vmcnt(33)
	v_mul_f32_e32 v104, v97, v151
	v_add_f32_e32 v75, v75, v76
	v_mul_f32_e32 v76, v88, v135
	s_waitcnt vmcnt(32)
	v_fmac_f32_e32 v104, v98, v152
	v_fma_f32 v76, v87, v144, -v76
	v_add_f32_e32 v107, v103, v104
	ds_read2_b64 v[103:106], v74 offset0:59 offset1:60
	v_add_f32_e32 v75, v75, v76
	v_mul_f32_e32 v76, v90, v136
	s_waitcnt vmcnt(31) lgkmcnt(1)
	v_mul_f32_e32 v108, v99, v153
	v_fma_f32 v76, v89, v145, -v76
	s_waitcnt vmcnt(30)
	v_fmac_f32_e32 v108, v100, v154
	v_add_f32_e32 v75, v75, v76
	v_mul_f32_e32 v76, v92, v137
	v_add_f32_e32 v107, v107, v108
	s_waitcnt vmcnt(29)
	v_mul_f32_e32 v108, v101, v155
	v_fma_f32 v76, v91, v146, -v76
	s_waitcnt vmcnt(28)
	v_fmac_f32_e32 v108, v102, v156
	v_add_f32_e32 v75, v75, v76
	v_mul_f32_e32 v76, v94, v147
	v_add_f32_e32 v107, v107, v108
	s_waitcnt vmcnt(27) lgkmcnt(0)
	v_mul_f32_e32 v108, v103, v157
	v_fma_f32 v76, v93, v148, -v76
	s_waitcnt vmcnt(26)
	v_fmac_f32_e32 v108, v104, v158
	v_add_f32_e32 v75, v75, v76
	v_mul_f32_e32 v76, v96, v149
	v_add_f32_e32 v111, v107, v108
	ds_read2_b64 v[107:110], v74 offset0:61 offset1:62
	v_fma_f32 v76, v95, v150, -v76
	v_add_f32_e32 v75, v75, v76
	v_mul_f32_e32 v76, v98, v151
	s_waitcnt vmcnt(24)
	v_mul_f32_e32 v112, v105, v160
	v_fma_f32 v76, v97, v152, -v76
	v_fmac_f32_e32 v112, v106, v159
	v_add_f32_e32 v75, v75, v76
	v_mul_f32_e32 v76, v100, v153
	v_add_f32_e32 v115, v111, v112
	ds_read2_b64 v[111:114], v74 offset0:63 offset1:64
	v_fma_f32 v76, v99, v154, -v76
	s_waitcnt vmcnt(21) lgkmcnt(1)
	v_mul_f32_e32 v116, v107, v163
	v_add_f32_e32 v75, v75, v76
	v_mul_f32_e32 v76, v102, v155
	s_waitcnt vmcnt(20)
	v_fmac_f32_e32 v116, v108, v164
	v_fma_f32 v76, v101, v156, -v76
	v_add_f32_e32 v115, v115, v116
	s_waitcnt vmcnt(18)
	v_mul_f32_e32 v116, v109, v166
	v_add_f32_e32 v75, v75, v76
	v_mul_f32_e32 v76, v104, v157
	v_fmac_f32_e32 v116, v110, v165
	v_fma_f32 v76, v103, v158, -v76
	v_add_f32_e32 v115, v115, v116
	s_waitcnt vmcnt(16) lgkmcnt(0)
	v_mul_f32_e32 v116, v111, v168
	v_add_f32_e32 v75, v75, v76
	v_mul_f32_e32 v76, v106, v160
	v_fmac_f32_e32 v116, v112, v167
	v_fma_f32 v76, v105, v159, -v76
	v_add_f32_e32 v119, v115, v116
	ds_read2_b64 v[115:118], v74 offset0:65 offset1:66
	v_add_f32_e32 v75, v75, v76
	v_mul_f32_e32 v76, v108, v163
	v_fma_f32 v76, v107, v164, -v76
	s_waitcnt vmcnt(14)
	v_mul_f32_e32 v120, v113, v170
	v_add_f32_e32 v75, v75, v76
	v_mul_f32_e32 v76, v110, v166
	v_fmac_f32_e32 v120, v114, v169
	v_fma_f32 v76, v109, v165, -v76
	v_add_f32_e32 v123, v119, v120
	ds_read2_b64 v[119:122], v74 offset0:67 offset1:68
	v_add_f32_e32 v75, v75, v76
	v_mul_f32_e32 v76, v112, v168
	s_waitcnt vmcnt(12) lgkmcnt(1)
	v_mul_f32_e32 v124, v115, v172
	v_fma_f32 v76, v111, v167, -v76
	v_fmac_f32_e32 v124, v116, v171
	v_add_f32_e32 v75, v75, v76
	v_mul_f32_e32 v76, v114, v170
	v_add_f32_e32 v123, v123, v124
	s_waitcnt vmcnt(10)
	v_mul_f32_e32 v124, v117, v174
	v_fma_f32 v76, v113, v169, -v76
	v_fmac_f32_e32 v124, v118, v173
	v_add_f32_e32 v75, v75, v76
	v_mul_f32_e32 v76, v116, v172
	v_add_f32_e32 v123, v123, v124
	s_waitcnt vmcnt(8) lgkmcnt(0)
	v_mul_f32_e32 v124, v119, v176
	v_fma_f32 v76, v115, v171, -v76
	v_fmac_f32_e32 v124, v120, v175
	v_add_f32_e32 v75, v75, v76
	v_mul_f32_e32 v76, v118, v174
	v_add_f32_e32 v127, v123, v124
	ds_read2_b64 v[123:126], v74 offset0:69 offset1:70
	v_fma_f32 v76, v117, v173, -v76
	v_add_f32_e32 v75, v75, v76
	v_mul_f32_e32 v76, v120, v176
	s_waitcnt vmcnt(6)
	v_mul_f32_e32 v128, v121, v178
	v_fma_f32 v76, v119, v175, -v76
	v_fmac_f32_e32 v128, v122, v177
	v_add_f32_e32 v75, v75, v76
	v_mul_f32_e32 v76, v122, v178
	v_add_f32_e32 v185, v127, v128
	ds_read_b64 v[127:128], v74 offset:568
	v_fma_f32 v76, v121, v177, -v76
	v_add_f32_e32 v75, v75, v76
	s_waitcnt vmcnt(4) lgkmcnt(1)
	v_mul_f32_e32 v76, v124, v180
	v_mul_f32_e32 v186, v123, v180
	v_fma_f32 v76, v123, v179, -v76
	v_fmac_f32_e32 v186, v124, v179
	v_add_f32_e32 v75, v75, v76
	s_waitcnt vmcnt(2)
	v_mul_f32_e32 v76, v126, v182
	v_add_f32_e32 v185, v185, v186
	v_mul_f32_e32 v186, v125, v182
	v_fma_f32 v76, v125, v181, -v76
	v_fmac_f32_e32 v186, v126, v181
	v_add_f32_e32 v75, v75, v76
	s_waitcnt vmcnt(0) lgkmcnt(0)
	v_mul_f32_e32 v76, v128, v184
	v_add_f32_e32 v185, v185, v186
	v_mul_f32_e32 v186, v127, v184
	v_fma_f32 v76, v127, v183, -v76
	v_fmac_f32_e32 v186, v128, v183
	v_add_f32_e32 v75, v75, v76
	v_add_f32_e32 v185, v185, v186
	v_sub_f32_e32 v75, v161, v75
	v_sub_f32_e32 v76, v162, v185
	buffer_store_dword v75, off, s[0:3], 0 offset:64
	buffer_store_dword v76, off, s[0:3], 0 offset:68
	s_and_saveexec_b64 s[4:5], vcc
	s_cbranch_execz .LBB35_215
; %bb.214:
	buffer_load_dword v75, off, s[0:3], 0 offset:56
	buffer_load_dword v76, off, s[0:3], 0 offset:60
	s_waitcnt vmcnt(0)
	ds_write_b64 v73, v[75:76]
	buffer_store_dword v74, off, s[0:3], 0 offset:56
	buffer_store_dword v74, off, s[0:3], 0 offset:60
.LBB35_215:
	s_or_b64 exec, exec, s[4:5]
	s_waitcnt lgkmcnt(0)
	; wave barrier
	buffer_load_dword v131, off, s[0:3], 0 offset:68
	buffer_load_dword v132, off, s[0:3], 0 offset:76
	;; [unrolled: 1-line block ×34, first 2 shown]
	ds_read_b128 v[75:78], v74 offset:352
	ds_read_b128 v[79:82], v74 offset:368
	buffer_load_dword v165, off, s[0:3], 0 offset:196
	buffer_load_dword v166, off, s[0:3], 0 offset:192
	;; [unrolled: 1-line block ×6, first 2 shown]
	ds_read_b128 v[83:86], v74 offset:384
	ds_read_b128 v[87:90], v74 offset:400
	;; [unrolled: 1-line block ×4, first 2 shown]
	buffer_load_dword v171, off, s[0:3], 0 offset:220
	buffer_load_dword v172, off, s[0:3], 0 offset:216
	;; [unrolled: 1-line block ×18, first 2 shown]
	v_cmp_lt_u32_e32 vcc, 6, v0
	s_waitcnt vmcnt(57) lgkmcnt(5)
	v_mul_f32_e32 v99, v75, v131
	s_waitcnt vmcnt(56)
	v_mul_f32_e32 v100, v77, v132
	s_waitcnt vmcnt(55) lgkmcnt(4)
	v_mul_f32_e32 v101, v79, v133
	s_waitcnt vmcnt(54)
	v_mul_f32_e32 v102, v81, v134
	;; [unrolled: 4-line block ×4, first 2 shown]
	s_waitcnt vmcnt(49)
	v_fmac_f32_e32 v99, v76, v139
	s_waitcnt vmcnt(48)
	v_fmac_f32_e32 v100, v78, v140
	v_add_f32_e32 v99, 0, v99
	s_waitcnt vmcnt(47)
	v_fmac_f32_e32 v101, v80, v141
	v_add_f32_e32 v99, v99, v100
	;; [unrolled: 3-line block ×4, first 2 shown]
	v_mul_f32_e32 v76, v76, v131
	s_waitcnt vmcnt(44)
	v_fmac_f32_e32 v104, v86, v144
	v_add_f32_e32 v99, v99, v103
	v_fma_f32 v75, v75, v139, -v76
	v_mul_f32_e32 v76, v78, v132
	s_waitcnt vmcnt(43)
	v_fmac_f32_e32 v105, v88, v145
	v_add_f32_e32 v99, v99, v104
	v_add_f32_e32 v75, 0, v75
	v_fma_f32 v76, v77, v140, -v76
	s_waitcnt vmcnt(42)
	v_fmac_f32_e32 v106, v90, v146
	v_add_f32_e32 v99, v99, v105
	s_waitcnt vmcnt(41) lgkmcnt(1)
	v_mul_f32_e32 v100, v91, v147
	v_add_f32_e32 v75, v75, v76
	v_mul_f32_e32 v76, v80, v133
	v_add_f32_e32 v99, v99, v106
	s_waitcnt vmcnt(40)
	v_fmac_f32_e32 v100, v92, v148
	v_fma_f32 v76, v79, v141, -v76
	v_add_f32_e32 v99, v99, v100
	s_waitcnt vmcnt(39)
	v_mul_f32_e32 v100, v93, v149
	v_add_f32_e32 v75, v75, v76
	v_mul_f32_e32 v76, v82, v134
	s_waitcnt vmcnt(38)
	v_fmac_f32_e32 v100, v94, v150
	v_fma_f32 v76, v81, v142, -v76
	v_add_f32_e32 v99, v99, v100
	s_waitcnt vmcnt(37) lgkmcnt(0)
	v_mul_f32_e32 v100, v95, v151
	v_add_f32_e32 v75, v75, v76
	v_mul_f32_e32 v76, v84, v135
	s_waitcnt vmcnt(36)
	v_fmac_f32_e32 v100, v96, v152
	v_fma_f32 v76, v83, v143, -v76
	v_add_f32_e32 v103, v99, v100
	ds_read_b128 v[99:102], v74 offset:448
	v_add_f32_e32 v75, v75, v76
	v_mul_f32_e32 v76, v86, v136
	v_fma_f32 v76, v85, v144, -v76
	s_waitcnt vmcnt(35)
	v_mul_f32_e32 v104, v97, v153
	v_add_f32_e32 v75, v75, v76
	v_mul_f32_e32 v76, v88, v137
	s_waitcnt vmcnt(34)
	v_fmac_f32_e32 v104, v98, v154
	v_fma_f32 v76, v87, v145, -v76
	v_add_f32_e32 v107, v103, v104
	ds_read_b128 v[103:106], v74 offset:464
	v_add_f32_e32 v75, v75, v76
	v_mul_f32_e32 v76, v90, v138
	s_waitcnt vmcnt(33) lgkmcnt(1)
	v_mul_f32_e32 v108, v99, v155
	v_fma_f32 v76, v89, v146, -v76
	s_waitcnt vmcnt(32)
	v_fmac_f32_e32 v108, v100, v156
	v_add_f32_e32 v75, v75, v76
	v_mul_f32_e32 v76, v92, v147
	v_add_f32_e32 v107, v107, v108
	s_waitcnt vmcnt(31)
	v_mul_f32_e32 v108, v101, v157
	v_fma_f32 v76, v91, v148, -v76
	s_waitcnt vmcnt(30)
	v_fmac_f32_e32 v108, v102, v158
	v_add_f32_e32 v75, v75, v76
	v_mul_f32_e32 v76, v94, v149
	v_add_f32_e32 v107, v107, v108
	s_waitcnt vmcnt(29) lgkmcnt(0)
	v_mul_f32_e32 v108, v103, v159
	v_fma_f32 v76, v93, v150, -v76
	s_waitcnt vmcnt(28)
	v_fmac_f32_e32 v108, v104, v160
	v_add_f32_e32 v75, v75, v76
	v_mul_f32_e32 v76, v96, v151
	v_add_f32_e32 v111, v107, v108
	ds_read_b128 v[107:110], v74 offset:480
	v_fma_f32 v76, v95, v152, -v76
	v_add_f32_e32 v75, v75, v76
	v_mul_f32_e32 v76, v98, v153
	s_waitcnt vmcnt(25)
	v_mul_f32_e32 v112, v105, v163
	v_fma_f32 v76, v97, v154, -v76
	s_waitcnt vmcnt(24)
	v_fmac_f32_e32 v112, v106, v164
	v_add_f32_e32 v75, v75, v76
	v_mul_f32_e32 v76, v100, v155
	v_add_f32_e32 v115, v111, v112
	ds_read_b128 v[111:114], v74 offset:496
	v_fma_f32 v76, v99, v156, -v76
	s_waitcnt vmcnt(23) lgkmcnt(1)
	v_mul_f32_e32 v116, v107, v165
	v_add_f32_e32 v75, v75, v76
	v_mul_f32_e32 v76, v102, v157
	s_waitcnt vmcnt(22)
	v_fmac_f32_e32 v116, v108, v166
	v_fma_f32 v76, v101, v158, -v76
	v_add_f32_e32 v115, v115, v116
	s_waitcnt vmcnt(20)
	v_mul_f32_e32 v116, v109, v168
	v_add_f32_e32 v75, v75, v76
	v_mul_f32_e32 v76, v104, v159
	v_fmac_f32_e32 v116, v110, v167
	v_fma_f32 v76, v103, v160, -v76
	v_add_f32_e32 v115, v115, v116
	s_waitcnt vmcnt(18) lgkmcnt(0)
	v_mul_f32_e32 v116, v111, v170
	v_add_f32_e32 v75, v75, v76
	v_mul_f32_e32 v76, v106, v163
	v_fmac_f32_e32 v116, v112, v169
	v_fma_f32 v76, v105, v164, -v76
	v_add_f32_e32 v119, v115, v116
	ds_read_b128 v[115:118], v74 offset:512
	v_add_f32_e32 v75, v75, v76
	v_mul_f32_e32 v76, v108, v165
	v_fma_f32 v76, v107, v166, -v76
	s_waitcnt vmcnt(17)
	v_mul_f32_e32 v120, v113, v171
	v_add_f32_e32 v75, v75, v76
	v_mul_f32_e32 v76, v110, v168
	s_waitcnt vmcnt(16)
	v_fmac_f32_e32 v120, v114, v172
	v_fma_f32 v76, v109, v167, -v76
	v_add_f32_e32 v123, v119, v120
	ds_read_b128 v[119:122], v74 offset:528
	v_add_f32_e32 v75, v75, v76
	v_mul_f32_e32 v76, v112, v170
	s_waitcnt vmcnt(14) lgkmcnt(1)
	v_mul_f32_e32 v124, v115, v174
	v_fma_f32 v76, v111, v169, -v76
	v_fmac_f32_e32 v124, v116, v173
	v_add_f32_e32 v75, v75, v76
	v_mul_f32_e32 v76, v114, v171
	v_add_f32_e32 v123, v123, v124
	s_waitcnt vmcnt(12)
	v_mul_f32_e32 v124, v117, v176
	v_fma_f32 v76, v113, v172, -v76
	v_fmac_f32_e32 v124, v118, v175
	v_add_f32_e32 v75, v75, v76
	v_mul_f32_e32 v76, v116, v174
	v_add_f32_e32 v123, v123, v124
	s_waitcnt vmcnt(10) lgkmcnt(0)
	v_mul_f32_e32 v124, v119, v178
	v_fma_f32 v76, v115, v173, -v76
	v_fmac_f32_e32 v124, v120, v177
	v_add_f32_e32 v75, v75, v76
	v_mul_f32_e32 v76, v118, v176
	v_add_f32_e32 v127, v123, v124
	ds_read_b128 v[123:126], v74 offset:544
	v_fma_f32 v76, v117, v175, -v76
	v_add_f32_e32 v75, v75, v76
	v_mul_f32_e32 v76, v120, v178
	s_waitcnt vmcnt(8)
	v_mul_f32_e32 v128, v121, v180
	v_fma_f32 v76, v119, v177, -v76
	v_fmac_f32_e32 v128, v122, v179
	v_add_f32_e32 v75, v75, v76
	v_mul_f32_e32 v76, v122, v180
	v_add_f32_e32 v189, v127, v128
	ds_read_b128 v[127:130], v74 offset:560
	v_fma_f32 v76, v121, v179, -v76
	v_add_f32_e32 v75, v75, v76
	s_waitcnt vmcnt(6) lgkmcnt(1)
	v_mul_f32_e32 v76, v124, v182
	v_mul_f32_e32 v74, v123, v182
	v_fma_f32 v76, v123, v181, -v76
	v_fmac_f32_e32 v74, v124, v181
	v_add_f32_e32 v75, v75, v76
	s_waitcnt vmcnt(4)
	v_mul_f32_e32 v76, v126, v184
	v_add_f32_e32 v74, v189, v74
	v_mul_f32_e32 v189, v125, v184
	v_fma_f32 v76, v125, v183, -v76
	v_fmac_f32_e32 v189, v126, v183
	v_add_f32_e32 v75, v75, v76
	s_waitcnt vmcnt(2) lgkmcnt(0)
	v_mul_f32_e32 v76, v128, v186
	v_add_f32_e32 v74, v74, v189
	v_mul_f32_e32 v189, v127, v186
	v_fma_f32 v76, v127, v185, -v76
	v_fmac_f32_e32 v189, v128, v185
	v_add_f32_e32 v75, v75, v76
	s_waitcnt vmcnt(0)
	v_mul_f32_e32 v76, v130, v188
	v_add_f32_e32 v74, v74, v189
	v_mul_f32_e32 v189, v129, v188
	v_fma_f32 v76, v129, v187, -v76
	v_fmac_f32_e32 v189, v130, v187
	v_add_f32_e32 v75, v75, v76
	v_add_f32_e32 v74, v74, v189
	v_sub_f32_e32 v75, v161, v75
	v_sub_f32_e32 v74, v162, v74
	buffer_store_dword v75, off, s[0:3], 0 offset:56
	buffer_store_dword v74, off, s[0:3], 0 offset:60
	s_and_saveexec_b64 s[4:5], vcc
	s_cbranch_execz .LBB35_217
; %bb.216:
	buffer_load_dword v74, off, s[0:3], 0 offset:48
	buffer_load_dword v75, off, s[0:3], 0 offset:52
	v_mov_b32_e32 v76, 0
	buffer_store_dword v76, off, s[0:3], 0 offset:48
	buffer_store_dword v76, off, s[0:3], 0 offset:52
	s_waitcnt vmcnt(2)
	ds_write_b64 v73, v[74:75]
.LBB35_217:
	s_or_b64 exec, exec, s[4:5]
	s_waitcnt lgkmcnt(0)
	; wave barrier
	buffer_load_dword v133, off, s[0:3], 0 offset:60
	buffer_load_dword v134, off, s[0:3], 0 offset:68
	;; [unrolled: 1-line block ×60, first 2 shown]
	v_mov_b32_e32 v74, 0
	ds_read2_b64 v[75:78], v74 offset0:43 offset1:44
	ds_read2_b64 v[79:82], v74 offset0:45 offset1:46
	;; [unrolled: 1-line block ×5, first 2 shown]
	v_cmp_lt_u32_e32 vcc, 5, v0
	s_waitcnt vmcnt(59) lgkmcnt(4)
	v_mul_f32_e32 v95, v75, v133
	s_waitcnt vmcnt(58)
	v_mul_f32_e32 v96, v77, v134
	s_waitcnt vmcnt(57) lgkmcnt(3)
	v_mul_f32_e32 v97, v79, v135
	s_waitcnt vmcnt(56)
	v_mul_f32_e32 v98, v81, v136
	;; [unrolled: 4-line block ×3, first 2 shown]
	s_waitcnt vmcnt(53) lgkmcnt(1)
	v_mul_f32_e32 v101, v87, v139
	s_waitcnt vmcnt(52)
	v_fmac_f32_e32 v95, v76, v140
	s_waitcnt vmcnt(51)
	v_fmac_f32_e32 v96, v78, v141
	v_add_f32_e32 v95, 0, v95
	s_waitcnt vmcnt(50)
	v_fmac_f32_e32 v97, v80, v142
	v_add_f32_e32 v95, v95, v96
	;; [unrolled: 3-line block ×6, first 2 shown]
	s_waitcnt vmcnt(45)
	v_mul_f32_e32 v96, v89, v147
	v_add_f32_e32 v95, v95, v101
	s_waitcnt vmcnt(44)
	v_fmac_f32_e32 v96, v90, v148
	v_mul_f32_e32 v76, v76, v133
	v_add_f32_e32 v99, v95, v96
	ds_read2_b64 v[95:98], v74 offset0:53 offset1:54
	v_fma_f32 v75, v75, v140, -v76
	v_mul_f32_e32 v76, v78, v134
	s_waitcnt vmcnt(43) lgkmcnt(1)
	v_mul_f32_e32 v100, v91, v149
	v_add_f32_e32 v75, 0, v75
	v_fma_f32 v76, v77, v141, -v76
	s_waitcnt vmcnt(42)
	v_fmac_f32_e32 v100, v92, v150
	v_add_f32_e32 v75, v75, v76
	v_mul_f32_e32 v76, v80, v135
	v_add_f32_e32 v99, v99, v100
	s_waitcnt vmcnt(41)
	v_mul_f32_e32 v100, v93, v151
	v_fma_f32 v76, v79, v142, -v76
	s_waitcnt vmcnt(40)
	v_fmac_f32_e32 v100, v94, v152
	v_add_f32_e32 v75, v75, v76
	v_mul_f32_e32 v76, v82, v136
	v_add_f32_e32 v99, v99, v100
	s_waitcnt vmcnt(39) lgkmcnt(0)
	v_mul_f32_e32 v100, v95, v153
	v_fma_f32 v76, v81, v143, -v76
	s_waitcnt vmcnt(38)
	v_fmac_f32_e32 v100, v96, v154
	v_add_f32_e32 v75, v75, v76
	v_mul_f32_e32 v76, v84, v137
	v_add_f32_e32 v103, v99, v100
	ds_read2_b64 v[99:102], v74 offset0:55 offset1:56
	v_fma_f32 v76, v83, v144, -v76
	v_add_f32_e32 v75, v75, v76
	v_mul_f32_e32 v76, v86, v138
	s_waitcnt vmcnt(37)
	v_mul_f32_e32 v104, v97, v155
	v_fma_f32 v76, v85, v145, -v76
	s_waitcnt vmcnt(36)
	v_fmac_f32_e32 v104, v98, v156
	v_add_f32_e32 v75, v75, v76
	v_mul_f32_e32 v76, v88, v139
	v_add_f32_e32 v107, v103, v104
	ds_read2_b64 v[103:106], v74 offset0:57 offset1:58
	v_fma_f32 v76, v87, v146, -v76
	s_waitcnt vmcnt(34) lgkmcnt(1)
	v_mul_f32_e32 v108, v99, v158
	v_add_f32_e32 v75, v75, v76
	v_mul_f32_e32 v76, v90, v147
	v_fmac_f32_e32 v108, v100, v157
	v_fma_f32 v76, v89, v148, -v76
	v_add_f32_e32 v107, v107, v108
	s_waitcnt vmcnt(31)
	v_mul_f32_e32 v108, v101, v161
	v_add_f32_e32 v75, v75, v76
	v_mul_f32_e32 v76, v92, v149
	s_waitcnt vmcnt(30)
	v_fmac_f32_e32 v108, v102, v162
	v_fma_f32 v76, v91, v150, -v76
	v_add_f32_e32 v107, v107, v108
	s_waitcnt vmcnt(28) lgkmcnt(0)
	v_mul_f32_e32 v108, v103, v164
	v_add_f32_e32 v75, v75, v76
	v_mul_f32_e32 v76, v94, v151
	v_fmac_f32_e32 v108, v104, v163
	v_fma_f32 v76, v93, v152, -v76
	v_add_f32_e32 v111, v107, v108
	ds_read2_b64 v[107:110], v74 offset0:59 offset1:60
	v_add_f32_e32 v75, v75, v76
	v_mul_f32_e32 v76, v96, v153
	v_fma_f32 v76, v95, v154, -v76
	s_waitcnt vmcnt(26)
	v_mul_f32_e32 v112, v105, v166
	v_add_f32_e32 v75, v75, v76
	v_mul_f32_e32 v76, v98, v155
	v_fmac_f32_e32 v112, v106, v165
	v_fma_f32 v76, v97, v156, -v76
	v_add_f32_e32 v115, v111, v112
	ds_read2_b64 v[111:114], v74 offset0:61 offset1:62
	v_add_f32_e32 v75, v75, v76
	v_mul_f32_e32 v76, v100, v158
	s_waitcnt vmcnt(24) lgkmcnt(1)
	v_mul_f32_e32 v116, v107, v168
	v_fma_f32 v76, v99, v157, -v76
	v_fmac_f32_e32 v116, v108, v167
	v_add_f32_e32 v75, v75, v76
	v_mul_f32_e32 v76, v102, v161
	v_add_f32_e32 v115, v115, v116
	s_waitcnt vmcnt(22)
	v_mul_f32_e32 v116, v109, v170
	v_fma_f32 v76, v101, v162, -v76
	v_fmac_f32_e32 v116, v110, v169
	v_add_f32_e32 v75, v75, v76
	v_mul_f32_e32 v76, v104, v164
	v_add_f32_e32 v115, v115, v116
	s_waitcnt vmcnt(20) lgkmcnt(0)
	v_mul_f32_e32 v116, v111, v172
	v_fma_f32 v76, v103, v163, -v76
	v_fmac_f32_e32 v116, v112, v171
	v_add_f32_e32 v75, v75, v76
	v_mul_f32_e32 v76, v106, v166
	v_add_f32_e32 v119, v115, v116
	ds_read2_b64 v[115:118], v74 offset0:63 offset1:64
	v_fma_f32 v76, v105, v165, -v76
	v_add_f32_e32 v75, v75, v76
	v_mul_f32_e32 v76, v108, v168
	s_waitcnt vmcnt(18)
	v_mul_f32_e32 v120, v113, v174
	v_fma_f32 v76, v107, v167, -v76
	v_fmac_f32_e32 v120, v114, v173
	v_add_f32_e32 v75, v75, v76
	v_mul_f32_e32 v76, v110, v170
	v_add_f32_e32 v123, v119, v120
	ds_read2_b64 v[119:122], v74 offset0:65 offset1:66
	v_fma_f32 v76, v109, v169, -v76
	s_waitcnt vmcnt(16) lgkmcnt(1)
	v_mul_f32_e32 v124, v115, v176
	v_add_f32_e32 v75, v75, v76
	v_mul_f32_e32 v76, v112, v172
	v_fmac_f32_e32 v124, v116, v175
	v_fma_f32 v76, v111, v171, -v76
	v_add_f32_e32 v123, v123, v124
	s_waitcnt vmcnt(14)
	v_mul_f32_e32 v124, v117, v178
	v_add_f32_e32 v75, v75, v76
	v_mul_f32_e32 v76, v114, v174
	v_fmac_f32_e32 v124, v118, v177
	v_fma_f32 v76, v113, v173, -v76
	v_add_f32_e32 v123, v123, v124
	s_waitcnt vmcnt(12) lgkmcnt(0)
	v_mul_f32_e32 v124, v119, v180
	v_add_f32_e32 v75, v75, v76
	v_mul_f32_e32 v76, v116, v176
	v_fmac_f32_e32 v124, v120, v179
	v_fma_f32 v76, v115, v175, -v76
	v_add_f32_e32 v127, v123, v124
	ds_read2_b64 v[123:126], v74 offset0:67 offset1:68
	v_add_f32_e32 v75, v75, v76
	v_mul_f32_e32 v76, v118, v178
	v_fma_f32 v76, v117, v177, -v76
	v_add_f32_e32 v75, v75, v76
	v_mul_f32_e32 v76, v120, v180
	s_waitcnt vmcnt(10)
	v_mul_f32_e32 v128, v121, v182
	v_fma_f32 v76, v119, v179, -v76
	v_fmac_f32_e32 v128, v122, v181
	v_add_f32_e32 v75, v75, v76
	v_mul_f32_e32 v76, v122, v182
	v_add_f32_e32 v131, v127, v128
	ds_read2_b64 v[127:130], v74 offset0:69 offset1:70
	s_waitcnt vmcnt(8) lgkmcnt(1)
	v_mul_f32_e32 v132, v123, v184
	v_fma_f32 v76, v121, v181, -v76
	v_fmac_f32_e32 v132, v124, v183
	v_add_f32_e32 v75, v75, v76
	v_mul_f32_e32 v76, v124, v184
	v_add_f32_e32 v131, v131, v132
	s_waitcnt vmcnt(6)
	v_mul_f32_e32 v132, v125, v186
	v_fma_f32 v76, v123, v183, -v76
	v_fmac_f32_e32 v132, v126, v185
	v_add_f32_e32 v75, v75, v76
	v_mul_f32_e32 v76, v126, v186
	v_add_f32_e32 v193, v131, v132
	ds_read_b64 v[131:132], v74 offset:568
	v_fma_f32 v76, v125, v185, -v76
	v_add_f32_e32 v75, v75, v76
	s_waitcnt vmcnt(4) lgkmcnt(1)
	v_mul_f32_e32 v76, v128, v188
	v_mul_f32_e32 v194, v127, v188
	v_fma_f32 v76, v127, v187, -v76
	v_fmac_f32_e32 v194, v128, v187
	v_add_f32_e32 v75, v75, v76
	s_waitcnt vmcnt(2)
	v_mul_f32_e32 v76, v130, v190
	v_add_f32_e32 v193, v193, v194
	v_mul_f32_e32 v194, v129, v190
	v_fma_f32 v76, v129, v189, -v76
	v_fmac_f32_e32 v194, v130, v189
	v_add_f32_e32 v75, v75, v76
	s_waitcnt vmcnt(0) lgkmcnt(0)
	v_mul_f32_e32 v76, v132, v192
	v_add_f32_e32 v193, v193, v194
	v_mul_f32_e32 v194, v131, v192
	v_fma_f32 v76, v131, v191, -v76
	v_fmac_f32_e32 v194, v132, v191
	v_add_f32_e32 v75, v75, v76
	v_add_f32_e32 v193, v193, v194
	v_sub_f32_e32 v75, v159, v75
	v_sub_f32_e32 v76, v160, v193
	buffer_store_dword v75, off, s[0:3], 0 offset:48
	buffer_store_dword v76, off, s[0:3], 0 offset:52
	s_and_saveexec_b64 s[4:5], vcc
	s_cbranch_execz .LBB35_219
; %bb.218:
	buffer_load_dword v75, off, s[0:3], 0 offset:40
	buffer_load_dword v76, off, s[0:3], 0 offset:44
	s_waitcnt vmcnt(0)
	ds_write_b64 v73, v[75:76]
	buffer_store_dword v74, off, s[0:3], 0 offset:40
	buffer_store_dword v74, off, s[0:3], 0 offset:44
.LBB35_219:
	s_or_b64 exec, exec, s[4:5]
	s_waitcnt lgkmcnt(0)
	; wave barrier
	buffer_load_dword v135, off, s[0:3], 0 offset:52
	buffer_load_dword v136, off, s[0:3], 0 offset:60
	;; [unrolled: 1-line block ×32, first 2 shown]
	ds_read_b128 v[75:78], v74 offset:336
	ds_read_b128 v[79:82], v74 offset:352
	;; [unrolled: 1-line block ×4, first 2 shown]
	buffer_load_dword v167, off, s[0:3], 0 offset:172
	buffer_load_dword v168, off, s[0:3], 0 offset:168
	;; [unrolled: 1-line block ×30, first 2 shown]
	v_cmp_lt_u32_e32 vcc, 4, v0
	s_waitcnt vmcnt(61) lgkmcnt(3)
	v_mul_f32_e32 v91, v75, v135
	s_waitcnt vmcnt(60)
	v_mul_f32_e32 v92, v77, v136
	s_waitcnt vmcnt(59) lgkmcnt(2)
	v_mul_f32_e32 v93, v79, v137
	s_waitcnt vmcnt(58)
	v_mul_f32_e32 v94, v81, v138
	;; [unrolled: 4-line block ×3, first 2 shown]
	s_waitcnt vmcnt(55) lgkmcnt(0)
	v_mul_f32_e32 v97, v87, v141
	s_waitcnt vmcnt(54)
	v_fmac_f32_e32 v91, v76, v142
	s_waitcnt vmcnt(53)
	v_fmac_f32_e32 v92, v78, v143
	v_add_f32_e32 v91, 0, v91
	s_waitcnt vmcnt(52)
	v_fmac_f32_e32 v93, v80, v144
	v_add_f32_e32 v91, v91, v92
	;; [unrolled: 3-line block ×6, first 2 shown]
	v_add_f32_e32 v95, v91, v97
	ds_read_b128 v[91:94], v74 offset:400
	s_waitcnt vmcnt(47)
	v_mul_f32_e32 v96, v89, v149
	s_waitcnt vmcnt(46)
	v_fmac_f32_e32 v96, v90, v150
	v_mul_f32_e32 v76, v76, v135
	v_add_f32_e32 v99, v95, v96
	ds_read_b128 v[95:98], v74 offset:416
	v_fma_f32 v75, v75, v142, -v76
	v_mul_f32_e32 v76, v78, v136
	s_waitcnt vmcnt(45) lgkmcnt(1)
	v_mul_f32_e32 v100, v91, v151
	v_add_f32_e32 v75, 0, v75
	v_fma_f32 v76, v77, v143, -v76
	s_waitcnt vmcnt(44)
	v_fmac_f32_e32 v100, v92, v152
	v_add_f32_e32 v75, v75, v76
	v_mul_f32_e32 v76, v80, v137
	v_add_f32_e32 v99, v99, v100
	s_waitcnt vmcnt(43)
	v_mul_f32_e32 v100, v93, v153
	v_fma_f32 v76, v79, v144, -v76
	s_waitcnt vmcnt(42)
	v_fmac_f32_e32 v100, v94, v154
	v_add_f32_e32 v75, v75, v76
	v_mul_f32_e32 v76, v82, v138
	v_add_f32_e32 v99, v99, v100
	s_waitcnt vmcnt(41) lgkmcnt(0)
	v_mul_f32_e32 v100, v95, v155
	v_fma_f32 v76, v81, v145, -v76
	s_waitcnt vmcnt(40)
	v_fmac_f32_e32 v100, v96, v156
	v_add_f32_e32 v75, v75, v76
	v_mul_f32_e32 v76, v84, v139
	v_add_f32_e32 v103, v99, v100
	ds_read_b128 v[99:102], v74 offset:432
	v_fma_f32 v76, v83, v146, -v76
	v_add_f32_e32 v75, v75, v76
	v_mul_f32_e32 v76, v86, v140
	s_waitcnt vmcnt(39)
	v_mul_f32_e32 v104, v97, v157
	v_fma_f32 v76, v85, v147, -v76
	s_waitcnt vmcnt(38)
	v_fmac_f32_e32 v104, v98, v158
	v_add_f32_e32 v75, v75, v76
	v_mul_f32_e32 v76, v88, v141
	v_add_f32_e32 v107, v103, v104
	ds_read_b128 v[103:106], v74 offset:448
	v_fma_f32 v76, v87, v148, -v76
	s_waitcnt vmcnt(35) lgkmcnt(1)
	v_mul_f32_e32 v108, v99, v161
	v_add_f32_e32 v75, v75, v76
	v_mul_f32_e32 v76, v90, v149
	s_waitcnt vmcnt(34)
	v_fmac_f32_e32 v108, v100, v162
	v_fma_f32 v76, v89, v150, -v76
	v_add_f32_e32 v107, v107, v108
	s_waitcnt vmcnt(32)
	v_mul_f32_e32 v108, v101, v164
	v_add_f32_e32 v75, v75, v76
	v_mul_f32_e32 v76, v92, v151
	v_fmac_f32_e32 v108, v102, v163
	v_fma_f32 v76, v91, v152, -v76
	v_add_f32_e32 v107, v107, v108
	s_waitcnt vmcnt(30) lgkmcnt(0)
	v_mul_f32_e32 v108, v103, v166
	v_add_f32_e32 v75, v75, v76
	v_mul_f32_e32 v76, v94, v153
	v_fmac_f32_e32 v108, v104, v165
	v_fma_f32 v76, v93, v154, -v76
	v_add_f32_e32 v111, v107, v108
	ds_read_b128 v[107:110], v74 offset:464
	v_add_f32_e32 v75, v75, v76
	v_mul_f32_e32 v76, v96, v155
	v_fma_f32 v76, v95, v156, -v76
	s_waitcnt vmcnt(29)
	v_mul_f32_e32 v112, v105, v167
	v_add_f32_e32 v75, v75, v76
	v_mul_f32_e32 v76, v98, v157
	s_waitcnt vmcnt(28)
	v_fmac_f32_e32 v112, v106, v168
	v_fma_f32 v76, v97, v158, -v76
	v_add_f32_e32 v115, v111, v112
	ds_read_b128 v[111:114], v74 offset:480
	v_add_f32_e32 v75, v75, v76
	v_mul_f32_e32 v76, v100, v161
	s_waitcnt vmcnt(26) lgkmcnt(1)
	v_mul_f32_e32 v116, v107, v170
	v_fma_f32 v76, v99, v162, -v76
	v_fmac_f32_e32 v116, v108, v169
	v_add_f32_e32 v75, v75, v76
	v_mul_f32_e32 v76, v102, v164
	v_add_f32_e32 v115, v115, v116
	s_waitcnt vmcnt(24)
	v_mul_f32_e32 v116, v109, v172
	v_fma_f32 v76, v101, v163, -v76
	v_fmac_f32_e32 v116, v110, v171
	v_add_f32_e32 v75, v75, v76
	v_mul_f32_e32 v76, v104, v166
	v_add_f32_e32 v115, v115, v116
	s_waitcnt vmcnt(22) lgkmcnt(0)
	v_mul_f32_e32 v116, v111, v174
	v_fma_f32 v76, v103, v165, -v76
	v_fmac_f32_e32 v116, v112, v173
	v_add_f32_e32 v75, v75, v76
	v_mul_f32_e32 v76, v106, v167
	v_add_f32_e32 v119, v115, v116
	ds_read_b128 v[115:118], v74 offset:496
	v_fma_f32 v76, v105, v168, -v76
	v_add_f32_e32 v75, v75, v76
	v_mul_f32_e32 v76, v108, v170
	s_waitcnt vmcnt(20)
	v_mul_f32_e32 v120, v113, v176
	v_fma_f32 v76, v107, v169, -v76
	v_fmac_f32_e32 v120, v114, v175
	v_add_f32_e32 v75, v75, v76
	v_mul_f32_e32 v76, v110, v172
	v_add_f32_e32 v123, v119, v120
	ds_read_b128 v[119:122], v74 offset:512
	v_fma_f32 v76, v109, v171, -v76
	s_waitcnt vmcnt(18) lgkmcnt(1)
	v_mul_f32_e32 v124, v115, v178
	v_add_f32_e32 v75, v75, v76
	v_mul_f32_e32 v76, v112, v174
	v_fmac_f32_e32 v124, v116, v177
	v_fma_f32 v76, v111, v173, -v76
	v_add_f32_e32 v123, v123, v124
	s_waitcnt vmcnt(16)
	v_mul_f32_e32 v124, v117, v180
	v_add_f32_e32 v75, v75, v76
	v_mul_f32_e32 v76, v114, v176
	v_fmac_f32_e32 v124, v118, v179
	v_fma_f32 v76, v113, v175, -v76
	v_add_f32_e32 v123, v123, v124
	s_waitcnt vmcnt(14) lgkmcnt(0)
	v_mul_f32_e32 v124, v119, v182
	v_add_f32_e32 v75, v75, v76
	v_mul_f32_e32 v76, v116, v178
	v_fmac_f32_e32 v124, v120, v181
	v_fma_f32 v76, v115, v177, -v76
	v_add_f32_e32 v127, v123, v124
	ds_read_b128 v[123:126], v74 offset:528
	v_add_f32_e32 v75, v75, v76
	v_mul_f32_e32 v76, v118, v180
	v_fma_f32 v76, v117, v179, -v76
	v_add_f32_e32 v75, v75, v76
	v_mul_f32_e32 v76, v120, v182
	s_waitcnt vmcnt(12)
	v_mul_f32_e32 v128, v121, v184
	v_fma_f32 v76, v119, v181, -v76
	v_fmac_f32_e32 v128, v122, v183
	v_add_f32_e32 v75, v75, v76
	v_mul_f32_e32 v76, v122, v184
	v_add_f32_e32 v131, v127, v128
	ds_read_b128 v[127:130], v74 offset:544
	s_waitcnt vmcnt(10) lgkmcnt(1)
	v_mul_f32_e32 v132, v123, v186
	v_fma_f32 v76, v121, v183, -v76
	v_fmac_f32_e32 v132, v124, v185
	v_add_f32_e32 v75, v75, v76
	v_mul_f32_e32 v76, v124, v186
	v_add_f32_e32 v131, v131, v132
	s_waitcnt vmcnt(8)
	v_mul_f32_e32 v132, v125, v188
	v_fma_f32 v76, v123, v185, -v76
	v_fmac_f32_e32 v132, v126, v187
	v_add_f32_e32 v75, v75, v76
	v_mul_f32_e32 v76, v126, v188
	v_add_f32_e32 v197, v131, v132
	ds_read_b128 v[131:134], v74 offset:560
	v_fma_f32 v76, v125, v187, -v76
	v_add_f32_e32 v75, v75, v76
	s_waitcnt vmcnt(6) lgkmcnt(1)
	v_mul_f32_e32 v76, v128, v190
	v_mul_f32_e32 v198, v127, v190
	v_fma_f32 v76, v127, v189, -v76
	v_fmac_f32_e32 v198, v128, v189
	v_add_f32_e32 v75, v75, v76
	s_waitcnt vmcnt(4)
	v_mul_f32_e32 v76, v130, v192
	v_add_f32_e32 v74, v197, v198
	v_mul_f32_e32 v197, v129, v192
	v_fma_f32 v76, v129, v191, -v76
	v_fmac_f32_e32 v197, v130, v191
	v_add_f32_e32 v75, v75, v76
	s_waitcnt vmcnt(2) lgkmcnt(0)
	v_mul_f32_e32 v76, v132, v194
	v_add_f32_e32 v74, v74, v197
	v_mul_f32_e32 v197, v131, v194
	v_fma_f32 v76, v131, v193, -v76
	v_fmac_f32_e32 v197, v132, v193
	v_add_f32_e32 v75, v75, v76
	s_waitcnt vmcnt(0)
	v_mul_f32_e32 v76, v134, v196
	v_add_f32_e32 v74, v74, v197
	v_mul_f32_e32 v197, v133, v196
	v_fma_f32 v76, v133, v195, -v76
	v_fmac_f32_e32 v197, v134, v195
	v_add_f32_e32 v75, v75, v76
	v_add_f32_e32 v74, v74, v197
	v_sub_f32_e32 v75, v159, v75
	v_sub_f32_e32 v74, v160, v74
	buffer_store_dword v75, off, s[0:3], 0 offset:40
	buffer_store_dword v74, off, s[0:3], 0 offset:44
	s_and_saveexec_b64 s[4:5], vcc
	s_cbranch_execz .LBB35_221
; %bb.220:
	buffer_load_dword v74, off, s[0:3], 0 offset:32
	buffer_load_dword v75, off, s[0:3], 0 offset:36
	v_mov_b32_e32 v76, 0
	buffer_store_dword v76, off, s[0:3], 0 offset:32
	buffer_store_dword v76, off, s[0:3], 0 offset:36
	s_waitcnt vmcnt(2)
	ds_write_b64 v73, v[74:75]
.LBB35_221:
	s_or_b64 exec, exec, s[4:5]
	s_waitcnt lgkmcnt(0)
	; wave barrier
	buffer_load_dword v137, off, s[0:3], 0 offset:44
	buffer_load_dword v138, off, s[0:3], 0 offset:52
	;; [unrolled: 1-line block ×56, first 2 shown]
	v_mov_b32_e32 v74, 0
	ds_read2_b64 v[75:78], v74 offset0:41 offset1:42
	buffer_load_dword v193, off, s[0:3], 0 offset:256
	buffer_load_dword v194, off, s[0:3], 0 offset:260
	;; [unrolled: 1-line block ×4, first 2 shown]
	ds_read2_b64 v[79:82], v74 offset0:43 offset1:44
	ds_read2_b64 v[83:86], v74 offset0:45 offset1:46
	;; [unrolled: 1-line block ×3, first 2 shown]
	v_cmp_lt_u32_e32 vcc, 3, v0
	s_waitcnt vmcnt(59) lgkmcnt(3)
	v_mul_f32_e32 v91, v75, v137
	s_waitcnt vmcnt(58)
	v_mul_f32_e32 v92, v77, v138
	s_waitcnt vmcnt(57) lgkmcnt(2)
	v_mul_f32_e32 v93, v79, v139
	s_waitcnt vmcnt(56)
	v_mul_f32_e32 v94, v81, v140
	;; [unrolled: 4-line block ×4, first 2 shown]
	s_waitcnt vmcnt(51)
	v_fmac_f32_e32 v91, v76, v145
	s_waitcnt vmcnt(50)
	v_fmac_f32_e32 v92, v78, v146
	v_add_f32_e32 v91, 0, v91
	s_waitcnt vmcnt(49)
	v_fmac_f32_e32 v93, v80, v147
	v_add_f32_e32 v91, v91, v92
	;; [unrolled: 3-line block ×6, first 2 shown]
	v_add_f32_e32 v95, v91, v97
	ds_read2_b64 v[91:94], v74 offset0:49 offset1:50
	buffer_load_dword v197, off, s[0:3], 0 offset:276
	buffer_load_dword v198, off, s[0:3], 0 offset:272
	;; [unrolled: 1-line block ×4, first 2 shown]
	s_waitcnt vmcnt(48)
	v_fmac_f32_e32 v98, v90, v152
	v_add_f32_e32 v99, v95, v98
	ds_read2_b64 v[95:98], v74 offset0:51 offset1:52
	s_waitcnt vmcnt(47) lgkmcnt(1)
	v_mul_f32_e32 v100, v91, v153
	v_mul_f32_e32 v76, v76, v137
	s_waitcnt vmcnt(46)
	v_fmac_f32_e32 v100, v92, v154
	v_fma_f32 v75, v75, v145, -v76
	v_mul_f32_e32 v76, v78, v138
	v_add_f32_e32 v99, v99, v100
	s_waitcnt vmcnt(45)
	v_mul_f32_e32 v100, v93, v155
	v_add_f32_e32 v75, 0, v75
	v_fma_f32 v76, v77, v146, -v76
	s_waitcnt vmcnt(44)
	v_fmac_f32_e32 v100, v94, v156
	v_add_f32_e32 v75, v75, v76
	v_mul_f32_e32 v76, v80, v139
	v_add_f32_e32 v99, v99, v100
	s_waitcnt vmcnt(42) lgkmcnt(0)
	v_mul_f32_e32 v100, v95, v158
	v_fma_f32 v76, v79, v147, -v76
	v_fmac_f32_e32 v100, v96, v157
	v_add_f32_e32 v75, v75, v76
	v_mul_f32_e32 v76, v82, v140
	v_add_f32_e32 v103, v99, v100
	ds_read2_b64 v[99:102], v74 offset0:53 offset1:54
	v_fma_f32 v76, v81, v148, -v76
	v_add_f32_e32 v75, v75, v76
	v_mul_f32_e32 v76, v84, v141
	s_waitcnt vmcnt(39)
	v_mul_f32_e32 v104, v97, v161
	v_fma_f32 v76, v83, v149, -v76
	s_waitcnt vmcnt(38)
	v_fmac_f32_e32 v104, v98, v162
	v_add_f32_e32 v75, v75, v76
	v_mul_f32_e32 v76, v86, v142
	v_add_f32_e32 v107, v103, v104
	ds_read2_b64 v[103:106], v74 offset0:55 offset1:56
	v_fma_f32 v76, v85, v150, -v76
	s_waitcnt vmcnt(36) lgkmcnt(1)
	v_mul_f32_e32 v108, v99, v164
	v_add_f32_e32 v75, v75, v76
	v_mul_f32_e32 v76, v88, v143
	v_fmac_f32_e32 v108, v100, v163
	v_fma_f32 v76, v87, v151, -v76
	v_add_f32_e32 v107, v107, v108
	s_waitcnt vmcnt(34)
	v_mul_f32_e32 v108, v101, v166
	v_add_f32_e32 v75, v75, v76
	v_mul_f32_e32 v76, v90, v144
	v_fmac_f32_e32 v108, v102, v165
	v_fma_f32 v76, v89, v152, -v76
	v_add_f32_e32 v107, v107, v108
	s_waitcnt vmcnt(32) lgkmcnt(0)
	v_mul_f32_e32 v108, v103, v168
	v_add_f32_e32 v75, v75, v76
	v_mul_f32_e32 v76, v92, v153
	v_fmac_f32_e32 v108, v104, v167
	v_fma_f32 v76, v91, v154, -v76
	v_add_f32_e32 v111, v107, v108
	ds_read2_b64 v[107:110], v74 offset0:57 offset1:58
	v_add_f32_e32 v75, v75, v76
	v_mul_f32_e32 v76, v94, v155
	v_fma_f32 v76, v93, v156, -v76
	s_waitcnt vmcnt(30)
	v_mul_f32_e32 v112, v105, v170
	v_add_f32_e32 v75, v75, v76
	v_mul_f32_e32 v76, v96, v158
	v_fmac_f32_e32 v112, v106, v169
	v_fma_f32 v76, v95, v157, -v76
	v_add_f32_e32 v115, v111, v112
	ds_read2_b64 v[111:114], v74 offset0:59 offset1:60
	v_add_f32_e32 v75, v75, v76
	v_mul_f32_e32 v76, v98, v161
	s_waitcnt vmcnt(28) lgkmcnt(1)
	v_mul_f32_e32 v116, v107, v172
	v_fma_f32 v76, v97, v162, -v76
	v_fmac_f32_e32 v116, v108, v171
	v_add_f32_e32 v75, v75, v76
	v_mul_f32_e32 v76, v100, v164
	v_add_f32_e32 v115, v115, v116
	s_waitcnt vmcnt(26)
	v_mul_f32_e32 v116, v109, v174
	v_fma_f32 v76, v99, v163, -v76
	v_fmac_f32_e32 v116, v110, v173
	v_add_f32_e32 v75, v75, v76
	v_mul_f32_e32 v76, v102, v166
	v_add_f32_e32 v115, v115, v116
	s_waitcnt vmcnt(24) lgkmcnt(0)
	v_mul_f32_e32 v116, v111, v176
	v_fma_f32 v76, v101, v165, -v76
	v_fmac_f32_e32 v116, v112, v175
	v_add_f32_e32 v75, v75, v76
	v_mul_f32_e32 v76, v104, v168
	v_add_f32_e32 v119, v115, v116
	ds_read2_b64 v[115:118], v74 offset0:61 offset1:62
	v_fma_f32 v76, v103, v167, -v76
	v_add_f32_e32 v75, v75, v76
	v_mul_f32_e32 v76, v106, v170
	s_waitcnt vmcnt(22)
	v_mul_f32_e32 v120, v113, v178
	v_fma_f32 v76, v105, v169, -v76
	v_fmac_f32_e32 v120, v114, v177
	v_add_f32_e32 v75, v75, v76
	v_mul_f32_e32 v76, v108, v172
	v_add_f32_e32 v123, v119, v120
	ds_read2_b64 v[119:122], v74 offset0:63 offset1:64
	v_fma_f32 v76, v107, v171, -v76
	s_waitcnt vmcnt(20) lgkmcnt(1)
	v_mul_f32_e32 v124, v115, v180
	v_add_f32_e32 v75, v75, v76
	v_mul_f32_e32 v76, v110, v174
	v_fmac_f32_e32 v124, v116, v179
	v_fma_f32 v76, v109, v173, -v76
	v_add_f32_e32 v123, v123, v124
	s_waitcnt vmcnt(18)
	v_mul_f32_e32 v124, v117, v182
	v_add_f32_e32 v75, v75, v76
	v_mul_f32_e32 v76, v112, v176
	v_fmac_f32_e32 v124, v118, v181
	v_fma_f32 v76, v111, v175, -v76
	v_add_f32_e32 v123, v123, v124
	s_waitcnt vmcnt(16) lgkmcnt(0)
	v_mul_f32_e32 v124, v119, v184
	v_add_f32_e32 v75, v75, v76
	v_mul_f32_e32 v76, v114, v178
	v_fmac_f32_e32 v124, v120, v183
	v_fma_f32 v76, v113, v177, -v76
	v_add_f32_e32 v127, v123, v124
	ds_read2_b64 v[123:126], v74 offset0:65 offset1:66
	v_add_f32_e32 v75, v75, v76
	v_mul_f32_e32 v76, v116, v180
	v_fma_f32 v76, v115, v179, -v76
	s_waitcnt vmcnt(14)
	v_mul_f32_e32 v128, v121, v186
	v_add_f32_e32 v75, v75, v76
	v_mul_f32_e32 v76, v118, v182
	v_fmac_f32_e32 v128, v122, v185
	v_fma_f32 v76, v117, v181, -v76
	v_add_f32_e32 v131, v127, v128
	ds_read2_b64 v[127:130], v74 offset0:67 offset1:68
	v_add_f32_e32 v75, v75, v76
	v_mul_f32_e32 v76, v120, v184
	s_waitcnt vmcnt(12) lgkmcnt(1)
	v_mul_f32_e32 v132, v123, v188
	v_fma_f32 v76, v119, v183, -v76
	v_fmac_f32_e32 v132, v124, v187
	v_add_f32_e32 v75, v75, v76
	v_mul_f32_e32 v76, v122, v186
	v_add_f32_e32 v131, v131, v132
	s_waitcnt vmcnt(10)
	v_mul_f32_e32 v132, v125, v190
	v_fma_f32 v76, v121, v185, -v76
	v_fmac_f32_e32 v132, v126, v189
	v_add_f32_e32 v75, v75, v76
	v_mul_f32_e32 v76, v124, v188
	v_add_f32_e32 v131, v131, v132
	s_waitcnt vmcnt(8) lgkmcnt(0)
	v_mul_f32_e32 v132, v127, v192
	v_fma_f32 v76, v123, v187, -v76
	v_fmac_f32_e32 v132, v128, v191
	v_add_f32_e32 v75, v75, v76
	v_mul_f32_e32 v76, v126, v190
	v_add_f32_e32 v135, v131, v132
	ds_read2_b64 v[131:134], v74 offset0:69 offset1:70
	v_fma_f32 v76, v125, v189, -v76
	v_add_f32_e32 v75, v75, v76
	v_mul_f32_e32 v76, v128, v192
	s_waitcnt vmcnt(6)
	v_mul_f32_e32 v136, v129, v194
	v_fma_f32 v76, v127, v191, -v76
	v_fmac_f32_e32 v136, v130, v193
	v_add_f32_e32 v75, v75, v76
	v_mul_f32_e32 v76, v130, v194
	v_add_f32_e32 v201, v135, v136
	ds_read_b64 v[135:136], v74 offset:568
	v_fma_f32 v76, v129, v193, -v76
	v_add_f32_e32 v75, v75, v76
	s_waitcnt vmcnt(4) lgkmcnt(1)
	v_mul_f32_e32 v76, v132, v196
	v_mul_f32_e32 v202, v131, v196
	v_fma_f32 v76, v131, v195, -v76
	v_fmac_f32_e32 v202, v132, v195
	v_add_f32_e32 v75, v75, v76
	s_waitcnt vmcnt(3)
	v_mul_f32_e32 v76, v134, v197
	v_add_f32_e32 v201, v201, v202
	v_mul_f32_e32 v202, v133, v197
	s_waitcnt vmcnt(2)
	v_fma_f32 v76, v133, v198, -v76
	v_fmac_f32_e32 v202, v134, v198
	v_add_f32_e32 v75, v75, v76
	s_waitcnt vmcnt(0) lgkmcnt(0)
	v_mul_f32_e32 v76, v136, v200
	v_add_f32_e32 v201, v201, v202
	v_mul_f32_e32 v202, v135, v200
	v_fma_f32 v76, v135, v199, -v76
	v_fmac_f32_e32 v202, v136, v199
	v_add_f32_e32 v75, v75, v76
	v_add_f32_e32 v201, v201, v202
	v_sub_f32_e32 v75, v159, v75
	v_sub_f32_e32 v76, v160, v201
	buffer_store_dword v75, off, s[0:3], 0 offset:32
	buffer_store_dword v76, off, s[0:3], 0 offset:36
	s_and_saveexec_b64 s[4:5], vcc
	s_cbranch_execz .LBB35_223
; %bb.222:
	buffer_load_dword v75, off, s[0:3], 0 offset:24
	buffer_load_dword v76, off, s[0:3], 0 offset:28
	s_waitcnt vmcnt(0)
	ds_write_b64 v73, v[75:76]
	buffer_store_dword v74, off, s[0:3], 0 offset:24
	buffer_store_dword v74, off, s[0:3], 0 offset:28
.LBB35_223:
	s_or_b64 exec, exec, s[4:5]
	s_waitcnt lgkmcnt(0)
	; wave barrier
	buffer_load_dword v139, off, s[0:3], 0 offset:36
	buffer_load_dword v140, off, s[0:3], 0 offset:44
	;; [unrolled: 1-line block ×26, first 2 shown]
	ds_read_b128 v[75:78], v74 offset:320
	ds_read_b128 v[79:82], v74 offset:336
	;; [unrolled: 1-line block ×4, first 2 shown]
	buffer_load_dword v165, off, s[0:3], 0 offset:132
	buffer_load_dword v166, off, s[0:3], 0 offset:128
	;; [unrolled: 1-line block ×34, first 2 shown]
	v_cmp_lt_u32_e32 vcc, 2, v0
	s_waitcnt vmcnt(59) lgkmcnt(3)
	v_mul_f32_e32 v91, v75, v139
	s_waitcnt vmcnt(58)
	v_mul_f32_e32 v92, v77, v140
	s_waitcnt vmcnt(57) lgkmcnt(2)
	v_mul_f32_e32 v93, v79, v141
	s_waitcnt vmcnt(56)
	v_mul_f32_e32 v94, v81, v142
	;; [unrolled: 4-line block ×4, first 2 shown]
	s_waitcnt vmcnt(51)
	v_fmac_f32_e32 v91, v76, v147
	s_waitcnt vmcnt(50)
	v_fmac_f32_e32 v92, v78, v148
	v_add_f32_e32 v91, 0, v91
	s_waitcnt vmcnt(49)
	v_fmac_f32_e32 v93, v80, v149
	v_add_f32_e32 v91, v91, v92
	;; [unrolled: 3-line block ×7, first 2 shown]
	v_add_f32_e32 v99, v91, v98
	ds_read_b128 v[91:94], v74 offset:384
	buffer_load_dword v199, off, s[0:3], 0 offset:268
	buffer_load_dword v200, off, s[0:3], 0 offset:264
	buffer_load_dword v201, off, s[0:3], 0 offset:272
	buffer_load_dword v202, off, s[0:3], 0 offset:276
	ds_read_b128 v[95:98], v74 offset:400
	buffer_load_dword v203, off, s[0:3], 0 offset:280
	buffer_load_dword v204, off, s[0:3], 0 offset:284
	v_mul_f32_e32 v76, v76, v139
	s_waitcnt vmcnt(49) lgkmcnt(1)
	v_mul_f32_e32 v100, v91, v155
	s_waitcnt vmcnt(48)
	v_fmac_f32_e32 v100, v92, v156
	v_fma_f32 v75, v75, v147, -v76
	v_mul_f32_e32 v76, v78, v140
	v_add_f32_e32 v99, v99, v100
	s_waitcnt vmcnt(46)
	v_mul_f32_e32 v100, v93, v158
	v_add_f32_e32 v75, 0, v75
	v_fma_f32 v76, v77, v148, -v76
	v_fmac_f32_e32 v100, v94, v157
	v_add_f32_e32 v75, v75, v76
	v_mul_f32_e32 v76, v80, v141
	v_add_f32_e32 v99, v99, v100
	s_waitcnt vmcnt(43) lgkmcnt(0)
	v_mul_f32_e32 v100, v95, v161
	v_fma_f32 v76, v79, v149, -v76
	s_waitcnt vmcnt(42)
	v_fmac_f32_e32 v100, v96, v162
	v_add_f32_e32 v75, v75, v76
	v_mul_f32_e32 v76, v82, v142
	v_add_f32_e32 v103, v99, v100
	ds_read_b128 v[99:102], v74 offset:416
	v_fma_f32 v76, v81, v150, -v76
	v_add_f32_e32 v75, v75, v76
	v_mul_f32_e32 v76, v84, v143
	s_waitcnt vmcnt(40)
	v_mul_f32_e32 v104, v97, v164
	v_fma_f32 v76, v83, v151, -v76
	v_fmac_f32_e32 v104, v98, v163
	v_add_f32_e32 v75, v75, v76
	v_mul_f32_e32 v76, v86, v144
	v_add_f32_e32 v107, v103, v104
	ds_read_b128 v[103:106], v74 offset:432
	v_fma_f32 v76, v85, v152, -v76
	s_waitcnt vmcnt(39) lgkmcnt(1)
	v_mul_f32_e32 v108, v99, v165
	v_add_f32_e32 v75, v75, v76
	v_mul_f32_e32 v76, v88, v145
	s_waitcnt vmcnt(38)
	v_fmac_f32_e32 v108, v100, v166
	v_fma_f32 v76, v87, v153, -v76
	v_add_f32_e32 v107, v107, v108
	s_waitcnt vmcnt(36)
	v_mul_f32_e32 v108, v101, v168
	v_add_f32_e32 v75, v75, v76
	v_mul_f32_e32 v76, v90, v146
	v_fmac_f32_e32 v108, v102, v167
	v_fma_f32 v76, v89, v154, -v76
	v_add_f32_e32 v107, v107, v108
	s_waitcnt vmcnt(34) lgkmcnt(0)
	v_mul_f32_e32 v108, v103, v170
	v_add_f32_e32 v75, v75, v76
	v_mul_f32_e32 v76, v92, v155
	v_fmac_f32_e32 v108, v104, v169
	v_fma_f32 v76, v91, v156, -v76
	v_add_f32_e32 v111, v107, v108
	ds_read_b128 v[107:110], v74 offset:448
	v_add_f32_e32 v75, v75, v76
	v_mul_f32_e32 v76, v94, v158
	v_fma_f32 v76, v93, v157, -v76
	s_waitcnt vmcnt(32)
	v_mul_f32_e32 v112, v105, v172
	v_add_f32_e32 v75, v75, v76
	v_mul_f32_e32 v76, v96, v161
	v_fmac_f32_e32 v112, v106, v171
	v_fma_f32 v76, v95, v162, -v76
	v_add_f32_e32 v115, v111, v112
	ds_read_b128 v[111:114], v74 offset:464
	v_add_f32_e32 v75, v75, v76
	v_mul_f32_e32 v76, v98, v164
	s_waitcnt vmcnt(30) lgkmcnt(1)
	v_mul_f32_e32 v116, v107, v174
	v_fma_f32 v76, v97, v163, -v76
	v_fmac_f32_e32 v116, v108, v173
	v_add_f32_e32 v75, v75, v76
	v_mul_f32_e32 v76, v100, v165
	v_add_f32_e32 v115, v115, v116
	s_waitcnt vmcnt(28)
	v_mul_f32_e32 v116, v109, v176
	v_fma_f32 v76, v99, v166, -v76
	v_fmac_f32_e32 v116, v110, v175
	v_add_f32_e32 v75, v75, v76
	v_mul_f32_e32 v76, v102, v168
	v_add_f32_e32 v115, v115, v116
	s_waitcnt vmcnt(26) lgkmcnt(0)
	v_mul_f32_e32 v116, v111, v178
	v_fma_f32 v76, v101, v167, -v76
	v_fmac_f32_e32 v116, v112, v177
	v_add_f32_e32 v75, v75, v76
	v_mul_f32_e32 v76, v104, v170
	v_add_f32_e32 v119, v115, v116
	ds_read_b128 v[115:118], v74 offset:480
	v_fma_f32 v76, v103, v169, -v76
	v_add_f32_e32 v75, v75, v76
	v_mul_f32_e32 v76, v106, v172
	s_waitcnt vmcnt(24)
	v_mul_f32_e32 v120, v113, v180
	v_fma_f32 v76, v105, v171, -v76
	v_fmac_f32_e32 v120, v114, v179
	v_add_f32_e32 v75, v75, v76
	v_mul_f32_e32 v76, v108, v174
	v_add_f32_e32 v123, v119, v120
	ds_read_b128 v[119:122], v74 offset:496
	v_fma_f32 v76, v107, v173, -v76
	s_waitcnt vmcnt(22) lgkmcnt(1)
	v_mul_f32_e32 v124, v115, v182
	v_add_f32_e32 v75, v75, v76
	v_mul_f32_e32 v76, v110, v176
	v_fmac_f32_e32 v124, v116, v181
	v_fma_f32 v76, v109, v175, -v76
	v_add_f32_e32 v123, v123, v124
	s_waitcnt vmcnt(20)
	v_mul_f32_e32 v124, v117, v184
	v_add_f32_e32 v75, v75, v76
	v_mul_f32_e32 v76, v112, v178
	v_fmac_f32_e32 v124, v118, v183
	v_fma_f32 v76, v111, v177, -v76
	v_add_f32_e32 v123, v123, v124
	s_waitcnt vmcnt(18) lgkmcnt(0)
	v_mul_f32_e32 v124, v119, v186
	v_add_f32_e32 v75, v75, v76
	v_mul_f32_e32 v76, v114, v180
	v_fmac_f32_e32 v124, v120, v185
	v_fma_f32 v76, v113, v179, -v76
	v_add_f32_e32 v127, v123, v124
	ds_read_b128 v[123:126], v74 offset:512
	v_add_f32_e32 v75, v75, v76
	v_mul_f32_e32 v76, v116, v182
	v_fma_f32 v76, v115, v181, -v76
	s_waitcnt vmcnt(16)
	v_mul_f32_e32 v128, v121, v188
	v_add_f32_e32 v75, v75, v76
	v_mul_f32_e32 v76, v118, v184
	v_fmac_f32_e32 v128, v122, v187
	v_fma_f32 v76, v117, v183, -v76
	v_add_f32_e32 v131, v127, v128
	ds_read_b128 v[127:130], v74 offset:528
	v_add_f32_e32 v75, v75, v76
	v_mul_f32_e32 v76, v120, v186
	s_waitcnt vmcnt(14) lgkmcnt(1)
	v_mul_f32_e32 v132, v123, v190
	v_fma_f32 v76, v119, v185, -v76
	v_fmac_f32_e32 v132, v124, v189
	v_add_f32_e32 v75, v75, v76
	v_mul_f32_e32 v76, v122, v188
	v_add_f32_e32 v131, v131, v132
	s_waitcnt vmcnt(12)
	v_mul_f32_e32 v132, v125, v192
	v_fma_f32 v76, v121, v187, -v76
	v_fmac_f32_e32 v132, v126, v191
	v_add_f32_e32 v75, v75, v76
	v_mul_f32_e32 v76, v124, v190
	v_add_f32_e32 v131, v131, v132
	s_waitcnt vmcnt(10) lgkmcnt(0)
	v_mul_f32_e32 v132, v127, v194
	v_fma_f32 v76, v123, v189, -v76
	v_fmac_f32_e32 v132, v128, v193
	v_add_f32_e32 v75, v75, v76
	v_mul_f32_e32 v76, v126, v192
	v_add_f32_e32 v135, v131, v132
	ds_read_b128 v[131:134], v74 offset:544
	v_fma_f32 v76, v125, v191, -v76
	v_add_f32_e32 v75, v75, v76
	v_mul_f32_e32 v76, v128, v194
	s_waitcnt vmcnt(8)
	v_mul_f32_e32 v136, v129, v196
	v_fma_f32 v76, v127, v193, -v76
	v_fmac_f32_e32 v136, v130, v195
	v_add_f32_e32 v75, v75, v76
	v_mul_f32_e32 v76, v130, v196
	v_add_f32_e32 v205, v135, v136
	ds_read_b128 v[135:138], v74 offset:560
	v_fma_f32 v76, v129, v195, -v76
	v_add_f32_e32 v75, v75, v76
	s_waitcnt vmcnt(6) lgkmcnt(1)
	v_mul_f32_e32 v76, v132, v198
	v_mul_f32_e32 v74, v131, v198
	v_fma_f32 v76, v131, v197, -v76
	v_fmac_f32_e32 v74, v132, v197
	v_add_f32_e32 v75, v75, v76
	s_waitcnt vmcnt(5)
	v_mul_f32_e32 v76, v134, v199
	v_add_f32_e32 v74, v205, v74
	v_mul_f32_e32 v205, v133, v199
	s_waitcnt vmcnt(4)
	v_fma_f32 v76, v133, v200, -v76
	v_fmac_f32_e32 v205, v134, v200
	v_add_f32_e32 v75, v75, v76
	s_waitcnt vmcnt(2) lgkmcnt(0)
	v_mul_f32_e32 v76, v136, v202
	v_add_f32_e32 v74, v74, v205
	v_mul_f32_e32 v205, v135, v202
	v_fma_f32 v76, v135, v201, -v76
	v_fmac_f32_e32 v205, v136, v201
	v_add_f32_e32 v75, v75, v76
	s_waitcnt vmcnt(0)
	v_mul_f32_e32 v76, v138, v204
	v_add_f32_e32 v74, v74, v205
	v_mul_f32_e32 v205, v137, v204
	v_fma_f32 v76, v137, v203, -v76
	v_fmac_f32_e32 v205, v138, v203
	v_add_f32_e32 v75, v75, v76
	v_add_f32_e32 v74, v74, v205
	v_sub_f32_e32 v75, v159, v75
	v_sub_f32_e32 v74, v160, v74
	buffer_store_dword v75, off, s[0:3], 0 offset:24
	buffer_store_dword v74, off, s[0:3], 0 offset:28
	s_and_saveexec_b64 s[4:5], vcc
	s_cbranch_execz .LBB35_225
; %bb.224:
	buffer_load_dword v74, off, s[0:3], 0 offset:16
	buffer_load_dword v75, off, s[0:3], 0 offset:20
	v_mov_b32_e32 v76, 0
	buffer_store_dword v76, off, s[0:3], 0 offset:16
	buffer_store_dword v76, off, s[0:3], 0 offset:20
	s_waitcnt vmcnt(2)
	ds_write_b64 v73, v[74:75]
.LBB35_225:
	s_or_b64 exec, exec, s[4:5]
	s_waitcnt lgkmcnt(0)
	; wave barrier
	buffer_load_dword v141, off, s[0:3], 0 offset:28
	buffer_load_dword v142, off, s[0:3], 0 offset:36
	;; [unrolled: 1-line block ×58, first 2 shown]
	v_mov_b32_e32 v74, 0
	ds_read2_b64 v[75:78], v74 offset0:39 offset1:40
	ds_read2_b64 v[79:82], v74 offset0:41 offset1:42
	;; [unrolled: 1-line block ×5, first 2 shown]
	buffer_load_dword v199, off, s[0:3], 0 offset:248
	buffer_load_dword v200, off, s[0:3], 0 offset:252
	v_cmp_lt_u32_e32 vcc, 1, v0
	s_waitcnt vmcnt(59) lgkmcnt(4)
	v_mul_f32_e32 v95, v75, v141
	s_waitcnt vmcnt(58)
	v_mul_f32_e32 v96, v77, v142
	s_waitcnt vmcnt(57) lgkmcnt(3)
	v_mul_f32_e32 v97, v79, v143
	s_waitcnt vmcnt(56)
	v_mul_f32_e32 v98, v81, v144
	;; [unrolled: 4-line block ×4, first 2 shown]
	s_waitcnt vmcnt(51)
	v_fmac_f32_e32 v95, v76, v149
	s_waitcnt vmcnt(50)
	v_fmac_f32_e32 v96, v78, v150
	v_add_f32_e32 v95, 0, v95
	s_waitcnt vmcnt(49)
	v_fmac_f32_e32 v97, v80, v151
	v_add_f32_e32 v95, v95, v96
	;; [unrolled: 3-line block ×7, first 2 shown]
	v_add_f32_e32 v99, v95, v102
	ds_read2_b64 v[95:98], v74 offset0:49 offset1:50
	buffer_load_dword v201, off, s[0:3], 0 offset:260
	buffer_load_dword v202, off, s[0:3], 0 offset:256
	;; [unrolled: 1-line block ×8, first 2 shown]
	s_waitcnt vmcnt(51) lgkmcnt(1)
	v_mul_f32_e32 v100, v91, v157
	s_waitcnt vmcnt(50)
	v_fmac_f32_e32 v100, v92, v158
	v_mul_f32_e32 v76, v76, v141
	v_add_f32_e32 v99, v99, v100
	s_waitcnt vmcnt(49)
	v_mul_f32_e32 v100, v93, v159
	v_fma_f32 v75, v75, v149, -v76
	v_mul_f32_e32 v76, v78, v142
	s_waitcnt vmcnt(46)
	v_fmac_f32_e32 v100, v94, v162
	v_add_f32_e32 v75, 0, v75
	v_fma_f32 v76, v77, v150, -v76
	v_add_f32_e32 v99, v99, v100
	s_waitcnt vmcnt(44) lgkmcnt(0)
	v_mul_f32_e32 v100, v95, v164
	v_add_f32_e32 v75, v75, v76
	v_mul_f32_e32 v76, v80, v143
	v_fmac_f32_e32 v100, v96, v163
	v_fma_f32 v76, v79, v151, -v76
	v_add_f32_e32 v103, v99, v100
	ds_read2_b64 v[99:102], v74 offset0:51 offset1:52
	v_add_f32_e32 v75, v75, v76
	v_mul_f32_e32 v76, v82, v144
	v_fma_f32 v76, v81, v152, -v76
	s_waitcnt vmcnt(42)
	v_mul_f32_e32 v104, v97, v166
	v_add_f32_e32 v75, v75, v76
	v_mul_f32_e32 v76, v84, v145
	v_fmac_f32_e32 v104, v98, v165
	v_fma_f32 v76, v83, v153, -v76
	v_add_f32_e32 v107, v103, v104
	ds_read2_b64 v[103:106], v74 offset0:53 offset1:54
	v_add_f32_e32 v75, v75, v76
	v_mul_f32_e32 v76, v86, v146
	s_waitcnt vmcnt(40) lgkmcnt(1)
	v_mul_f32_e32 v108, v99, v168
	v_fma_f32 v76, v85, v154, -v76
	v_fmac_f32_e32 v108, v100, v167
	v_add_f32_e32 v75, v75, v76
	v_mul_f32_e32 v76, v88, v147
	v_add_f32_e32 v107, v107, v108
	s_waitcnt vmcnt(38)
	v_mul_f32_e32 v108, v101, v170
	v_fma_f32 v76, v87, v155, -v76
	v_fmac_f32_e32 v108, v102, v169
	v_add_f32_e32 v75, v75, v76
	v_mul_f32_e32 v76, v90, v148
	v_add_f32_e32 v107, v107, v108
	s_waitcnt vmcnt(36) lgkmcnt(0)
	v_mul_f32_e32 v108, v103, v172
	v_fma_f32 v76, v89, v156, -v76
	v_fmac_f32_e32 v108, v104, v171
	v_add_f32_e32 v75, v75, v76
	v_mul_f32_e32 v76, v92, v157
	v_add_f32_e32 v111, v107, v108
	ds_read2_b64 v[107:110], v74 offset0:55 offset1:56
	v_fma_f32 v76, v91, v158, -v76
	v_add_f32_e32 v75, v75, v76
	v_mul_f32_e32 v76, v94, v159
	s_waitcnt vmcnt(34)
	v_mul_f32_e32 v112, v105, v174
	v_fma_f32 v76, v93, v162, -v76
	v_fmac_f32_e32 v112, v106, v173
	v_add_f32_e32 v75, v75, v76
	v_mul_f32_e32 v76, v96, v164
	v_add_f32_e32 v115, v111, v112
	ds_read2_b64 v[111:114], v74 offset0:57 offset1:58
	v_fma_f32 v76, v95, v163, -v76
	s_waitcnt vmcnt(32) lgkmcnt(1)
	v_mul_f32_e32 v116, v107, v176
	v_add_f32_e32 v75, v75, v76
	v_mul_f32_e32 v76, v98, v166
	v_fmac_f32_e32 v116, v108, v175
	v_fma_f32 v76, v97, v165, -v76
	v_add_f32_e32 v115, v115, v116
	s_waitcnt vmcnt(30)
	v_mul_f32_e32 v116, v109, v178
	v_add_f32_e32 v75, v75, v76
	v_mul_f32_e32 v76, v100, v168
	v_fmac_f32_e32 v116, v110, v177
	v_fma_f32 v76, v99, v167, -v76
	v_add_f32_e32 v115, v115, v116
	s_waitcnt vmcnt(28) lgkmcnt(0)
	v_mul_f32_e32 v116, v111, v180
	v_add_f32_e32 v75, v75, v76
	v_mul_f32_e32 v76, v102, v170
	v_fmac_f32_e32 v116, v112, v179
	v_fma_f32 v76, v101, v169, -v76
	v_add_f32_e32 v119, v115, v116
	ds_read2_b64 v[115:118], v74 offset0:59 offset1:60
	v_add_f32_e32 v75, v75, v76
	v_mul_f32_e32 v76, v104, v172
	v_fma_f32 v76, v103, v171, -v76
	s_waitcnt vmcnt(26)
	v_mul_f32_e32 v120, v113, v182
	v_add_f32_e32 v75, v75, v76
	v_mul_f32_e32 v76, v106, v174
	v_fmac_f32_e32 v120, v114, v181
	v_fma_f32 v76, v105, v173, -v76
	v_add_f32_e32 v123, v119, v120
	ds_read2_b64 v[119:122], v74 offset0:61 offset1:62
	v_add_f32_e32 v75, v75, v76
	v_mul_f32_e32 v76, v108, v176
	s_waitcnt vmcnt(24) lgkmcnt(1)
	v_mul_f32_e32 v124, v115, v184
	v_fma_f32 v76, v107, v175, -v76
	v_fmac_f32_e32 v124, v116, v183
	v_add_f32_e32 v75, v75, v76
	v_mul_f32_e32 v76, v110, v178
	v_add_f32_e32 v123, v123, v124
	s_waitcnt vmcnt(22)
	v_mul_f32_e32 v124, v117, v186
	v_fma_f32 v76, v109, v177, -v76
	v_fmac_f32_e32 v124, v118, v185
	v_add_f32_e32 v75, v75, v76
	v_mul_f32_e32 v76, v112, v180
	v_add_f32_e32 v123, v123, v124
	s_waitcnt vmcnt(20) lgkmcnt(0)
	v_mul_f32_e32 v124, v119, v188
	v_fma_f32 v76, v111, v179, -v76
	v_fmac_f32_e32 v124, v120, v187
	v_add_f32_e32 v75, v75, v76
	v_mul_f32_e32 v76, v114, v182
	v_add_f32_e32 v127, v123, v124
	ds_read2_b64 v[123:126], v74 offset0:63 offset1:64
	v_fma_f32 v76, v113, v181, -v76
	v_add_f32_e32 v75, v75, v76
	v_mul_f32_e32 v76, v116, v184
	s_waitcnt vmcnt(18)
	v_mul_f32_e32 v128, v121, v190
	v_fma_f32 v76, v115, v183, -v76
	v_fmac_f32_e32 v128, v122, v189
	v_add_f32_e32 v75, v75, v76
	v_mul_f32_e32 v76, v118, v186
	v_add_f32_e32 v131, v127, v128
	ds_read2_b64 v[127:130], v74 offset0:65 offset1:66
	v_fma_f32 v76, v117, v185, -v76
	s_waitcnt vmcnt(16) lgkmcnt(1)
	v_mul_f32_e32 v132, v123, v192
	v_add_f32_e32 v75, v75, v76
	v_mul_f32_e32 v76, v120, v188
	v_fmac_f32_e32 v132, v124, v191
	v_fma_f32 v76, v119, v187, -v76
	v_add_f32_e32 v131, v131, v132
	s_waitcnt vmcnt(14)
	v_mul_f32_e32 v132, v125, v194
	v_add_f32_e32 v75, v75, v76
	v_mul_f32_e32 v76, v122, v190
	v_fmac_f32_e32 v132, v126, v193
	v_fma_f32 v76, v121, v189, -v76
	v_add_f32_e32 v131, v131, v132
	s_waitcnt vmcnt(12) lgkmcnt(0)
	v_mul_f32_e32 v132, v127, v196
	v_add_f32_e32 v75, v75, v76
	v_mul_f32_e32 v76, v124, v192
	v_fmac_f32_e32 v132, v128, v195
	v_fma_f32 v76, v123, v191, -v76
	v_add_f32_e32 v135, v131, v132
	ds_read2_b64 v[131:134], v74 offset0:67 offset1:68
	v_add_f32_e32 v75, v75, v76
	v_mul_f32_e32 v76, v126, v194
	v_fma_f32 v76, v125, v193, -v76
	v_add_f32_e32 v75, v75, v76
	v_mul_f32_e32 v76, v128, v196
	s_waitcnt vmcnt(10)
	v_mul_f32_e32 v136, v129, v198
	v_fma_f32 v76, v127, v195, -v76
	v_fmac_f32_e32 v136, v130, v197
	v_add_f32_e32 v75, v75, v76
	v_mul_f32_e32 v76, v130, v198
	v_add_f32_e32 v139, v135, v136
	ds_read2_b64 v[135:138], v74 offset0:69 offset1:70
	s_waitcnt vmcnt(8) lgkmcnt(1)
	v_mul_f32_e32 v140, v131, v200
	v_fma_f32 v76, v129, v197, -v76
	v_fmac_f32_e32 v140, v132, v199
	v_add_f32_e32 v75, v75, v76
	v_mul_f32_e32 v76, v132, v200
	v_add_f32_e32 v139, v139, v140
	s_waitcnt vmcnt(7)
	v_mul_f32_e32 v140, v133, v201
	v_fma_f32 v76, v131, v199, -v76
	s_waitcnt vmcnt(6)
	v_fmac_f32_e32 v140, v134, v202
	v_add_f32_e32 v75, v75, v76
	v_mul_f32_e32 v76, v134, v201
	v_add_f32_e32 v209, v139, v140
	ds_read_b64 v[139:140], v74 offset:568
	v_fma_f32 v76, v133, v202, -v76
	v_add_f32_e32 v75, v75, v76
	s_waitcnt vmcnt(4) lgkmcnt(1)
	v_mul_f32_e32 v76, v136, v204
	v_mul_f32_e32 v210, v135, v204
	v_fma_f32 v76, v135, v203, -v76
	v_fmac_f32_e32 v210, v136, v203
	v_add_f32_e32 v75, v75, v76
	s_waitcnt vmcnt(3)
	v_mul_f32_e32 v76, v138, v205
	v_add_f32_e32 v209, v209, v210
	v_mul_f32_e32 v210, v137, v205
	s_waitcnt vmcnt(2)
	v_fma_f32 v76, v137, v206, -v76
	v_fmac_f32_e32 v210, v138, v206
	v_add_f32_e32 v75, v75, v76
	s_waitcnt vmcnt(0) lgkmcnt(0)
	v_mul_f32_e32 v76, v140, v208
	v_add_f32_e32 v209, v209, v210
	v_mul_f32_e32 v210, v139, v208
	v_fma_f32 v76, v139, v207, -v76
	v_fmac_f32_e32 v210, v140, v207
	v_add_f32_e32 v75, v75, v76
	v_add_f32_e32 v209, v209, v210
	v_sub_f32_e32 v75, v160, v75
	v_sub_f32_e32 v76, v161, v209
	buffer_store_dword v75, off, s[0:3], 0 offset:16
	buffer_store_dword v76, off, s[0:3], 0 offset:20
	s_and_saveexec_b64 s[4:5], vcc
	s_cbranch_execz .LBB35_227
; %bb.226:
	buffer_load_dword v75, off, s[0:3], 0 offset:8
	buffer_load_dword v76, off, s[0:3], 0 offset:12
	s_waitcnt vmcnt(0)
	ds_write_b64 v73, v[75:76]
	buffer_store_dword v74, off, s[0:3], 0 offset:8
	buffer_store_dword v74, off, s[0:3], 0 offset:12
.LBB35_227:
	s_or_b64 exec, exec, s[4:5]
	s_waitcnt lgkmcnt(0)
	; wave barrier
	buffer_load_dword v143, off, s[0:3], 0 offset:20
	buffer_load_dword v144, off, s[0:3], 0 offset:28
	;; [unrolled: 1-line block ×24, first 2 shown]
	ds_read_b128 v[75:78], v74 offset:304
	ds_read_b128 v[79:82], v74 offset:320
	;; [unrolled: 1-line block ×6, first 2 shown]
	buffer_load_dword v167, off, s[0:3], 0 offset:108
	buffer_load_dword v168, off, s[0:3], 0 offset:104
	;; [unrolled: 1-line block ×46, first 2 shown]
	v_cmp_ne_u32_e32 vcc, 0, v0
	s_waitcnt vmcnt(62) lgkmcnt(5)
	v_mul_f32_e32 v99, v75, v143
	v_mul_f32_e32 v100, v77, v144
	s_waitcnt lgkmcnt(4)
	v_mul_f32_e32 v101, v79, v145
	v_mul_f32_e32 v102, v81, v146
	s_waitcnt lgkmcnt(3)
	;; [unrolled: 3-line block ×3, first 2 shown]
	v_mul_f32_e32 v105, v87, v149
	v_mul_f32_e32 v106, v89, v150
	s_waitcnt vmcnt(61)
	v_fmac_f32_e32 v99, v76, v151
	s_waitcnt vmcnt(60)
	v_fmac_f32_e32 v100, v78, v152
	v_add_f32_e32 v99, 0, v99
	s_waitcnt vmcnt(59)
	v_fmac_f32_e32 v101, v80, v153
	v_add_f32_e32 v99, v99, v100
	;; [unrolled: 3-line block ×7, first 2 shown]
	s_waitcnt vmcnt(53) lgkmcnt(1)
	v_mul_f32_e32 v100, v91, v159
	v_add_f32_e32 v99, v99, v106
	s_waitcnt vmcnt(52)
	v_fmac_f32_e32 v100, v92, v160
	v_mul_f32_e32 v76, v76, v143
	v_add_f32_e32 v99, v99, v100
	s_waitcnt vmcnt(51)
	v_mul_f32_e32 v100, v93, v161
	v_fma_f32 v75, v75, v151, -v76
	v_mul_f32_e32 v76, v78, v144
	s_waitcnt vmcnt(50)
	v_fmac_f32_e32 v100, v94, v162
	v_add_f32_e32 v75, 0, v75
	v_fma_f32 v76, v77, v152, -v76
	v_add_f32_e32 v99, v99, v100
	s_waitcnt vmcnt(47) lgkmcnt(0)
	v_mul_f32_e32 v100, v95, v165
	v_add_f32_e32 v75, v75, v76
	v_mul_f32_e32 v76, v80, v145
	s_waitcnt vmcnt(46)
	v_fmac_f32_e32 v100, v96, v166
	v_fma_f32 v76, v79, v153, -v76
	v_add_f32_e32 v103, v99, v100
	ds_read_b128 v[99:102], v74 offset:400
	v_add_f32_e32 v75, v75, v76
	v_mul_f32_e32 v76, v82, v146
	v_fma_f32 v76, v81, v154, -v76
	s_waitcnt vmcnt(45)
	v_mul_f32_e32 v104, v97, v167
	v_add_f32_e32 v75, v75, v76
	v_mul_f32_e32 v76, v84, v147
	s_waitcnt vmcnt(44)
	v_fmac_f32_e32 v104, v98, v168
	v_fma_f32 v76, v83, v155, -v76
	v_add_f32_e32 v107, v103, v104
	ds_read_b128 v[103:106], v74 offset:416
	v_add_f32_e32 v75, v75, v76
	v_mul_f32_e32 v76, v86, v148
	s_waitcnt vmcnt(42) lgkmcnt(1)
	v_mul_f32_e32 v108, v99, v170
	v_fma_f32 v76, v85, v156, -v76
	v_fmac_f32_e32 v108, v100, v169
	v_add_f32_e32 v75, v75, v76
	v_mul_f32_e32 v76, v88, v149
	v_add_f32_e32 v107, v107, v108
	s_waitcnt vmcnt(40)
	v_mul_f32_e32 v108, v101, v172
	v_fma_f32 v76, v87, v157, -v76
	v_fmac_f32_e32 v108, v102, v171
	v_add_f32_e32 v75, v75, v76
	v_mul_f32_e32 v76, v90, v150
	v_add_f32_e32 v107, v107, v108
	s_waitcnt vmcnt(38) lgkmcnt(0)
	v_mul_f32_e32 v108, v103, v174
	v_fma_f32 v76, v89, v158, -v76
	v_fmac_f32_e32 v108, v104, v173
	v_add_f32_e32 v75, v75, v76
	v_mul_f32_e32 v76, v92, v159
	v_add_f32_e32 v111, v107, v108
	ds_read_b128 v[107:110], v74 offset:432
	v_fma_f32 v76, v91, v160, -v76
	v_add_f32_e32 v75, v75, v76
	v_mul_f32_e32 v76, v94, v161
	s_waitcnt vmcnt(36)
	v_mul_f32_e32 v112, v105, v176
	v_fma_f32 v76, v93, v162, -v76
	v_fmac_f32_e32 v112, v106, v175
	v_add_f32_e32 v75, v75, v76
	v_mul_f32_e32 v76, v96, v165
	v_add_f32_e32 v115, v111, v112
	ds_read_b128 v[111:114], v74 offset:448
	v_fma_f32 v76, v95, v166, -v76
	s_waitcnt vmcnt(34) lgkmcnt(1)
	v_mul_f32_e32 v116, v107, v178
	v_add_f32_e32 v75, v75, v76
	v_mul_f32_e32 v76, v98, v167
	v_fmac_f32_e32 v116, v108, v177
	v_fma_f32 v76, v97, v168, -v76
	v_add_f32_e32 v115, v115, v116
	s_waitcnt vmcnt(32)
	v_mul_f32_e32 v116, v109, v180
	v_add_f32_e32 v75, v75, v76
	v_mul_f32_e32 v76, v100, v170
	v_fmac_f32_e32 v116, v110, v179
	v_fma_f32 v76, v99, v169, -v76
	v_add_f32_e32 v115, v115, v116
	s_waitcnt vmcnt(30) lgkmcnt(0)
	v_mul_f32_e32 v116, v111, v182
	v_add_f32_e32 v75, v75, v76
	v_mul_f32_e32 v76, v102, v172
	v_fmac_f32_e32 v116, v112, v181
	v_fma_f32 v76, v101, v171, -v76
	v_add_f32_e32 v119, v115, v116
	ds_read_b128 v[115:118], v74 offset:464
	v_add_f32_e32 v75, v75, v76
	v_mul_f32_e32 v76, v104, v174
	v_fma_f32 v76, v103, v173, -v76
	s_waitcnt vmcnt(28)
	v_mul_f32_e32 v120, v113, v184
	v_add_f32_e32 v75, v75, v76
	v_mul_f32_e32 v76, v106, v176
	v_fmac_f32_e32 v120, v114, v183
	v_fma_f32 v76, v105, v175, -v76
	v_add_f32_e32 v123, v119, v120
	ds_read_b128 v[119:122], v74 offset:480
	v_add_f32_e32 v75, v75, v76
	v_mul_f32_e32 v76, v108, v178
	s_waitcnt vmcnt(26) lgkmcnt(1)
	v_mul_f32_e32 v124, v115, v186
	v_fma_f32 v76, v107, v177, -v76
	v_fmac_f32_e32 v124, v116, v185
	v_add_f32_e32 v75, v75, v76
	v_mul_f32_e32 v76, v110, v180
	v_add_f32_e32 v123, v123, v124
	s_waitcnt vmcnt(24)
	v_mul_f32_e32 v124, v117, v188
	v_fma_f32 v76, v109, v179, -v76
	v_fmac_f32_e32 v124, v118, v187
	v_add_f32_e32 v75, v75, v76
	v_mul_f32_e32 v76, v112, v182
	v_add_f32_e32 v123, v123, v124
	s_waitcnt vmcnt(22) lgkmcnt(0)
	v_mul_f32_e32 v124, v119, v190
	v_fma_f32 v76, v111, v181, -v76
	v_fmac_f32_e32 v124, v120, v189
	v_add_f32_e32 v75, v75, v76
	v_mul_f32_e32 v76, v114, v184
	v_add_f32_e32 v127, v123, v124
	ds_read_b128 v[123:126], v74 offset:496
	v_fma_f32 v76, v113, v183, -v76
	v_add_f32_e32 v75, v75, v76
	v_mul_f32_e32 v76, v116, v186
	s_waitcnt vmcnt(20)
	v_mul_f32_e32 v128, v121, v192
	v_fma_f32 v76, v115, v185, -v76
	v_fmac_f32_e32 v128, v122, v191
	v_add_f32_e32 v75, v75, v76
	v_mul_f32_e32 v76, v118, v188
	v_add_f32_e32 v131, v127, v128
	ds_read_b128 v[127:130], v74 offset:512
	v_fma_f32 v76, v117, v187, -v76
	s_waitcnt vmcnt(18) lgkmcnt(1)
	v_mul_f32_e32 v132, v123, v194
	v_add_f32_e32 v75, v75, v76
	v_mul_f32_e32 v76, v120, v190
	v_fmac_f32_e32 v132, v124, v193
	v_fma_f32 v76, v119, v189, -v76
	v_add_f32_e32 v131, v131, v132
	s_waitcnt vmcnt(16)
	v_mul_f32_e32 v132, v125, v196
	v_add_f32_e32 v75, v75, v76
	v_mul_f32_e32 v76, v122, v192
	v_fmac_f32_e32 v132, v126, v195
	v_fma_f32 v76, v121, v191, -v76
	v_add_f32_e32 v131, v131, v132
	s_waitcnt vmcnt(14) lgkmcnt(0)
	v_mul_f32_e32 v132, v127, v198
	v_add_f32_e32 v75, v75, v76
	v_mul_f32_e32 v76, v124, v194
	v_fmac_f32_e32 v132, v128, v197
	v_fma_f32 v76, v123, v193, -v76
	v_add_f32_e32 v135, v131, v132
	ds_read_b128 v[131:134], v74 offset:528
	v_add_f32_e32 v75, v75, v76
	v_mul_f32_e32 v76, v126, v196
	v_fma_f32 v76, v125, v195, -v76
	v_add_f32_e32 v75, v75, v76
	v_mul_f32_e32 v76, v128, v198
	s_waitcnt vmcnt(12)
	v_mul_f32_e32 v136, v129, v200
	v_fma_f32 v76, v127, v197, -v76
	v_fmac_f32_e32 v136, v130, v199
	v_add_f32_e32 v75, v75, v76
	v_mul_f32_e32 v76, v130, v200
	v_add_f32_e32 v139, v135, v136
	ds_read_b128 v[135:138], v74 offset:544
	s_waitcnt vmcnt(10) lgkmcnt(1)
	v_mul_f32_e32 v140, v131, v202
	v_fma_f32 v76, v129, v199, -v76
	v_fmac_f32_e32 v140, v132, v201
	v_add_f32_e32 v75, v75, v76
	v_mul_f32_e32 v76, v132, v202
	v_add_f32_e32 v139, v139, v140
	s_waitcnt vmcnt(9)
	v_mul_f32_e32 v140, v133, v203
	v_fma_f32 v76, v131, v201, -v76
	s_waitcnt vmcnt(8)
	v_fmac_f32_e32 v140, v134, v204
	v_add_f32_e32 v75, v75, v76
	v_mul_f32_e32 v76, v134, v203
	v_add_f32_e32 v213, v139, v140
	ds_read_b128 v[139:142], v74 offset:560
	v_fma_f32 v76, v133, v204, -v76
	v_add_f32_e32 v75, v75, v76
	s_waitcnt vmcnt(6) lgkmcnt(1)
	v_mul_f32_e32 v76, v136, v206
	v_mul_f32_e32 v214, v135, v206
	v_fma_f32 v76, v135, v205, -v76
	v_fmac_f32_e32 v214, v136, v205
	v_add_f32_e32 v75, v75, v76
	s_waitcnt vmcnt(4)
	v_mul_f32_e32 v76, v138, v208
	v_add_f32_e32 v74, v213, v214
	v_mul_f32_e32 v213, v137, v208
	v_fma_f32 v76, v137, v207, -v76
	v_fmac_f32_e32 v213, v138, v207
	v_add_f32_e32 v75, v75, v76
	s_waitcnt vmcnt(3) lgkmcnt(0)
	v_mul_f32_e32 v76, v140, v209
	v_add_f32_e32 v74, v74, v213
	v_mul_f32_e32 v213, v139, v209
	s_waitcnt vmcnt(2)
	v_fma_f32 v76, v139, v210, -v76
	v_fmac_f32_e32 v213, v140, v210
	v_add_f32_e32 v75, v75, v76
	s_waitcnt vmcnt(0)
	v_mul_f32_e32 v76, v142, v212
	v_add_f32_e32 v74, v74, v213
	v_mul_f32_e32 v213, v141, v212
	v_fma_f32 v76, v141, v211, -v76
	v_fmac_f32_e32 v213, v142, v211
	v_add_f32_e32 v75, v75, v76
	v_add_f32_e32 v74, v74, v213
	v_sub_f32_e32 v75, v163, v75
	v_sub_f32_e32 v74, v164, v74
	buffer_store_dword v75, off, s[0:3], 0 offset:8
	buffer_store_dword v74, off, s[0:3], 0 offset:12
	s_and_saveexec_b64 s[4:5], vcc
	s_cbranch_execz .LBB35_229
; %bb.228:
	buffer_load_dword v74, off, s[0:3], 0
	buffer_load_dword v75, off, s[0:3], 0 offset:4
	v_mov_b32_e32 v0, 0
	buffer_store_dword v0, off, s[0:3], 0
	buffer_store_dword v0, off, s[0:3], 0 offset:4
	s_waitcnt vmcnt(2)
	ds_write_b64 v73, v[74:75]
.LBB35_229:
	s_or_b64 exec, exec, s[4:5]
	s_waitcnt lgkmcnt(0)
	; wave barrier
	buffer_load_dword v143, off, s[0:3], 0 offset:12
	buffer_load_dword v144, off, s[0:3], 0 offset:20
	;; [unrolled: 1-line block ×21, first 2 shown]
	buffer_load_dword v164, off, s[0:3], 0
	buffer_load_dword v165, off, s[0:3], 0 offset:4
	buffer_load_dword v166, off, s[0:3], 0 offset:88
	;; [unrolled: 1-line block ×34, first 2 shown]
	v_mov_b32_e32 v0, 0
	ds_read2_b64 v[73:76], v0 offset0:37 offset1:38
	ds_read2_b64 v[77:80], v0 offset0:39 offset1:40
	;; [unrolled: 1-line block ×6, first 2 shown]
	buffer_load_dword v199, off, s[0:3], 0 offset:224
	buffer_load_dword v200, off, s[0:3], 0 offset:228
	;; [unrolled: 1-line block ×12, first 2 shown]
	s_and_b64 vcc, exec, s[22:23]
	s_waitcnt vmcnt(62) lgkmcnt(5)
	v_mul_f32_e32 v97, v73, v143
	v_mul_f32_e32 v98, v75, v144
	s_waitcnt lgkmcnt(4)
	v_mul_f32_e32 v99, v77, v145
	v_mul_f32_e32 v100, v79, v146
	s_waitcnt lgkmcnt(3)
	v_mul_f32_e32 v101, v81, v147
	v_mul_f32_e32 v102, v83, v148
	s_waitcnt vmcnt(61) lgkmcnt(2)
	v_mul_f32_e32 v103, v85, v149
	s_waitcnt vmcnt(60)
	v_mul_f32_e32 v104, v87, v150
	s_waitcnt vmcnt(59) lgkmcnt(1)
	v_mul_f32_e32 v105, v89, v151
	s_waitcnt vmcnt(58)
	v_fmac_f32_e32 v97, v74, v152
	s_waitcnt vmcnt(57)
	v_fmac_f32_e32 v98, v76, v153
	v_add_f32_e32 v97, 0, v97
	s_waitcnt vmcnt(56)
	v_fmac_f32_e32 v99, v78, v154
	v_add_f32_e32 v97, v97, v98
	s_waitcnt vmcnt(55)
	v_fmac_f32_e32 v100, v80, v155
	v_add_f32_e32 v97, v97, v99
	s_waitcnt vmcnt(54)
	v_fmac_f32_e32 v101, v82, v156
	v_add_f32_e32 v97, v97, v100
	s_waitcnt vmcnt(53)
	v_fmac_f32_e32 v102, v84, v157
	v_add_f32_e32 v97, v97, v101
	s_waitcnt vmcnt(52)
	v_fmac_f32_e32 v103, v86, v158
	v_add_f32_e32 v97, v97, v102
	s_waitcnt vmcnt(51)
	v_fmac_f32_e32 v104, v88, v159
	v_add_f32_e32 v97, v97, v103
	v_add_f32_e32 v97, v97, v104
	s_waitcnt vmcnt(50)
	v_fmac_f32_e32 v105, v90, v160
	s_waitcnt vmcnt(49)
	v_mul_f32_e32 v98, v91, v161
	v_add_f32_e32 v97, v97, v105
	s_waitcnt vmcnt(48)
	v_fmac_f32_e32 v98, v92, v162
	v_add_f32_e32 v97, v97, v98
	s_waitcnt vmcnt(47) lgkmcnt(0)
	v_mul_f32_e32 v98, v93, v163
	s_waitcnt vmcnt(44)
	v_fmac_f32_e32 v98, v94, v166
	v_add_f32_e32 v101, v97, v98
	ds_read2_b64 v[97:100], v0 offset0:49 offset1:50
	buffer_load_dword v211, off, s[0:3], 0 offset:276
	buffer_load_dword v212, off, s[0:3], 0 offset:272
	;; [unrolled: 1-line block ×4, first 2 shown]
	v_mul_f32_e32 v74, v74, v143
	v_fma_f32 v73, v73, v152, -v74
	v_mul_f32_e32 v74, v76, v144
	v_add_f32_e32 v73, 0, v73
	v_fma_f32 v74, v75, v153, -v74
	v_add_f32_e32 v73, v73, v74
	v_mul_f32_e32 v74, v78, v145
	v_fma_f32 v74, v77, v154, -v74
	s_waitcnt vmcnt(46)
	v_mul_f32_e32 v102, v95, v168
	v_add_f32_e32 v73, v73, v74
	v_mul_f32_e32 v74, v80, v146
	v_fmac_f32_e32 v102, v96, v167
	v_fma_f32 v74, v79, v155, -v74
	v_add_f32_e32 v105, v101, v102
	ds_read2_b64 v[101:104], v0 offset0:51 offset1:52
	v_add_f32_e32 v73, v73, v74
	v_mul_f32_e32 v74, v82, v147
	s_waitcnt vmcnt(44) lgkmcnt(1)
	v_mul_f32_e32 v106, v97, v170
	v_fma_f32 v74, v81, v156, -v74
	v_fmac_f32_e32 v106, v98, v169
	v_add_f32_e32 v73, v73, v74
	v_mul_f32_e32 v74, v84, v148
	v_add_f32_e32 v105, v105, v106
	s_waitcnt vmcnt(42)
	v_mul_f32_e32 v106, v99, v172
	v_fma_f32 v74, v83, v157, -v74
	v_fmac_f32_e32 v106, v100, v171
	v_add_f32_e32 v73, v73, v74
	v_mul_f32_e32 v74, v86, v149
	v_add_f32_e32 v105, v105, v106
	s_waitcnt vmcnt(40) lgkmcnt(0)
	v_mul_f32_e32 v106, v101, v174
	v_fma_f32 v74, v85, v158, -v74
	v_fmac_f32_e32 v106, v102, v173
	v_add_f32_e32 v73, v73, v74
	v_mul_f32_e32 v74, v88, v150
	v_add_f32_e32 v109, v105, v106
	ds_read2_b64 v[105:108], v0 offset0:53 offset1:54
	v_fma_f32 v74, v87, v159, -v74
	v_add_f32_e32 v73, v73, v74
	v_mul_f32_e32 v74, v90, v151
	s_waitcnt vmcnt(38)
	v_mul_f32_e32 v110, v103, v176
	v_fma_f32 v74, v89, v160, -v74
	v_fmac_f32_e32 v110, v104, v175
	v_add_f32_e32 v73, v73, v74
	v_mul_f32_e32 v74, v92, v161
	v_add_f32_e32 v113, v109, v110
	ds_read2_b64 v[109:112], v0 offset0:55 offset1:56
	v_fma_f32 v74, v91, v162, -v74
	s_waitcnt vmcnt(36) lgkmcnt(1)
	v_mul_f32_e32 v114, v105, v178
	v_add_f32_e32 v73, v73, v74
	v_mul_f32_e32 v74, v94, v163
	v_fmac_f32_e32 v114, v106, v177
	v_fma_f32 v74, v93, v166, -v74
	v_add_f32_e32 v113, v113, v114
	s_waitcnt vmcnt(34)
	v_mul_f32_e32 v114, v107, v180
	v_add_f32_e32 v73, v73, v74
	v_mul_f32_e32 v74, v96, v168
	v_fmac_f32_e32 v114, v108, v179
	v_fma_f32 v74, v95, v167, -v74
	v_add_f32_e32 v113, v113, v114
	s_waitcnt vmcnt(32) lgkmcnt(0)
	v_mul_f32_e32 v114, v109, v182
	v_add_f32_e32 v73, v73, v74
	v_mul_f32_e32 v74, v98, v170
	v_fmac_f32_e32 v114, v110, v181
	v_fma_f32 v74, v97, v169, -v74
	v_add_f32_e32 v117, v113, v114
	ds_read2_b64 v[113:116], v0 offset0:57 offset1:58
	v_add_f32_e32 v73, v73, v74
	v_mul_f32_e32 v74, v100, v172
	v_fma_f32 v74, v99, v171, -v74
	s_waitcnt vmcnt(30)
	v_mul_f32_e32 v118, v111, v184
	v_add_f32_e32 v73, v73, v74
	v_mul_f32_e32 v74, v102, v174
	v_fmac_f32_e32 v118, v112, v183
	v_fma_f32 v74, v101, v173, -v74
	v_add_f32_e32 v121, v117, v118
	ds_read2_b64 v[117:120], v0 offset0:59 offset1:60
	v_add_f32_e32 v73, v73, v74
	v_mul_f32_e32 v74, v104, v176
	s_waitcnt vmcnt(28) lgkmcnt(1)
	v_mul_f32_e32 v122, v113, v186
	v_fma_f32 v74, v103, v175, -v74
	v_fmac_f32_e32 v122, v114, v185
	v_add_f32_e32 v73, v73, v74
	v_mul_f32_e32 v74, v106, v178
	v_add_f32_e32 v121, v121, v122
	s_waitcnt vmcnt(26)
	v_mul_f32_e32 v122, v115, v188
	v_fma_f32 v74, v105, v177, -v74
	v_fmac_f32_e32 v122, v116, v187
	v_add_f32_e32 v73, v73, v74
	v_mul_f32_e32 v74, v108, v180
	v_add_f32_e32 v121, v121, v122
	s_waitcnt vmcnt(24) lgkmcnt(0)
	v_mul_f32_e32 v122, v117, v190
	v_fma_f32 v74, v107, v179, -v74
	v_fmac_f32_e32 v122, v118, v189
	v_add_f32_e32 v73, v73, v74
	v_mul_f32_e32 v74, v110, v182
	v_add_f32_e32 v125, v121, v122
	ds_read2_b64 v[121:124], v0 offset0:61 offset1:62
	v_fma_f32 v74, v109, v181, -v74
	v_add_f32_e32 v73, v73, v74
	v_mul_f32_e32 v74, v112, v184
	s_waitcnt vmcnt(22)
	v_mul_f32_e32 v126, v119, v192
	v_fma_f32 v74, v111, v183, -v74
	v_fmac_f32_e32 v126, v120, v191
	v_add_f32_e32 v73, v73, v74
	v_mul_f32_e32 v74, v114, v186
	v_add_f32_e32 v129, v125, v126
	ds_read2_b64 v[125:128], v0 offset0:63 offset1:64
	v_fma_f32 v74, v113, v185, -v74
	s_waitcnt vmcnt(20) lgkmcnt(1)
	v_mul_f32_e32 v130, v121, v194
	v_add_f32_e32 v73, v73, v74
	v_mul_f32_e32 v74, v116, v188
	v_fmac_f32_e32 v130, v122, v193
	v_fma_f32 v74, v115, v187, -v74
	v_add_f32_e32 v129, v129, v130
	s_waitcnt vmcnt(18)
	v_mul_f32_e32 v130, v123, v196
	v_add_f32_e32 v73, v73, v74
	v_mul_f32_e32 v74, v118, v190
	v_fmac_f32_e32 v130, v124, v195
	v_fma_f32 v74, v117, v189, -v74
	v_add_f32_e32 v129, v129, v130
	s_waitcnt vmcnt(16) lgkmcnt(0)
	v_mul_f32_e32 v130, v125, v198
	v_add_f32_e32 v73, v73, v74
	v_mul_f32_e32 v74, v120, v192
	v_fmac_f32_e32 v130, v126, v197
	v_fma_f32 v74, v119, v191, -v74
	v_add_f32_e32 v133, v129, v130
	ds_read2_b64 v[129:132], v0 offset0:65 offset1:66
	v_add_f32_e32 v73, v73, v74
	v_mul_f32_e32 v74, v122, v194
	v_fma_f32 v74, v121, v193, -v74
	s_waitcnt vmcnt(14)
	v_mul_f32_e32 v134, v127, v200
	v_add_f32_e32 v73, v73, v74
	v_mul_f32_e32 v74, v124, v196
	v_fmac_f32_e32 v134, v128, v199
	v_fma_f32 v74, v123, v195, -v74
	v_add_f32_e32 v137, v133, v134
	ds_read2_b64 v[133:136], v0 offset0:67 offset1:68
	v_add_f32_e32 v73, v73, v74
	v_mul_f32_e32 v74, v126, v198
	s_waitcnt vmcnt(12) lgkmcnt(1)
	v_mul_f32_e32 v138, v129, v202
	v_fma_f32 v74, v125, v197, -v74
	v_fmac_f32_e32 v138, v130, v201
	v_add_f32_e32 v73, v73, v74
	v_mul_f32_e32 v74, v128, v200
	v_add_f32_e32 v137, v137, v138
	s_waitcnt vmcnt(11)
	v_mul_f32_e32 v138, v131, v203
	v_fma_f32 v74, v127, v199, -v74
	s_waitcnt vmcnt(10)
	v_fmac_f32_e32 v138, v132, v204
	v_add_f32_e32 v73, v73, v74
	v_mul_f32_e32 v74, v130, v202
	v_add_f32_e32 v137, v137, v138
	s_waitcnt vmcnt(8) lgkmcnt(0)
	v_mul_f32_e32 v138, v133, v206
	v_fma_f32 v74, v129, v201, -v74
	v_fmac_f32_e32 v138, v134, v205
	v_add_f32_e32 v73, v73, v74
	v_mul_f32_e32 v74, v132, v203
	v_add_f32_e32 v141, v137, v138
	ds_read2_b64 v[137:140], v0 offset0:69 offset1:70
	v_fma_f32 v74, v131, v204, -v74
	v_add_f32_e32 v73, v73, v74
	v_mul_f32_e32 v74, v134, v206
	s_waitcnt vmcnt(6)
	v_mul_f32_e32 v142, v135, v208
	v_fma_f32 v74, v133, v205, -v74
	v_fmac_f32_e32 v142, v136, v207
	v_add_f32_e32 v73, v73, v74
	v_mul_f32_e32 v74, v136, v208
	v_add_f32_e32 v215, v141, v142
	ds_read_b64 v[141:142], v0 offset:568
	v_fma_f32 v74, v135, v207, -v74
	v_add_f32_e32 v73, v73, v74
	s_waitcnt vmcnt(4) lgkmcnt(1)
	v_mul_f32_e32 v74, v138, v210
	v_mul_f32_e32 v216, v137, v210
	v_fma_f32 v74, v137, v209, -v74
	v_fmac_f32_e32 v216, v138, v209
	v_add_f32_e32 v73, v73, v74
	s_waitcnt vmcnt(3)
	v_mul_f32_e32 v74, v140, v211
	v_add_f32_e32 v215, v215, v216
	v_mul_f32_e32 v216, v139, v211
	s_waitcnt vmcnt(2)
	v_fma_f32 v74, v139, v212, -v74
	v_fmac_f32_e32 v216, v140, v212
	v_add_f32_e32 v73, v73, v74
	s_waitcnt vmcnt(0) lgkmcnt(0)
	v_mul_f32_e32 v74, v142, v214
	v_add_f32_e32 v215, v215, v216
	v_mul_f32_e32 v216, v141, v214
	v_fma_f32 v74, v141, v213, -v74
	v_fmac_f32_e32 v216, v142, v213
	v_add_f32_e32 v73, v73, v74
	v_add_f32_e32 v215, v215, v216
	v_sub_f32_e32 v73, v164, v73
	v_sub_f32_e32 v74, v165, v215
	buffer_store_dword v73, off, s[0:3], 0
	buffer_store_dword v74, off, s[0:3], 0 offset:4
	s_cbranch_vccz .LBB35_300
; %bb.230:
	global_load_dword v0, v0, s[20:21] offset:136
	s_waitcnt vmcnt(0)
	v_add_u32_e32 v0, -1, v0
	v_cmp_ne_u32_e32 vcc, 34, v0
	s_cbranch_vccz .LBB35_232
; %bb.231:
	v_lshlrev_b32_e32 v0, 3, v0
	buffer_load_dword v73, v0, s[0:3], 0 offen
	buffer_load_dword v74, v0, s[0:3], 0 offen offset:4
	buffer_load_dword v75, off, s[0:3], 0 offset:276
	buffer_load_dword v76, off, s[0:3], 0 offset:272
	s_waitcnt vmcnt(3)
	buffer_store_dword v73, off, s[0:3], 0 offset:272
	s_waitcnt vmcnt(3)
	buffer_store_dword v74, off, s[0:3], 0 offset:276
	s_waitcnt vmcnt(3)
	buffer_store_dword v75, v0, s[0:3], 0 offen offset:4
	s_waitcnt vmcnt(3)
	buffer_store_dword v76, v0, s[0:3], 0 offen
.LBB35_232:
	v_mov_b32_e32 v0, 0
	global_load_dword v73, v0, s[20:21] offset:132
	s_waitcnt vmcnt(0)
	v_add_u32_e32 v73, -1, v73
	v_cmp_eq_u32_e32 vcc, 33, v73
	s_cbranch_vccnz .LBB35_234
; %bb.233:
	v_lshlrev_b32_e32 v73, 3, v73
	buffer_load_dword v74, v73, s[0:3], 0 offen
	buffer_load_dword v75, v73, s[0:3], 0 offen offset:4
	buffer_load_dword v76, off, s[0:3], 0 offset:264
	buffer_load_dword v77, off, s[0:3], 0 offset:268
	s_waitcnt vmcnt(3)
	buffer_store_dword v74, off, s[0:3], 0 offset:264
	s_waitcnt vmcnt(3)
	buffer_store_dword v75, off, s[0:3], 0 offset:268
	s_waitcnt vmcnt(3)
	buffer_store_dword v76, v73, s[0:3], 0 offen
	s_waitcnt vmcnt(3)
	buffer_store_dword v77, v73, s[0:3], 0 offen offset:4
.LBB35_234:
	global_load_dword v0, v0, s[20:21] offset:128
	s_waitcnt vmcnt(0)
	v_add_u32_e32 v0, -1, v0
	v_cmp_eq_u32_e32 vcc, 32, v0
	s_cbranch_vccnz .LBB35_236
; %bb.235:
	v_lshlrev_b32_e32 v0, 3, v0
	buffer_load_dword v73, v0, s[0:3], 0 offen
	buffer_load_dword v74, v0, s[0:3], 0 offen offset:4
	buffer_load_dword v75, off, s[0:3], 0 offset:260
	buffer_load_dword v76, off, s[0:3], 0 offset:256
	s_waitcnt vmcnt(3)
	buffer_store_dword v73, off, s[0:3], 0 offset:256
	s_waitcnt vmcnt(3)
	buffer_store_dword v74, off, s[0:3], 0 offset:260
	s_waitcnt vmcnt(3)
	buffer_store_dword v75, v0, s[0:3], 0 offen offset:4
	s_waitcnt vmcnt(3)
	buffer_store_dword v76, v0, s[0:3], 0 offen
.LBB35_236:
	v_mov_b32_e32 v0, 0
	global_load_dword v73, v0, s[20:21] offset:124
	s_waitcnt vmcnt(0)
	v_add_u32_e32 v73, -1, v73
	v_cmp_eq_u32_e32 vcc, 31, v73
	s_cbranch_vccnz .LBB35_238
; %bb.237:
	v_lshlrev_b32_e32 v73, 3, v73
	buffer_load_dword v74, v73, s[0:3], 0 offen
	buffer_load_dword v75, v73, s[0:3], 0 offen offset:4
	buffer_load_dword v76, off, s[0:3], 0 offset:248
	buffer_load_dword v77, off, s[0:3], 0 offset:252
	s_waitcnt vmcnt(3)
	buffer_store_dword v74, off, s[0:3], 0 offset:248
	s_waitcnt vmcnt(3)
	buffer_store_dword v75, off, s[0:3], 0 offset:252
	s_waitcnt vmcnt(3)
	buffer_store_dword v76, v73, s[0:3], 0 offen
	s_waitcnt vmcnt(3)
	buffer_store_dword v77, v73, s[0:3], 0 offen offset:4
.LBB35_238:
	global_load_dword v0, v0, s[20:21] offset:120
	s_waitcnt vmcnt(0)
	v_add_u32_e32 v0, -1, v0
	v_cmp_eq_u32_e32 vcc, 30, v0
	s_cbranch_vccnz .LBB35_240
; %bb.239:
	v_lshlrev_b32_e32 v0, 3, v0
	buffer_load_dword v73, v0, s[0:3], 0 offen
	buffer_load_dword v74, v0, s[0:3], 0 offen offset:4
	buffer_load_dword v75, off, s[0:3], 0 offset:244
	buffer_load_dword v76, off, s[0:3], 0 offset:240
	s_waitcnt vmcnt(3)
	buffer_store_dword v73, off, s[0:3], 0 offset:240
	s_waitcnt vmcnt(3)
	buffer_store_dword v74, off, s[0:3], 0 offset:244
	s_waitcnt vmcnt(3)
	buffer_store_dword v75, v0, s[0:3], 0 offen offset:4
	s_waitcnt vmcnt(3)
	buffer_store_dword v76, v0, s[0:3], 0 offen
.LBB35_240:
	v_mov_b32_e32 v0, 0
	global_load_dword v73, v0, s[20:21] offset:116
	s_waitcnt vmcnt(0)
	v_add_u32_e32 v73, -1, v73
	v_cmp_eq_u32_e32 vcc, 29, v73
	s_cbranch_vccnz .LBB35_242
; %bb.241:
	v_lshlrev_b32_e32 v73, 3, v73
	buffer_load_dword v74, v73, s[0:3], 0 offen
	buffer_load_dword v75, v73, s[0:3], 0 offen offset:4
	buffer_load_dword v76, off, s[0:3], 0 offset:232
	buffer_load_dword v77, off, s[0:3], 0 offset:236
	s_waitcnt vmcnt(3)
	buffer_store_dword v74, off, s[0:3], 0 offset:232
	s_waitcnt vmcnt(3)
	buffer_store_dword v75, off, s[0:3], 0 offset:236
	s_waitcnt vmcnt(3)
	buffer_store_dword v76, v73, s[0:3], 0 offen
	s_waitcnt vmcnt(3)
	buffer_store_dword v77, v73, s[0:3], 0 offen offset:4
.LBB35_242:
	global_load_dword v0, v0, s[20:21] offset:112
	s_waitcnt vmcnt(0)
	v_add_u32_e32 v0, -1, v0
	v_cmp_eq_u32_e32 vcc, 28, v0
	s_cbranch_vccnz .LBB35_244
; %bb.243:
	v_lshlrev_b32_e32 v0, 3, v0
	buffer_load_dword v73, v0, s[0:3], 0 offen
	buffer_load_dword v74, v0, s[0:3], 0 offen offset:4
	buffer_load_dword v75, off, s[0:3], 0 offset:228
	buffer_load_dword v76, off, s[0:3], 0 offset:224
	s_waitcnt vmcnt(3)
	buffer_store_dword v73, off, s[0:3], 0 offset:224
	s_waitcnt vmcnt(3)
	buffer_store_dword v74, off, s[0:3], 0 offset:228
	s_waitcnt vmcnt(3)
	buffer_store_dword v75, v0, s[0:3], 0 offen offset:4
	s_waitcnt vmcnt(3)
	buffer_store_dword v76, v0, s[0:3], 0 offen
.LBB35_244:
	v_mov_b32_e32 v0, 0
	global_load_dword v73, v0, s[20:21] offset:108
	s_waitcnt vmcnt(0)
	v_add_u32_e32 v73, -1, v73
	v_cmp_eq_u32_e32 vcc, 27, v73
	s_cbranch_vccnz .LBB35_246
; %bb.245:
	v_lshlrev_b32_e32 v73, 3, v73
	buffer_load_dword v74, v73, s[0:3], 0 offen
	buffer_load_dword v75, v73, s[0:3], 0 offen offset:4
	buffer_load_dword v76, off, s[0:3], 0 offset:216
	buffer_load_dword v77, off, s[0:3], 0 offset:220
	s_waitcnt vmcnt(3)
	buffer_store_dword v74, off, s[0:3], 0 offset:216
	s_waitcnt vmcnt(3)
	buffer_store_dword v75, off, s[0:3], 0 offset:220
	s_waitcnt vmcnt(3)
	buffer_store_dword v76, v73, s[0:3], 0 offen
	s_waitcnt vmcnt(3)
	buffer_store_dword v77, v73, s[0:3], 0 offen offset:4
.LBB35_246:
	global_load_dword v0, v0, s[20:21] offset:104
	s_waitcnt vmcnt(0)
	v_add_u32_e32 v0, -1, v0
	v_cmp_eq_u32_e32 vcc, 26, v0
	s_cbranch_vccnz .LBB35_248
; %bb.247:
	v_lshlrev_b32_e32 v0, 3, v0
	buffer_load_dword v73, v0, s[0:3], 0 offen
	buffer_load_dword v74, v0, s[0:3], 0 offen offset:4
	buffer_load_dword v75, off, s[0:3], 0 offset:212
	buffer_load_dword v76, off, s[0:3], 0 offset:208
	s_waitcnt vmcnt(3)
	buffer_store_dword v73, off, s[0:3], 0 offset:208
	s_waitcnt vmcnt(3)
	buffer_store_dword v74, off, s[0:3], 0 offset:212
	s_waitcnt vmcnt(3)
	buffer_store_dword v75, v0, s[0:3], 0 offen offset:4
	s_waitcnt vmcnt(3)
	buffer_store_dword v76, v0, s[0:3], 0 offen
.LBB35_248:
	v_mov_b32_e32 v0, 0
	global_load_dword v73, v0, s[20:21] offset:100
	s_waitcnt vmcnt(0)
	v_add_u32_e32 v73, -1, v73
	v_cmp_eq_u32_e32 vcc, 25, v73
	s_cbranch_vccnz .LBB35_250
; %bb.249:
	v_lshlrev_b32_e32 v73, 3, v73
	buffer_load_dword v74, v73, s[0:3], 0 offen
	buffer_load_dword v75, v73, s[0:3], 0 offen offset:4
	buffer_load_dword v76, off, s[0:3], 0 offset:200
	buffer_load_dword v77, off, s[0:3], 0 offset:204
	s_waitcnt vmcnt(3)
	buffer_store_dword v74, off, s[0:3], 0 offset:200
	s_waitcnt vmcnt(3)
	buffer_store_dword v75, off, s[0:3], 0 offset:204
	s_waitcnt vmcnt(3)
	buffer_store_dword v76, v73, s[0:3], 0 offen
	s_waitcnt vmcnt(3)
	buffer_store_dword v77, v73, s[0:3], 0 offen offset:4
.LBB35_250:
	global_load_dword v0, v0, s[20:21] offset:96
	s_waitcnt vmcnt(0)
	v_add_u32_e32 v0, -1, v0
	v_cmp_eq_u32_e32 vcc, 24, v0
	s_cbranch_vccnz .LBB35_252
; %bb.251:
	v_lshlrev_b32_e32 v0, 3, v0
	buffer_load_dword v73, v0, s[0:3], 0 offen
	buffer_load_dword v74, v0, s[0:3], 0 offen offset:4
	buffer_load_dword v75, off, s[0:3], 0 offset:196
	buffer_load_dword v76, off, s[0:3], 0 offset:192
	s_waitcnt vmcnt(3)
	buffer_store_dword v73, off, s[0:3], 0 offset:192
	s_waitcnt vmcnt(3)
	buffer_store_dword v74, off, s[0:3], 0 offset:196
	s_waitcnt vmcnt(3)
	buffer_store_dword v75, v0, s[0:3], 0 offen offset:4
	s_waitcnt vmcnt(3)
	buffer_store_dword v76, v0, s[0:3], 0 offen
.LBB35_252:
	v_mov_b32_e32 v0, 0
	global_load_dword v73, v0, s[20:21] offset:92
	s_waitcnt vmcnt(0)
	v_add_u32_e32 v73, -1, v73
	v_cmp_eq_u32_e32 vcc, 23, v73
	s_cbranch_vccnz .LBB35_254
; %bb.253:
	v_lshlrev_b32_e32 v73, 3, v73
	buffer_load_dword v74, v73, s[0:3], 0 offen
	buffer_load_dword v75, v73, s[0:3], 0 offen offset:4
	buffer_load_dword v76, off, s[0:3], 0 offset:184
	buffer_load_dword v77, off, s[0:3], 0 offset:188
	s_waitcnt vmcnt(3)
	buffer_store_dword v74, off, s[0:3], 0 offset:184
	s_waitcnt vmcnt(3)
	buffer_store_dword v75, off, s[0:3], 0 offset:188
	s_waitcnt vmcnt(3)
	buffer_store_dword v76, v73, s[0:3], 0 offen
	s_waitcnt vmcnt(3)
	buffer_store_dword v77, v73, s[0:3], 0 offen offset:4
.LBB35_254:
	global_load_dword v0, v0, s[20:21] offset:88
	s_waitcnt vmcnt(0)
	v_add_u32_e32 v0, -1, v0
	v_cmp_eq_u32_e32 vcc, 22, v0
	s_cbranch_vccnz .LBB35_256
; %bb.255:
	v_lshlrev_b32_e32 v0, 3, v0
	buffer_load_dword v73, v0, s[0:3], 0 offen
	buffer_load_dword v74, v0, s[0:3], 0 offen offset:4
	buffer_load_dword v75, off, s[0:3], 0 offset:180
	buffer_load_dword v76, off, s[0:3], 0 offset:176
	s_waitcnt vmcnt(3)
	buffer_store_dword v73, off, s[0:3], 0 offset:176
	s_waitcnt vmcnt(3)
	buffer_store_dword v74, off, s[0:3], 0 offset:180
	s_waitcnt vmcnt(3)
	buffer_store_dword v75, v0, s[0:3], 0 offen offset:4
	s_waitcnt vmcnt(3)
	buffer_store_dword v76, v0, s[0:3], 0 offen
.LBB35_256:
	v_mov_b32_e32 v0, 0
	global_load_dword v73, v0, s[20:21] offset:84
	s_waitcnt vmcnt(0)
	v_add_u32_e32 v73, -1, v73
	v_cmp_eq_u32_e32 vcc, 21, v73
	s_cbranch_vccnz .LBB35_258
; %bb.257:
	v_lshlrev_b32_e32 v73, 3, v73
	buffer_load_dword v74, v73, s[0:3], 0 offen
	buffer_load_dword v75, v73, s[0:3], 0 offen offset:4
	buffer_load_dword v76, off, s[0:3], 0 offset:168
	buffer_load_dword v77, off, s[0:3], 0 offset:172
	s_waitcnt vmcnt(3)
	buffer_store_dword v74, off, s[0:3], 0 offset:168
	s_waitcnt vmcnt(3)
	buffer_store_dword v75, off, s[0:3], 0 offset:172
	s_waitcnt vmcnt(3)
	buffer_store_dword v76, v73, s[0:3], 0 offen
	s_waitcnt vmcnt(3)
	buffer_store_dword v77, v73, s[0:3], 0 offen offset:4
.LBB35_258:
	global_load_dword v0, v0, s[20:21] offset:80
	s_waitcnt vmcnt(0)
	v_add_u32_e32 v0, -1, v0
	v_cmp_eq_u32_e32 vcc, 20, v0
	s_cbranch_vccnz .LBB35_260
; %bb.259:
	v_lshlrev_b32_e32 v0, 3, v0
	buffer_load_dword v73, v0, s[0:3], 0 offen
	buffer_load_dword v74, v0, s[0:3], 0 offen offset:4
	buffer_load_dword v75, off, s[0:3], 0 offset:164
	buffer_load_dword v76, off, s[0:3], 0 offset:160
	s_waitcnt vmcnt(3)
	buffer_store_dword v73, off, s[0:3], 0 offset:160
	s_waitcnt vmcnt(3)
	buffer_store_dword v74, off, s[0:3], 0 offset:164
	s_waitcnt vmcnt(3)
	buffer_store_dword v75, v0, s[0:3], 0 offen offset:4
	s_waitcnt vmcnt(3)
	buffer_store_dword v76, v0, s[0:3], 0 offen
.LBB35_260:
	v_mov_b32_e32 v0, 0
	global_load_dword v73, v0, s[20:21] offset:76
	s_waitcnt vmcnt(0)
	v_add_u32_e32 v73, -1, v73
	v_cmp_eq_u32_e32 vcc, 19, v73
	s_cbranch_vccnz .LBB35_262
; %bb.261:
	v_lshlrev_b32_e32 v73, 3, v73
	buffer_load_dword v74, v73, s[0:3], 0 offen
	buffer_load_dword v75, v73, s[0:3], 0 offen offset:4
	buffer_load_dword v76, off, s[0:3], 0 offset:152
	buffer_load_dword v77, off, s[0:3], 0 offset:156
	s_waitcnt vmcnt(3)
	buffer_store_dword v74, off, s[0:3], 0 offset:152
	s_waitcnt vmcnt(3)
	buffer_store_dword v75, off, s[0:3], 0 offset:156
	s_waitcnt vmcnt(3)
	buffer_store_dword v76, v73, s[0:3], 0 offen
	s_waitcnt vmcnt(3)
	buffer_store_dword v77, v73, s[0:3], 0 offen offset:4
.LBB35_262:
	global_load_dword v0, v0, s[20:21] offset:72
	s_waitcnt vmcnt(0)
	v_add_u32_e32 v0, -1, v0
	v_cmp_eq_u32_e32 vcc, 18, v0
	s_cbranch_vccnz .LBB35_264
; %bb.263:
	v_lshlrev_b32_e32 v0, 3, v0
	buffer_load_dword v73, v0, s[0:3], 0 offen
	buffer_load_dword v74, v0, s[0:3], 0 offen offset:4
	buffer_load_dword v75, off, s[0:3], 0 offset:148
	buffer_load_dword v76, off, s[0:3], 0 offset:144
	s_waitcnt vmcnt(3)
	buffer_store_dword v73, off, s[0:3], 0 offset:144
	s_waitcnt vmcnt(3)
	buffer_store_dword v74, off, s[0:3], 0 offset:148
	s_waitcnt vmcnt(3)
	buffer_store_dword v75, v0, s[0:3], 0 offen offset:4
	s_waitcnt vmcnt(3)
	buffer_store_dword v76, v0, s[0:3], 0 offen
.LBB35_264:
	v_mov_b32_e32 v0, 0
	global_load_dword v73, v0, s[20:21] offset:68
	s_waitcnt vmcnt(0)
	v_add_u32_e32 v73, -1, v73
	v_cmp_eq_u32_e32 vcc, 17, v73
	s_cbranch_vccnz .LBB35_266
; %bb.265:
	v_lshlrev_b32_e32 v73, 3, v73
	buffer_load_dword v74, v73, s[0:3], 0 offen
	buffer_load_dword v75, v73, s[0:3], 0 offen offset:4
	buffer_load_dword v76, off, s[0:3], 0 offset:136
	buffer_load_dword v77, off, s[0:3], 0 offset:140
	s_waitcnt vmcnt(3)
	buffer_store_dword v74, off, s[0:3], 0 offset:136
	s_waitcnt vmcnt(3)
	buffer_store_dword v75, off, s[0:3], 0 offset:140
	s_waitcnt vmcnt(3)
	buffer_store_dword v76, v73, s[0:3], 0 offen
	s_waitcnt vmcnt(3)
	buffer_store_dword v77, v73, s[0:3], 0 offen offset:4
.LBB35_266:
	global_load_dword v0, v0, s[20:21] offset:64
	s_waitcnt vmcnt(0)
	v_add_u32_e32 v0, -1, v0
	v_cmp_eq_u32_e32 vcc, 16, v0
	s_cbranch_vccnz .LBB35_268
; %bb.267:
	v_lshlrev_b32_e32 v0, 3, v0
	buffer_load_dword v73, v0, s[0:3], 0 offen
	buffer_load_dword v74, v0, s[0:3], 0 offen offset:4
	buffer_load_dword v75, off, s[0:3], 0 offset:132
	buffer_load_dword v76, off, s[0:3], 0 offset:128
	s_waitcnt vmcnt(3)
	buffer_store_dword v73, off, s[0:3], 0 offset:128
	s_waitcnt vmcnt(3)
	buffer_store_dword v74, off, s[0:3], 0 offset:132
	s_waitcnt vmcnt(3)
	buffer_store_dword v75, v0, s[0:3], 0 offen offset:4
	s_waitcnt vmcnt(3)
	buffer_store_dword v76, v0, s[0:3], 0 offen
.LBB35_268:
	v_mov_b32_e32 v0, 0
	global_load_dword v73, v0, s[20:21] offset:60
	s_waitcnt vmcnt(0)
	v_add_u32_e32 v73, -1, v73
	v_cmp_eq_u32_e32 vcc, 15, v73
	s_cbranch_vccnz .LBB35_270
; %bb.269:
	v_lshlrev_b32_e32 v73, 3, v73
	buffer_load_dword v74, v73, s[0:3], 0 offen
	buffer_load_dword v75, v73, s[0:3], 0 offen offset:4
	buffer_load_dword v76, off, s[0:3], 0 offset:120
	buffer_load_dword v77, off, s[0:3], 0 offset:124
	s_waitcnt vmcnt(3)
	buffer_store_dword v74, off, s[0:3], 0 offset:120
	s_waitcnt vmcnt(3)
	buffer_store_dword v75, off, s[0:3], 0 offset:124
	s_waitcnt vmcnt(3)
	buffer_store_dword v76, v73, s[0:3], 0 offen
	s_waitcnt vmcnt(3)
	buffer_store_dword v77, v73, s[0:3], 0 offen offset:4
.LBB35_270:
	global_load_dword v0, v0, s[20:21] offset:56
	s_waitcnt vmcnt(0)
	v_add_u32_e32 v0, -1, v0
	v_cmp_eq_u32_e32 vcc, 14, v0
	s_cbranch_vccnz .LBB35_272
; %bb.271:
	v_lshlrev_b32_e32 v0, 3, v0
	buffer_load_dword v73, v0, s[0:3], 0 offen
	buffer_load_dword v74, v0, s[0:3], 0 offen offset:4
	buffer_load_dword v75, off, s[0:3], 0 offset:116
	buffer_load_dword v76, off, s[0:3], 0 offset:112
	s_waitcnt vmcnt(3)
	buffer_store_dword v73, off, s[0:3], 0 offset:112
	s_waitcnt vmcnt(3)
	buffer_store_dword v74, off, s[0:3], 0 offset:116
	s_waitcnt vmcnt(3)
	buffer_store_dword v75, v0, s[0:3], 0 offen offset:4
	s_waitcnt vmcnt(3)
	buffer_store_dword v76, v0, s[0:3], 0 offen
.LBB35_272:
	v_mov_b32_e32 v0, 0
	global_load_dword v73, v0, s[20:21] offset:52
	s_waitcnt vmcnt(0)
	v_add_u32_e32 v73, -1, v73
	v_cmp_eq_u32_e32 vcc, 13, v73
	s_cbranch_vccnz .LBB35_274
; %bb.273:
	v_lshlrev_b32_e32 v73, 3, v73
	buffer_load_dword v74, v73, s[0:3], 0 offen
	buffer_load_dword v75, v73, s[0:3], 0 offen offset:4
	buffer_load_dword v76, off, s[0:3], 0 offset:104
	buffer_load_dword v77, off, s[0:3], 0 offset:108
	s_waitcnt vmcnt(3)
	buffer_store_dword v74, off, s[0:3], 0 offset:104
	s_waitcnt vmcnt(3)
	buffer_store_dword v75, off, s[0:3], 0 offset:108
	s_waitcnt vmcnt(3)
	buffer_store_dword v76, v73, s[0:3], 0 offen
	s_waitcnt vmcnt(3)
	buffer_store_dword v77, v73, s[0:3], 0 offen offset:4
.LBB35_274:
	global_load_dword v0, v0, s[20:21] offset:48
	s_waitcnt vmcnt(0)
	v_add_u32_e32 v0, -1, v0
	v_cmp_eq_u32_e32 vcc, 12, v0
	s_cbranch_vccnz .LBB35_276
; %bb.275:
	v_lshlrev_b32_e32 v0, 3, v0
	buffer_load_dword v73, v0, s[0:3], 0 offen
	buffer_load_dword v74, v0, s[0:3], 0 offen offset:4
	buffer_load_dword v75, off, s[0:3], 0 offset:100
	buffer_load_dword v76, off, s[0:3], 0 offset:96
	s_waitcnt vmcnt(3)
	buffer_store_dword v73, off, s[0:3], 0 offset:96
	s_waitcnt vmcnt(3)
	buffer_store_dword v74, off, s[0:3], 0 offset:100
	s_waitcnt vmcnt(3)
	buffer_store_dword v75, v0, s[0:3], 0 offen offset:4
	s_waitcnt vmcnt(3)
	buffer_store_dword v76, v0, s[0:3], 0 offen
.LBB35_276:
	v_mov_b32_e32 v0, 0
	global_load_dword v73, v0, s[20:21] offset:44
	s_waitcnt vmcnt(0)
	v_add_u32_e32 v73, -1, v73
	v_cmp_eq_u32_e32 vcc, 11, v73
	s_cbranch_vccnz .LBB35_278
; %bb.277:
	v_lshlrev_b32_e32 v73, 3, v73
	buffer_load_dword v74, v73, s[0:3], 0 offen
	buffer_load_dword v75, v73, s[0:3], 0 offen offset:4
	buffer_load_dword v76, off, s[0:3], 0 offset:88
	buffer_load_dword v77, off, s[0:3], 0 offset:92
	s_waitcnt vmcnt(3)
	buffer_store_dword v74, off, s[0:3], 0 offset:88
	s_waitcnt vmcnt(3)
	buffer_store_dword v75, off, s[0:3], 0 offset:92
	s_waitcnt vmcnt(3)
	buffer_store_dword v76, v73, s[0:3], 0 offen
	s_waitcnt vmcnt(3)
	buffer_store_dword v77, v73, s[0:3], 0 offen offset:4
.LBB35_278:
	global_load_dword v0, v0, s[20:21] offset:40
	s_waitcnt vmcnt(0)
	v_add_u32_e32 v0, -1, v0
	v_cmp_eq_u32_e32 vcc, 10, v0
	s_cbranch_vccnz .LBB35_280
; %bb.279:
	v_lshlrev_b32_e32 v0, 3, v0
	buffer_load_dword v73, v0, s[0:3], 0 offen
	buffer_load_dword v74, v0, s[0:3], 0 offen offset:4
	buffer_load_dword v75, off, s[0:3], 0 offset:84
	buffer_load_dword v76, off, s[0:3], 0 offset:80
	s_waitcnt vmcnt(3)
	buffer_store_dword v73, off, s[0:3], 0 offset:80
	s_waitcnt vmcnt(3)
	buffer_store_dword v74, off, s[0:3], 0 offset:84
	s_waitcnt vmcnt(3)
	buffer_store_dword v75, v0, s[0:3], 0 offen offset:4
	s_waitcnt vmcnt(3)
	buffer_store_dword v76, v0, s[0:3], 0 offen
.LBB35_280:
	v_mov_b32_e32 v0, 0
	global_load_dword v73, v0, s[20:21] offset:36
	s_waitcnt vmcnt(0)
	v_add_u32_e32 v73, -1, v73
	v_cmp_eq_u32_e32 vcc, 9, v73
	s_cbranch_vccnz .LBB35_282
; %bb.281:
	v_lshlrev_b32_e32 v73, 3, v73
	buffer_load_dword v74, v73, s[0:3], 0 offen
	buffer_load_dword v75, v73, s[0:3], 0 offen offset:4
	buffer_load_dword v76, off, s[0:3], 0 offset:72
	buffer_load_dword v77, off, s[0:3], 0 offset:76
	s_waitcnt vmcnt(3)
	buffer_store_dword v74, off, s[0:3], 0 offset:72
	s_waitcnt vmcnt(3)
	buffer_store_dword v75, off, s[0:3], 0 offset:76
	s_waitcnt vmcnt(3)
	buffer_store_dword v76, v73, s[0:3], 0 offen
	s_waitcnt vmcnt(3)
	buffer_store_dword v77, v73, s[0:3], 0 offen offset:4
.LBB35_282:
	global_load_dword v0, v0, s[20:21] offset:32
	s_waitcnt vmcnt(0)
	v_add_u32_e32 v0, -1, v0
	v_cmp_eq_u32_e32 vcc, 8, v0
	s_cbranch_vccnz .LBB35_284
; %bb.283:
	v_lshlrev_b32_e32 v0, 3, v0
	buffer_load_dword v73, v0, s[0:3], 0 offen
	buffer_load_dword v74, v0, s[0:3], 0 offen offset:4
	buffer_load_dword v75, off, s[0:3], 0 offset:68
	buffer_load_dword v76, off, s[0:3], 0 offset:64
	s_waitcnt vmcnt(3)
	buffer_store_dword v73, off, s[0:3], 0 offset:64
	s_waitcnt vmcnt(3)
	buffer_store_dword v74, off, s[0:3], 0 offset:68
	s_waitcnt vmcnt(3)
	buffer_store_dword v75, v0, s[0:3], 0 offen offset:4
	s_waitcnt vmcnt(3)
	buffer_store_dword v76, v0, s[0:3], 0 offen
.LBB35_284:
	v_mov_b32_e32 v0, 0
	global_load_dword v73, v0, s[20:21] offset:28
	s_waitcnt vmcnt(0)
	v_add_u32_e32 v73, -1, v73
	v_cmp_eq_u32_e32 vcc, 7, v73
	s_cbranch_vccnz .LBB35_286
; %bb.285:
	v_lshlrev_b32_e32 v73, 3, v73
	buffer_load_dword v74, v73, s[0:3], 0 offen
	buffer_load_dword v75, v73, s[0:3], 0 offen offset:4
	buffer_load_dword v76, off, s[0:3], 0 offset:56
	buffer_load_dword v77, off, s[0:3], 0 offset:60
	s_waitcnt vmcnt(3)
	buffer_store_dword v74, off, s[0:3], 0 offset:56
	s_waitcnt vmcnt(3)
	buffer_store_dword v75, off, s[0:3], 0 offset:60
	s_waitcnt vmcnt(3)
	buffer_store_dword v76, v73, s[0:3], 0 offen
	s_waitcnt vmcnt(3)
	buffer_store_dword v77, v73, s[0:3], 0 offen offset:4
.LBB35_286:
	global_load_dword v0, v0, s[20:21] offset:24
	s_waitcnt vmcnt(0)
	v_add_u32_e32 v0, -1, v0
	v_cmp_eq_u32_e32 vcc, 6, v0
	s_cbranch_vccnz .LBB35_288
; %bb.287:
	v_lshlrev_b32_e32 v0, 3, v0
	buffer_load_dword v73, v0, s[0:3], 0 offen
	buffer_load_dword v74, v0, s[0:3], 0 offen offset:4
	buffer_load_dword v75, off, s[0:3], 0 offset:52
	buffer_load_dword v76, off, s[0:3], 0 offset:48
	s_waitcnt vmcnt(3)
	buffer_store_dword v73, off, s[0:3], 0 offset:48
	s_waitcnt vmcnt(3)
	buffer_store_dword v74, off, s[0:3], 0 offset:52
	s_waitcnt vmcnt(3)
	buffer_store_dword v75, v0, s[0:3], 0 offen offset:4
	s_waitcnt vmcnt(3)
	buffer_store_dword v76, v0, s[0:3], 0 offen
.LBB35_288:
	v_mov_b32_e32 v0, 0
	global_load_dword v73, v0, s[20:21] offset:20
	s_waitcnt vmcnt(0)
	v_add_u32_e32 v73, -1, v73
	v_cmp_eq_u32_e32 vcc, 5, v73
	s_cbranch_vccnz .LBB35_290
; %bb.289:
	v_lshlrev_b32_e32 v73, 3, v73
	buffer_load_dword v74, v73, s[0:3], 0 offen
	buffer_load_dword v75, v73, s[0:3], 0 offen offset:4
	buffer_load_dword v76, off, s[0:3], 0 offset:40
	buffer_load_dword v77, off, s[0:3], 0 offset:44
	s_waitcnt vmcnt(3)
	buffer_store_dword v74, off, s[0:3], 0 offset:40
	s_waitcnt vmcnt(3)
	buffer_store_dword v75, off, s[0:3], 0 offset:44
	s_waitcnt vmcnt(3)
	buffer_store_dword v76, v73, s[0:3], 0 offen
	s_waitcnt vmcnt(3)
	buffer_store_dword v77, v73, s[0:3], 0 offen offset:4
.LBB35_290:
	global_load_dword v0, v0, s[20:21] offset:16
	s_waitcnt vmcnt(0)
	v_add_u32_e32 v0, -1, v0
	v_cmp_eq_u32_e32 vcc, 4, v0
	s_cbranch_vccnz .LBB35_292
; %bb.291:
	v_lshlrev_b32_e32 v0, 3, v0
	buffer_load_dword v73, v0, s[0:3], 0 offen
	buffer_load_dword v74, v0, s[0:3], 0 offen offset:4
	buffer_load_dword v75, off, s[0:3], 0 offset:36
	buffer_load_dword v76, off, s[0:3], 0 offset:32
	s_waitcnt vmcnt(3)
	buffer_store_dword v73, off, s[0:3], 0 offset:32
	s_waitcnt vmcnt(3)
	buffer_store_dword v74, off, s[0:3], 0 offset:36
	s_waitcnt vmcnt(3)
	buffer_store_dword v75, v0, s[0:3], 0 offen offset:4
	s_waitcnt vmcnt(3)
	buffer_store_dword v76, v0, s[0:3], 0 offen
.LBB35_292:
	v_mov_b32_e32 v0, 0
	global_load_dword v73, v0, s[20:21] offset:12
	s_waitcnt vmcnt(0)
	v_add_u32_e32 v73, -1, v73
	v_cmp_eq_u32_e32 vcc, 3, v73
	s_cbranch_vccnz .LBB35_294
; %bb.293:
	v_lshlrev_b32_e32 v73, 3, v73
	buffer_load_dword v74, v73, s[0:3], 0 offen
	buffer_load_dword v75, v73, s[0:3], 0 offen offset:4
	buffer_load_dword v76, off, s[0:3], 0 offset:24
	buffer_load_dword v77, off, s[0:3], 0 offset:28
	s_waitcnt vmcnt(3)
	buffer_store_dword v74, off, s[0:3], 0 offset:24
	s_waitcnt vmcnt(3)
	buffer_store_dword v75, off, s[0:3], 0 offset:28
	s_waitcnt vmcnt(3)
	buffer_store_dword v76, v73, s[0:3], 0 offen
	s_waitcnt vmcnt(3)
	buffer_store_dword v77, v73, s[0:3], 0 offen offset:4
.LBB35_294:
	global_load_dword v0, v0, s[20:21] offset:8
	s_waitcnt vmcnt(0)
	v_add_u32_e32 v0, -1, v0
	v_cmp_eq_u32_e32 vcc, 2, v0
	s_cbranch_vccnz .LBB35_296
; %bb.295:
	v_lshlrev_b32_e32 v0, 3, v0
	buffer_load_dword v73, v0, s[0:3], 0 offen
	buffer_load_dword v74, v0, s[0:3], 0 offen offset:4
	buffer_load_dword v75, off, s[0:3], 0 offset:20
	buffer_load_dword v76, off, s[0:3], 0 offset:16
	s_waitcnt vmcnt(3)
	buffer_store_dword v73, off, s[0:3], 0 offset:16
	s_waitcnt vmcnt(3)
	buffer_store_dword v74, off, s[0:3], 0 offset:20
	s_waitcnt vmcnt(3)
	buffer_store_dword v75, v0, s[0:3], 0 offen offset:4
	s_waitcnt vmcnt(3)
	buffer_store_dword v76, v0, s[0:3], 0 offen
.LBB35_296:
	v_mov_b32_e32 v0, 0
	global_load_dword v73, v0, s[20:21] offset:4
	s_waitcnt vmcnt(0)
	v_add_u32_e32 v73, -1, v73
	v_cmp_eq_u32_e32 vcc, 1, v73
	s_cbranch_vccnz .LBB35_298
; %bb.297:
	v_lshlrev_b32_e32 v73, 3, v73
	buffer_load_dword v74, v73, s[0:3], 0 offen
	buffer_load_dword v75, v73, s[0:3], 0 offen offset:4
	buffer_load_dword v76, off, s[0:3], 0 offset:8
	buffer_load_dword v77, off, s[0:3], 0 offset:12
	s_waitcnt vmcnt(3)
	buffer_store_dword v74, off, s[0:3], 0 offset:8
	s_waitcnt vmcnt(3)
	buffer_store_dword v75, off, s[0:3], 0 offset:12
	s_waitcnt vmcnt(3)
	buffer_store_dword v76, v73, s[0:3], 0 offen
	s_waitcnt vmcnt(3)
	buffer_store_dword v77, v73, s[0:3], 0 offen offset:4
.LBB35_298:
	global_load_dword v0, v0, s[20:21]
	s_waitcnt vmcnt(0)
	v_add_u32_e32 v0, -1, v0
	v_cmp_eq_u32_e32 vcc, 0, v0
	s_cbranch_vccnz .LBB35_300
; %bb.299:
	v_lshlrev_b32_e32 v0, 3, v0
	buffer_load_dword v73, v0, s[0:3], 0 offen
	buffer_load_dword v74, v0, s[0:3], 0 offen offset:4
	buffer_load_dword v75, off, s[0:3], 0 offset:4
	buffer_load_dword v76, off, s[0:3], 0
	s_waitcnt vmcnt(3)
	buffer_store_dword v73, off, s[0:3], 0
	s_waitcnt vmcnt(3)
	buffer_store_dword v74, off, s[0:3], 0 offset:4
	s_waitcnt vmcnt(3)
	buffer_store_dword v75, v0, s[0:3], 0 offen offset:4
	s_waitcnt vmcnt(3)
	buffer_store_dword v76, v0, s[0:3], 0 offen
.LBB35_300:
	buffer_load_dword v73, off, s[0:3], 0
	buffer_load_dword v74, off, s[0:3], 0 offset:4
	buffer_load_dword v75, off, s[0:3], 0 offset:8
	s_nop 0
	buffer_load_dword v76, off, s[0:3], 0 offset:12
	buffer_load_dword v77, off, s[0:3], 0 offset:16
	;; [unrolled: 1-line block ×69, first 2 shown]
	s_waitcnt vmcnt(62)
	global_store_dwordx2 v[61:62], v[73:74], off
	global_store_dwordx2 v[63:64], v[75:76], off
	;; [unrolled: 1-line block ×5, first 2 shown]
	s_waitcnt vmcnt(62)
	global_store_dwordx2 v[7:8], v[83:84], off
	global_store_dwordx2 v[9:10], v[85:86], off
	s_waitcnt vmcnt(62)
	global_store_dwordx2 v[11:12], v[87:88], off
	s_waitcnt vmcnt(56)
	global_store_dwordx2 v[13:14], v[89:90], off
	global_store_dwordx2 v[15:16], v[91:92], off
	;; [unrolled: 1-line block ×4, first 2 shown]
	s_waitcnt vmcnt(58)
	global_store_dwordx2 v[21:22], v[97:98], off
	s_waitcnt vmcnt(57)
	global_store_dwordx2 v[23:24], v[99:100], off
	;; [unrolled: 2-line block ×24, first 2 shown]
	s_endpgm
	.section	.rodata,"a",@progbits
	.p2align	6, 0x0
	.amdhsa_kernel _ZN9rocsolver6v33100L18getri_kernel_smallILi36E19rocblas_complex_numIfEPS3_EEvT1_iilPiilS6_bb
		.amdhsa_group_segment_fixed_size 580
		.amdhsa_private_segment_fixed_size 304
		.amdhsa_kernarg_size 60
		.amdhsa_user_sgpr_count 6
		.amdhsa_user_sgpr_private_segment_buffer 1
		.amdhsa_user_sgpr_dispatch_ptr 0
		.amdhsa_user_sgpr_queue_ptr 0
		.amdhsa_user_sgpr_kernarg_segment_ptr 1
		.amdhsa_user_sgpr_dispatch_id 0
		.amdhsa_user_sgpr_flat_scratch_init 0
		.amdhsa_user_sgpr_private_segment_size 0
		.amdhsa_uses_dynamic_stack 0
		.amdhsa_system_sgpr_private_segment_wavefront_offset 1
		.amdhsa_system_sgpr_workgroup_id_x 1
		.amdhsa_system_sgpr_workgroup_id_y 0
		.amdhsa_system_sgpr_workgroup_id_z 0
		.amdhsa_system_sgpr_workgroup_info 0
		.amdhsa_system_vgpr_workitem_id 0
		.amdhsa_next_free_vgpr 217
		.amdhsa_next_free_sgpr 24
		.amdhsa_reserve_vcc 1
		.amdhsa_reserve_flat_scratch 0
		.amdhsa_float_round_mode_32 0
		.amdhsa_float_round_mode_16_64 0
		.amdhsa_float_denorm_mode_32 3
		.amdhsa_float_denorm_mode_16_64 3
		.amdhsa_dx10_clamp 1
		.amdhsa_ieee_mode 1
		.amdhsa_fp16_overflow 0
		.amdhsa_exception_fp_ieee_invalid_op 0
		.amdhsa_exception_fp_denorm_src 0
		.amdhsa_exception_fp_ieee_div_zero 0
		.amdhsa_exception_fp_ieee_overflow 0
		.amdhsa_exception_fp_ieee_underflow 0
		.amdhsa_exception_fp_ieee_inexact 0
		.amdhsa_exception_int_div_zero 0
	.end_amdhsa_kernel
	.section	.text._ZN9rocsolver6v33100L18getri_kernel_smallILi36E19rocblas_complex_numIfEPS3_EEvT1_iilPiilS6_bb,"axG",@progbits,_ZN9rocsolver6v33100L18getri_kernel_smallILi36E19rocblas_complex_numIfEPS3_EEvT1_iilPiilS6_bb,comdat
.Lfunc_end35:
	.size	_ZN9rocsolver6v33100L18getri_kernel_smallILi36E19rocblas_complex_numIfEPS3_EEvT1_iilPiilS6_bb, .Lfunc_end35-_ZN9rocsolver6v33100L18getri_kernel_smallILi36E19rocblas_complex_numIfEPS3_EEvT1_iilPiilS6_bb
                                        ; -- End function
	.set _ZN9rocsolver6v33100L18getri_kernel_smallILi36E19rocblas_complex_numIfEPS3_EEvT1_iilPiilS6_bb.num_vgpr, 217
	.set _ZN9rocsolver6v33100L18getri_kernel_smallILi36E19rocblas_complex_numIfEPS3_EEvT1_iilPiilS6_bb.num_agpr, 0
	.set _ZN9rocsolver6v33100L18getri_kernel_smallILi36E19rocblas_complex_numIfEPS3_EEvT1_iilPiilS6_bb.numbered_sgpr, 24
	.set _ZN9rocsolver6v33100L18getri_kernel_smallILi36E19rocblas_complex_numIfEPS3_EEvT1_iilPiilS6_bb.num_named_barrier, 0
	.set _ZN9rocsolver6v33100L18getri_kernel_smallILi36E19rocblas_complex_numIfEPS3_EEvT1_iilPiilS6_bb.private_seg_size, 304
	.set _ZN9rocsolver6v33100L18getri_kernel_smallILi36E19rocblas_complex_numIfEPS3_EEvT1_iilPiilS6_bb.uses_vcc, 1
	.set _ZN9rocsolver6v33100L18getri_kernel_smallILi36E19rocblas_complex_numIfEPS3_EEvT1_iilPiilS6_bb.uses_flat_scratch, 0
	.set _ZN9rocsolver6v33100L18getri_kernel_smallILi36E19rocblas_complex_numIfEPS3_EEvT1_iilPiilS6_bb.has_dyn_sized_stack, 0
	.set _ZN9rocsolver6v33100L18getri_kernel_smallILi36E19rocblas_complex_numIfEPS3_EEvT1_iilPiilS6_bb.has_recursion, 0
	.set _ZN9rocsolver6v33100L18getri_kernel_smallILi36E19rocblas_complex_numIfEPS3_EEvT1_iilPiilS6_bb.has_indirect_call, 0
	.section	.AMDGPU.csdata,"",@progbits
; Kernel info:
; codeLenInByte = 53836
; TotalNumSgprs: 28
; NumVgprs: 217
; ScratchSize: 304
; MemoryBound: 0
; FloatMode: 240
; IeeeMode: 1
; LDSByteSize: 580 bytes/workgroup (compile time only)
; SGPRBlocks: 3
; VGPRBlocks: 54
; NumSGPRsForWavesPerEU: 28
; NumVGPRsForWavesPerEU: 217
; Occupancy: 1
; WaveLimiterHint : 1
; COMPUTE_PGM_RSRC2:SCRATCH_EN: 1
; COMPUTE_PGM_RSRC2:USER_SGPR: 6
; COMPUTE_PGM_RSRC2:TRAP_HANDLER: 0
; COMPUTE_PGM_RSRC2:TGID_X_EN: 1
; COMPUTE_PGM_RSRC2:TGID_Y_EN: 0
; COMPUTE_PGM_RSRC2:TGID_Z_EN: 0
; COMPUTE_PGM_RSRC2:TIDIG_COMP_CNT: 0
	.section	.text._ZN9rocsolver6v33100L18getri_kernel_smallILi37E19rocblas_complex_numIfEPS3_EEvT1_iilPiilS6_bb,"axG",@progbits,_ZN9rocsolver6v33100L18getri_kernel_smallILi37E19rocblas_complex_numIfEPS3_EEvT1_iilPiilS6_bb,comdat
	.globl	_ZN9rocsolver6v33100L18getri_kernel_smallILi37E19rocblas_complex_numIfEPS3_EEvT1_iilPiilS6_bb ; -- Begin function _ZN9rocsolver6v33100L18getri_kernel_smallILi37E19rocblas_complex_numIfEPS3_EEvT1_iilPiilS6_bb
	.p2align	8
	.type	_ZN9rocsolver6v33100L18getri_kernel_smallILi37E19rocblas_complex_numIfEPS3_EEvT1_iilPiilS6_bb,@function
_ZN9rocsolver6v33100L18getri_kernel_smallILi37E19rocblas_complex_numIfEPS3_EEvT1_iilPiilS6_bb: ; @_ZN9rocsolver6v33100L18getri_kernel_smallILi37E19rocblas_complex_numIfEPS3_EEvT1_iilPiilS6_bb
; %bb.0:
	s_add_u32 s0, s0, s7
	s_addc_u32 s1, s1, 0
	v_cmp_gt_u32_e32 vcc, 37, v0
	s_and_saveexec_b64 s[8:9], vcc
	s_cbranch_execz .LBB36_162
; %bb.1:
	s_load_dword s12, s[4:5], 0x38
	s_load_dwordx4 s[16:19], s[4:5], 0x10
	s_load_dwordx4 s[8:11], s[4:5], 0x28
                                        ; implicit-def: $sgpr20_sgpr21
	s_waitcnt lgkmcnt(0)
	s_bitcmp1_b32 s12, 8
	s_cselect_b64 s[22:23], -1, 0
	s_ashr_i32 s7, s6, 31
	s_bfe_u32 s12, s12, 0x10008
	s_cmp_eq_u32 s12, 0
	s_cbranch_scc1 .LBB36_3
; %bb.2:
	s_load_dword s12, s[4:5], 0x20
	s_mul_i32 s13, s8, s7
	s_mul_hi_u32 s14, s8, s6
	s_mul_i32 s9, s9, s6
	s_add_i32 s14, s14, s13
	s_add_i32 s9, s14, s9
	s_mul_i32 s8, s8, s6
	s_waitcnt lgkmcnt(0)
	s_ashr_i32 s13, s12, 31
	s_lshl_b64 s[8:9], s[8:9], 2
	s_add_u32 s14, s18, s8
	s_addc_u32 s15, s19, s9
	s_lshl_b64 s[8:9], s[12:13], 2
	s_add_u32 s20, s14, s8
	s_addc_u32 s21, s15, s9
.LBB36_3:
	s_load_dwordx4 s[12:15], s[4:5], 0x0
	s_load_dword s8, s[4:5], 0x38
	s_mul_i32 s9, s16, s7
	s_mul_hi_u32 s18, s16, s6
	s_add_i32 s9, s18, s9
	s_waitcnt lgkmcnt(0)
	s_ashr_i32 s5, s14, 31
	s_mov_b32 s4, s14
	s_mul_i32 s14, s17, s6
	s_add_i32 s17, s9, s14
	s_mul_i32 s16, s16, s6
	s_lshl_b64 s[16:17], s[16:17], 3
	s_add_u32 s9, s12, s16
	s_addc_u32 s12, s13, s17
	s_lshl_b64 s[4:5], s[4:5], 3
	s_add_u32 s4, s9, s4
	s_addc_u32 s5, s12, s5
	s_add_i32 s9, s15, s15
	v_add_u32_e32 v3, s9, v0
	v_ashrrev_i32_e32 v4, 31, v3
	v_lshlrev_b64 v[1:2], 3, v[3:4]
	v_add_u32_e32 v5, s15, v3
	v_mov_b32_e32 v4, s5
	v_add_co_u32_e32 v1, vcc, s4, v1
	v_ashrrev_i32_e32 v6, 31, v5
	v_addc_co_u32_e32 v2, vcc, v4, v2, vcc
	v_lshlrev_b64 v[3:4], 3, v[5:6]
	v_add_u32_e32 v7, s15, v5
	v_mov_b32_e32 v6, s5
	v_add_co_u32_e32 v3, vcc, s4, v3
	v_ashrrev_i32_e32 v8, 31, v7
	v_addc_co_u32_e32 v4, vcc, v6, v4, vcc
	v_lshlrev_b64 v[5:6], 3, v[7:8]
	v_add_u32_e32 v9, s15, v7
	v_mov_b32_e32 v8, s5
	v_add_co_u32_e32 v5, vcc, s4, v5
	v_ashrrev_i32_e32 v10, 31, v9
	v_addc_co_u32_e32 v6, vcc, v8, v6, vcc
	v_lshlrev_b64 v[7:8], 3, v[9:10]
	v_add_u32_e32 v11, s15, v9
	v_mov_b32_e32 v10, s5
	v_add_co_u32_e32 v7, vcc, s4, v7
	v_ashrrev_i32_e32 v12, 31, v11
	v_addc_co_u32_e32 v8, vcc, v10, v8, vcc
	v_lshlrev_b64 v[9:10], 3, v[11:12]
	v_add_u32_e32 v13, s15, v11
	v_mov_b32_e32 v12, s5
	v_add_co_u32_e32 v9, vcc, s4, v9
	v_ashrrev_i32_e32 v14, 31, v13
	v_addc_co_u32_e32 v10, vcc, v12, v10, vcc
	v_lshlrev_b64 v[11:12], 3, v[13:14]
	v_add_u32_e32 v15, s15, v13
	v_mov_b32_e32 v14, s5
	v_add_co_u32_e32 v11, vcc, s4, v11
	v_ashrrev_i32_e32 v16, 31, v15
	v_addc_co_u32_e32 v12, vcc, v14, v12, vcc
	v_lshlrev_b64 v[13:14], 3, v[15:16]
	v_add_u32_e32 v17, s15, v15
	v_mov_b32_e32 v16, s5
	v_add_co_u32_e32 v13, vcc, s4, v13
	v_ashrrev_i32_e32 v18, 31, v17
	v_addc_co_u32_e32 v14, vcc, v16, v14, vcc
	v_lshlrev_b64 v[15:16], 3, v[17:18]
	v_add_u32_e32 v19, s15, v17
	v_mov_b32_e32 v18, s5
	v_add_co_u32_e32 v15, vcc, s4, v15
	v_ashrrev_i32_e32 v20, 31, v19
	v_addc_co_u32_e32 v16, vcc, v18, v16, vcc
	v_lshlrev_b64 v[17:18], 3, v[19:20]
	v_mov_b32_e32 v21, s5
	v_add_co_u32_e32 v17, vcc, s4, v17
	v_addc_co_u32_e32 v18, vcc, v21, v18, vcc
	v_add_u32_e32 v21, s15, v19
	v_ashrrev_i32_e32 v22, 31, v21
	v_lshlrev_b64 v[19:20], 3, v[21:22]
	v_mov_b32_e32 v23, s5
	v_add_co_u32_e32 v19, vcc, s4, v19
	v_addc_co_u32_e32 v20, vcc, v23, v20, vcc
	v_add_u32_e32 v23, s15, v21
	v_ashrrev_i32_e32 v24, 31, v23
	;; [unrolled: 6-line block ×21, first 2 shown]
	v_lshlrev_b64 v[59:60], 3, v[61:62]
	v_mov_b32_e32 v63, s5
	v_add_co_u32_e32 v59, vcc, s4, v59
	v_addc_co_u32_e32 v60, vcc, v63, v60, vcc
	v_lshlrev_b32_e32 v77, 3, v0
	v_add_u32_e32 v67, s15, v61
	v_mov_b32_e32 v64, s5
	v_add_co_u32_e32 v63, vcc, s4, v77
	s_ashr_i32 s13, s15, 31
	s_mov_b32 s12, s15
	v_ashrrev_i32_e32 v68, 31, v67
	v_addc_co_u32_e32 v64, vcc, 0, v64, vcc
	s_lshl_b64 s[12:13], s[12:13], 3
	v_lshlrev_b64 v[61:62], 3, v[67:68]
	v_mov_b32_e32 v66, s13
	v_add_co_u32_e32 v65, vcc, s12, v63
	v_addc_co_u32_e32 v66, vcc, v64, v66, vcc
	v_mov_b32_e32 v69, s5
	v_add_co_u32_e32 v61, vcc, s4, v61
	v_addc_co_u32_e32 v62, vcc, v69, v62, vcc
	v_add_u32_e32 v69, s15, v67
	v_ashrrev_i32_e32 v70, 31, v69
	v_lshlrev_b64 v[67:68], 3, v[69:70]
	v_mov_b32_e32 v71, s5
	v_add_co_u32_e32 v67, vcc, s4, v67
	v_addc_co_u32_e32 v68, vcc, v71, v68, vcc
	v_add_u32_e32 v71, s15, v69
	v_ashrrev_i32_e32 v72, 31, v71
	v_lshlrev_b64 v[69:70], 3, v[71:72]
	;; [unrolled: 6-line block ×3, first 2 shown]
	v_mov_b32_e32 v132, s5
	v_add_co_u32_e32 v71, vcc, s4, v71
	global_load_dwordx2 v[75:76], v77, s[4:5]
	global_load_dwordx2 v[78:79], v[65:66], off
	global_load_dwordx2 v[80:81], v[1:2], off
	;; [unrolled: 1-line block ×27, first 2 shown]
	v_addc_co_u32_e32 v72, vcc, v132, v72, vcc
	global_load_dwordx2 v[132:133], v[53:54], off
	global_load_dwordx2 v[134:135], v[55:56], off
	;; [unrolled: 1-line block ×8, first 2 shown]
	v_add_u32_e32 v73, s15, v73
	v_ashrrev_i32_e32 v74, 31, v73
	v_lshlrev_b64 v[73:74], 3, v[73:74]
	v_mov_b32_e32 v148, s5
	v_add_co_u32_e32 v73, vcc, s4, v73
	v_addc_co_u32_e32 v74, vcc, v148, v74, vcc
	global_load_dwordx2 v[148:149], v[73:74], off
	s_bitcmp0_b32 s8, 0
	s_mov_b64 s[8:9], -1
	s_waitcnt vmcnt(36)
	buffer_store_dword v76, off, s[0:3], 0 offset:4
	buffer_store_dword v75, off, s[0:3], 0
	s_waitcnt vmcnt(37)
	buffer_store_dword v79, off, s[0:3], 0 offset:12
	buffer_store_dword v78, off, s[0:3], 0 offset:8
	s_waitcnt vmcnt(38)
	buffer_store_dword v81, off, s[0:3], 0 offset:20
	buffer_store_dword v80, off, s[0:3], 0 offset:16
	s_waitcnt vmcnt(39)
	buffer_store_dword v83, off, s[0:3], 0 offset:28
	buffer_store_dword v82, off, s[0:3], 0 offset:24
	s_waitcnt vmcnt(40)
	buffer_store_dword v85, off, s[0:3], 0 offset:36
	buffer_store_dword v84, off, s[0:3], 0 offset:32
	s_waitcnt vmcnt(41)
	buffer_store_dword v87, off, s[0:3], 0 offset:44
	buffer_store_dword v86, off, s[0:3], 0 offset:40
	s_waitcnt vmcnt(42)
	buffer_store_dword v89, off, s[0:3], 0 offset:52
	buffer_store_dword v88, off, s[0:3], 0 offset:48
	s_waitcnt vmcnt(43)
	buffer_store_dword v91, off, s[0:3], 0 offset:60
	buffer_store_dword v90, off, s[0:3], 0 offset:56
	s_waitcnt vmcnt(44)
	buffer_store_dword v93, off, s[0:3], 0 offset:68
	buffer_store_dword v92, off, s[0:3], 0 offset:64
	s_waitcnt vmcnt(45)
	buffer_store_dword v94, off, s[0:3], 0 offset:72
	buffer_store_dword v95, off, s[0:3], 0 offset:76
	s_waitcnt vmcnt(46)
	buffer_store_dword v96, off, s[0:3], 0 offset:80
	buffer_store_dword v97, off, s[0:3], 0 offset:84
	s_waitcnt vmcnt(47)
	buffer_store_dword v98, off, s[0:3], 0 offset:88
	buffer_store_dword v99, off, s[0:3], 0 offset:92
	s_waitcnt vmcnt(48)
	buffer_store_dword v100, off, s[0:3], 0 offset:96
	buffer_store_dword v101, off, s[0:3], 0 offset:100
	s_waitcnt vmcnt(49)
	buffer_store_dword v102, off, s[0:3], 0 offset:104
	buffer_store_dword v103, off, s[0:3], 0 offset:108
	s_waitcnt vmcnt(50)
	buffer_store_dword v105, off, s[0:3], 0 offset:116
	buffer_store_dword v104, off, s[0:3], 0 offset:112
	s_waitcnt vmcnt(51)
	buffer_store_dword v106, off, s[0:3], 0 offset:120
	buffer_store_dword v107, off, s[0:3], 0 offset:124
	s_waitcnt vmcnt(52)
	buffer_store_dword v108, off, s[0:3], 0 offset:128
	buffer_store_dword v109, off, s[0:3], 0 offset:132
	s_waitcnt vmcnt(53)
	buffer_store_dword v110, off, s[0:3], 0 offset:136
	buffer_store_dword v111, off, s[0:3], 0 offset:140
	s_waitcnt vmcnt(54)
	buffer_store_dword v112, off, s[0:3], 0 offset:144
	buffer_store_dword v113, off, s[0:3], 0 offset:148
	s_waitcnt vmcnt(55)
	buffer_store_dword v115, off, s[0:3], 0 offset:156
	buffer_store_dword v114, off, s[0:3], 0 offset:152
	s_waitcnt vmcnt(56)
	buffer_store_dword v117, off, s[0:3], 0 offset:164
	buffer_store_dword v116, off, s[0:3], 0 offset:160
	s_waitcnt vmcnt(57)
	buffer_store_dword v118, off, s[0:3], 0 offset:168
	buffer_store_dword v119, off, s[0:3], 0 offset:172
	s_waitcnt vmcnt(58)
	buffer_store_dword v120, off, s[0:3], 0 offset:176
	buffer_store_dword v121, off, s[0:3], 0 offset:180
	s_waitcnt vmcnt(59)
	buffer_store_dword v122, off, s[0:3], 0 offset:184
	buffer_store_dword v123, off, s[0:3], 0 offset:188
	s_waitcnt vmcnt(60)
	buffer_store_dword v124, off, s[0:3], 0 offset:192
	buffer_store_dword v125, off, s[0:3], 0 offset:196
	s_waitcnt vmcnt(61)
	buffer_store_dword v127, off, s[0:3], 0 offset:204
	buffer_store_dword v126, off, s[0:3], 0 offset:200
	s_waitcnt vmcnt(62)
	buffer_store_dword v129, off, s[0:3], 0 offset:212
	buffer_store_dword v128, off, s[0:3], 0 offset:208
	s_waitcnt vmcnt(62)
	buffer_store_dword v130, off, s[0:3], 0 offset:216
	buffer_store_dword v131, off, s[0:3], 0 offset:220
	buffer_store_dword v132, off, s[0:3], 0 offset:224
	buffer_store_dword v133, off, s[0:3], 0 offset:228
	s_waitcnt vmcnt(62)
	buffer_store_dword v134, off, s[0:3], 0 offset:232
	buffer_store_dword v135, off, s[0:3], 0 offset:236
	;; [unrolled: 1-line block ×8, first 2 shown]
	s_waitcnt vmcnt(62)
	buffer_store_dword v142, off, s[0:3], 0 offset:264
	buffer_store_dword v143, off, s[0:3], 0 offset:268
	;; [unrolled: 1-line block ×8, first 2 shown]
	s_cbranch_scc1 .LBB36_160
; %bb.4:
	v_cmp_eq_u32_e64 s[4:5], 0, v0
	s_and_saveexec_b64 s[8:9], s[4:5]
; %bb.5:
	v_mov_b32_e32 v75, 0
	ds_write_b32 v75, v75 offset:296
; %bb.6:
	s_or_b64 exec, exec, s[8:9]
	v_mov_b32_e32 v75, 0
	v_lshl_add_u32 v79, v0, 3, v75
	s_waitcnt lgkmcnt(0)
	; wave barrier
	buffer_load_dword v75, v79, s[0:3], 0 offen
	buffer_load_dword v76, v79, s[0:3], 0 offen offset:4
	s_waitcnt vmcnt(1)
	v_cmp_eq_f32_e32 vcc, 0, v75
	s_waitcnt vmcnt(0)
	v_cmp_eq_f32_e64 s[8:9], 0, v76
	s_and_b64 s[8:9], vcc, s[8:9]
	s_and_saveexec_b64 s[12:13], s[8:9]
	s_cbranch_execz .LBB36_10
; %bb.7:
	v_mov_b32_e32 v75, 0
	ds_read_b32 v78, v75 offset:296
	v_add_u32_e32 v76, 1, v0
	s_waitcnt lgkmcnt(0)
	v_readfirstlane_b32 s8, v78
	s_cmp_eq_u32 s8, 0
	s_cselect_b64 s[14:15], -1, 0
	v_cmp_gt_i32_e32 vcc, s8, v76
	s_or_b64 s[14:15], s[14:15], vcc
	s_and_b64 exec, exec, s[14:15]
	s_cbranch_execz .LBB36_10
; %bb.8:
	s_mov_b64 s[14:15], 0
	v_mov_b32_e32 v78, s8
.LBB36_9:                               ; =>This Inner Loop Header: Depth=1
	ds_cmpst_rtn_b32 v78, v75, v78, v76 offset:296
	s_waitcnt lgkmcnt(0)
	v_cmp_ne_u32_e32 vcc, 0, v78
	v_cmp_le_i32_e64 s[8:9], v78, v76
	s_and_b64 s[8:9], vcc, s[8:9]
	s_and_b64 s[8:9], exec, s[8:9]
	s_or_b64 s[14:15], s[8:9], s[14:15]
	s_andn2_b64 exec, exec, s[14:15]
	s_cbranch_execnz .LBB36_9
.LBB36_10:
	s_or_b64 exec, exec, s[12:13]
	v_mov_b32_e32 v76, 0
	; wave barrier
	ds_read_b32 v75, v76 offset:296
	s_and_saveexec_b64 s[8:9], s[4:5]
	s_cbranch_execz .LBB36_12
; %bb.11:
	s_lshl_b64 s[12:13], s[6:7], 2
	s_add_u32 s12, s10, s12
	s_addc_u32 s13, s11, s13
	s_waitcnt lgkmcnt(0)
	global_store_dword v76, v75, s[12:13]
.LBB36_12:
	s_or_b64 exec, exec, s[8:9]
	s_waitcnt lgkmcnt(0)
	v_cmp_ne_u32_e32 vcc, 0, v75
	s_mov_b64 s[8:9], 0
	s_cbranch_vccnz .LBB36_160
; %bb.13:
	buffer_load_dword v76, v79, s[0:3], 0 offen
	buffer_load_dword v78, v79, s[0:3], 0 offen offset:4
                                        ; implicit-def: $vgpr81
                                        ; implicit-def: $vgpr80
                                        ; implicit-def: $vgpr75
	s_waitcnt vmcnt(0)
	v_cmp_ngt_f32_e64 s[8:9], |v76|, |v78|
	s_and_saveexec_b64 s[12:13], s[8:9]
	s_xor_b64 s[8:9], exec, s[12:13]
	s_cbranch_execz .LBB36_15
; %bb.14:
	v_div_scale_f32 v75, s[12:13], v78, v78, v76
	v_div_scale_f32 v80, vcc, v76, v78, v76
	v_rcp_f32_e32 v81, v75
	v_fma_f32 v82, -v75, v81, 1.0
	v_fmac_f32_e32 v81, v82, v81
	v_mul_f32_e32 v82, v80, v81
	v_fma_f32 v83, -v75, v82, v80
	v_fmac_f32_e32 v82, v83, v81
	v_fma_f32 v75, -v75, v82, v80
	v_div_fmas_f32 v75, v75, v81, v82
	v_div_fixup_f32 v75, v75, v78, v76
	v_fmac_f32_e32 v78, v76, v75
	v_div_scale_f32 v76, s[12:13], v78, v78, 1.0
	v_div_scale_f32 v80, vcc, 1.0, v78, 1.0
	v_rcp_f32_e32 v81, v76
	v_fma_f32 v82, -v76, v81, 1.0
	v_fmac_f32_e32 v81, v82, v81
	v_mul_f32_e32 v82, v80, v81
	v_fma_f32 v83, -v76, v82, v80
	v_fmac_f32_e32 v82, v83, v81
	v_fma_f32 v76, -v76, v82, v80
	v_div_fmas_f32 v76, v76, v81, v82
	v_div_fixup_f32 v76, v76, v78, 1.0
	v_mul_f32_e32 v81, v75, v76
	v_xor_b32_e32 v80, 0x80000000, v76
	v_xor_b32_e32 v75, 0x80000000, v81
                                        ; implicit-def: $vgpr76
                                        ; implicit-def: $vgpr78
.LBB36_15:
	s_andn2_saveexec_b64 s[8:9], s[8:9]
	s_cbranch_execz .LBB36_17
; %bb.16:
	v_div_scale_f32 v75, s[12:13], v76, v76, v78
	v_div_scale_f32 v80, vcc, v78, v76, v78
	v_rcp_f32_e32 v81, v75
	v_fma_f32 v82, -v75, v81, 1.0
	v_fmac_f32_e32 v81, v82, v81
	v_mul_f32_e32 v82, v80, v81
	v_fma_f32 v83, -v75, v82, v80
	v_fmac_f32_e32 v82, v83, v81
	v_fma_f32 v75, -v75, v82, v80
	v_div_fmas_f32 v75, v75, v81, v82
	v_div_fixup_f32 v80, v75, v76, v78
	v_fmac_f32_e32 v76, v78, v80
	v_div_scale_f32 v75, s[12:13], v76, v76, 1.0
	v_div_scale_f32 v78, vcc, 1.0, v76, 1.0
	v_rcp_f32_e32 v81, v75
	v_fma_f32 v82, -v75, v81, 1.0
	v_fmac_f32_e32 v81, v82, v81
	v_mul_f32_e32 v82, v78, v81
	v_fma_f32 v83, -v75, v82, v78
	v_fmac_f32_e32 v82, v83, v81
	v_fma_f32 v75, -v75, v82, v78
	v_div_fmas_f32 v75, v75, v81, v82
	v_div_fixup_f32 v81, v75, v76, 1.0
	v_xor_b32_e32 v75, 0x80000000, v81
	v_mul_f32_e64 v80, v80, -v81
.LBB36_17:
	s_or_b64 exec, exec, s[8:9]
	buffer_store_dword v81, v79, s[0:3], 0 offen
	buffer_store_dword v80, v79, s[0:3], 0 offen offset:4
	buffer_load_dword v82, off, s[0:3], 0 offset:12
	s_nop 0
	buffer_load_dword v81, off, s[0:3], 0 offset:8
	v_xor_b32_e32 v76, 0x80000000, v80
	v_add_u32_e32 v78, 0x130, v77
	s_waitcnt vmcnt(0)
	ds_write2_b64 v77, v[75:76], v[81:82] offset1:38
	s_waitcnt lgkmcnt(0)
	; wave barrier
	s_and_saveexec_b64 s[8:9], s[4:5]
	s_cbranch_execz .LBB36_19
; %bb.18:
	buffer_load_dword v80, v79, s[0:3], 0 offen
	buffer_load_dword v81, v79, s[0:3], 0 offen offset:4
	ds_read_b64 v[75:76], v78
	s_waitcnt vmcnt(0) lgkmcnt(0)
	v_mul_f32_e32 v82, v76, v81
	v_fma_f32 v82, v75, v80, -v82
	v_mul_f32_e32 v75, v75, v81
	v_fmac_f32_e32 v75, v76, v80
	v_add_f32_e32 v81, 0, v75
	v_mov_b32_e32 v75, 0
	ds_read_b64 v[75:76], v75 offset:8
	v_add_f32_e32 v80, 0, v82
	s_waitcnt lgkmcnt(0)
	v_mul_f32_e32 v82, v81, v76
	v_fma_f32 v82, v80, v75, -v82
	v_mul_f32_e32 v76, v80, v76
	v_fmac_f32_e32 v76, v81, v75
	buffer_store_dword v82, off, s[0:3], 0 offset:8
	buffer_store_dword v76, off, s[0:3], 0 offset:12
.LBB36_19:
	s_or_b64 exec, exec, s[8:9]
	; wave barrier
	buffer_load_dword v75, off, s[0:3], 0 offset:16
	buffer_load_dword v76, off, s[0:3], 0 offset:20
	v_cmp_gt_u32_e32 vcc, 2, v0
	s_waitcnt vmcnt(0)
	ds_write_b64 v78, v[75:76]
	s_waitcnt lgkmcnt(0)
	; wave barrier
	s_and_saveexec_b64 s[8:9], vcc
	s_cbranch_execz .LBB36_23
; %bb.20:
	buffer_load_dword v80, v79, s[0:3], 0 offen offset:4
	buffer_load_dword v81, v79, s[0:3], 0 offen
	ds_read_b64 v[75:76], v78
	s_waitcnt vmcnt(1) lgkmcnt(0)
	v_mul_f32_e32 v79, v76, v80
	v_mul_f32_e32 v80, v75, v80
	s_waitcnt vmcnt(0)
	v_fma_f32 v75, v75, v81, -v79
	v_fmac_f32_e32 v80, v76, v81
	v_add_f32_e32 v76, 0, v75
	v_add_f32_e32 v75, 0, v80
	s_and_saveexec_b64 s[12:13], s[4:5]
	s_cbranch_execz .LBB36_22
; %bb.21:
	v_mov_b32_e32 v79, 0
	ds_read_b64 v[79:80], v79 offset:312
	buffer_load_dword v81, off, s[0:3], 0 offset:8
	buffer_load_dword v82, off, s[0:3], 0 offset:12
	s_waitcnt vmcnt(0) lgkmcnt(0)
	v_mul_f32_e32 v83, v79, v82
	v_fmac_f32_e32 v83, v80, v81
	v_mul_f32_e32 v80, v80, v82
	v_fma_f32 v79, v79, v81, -v80
	v_add_f32_e32 v75, v75, v83
	v_add_f32_e32 v76, v76, v79
.LBB36_22:
	s_or_b64 exec, exec, s[12:13]
	v_mov_b32_e32 v79, 0
	ds_read_b64 v[79:80], v79 offset:16
	s_waitcnt lgkmcnt(0)
	v_mul_f32_e32 v81, v75, v80
	v_mul_f32_e32 v80, v76, v80
	v_fma_f32 v76, v76, v79, -v81
	v_fmac_f32_e32 v80, v75, v79
	buffer_store_dword v76, off, s[0:3], 0 offset:16
	buffer_store_dword v80, off, s[0:3], 0 offset:20
.LBB36_23:
	s_or_b64 exec, exec, s[8:9]
	; wave barrier
	buffer_load_dword v75, off, s[0:3], 0 offset:24
	buffer_load_dword v76, off, s[0:3], 0 offset:28
	v_cmp_gt_u32_e32 vcc, 3, v0
	s_waitcnt vmcnt(0)
	ds_write_b64 v78, v[75:76]
	v_add_u32_e32 v75, -1, v0
	s_waitcnt lgkmcnt(0)
	; wave barrier
	s_and_saveexec_b64 s[4:5], vcc
	s_cbranch_execz .LBB36_27
; %bb.24:
	v_add_u32_e32 v79, -1, v0
	v_add_u32_e32 v80, 0x130, v77
	v_mov_b32_e32 v81, v77
	v_mov_b32_e32 v76, 0
	s_mov_b64 s[8:9], 0
	v_mov_b32_e32 v82, 0
.LBB36_25:                              ; =>This Inner Loop Header: Depth=1
	buffer_load_dword v85, v81, s[0:3], 0 offen offset:4
	buffer_load_dword v86, v81, s[0:3], 0 offen
	ds_read_b64 v[83:84], v80
	v_add_u32_e32 v79, 1, v79
	v_cmp_lt_u32_e32 vcc, 1, v79
	v_add_u32_e32 v80, 8, v80
	v_add_u32_e32 v81, 8, v81
	s_or_b64 s[8:9], vcc, s[8:9]
	s_waitcnt vmcnt(1) lgkmcnt(0)
	v_mul_f32_e32 v87, v84, v85
	v_mul_f32_e32 v85, v83, v85
	s_waitcnt vmcnt(0)
	v_fma_f32 v83, v83, v86, -v87
	v_fmac_f32_e32 v85, v84, v86
	v_add_f32_e32 v82, v82, v83
	v_add_f32_e32 v76, v76, v85
	s_andn2_b64 exec, exec, s[8:9]
	s_cbranch_execnz .LBB36_25
; %bb.26:
	s_or_b64 exec, exec, s[8:9]
	v_mov_b32_e32 v79, 0
	ds_read_b64 v[79:80], v79 offset:24
	s_waitcnt lgkmcnt(0)
	v_mul_f32_e32 v81, v76, v80
	v_mul_f32_e32 v80, v82, v80
	v_fma_f32 v81, v82, v79, -v81
	v_fmac_f32_e32 v80, v76, v79
	buffer_store_dword v81, off, s[0:3], 0 offset:24
	buffer_store_dword v80, off, s[0:3], 0 offset:28
.LBB36_27:
	s_or_b64 exec, exec, s[4:5]
	; wave barrier
	buffer_load_dword v79, off, s[0:3], 0 offset:32
	buffer_load_dword v80, off, s[0:3], 0 offset:36
	v_cmp_gt_u32_e32 vcc, 4, v0
	s_waitcnt vmcnt(0)
	ds_write_b64 v78, v[79:80]
	s_waitcnt lgkmcnt(0)
	; wave barrier
	s_and_saveexec_b64 s[4:5], vcc
	s_cbranch_execz .LBB36_31
; %bb.28:
	v_add_u32_e32 v79, -1, v0
	v_add_u32_e32 v80, 0x130, v77
	v_mov_b32_e32 v81, v77
	v_mov_b32_e32 v76, 0
	s_mov_b64 s[8:9], 0
	v_mov_b32_e32 v82, 0
.LBB36_29:                              ; =>This Inner Loop Header: Depth=1
	buffer_load_dword v85, v81, s[0:3], 0 offen offset:4
	buffer_load_dword v86, v81, s[0:3], 0 offen
	ds_read_b64 v[83:84], v80
	v_add_u32_e32 v79, 1, v79
	v_cmp_lt_u32_e32 vcc, 2, v79
	v_add_u32_e32 v80, 8, v80
	v_add_u32_e32 v81, 8, v81
	s_or_b64 s[8:9], vcc, s[8:9]
	s_waitcnt vmcnt(1) lgkmcnt(0)
	v_mul_f32_e32 v87, v84, v85
	v_mul_f32_e32 v85, v83, v85
	s_waitcnt vmcnt(0)
	v_fma_f32 v83, v83, v86, -v87
	v_fmac_f32_e32 v85, v84, v86
	v_add_f32_e32 v82, v82, v83
	v_add_f32_e32 v76, v76, v85
	s_andn2_b64 exec, exec, s[8:9]
	s_cbranch_execnz .LBB36_29
; %bb.30:
	s_or_b64 exec, exec, s[8:9]
	v_mov_b32_e32 v79, 0
	ds_read_b64 v[79:80], v79 offset:32
	s_waitcnt lgkmcnt(0)
	v_mul_f32_e32 v81, v76, v80
	v_mul_f32_e32 v80, v82, v80
	v_fma_f32 v81, v82, v79, -v81
	v_fmac_f32_e32 v80, v76, v79
	buffer_store_dword v81, off, s[0:3], 0 offset:32
	buffer_store_dword v80, off, s[0:3], 0 offset:36
.LBB36_31:
	s_or_b64 exec, exec, s[4:5]
	; wave barrier
	buffer_load_dword v79, off, s[0:3], 0 offset:40
	buffer_load_dword v80, off, s[0:3], 0 offset:44
	v_cmp_gt_u32_e32 vcc, 5, v0
	s_waitcnt vmcnt(0)
	ds_write_b64 v78, v[79:80]
	;; [unrolled: 49-line block ×19, first 2 shown]
	s_waitcnt lgkmcnt(0)
	; wave barrier
	s_and_saveexec_b64 s[4:5], vcc
	s_cbranch_execz .LBB36_103
; %bb.100:
	v_add_u32_e32 v79, -1, v0
	v_add_u32_e32 v80, 0x130, v77
	v_mov_b32_e32 v81, v77
	v_mov_b32_e32 v76, 0
	s_mov_b64 s[8:9], 0
	v_mov_b32_e32 v82, 0
.LBB36_101:                             ; =>This Inner Loop Header: Depth=1
	buffer_load_dword v85, v81, s[0:3], 0 offen offset:4
	buffer_load_dword v86, v81, s[0:3], 0 offen
	ds_read_b64 v[83:84], v80
	v_add_u32_e32 v79, 1, v79
	v_cmp_lt_u32_e32 vcc, 20, v79
	v_add_u32_e32 v80, 8, v80
	v_add_u32_e32 v81, 8, v81
	s_or_b64 s[8:9], vcc, s[8:9]
	s_waitcnt vmcnt(1) lgkmcnt(0)
	v_mul_f32_e32 v87, v84, v85
	v_mul_f32_e32 v85, v83, v85
	s_waitcnt vmcnt(0)
	v_fma_f32 v83, v83, v86, -v87
	v_fmac_f32_e32 v85, v84, v86
	v_add_f32_e32 v82, v82, v83
	v_add_f32_e32 v76, v76, v85
	s_andn2_b64 exec, exec, s[8:9]
	s_cbranch_execnz .LBB36_101
; %bb.102:
	s_or_b64 exec, exec, s[8:9]
	v_mov_b32_e32 v79, 0
	ds_read_b64 v[79:80], v79 offset:176
	s_waitcnt lgkmcnt(0)
	v_mul_f32_e32 v81, v76, v80
	v_mul_f32_e32 v80, v82, v80
	v_fma_f32 v81, v82, v79, -v81
	v_fmac_f32_e32 v80, v76, v79
	buffer_store_dword v81, off, s[0:3], 0 offset:176
	buffer_store_dword v80, off, s[0:3], 0 offset:180
.LBB36_103:
	s_or_b64 exec, exec, s[4:5]
	; wave barrier
	buffer_load_dword v79, off, s[0:3], 0 offset:184
	buffer_load_dword v80, off, s[0:3], 0 offset:188
	v_cmp_gt_u32_e32 vcc, 23, v0
	s_waitcnt vmcnt(0)
	ds_write_b64 v78, v[79:80]
	s_waitcnt lgkmcnt(0)
	; wave barrier
	s_and_saveexec_b64 s[4:5], vcc
	s_cbranch_execz .LBB36_107
; %bb.104:
	v_add_u32_e32 v79, -1, v0
	v_add_u32_e32 v80, 0x130, v77
	v_mov_b32_e32 v81, v77
	v_mov_b32_e32 v76, 0
	s_mov_b64 s[8:9], 0
	v_mov_b32_e32 v82, 0
.LBB36_105:                             ; =>This Inner Loop Header: Depth=1
	buffer_load_dword v85, v81, s[0:3], 0 offen offset:4
	buffer_load_dword v86, v81, s[0:3], 0 offen
	ds_read_b64 v[83:84], v80
	v_add_u32_e32 v79, 1, v79
	v_cmp_lt_u32_e32 vcc, 21, v79
	v_add_u32_e32 v80, 8, v80
	v_add_u32_e32 v81, 8, v81
	s_or_b64 s[8:9], vcc, s[8:9]
	s_waitcnt vmcnt(1) lgkmcnt(0)
	v_mul_f32_e32 v87, v84, v85
	v_mul_f32_e32 v85, v83, v85
	s_waitcnt vmcnt(0)
	v_fma_f32 v83, v83, v86, -v87
	v_fmac_f32_e32 v85, v84, v86
	v_add_f32_e32 v82, v82, v83
	v_add_f32_e32 v76, v76, v85
	s_andn2_b64 exec, exec, s[8:9]
	s_cbranch_execnz .LBB36_105
; %bb.106:
	s_or_b64 exec, exec, s[8:9]
	v_mov_b32_e32 v79, 0
	ds_read_b64 v[79:80], v79 offset:184
	s_waitcnt lgkmcnt(0)
	v_mul_f32_e32 v81, v76, v80
	v_mul_f32_e32 v80, v82, v80
	v_fma_f32 v81, v82, v79, -v81
	v_fmac_f32_e32 v80, v76, v79
	buffer_store_dword v81, off, s[0:3], 0 offset:184
	buffer_store_dword v80, off, s[0:3], 0 offset:188
.LBB36_107:
	s_or_b64 exec, exec, s[4:5]
	; wave barrier
	buffer_load_dword v79, off, s[0:3], 0 offset:192
	buffer_load_dword v80, off, s[0:3], 0 offset:196
	v_cmp_gt_u32_e32 vcc, 24, v0
	s_waitcnt vmcnt(0)
	ds_write_b64 v78, v[79:80]
	;; [unrolled: 49-line block ×13, first 2 shown]
	s_waitcnt lgkmcnt(0)
	; wave barrier
	s_and_saveexec_b64 s[4:5], vcc
	s_cbranch_execz .LBB36_155
; %bb.152:
	v_add_u32_e32 v79, -1, v0
	v_add_u32_e32 v80, 0x130, v77
	v_mov_b32_e32 v81, v77
	v_mov_b32_e32 v76, 0
	s_mov_b64 s[8:9], 0
	v_mov_b32_e32 v82, 0
.LBB36_153:                             ; =>This Inner Loop Header: Depth=1
	buffer_load_dword v85, v81, s[0:3], 0 offen offset:4
	buffer_load_dword v86, v81, s[0:3], 0 offen
	ds_read_b64 v[83:84], v80
	v_add_u32_e32 v79, 1, v79
	v_cmp_lt_u32_e32 vcc, 33, v79
	v_add_u32_e32 v80, 8, v80
	v_add_u32_e32 v81, 8, v81
	s_or_b64 s[8:9], vcc, s[8:9]
	s_waitcnt vmcnt(1) lgkmcnt(0)
	v_mul_f32_e32 v87, v84, v85
	v_mul_f32_e32 v85, v83, v85
	s_waitcnt vmcnt(0)
	v_fma_f32 v83, v83, v86, -v87
	v_fmac_f32_e32 v85, v84, v86
	v_add_f32_e32 v82, v82, v83
	v_add_f32_e32 v76, v76, v85
	s_andn2_b64 exec, exec, s[8:9]
	s_cbranch_execnz .LBB36_153
; %bb.154:
	s_or_b64 exec, exec, s[8:9]
	v_mov_b32_e32 v79, 0
	ds_read_b64 v[79:80], v79 offset:280
	s_waitcnt lgkmcnt(0)
	v_mul_f32_e32 v81, v76, v80
	v_mul_f32_e32 v80, v82, v80
	v_fma_f32 v81, v82, v79, -v81
	v_fmac_f32_e32 v80, v76, v79
	buffer_store_dword v81, off, s[0:3], 0 offset:280
	buffer_store_dword v80, off, s[0:3], 0 offset:284
.LBB36_155:
	s_or_b64 exec, exec, s[4:5]
	; wave barrier
	buffer_load_dword v79, off, s[0:3], 0 offset:288
	buffer_load_dword v80, off, s[0:3], 0 offset:292
	v_cmp_ne_u32_e32 vcc, 36, v0
	s_waitcnt vmcnt(0)
	ds_write_b64 v78, v[79:80]
	s_waitcnt lgkmcnt(0)
	; wave barrier
	s_and_saveexec_b64 s[4:5], vcc
	s_cbranch_execz .LBB36_159
; %bb.156:
	v_add_u32_e32 v78, 0x130, v77
	v_mov_b32_e32 v76, 0
	s_mov_b64 s[8:9], 0
	v_mov_b32_e32 v79, 0
.LBB36_157:                             ; =>This Inner Loop Header: Depth=1
	buffer_load_dword v82, v77, s[0:3], 0 offen offset:4
	buffer_load_dword v83, v77, s[0:3], 0 offen
	ds_read_b64 v[80:81], v78
	v_add_u32_e32 v75, 1, v75
	v_cmp_lt_u32_e32 vcc, 34, v75
	v_add_u32_e32 v78, 8, v78
	v_add_u32_e32 v77, 8, v77
	s_or_b64 s[8:9], vcc, s[8:9]
	s_waitcnt vmcnt(1) lgkmcnt(0)
	v_mul_f32_e32 v84, v81, v82
	v_mul_f32_e32 v82, v80, v82
	s_waitcnt vmcnt(0)
	v_fma_f32 v80, v80, v83, -v84
	v_fmac_f32_e32 v82, v81, v83
	v_add_f32_e32 v79, v79, v80
	v_add_f32_e32 v76, v76, v82
	s_andn2_b64 exec, exec, s[8:9]
	s_cbranch_execnz .LBB36_157
; %bb.158:
	s_or_b64 exec, exec, s[8:9]
	v_mov_b32_e32 v75, 0
	ds_read_b64 v[77:78], v75 offset:288
	s_waitcnt lgkmcnt(0)
	v_mul_f32_e32 v75, v76, v78
	v_mul_f32_e32 v78, v79, v78
	v_fma_f32 v75, v79, v77, -v75
	v_fmac_f32_e32 v78, v76, v77
	buffer_store_dword v75, off, s[0:3], 0 offset:288
	buffer_store_dword v78, off, s[0:3], 0 offset:292
.LBB36_159:
	s_or_b64 exec, exec, s[4:5]
	s_mov_b64 s[8:9], -1
	; wave barrier
.LBB36_160:
	s_and_b64 vcc, exec, s[8:9]
	s_cbranch_vccz .LBB36_162
; %bb.161:
	s_lshl_b64 s[4:5], s[6:7], 2
	s_add_u32 s4, s10, s4
	s_addc_u32 s5, s11, s5
	v_mov_b32_e32 v75, 0
	global_load_dword v75, v75, s[4:5]
	s_waitcnt vmcnt(0)
	v_cmp_ne_u32_e32 vcc, 0, v75
	s_cbranch_vccz .LBB36_163
.LBB36_162:
	s_endpgm
.LBB36_163:
	v_mov_b32_e32 v75, 0x130
	v_lshl_add_u32 v75, v0, 3, v75
	v_cmp_eq_u32_e32 vcc, 36, v0
	s_and_saveexec_b64 s[4:5], vcc
	s_cbranch_execz .LBB36_165
; %bb.164:
	buffer_load_dword v76, off, s[0:3], 0 offset:280
	buffer_load_dword v77, off, s[0:3], 0 offset:284
	v_mov_b32_e32 v78, 0
	buffer_store_dword v78, off, s[0:3], 0 offset:280
	buffer_store_dword v78, off, s[0:3], 0 offset:284
	s_waitcnt vmcnt(2)
	ds_write_b64 v75, v[76:77]
.LBB36_165:
	s_or_b64 exec, exec, s[4:5]
	s_waitcnt lgkmcnt(0)
	; wave barrier
	buffer_load_dword v79, off, s[0:3], 0 offset:292
	buffer_load_dword v80, off, s[0:3], 0 offset:288
	;; [unrolled: 1-line block ×4, first 2 shown]
	v_mov_b32_e32 v76, 0
	ds_read_b64 v[77:78], v76 offset:592
	v_cmp_lt_u32_e32 vcc, 34, v0
	s_waitcnt vmcnt(3) lgkmcnt(0)
	v_mul_f32_e32 v83, v77, v79
	v_mul_f32_e32 v79, v78, v79
	s_waitcnt vmcnt(2)
	v_fma_f32 v77, v77, v80, -v79
	v_fmac_f32_e32 v83, v78, v80
	v_add_f32_e32 v77, 0, v77
	v_add_f32_e32 v78, 0, v83
	s_waitcnt vmcnt(1)
	v_sub_f32_e32 v77, v81, v77
	s_waitcnt vmcnt(0)
	v_sub_f32_e32 v78, v82, v78
	buffer_store_dword v77, off, s[0:3], 0 offset:280
	buffer_store_dword v78, off, s[0:3], 0 offset:284
	s_and_saveexec_b64 s[4:5], vcc
	s_cbranch_execz .LBB36_167
; %bb.166:
	buffer_load_dword v77, off, s[0:3], 0 offset:272
	buffer_load_dword v78, off, s[0:3], 0 offset:276
	s_waitcnt vmcnt(0)
	ds_write_b64 v75, v[77:78]
	buffer_store_dword v76, off, s[0:3], 0 offset:272
	buffer_store_dword v76, off, s[0:3], 0 offset:276
.LBB36_167:
	s_or_b64 exec, exec, s[4:5]
	s_waitcnt lgkmcnt(0)
	; wave barrier
	buffer_load_dword v80, off, s[0:3], 0 offset:284
	buffer_load_dword v81, off, s[0:3], 0 offset:292
	;; [unrolled: 1-line block ×6, first 2 shown]
	ds_read2_b64 v[76:79], v76 offset0:73 offset1:74
	v_cmp_lt_u32_e32 vcc, 33, v0
	s_waitcnt vmcnt(5) lgkmcnt(0)
	v_mul_f32_e32 v86, v76, v80
	v_mul_f32_e32 v80, v77, v80
	s_waitcnt vmcnt(4)
	v_mul_f32_e32 v87, v78, v81
	v_mul_f32_e32 v81, v79, v81
	s_waitcnt vmcnt(3)
	v_fma_f32 v76, v76, v82, -v80
	v_fmac_f32_e32 v86, v77, v82
	s_waitcnt vmcnt(2)
	v_fma_f32 v77, v78, v83, -v81
	v_add_f32_e32 v76, 0, v76
	v_fmac_f32_e32 v87, v79, v83
	v_add_f32_e32 v78, 0, v86
	v_add_f32_e32 v76, v76, v77
	;; [unrolled: 1-line block ×3, first 2 shown]
	s_waitcnt vmcnt(1)
	v_sub_f32_e32 v76, v84, v76
	s_waitcnt vmcnt(0)
	v_sub_f32_e32 v77, v85, v78
	buffer_store_dword v76, off, s[0:3], 0 offset:272
	buffer_store_dword v77, off, s[0:3], 0 offset:276
	s_and_saveexec_b64 s[4:5], vcc
	s_cbranch_execz .LBB36_169
; %bb.168:
	buffer_load_dword v76, off, s[0:3], 0 offset:264
	buffer_load_dword v77, off, s[0:3], 0 offset:268
	v_mov_b32_e32 v78, 0
	buffer_store_dword v78, off, s[0:3], 0 offset:264
	buffer_store_dword v78, off, s[0:3], 0 offset:268
	s_waitcnt vmcnt(2)
	ds_write_b64 v75, v[76:77]
.LBB36_169:
	s_or_b64 exec, exec, s[4:5]
	s_waitcnt lgkmcnt(0)
	; wave barrier
	buffer_load_dword v83, off, s[0:3], 0 offset:276
	buffer_load_dword v84, off, s[0:3], 0 offset:284
	;; [unrolled: 1-line block ×8, first 2 shown]
	v_mov_b32_e32 v76, 0
	ds_read_b128 v[77:80], v76 offset:576
	ds_read_b64 v[81:82], v76 offset:592
	v_cmp_lt_u32_e32 vcc, 32, v0
	s_waitcnt vmcnt(7) lgkmcnt(1)
	v_mul_f32_e32 v91, v77, v83
	v_mul_f32_e32 v83, v78, v83
	s_waitcnt vmcnt(6)
	v_mul_f32_e32 v92, v79, v84
	v_mul_f32_e32 v84, v80, v84
	s_waitcnt vmcnt(4)
	v_fma_f32 v77, v77, v86, -v83
	s_waitcnt lgkmcnt(0)
	v_mul_f32_e32 v93, v81, v85
	v_mul_f32_e32 v85, v82, v85
	v_fmac_f32_e32 v91, v78, v86
	s_waitcnt vmcnt(3)
	v_fma_f32 v78, v79, v87, -v84
	v_add_f32_e32 v77, 0, v77
	v_fmac_f32_e32 v92, v80, v87
	s_waitcnt vmcnt(2)
	v_fma_f32 v79, v81, v88, -v85
	v_add_f32_e32 v80, 0, v91
	v_add_f32_e32 v77, v77, v78
	v_fmac_f32_e32 v93, v82, v88
	v_add_f32_e32 v80, v80, v92
	v_add_f32_e32 v77, v77, v79
	v_add_f32_e32 v78, v80, v93
	s_waitcnt vmcnt(1)
	v_sub_f32_e32 v77, v89, v77
	s_waitcnt vmcnt(0)
	v_sub_f32_e32 v78, v90, v78
	buffer_store_dword v77, off, s[0:3], 0 offset:264
	buffer_store_dword v78, off, s[0:3], 0 offset:268
	s_and_saveexec_b64 s[4:5], vcc
	s_cbranch_execz .LBB36_171
; %bb.170:
	buffer_load_dword v77, off, s[0:3], 0 offset:256
	buffer_load_dword v78, off, s[0:3], 0 offset:260
	s_waitcnt vmcnt(0)
	ds_write_b64 v75, v[77:78]
	buffer_store_dword v76, off, s[0:3], 0 offset:256
	buffer_store_dword v76, off, s[0:3], 0 offset:260
.LBB36_171:
	s_or_b64 exec, exec, s[4:5]
	s_waitcnt lgkmcnt(0)
	; wave barrier
	buffer_load_dword v85, off, s[0:3], 0 offset:268
	buffer_load_dword v86, off, s[0:3], 0 offset:276
	;; [unrolled: 1-line block ×10, first 2 shown]
	ds_read2_b64 v[77:80], v76 offset0:71 offset1:72
	ds_read2_b64 v[81:84], v76 offset0:73 offset1:74
	v_cmp_lt_u32_e32 vcc, 31, v0
	s_waitcnt vmcnt(9) lgkmcnt(1)
	v_mul_f32_e32 v76, v77, v85
	v_mul_f32_e32 v85, v78, v85
	s_waitcnt vmcnt(8)
	v_mul_f32_e32 v95, v79, v86
	v_mul_f32_e32 v86, v80, v86
	s_waitcnt vmcnt(5)
	v_fma_f32 v77, v77, v89, -v85
	s_waitcnt lgkmcnt(0)
	v_mul_f32_e32 v96, v81, v87
	v_mul_f32_e32 v87, v82, v87
	v_fmac_f32_e32 v76, v78, v89
	s_waitcnt vmcnt(4)
	v_fma_f32 v78, v79, v90, -v86
	v_add_f32_e32 v77, 0, v77
	v_mul_f32_e32 v97, v83, v88
	v_mul_f32_e32 v88, v84, v88
	v_fmac_f32_e32 v95, v80, v90
	s_waitcnt vmcnt(3)
	v_fma_f32 v79, v81, v91, -v87
	v_add_f32_e32 v76, 0, v76
	v_add_f32_e32 v77, v77, v78
	v_fmac_f32_e32 v96, v82, v91
	s_waitcnt vmcnt(2)
	v_fma_f32 v80, v83, v92, -v88
	v_add_f32_e32 v76, v76, v95
	v_add_f32_e32 v77, v77, v79
	v_fmac_f32_e32 v97, v84, v92
	v_add_f32_e32 v76, v76, v96
	v_add_f32_e32 v77, v77, v80
	;; [unrolled: 1-line block ×3, first 2 shown]
	s_waitcnt vmcnt(1)
	v_sub_f32_e32 v77, v93, v77
	s_waitcnt vmcnt(0)
	v_sub_f32_e32 v76, v94, v76
	buffer_store_dword v77, off, s[0:3], 0 offset:256
	buffer_store_dword v76, off, s[0:3], 0 offset:260
	s_and_saveexec_b64 s[4:5], vcc
	s_cbranch_execz .LBB36_173
; %bb.172:
	buffer_load_dword v76, off, s[0:3], 0 offset:248
	buffer_load_dword v77, off, s[0:3], 0 offset:252
	v_mov_b32_e32 v78, 0
	buffer_store_dword v78, off, s[0:3], 0 offset:248
	buffer_store_dword v78, off, s[0:3], 0 offset:252
	s_waitcnt vmcnt(2)
	ds_write_b64 v75, v[76:77]
.LBB36_173:
	s_or_b64 exec, exec, s[4:5]
	s_waitcnt lgkmcnt(0)
	; wave barrier
	buffer_load_dword v87, off, s[0:3], 0 offset:260
	buffer_load_dword v88, off, s[0:3], 0 offset:268
	;; [unrolled: 1-line block ×12, first 2 shown]
	v_mov_b32_e32 v76, 0
	ds_read_b128 v[77:80], v76 offset:560
	ds_read_b128 v[81:84], v76 offset:576
	ds_read_b64 v[85:86], v76 offset:592
	v_cmp_lt_u32_e32 vcc, 30, v0
	s_waitcnt vmcnt(11) lgkmcnt(2)
	v_mul_f32_e32 v99, v77, v87
	v_mul_f32_e32 v87, v78, v87
	s_waitcnt vmcnt(10)
	v_mul_f32_e32 v100, v79, v88
	v_mul_f32_e32 v88, v80, v88
	s_waitcnt vmcnt(9) lgkmcnt(1)
	v_mul_f32_e32 v101, v81, v89
	s_waitcnt vmcnt(6)
	v_fma_f32 v77, v77, v92, -v87
	v_mul_f32_e32 v89, v82, v89
	v_fmac_f32_e32 v99, v78, v92
	s_waitcnt vmcnt(5)
	v_fma_f32 v78, v79, v93, -v88
	v_add_f32_e32 v77, 0, v77
	v_mul_f32_e32 v102, v83, v90
	v_mul_f32_e32 v90, v84, v90
	v_fmac_f32_e32 v100, v80, v93
	s_waitcnt vmcnt(4)
	v_fmac_f32_e32 v101, v82, v94
	v_fma_f32 v79, v81, v94, -v89
	v_add_f32_e32 v82, 0, v99
	v_add_f32_e32 v77, v77, v78
	s_waitcnt lgkmcnt(0)
	v_mul_f32_e32 v103, v85, v91
	v_mul_f32_e32 v91, v86, v91
	s_waitcnt vmcnt(3)
	v_fma_f32 v80, v83, v95, -v90
	v_add_f32_e32 v82, v82, v100
	v_add_f32_e32 v77, v77, v79
	v_fmac_f32_e32 v102, v84, v95
	s_waitcnt vmcnt(2)
	v_fma_f32 v81, v85, v96, -v91
	v_add_f32_e32 v78, v82, v101
	v_add_f32_e32 v77, v77, v80
	v_fmac_f32_e32 v103, v86, v96
	v_add_f32_e32 v78, v78, v102
	v_add_f32_e32 v77, v77, v81
	;; [unrolled: 1-line block ×3, first 2 shown]
	s_waitcnt vmcnt(1)
	v_sub_f32_e32 v77, v97, v77
	s_waitcnt vmcnt(0)
	v_sub_f32_e32 v78, v98, v78
	buffer_store_dword v77, off, s[0:3], 0 offset:248
	buffer_store_dword v78, off, s[0:3], 0 offset:252
	s_and_saveexec_b64 s[4:5], vcc
	s_cbranch_execz .LBB36_175
; %bb.174:
	buffer_load_dword v77, off, s[0:3], 0 offset:240
	buffer_load_dword v78, off, s[0:3], 0 offset:244
	s_waitcnt vmcnt(0)
	ds_write_b64 v75, v[77:78]
	buffer_store_dword v76, off, s[0:3], 0 offset:240
	buffer_store_dword v76, off, s[0:3], 0 offset:244
.LBB36_175:
	s_or_b64 exec, exec, s[4:5]
	s_waitcnt lgkmcnt(0)
	; wave barrier
	buffer_load_dword v89, off, s[0:3], 0 offset:252
	buffer_load_dword v90, off, s[0:3], 0 offset:260
	;; [unrolled: 1-line block ×14, first 2 shown]
	ds_read2_b64 v[77:80], v76 offset0:69 offset1:70
	ds_read2_b64 v[81:84], v76 offset0:71 offset1:72
	;; [unrolled: 1-line block ×3, first 2 shown]
	v_cmp_lt_u32_e32 vcc, 29, v0
	s_waitcnt vmcnt(13) lgkmcnt(2)
	v_mul_f32_e32 v76, v77, v89
	v_mul_f32_e32 v89, v78, v89
	s_waitcnt vmcnt(12)
	v_mul_f32_e32 v103, v79, v90
	v_mul_f32_e32 v90, v80, v90
	s_waitcnt vmcnt(11) lgkmcnt(1)
	v_mul_f32_e32 v104, v81, v91
	v_mul_f32_e32 v91, v82, v91
	s_waitcnt vmcnt(7)
	v_fma_f32 v77, v77, v95, -v89
	v_fmac_f32_e32 v76, v78, v95
	s_waitcnt vmcnt(6)
	v_fma_f32 v78, v79, v96, -v90
	v_add_f32_e32 v77, 0, v77
	v_mul_f32_e32 v105, v83, v92
	v_mul_f32_e32 v92, v84, v92
	v_fmac_f32_e32 v103, v80, v96
	s_waitcnt vmcnt(5)
	v_fma_f32 v79, v81, v97, -v91
	v_add_f32_e32 v76, 0, v76
	v_add_f32_e32 v77, v77, v78
	s_waitcnt lgkmcnt(0)
	v_mul_f32_e32 v106, v85, v93
	v_mul_f32_e32 v93, v86, v93
	v_fmac_f32_e32 v104, v82, v97
	s_waitcnt vmcnt(4)
	v_fma_f32 v80, v83, v98, -v92
	v_add_f32_e32 v76, v76, v103
	v_add_f32_e32 v77, v77, v79
	v_mul_f32_e32 v107, v87, v94
	v_mul_f32_e32 v94, v88, v94
	v_fmac_f32_e32 v105, v84, v98
	s_waitcnt vmcnt(3)
	v_fma_f32 v81, v85, v99, -v93
	v_add_f32_e32 v76, v76, v104
	v_add_f32_e32 v77, v77, v80
	v_fmac_f32_e32 v106, v86, v99
	s_waitcnt vmcnt(2)
	v_fma_f32 v82, v87, v100, -v94
	v_add_f32_e32 v76, v76, v105
	v_add_f32_e32 v77, v77, v81
	v_fmac_f32_e32 v107, v88, v100
	v_add_f32_e32 v76, v76, v106
	v_add_f32_e32 v77, v77, v82
	;; [unrolled: 1-line block ×3, first 2 shown]
	s_waitcnt vmcnt(1)
	v_sub_f32_e32 v77, v101, v77
	s_waitcnt vmcnt(0)
	v_sub_f32_e32 v76, v102, v76
	buffer_store_dword v77, off, s[0:3], 0 offset:240
	buffer_store_dword v76, off, s[0:3], 0 offset:244
	s_and_saveexec_b64 s[4:5], vcc
	s_cbranch_execz .LBB36_177
; %bb.176:
	buffer_load_dword v76, off, s[0:3], 0 offset:232
	buffer_load_dword v77, off, s[0:3], 0 offset:236
	v_mov_b32_e32 v78, 0
	buffer_store_dword v78, off, s[0:3], 0 offset:232
	buffer_store_dword v78, off, s[0:3], 0 offset:236
	s_waitcnt vmcnt(2)
	ds_write_b64 v75, v[76:77]
.LBB36_177:
	s_or_b64 exec, exec, s[4:5]
	s_waitcnt lgkmcnt(0)
	; wave barrier
	buffer_load_dword v91, off, s[0:3], 0 offset:244
	buffer_load_dword v92, off, s[0:3], 0 offset:252
	;; [unrolled: 1-line block ×16, first 2 shown]
	v_mov_b32_e32 v76, 0
	ds_read_b128 v[77:80], v76 offset:544
	ds_read_b128 v[81:84], v76 offset:560
	;; [unrolled: 1-line block ×3, first 2 shown]
	ds_read_b64 v[89:90], v76 offset:592
	v_cmp_lt_u32_e32 vcc, 28, v0
	s_waitcnt vmcnt(15) lgkmcnt(3)
	v_mul_f32_e32 v107, v77, v91
	v_mul_f32_e32 v91, v78, v91
	s_waitcnt vmcnt(14)
	v_mul_f32_e32 v108, v79, v92
	v_mul_f32_e32 v92, v80, v92
	s_waitcnt vmcnt(13) lgkmcnt(2)
	v_mul_f32_e32 v109, v81, v93
	s_waitcnt vmcnt(12)
	v_mul_f32_e32 v110, v83, v94
	v_mul_f32_e32 v93, v82, v93
	s_waitcnt vmcnt(8)
	v_fma_f32 v77, v77, v98, -v91
	v_fmac_f32_e32 v107, v78, v98
	s_waitcnt vmcnt(7)
	v_fma_f32 v78, v79, v99, -v92
	v_add_f32_e32 v77, 0, v77
	v_mul_f32_e32 v94, v84, v94
	v_fmac_f32_e32 v108, v80, v99
	s_waitcnt vmcnt(5)
	v_fmac_f32_e32 v110, v84, v101
	v_fma_f32 v79, v81, v100, -v93
	v_add_f32_e32 v84, 0, v107
	v_add_f32_e32 v77, v77, v78
	s_waitcnt lgkmcnt(1)
	v_mul_f32_e32 v111, v85, v95
	v_mul_f32_e32 v95, v86, v95
	v_fmac_f32_e32 v109, v82, v100
	v_fma_f32 v80, v83, v101, -v94
	v_add_f32_e32 v84, v84, v108
	v_add_f32_e32 v77, v77, v79
	v_mul_f32_e32 v112, v87, v96
	v_mul_f32_e32 v96, v88, v96
	s_waitcnt vmcnt(4)
	v_fma_f32 v81, v85, v102, -v95
	v_add_f32_e32 v78, v84, v109
	v_add_f32_e32 v77, v77, v80
	s_waitcnt lgkmcnt(0)
	v_mul_f32_e32 v113, v89, v97
	v_mul_f32_e32 v97, v90, v97
	v_fmac_f32_e32 v111, v86, v102
	s_waitcnt vmcnt(3)
	v_fma_f32 v82, v87, v103, -v96
	v_add_f32_e32 v78, v78, v110
	v_add_f32_e32 v77, v77, v81
	v_fmac_f32_e32 v112, v88, v103
	s_waitcnt vmcnt(2)
	v_fma_f32 v83, v89, v104, -v97
	v_add_f32_e32 v78, v78, v111
	v_add_f32_e32 v77, v77, v82
	v_fmac_f32_e32 v113, v90, v104
	v_add_f32_e32 v78, v78, v112
	v_add_f32_e32 v77, v77, v83
	;; [unrolled: 1-line block ×3, first 2 shown]
	s_waitcnt vmcnt(1)
	v_sub_f32_e32 v77, v105, v77
	s_waitcnt vmcnt(0)
	v_sub_f32_e32 v78, v106, v78
	buffer_store_dword v77, off, s[0:3], 0 offset:232
	buffer_store_dword v78, off, s[0:3], 0 offset:236
	s_and_saveexec_b64 s[4:5], vcc
	s_cbranch_execz .LBB36_179
; %bb.178:
	buffer_load_dword v77, off, s[0:3], 0 offset:224
	buffer_load_dword v78, off, s[0:3], 0 offset:228
	s_waitcnt vmcnt(0)
	ds_write_b64 v75, v[77:78]
	buffer_store_dword v76, off, s[0:3], 0 offset:224
	buffer_store_dword v76, off, s[0:3], 0 offset:228
.LBB36_179:
	s_or_b64 exec, exec, s[4:5]
	s_waitcnt lgkmcnt(0)
	; wave barrier
	buffer_load_dword v93, off, s[0:3], 0 offset:236
	buffer_load_dword v94, off, s[0:3], 0 offset:244
	;; [unrolled: 1-line block ×18, first 2 shown]
	ds_read2_b64 v[77:80], v76 offset0:67 offset1:68
	ds_read2_b64 v[81:84], v76 offset0:69 offset1:70
	;; [unrolled: 1-line block ×4, first 2 shown]
	v_cmp_lt_u32_e32 vcc, 27, v0
	s_waitcnt vmcnt(17) lgkmcnt(3)
	v_mul_f32_e32 v76, v77, v93
	v_mul_f32_e32 v93, v78, v93
	s_waitcnt vmcnt(16)
	v_mul_f32_e32 v111, v79, v94
	v_mul_f32_e32 v94, v80, v94
	s_waitcnt vmcnt(15) lgkmcnt(2)
	v_mul_f32_e32 v112, v81, v95
	v_mul_f32_e32 v95, v82, v95
	s_waitcnt vmcnt(14)
	v_mul_f32_e32 v113, v83, v96
	v_mul_f32_e32 v96, v84, v96
	s_waitcnt vmcnt(9)
	v_fma_f32 v77, v77, v101, -v93
	v_fmac_f32_e32 v76, v78, v101
	s_waitcnt vmcnt(8)
	v_fma_f32 v78, v79, v102, -v94
	v_add_f32_e32 v77, 0, v77
	v_fmac_f32_e32 v111, v80, v102
	s_waitcnt vmcnt(7)
	v_fma_f32 v79, v81, v103, -v95
	v_add_f32_e32 v76, 0, v76
	v_add_f32_e32 v77, v77, v78
	s_waitcnt lgkmcnt(1)
	v_mul_f32_e32 v114, v85, v97
	v_mul_f32_e32 v97, v86, v97
	v_fmac_f32_e32 v112, v82, v103
	s_waitcnt vmcnt(6)
	v_fma_f32 v80, v83, v104, -v96
	v_add_f32_e32 v76, v76, v111
	v_add_f32_e32 v77, v77, v79
	v_mul_f32_e32 v115, v87, v98
	v_mul_f32_e32 v98, v88, v98
	v_fmac_f32_e32 v113, v84, v104
	s_waitcnt vmcnt(5)
	v_fma_f32 v81, v85, v105, -v97
	v_add_f32_e32 v76, v76, v112
	v_add_f32_e32 v77, v77, v80
	s_waitcnt lgkmcnt(0)
	v_mul_f32_e32 v116, v89, v99
	v_mul_f32_e32 v99, v90, v99
	v_fmac_f32_e32 v114, v86, v105
	s_waitcnt vmcnt(4)
	v_fma_f32 v82, v87, v106, -v98
	v_add_f32_e32 v76, v76, v113
	v_add_f32_e32 v77, v77, v81
	v_mul_f32_e32 v117, v91, v100
	v_mul_f32_e32 v100, v92, v100
	v_fmac_f32_e32 v115, v88, v106
	s_waitcnt vmcnt(3)
	v_fma_f32 v83, v89, v107, -v99
	v_add_f32_e32 v76, v76, v114
	v_add_f32_e32 v77, v77, v82
	v_fmac_f32_e32 v116, v90, v107
	s_waitcnt vmcnt(2)
	v_fma_f32 v84, v91, v108, -v100
	v_add_f32_e32 v76, v76, v115
	v_add_f32_e32 v77, v77, v83
	v_fmac_f32_e32 v117, v92, v108
	v_add_f32_e32 v76, v76, v116
	v_add_f32_e32 v77, v77, v84
	;; [unrolled: 1-line block ×3, first 2 shown]
	s_waitcnt vmcnt(1)
	v_sub_f32_e32 v77, v109, v77
	s_waitcnt vmcnt(0)
	v_sub_f32_e32 v76, v110, v76
	buffer_store_dword v77, off, s[0:3], 0 offset:224
	buffer_store_dword v76, off, s[0:3], 0 offset:228
	s_and_saveexec_b64 s[4:5], vcc
	s_cbranch_execz .LBB36_181
; %bb.180:
	buffer_load_dword v76, off, s[0:3], 0 offset:216
	buffer_load_dword v77, off, s[0:3], 0 offset:220
	v_mov_b32_e32 v78, 0
	buffer_store_dword v78, off, s[0:3], 0 offset:216
	buffer_store_dword v78, off, s[0:3], 0 offset:220
	s_waitcnt vmcnt(2)
	ds_write_b64 v75, v[76:77]
.LBB36_181:
	s_or_b64 exec, exec, s[4:5]
	s_waitcnt lgkmcnt(0)
	; wave barrier
	buffer_load_dword v95, off, s[0:3], 0 offset:228
	buffer_load_dword v96, off, s[0:3], 0 offset:236
	;; [unrolled: 1-line block ×20, first 2 shown]
	v_mov_b32_e32 v76, 0
	ds_read_b128 v[77:80], v76 offset:528
	ds_read_b128 v[81:84], v76 offset:544
	;; [unrolled: 1-line block ×4, first 2 shown]
	ds_read_b64 v[93:94], v76 offset:592
	v_cmp_lt_u32_e32 vcc, 26, v0
	s_waitcnt vmcnt(19) lgkmcnt(4)
	v_mul_f32_e32 v115, v77, v95
	v_mul_f32_e32 v95, v78, v95
	s_waitcnt vmcnt(18)
	v_mul_f32_e32 v116, v79, v96
	v_mul_f32_e32 v96, v80, v96
	s_waitcnt vmcnt(17) lgkmcnt(3)
	v_mul_f32_e32 v117, v81, v97
	s_waitcnt vmcnt(15) lgkmcnt(2)
	v_mul_f32_e32 v119, v85, v99
	v_mul_f32_e32 v97, v82, v97
	;; [unrolled: 1-line block ×4, first 2 shown]
	s_waitcnt vmcnt(10)
	v_fma_f32 v77, v77, v104, -v95
	v_fmac_f32_e32 v115, v78, v104
	s_waitcnt vmcnt(9)
	v_fma_f32 v78, v79, v105, -v96
	v_add_f32_e32 v77, 0, v77
	v_mul_f32_e32 v99, v86, v99
	v_fmac_f32_e32 v116, v80, v105
	s_waitcnt vmcnt(6)
	v_fmac_f32_e32 v119, v86, v108
	v_fma_f32 v79, v81, v106, -v97
	v_add_f32_e32 v86, 0, v115
	v_add_f32_e32 v77, v77, v78
	v_fmac_f32_e32 v117, v82, v106
	v_fma_f32 v80, v83, v107, -v98
	v_add_f32_e32 v86, v86, v116
	v_add_f32_e32 v77, v77, v79
	v_mul_f32_e32 v120, v87, v100
	v_mul_f32_e32 v100, v88, v100
	v_fmac_f32_e32 v118, v84, v107
	v_fma_f32 v81, v85, v108, -v99
	v_add_f32_e32 v78, v86, v117
	v_add_f32_e32 v77, v77, v80
	s_waitcnt lgkmcnt(1)
	v_mul_f32_e32 v121, v89, v101
	v_mul_f32_e32 v101, v90, v101
	s_waitcnt vmcnt(5)
	v_fma_f32 v82, v87, v109, -v100
	v_add_f32_e32 v78, v78, v118
	v_add_f32_e32 v77, v77, v81
	v_mul_f32_e32 v122, v91, v102
	v_mul_f32_e32 v102, v92, v102
	v_fmac_f32_e32 v120, v88, v109
	s_waitcnt vmcnt(4)
	v_fma_f32 v83, v89, v110, -v101
	v_add_f32_e32 v78, v78, v119
	v_add_f32_e32 v77, v77, v82
	s_waitcnt lgkmcnt(0)
	v_mul_f32_e32 v123, v93, v103
	v_mul_f32_e32 v103, v94, v103
	v_fmac_f32_e32 v121, v90, v110
	s_waitcnt vmcnt(3)
	v_fma_f32 v84, v91, v111, -v102
	v_add_f32_e32 v78, v78, v120
	v_add_f32_e32 v77, v77, v83
	v_fmac_f32_e32 v122, v92, v111
	s_waitcnt vmcnt(2)
	v_fma_f32 v85, v93, v112, -v103
	v_add_f32_e32 v78, v78, v121
	v_add_f32_e32 v77, v77, v84
	v_fmac_f32_e32 v123, v94, v112
	v_add_f32_e32 v78, v78, v122
	v_add_f32_e32 v77, v77, v85
	;; [unrolled: 1-line block ×3, first 2 shown]
	s_waitcnt vmcnt(1)
	v_sub_f32_e32 v77, v113, v77
	s_waitcnt vmcnt(0)
	v_sub_f32_e32 v78, v114, v78
	buffer_store_dword v77, off, s[0:3], 0 offset:216
	buffer_store_dword v78, off, s[0:3], 0 offset:220
	s_and_saveexec_b64 s[4:5], vcc
	s_cbranch_execz .LBB36_183
; %bb.182:
	buffer_load_dword v77, off, s[0:3], 0 offset:208
	buffer_load_dword v78, off, s[0:3], 0 offset:212
	s_waitcnt vmcnt(0)
	ds_write_b64 v75, v[77:78]
	buffer_store_dword v76, off, s[0:3], 0 offset:208
	buffer_store_dword v76, off, s[0:3], 0 offset:212
.LBB36_183:
	s_or_b64 exec, exec, s[4:5]
	s_waitcnt lgkmcnt(0)
	; wave barrier
	ds_read2_b64 v[77:80], v76 offset0:65 offset1:66
	buffer_load_dword v97, off, s[0:3], 0 offset:208
	buffer_load_dword v98, off, s[0:3], 0 offset:212
	;; [unrolled: 1-line block ×16, first 2 shown]
	v_cmp_lt_u32_e32 vcc, 25, v0
	s_waitcnt vmcnt(12) lgkmcnt(0)
	v_mul_f32_e32 v81, v77, v100
	v_fmac_f32_e32 v81, v78, v99
	s_waitcnt vmcnt(10)
	v_mul_f32_e32 v82, v79, v102
	v_add_f32_e32 v81, 0, v81
	v_fmac_f32_e32 v82, v80, v101
	v_add_f32_e32 v85, v81, v82
	ds_read2_b64 v[81:84], v76 offset0:67 offset1:68
	v_mul_f32_e32 v78, v78, v100
	v_fma_f32 v77, v77, v99, -v78
	v_mul_f32_e32 v78, v80, v102
	v_add_f32_e32 v77, 0, v77
	s_waitcnt vmcnt(8) lgkmcnt(0)
	v_mul_f32_e32 v86, v81, v104
	v_fmac_f32_e32 v86, v82, v103
	v_add_f32_e32 v85, v85, v86
	s_waitcnt vmcnt(6)
	v_mul_f32_e32 v86, v83, v106
	v_fmac_f32_e32 v86, v84, v105
	v_add_f32_e32 v89, v85, v86
	ds_read2_b64 v[85:88], v76 offset0:69 offset1:70
	v_fma_f32 v78, v79, v101, -v78
	v_add_f32_e32 v77, v77, v78
	v_mul_f32_e32 v78, v82, v104
	v_fma_f32 v78, v81, v103, -v78
	s_waitcnt vmcnt(4) lgkmcnt(0)
	v_mul_f32_e32 v90, v85, v108
	v_fmac_f32_e32 v90, v86, v107
	v_add_f32_e32 v89, v89, v90
	s_waitcnt vmcnt(2)
	v_mul_f32_e32 v90, v87, v110
	v_fmac_f32_e32 v90, v88, v109
	v_add_f32_e32 v93, v89, v90
	ds_read2_b64 v[89:92], v76 offset0:71 offset1:72
	buffer_load_dword v113, off, s[0:3], 0 offset:272
	buffer_load_dword v114, off, s[0:3], 0 offset:276
	v_add_f32_e32 v77, v77, v78
	v_mul_f32_e32 v78, v84, v106
	v_fma_f32 v78, v83, v105, -v78
	s_waitcnt vmcnt(2) lgkmcnt(0)
	v_mul_f32_e32 v94, v89, v112
	v_fmac_f32_e32 v94, v90, v111
	v_add_f32_e32 v93, v93, v94
	v_add_f32_e32 v77, v77, v78
	v_mul_f32_e32 v78, v86, v108
	v_fma_f32 v78, v85, v107, -v78
	v_add_f32_e32 v77, v77, v78
	v_mul_f32_e32 v78, v88, v110
	v_fma_f32 v78, v87, v109, -v78
	v_add_f32_e32 v77, v77, v78
	v_mul_f32_e32 v78, v90, v112
	v_fma_f32 v78, v89, v111, -v78
	v_add_f32_e32 v77, v77, v78
	s_waitcnt vmcnt(0)
	v_mul_f32_e32 v94, v91, v114
	v_fmac_f32_e32 v94, v92, v113
	v_add_f32_e32 v115, v93, v94
	ds_read2_b64 v[93:96], v76 offset0:73 offset1:74
	buffer_load_dword v76, off, s[0:3], 0 offset:280
	buffer_load_dword v116, off, s[0:3], 0 offset:284
	v_mul_f32_e32 v78, v92, v114
	v_fma_f32 v78, v91, v113, -v78
	v_add_f32_e32 v77, v77, v78
	s_waitcnt vmcnt(0) lgkmcnt(0)
	v_mul_f32_e32 v117, v93, v116
	v_fmac_f32_e32 v117, v94, v76
	v_add_f32_e32 v115, v115, v117
	buffer_load_dword v117, off, s[0:3], 0 offset:288
	buffer_load_dword v118, off, s[0:3], 0 offset:292
	v_mul_f32_e32 v78, v94, v116
	v_fma_f32 v76, v93, v76, -v78
	v_add_f32_e32 v76, v77, v76
	s_waitcnt vmcnt(0)
	v_mul_f32_e32 v77, v96, v118
	v_mul_f32_e32 v119, v95, v118
	v_fma_f32 v77, v95, v117, -v77
	v_fmac_f32_e32 v119, v96, v117
	v_add_f32_e32 v76, v76, v77
	v_add_f32_e32 v115, v115, v119
	v_sub_f32_e32 v76, v97, v76
	v_sub_f32_e32 v77, v98, v115
	buffer_store_dword v76, off, s[0:3], 0 offset:208
	buffer_store_dword v77, off, s[0:3], 0 offset:212
	s_and_saveexec_b64 s[4:5], vcc
	s_cbranch_execz .LBB36_185
; %bb.184:
	buffer_load_dword v76, off, s[0:3], 0 offset:200
	buffer_load_dword v77, off, s[0:3], 0 offset:204
	v_mov_b32_e32 v78, 0
	buffer_store_dword v78, off, s[0:3], 0 offset:200
	buffer_store_dword v78, off, s[0:3], 0 offset:204
	s_waitcnt vmcnt(2)
	ds_write_b64 v75, v[76:77]
.LBB36_185:
	s_or_b64 exec, exec, s[4:5]
	v_mov_b32_e32 v76, 0
	s_waitcnt lgkmcnt(0)
	; wave barrier
	ds_read_b128 v[77:80], v76 offset:512
	ds_read_b128 v[81:84], v76 offset:528
	;; [unrolled: 1-line block ×4, first 2 shown]
	buffer_load_dword v99, off, s[0:3], 0 offset:200
	buffer_load_dword v100, off, s[0:3], 0 offset:204
	buffer_load_dword v101, off, s[0:3], 0 offset:208
	buffer_load_dword v102, off, s[0:3], 0 offset:212
	buffer_load_dword v103, off, s[0:3], 0 offset:216
	buffer_load_dword v104, off, s[0:3], 0 offset:220
	buffer_load_dword v105, off, s[0:3], 0 offset:224
	buffer_load_dword v106, off, s[0:3], 0 offset:228
	buffer_load_dword v107, off, s[0:3], 0 offset:232
	buffer_load_dword v108, off, s[0:3], 0 offset:236
	buffer_load_dword v109, off, s[0:3], 0 offset:240
	buffer_load_dword v110, off, s[0:3], 0 offset:244
	buffer_load_dword v111, off, s[0:3], 0 offset:248
	buffer_load_dword v112, off, s[0:3], 0 offset:252
	buffer_load_dword v113, off, s[0:3], 0 offset:256
	buffer_load_dword v114, off, s[0:3], 0 offset:260
	buffer_load_dword v115, off, s[0:3], 0 offset:264
	buffer_load_dword v116, off, s[0:3], 0 offset:268
	v_cmp_lt_u32_e32 vcc, 24, v0
	s_waitcnt vmcnt(14) lgkmcnt(3)
	v_mul_f32_e32 v93, v77, v102
	v_fmac_f32_e32 v93, v78, v101
	s_waitcnt vmcnt(12)
	v_mul_f32_e32 v94, v79, v104
	v_add_f32_e32 v93, 0, v93
	v_fmac_f32_e32 v94, v80, v103
	v_add_f32_e32 v93, v93, v94
	s_waitcnt vmcnt(10) lgkmcnt(2)
	v_mul_f32_e32 v94, v81, v106
	v_fmac_f32_e32 v94, v82, v105
	v_add_f32_e32 v93, v93, v94
	s_waitcnt vmcnt(8)
	v_mul_f32_e32 v94, v83, v108
	v_fmac_f32_e32 v94, v84, v107
	v_add_f32_e32 v93, v93, v94
	s_waitcnt vmcnt(6) lgkmcnt(1)
	v_mul_f32_e32 v94, v85, v110
	v_fmac_f32_e32 v94, v86, v109
	v_add_f32_e32 v93, v93, v94
	s_waitcnt vmcnt(4)
	v_mul_f32_e32 v94, v87, v112
	;; [unrolled: 8-line block ×3, first 2 shown]
	v_fmac_f32_e32 v94, v92, v115
	v_add_f32_e32 v97, v93, v94
	ds_read_b128 v[93:96], v76 offset:576
	buffer_load_dword v117, off, s[0:3], 0 offset:272
	buffer_load_dword v118, off, s[0:3], 0 offset:276
	;; [unrolled: 1-line block ×4, first 2 shown]
	v_mul_f32_e32 v78, v78, v102
	v_fma_f32 v77, v77, v101, -v78
	v_mul_f32_e32 v78, v80, v104
	v_add_f32_e32 v77, 0, v77
	v_fma_f32 v78, v79, v103, -v78
	v_add_f32_e32 v77, v77, v78
	v_mul_f32_e32 v78, v82, v106
	v_fma_f32 v78, v81, v105, -v78
	v_add_f32_e32 v77, v77, v78
	v_mul_f32_e32 v78, v84, v108
	;; [unrolled: 3-line block ×6, first 2 shown]
	v_fma_f32 v78, v91, v115, -v78
	v_add_f32_e32 v77, v77, v78
	s_waitcnt vmcnt(2) lgkmcnt(0)
	v_mul_f32_e32 v98, v93, v118
	v_fmac_f32_e32 v98, v94, v117
	v_add_f32_e32 v97, v97, v98
	s_waitcnt vmcnt(0)
	v_mul_f32_e32 v98, v95, v120
	v_fmac_f32_e32 v98, v96, v119
	v_add_f32_e32 v121, v97, v98
	ds_read_b64 v[97:98], v76 offset:592
	buffer_load_dword v122, off, s[0:3], 0 offset:288
	buffer_load_dword v123, off, s[0:3], 0 offset:292
	v_mul_f32_e32 v78, v94, v118
	v_fma_f32 v78, v93, v117, -v78
	v_add_f32_e32 v77, v77, v78
	v_mul_f32_e32 v78, v96, v120
	v_fma_f32 v78, v95, v119, -v78
	v_add_f32_e32 v77, v77, v78
	s_waitcnt vmcnt(0) lgkmcnt(0)
	v_mul_f32_e32 v78, v98, v123
	v_mul_f32_e32 v124, v97, v123
	v_fma_f32 v78, v97, v122, -v78
	v_fmac_f32_e32 v124, v98, v122
	v_add_f32_e32 v77, v77, v78
	v_add_f32_e32 v121, v121, v124
	v_sub_f32_e32 v77, v99, v77
	v_sub_f32_e32 v78, v100, v121
	buffer_store_dword v77, off, s[0:3], 0 offset:200
	buffer_store_dword v78, off, s[0:3], 0 offset:204
	s_and_saveexec_b64 s[4:5], vcc
	s_cbranch_execz .LBB36_187
; %bb.186:
	buffer_load_dword v77, off, s[0:3], 0 offset:192
	buffer_load_dword v78, off, s[0:3], 0 offset:196
	s_waitcnt vmcnt(0)
	ds_write_b64 v75, v[77:78]
	buffer_store_dword v76, off, s[0:3], 0 offset:192
	buffer_store_dword v76, off, s[0:3], 0 offset:196
.LBB36_187:
	s_or_b64 exec, exec, s[4:5]
	s_waitcnt lgkmcnt(0)
	; wave barrier
	buffer_load_dword v101, off, s[0:3], 0 offset:204
	buffer_load_dword v102, off, s[0:3], 0 offset:212
	;; [unrolled: 1-line block ×26, first 2 shown]
	ds_read2_b64 v[77:80], v76 offset0:63 offset1:64
	ds_read2_b64 v[81:84], v76 offset0:65 offset1:66
	ds_read2_b64 v[85:88], v76 offset0:67 offset1:68
	ds_read2_b64 v[89:92], v76 offset0:69 offset1:70
	ds_read2_b64 v[93:96], v76 offset0:71 offset1:72
	ds_read2_b64 v[97:100], v76 offset0:73 offset1:74
	v_cmp_lt_u32_e32 vcc, 23, v0
	s_waitcnt vmcnt(25) lgkmcnt(5)
	v_mul_f32_e32 v76, v77, v101
	v_mul_f32_e32 v101, v78, v101
	s_waitcnt vmcnt(24)
	v_mul_f32_e32 v127, v79, v102
	v_mul_f32_e32 v102, v80, v102
	s_waitcnt vmcnt(23) lgkmcnt(4)
	v_mul_f32_e32 v128, v81, v103
	v_mul_f32_e32 v103, v82, v103
	s_waitcnt vmcnt(22)
	v_mul_f32_e32 v129, v83, v104
	v_mul_f32_e32 v104, v84, v104
	;; [unrolled: 6-line block ×3, first 2 shown]
	s_waitcnt vmcnt(13)
	v_fma_f32 v77, v77, v113, -v101
	v_fmac_f32_e32 v76, v78, v113
	s_waitcnt vmcnt(12)
	v_fma_f32 v78, v79, v114, -v102
	v_add_f32_e32 v77, 0, v77
	s_waitcnt vmcnt(11)
	v_fma_f32 v79, v81, v115, -v103
	v_add_f32_e32 v77, v77, v78
	v_fmac_f32_e32 v127, v80, v114
	s_waitcnt vmcnt(10)
	v_fma_f32 v80, v83, v116, -v104
	v_add_f32_e32 v77, v77, v79
	s_waitcnt vmcnt(9)
	v_fma_f32 v81, v85, v117, -v105
	v_add_f32_e32 v77, v77, v80
	s_waitcnt lgkmcnt(2)
	v_mul_f32_e32 v132, v89, v107
	v_mul_f32_e32 v107, v90, v107
	v_fmac_f32_e32 v128, v82, v115
	s_waitcnt vmcnt(8)
	v_fma_f32 v82, v87, v118, -v106
	v_add_f32_e32 v76, 0, v76
	v_add_f32_e32 v77, v77, v81
	v_mul_f32_e32 v133, v91, v108
	v_mul_f32_e32 v108, v92, v108
	s_waitcnt vmcnt(7)
	v_fma_f32 v83, v89, v119, -v107
	v_add_f32_e32 v76, v76, v127
	v_add_f32_e32 v77, v77, v82
	v_fmac_f32_e32 v129, v84, v116
	s_waitcnt vmcnt(6)
	v_fma_f32 v84, v91, v120, -v108
	v_add_f32_e32 v76, v76, v128
	v_add_f32_e32 v77, v77, v83
	s_waitcnt lgkmcnt(1)
	v_mul_f32_e32 v78, v94, v109
	v_fmac_f32_e32 v130, v86, v117
	v_add_f32_e32 v76, v76, v129
	v_add_f32_e32 v77, v77, v84
	s_waitcnt vmcnt(5)
	v_fma_f32 v78, v93, v121, -v78
	v_fmac_f32_e32 v131, v88, v118
	v_add_f32_e32 v76, v76, v130
	v_add_f32_e32 v77, v77, v78
	v_mul_f32_e32 v78, v96, v110
	v_fmac_f32_e32 v132, v90, v119
	v_add_f32_e32 v76, v76, v131
	s_waitcnt vmcnt(4)
	v_fma_f32 v78, v95, v122, -v78
	v_mul_f32_e32 v134, v93, v109
	v_fmac_f32_e32 v133, v92, v120
	v_add_f32_e32 v76, v76, v132
	v_add_f32_e32 v77, v77, v78
	s_waitcnt lgkmcnt(0)
	v_mul_f32_e32 v78, v98, v111
	v_mul_f32_e32 v135, v95, v110
	v_fmac_f32_e32 v134, v94, v121
	v_add_f32_e32 v76, v76, v133
	s_waitcnt vmcnt(3)
	v_fma_f32 v78, v97, v123, -v78
	v_mul_f32_e32 v136, v97, v111
	v_fmac_f32_e32 v135, v96, v122
	v_add_f32_e32 v76, v76, v134
	v_add_f32_e32 v77, v77, v78
	v_mul_f32_e32 v78, v100, v112
	v_mul_f32_e32 v137, v99, v112
	v_fmac_f32_e32 v136, v98, v123
	v_add_f32_e32 v76, v76, v135
	s_waitcnt vmcnt(2)
	v_fma_f32 v78, v99, v124, -v78
	v_fmac_f32_e32 v137, v100, v124
	v_add_f32_e32 v76, v76, v136
	v_add_f32_e32 v77, v77, v78
	;; [unrolled: 1-line block ×3, first 2 shown]
	s_waitcnt vmcnt(1)
	v_sub_f32_e32 v77, v125, v77
	s_waitcnt vmcnt(0)
	v_sub_f32_e32 v76, v126, v76
	buffer_store_dword v77, off, s[0:3], 0 offset:192
	buffer_store_dword v76, off, s[0:3], 0 offset:196
	s_and_saveexec_b64 s[4:5], vcc
	s_cbranch_execz .LBB36_189
; %bb.188:
	buffer_load_dword v76, off, s[0:3], 0 offset:184
	buffer_load_dword v77, off, s[0:3], 0 offset:188
	v_mov_b32_e32 v78, 0
	buffer_store_dword v78, off, s[0:3], 0 offset:184
	buffer_store_dword v78, off, s[0:3], 0 offset:188
	s_waitcnt vmcnt(2)
	ds_write_b64 v75, v[76:77]
.LBB36_189:
	s_or_b64 exec, exec, s[4:5]
	s_waitcnt lgkmcnt(0)
	; wave barrier
	buffer_load_dword v103, off, s[0:3], 0 offset:196
	buffer_load_dword v104, off, s[0:3], 0 offset:204
	;; [unrolled: 1-line block ×28, first 2 shown]
	v_mov_b32_e32 v76, 0
	ds_read_b128 v[77:80], v76 offset:496
	ds_read_b128 v[81:84], v76 offset:512
	;; [unrolled: 1-line block ×6, first 2 shown]
	ds_read_b64 v[101:102], v76 offset:592
	v_cmp_lt_u32_e32 vcc, 22, v0
	s_waitcnt vmcnt(27) lgkmcnt(6)
	v_mul_f32_e32 v131, v77, v103
	v_mul_f32_e32 v103, v78, v103
	s_waitcnt vmcnt(26)
	v_mul_f32_e32 v132, v79, v104
	v_mul_f32_e32 v104, v80, v104
	s_waitcnt vmcnt(25) lgkmcnt(5)
	v_mul_f32_e32 v133, v81, v105
	v_mul_f32_e32 v105, v82, v105
	s_waitcnt vmcnt(24)
	v_mul_f32_e32 v134, v83, v106
	v_mul_f32_e32 v106, v84, v106
	;; [unrolled: 6-line block ×3, first 2 shown]
	s_waitcnt vmcnt(21) lgkmcnt(3)
	v_mul_f32_e32 v137, v89, v109
	s_waitcnt vmcnt(14)
	v_fma_f32 v77, v77, v116, -v103
	v_fmac_f32_e32 v131, v78, v116
	s_waitcnt vmcnt(13)
	v_fma_f32 v78, v79, v117, -v104
	v_add_f32_e32 v77, 0, v77
	s_waitcnt vmcnt(12)
	v_fma_f32 v79, v81, v118, -v105
	v_add_f32_e32 v77, v77, v78
	v_fmac_f32_e32 v132, v80, v117
	s_waitcnt vmcnt(11)
	v_fma_f32 v80, v83, v119, -v106
	v_add_f32_e32 v77, v77, v79
	s_waitcnt vmcnt(10)
	v_fma_f32 v81, v85, v120, -v107
	v_add_f32_e32 v77, v77, v80
	v_fmac_f32_e32 v133, v82, v118
	s_waitcnt vmcnt(9)
	v_fma_f32 v82, v87, v121, -v108
	v_add_f32_e32 v77, v77, v81
	v_mul_f32_e32 v79, v90, v109
	v_add_f32_e32 v77, v77, v82
	s_waitcnt vmcnt(8)
	v_fma_f32 v79, v89, v122, -v79
	v_add_f32_e32 v77, v77, v79
	v_mul_f32_e32 v79, v92, v110
	v_add_f32_e32 v83, 0, v131
	s_waitcnt vmcnt(7)
	v_fma_f32 v79, v91, v123, -v79
	v_add_f32_e32 v83, v83, v132
	v_add_f32_e32 v77, v77, v79
	s_waitcnt lgkmcnt(2)
	v_mul_f32_e32 v79, v94, v111
	v_fmac_f32_e32 v134, v84, v119
	v_add_f32_e32 v78, v83, v133
	s_waitcnt vmcnt(6)
	v_fma_f32 v79, v93, v124, -v79
	v_fmac_f32_e32 v135, v86, v120
	v_add_f32_e32 v78, v78, v134
	v_add_f32_e32 v77, v77, v79
	v_mul_f32_e32 v79, v96, v112
	v_fmac_f32_e32 v136, v88, v121
	v_add_f32_e32 v78, v78, v135
	s_waitcnt vmcnt(5)
	v_fma_f32 v79, v95, v125, -v79
	v_mul_f32_e32 v138, v91, v110
	v_fmac_f32_e32 v137, v90, v122
	v_add_f32_e32 v78, v78, v136
	v_add_f32_e32 v77, v77, v79
	s_waitcnt lgkmcnt(1)
	v_mul_f32_e32 v79, v98, v113
	v_mul_f32_e32 v139, v93, v111
	v_fmac_f32_e32 v138, v92, v123
	v_add_f32_e32 v78, v78, v137
	s_waitcnt vmcnt(4)
	v_fma_f32 v79, v97, v126, -v79
	v_mul_f32_e32 v140, v95, v112
	v_fmac_f32_e32 v139, v94, v124
	v_add_f32_e32 v78, v78, v138
	v_add_f32_e32 v77, v77, v79
	v_mul_f32_e32 v79, v100, v114
	v_mul_f32_e32 v141, v97, v113
	v_fmac_f32_e32 v140, v96, v125
	v_add_f32_e32 v78, v78, v139
	s_waitcnt vmcnt(3)
	v_fma_f32 v79, v99, v127, -v79
	v_mul_f32_e32 v142, v99, v114
	v_fmac_f32_e32 v141, v98, v126
	v_add_f32_e32 v78, v78, v140
	v_add_f32_e32 v77, v77, v79
	s_waitcnt lgkmcnt(0)
	v_mul_f32_e32 v79, v102, v115
	v_mul_f32_e32 v143, v101, v115
	v_fmac_f32_e32 v142, v100, v127
	v_add_f32_e32 v78, v78, v141
	s_waitcnt vmcnt(2)
	v_fma_f32 v79, v101, v128, -v79
	v_fmac_f32_e32 v143, v102, v128
	v_add_f32_e32 v78, v78, v142
	v_add_f32_e32 v77, v77, v79
	v_add_f32_e32 v78, v78, v143
	s_waitcnt vmcnt(1)
	v_sub_f32_e32 v77, v129, v77
	s_waitcnt vmcnt(0)
	v_sub_f32_e32 v78, v130, v78
	buffer_store_dword v77, off, s[0:3], 0 offset:184
	buffer_store_dword v78, off, s[0:3], 0 offset:188
	s_and_saveexec_b64 s[4:5], vcc
	s_cbranch_execz .LBB36_191
; %bb.190:
	buffer_load_dword v77, off, s[0:3], 0 offset:176
	buffer_load_dword v78, off, s[0:3], 0 offset:180
	s_waitcnt vmcnt(0)
	ds_write_b64 v75, v[77:78]
	buffer_store_dword v76, off, s[0:3], 0 offset:176
	buffer_store_dword v76, off, s[0:3], 0 offset:180
.LBB36_191:
	s_or_b64 exec, exec, s[4:5]
	s_waitcnt lgkmcnt(0)
	; wave barrier
	buffer_load_dword v105, off, s[0:3], 0 offset:188
	buffer_load_dword v106, off, s[0:3], 0 offset:196
	;; [unrolled: 1-line block ×30, first 2 shown]
	ds_read2_b64 v[77:80], v76 offset0:61 offset1:62
	ds_read2_b64 v[81:84], v76 offset0:63 offset1:64
	;; [unrolled: 1-line block ×7, first 2 shown]
	v_cmp_lt_u32_e32 vcc, 21, v0
	s_waitcnt vmcnt(29) lgkmcnt(6)
	v_mul_f32_e32 v76, v77, v105
	v_mul_f32_e32 v105, v78, v105
	s_waitcnt vmcnt(28)
	v_mul_f32_e32 v135, v79, v106
	v_mul_f32_e32 v106, v80, v106
	s_waitcnt vmcnt(27) lgkmcnt(5)
	v_mul_f32_e32 v136, v81, v107
	v_mul_f32_e32 v107, v82, v107
	s_waitcnt vmcnt(26)
	v_mul_f32_e32 v137, v83, v108
	v_mul_f32_e32 v108, v84, v108
	s_waitcnt vmcnt(25) lgkmcnt(4)
	v_mul_f32_e32 v138, v85, v109
	v_mul_f32_e32 v109, v86, v109
	s_waitcnt vmcnt(24)
	v_mul_f32_e32 v139, v87, v110
	s_waitcnt vmcnt(23) lgkmcnt(3)
	v_mul_f32_e32 v140, v89, v111
	s_waitcnt vmcnt(22)
	v_mul_f32_e32 v141, v91, v112
	s_waitcnt vmcnt(21) lgkmcnt(2)
	v_mul_f32_e32 v142, v93, v113
	s_waitcnt vmcnt(15)
	v_fma_f32 v77, v77, v119, -v105
	v_fmac_f32_e32 v76, v78, v119
	s_waitcnt vmcnt(14)
	v_fma_f32 v78, v79, v120, -v106
	v_add_f32_e32 v77, 0, v77
	s_waitcnt vmcnt(13)
	v_fma_f32 v79, v81, v121, -v107
	v_add_f32_e32 v77, v77, v78
	v_fmac_f32_e32 v135, v80, v120
	s_waitcnt vmcnt(12)
	v_fma_f32 v80, v83, v122, -v108
	v_add_f32_e32 v77, v77, v79
	s_waitcnt vmcnt(11)
	v_fma_f32 v81, v85, v123, -v109
	v_add_f32_e32 v77, v77, v80
	v_mul_f32_e32 v78, v88, v110
	v_add_f32_e32 v77, v77, v81
	s_waitcnt vmcnt(10)
	v_fma_f32 v78, v87, v124, -v78
	v_add_f32_e32 v77, v77, v78
	v_mul_f32_e32 v78, v90, v111
	s_waitcnt vmcnt(9)
	v_fma_f32 v78, v89, v125, -v78
	v_add_f32_e32 v77, v77, v78
	v_mul_f32_e32 v78, v92, v112
	s_waitcnt vmcnt(8)
	v_fma_f32 v78, v91, v126, -v78
	v_add_f32_e32 v76, 0, v76
	v_add_f32_e32 v77, v77, v78
	v_mul_f32_e32 v78, v94, v113
	v_fmac_f32_e32 v136, v82, v121
	v_add_f32_e32 v76, v76, v135
	s_waitcnt vmcnt(7)
	v_fma_f32 v78, v93, v127, -v78
	v_fmac_f32_e32 v137, v84, v122
	v_add_f32_e32 v76, v76, v136
	v_add_f32_e32 v77, v77, v78
	v_mul_f32_e32 v78, v96, v114
	v_fmac_f32_e32 v138, v86, v123
	v_add_f32_e32 v76, v76, v137
	s_waitcnt vmcnt(6)
	v_fma_f32 v78, v95, v128, -v78
	v_fmac_f32_e32 v139, v88, v124
	v_add_f32_e32 v76, v76, v138
	v_add_f32_e32 v77, v77, v78
	s_waitcnt lgkmcnt(1)
	v_mul_f32_e32 v78, v98, v115
	v_fmac_f32_e32 v140, v90, v125
	v_add_f32_e32 v76, v76, v139
	s_waitcnt vmcnt(5)
	v_fma_f32 v78, v97, v129, -v78
	v_fmac_f32_e32 v141, v92, v126
	v_add_f32_e32 v76, v76, v140
	v_add_f32_e32 v77, v77, v78
	v_mul_f32_e32 v78, v100, v116
	v_mul_f32_e32 v143, v95, v114
	v_fmac_f32_e32 v142, v94, v127
	v_add_f32_e32 v76, v76, v141
	s_waitcnt vmcnt(4)
	v_fma_f32 v78, v99, v130, -v78
	v_mul_f32_e32 v144, v97, v115
	v_fmac_f32_e32 v143, v96, v128
	v_add_f32_e32 v76, v76, v142
	v_add_f32_e32 v77, v77, v78
	s_waitcnt lgkmcnt(0)
	v_mul_f32_e32 v78, v102, v117
	v_mul_f32_e32 v145, v99, v116
	v_fmac_f32_e32 v144, v98, v129
	v_add_f32_e32 v76, v76, v143
	s_waitcnt vmcnt(3)
	v_fma_f32 v78, v101, v131, -v78
	v_mul_f32_e32 v146, v101, v117
	v_fmac_f32_e32 v145, v100, v130
	v_add_f32_e32 v76, v76, v144
	v_add_f32_e32 v77, v77, v78
	v_mul_f32_e32 v78, v104, v118
	v_mul_f32_e32 v147, v103, v118
	v_fmac_f32_e32 v146, v102, v131
	v_add_f32_e32 v76, v76, v145
	s_waitcnt vmcnt(2)
	v_fma_f32 v78, v103, v132, -v78
	v_fmac_f32_e32 v147, v104, v132
	v_add_f32_e32 v76, v76, v146
	v_add_f32_e32 v77, v77, v78
	;; [unrolled: 1-line block ×3, first 2 shown]
	s_waitcnt vmcnt(1)
	v_sub_f32_e32 v77, v133, v77
	s_waitcnt vmcnt(0)
	v_sub_f32_e32 v76, v134, v76
	buffer_store_dword v77, off, s[0:3], 0 offset:176
	buffer_store_dword v76, off, s[0:3], 0 offset:180
	s_and_saveexec_b64 s[4:5], vcc
	s_cbranch_execz .LBB36_193
; %bb.192:
	buffer_load_dword v76, off, s[0:3], 0 offset:168
	buffer_load_dword v77, off, s[0:3], 0 offset:172
	v_mov_b32_e32 v78, 0
	buffer_store_dword v78, off, s[0:3], 0 offset:168
	buffer_store_dword v78, off, s[0:3], 0 offset:172
	s_waitcnt vmcnt(2)
	ds_write_b64 v75, v[76:77]
.LBB36_193:
	s_or_b64 exec, exec, s[4:5]
	s_waitcnt lgkmcnt(0)
	; wave barrier
	buffer_load_dword v107, off, s[0:3], 0 offset:180
	buffer_load_dword v108, off, s[0:3], 0 offset:188
	;; [unrolled: 1-line block ×32, first 2 shown]
	v_mov_b32_e32 v76, 0
	ds_read_b128 v[77:80], v76 offset:480
	ds_read_b128 v[81:84], v76 offset:496
	ds_read_b128 v[85:88], v76 offset:512
	ds_read_b128 v[89:92], v76 offset:528
	ds_read_b128 v[93:96], v76 offset:544
	ds_read_b128 v[97:100], v76 offset:560
	ds_read_b128 v[101:104], v76 offset:576
	ds_read_b64 v[105:106], v76 offset:592
	v_cmp_lt_u32_e32 vcc, 20, v0
	s_waitcnt vmcnt(31) lgkmcnt(7)
	v_mul_f32_e32 v139, v77, v107
	v_mul_f32_e32 v107, v78, v107
	s_waitcnt vmcnt(30)
	v_mul_f32_e32 v140, v79, v108
	v_mul_f32_e32 v108, v80, v108
	s_waitcnt vmcnt(29) lgkmcnt(6)
	v_mul_f32_e32 v141, v81, v109
	v_mul_f32_e32 v109, v82, v109
	s_waitcnt vmcnt(28)
	v_mul_f32_e32 v142, v83, v110
	s_waitcnt vmcnt(27) lgkmcnt(5)
	v_mul_f32_e32 v143, v85, v111
	s_waitcnt vmcnt(26)
	v_mul_f32_e32 v144, v87, v112
	s_waitcnt vmcnt(25) lgkmcnt(4)
	;; [unrolled: 4-line block ×4, first 2 shown]
	v_mul_f32_e32 v149, v97, v117
	s_waitcnt vmcnt(20)
	v_mul_f32_e32 v150, v99, v118
	s_waitcnt vmcnt(16)
	v_fma_f32 v77, v77, v122, -v107
	v_fmac_f32_e32 v139, v78, v122
	s_waitcnt vmcnt(15)
	v_fma_f32 v78, v79, v123, -v108
	v_add_f32_e32 v77, 0, v77
	s_waitcnt vmcnt(14)
	v_fma_f32 v79, v81, v124, -v109
	v_add_f32_e32 v77, v77, v78
	v_add_f32_e32 v77, v77, v79
	v_mul_f32_e32 v79, v84, v110
	s_waitcnt vmcnt(13)
	v_fma_f32 v79, v83, v125, -v79
	v_add_f32_e32 v77, v77, v79
	v_mul_f32_e32 v79, v86, v111
	s_waitcnt vmcnt(12)
	v_fma_f32 v79, v85, v126, -v79
	;; [unrolled: 4-line block ×5, first 2 shown]
	v_add_f32_e32 v77, v77, v79
	v_mul_f32_e32 v79, v94, v115
	v_fmac_f32_e32 v140, v80, v123
	v_add_f32_e32 v80, 0, v139
	s_waitcnt vmcnt(8)
	v_fma_f32 v79, v93, v130, -v79
	v_fmac_f32_e32 v141, v82, v124
	v_add_f32_e32 v80, v80, v140
	v_add_f32_e32 v77, v77, v79
	v_mul_f32_e32 v79, v96, v116
	v_fmac_f32_e32 v142, v84, v125
	v_add_f32_e32 v78, v80, v141
	s_waitcnt vmcnt(7)
	v_fma_f32 v79, v95, v131, -v79
	v_fmac_f32_e32 v143, v86, v126
	v_add_f32_e32 v78, v78, v142
	v_add_f32_e32 v77, v77, v79
	v_mul_f32_e32 v79, v98, v117
	v_fmac_f32_e32 v144, v88, v127
	v_add_f32_e32 v78, v78, v143
	s_waitcnt vmcnt(6)
	v_fma_f32 v79, v97, v132, -v79
	v_fmac_f32_e32 v145, v90, v128
	v_add_f32_e32 v78, v78, v144
	v_add_f32_e32 v77, v77, v79
	v_mul_f32_e32 v79, v100, v118
	v_fmac_f32_e32 v146, v92, v129
	v_add_f32_e32 v78, v78, v145
	s_waitcnt vmcnt(5)
	v_fma_f32 v79, v99, v133, -v79
	v_fmac_f32_e32 v147, v94, v130
	v_add_f32_e32 v78, v78, v146
	v_add_f32_e32 v77, v77, v79
	s_waitcnt lgkmcnt(1)
	v_mul_f32_e32 v79, v102, v119
	v_fmac_f32_e32 v148, v96, v131
	v_add_f32_e32 v78, v78, v147
	s_waitcnt vmcnt(4)
	v_fma_f32 v79, v101, v134, -v79
	v_fmac_f32_e32 v149, v98, v132
	v_add_f32_e32 v78, v78, v148
	v_add_f32_e32 v77, v77, v79
	v_mul_f32_e32 v79, v104, v120
	v_mul_f32_e32 v151, v101, v119
	v_fmac_f32_e32 v150, v100, v133
	v_add_f32_e32 v78, v78, v149
	s_waitcnt vmcnt(3)
	v_fma_f32 v79, v103, v135, -v79
	v_mul_f32_e32 v152, v103, v120
	v_fmac_f32_e32 v151, v102, v134
	v_add_f32_e32 v78, v78, v150
	v_add_f32_e32 v77, v77, v79
	s_waitcnt lgkmcnt(0)
	v_mul_f32_e32 v79, v106, v121
	v_mul_f32_e32 v153, v105, v121
	v_fmac_f32_e32 v152, v104, v135
	v_add_f32_e32 v78, v78, v151
	s_waitcnt vmcnt(2)
	v_fma_f32 v79, v105, v136, -v79
	v_fmac_f32_e32 v153, v106, v136
	v_add_f32_e32 v78, v78, v152
	v_add_f32_e32 v77, v77, v79
	;; [unrolled: 1-line block ×3, first 2 shown]
	s_waitcnt vmcnt(1)
	v_sub_f32_e32 v77, v137, v77
	s_waitcnt vmcnt(0)
	v_sub_f32_e32 v78, v138, v78
	buffer_store_dword v77, off, s[0:3], 0 offset:168
	buffer_store_dword v78, off, s[0:3], 0 offset:172
	s_and_saveexec_b64 s[4:5], vcc
	s_cbranch_execz .LBB36_195
; %bb.194:
	buffer_load_dword v77, off, s[0:3], 0 offset:160
	buffer_load_dword v78, off, s[0:3], 0 offset:164
	s_waitcnt vmcnt(0)
	ds_write_b64 v75, v[77:78]
	buffer_store_dword v76, off, s[0:3], 0 offset:160
	buffer_store_dword v76, off, s[0:3], 0 offset:164
.LBB36_195:
	s_or_b64 exec, exec, s[4:5]
	s_waitcnt lgkmcnt(0)
	; wave barrier
	buffer_load_dword v109, off, s[0:3], 0 offset:172
	buffer_load_dword v110, off, s[0:3], 0 offset:180
	buffer_load_dword v111, off, s[0:3], 0 offset:188
	buffer_load_dword v112, off, s[0:3], 0 offset:196
	buffer_load_dword v113, off, s[0:3], 0 offset:204
	buffer_load_dword v114, off, s[0:3], 0 offset:212
	buffer_load_dword v115, off, s[0:3], 0 offset:220
	buffer_load_dword v116, off, s[0:3], 0 offset:228
	buffer_load_dword v117, off, s[0:3], 0 offset:236
	buffer_load_dword v118, off, s[0:3], 0 offset:244
	buffer_load_dword v119, off, s[0:3], 0 offset:252
	buffer_load_dword v120, off, s[0:3], 0 offset:260
	buffer_load_dword v121, off, s[0:3], 0 offset:268
	buffer_load_dword v122, off, s[0:3], 0 offset:276
	buffer_load_dword v123, off, s[0:3], 0 offset:284
	buffer_load_dword v124, off, s[0:3], 0 offset:292
	buffer_load_dword v125, off, s[0:3], 0 offset:168
	buffer_load_dword v126, off, s[0:3], 0 offset:176
	buffer_load_dword v127, off, s[0:3], 0 offset:184
	buffer_load_dword v128, off, s[0:3], 0 offset:192
	buffer_load_dword v129, off, s[0:3], 0 offset:200
	buffer_load_dword v130, off, s[0:3], 0 offset:208
	buffer_load_dword v131, off, s[0:3], 0 offset:216
	buffer_load_dword v132, off, s[0:3], 0 offset:224
	buffer_load_dword v133, off, s[0:3], 0 offset:232
	buffer_load_dword v134, off, s[0:3], 0 offset:240
	buffer_load_dword v135, off, s[0:3], 0 offset:248
	buffer_load_dword v136, off, s[0:3], 0 offset:256
	buffer_load_dword v137, off, s[0:3], 0 offset:264
	buffer_load_dword v138, off, s[0:3], 0 offset:272
	buffer_load_dword v139, off, s[0:3], 0 offset:280
	buffer_load_dword v140, off, s[0:3], 0 offset:288
	buffer_load_dword v141, off, s[0:3], 0 offset:160
	buffer_load_dword v142, off, s[0:3], 0 offset:164
	ds_read2_b64 v[77:80], v76 offset0:59 offset1:60
	ds_read2_b64 v[81:84], v76 offset0:61 offset1:62
	;; [unrolled: 1-line block ×8, first 2 shown]
	v_cmp_lt_u32_e32 vcc, 19, v0
	s_waitcnt vmcnt(33) lgkmcnt(7)
	v_mul_f32_e32 v76, v77, v109
	v_mul_f32_e32 v109, v78, v109
	s_waitcnt vmcnt(32)
	v_mul_f32_e32 v143, v79, v110
	v_mul_f32_e32 v110, v80, v110
	s_waitcnt vmcnt(31) lgkmcnt(6)
	v_mul_f32_e32 v144, v81, v111
	s_waitcnt vmcnt(30)
	v_mul_f32_e32 v145, v83, v112
	s_waitcnt vmcnt(29) lgkmcnt(5)
	v_mul_f32_e32 v146, v85, v113
	s_waitcnt vmcnt(28)
	;; [unrolled: 4-line block ×6, first 2 shown]
	v_mul_f32_e32 v155, v103, v122
	s_waitcnt vmcnt(17)
	v_fma_f32 v77, v77, v125, -v109
	v_fmac_f32_e32 v76, v78, v125
	s_waitcnt vmcnt(16)
	v_fma_f32 v78, v79, v126, -v110
	v_add_f32_e32 v77, 0, v77
	v_add_f32_e32 v77, v77, v78
	v_mul_f32_e32 v78, v82, v111
	s_waitcnt vmcnt(15)
	v_fma_f32 v78, v81, v127, -v78
	v_add_f32_e32 v77, v77, v78
	v_mul_f32_e32 v78, v84, v112
	s_waitcnt vmcnt(14)
	v_fma_f32 v78, v83, v128, -v78
	;; [unrolled: 4-line block ×7, first 2 shown]
	v_fmac_f32_e32 v143, v80, v126
	v_add_f32_e32 v76, 0, v76
	v_add_f32_e32 v77, v77, v78
	v_mul_f32_e32 v78, v96, v118
	v_fmac_f32_e32 v144, v82, v127
	v_add_f32_e32 v76, v76, v143
	s_waitcnt vmcnt(8)
	v_fma_f32 v78, v95, v134, -v78
	v_fmac_f32_e32 v145, v84, v128
	v_add_f32_e32 v76, v76, v144
	v_add_f32_e32 v77, v77, v78
	v_mul_f32_e32 v78, v98, v119
	v_fmac_f32_e32 v146, v86, v129
	v_add_f32_e32 v76, v76, v145
	s_waitcnt vmcnt(7)
	v_fma_f32 v78, v97, v135, -v78
	;; [unrolled: 8-line block ×5, first 2 shown]
	v_fmac_f32_e32 v153, v100, v136
	v_add_f32_e32 v76, v76, v152
	v_add_f32_e32 v77, v77, v78
	s_waitcnt lgkmcnt(0)
	v_mul_f32_e32 v78, v106, v123
	v_fmac_f32_e32 v154, v102, v137
	v_add_f32_e32 v76, v76, v153
	s_waitcnt vmcnt(3)
	v_fma_f32 v78, v105, v139, -v78
	v_mul_f32_e32 v156, v105, v123
	v_fmac_f32_e32 v155, v104, v138
	v_add_f32_e32 v76, v76, v154
	v_add_f32_e32 v77, v77, v78
	v_mul_f32_e32 v78, v108, v124
	v_mul_f32_e32 v157, v107, v124
	v_fmac_f32_e32 v156, v106, v139
	v_add_f32_e32 v76, v76, v155
	s_waitcnt vmcnt(2)
	v_fma_f32 v78, v107, v140, -v78
	v_fmac_f32_e32 v157, v108, v140
	v_add_f32_e32 v76, v76, v156
	v_add_f32_e32 v77, v77, v78
	;; [unrolled: 1-line block ×3, first 2 shown]
	s_waitcnt vmcnt(1)
	v_sub_f32_e32 v77, v141, v77
	s_waitcnt vmcnt(0)
	v_sub_f32_e32 v76, v142, v76
	buffer_store_dword v77, off, s[0:3], 0 offset:160
	buffer_store_dword v76, off, s[0:3], 0 offset:164
	s_and_saveexec_b64 s[4:5], vcc
	s_cbranch_execz .LBB36_197
; %bb.196:
	buffer_load_dword v76, off, s[0:3], 0 offset:152
	buffer_load_dword v77, off, s[0:3], 0 offset:156
	v_mov_b32_e32 v78, 0
	buffer_store_dword v78, off, s[0:3], 0 offset:152
	buffer_store_dword v78, off, s[0:3], 0 offset:156
	s_waitcnt vmcnt(2)
	ds_write_b64 v75, v[76:77]
.LBB36_197:
	s_or_b64 exec, exec, s[4:5]
	s_waitcnt lgkmcnt(0)
	; wave barrier
	buffer_load_dword v111, off, s[0:3], 0 offset:164
	buffer_load_dword v112, off, s[0:3], 0 offset:172
	;; [unrolled: 1-line block ×36, first 2 shown]
	v_mov_b32_e32 v76, 0
	ds_read_b128 v[77:80], v76 offset:464
	ds_read_b128 v[81:84], v76 offset:480
	;; [unrolled: 1-line block ×8, first 2 shown]
	ds_read_b64 v[109:110], v76 offset:592
	v_cmp_lt_u32_e32 vcc, 18, v0
	s_waitcnt vmcnt(35) lgkmcnt(8)
	v_mul_f32_e32 v147, v77, v111
	s_waitcnt vmcnt(34)
	v_mul_f32_e32 v148, v79, v112
	s_waitcnt vmcnt(33) lgkmcnt(7)
	v_mul_f32_e32 v149, v81, v113
	s_waitcnt vmcnt(32)
	v_mul_f32_e32 v150, v83, v114
	;; [unrolled: 4-line block ×8, first 2 shown]
	s_waitcnt vmcnt(19) lgkmcnt(0)
	v_mul_f32_e32 v163, v109, v127
	s_waitcnt vmcnt(18)
	v_fmac_f32_e32 v147, v78, v128
	v_mul_f32_e32 v78, v78, v111
	v_fma_f32 v77, v77, v128, -v78
	v_mul_f32_e32 v78, v80, v112
	v_add_f32_e32 v77, 0, v77
	s_waitcnt vmcnt(17)
	v_fma_f32 v78, v79, v129, -v78
	v_add_f32_e32 v77, v77, v78
	v_mul_f32_e32 v78, v82, v113
	s_waitcnt vmcnt(16)
	v_fma_f32 v78, v81, v130, -v78
	v_add_f32_e32 v77, v77, v78
	v_mul_f32_e32 v78, v84, v114
	;; [unrolled: 4-line block ×8, first 2 shown]
	v_fmac_f32_e32 v148, v80, v129
	v_add_f32_e32 v147, 0, v147
	s_waitcnt vmcnt(9)
	v_fma_f32 v78, v95, v137, -v78
	v_fmac_f32_e32 v149, v82, v130
	v_add_f32_e32 v147, v147, v148
	v_add_f32_e32 v77, v77, v78
	v_mul_f32_e32 v78, v98, v121
	v_fmac_f32_e32 v150, v84, v131
	v_add_f32_e32 v147, v147, v149
	s_waitcnt vmcnt(8)
	v_fma_f32 v78, v97, v138, -v78
	v_fmac_f32_e32 v151, v86, v132
	v_add_f32_e32 v147, v147, v150
	v_add_f32_e32 v77, v77, v78
	v_mul_f32_e32 v78, v100, v122
	;; [unrolled: 8-line block ×7, first 2 shown]
	v_fmac_f32_e32 v162, v108, v143
	v_add_f32_e32 v147, v147, v161
	s_waitcnt vmcnt(2)
	v_fma_f32 v78, v109, v144, -v78
	v_fmac_f32_e32 v163, v110, v144
	v_add_f32_e32 v147, v147, v162
	v_add_f32_e32 v77, v77, v78
	v_add_f32_e32 v147, v147, v163
	s_waitcnt vmcnt(1)
	v_sub_f32_e32 v77, v145, v77
	s_waitcnt vmcnt(0)
	v_sub_f32_e32 v78, v146, v147
	buffer_store_dword v77, off, s[0:3], 0 offset:152
	buffer_store_dword v78, off, s[0:3], 0 offset:156
	s_and_saveexec_b64 s[4:5], vcc
	s_cbranch_execz .LBB36_199
; %bb.198:
	buffer_load_dword v77, off, s[0:3], 0 offset:144
	buffer_load_dword v78, off, s[0:3], 0 offset:148
	s_waitcnt vmcnt(0)
	ds_write_b64 v75, v[77:78]
	buffer_store_dword v76, off, s[0:3], 0 offset:144
	buffer_store_dword v76, off, s[0:3], 0 offset:148
.LBB36_199:
	s_or_b64 exec, exec, s[4:5]
	s_waitcnt lgkmcnt(0)
	; wave barrier
	buffer_load_dword v113, off, s[0:3], 0 offset:156
	buffer_load_dword v114, off, s[0:3], 0 offset:164
	;; [unrolled: 1-line block ×38, first 2 shown]
	ds_read2_b64 v[77:80], v76 offset0:57 offset1:58
	ds_read2_b64 v[81:84], v76 offset0:59 offset1:60
	;; [unrolled: 1-line block ×9, first 2 shown]
	v_cmp_lt_u32_e32 vcc, 17, v0
	s_waitcnt vmcnt(37) lgkmcnt(8)
	v_mul_f32_e32 v76, v77, v113
	s_waitcnt vmcnt(36)
	v_mul_f32_e32 v151, v79, v114
	s_waitcnt vmcnt(35) lgkmcnt(7)
	v_mul_f32_e32 v152, v81, v115
	s_waitcnt vmcnt(34)
	v_mul_f32_e32 v153, v83, v116
	;; [unrolled: 4-line block ×8, first 2 shown]
	s_waitcnt vmcnt(21) lgkmcnt(0)
	v_mul_f32_e32 v166, v109, v129
	s_waitcnt vmcnt(20)
	v_fmac_f32_e32 v76, v78, v130
	v_mul_f32_e32 v78, v78, v113
	v_fma_f32 v77, v77, v130, -v78
	v_mul_f32_e32 v78, v80, v114
	v_add_f32_e32 v77, 0, v77
	s_waitcnt vmcnt(19)
	v_fma_f32 v78, v79, v131, -v78
	v_add_f32_e32 v77, v77, v78
	v_mul_f32_e32 v78, v82, v115
	s_waitcnt vmcnt(18)
	v_fma_f32 v78, v81, v132, -v78
	v_add_f32_e32 v77, v77, v78
	v_mul_f32_e32 v78, v84, v116
	;; [unrolled: 4-line block ×8, first 2 shown]
	s_waitcnt vmcnt(11)
	v_fma_f32 v78, v95, v139, -v78
	v_fmac_f32_e32 v151, v80, v131
	v_add_f32_e32 v76, 0, v76
	v_add_f32_e32 v77, v77, v78
	v_mul_f32_e32 v78, v98, v123
	v_fmac_f32_e32 v152, v82, v132
	v_add_f32_e32 v76, v76, v151
	s_waitcnt vmcnt(10)
	v_fma_f32 v78, v97, v140, -v78
	v_fmac_f32_e32 v153, v84, v133
	v_add_f32_e32 v76, v76, v152
	v_add_f32_e32 v77, v77, v78
	v_mul_f32_e32 v78, v100, v124
	v_fmac_f32_e32 v154, v86, v134
	v_add_f32_e32 v76, v76, v153
	;; [unrolled: 8-line block ×7, first 2 shown]
	s_waitcnt vmcnt(4)
	v_fma_f32 v78, v109, v146, -v78
	v_fmac_f32_e32 v165, v108, v145
	v_add_f32_e32 v76, v76, v164
	v_add_f32_e32 v77, v77, v78
	s_waitcnt vmcnt(3)
	v_mul_f32_e32 v78, v112, v147
	v_add_f32_e32 v76, v76, v165
	v_fmac_f32_e32 v166, v110, v146
	v_mul_f32_e32 v151, v111, v147
	s_waitcnt vmcnt(2)
	v_fma_f32 v78, v111, v148, -v78
	v_add_f32_e32 v76, v76, v166
	v_fmac_f32_e32 v151, v112, v148
	v_add_f32_e32 v77, v77, v78
	v_add_f32_e32 v76, v76, v151
	s_waitcnt vmcnt(1)
	v_sub_f32_e32 v77, v149, v77
	s_waitcnt vmcnt(0)
	v_sub_f32_e32 v76, v150, v76
	buffer_store_dword v77, off, s[0:3], 0 offset:144
	buffer_store_dword v76, off, s[0:3], 0 offset:148
	s_and_saveexec_b64 s[4:5], vcc
	s_cbranch_execz .LBB36_201
; %bb.200:
	buffer_load_dword v76, off, s[0:3], 0 offset:136
	buffer_load_dword v77, off, s[0:3], 0 offset:140
	v_mov_b32_e32 v78, 0
	buffer_store_dword v78, off, s[0:3], 0 offset:136
	buffer_store_dword v78, off, s[0:3], 0 offset:140
	s_waitcnt vmcnt(2)
	ds_write_b64 v75, v[76:77]
.LBB36_201:
	s_or_b64 exec, exec, s[4:5]
	s_waitcnt lgkmcnt(0)
	; wave barrier
	buffer_load_dword v115, off, s[0:3], 0 offset:148
	buffer_load_dword v116, off, s[0:3], 0 offset:156
	buffer_load_dword v117, off, s[0:3], 0 offset:164
	buffer_load_dword v118, off, s[0:3], 0 offset:172
	buffer_load_dword v119, off, s[0:3], 0 offset:180
	buffer_load_dword v120, off, s[0:3], 0 offset:188
	buffer_load_dword v121, off, s[0:3], 0 offset:196
	buffer_load_dword v122, off, s[0:3], 0 offset:204
	buffer_load_dword v123, off, s[0:3], 0 offset:212
	buffer_load_dword v124, off, s[0:3], 0 offset:220
	buffer_load_dword v125, off, s[0:3], 0 offset:228
	buffer_load_dword v126, off, s[0:3], 0 offset:236
	buffer_load_dword v127, off, s[0:3], 0 offset:244
	buffer_load_dword v128, off, s[0:3], 0 offset:252
	buffer_load_dword v129, off, s[0:3], 0 offset:260
	buffer_load_dword v130, off, s[0:3], 0 offset:144
	buffer_load_dword v131, off, s[0:3], 0 offset:152
	buffer_load_dword v132, off, s[0:3], 0 offset:160
	buffer_load_dword v133, off, s[0:3], 0 offset:168
	buffer_load_dword v134, off, s[0:3], 0 offset:176
	buffer_load_dword v135, off, s[0:3], 0 offset:184
	buffer_load_dword v136, off, s[0:3], 0 offset:192
	buffer_load_dword v137, off, s[0:3], 0 offset:200
	buffer_load_dword v138, off, s[0:3], 0 offset:208
	buffer_load_dword v139, off, s[0:3], 0 offset:216
	buffer_load_dword v140, off, s[0:3], 0 offset:224
	buffer_load_dword v141, off, s[0:3], 0 offset:232
	buffer_load_dword v142, off, s[0:3], 0 offset:240
	buffer_load_dword v143, off, s[0:3], 0 offset:248
	buffer_load_dword v144, off, s[0:3], 0 offset:256
	buffer_load_dword v145, off, s[0:3], 0 offset:268
	buffer_load_dword v146, off, s[0:3], 0 offset:264
	buffer_load_dword v147, off, s[0:3], 0 offset:276
	buffer_load_dword v148, off, s[0:3], 0 offset:272
	buffer_load_dword v149, off, s[0:3], 0 offset:284
	buffer_load_dword v150, off, s[0:3], 0 offset:280
	buffer_load_dword v151, off, s[0:3], 0 offset:292
	buffer_load_dword v152, off, s[0:3], 0 offset:288
	buffer_load_dword v153, off, s[0:3], 0 offset:136
	buffer_load_dword v154, off, s[0:3], 0 offset:140
	v_mov_b32_e32 v76, 0
	ds_read_b128 v[77:80], v76 offset:448
	ds_read_b128 v[81:84], v76 offset:464
	;; [unrolled: 1-line block ×9, first 2 shown]
	v_cmp_lt_u32_e32 vcc, 16, v0
	s_waitcnt vmcnt(39) lgkmcnt(8)
	v_mul_f32_e32 v113, v77, v115
	s_waitcnt vmcnt(38)
	v_mul_f32_e32 v114, v79, v116
	s_waitcnt vmcnt(37) lgkmcnt(7)
	v_mul_f32_e32 v155, v81, v117
	s_waitcnt vmcnt(36)
	v_mul_f32_e32 v156, v83, v118
	;; [unrolled: 4-line block ×7, first 2 shown]
	s_waitcnt vmcnt(25) lgkmcnt(1)
	v_mul_f32_e32 v167, v105, v129
	s_waitcnt vmcnt(24)
	v_fmac_f32_e32 v113, v78, v130
	v_mul_f32_e32 v78, v78, v115
	v_fma_f32 v77, v77, v130, -v78
	v_mul_f32_e32 v78, v80, v116
	v_add_f32_e32 v77, 0, v77
	s_waitcnt vmcnt(23)
	v_fma_f32 v78, v79, v131, -v78
	v_add_f32_e32 v77, v77, v78
	v_mul_f32_e32 v78, v82, v117
	s_waitcnt vmcnt(22)
	v_fma_f32 v78, v81, v132, -v78
	v_add_f32_e32 v77, v77, v78
	v_mul_f32_e32 v78, v84, v118
	;; [unrolled: 4-line block ×6, first 2 shown]
	s_waitcnt vmcnt(17)
	v_fma_f32 v78, v91, v137, -v78
	v_fmac_f32_e32 v114, v80, v131
	v_add_f32_e32 v113, 0, v113
	v_add_f32_e32 v77, v77, v78
	v_mul_f32_e32 v78, v94, v123
	v_fmac_f32_e32 v155, v82, v132
	v_add_f32_e32 v113, v113, v114
	s_waitcnt vmcnt(16)
	v_fma_f32 v78, v93, v138, -v78
	v_fmac_f32_e32 v156, v84, v133
	v_add_f32_e32 v113, v113, v155
	v_add_f32_e32 v77, v77, v78
	v_mul_f32_e32 v78, v96, v124
	v_fmac_f32_e32 v157, v86, v134
	v_add_f32_e32 v113, v113, v156
	;; [unrolled: 8-line block ×6, first 2 shown]
	s_waitcnt vmcnt(11)
	v_fma_f32 v78, v103, v143, -v78
	v_fmac_f32_e32 v166, v104, v143
	v_add_f32_e32 v113, v113, v165
	v_add_f32_e32 v77, v77, v78
	v_mul_f32_e32 v78, v106, v129
	s_waitcnt vmcnt(10)
	v_fmac_f32_e32 v167, v106, v144
	v_add_f32_e32 v113, v113, v166
	s_waitcnt vmcnt(9)
	v_mul_f32_e32 v114, v107, v145
	v_fma_f32 v78, v105, v144, -v78
	v_add_f32_e32 v113, v113, v167
	s_waitcnt vmcnt(8)
	v_fmac_f32_e32 v114, v108, v146
	v_add_f32_e32 v77, v77, v78
	v_mul_f32_e32 v78, v108, v145
	v_add_f32_e32 v155, v113, v114
	ds_read_b64 v[113:114], v76 offset:592
	v_fma_f32 v78, v107, v146, -v78
	v_add_f32_e32 v77, v77, v78
	s_waitcnt vmcnt(7) lgkmcnt(1)
	v_mul_f32_e32 v78, v110, v147
	v_mul_f32_e32 v156, v109, v147
	s_waitcnt vmcnt(6)
	v_fma_f32 v78, v109, v148, -v78
	v_fmac_f32_e32 v156, v110, v148
	v_add_f32_e32 v77, v77, v78
	s_waitcnt vmcnt(5)
	v_mul_f32_e32 v78, v112, v149
	v_add_f32_e32 v155, v155, v156
	v_mul_f32_e32 v156, v111, v149
	s_waitcnt vmcnt(4)
	v_fma_f32 v78, v111, v150, -v78
	v_fmac_f32_e32 v156, v112, v150
	v_add_f32_e32 v77, v77, v78
	s_waitcnt vmcnt(3) lgkmcnt(0)
	v_mul_f32_e32 v78, v114, v151
	v_add_f32_e32 v155, v155, v156
	v_mul_f32_e32 v156, v113, v151
	s_waitcnt vmcnt(2)
	v_fma_f32 v78, v113, v152, -v78
	v_fmac_f32_e32 v156, v114, v152
	v_add_f32_e32 v77, v77, v78
	v_add_f32_e32 v155, v155, v156
	s_waitcnt vmcnt(1)
	v_sub_f32_e32 v77, v153, v77
	s_waitcnt vmcnt(0)
	v_sub_f32_e32 v78, v154, v155
	buffer_store_dword v77, off, s[0:3], 0 offset:136
	buffer_store_dword v78, off, s[0:3], 0 offset:140
	s_and_saveexec_b64 s[4:5], vcc
	s_cbranch_execz .LBB36_203
; %bb.202:
	buffer_load_dword v77, off, s[0:3], 0 offset:128
	buffer_load_dword v78, off, s[0:3], 0 offset:132
	s_waitcnt vmcnt(0)
	ds_write_b64 v75, v[77:78]
	buffer_store_dword v76, off, s[0:3], 0 offset:128
	buffer_store_dword v76, off, s[0:3], 0 offset:132
.LBB36_203:
	s_or_b64 exec, exec, s[4:5]
	s_waitcnt lgkmcnt(0)
	; wave barrier
	buffer_load_dword v117, off, s[0:3], 0 offset:140
	buffer_load_dword v118, off, s[0:3], 0 offset:148
	;; [unrolled: 1-line block ×42, first 2 shown]
	ds_read2_b64 v[77:80], v76 offset0:55 offset1:56
	ds_read2_b64 v[81:84], v76 offset0:57 offset1:58
	;; [unrolled: 1-line block ×8, first 2 shown]
	v_cmp_lt_u32_e32 vcc, 15, v0
	s_waitcnt vmcnt(41) lgkmcnt(7)
	v_mul_f32_e32 v109, v77, v117
	s_waitcnt vmcnt(40)
	v_mul_f32_e32 v110, v79, v118
	s_waitcnt vmcnt(39) lgkmcnt(6)
	v_mul_f32_e32 v111, v81, v119
	s_waitcnt vmcnt(38)
	v_mul_f32_e32 v112, v83, v120
	;; [unrolled: 4-line block ×7, first 2 shown]
	s_waitcnt vmcnt(27) lgkmcnt(0)
	v_mul_f32_e32 v165, v105, v131
	s_waitcnt vmcnt(26)
	v_fmac_f32_e32 v109, v78, v132
	v_mul_f32_e32 v78, v78, v117
	v_fma_f32 v77, v77, v132, -v78
	v_mul_f32_e32 v78, v80, v118
	v_add_f32_e32 v77, 0, v77
	s_waitcnt vmcnt(25)
	v_fma_f32 v78, v79, v133, -v78
	v_add_f32_e32 v77, v77, v78
	v_mul_f32_e32 v78, v82, v119
	s_waitcnt vmcnt(24)
	v_fma_f32 v78, v81, v134, -v78
	v_add_f32_e32 v77, v77, v78
	v_mul_f32_e32 v78, v84, v120
	s_waitcnt vmcnt(23)
	v_fma_f32 v78, v83, v135, -v78
	v_add_f32_e32 v77, v77, v78
	v_mul_f32_e32 v78, v86, v121
	s_waitcnt vmcnt(22)
	v_fma_f32 v78, v85, v136, -v78
	v_add_f32_e32 v77, v77, v78
	v_mul_f32_e32 v78, v88, v122
	s_waitcnt vmcnt(21)
	v_fma_f32 v78, v87, v137, -v78
	v_add_f32_e32 v77, v77, v78
	v_mul_f32_e32 v78, v90, v123
	v_fmac_f32_e32 v110, v80, v133
	v_add_f32_e32 v109, 0, v109
	s_waitcnt vmcnt(20)
	v_fma_f32 v78, v89, v138, -v78
	v_fmac_f32_e32 v111, v82, v134
	v_add_f32_e32 v109, v109, v110
	v_add_f32_e32 v77, v77, v78
	v_mul_f32_e32 v78, v92, v124
	v_fmac_f32_e32 v112, v84, v135
	v_add_f32_e32 v109, v109, v111
	s_waitcnt vmcnt(19)
	v_fma_f32 v78, v91, v139, -v78
	v_fmac_f32_e32 v113, v86, v136
	v_add_f32_e32 v109, v109, v112
	v_add_f32_e32 v77, v77, v78
	v_mul_f32_e32 v78, v94, v125
	;; [unrolled: 8-line block ×5, first 2 shown]
	s_waitcnt vmcnt(15)
	v_fmac_f32_e32 v162, v100, v143
	v_add_f32_e32 v109, v109, v161
	v_fma_f32 v78, v99, v143, -v78
	s_waitcnt vmcnt(14)
	v_fmac_f32_e32 v163, v102, v144
	v_add_f32_e32 v109, v109, v162
	v_add_f32_e32 v77, v77, v78
	v_mul_f32_e32 v78, v102, v129
	s_waitcnt vmcnt(13)
	v_fmac_f32_e32 v164, v104, v145
	v_add_f32_e32 v109, v109, v163
	v_fma_f32 v78, v101, v144, -v78
	s_waitcnt vmcnt(12)
	v_fmac_f32_e32 v165, v106, v146
	v_add_f32_e32 v109, v109, v164
	v_add_f32_e32 v77, v77, v78
	v_mul_f32_e32 v78, v104, v130
	v_add_f32_e32 v113, v109, v165
	ds_read2_b64 v[109:112], v76 offset0:71 offset1:72
	v_fma_f32 v78, v103, v145, -v78
	v_add_f32_e32 v77, v77, v78
	v_mul_f32_e32 v78, v106, v131
	s_waitcnt vmcnt(11)
	v_mul_f32_e32 v114, v107, v147
	v_fma_f32 v78, v105, v146, -v78
	s_waitcnt vmcnt(10)
	v_fmac_f32_e32 v114, v108, v148
	v_add_f32_e32 v77, v77, v78
	v_mul_f32_e32 v78, v108, v147
	v_add_f32_e32 v159, v113, v114
	ds_read2_b64 v[113:116], v76 offset0:73 offset1:74
	v_fma_f32 v78, v107, v148, -v78
	v_add_f32_e32 v77, v77, v78
	s_waitcnt vmcnt(9) lgkmcnt(1)
	v_mul_f32_e32 v78, v110, v149
	v_mul_f32_e32 v76, v109, v149
	s_waitcnt vmcnt(8)
	v_fma_f32 v78, v109, v150, -v78
	v_fmac_f32_e32 v76, v110, v150
	v_add_f32_e32 v77, v77, v78
	s_waitcnt vmcnt(7)
	v_mul_f32_e32 v78, v112, v151
	v_add_f32_e32 v76, v159, v76
	v_mul_f32_e32 v159, v111, v151
	s_waitcnt vmcnt(6)
	v_fma_f32 v78, v111, v152, -v78
	v_fmac_f32_e32 v159, v112, v152
	v_add_f32_e32 v77, v77, v78
	s_waitcnt vmcnt(5) lgkmcnt(0)
	v_mul_f32_e32 v78, v114, v153
	v_add_f32_e32 v76, v76, v159
	v_mul_f32_e32 v159, v113, v153
	s_waitcnt vmcnt(4)
	v_fma_f32 v78, v113, v154, -v78
	v_fmac_f32_e32 v159, v114, v154
	v_add_f32_e32 v77, v77, v78
	s_waitcnt vmcnt(3)
	v_mul_f32_e32 v78, v116, v155
	v_add_f32_e32 v76, v76, v159
	v_mul_f32_e32 v159, v115, v155
	s_waitcnt vmcnt(2)
	v_fma_f32 v78, v115, v156, -v78
	v_fmac_f32_e32 v159, v116, v156
	v_add_f32_e32 v77, v77, v78
	v_add_f32_e32 v76, v76, v159
	s_waitcnt vmcnt(1)
	v_sub_f32_e32 v77, v157, v77
	s_waitcnt vmcnt(0)
	v_sub_f32_e32 v76, v158, v76
	buffer_store_dword v77, off, s[0:3], 0 offset:128
	buffer_store_dword v76, off, s[0:3], 0 offset:132
	s_and_saveexec_b64 s[4:5], vcc
	s_cbranch_execz .LBB36_205
; %bb.204:
	buffer_load_dword v76, off, s[0:3], 0 offset:120
	buffer_load_dword v77, off, s[0:3], 0 offset:124
	v_mov_b32_e32 v78, 0
	buffer_store_dword v78, off, s[0:3], 0 offset:120
	buffer_store_dword v78, off, s[0:3], 0 offset:124
	s_waitcnt vmcnt(2)
	ds_write_b64 v75, v[76:77]
.LBB36_205:
	s_or_b64 exec, exec, s[4:5]
	s_waitcnt lgkmcnt(0)
	; wave barrier
	buffer_load_dword v119, off, s[0:3], 0 offset:132
	buffer_load_dword v120, off, s[0:3], 0 offset:140
	;; [unrolled: 1-line block ×44, first 2 shown]
	v_mov_b32_e32 v76, 0
	ds_read_b128 v[77:80], v76 offset:432
	ds_read_b128 v[81:84], v76 offset:448
	ds_read_b128 v[85:88], v76 offset:464
	ds_read_b128 v[89:92], v76 offset:480
	ds_read_b128 v[93:96], v76 offset:496
	ds_read_b128 v[97:100], v76 offset:512
	ds_read_b128 v[101:104], v76 offset:528
	ds_read_b128 v[105:108], v76 offset:544
	v_cmp_lt_u32_e32 vcc, 14, v0
	s_waitcnt vmcnt(43) lgkmcnt(7)
	v_mul_f32_e32 v109, v77, v119
	s_waitcnt vmcnt(42)
	v_mul_f32_e32 v110, v79, v120
	s_waitcnt vmcnt(41) lgkmcnt(6)
	v_mul_f32_e32 v111, v81, v121
	s_waitcnt vmcnt(40)
	v_mul_f32_e32 v112, v83, v122
	;; [unrolled: 4-line block ×7, first 2 shown]
	s_waitcnt vmcnt(29)
	v_fmac_f32_e32 v109, v78, v133
	v_mul_f32_e32 v78, v78, v119
	v_fma_f32 v77, v77, v133, -v78
	v_mul_f32_e32 v78, v80, v120
	v_add_f32_e32 v77, 0, v77
	s_waitcnt vmcnt(28)
	v_fma_f32 v78, v79, v134, -v78
	v_add_f32_e32 v77, v77, v78
	v_mul_f32_e32 v78, v82, v121
	s_waitcnt vmcnt(27)
	v_fma_f32 v78, v81, v135, -v78
	v_add_f32_e32 v77, v77, v78
	v_mul_f32_e32 v78, v84, v122
	;; [unrolled: 4-line block ×4, first 2 shown]
	s_waitcnt vmcnt(24)
	v_fma_f32 v78, v87, v138, -v78
	v_fmac_f32_e32 v110, v80, v134
	v_add_f32_e32 v109, 0, v109
	v_add_f32_e32 v77, v77, v78
	v_mul_f32_e32 v78, v90, v125
	v_fmac_f32_e32 v111, v82, v135
	v_add_f32_e32 v109, v109, v110
	s_waitcnt vmcnt(23)
	v_fma_f32 v78, v89, v139, -v78
	v_fmac_f32_e32 v112, v84, v136
	v_add_f32_e32 v109, v109, v111
	v_add_f32_e32 v77, v77, v78
	v_mul_f32_e32 v78, v92, v126
	v_fmac_f32_e32 v113, v86, v137
	v_add_f32_e32 v109, v109, v112
	;; [unrolled: 8-line block ×4, first 2 shown]
	s_waitcnt vmcnt(20)
	v_fma_f32 v78, v95, v142, -v78
	v_fmac_f32_e32 v118, v96, v142
	v_add_f32_e32 v109, v109, v117
	v_add_f32_e32 v77, v77, v78
	v_mul_f32_e32 v78, v98, v129
	s_waitcnt vmcnt(19)
	v_fmac_f32_e32 v163, v98, v143
	v_add_f32_e32 v109, v109, v118
	v_fma_f32 v78, v97, v143, -v78
	s_waitcnt vmcnt(18)
	v_fmac_f32_e32 v164, v100, v144
	v_add_f32_e32 v109, v109, v163
	v_add_f32_e32 v77, v77, v78
	v_mul_f32_e32 v78, v100, v130
	s_waitcnt vmcnt(17)
	v_fmac_f32_e32 v165, v102, v145
	v_add_f32_e32 v109, v109, v164
	v_fma_f32 v78, v99, v144, -v78
	v_add_f32_e32 v109, v109, v165
	s_waitcnt vmcnt(16)
	v_fmac_f32_e32 v166, v104, v146
	s_waitcnt vmcnt(15) lgkmcnt(0)
	v_mul_f32_e32 v110, v105, v147
	v_add_f32_e32 v77, v77, v78
	v_mul_f32_e32 v78, v102, v131
	v_add_f32_e32 v109, v109, v166
	s_waitcnt vmcnt(14)
	v_fmac_f32_e32 v110, v106, v148
	v_fma_f32 v78, v101, v145, -v78
	v_add_f32_e32 v113, v109, v110
	ds_read_b128 v[109:112], v76 offset:560
	v_add_f32_e32 v77, v77, v78
	v_mul_f32_e32 v78, v104, v132
	v_fma_f32 v78, v103, v146, -v78
	v_add_f32_e32 v77, v77, v78
	v_mul_f32_e32 v78, v106, v147
	s_waitcnt vmcnt(13)
	v_mul_f32_e32 v114, v107, v149
	v_fma_f32 v78, v105, v148, -v78
	s_waitcnt vmcnt(12)
	v_fmac_f32_e32 v114, v108, v150
	v_add_f32_e32 v77, v77, v78
	v_mul_f32_e32 v78, v108, v149
	v_add_f32_e32 v117, v113, v114
	ds_read_b128 v[113:116], v76 offset:576
	s_waitcnt vmcnt(11) lgkmcnt(1)
	v_mul_f32_e32 v118, v109, v151
	v_fma_f32 v78, v107, v150, -v78
	s_waitcnt vmcnt(10)
	v_fmac_f32_e32 v118, v110, v152
	v_add_f32_e32 v77, v77, v78
	v_mul_f32_e32 v78, v110, v151
	v_add_f32_e32 v117, v117, v118
	s_waitcnt vmcnt(9)
	v_mul_f32_e32 v118, v111, v153
	v_fma_f32 v78, v109, v152, -v78
	s_waitcnt vmcnt(8)
	v_fmac_f32_e32 v118, v112, v154
	v_add_f32_e32 v77, v77, v78
	v_mul_f32_e32 v78, v112, v153
	v_add_f32_e32 v163, v117, v118
	ds_read_b64 v[117:118], v76 offset:592
	v_fma_f32 v78, v111, v154, -v78
	v_add_f32_e32 v77, v77, v78
	s_waitcnt vmcnt(7) lgkmcnt(1)
	v_mul_f32_e32 v78, v114, v155
	v_mul_f32_e32 v164, v113, v155
	s_waitcnt vmcnt(6)
	v_fma_f32 v78, v113, v156, -v78
	v_fmac_f32_e32 v164, v114, v156
	v_add_f32_e32 v77, v77, v78
	s_waitcnt vmcnt(5)
	v_mul_f32_e32 v78, v116, v157
	v_add_f32_e32 v163, v163, v164
	v_mul_f32_e32 v164, v115, v157
	s_waitcnt vmcnt(4)
	v_fma_f32 v78, v115, v158, -v78
	v_fmac_f32_e32 v164, v116, v158
	v_add_f32_e32 v77, v77, v78
	s_waitcnt vmcnt(3) lgkmcnt(0)
	v_mul_f32_e32 v78, v118, v159
	v_add_f32_e32 v163, v163, v164
	v_mul_f32_e32 v164, v117, v159
	s_waitcnt vmcnt(2)
	v_fma_f32 v78, v117, v160, -v78
	v_fmac_f32_e32 v164, v118, v160
	v_add_f32_e32 v77, v77, v78
	v_add_f32_e32 v163, v163, v164
	s_waitcnt vmcnt(1)
	v_sub_f32_e32 v77, v161, v77
	s_waitcnt vmcnt(0)
	v_sub_f32_e32 v78, v162, v163
	buffer_store_dword v77, off, s[0:3], 0 offset:120
	buffer_store_dword v78, off, s[0:3], 0 offset:124
	s_and_saveexec_b64 s[4:5], vcc
	s_cbranch_execz .LBB36_207
; %bb.206:
	buffer_load_dword v77, off, s[0:3], 0 offset:112
	buffer_load_dword v78, off, s[0:3], 0 offset:116
	s_waitcnt vmcnt(0)
	ds_write_b64 v75, v[77:78]
	buffer_store_dword v76, off, s[0:3], 0 offset:112
	buffer_store_dword v76, off, s[0:3], 0 offset:116
.LBB36_207:
	s_or_b64 exec, exec, s[4:5]
	s_waitcnt lgkmcnt(0)
	; wave barrier
	buffer_load_dword v121, off, s[0:3], 0 offset:124
	buffer_load_dword v122, off, s[0:3], 0 offset:132
	;; [unrolled: 1-line block ×46, first 2 shown]
	ds_read2_b64 v[77:80], v76 offset0:53 offset1:54
	ds_read2_b64 v[81:84], v76 offset0:55 offset1:56
	;; [unrolled: 1-line block ×8, first 2 shown]
	v_cmp_lt_u32_e32 vcc, 13, v0
	s_waitcnt vmcnt(45) lgkmcnt(7)
	v_mul_f32_e32 v109, v77, v121
	s_waitcnt vmcnt(44)
	v_mul_f32_e32 v110, v79, v122
	s_waitcnt vmcnt(43) lgkmcnt(6)
	v_mul_f32_e32 v111, v81, v123
	s_waitcnt vmcnt(42)
	v_mul_f32_e32 v112, v83, v124
	s_waitcnt vmcnt(41) lgkmcnt(5)
	v_mul_f32_e32 v113, v85, v125
	s_waitcnt vmcnt(40)
	v_mul_f32_e32 v114, v87, v126
	s_waitcnt vmcnt(39) lgkmcnt(4)
	v_mul_f32_e32 v115, v89, v127
	s_waitcnt vmcnt(38)
	v_mul_f32_e32 v116, v91, v128
	s_waitcnt vmcnt(37) lgkmcnt(3)
	v_mul_f32_e32 v117, v93, v129
	s_waitcnt vmcnt(36)
	v_mul_f32_e32 v118, v95, v130
	s_waitcnt vmcnt(35) lgkmcnt(2)
	v_mul_f32_e32 v119, v97, v131
	s_waitcnt vmcnt(34)
	v_mul_f32_e32 v120, v99, v132
	s_waitcnt vmcnt(33) lgkmcnt(1)
	v_mul_f32_e32 v167, v101, v133
	s_waitcnt vmcnt(32)
	v_fmac_f32_e32 v109, v78, v134
	v_mul_f32_e32 v78, v78, v121
	v_fma_f32 v77, v77, v134, -v78
	v_mul_f32_e32 v78, v80, v122
	v_add_f32_e32 v77, 0, v77
	s_waitcnt vmcnt(31)
	v_fma_f32 v78, v79, v135, -v78
	v_add_f32_e32 v77, v77, v78
	v_mul_f32_e32 v78, v82, v123
	s_waitcnt vmcnt(30)
	v_fma_f32 v78, v81, v136, -v78
	v_add_f32_e32 v77, v77, v78
	v_mul_f32_e32 v78, v84, v124
	s_waitcnt vmcnt(29)
	v_fma_f32 v78, v83, v137, -v78
	v_add_f32_e32 v77, v77, v78
	v_mul_f32_e32 v78, v86, v125
	s_waitcnt vmcnt(28)
	v_fma_f32 v78, v85, v138, -v78
	v_add_f32_e32 v77, v77, v78
	v_mul_f32_e32 v78, v88, v126
	v_fmac_f32_e32 v110, v80, v135
	v_add_f32_e32 v109, 0, v109
	s_waitcnt vmcnt(27)
	v_fma_f32 v78, v87, v139, -v78
	v_fmac_f32_e32 v111, v82, v136
	v_add_f32_e32 v109, v109, v110
	v_add_f32_e32 v77, v77, v78
	v_mul_f32_e32 v78, v90, v127
	v_fmac_f32_e32 v112, v84, v137
	v_add_f32_e32 v109, v109, v111
	s_waitcnt vmcnt(26)
	v_fma_f32 v78, v89, v140, -v78
	v_fmac_f32_e32 v113, v86, v138
	v_add_f32_e32 v109, v109, v112
	v_add_f32_e32 v77, v77, v78
	v_mul_f32_e32 v78, v92, v128
	;; [unrolled: 8-line block ×4, first 2 shown]
	s_waitcnt vmcnt(23)
	v_fmac_f32_e32 v118, v96, v143
	v_add_f32_e32 v109, v109, v117
	v_fma_f32 v78, v95, v143, -v78
	s_waitcnt vmcnt(22)
	v_fmac_f32_e32 v119, v98, v144
	v_add_f32_e32 v109, v109, v118
	v_add_f32_e32 v77, v77, v78
	v_mul_f32_e32 v78, v98, v131
	s_waitcnt vmcnt(21)
	v_fmac_f32_e32 v120, v100, v145
	v_add_f32_e32 v109, v109, v119
	v_fma_f32 v78, v97, v144, -v78
	s_waitcnt vmcnt(20)
	v_fmac_f32_e32 v167, v102, v146
	v_add_f32_e32 v109, v109, v120
	s_waitcnt vmcnt(19)
	v_mul_f32_e32 v110, v103, v147
	v_add_f32_e32 v77, v77, v78
	v_mul_f32_e32 v78, v100, v132
	v_add_f32_e32 v109, v109, v167
	s_waitcnt vmcnt(18)
	v_fmac_f32_e32 v110, v104, v148
	v_fma_f32 v78, v99, v145, -v78
	v_add_f32_e32 v109, v109, v110
	s_waitcnt vmcnt(17) lgkmcnt(0)
	v_mul_f32_e32 v110, v105, v149
	v_add_f32_e32 v77, v77, v78
	v_mul_f32_e32 v78, v102, v133
	s_waitcnt vmcnt(16)
	v_fmac_f32_e32 v110, v106, v150
	v_fma_f32 v78, v101, v146, -v78
	v_add_f32_e32 v113, v109, v110
	ds_read2_b64 v[109:112], v76 offset0:69 offset1:70
	v_add_f32_e32 v77, v77, v78
	v_mul_f32_e32 v78, v104, v147
	v_fma_f32 v78, v103, v148, -v78
	v_add_f32_e32 v77, v77, v78
	v_mul_f32_e32 v78, v106, v149
	s_waitcnt vmcnt(15)
	v_mul_f32_e32 v114, v107, v151
	v_fma_f32 v78, v105, v150, -v78
	s_waitcnt vmcnt(14)
	v_fmac_f32_e32 v114, v108, v152
	v_add_f32_e32 v77, v77, v78
	v_mul_f32_e32 v78, v108, v151
	v_add_f32_e32 v117, v113, v114
	ds_read2_b64 v[113:116], v76 offset0:71 offset1:72
	s_waitcnt vmcnt(13) lgkmcnt(1)
	v_mul_f32_e32 v118, v109, v153
	v_fma_f32 v78, v107, v152, -v78
	s_waitcnt vmcnt(12)
	v_fmac_f32_e32 v118, v110, v154
	v_add_f32_e32 v77, v77, v78
	v_mul_f32_e32 v78, v110, v153
	v_add_f32_e32 v117, v117, v118
	s_waitcnt vmcnt(11)
	v_mul_f32_e32 v118, v111, v155
	v_fma_f32 v78, v109, v154, -v78
	s_waitcnt vmcnt(10)
	v_fmac_f32_e32 v118, v112, v156
	v_add_f32_e32 v77, v77, v78
	v_mul_f32_e32 v78, v112, v155
	v_add_f32_e32 v167, v117, v118
	ds_read2_b64 v[117:120], v76 offset0:73 offset1:74
	v_fma_f32 v78, v111, v156, -v78
	v_add_f32_e32 v77, v77, v78
	s_waitcnt vmcnt(9) lgkmcnt(1)
	v_mul_f32_e32 v78, v114, v157
	v_mul_f32_e32 v168, v113, v157
	s_waitcnt vmcnt(8)
	v_fma_f32 v78, v113, v158, -v78
	v_fmac_f32_e32 v168, v114, v158
	v_add_f32_e32 v77, v77, v78
	s_waitcnt vmcnt(7)
	v_mul_f32_e32 v78, v116, v159
	v_add_f32_e32 v76, v167, v168
	v_mul_f32_e32 v167, v115, v159
	s_waitcnt vmcnt(6)
	v_fma_f32 v78, v115, v160, -v78
	v_fmac_f32_e32 v167, v116, v160
	v_add_f32_e32 v77, v77, v78
	s_waitcnt vmcnt(5) lgkmcnt(0)
	v_mul_f32_e32 v78, v118, v161
	v_add_f32_e32 v76, v76, v167
	v_mul_f32_e32 v167, v117, v161
	s_waitcnt vmcnt(4)
	v_fma_f32 v78, v117, v162, -v78
	v_fmac_f32_e32 v167, v118, v162
	v_add_f32_e32 v77, v77, v78
	s_waitcnt vmcnt(3)
	v_mul_f32_e32 v78, v120, v163
	v_add_f32_e32 v76, v76, v167
	v_mul_f32_e32 v167, v119, v163
	s_waitcnt vmcnt(2)
	v_fma_f32 v78, v119, v164, -v78
	v_fmac_f32_e32 v167, v120, v164
	v_add_f32_e32 v77, v77, v78
	v_add_f32_e32 v76, v76, v167
	s_waitcnt vmcnt(1)
	v_sub_f32_e32 v77, v165, v77
	s_waitcnt vmcnt(0)
	v_sub_f32_e32 v76, v166, v76
	buffer_store_dword v77, off, s[0:3], 0 offset:112
	buffer_store_dword v76, off, s[0:3], 0 offset:116
	s_and_saveexec_b64 s[4:5], vcc
	s_cbranch_execz .LBB36_209
; %bb.208:
	buffer_load_dword v76, off, s[0:3], 0 offset:104
	buffer_load_dword v77, off, s[0:3], 0 offset:108
	v_mov_b32_e32 v78, 0
	buffer_store_dword v78, off, s[0:3], 0 offset:104
	buffer_store_dword v78, off, s[0:3], 0 offset:108
	s_waitcnt vmcnt(2)
	ds_write_b64 v75, v[76:77]
.LBB36_209:
	s_or_b64 exec, exec, s[4:5]
	s_waitcnt lgkmcnt(0)
	; wave barrier
	buffer_load_dword v123, off, s[0:3], 0 offset:116
	buffer_load_dword v124, off, s[0:3], 0 offset:124
	;; [unrolled: 1-line block ×48, first 2 shown]
	v_mov_b32_e32 v76, 0
	ds_read_b128 v[77:80], v76 offset:416
	ds_read_b128 v[81:84], v76 offset:432
	ds_read_b128 v[85:88], v76 offset:448
	ds_read_b128 v[89:92], v76 offset:464
	ds_read_b128 v[93:96], v76 offset:480
	ds_read_b128 v[97:100], v76 offset:496
	ds_read_b128 v[101:104], v76 offset:512
	v_cmp_lt_u32_e32 vcc, 12, v0
	s_waitcnt vmcnt(47) lgkmcnt(6)
	v_mul_f32_e32 v105, v77, v123
	s_waitcnt vmcnt(46)
	v_mul_f32_e32 v106, v79, v124
	s_waitcnt vmcnt(45) lgkmcnt(5)
	v_mul_f32_e32 v107, v81, v125
	s_waitcnt vmcnt(44)
	v_mul_f32_e32 v108, v83, v126
	;; [unrolled: 4-line block ×6, first 2 shown]
	s_waitcnt vmcnt(35)
	v_fmac_f32_e32 v105, v78, v135
	v_mul_f32_e32 v78, v78, v123
	v_fma_f32 v77, v77, v135, -v78
	v_mul_f32_e32 v78, v80, v124
	v_add_f32_e32 v77, 0, v77
	s_waitcnt vmcnt(34)
	v_fma_f32 v78, v79, v136, -v78
	v_add_f32_e32 v77, v77, v78
	v_mul_f32_e32 v78, v82, v125
	s_waitcnt vmcnt(33)
	v_fma_f32 v78, v81, v137, -v78
	v_fmac_f32_e32 v106, v80, v136
	v_add_f32_e32 v105, 0, v105
	v_add_f32_e32 v77, v77, v78
	v_mul_f32_e32 v78, v84, v126
	v_fmac_f32_e32 v107, v82, v137
	v_add_f32_e32 v105, v105, v106
	s_waitcnt vmcnt(32)
	v_fma_f32 v78, v83, v138, -v78
	v_fmac_f32_e32 v108, v84, v138
	v_add_f32_e32 v105, v105, v107
	v_add_f32_e32 v77, v77, v78
	v_mul_f32_e32 v78, v86, v127
	s_waitcnt vmcnt(31)
	v_fmac_f32_e32 v109, v86, v139
	v_add_f32_e32 v105, v105, v108
	v_fma_f32 v78, v85, v139, -v78
	s_waitcnt vmcnt(30)
	v_fmac_f32_e32 v110, v88, v140
	v_add_f32_e32 v105, v105, v109
	v_add_f32_e32 v77, v77, v78
	v_mul_f32_e32 v78, v88, v128
	s_waitcnt vmcnt(29)
	v_fmac_f32_e32 v111, v90, v141
	v_add_f32_e32 v105, v105, v110
	v_fma_f32 v78, v87, v140, -v78
	s_waitcnt vmcnt(28)
	;; [unrolled: 9-line block ×4, first 2 shown]
	v_fmac_f32_e32 v116, v100, v146
	v_add_f32_e32 v105, v105, v115
	v_add_f32_e32 v77, v77, v78
	v_mul_f32_e32 v78, v94, v131
	v_add_f32_e32 v109, v105, v116
	ds_read_b128 v[105:108], v76 offset:528
	v_fma_f32 v78, v93, v143, -v78
	s_waitcnt vmcnt(23) lgkmcnt(1)
	v_mul_f32_e32 v110, v101, v147
	v_add_f32_e32 v77, v77, v78
	v_mul_f32_e32 v78, v96, v132
	s_waitcnt vmcnt(22)
	v_fmac_f32_e32 v110, v102, v148
	v_fma_f32 v78, v95, v144, -v78
	v_add_f32_e32 v109, v109, v110
	s_waitcnt vmcnt(21)
	v_mul_f32_e32 v110, v103, v149
	v_add_f32_e32 v77, v77, v78
	v_mul_f32_e32 v78, v98, v133
	s_waitcnt vmcnt(20)
	v_fmac_f32_e32 v110, v104, v150
	v_fma_f32 v78, v97, v145, -v78
	v_add_f32_e32 v109, v109, v110
	s_waitcnt vmcnt(19) lgkmcnt(0)
	v_mul_f32_e32 v110, v105, v151
	v_add_f32_e32 v77, v77, v78
	v_mul_f32_e32 v78, v100, v134
	s_waitcnt vmcnt(18)
	v_fmac_f32_e32 v110, v106, v152
	v_fma_f32 v78, v99, v146, -v78
	v_add_f32_e32 v113, v109, v110
	ds_read_b128 v[109:112], v76 offset:544
	v_add_f32_e32 v77, v77, v78
	v_mul_f32_e32 v78, v102, v147
	v_fma_f32 v78, v101, v148, -v78
	s_waitcnt vmcnt(17)
	v_mul_f32_e32 v114, v107, v153
	v_add_f32_e32 v77, v77, v78
	v_mul_f32_e32 v78, v104, v149
	s_waitcnt vmcnt(16)
	v_fmac_f32_e32 v114, v108, v154
	v_fma_f32 v78, v103, v150, -v78
	v_add_f32_e32 v117, v113, v114
	ds_read_b128 v[113:116], v76 offset:560
	v_add_f32_e32 v77, v77, v78
	v_mul_f32_e32 v78, v106, v151
	s_waitcnt vmcnt(15) lgkmcnt(1)
	v_mul_f32_e32 v118, v109, v155
	v_fma_f32 v78, v105, v152, -v78
	s_waitcnt vmcnt(14)
	v_fmac_f32_e32 v118, v110, v156
	v_add_f32_e32 v77, v77, v78
	v_mul_f32_e32 v78, v108, v153
	v_add_f32_e32 v117, v117, v118
	s_waitcnt vmcnt(13)
	v_mul_f32_e32 v118, v111, v157
	v_fma_f32 v78, v107, v154, -v78
	s_waitcnt vmcnt(12)
	v_fmac_f32_e32 v118, v112, v158
	v_add_f32_e32 v77, v77, v78
	v_mul_f32_e32 v78, v110, v155
	v_add_f32_e32 v117, v117, v118
	s_waitcnt vmcnt(11) lgkmcnt(0)
	v_mul_f32_e32 v118, v113, v159
	v_fma_f32 v78, v109, v156, -v78
	s_waitcnt vmcnt(10)
	v_fmac_f32_e32 v118, v114, v160
	v_add_f32_e32 v77, v77, v78
	v_mul_f32_e32 v78, v112, v157
	v_add_f32_e32 v121, v117, v118
	ds_read_b128 v[117:120], v76 offset:576
	v_fma_f32 v78, v111, v158, -v78
	v_add_f32_e32 v77, v77, v78
	v_mul_f32_e32 v78, v114, v159
	s_waitcnt vmcnt(9)
	v_mul_f32_e32 v122, v115, v161
	v_fma_f32 v78, v113, v160, -v78
	s_waitcnt vmcnt(8)
	v_fmac_f32_e32 v122, v116, v162
	v_add_f32_e32 v77, v77, v78
	v_mul_f32_e32 v78, v116, v161
	v_add_f32_e32 v171, v121, v122
	ds_read_b64 v[121:122], v76 offset:592
	v_fma_f32 v78, v115, v162, -v78
	v_add_f32_e32 v77, v77, v78
	s_waitcnt vmcnt(6) lgkmcnt(1)
	v_mul_f32_e32 v78, v118, v164
	v_mul_f32_e32 v172, v117, v164
	v_fma_f32 v78, v117, v163, -v78
	v_fmac_f32_e32 v172, v118, v163
	v_add_f32_e32 v77, v77, v78
	s_waitcnt vmcnt(3)
	v_mul_f32_e32 v78, v120, v167
	v_add_f32_e32 v171, v171, v172
	v_mul_f32_e32 v172, v119, v167
	s_waitcnt vmcnt(2)
	v_fma_f32 v78, v119, v168, -v78
	v_fmac_f32_e32 v172, v120, v168
	v_add_f32_e32 v77, v77, v78
	s_waitcnt vmcnt(0) lgkmcnt(0)
	v_mul_f32_e32 v78, v122, v170
	v_add_f32_e32 v171, v171, v172
	v_mul_f32_e32 v172, v121, v170
	v_fma_f32 v78, v121, v169, -v78
	v_fmac_f32_e32 v172, v122, v169
	v_add_f32_e32 v77, v77, v78
	v_add_f32_e32 v171, v171, v172
	v_sub_f32_e32 v77, v165, v77
	v_sub_f32_e32 v78, v166, v171
	buffer_store_dword v77, off, s[0:3], 0 offset:104
	buffer_store_dword v78, off, s[0:3], 0 offset:108
	s_and_saveexec_b64 s[4:5], vcc
	s_cbranch_execz .LBB36_211
; %bb.210:
	buffer_load_dword v77, off, s[0:3], 0 offset:96
	buffer_load_dword v78, off, s[0:3], 0 offset:100
	s_waitcnt vmcnt(0)
	ds_write_b64 v75, v[77:78]
	buffer_store_dword v76, off, s[0:3], 0 offset:96
	buffer_store_dword v76, off, s[0:3], 0 offset:100
.LBB36_211:
	s_or_b64 exec, exec, s[4:5]
	s_waitcnt lgkmcnt(0)
	; wave barrier
	buffer_load_dword v125, off, s[0:3], 0 offset:108
	buffer_load_dword v126, off, s[0:3], 0 offset:116
	;; [unrolled: 1-line block ×48, first 2 shown]
	ds_read2_b64 v[77:80], v76 offset0:51 offset1:52
	ds_read2_b64 v[81:84], v76 offset0:53 offset1:54
	buffer_load_dword v173, off, s[0:3], 0 offset:288
	buffer_load_dword v174, off, s[0:3], 0 offset:292
	ds_read2_b64 v[85:88], v76 offset0:55 offset1:56
	ds_read2_b64 v[89:92], v76 offset0:57 offset1:58
	;; [unrolled: 1-line block ×5, first 2 shown]
	v_cmp_lt_u32_e32 vcc, 11, v0
	s_waitcnt vmcnt(49) lgkmcnt(6)
	v_mul_f32_e32 v105, v77, v125
	s_waitcnt vmcnt(48)
	v_mul_f32_e32 v106, v79, v126
	s_waitcnt vmcnt(47) lgkmcnt(5)
	v_mul_f32_e32 v107, v81, v127
	s_waitcnt vmcnt(46)
	v_mul_f32_e32 v108, v83, v128
	;; [unrolled: 4-line block ×6, first 2 shown]
	s_waitcnt vmcnt(37)
	v_fmac_f32_e32 v105, v78, v137
	v_mul_f32_e32 v78, v78, v125
	v_fma_f32 v77, v77, v137, -v78
	v_mul_f32_e32 v78, v80, v126
	v_add_f32_e32 v77, 0, v77
	s_waitcnt vmcnt(36)
	v_fma_f32 v78, v79, v138, -v78
	v_add_f32_e32 v77, v77, v78
	v_mul_f32_e32 v78, v82, v127
	s_waitcnt vmcnt(35)
	v_fma_f32 v78, v81, v139, -v78
	v_fmac_f32_e32 v106, v80, v138
	v_add_f32_e32 v105, 0, v105
	v_add_f32_e32 v77, v77, v78
	v_mul_f32_e32 v78, v84, v128
	v_fmac_f32_e32 v107, v82, v139
	v_add_f32_e32 v105, v105, v106
	s_waitcnt vmcnt(34)
	v_fma_f32 v78, v83, v140, -v78
	v_fmac_f32_e32 v108, v84, v140
	v_add_f32_e32 v105, v105, v107
	v_add_f32_e32 v77, v77, v78
	v_mul_f32_e32 v78, v86, v129
	s_waitcnt vmcnt(33)
	v_fmac_f32_e32 v109, v86, v141
	v_add_f32_e32 v105, v105, v108
	v_fma_f32 v78, v85, v141, -v78
	s_waitcnt vmcnt(32)
	v_fmac_f32_e32 v110, v88, v142
	v_add_f32_e32 v105, v105, v109
	v_add_f32_e32 v77, v77, v78
	v_mul_f32_e32 v78, v88, v130
	s_waitcnt vmcnt(31)
	v_fmac_f32_e32 v111, v90, v143
	v_add_f32_e32 v105, v105, v110
	v_fma_f32 v78, v87, v142, -v78
	s_waitcnt vmcnt(30)
	v_fmac_f32_e32 v112, v92, v144
	v_add_f32_e32 v105, v105, v111
	v_add_f32_e32 v77, v77, v78
	v_mul_f32_e32 v78, v90, v131
	s_waitcnt vmcnt(29)
	v_fmac_f32_e32 v113, v94, v145
	v_add_f32_e32 v105, v105, v112
	v_fma_f32 v78, v89, v143, -v78
	s_waitcnt vmcnt(28)
	v_fmac_f32_e32 v114, v96, v146
	v_add_f32_e32 v105, v105, v113
	v_add_f32_e32 v77, v77, v78
	v_mul_f32_e32 v78, v92, v132
	s_waitcnt vmcnt(27)
	v_fmac_f32_e32 v115, v98, v147
	v_add_f32_e32 v105, v105, v114
	v_fma_f32 v78, v91, v144, -v78
	v_add_f32_e32 v105, v105, v115
	s_waitcnt vmcnt(26)
	v_fmac_f32_e32 v116, v100, v148
	v_add_f32_e32 v77, v77, v78
	v_mul_f32_e32 v78, v94, v133
	v_add_f32_e32 v109, v105, v116
	ds_read2_b64 v[105:108], v76 offset0:65 offset1:66
	v_fma_f32 v78, v93, v145, -v78
	s_waitcnt vmcnt(25) lgkmcnt(1)
	v_mul_f32_e32 v110, v101, v149
	v_add_f32_e32 v77, v77, v78
	v_mul_f32_e32 v78, v96, v134
	s_waitcnt vmcnt(24)
	v_fmac_f32_e32 v110, v102, v150
	v_fma_f32 v78, v95, v146, -v78
	v_add_f32_e32 v109, v109, v110
	s_waitcnt vmcnt(23)
	v_mul_f32_e32 v110, v103, v151
	v_add_f32_e32 v77, v77, v78
	v_mul_f32_e32 v78, v98, v135
	s_waitcnt vmcnt(22)
	v_fmac_f32_e32 v110, v104, v152
	v_fma_f32 v78, v97, v147, -v78
	v_add_f32_e32 v109, v109, v110
	s_waitcnt vmcnt(21) lgkmcnt(0)
	v_mul_f32_e32 v110, v105, v153
	v_add_f32_e32 v77, v77, v78
	v_mul_f32_e32 v78, v100, v136
	s_waitcnt vmcnt(20)
	v_fmac_f32_e32 v110, v106, v154
	v_fma_f32 v78, v99, v148, -v78
	v_add_f32_e32 v113, v109, v110
	ds_read2_b64 v[109:112], v76 offset0:67 offset1:68
	v_add_f32_e32 v77, v77, v78
	v_mul_f32_e32 v78, v102, v149
	v_fma_f32 v78, v101, v150, -v78
	s_waitcnt vmcnt(19)
	v_mul_f32_e32 v114, v107, v155
	v_add_f32_e32 v77, v77, v78
	v_mul_f32_e32 v78, v104, v151
	s_waitcnt vmcnt(18)
	v_fmac_f32_e32 v114, v108, v156
	v_fma_f32 v78, v103, v152, -v78
	v_add_f32_e32 v117, v113, v114
	ds_read2_b64 v[113:116], v76 offset0:69 offset1:70
	v_add_f32_e32 v77, v77, v78
	v_mul_f32_e32 v78, v106, v153
	s_waitcnt vmcnt(17) lgkmcnt(1)
	v_mul_f32_e32 v118, v109, v157
	v_fma_f32 v78, v105, v154, -v78
	s_waitcnt vmcnt(16)
	v_fmac_f32_e32 v118, v110, v158
	v_add_f32_e32 v77, v77, v78
	v_mul_f32_e32 v78, v108, v155
	v_add_f32_e32 v117, v117, v118
	s_waitcnt vmcnt(15)
	v_mul_f32_e32 v118, v111, v159
	v_fma_f32 v78, v107, v156, -v78
	s_waitcnt vmcnt(14)
	v_fmac_f32_e32 v118, v112, v160
	v_add_f32_e32 v77, v77, v78
	v_mul_f32_e32 v78, v110, v157
	v_add_f32_e32 v117, v117, v118
	s_waitcnt vmcnt(13) lgkmcnt(0)
	v_mul_f32_e32 v118, v113, v161
	v_fma_f32 v78, v109, v158, -v78
	s_waitcnt vmcnt(12)
	v_fmac_f32_e32 v118, v114, v162
	v_add_f32_e32 v77, v77, v78
	v_mul_f32_e32 v78, v112, v159
	v_add_f32_e32 v121, v117, v118
	ds_read2_b64 v[117:120], v76 offset0:71 offset1:72
	v_fma_f32 v78, v111, v160, -v78
	v_add_f32_e32 v77, v77, v78
	v_mul_f32_e32 v78, v114, v161
	s_waitcnt vmcnt(11)
	v_mul_f32_e32 v122, v115, v163
	v_fma_f32 v78, v113, v162, -v78
	s_waitcnt vmcnt(10)
	v_fmac_f32_e32 v122, v116, v164
	v_add_f32_e32 v77, v77, v78
	v_mul_f32_e32 v78, v116, v163
	v_add_f32_e32 v175, v121, v122
	ds_read2_b64 v[121:124], v76 offset0:73 offset1:74
	v_fma_f32 v78, v115, v164, -v78
	v_add_f32_e32 v77, v77, v78
	s_waitcnt vmcnt(7) lgkmcnt(1)
	v_mul_f32_e32 v78, v118, v167
	v_mul_f32_e32 v76, v117, v167
	s_waitcnt vmcnt(6)
	v_fma_f32 v78, v117, v168, -v78
	v_fmac_f32_e32 v76, v118, v168
	v_add_f32_e32 v77, v77, v78
	s_waitcnt vmcnt(4)
	v_mul_f32_e32 v78, v120, v170
	v_add_f32_e32 v76, v175, v76
	v_mul_f32_e32 v175, v119, v170
	v_fma_f32 v78, v119, v169, -v78
	v_fmac_f32_e32 v175, v120, v169
	v_add_f32_e32 v77, v77, v78
	s_waitcnt vmcnt(2) lgkmcnt(0)
	v_mul_f32_e32 v78, v122, v172
	v_add_f32_e32 v76, v76, v175
	v_mul_f32_e32 v175, v121, v172
	v_fma_f32 v78, v121, v171, -v78
	v_fmac_f32_e32 v175, v122, v171
	v_add_f32_e32 v77, v77, v78
	s_waitcnt vmcnt(0)
	v_mul_f32_e32 v78, v124, v174
	v_add_f32_e32 v76, v76, v175
	v_mul_f32_e32 v175, v123, v174
	v_fma_f32 v78, v123, v173, -v78
	v_fmac_f32_e32 v175, v124, v173
	v_add_f32_e32 v77, v77, v78
	v_add_f32_e32 v76, v76, v175
	v_sub_f32_e32 v77, v165, v77
	v_sub_f32_e32 v76, v166, v76
	buffer_store_dword v77, off, s[0:3], 0 offset:96
	buffer_store_dword v76, off, s[0:3], 0 offset:100
	s_and_saveexec_b64 s[4:5], vcc
	s_cbranch_execz .LBB36_213
; %bb.212:
	buffer_load_dword v76, off, s[0:3], 0 offset:88
	buffer_load_dword v77, off, s[0:3], 0 offset:92
	v_mov_b32_e32 v78, 0
	buffer_store_dword v78, off, s[0:3], 0 offset:88
	buffer_store_dword v78, off, s[0:3], 0 offset:92
	s_waitcnt vmcnt(2)
	ds_write_b64 v75, v[76:77]
.LBB36_213:
	s_or_b64 exec, exec, s[4:5]
	s_waitcnt lgkmcnt(0)
	; wave barrier
	buffer_load_dword v127, off, s[0:3], 0 offset:100
	buffer_load_dword v128, off, s[0:3], 0 offset:108
	;; [unrolled: 1-line block ×52, first 2 shown]
	v_mov_b32_e32 v76, 0
	ds_read_b128 v[77:80], v76 offset:400
	ds_read_b128 v[81:84], v76 offset:416
	;; [unrolled: 1-line block ×6, first 2 shown]
	v_cmp_lt_u32_e32 vcc, 10, v0
	s_waitcnt vmcnt(51) lgkmcnt(5)
	v_mul_f32_e32 v101, v77, v127
	s_waitcnt vmcnt(50)
	v_mul_f32_e32 v102, v79, v128
	s_waitcnt vmcnt(49) lgkmcnt(4)
	v_mul_f32_e32 v103, v81, v129
	s_waitcnt vmcnt(48)
	v_mul_f32_e32 v104, v83, v130
	;; [unrolled: 4-line block ×5, first 2 shown]
	s_waitcnt vmcnt(41) lgkmcnt(0)
	v_mul_f32_e32 v111, v97, v137
	s_waitcnt vmcnt(40)
	v_fmac_f32_e32 v101, v78, v138
	v_mul_f32_e32 v78, v78, v127
	s_waitcnt vmcnt(39)
	v_fmac_f32_e32 v102, v80, v139
	v_add_f32_e32 v101, 0, v101
	v_fma_f32 v77, v77, v138, -v78
	v_mul_f32_e32 v78, v80, v128
	s_waitcnt vmcnt(38)
	v_fmac_f32_e32 v103, v82, v140
	v_add_f32_e32 v101, v101, v102
	v_add_f32_e32 v77, 0, v77
	v_fma_f32 v78, v79, v139, -v78
	s_waitcnt vmcnt(37)
	v_fmac_f32_e32 v104, v84, v141
	v_add_f32_e32 v101, v101, v103
	v_add_f32_e32 v77, v77, v78
	v_mul_f32_e32 v78, v82, v129
	s_waitcnt vmcnt(36)
	v_fmac_f32_e32 v105, v86, v142
	v_add_f32_e32 v101, v101, v104
	v_fma_f32 v78, v81, v140, -v78
	s_waitcnt vmcnt(35)
	v_fmac_f32_e32 v106, v88, v143
	v_add_f32_e32 v101, v101, v105
	v_add_f32_e32 v77, v77, v78
	v_mul_f32_e32 v78, v84, v130
	s_waitcnt vmcnt(34)
	v_fmac_f32_e32 v107, v90, v144
	;; [unrolled: 9-line block ×3, first 2 shown]
	v_add_f32_e32 v101, v101, v108
	v_fma_f32 v78, v85, v142, -v78
	s_waitcnt vmcnt(31)
	v_fmac_f32_e32 v110, v96, v147
	v_add_f32_e32 v101, v101, v109
	v_add_f32_e32 v77, v77, v78
	v_mul_f32_e32 v78, v88, v132
	v_add_f32_e32 v101, v101, v110
	s_waitcnt vmcnt(30)
	v_fmac_f32_e32 v111, v98, v148
	v_fma_f32 v78, v87, v143, -v78
	v_add_f32_e32 v105, v101, v111
	ds_read_b128 v[101:104], v76 offset:496
	v_add_f32_e32 v77, v77, v78
	v_mul_f32_e32 v78, v90, v133
	v_fma_f32 v78, v89, v144, -v78
	s_waitcnt vmcnt(29)
	v_mul_f32_e32 v106, v99, v149
	v_add_f32_e32 v77, v77, v78
	v_mul_f32_e32 v78, v92, v134
	s_waitcnt vmcnt(28)
	v_fmac_f32_e32 v106, v100, v150
	v_fma_f32 v78, v91, v145, -v78
	v_add_f32_e32 v109, v105, v106
	ds_read_b128 v[105:108], v76 offset:512
	v_add_f32_e32 v77, v77, v78
	v_mul_f32_e32 v78, v94, v135
	s_waitcnt vmcnt(27) lgkmcnt(1)
	v_mul_f32_e32 v110, v101, v151
	v_fma_f32 v78, v93, v146, -v78
	s_waitcnt vmcnt(26)
	v_fmac_f32_e32 v110, v102, v152
	v_add_f32_e32 v77, v77, v78
	v_mul_f32_e32 v78, v96, v136
	v_add_f32_e32 v109, v109, v110
	s_waitcnt vmcnt(25)
	v_mul_f32_e32 v110, v103, v153
	v_fma_f32 v78, v95, v147, -v78
	s_waitcnt vmcnt(24)
	v_fmac_f32_e32 v110, v104, v154
	v_add_f32_e32 v77, v77, v78
	v_mul_f32_e32 v78, v98, v137
	v_add_f32_e32 v109, v109, v110
	s_waitcnt vmcnt(23) lgkmcnt(0)
	v_mul_f32_e32 v110, v105, v155
	v_fma_f32 v78, v97, v148, -v78
	s_waitcnt vmcnt(22)
	v_fmac_f32_e32 v110, v106, v156
	v_add_f32_e32 v77, v77, v78
	v_mul_f32_e32 v78, v100, v149
	v_add_f32_e32 v113, v109, v110
	ds_read_b128 v[109:112], v76 offset:528
	v_fma_f32 v78, v99, v150, -v78
	v_add_f32_e32 v77, v77, v78
	v_mul_f32_e32 v78, v102, v151
	s_waitcnt vmcnt(21)
	v_mul_f32_e32 v114, v107, v157
	v_fma_f32 v78, v101, v152, -v78
	s_waitcnt vmcnt(20)
	v_fmac_f32_e32 v114, v108, v158
	v_add_f32_e32 v77, v77, v78
	v_mul_f32_e32 v78, v104, v153
	v_add_f32_e32 v117, v113, v114
	ds_read_b128 v[113:116], v76 offset:544
	v_fma_f32 v78, v103, v154, -v78
	s_waitcnt vmcnt(19) lgkmcnt(1)
	v_mul_f32_e32 v118, v109, v159
	v_add_f32_e32 v77, v77, v78
	v_mul_f32_e32 v78, v106, v155
	s_waitcnt vmcnt(18)
	v_fmac_f32_e32 v118, v110, v160
	v_fma_f32 v78, v105, v156, -v78
	v_add_f32_e32 v117, v117, v118
	s_waitcnt vmcnt(17)
	v_mul_f32_e32 v118, v111, v161
	v_add_f32_e32 v77, v77, v78
	v_mul_f32_e32 v78, v108, v157
	s_waitcnt vmcnt(16)
	v_fmac_f32_e32 v118, v112, v162
	v_fma_f32 v78, v107, v158, -v78
	v_add_f32_e32 v117, v117, v118
	s_waitcnt vmcnt(14) lgkmcnt(0)
	v_mul_f32_e32 v118, v113, v164
	v_add_f32_e32 v77, v77, v78
	v_mul_f32_e32 v78, v110, v159
	v_fmac_f32_e32 v118, v114, v163
	v_fma_f32 v78, v109, v160, -v78
	v_add_f32_e32 v121, v117, v118
	ds_read_b128 v[117:120], v76 offset:560
	v_add_f32_e32 v77, v77, v78
	v_mul_f32_e32 v78, v112, v161
	v_fma_f32 v78, v111, v162, -v78
	v_add_f32_e32 v77, v77, v78
	v_mul_f32_e32 v78, v114, v164
	s_waitcnt vmcnt(11)
	v_mul_f32_e32 v122, v115, v167
	v_fma_f32 v78, v113, v163, -v78
	s_waitcnt vmcnt(10)
	v_fmac_f32_e32 v122, v116, v168
	v_add_f32_e32 v77, v77, v78
	v_mul_f32_e32 v78, v116, v167
	v_add_f32_e32 v125, v121, v122
	ds_read_b128 v[121:124], v76 offset:576
	s_waitcnt vmcnt(8) lgkmcnt(1)
	v_mul_f32_e32 v126, v117, v170
	v_fma_f32 v78, v115, v168, -v78
	v_fmac_f32_e32 v126, v118, v169
	v_add_f32_e32 v77, v77, v78
	v_mul_f32_e32 v78, v118, v170
	v_add_f32_e32 v125, v125, v126
	s_waitcnt vmcnt(6)
	v_mul_f32_e32 v126, v119, v172
	v_fma_f32 v78, v117, v169, -v78
	v_fmac_f32_e32 v126, v120, v171
	v_add_f32_e32 v77, v77, v78
	v_mul_f32_e32 v78, v120, v172
	v_add_f32_e32 v179, v125, v126
	ds_read_b64 v[125:126], v76 offset:592
	v_fma_f32 v78, v119, v171, -v78
	v_add_f32_e32 v77, v77, v78
	s_waitcnt vmcnt(4) lgkmcnt(1)
	v_mul_f32_e32 v78, v122, v174
	v_mul_f32_e32 v180, v121, v174
	v_fma_f32 v78, v121, v173, -v78
	v_fmac_f32_e32 v180, v122, v173
	v_add_f32_e32 v77, v77, v78
	s_waitcnt vmcnt(2)
	v_mul_f32_e32 v78, v124, v176
	v_add_f32_e32 v179, v179, v180
	v_mul_f32_e32 v180, v123, v176
	v_fma_f32 v78, v123, v175, -v78
	v_fmac_f32_e32 v180, v124, v175
	v_add_f32_e32 v77, v77, v78
	s_waitcnt vmcnt(0) lgkmcnt(0)
	v_mul_f32_e32 v78, v126, v178
	v_add_f32_e32 v179, v179, v180
	v_mul_f32_e32 v180, v125, v178
	v_fma_f32 v78, v125, v177, -v78
	v_fmac_f32_e32 v180, v126, v177
	v_add_f32_e32 v77, v77, v78
	v_add_f32_e32 v179, v179, v180
	v_sub_f32_e32 v77, v165, v77
	v_sub_f32_e32 v78, v166, v179
	buffer_store_dword v77, off, s[0:3], 0 offset:88
	buffer_store_dword v78, off, s[0:3], 0 offset:92
	s_and_saveexec_b64 s[4:5], vcc
	s_cbranch_execz .LBB36_215
; %bb.214:
	buffer_load_dword v77, off, s[0:3], 0 offset:80
	buffer_load_dword v78, off, s[0:3], 0 offset:84
	s_waitcnt vmcnt(0)
	ds_write_b64 v75, v[77:78]
	buffer_store_dword v76, off, s[0:3], 0 offset:80
	buffer_store_dword v76, off, s[0:3], 0 offset:84
.LBB36_215:
	s_or_b64 exec, exec, s[4:5]
	s_waitcnt lgkmcnt(0)
	; wave barrier
	buffer_load_dword v129, off, s[0:3], 0 offset:92
	buffer_load_dword v130, off, s[0:3], 0 offset:100
	;; [unrolled: 1-line block ×42, first 2 shown]
	ds_read2_b64 v[77:80], v76 offset0:49 offset1:50
	ds_read2_b64 v[81:84], v76 offset0:51 offset1:52
	;; [unrolled: 1-line block ×4, first 2 shown]
	buffer_load_dword v171, off, s[0:3], 0 offset:252
	buffer_load_dword v172, off, s[0:3], 0 offset:248
	buffer_load_dword v173, off, s[0:3], 0 offset:256
	buffer_load_dword v174, off, s[0:3], 0 offset:260
	buffer_load_dword v175, off, s[0:3], 0 offset:264
	buffer_load_dword v176, off, s[0:3], 0 offset:268
	ds_read2_b64 v[93:96], v76 offset0:57 offset1:58
	ds_read2_b64 v[97:100], v76 offset0:59 offset1:60
	buffer_load_dword v177, off, s[0:3], 0 offset:272
	buffer_load_dword v178, off, s[0:3], 0 offset:276
	;; [unrolled: 1-line block ×6, first 2 shown]
	v_cmp_lt_u32_e32 vcc, 9, v0
	s_waitcnt vmcnt(53) lgkmcnt(5)
	v_mul_f32_e32 v101, v77, v129
	s_waitcnt vmcnt(52)
	v_mul_f32_e32 v102, v79, v130
	s_waitcnt vmcnt(51) lgkmcnt(4)
	v_mul_f32_e32 v103, v81, v131
	s_waitcnt vmcnt(50)
	v_mul_f32_e32 v104, v83, v132
	s_waitcnt vmcnt(49) lgkmcnt(3)
	v_mul_f32_e32 v105, v85, v133
	s_waitcnt vmcnt(48)
	v_mul_f32_e32 v106, v87, v134
	s_waitcnt vmcnt(47) lgkmcnt(2)
	v_mul_f32_e32 v107, v89, v135
	s_waitcnt vmcnt(46)
	v_mul_f32_e32 v108, v91, v136
	s_waitcnt vmcnt(45) lgkmcnt(1)
	v_mul_f32_e32 v109, v93, v137
	s_waitcnt vmcnt(44)
	v_mul_f32_e32 v110, v95, v138
	s_waitcnt vmcnt(43)
	v_fmac_f32_e32 v101, v78, v139
	v_mul_f32_e32 v78, v78, v129
	s_waitcnt vmcnt(42)
	v_fmac_f32_e32 v102, v80, v140
	v_add_f32_e32 v101, 0, v101
	v_fma_f32 v77, v77, v139, -v78
	v_mul_f32_e32 v78, v80, v130
	s_waitcnt vmcnt(41)
	v_fmac_f32_e32 v103, v82, v141
	v_add_f32_e32 v101, v101, v102
	v_add_f32_e32 v77, 0, v77
	v_fma_f32 v78, v79, v140, -v78
	s_waitcnt vmcnt(40)
	v_fmac_f32_e32 v104, v84, v142
	v_add_f32_e32 v101, v101, v103
	v_add_f32_e32 v77, v77, v78
	v_mul_f32_e32 v78, v82, v131
	s_waitcnt vmcnt(39)
	v_fmac_f32_e32 v105, v86, v143
	v_add_f32_e32 v101, v101, v104
	v_fma_f32 v78, v81, v141, -v78
	s_waitcnt vmcnt(38)
	v_fmac_f32_e32 v106, v88, v144
	v_add_f32_e32 v101, v101, v105
	v_add_f32_e32 v77, v77, v78
	v_mul_f32_e32 v78, v84, v132
	s_waitcnt vmcnt(37)
	v_fmac_f32_e32 v107, v90, v145
	;; [unrolled: 9-line block ×3, first 2 shown]
	v_add_f32_e32 v101, v101, v108
	v_fma_f32 v78, v85, v143, -v78
	s_waitcnt vmcnt(34)
	v_fmac_f32_e32 v110, v96, v148
	v_add_f32_e32 v101, v101, v109
	s_waitcnt vmcnt(33) lgkmcnt(0)
	v_mul_f32_e32 v102, v97, v149
	v_add_f32_e32 v77, v77, v78
	v_mul_f32_e32 v78, v88, v134
	v_add_f32_e32 v101, v101, v110
	s_waitcnt vmcnt(32)
	v_fmac_f32_e32 v102, v98, v150
	v_fma_f32 v78, v87, v144, -v78
	v_add_f32_e32 v105, v101, v102
	ds_read2_b64 v[101:104], v76 offset0:61 offset1:62
	v_add_f32_e32 v77, v77, v78
	v_mul_f32_e32 v78, v90, v135
	v_fma_f32 v78, v89, v145, -v78
	s_waitcnt vmcnt(31)
	v_mul_f32_e32 v106, v99, v151
	v_add_f32_e32 v77, v77, v78
	v_mul_f32_e32 v78, v92, v136
	s_waitcnt vmcnt(30)
	v_fmac_f32_e32 v106, v100, v152
	v_fma_f32 v78, v91, v146, -v78
	v_add_f32_e32 v109, v105, v106
	ds_read2_b64 v[105:108], v76 offset0:63 offset1:64
	v_add_f32_e32 v77, v77, v78
	v_mul_f32_e32 v78, v94, v137
	s_waitcnt vmcnt(29) lgkmcnt(1)
	v_mul_f32_e32 v110, v101, v153
	v_fma_f32 v78, v93, v147, -v78
	s_waitcnt vmcnt(28)
	v_fmac_f32_e32 v110, v102, v154
	v_add_f32_e32 v77, v77, v78
	v_mul_f32_e32 v78, v96, v138
	v_add_f32_e32 v109, v109, v110
	s_waitcnt vmcnt(27)
	v_mul_f32_e32 v110, v103, v155
	v_fma_f32 v78, v95, v148, -v78
	s_waitcnt vmcnt(26)
	v_fmac_f32_e32 v110, v104, v156
	v_add_f32_e32 v77, v77, v78
	v_mul_f32_e32 v78, v98, v149
	v_add_f32_e32 v109, v109, v110
	s_waitcnt vmcnt(25) lgkmcnt(0)
	v_mul_f32_e32 v110, v105, v157
	v_fma_f32 v78, v97, v150, -v78
	s_waitcnt vmcnt(24)
	v_fmac_f32_e32 v110, v106, v158
	v_add_f32_e32 v77, v77, v78
	v_mul_f32_e32 v78, v100, v151
	v_add_f32_e32 v113, v109, v110
	ds_read2_b64 v[109:112], v76 offset0:65 offset1:66
	v_fma_f32 v78, v99, v152, -v78
	v_add_f32_e32 v77, v77, v78
	v_mul_f32_e32 v78, v102, v153
	s_waitcnt vmcnt(23)
	v_mul_f32_e32 v114, v107, v159
	v_fma_f32 v78, v101, v154, -v78
	s_waitcnt vmcnt(22)
	v_fmac_f32_e32 v114, v108, v160
	v_add_f32_e32 v77, v77, v78
	v_mul_f32_e32 v78, v104, v155
	v_add_f32_e32 v117, v113, v114
	ds_read2_b64 v[113:116], v76 offset0:67 offset1:68
	v_fma_f32 v78, v103, v156, -v78
	s_waitcnt vmcnt(21) lgkmcnt(1)
	v_mul_f32_e32 v118, v109, v161
	v_add_f32_e32 v77, v77, v78
	v_mul_f32_e32 v78, v106, v157
	s_waitcnt vmcnt(20)
	v_fmac_f32_e32 v118, v110, v162
	v_fma_f32 v78, v105, v158, -v78
	v_add_f32_e32 v117, v117, v118
	s_waitcnt vmcnt(18)
	v_mul_f32_e32 v118, v111, v164
	v_add_f32_e32 v77, v77, v78
	v_mul_f32_e32 v78, v108, v159
	v_fmac_f32_e32 v118, v112, v163
	v_fma_f32 v78, v107, v160, -v78
	v_add_f32_e32 v117, v117, v118
	s_waitcnt vmcnt(15) lgkmcnt(0)
	v_mul_f32_e32 v118, v113, v167
	v_add_f32_e32 v77, v77, v78
	v_mul_f32_e32 v78, v110, v161
	s_waitcnt vmcnt(14)
	v_fmac_f32_e32 v118, v114, v168
	v_fma_f32 v78, v109, v162, -v78
	v_add_f32_e32 v121, v117, v118
	ds_read2_b64 v[117:120], v76 offset0:69 offset1:70
	v_add_f32_e32 v77, v77, v78
	v_mul_f32_e32 v78, v112, v164
	v_fma_f32 v78, v111, v163, -v78
	v_add_f32_e32 v77, v77, v78
	v_mul_f32_e32 v78, v114, v167
	s_waitcnt vmcnt(12)
	v_mul_f32_e32 v122, v115, v170
	v_fma_f32 v78, v113, v168, -v78
	v_fmac_f32_e32 v122, v116, v169
	v_add_f32_e32 v77, v77, v78
	v_mul_f32_e32 v78, v116, v170
	v_add_f32_e32 v125, v121, v122
	ds_read2_b64 v[121:124], v76 offset0:71 offset1:72
	s_waitcnt vmcnt(11) lgkmcnt(1)
	v_mul_f32_e32 v126, v117, v171
	v_fma_f32 v78, v115, v169, -v78
	s_waitcnt vmcnt(10)
	v_fmac_f32_e32 v126, v118, v172
	v_add_f32_e32 v77, v77, v78
	v_mul_f32_e32 v78, v118, v171
	v_add_f32_e32 v125, v125, v126
	s_waitcnt vmcnt(8)
	v_mul_f32_e32 v126, v119, v174
	v_fma_f32 v78, v117, v172, -v78
	v_fmac_f32_e32 v126, v120, v173
	v_add_f32_e32 v77, v77, v78
	v_mul_f32_e32 v78, v120, v174
	v_add_f32_e32 v183, v125, v126
	ds_read2_b64 v[125:128], v76 offset0:73 offset1:74
	v_fma_f32 v78, v119, v173, -v78
	v_add_f32_e32 v77, v77, v78
	s_waitcnt vmcnt(6) lgkmcnt(1)
	v_mul_f32_e32 v78, v122, v176
	v_mul_f32_e32 v184, v121, v176
	v_fma_f32 v78, v121, v175, -v78
	v_fmac_f32_e32 v184, v122, v175
	v_add_f32_e32 v77, v77, v78
	s_waitcnt vmcnt(4)
	v_mul_f32_e32 v78, v124, v178
	v_add_f32_e32 v76, v183, v184
	v_mul_f32_e32 v183, v123, v178
	v_fma_f32 v78, v123, v177, -v78
	v_fmac_f32_e32 v183, v124, v177
	v_add_f32_e32 v77, v77, v78
	s_waitcnt vmcnt(2) lgkmcnt(0)
	v_mul_f32_e32 v78, v126, v180
	v_add_f32_e32 v76, v76, v183
	v_mul_f32_e32 v183, v125, v180
	v_fma_f32 v78, v125, v179, -v78
	v_fmac_f32_e32 v183, v126, v179
	v_add_f32_e32 v77, v77, v78
	s_waitcnt vmcnt(0)
	v_mul_f32_e32 v78, v128, v182
	v_add_f32_e32 v76, v76, v183
	v_mul_f32_e32 v183, v127, v182
	v_fma_f32 v78, v127, v181, -v78
	v_fmac_f32_e32 v183, v128, v181
	v_add_f32_e32 v77, v77, v78
	v_add_f32_e32 v76, v76, v183
	v_sub_f32_e32 v77, v165, v77
	v_sub_f32_e32 v76, v166, v76
	buffer_store_dword v77, off, s[0:3], 0 offset:80
	buffer_store_dword v76, off, s[0:3], 0 offset:84
	s_and_saveexec_b64 s[4:5], vcc
	s_cbranch_execz .LBB36_217
; %bb.216:
	buffer_load_dword v76, off, s[0:3], 0 offset:72
	buffer_load_dword v77, off, s[0:3], 0 offset:76
	v_mov_b32_e32 v78, 0
	buffer_store_dword v78, off, s[0:3], 0 offset:72
	buffer_store_dword v78, off, s[0:3], 0 offset:76
	s_waitcnt vmcnt(2)
	ds_write_b64 v75, v[76:77]
.LBB36_217:
	s_or_b64 exec, exec, s[4:5]
	s_waitcnt lgkmcnt(0)
	; wave barrier
	buffer_load_dword v131, off, s[0:3], 0 offset:84
	buffer_load_dword v132, off, s[0:3], 0 offset:92
	;; [unrolled: 1-line block ×56, first 2 shown]
	v_mov_b32_e32 v76, 0
	ds_read_b128 v[77:80], v76 offset:384
	ds_read_b128 v[81:84], v76 offset:400
	;; [unrolled: 1-line block ×6, first 2 shown]
	v_cmp_lt_u32_e32 vcc, 8, v0
	s_waitcnt vmcnt(55) lgkmcnt(5)
	v_mul_f32_e32 v101, v77, v131
	s_waitcnt vmcnt(54)
	v_mul_f32_e32 v102, v79, v132
	s_waitcnt vmcnt(53) lgkmcnt(4)
	v_mul_f32_e32 v103, v81, v133
	s_waitcnt vmcnt(52)
	v_mul_f32_e32 v104, v83, v134
	s_waitcnt vmcnt(51) lgkmcnt(3)
	v_mul_f32_e32 v105, v85, v135
	s_waitcnt vmcnt(50)
	v_mul_f32_e32 v106, v87, v136
	s_waitcnt vmcnt(49) lgkmcnt(2)
	v_mul_f32_e32 v107, v89, v137
	s_waitcnt vmcnt(48)
	v_mul_f32_e32 v108, v91, v138
	s_waitcnt vmcnt(47) lgkmcnt(1)
	v_mul_f32_e32 v109, v93, v139
	s_waitcnt vmcnt(46)
	v_fmac_f32_e32 v101, v78, v140
	s_waitcnt vmcnt(45)
	v_fmac_f32_e32 v102, v80, v141
	v_add_f32_e32 v101, 0, v101
	s_waitcnt vmcnt(44)
	v_fmac_f32_e32 v103, v82, v142
	v_add_f32_e32 v101, v101, v102
	;; [unrolled: 3-line block ×3, first 2 shown]
	v_mul_f32_e32 v78, v78, v131
	s_waitcnt vmcnt(42)
	v_fmac_f32_e32 v105, v86, v144
	v_add_f32_e32 v101, v101, v104
	v_fma_f32 v77, v77, v140, -v78
	v_mul_f32_e32 v78, v80, v132
	s_waitcnt vmcnt(41)
	v_fmac_f32_e32 v106, v88, v145
	v_add_f32_e32 v101, v101, v105
	v_add_f32_e32 v77, 0, v77
	v_fma_f32 v78, v79, v141, -v78
	s_waitcnt vmcnt(40)
	v_fmac_f32_e32 v107, v90, v146
	v_add_f32_e32 v101, v101, v106
	v_add_f32_e32 v77, v77, v78
	v_mul_f32_e32 v78, v82, v133
	s_waitcnt vmcnt(39)
	v_fmac_f32_e32 v108, v92, v147
	v_add_f32_e32 v101, v101, v107
	v_fma_f32 v78, v81, v142, -v78
	v_add_f32_e32 v101, v101, v108
	s_waitcnt vmcnt(38)
	v_fmac_f32_e32 v109, v94, v148
	s_waitcnt vmcnt(37)
	v_mul_f32_e32 v102, v95, v149
	v_add_f32_e32 v77, v77, v78
	v_mul_f32_e32 v78, v84, v134
	v_add_f32_e32 v101, v101, v109
	s_waitcnt vmcnt(36)
	v_fmac_f32_e32 v102, v96, v150
	v_fma_f32 v78, v83, v143, -v78
	v_add_f32_e32 v101, v101, v102
	s_waitcnt vmcnt(35) lgkmcnt(0)
	v_mul_f32_e32 v102, v97, v151
	v_add_f32_e32 v77, v77, v78
	v_mul_f32_e32 v78, v86, v135
	s_waitcnt vmcnt(34)
	v_fmac_f32_e32 v102, v98, v152
	v_fma_f32 v78, v85, v144, -v78
	v_add_f32_e32 v105, v101, v102
	ds_read_b128 v[101:104], v76 offset:480
	v_add_f32_e32 v77, v77, v78
	v_mul_f32_e32 v78, v88, v136
	v_fma_f32 v78, v87, v145, -v78
	s_waitcnt vmcnt(33)
	v_mul_f32_e32 v106, v99, v153
	v_add_f32_e32 v77, v77, v78
	v_mul_f32_e32 v78, v90, v137
	s_waitcnt vmcnt(32)
	v_fmac_f32_e32 v106, v100, v154
	v_fma_f32 v78, v89, v146, -v78
	v_add_f32_e32 v109, v105, v106
	ds_read_b128 v[105:108], v76 offset:496
	v_add_f32_e32 v77, v77, v78
	v_mul_f32_e32 v78, v92, v138
	s_waitcnt vmcnt(31) lgkmcnt(1)
	v_mul_f32_e32 v110, v101, v155
	v_fma_f32 v78, v91, v147, -v78
	s_waitcnt vmcnt(30)
	v_fmac_f32_e32 v110, v102, v156
	v_add_f32_e32 v77, v77, v78
	v_mul_f32_e32 v78, v94, v139
	v_add_f32_e32 v109, v109, v110
	s_waitcnt vmcnt(29)
	v_mul_f32_e32 v110, v103, v157
	v_fma_f32 v78, v93, v148, -v78
	s_waitcnt vmcnt(28)
	v_fmac_f32_e32 v110, v104, v158
	v_add_f32_e32 v77, v77, v78
	v_mul_f32_e32 v78, v96, v149
	v_add_f32_e32 v109, v109, v110
	s_waitcnt vmcnt(27) lgkmcnt(0)
	v_mul_f32_e32 v110, v105, v159
	v_fma_f32 v78, v95, v150, -v78
	s_waitcnt vmcnt(26)
	v_fmac_f32_e32 v110, v106, v160
	v_add_f32_e32 v77, v77, v78
	v_mul_f32_e32 v78, v98, v151
	v_add_f32_e32 v113, v109, v110
	ds_read_b128 v[109:112], v76 offset:512
	v_fma_f32 v78, v97, v152, -v78
	v_add_f32_e32 v77, v77, v78
	v_mul_f32_e32 v78, v100, v153
	s_waitcnt vmcnt(24)
	v_mul_f32_e32 v114, v107, v162
	v_fma_f32 v78, v99, v154, -v78
	v_fmac_f32_e32 v114, v108, v161
	v_add_f32_e32 v77, v77, v78
	v_mul_f32_e32 v78, v102, v155
	v_add_f32_e32 v117, v113, v114
	ds_read_b128 v[113:116], v76 offset:528
	v_fma_f32 v78, v101, v156, -v78
	s_waitcnt vmcnt(21) lgkmcnt(1)
	v_mul_f32_e32 v118, v109, v165
	v_add_f32_e32 v77, v77, v78
	v_mul_f32_e32 v78, v104, v157
	s_waitcnt vmcnt(20)
	v_fmac_f32_e32 v118, v110, v166
	v_fma_f32 v78, v103, v158, -v78
	v_add_f32_e32 v117, v117, v118
	s_waitcnt vmcnt(18)
	v_mul_f32_e32 v118, v111, v168
	v_add_f32_e32 v77, v77, v78
	v_mul_f32_e32 v78, v106, v159
	v_fmac_f32_e32 v118, v112, v167
	v_fma_f32 v78, v105, v160, -v78
	v_add_f32_e32 v117, v117, v118
	s_waitcnt vmcnt(16) lgkmcnt(0)
	v_mul_f32_e32 v118, v113, v170
	v_add_f32_e32 v77, v77, v78
	v_mul_f32_e32 v78, v108, v162
	v_fmac_f32_e32 v118, v114, v169
	v_fma_f32 v78, v107, v161, -v78
	v_add_f32_e32 v121, v117, v118
	ds_read_b128 v[117:120], v76 offset:544
	v_add_f32_e32 v77, v77, v78
	v_mul_f32_e32 v78, v110, v165
	v_fma_f32 v78, v109, v166, -v78
	s_waitcnt vmcnt(14)
	v_mul_f32_e32 v122, v115, v172
	v_add_f32_e32 v77, v77, v78
	v_mul_f32_e32 v78, v112, v168
	v_fmac_f32_e32 v122, v116, v171
	v_fma_f32 v78, v111, v167, -v78
	v_add_f32_e32 v125, v121, v122
	ds_read_b128 v[121:124], v76 offset:560
	v_add_f32_e32 v77, v77, v78
	v_mul_f32_e32 v78, v114, v170
	s_waitcnt vmcnt(12) lgkmcnt(1)
	v_mul_f32_e32 v126, v117, v174
	v_fma_f32 v78, v113, v169, -v78
	v_fmac_f32_e32 v126, v118, v173
	v_add_f32_e32 v77, v77, v78
	v_mul_f32_e32 v78, v116, v172
	v_add_f32_e32 v125, v125, v126
	s_waitcnt vmcnt(10)
	v_mul_f32_e32 v126, v119, v176
	v_fma_f32 v78, v115, v171, -v78
	v_fmac_f32_e32 v126, v120, v175
	v_add_f32_e32 v77, v77, v78
	v_mul_f32_e32 v78, v118, v174
	v_add_f32_e32 v125, v125, v126
	s_waitcnt vmcnt(8) lgkmcnt(0)
	v_mul_f32_e32 v126, v121, v178
	v_fma_f32 v78, v117, v173, -v78
	v_fmac_f32_e32 v126, v122, v177
	v_add_f32_e32 v77, v77, v78
	v_mul_f32_e32 v78, v120, v176
	v_add_f32_e32 v129, v125, v126
	ds_read_b128 v[125:128], v76 offset:576
	v_fma_f32 v78, v119, v175, -v78
	v_add_f32_e32 v77, v77, v78
	v_mul_f32_e32 v78, v122, v178
	s_waitcnt vmcnt(6)
	v_mul_f32_e32 v130, v123, v180
	v_fma_f32 v78, v121, v177, -v78
	v_fmac_f32_e32 v130, v124, v179
	v_add_f32_e32 v77, v77, v78
	v_mul_f32_e32 v78, v124, v180
	v_add_f32_e32 v187, v129, v130
	ds_read_b64 v[129:130], v76 offset:592
	v_fma_f32 v78, v123, v179, -v78
	v_add_f32_e32 v77, v77, v78
	s_waitcnt vmcnt(4) lgkmcnt(1)
	v_mul_f32_e32 v78, v126, v182
	v_mul_f32_e32 v188, v125, v182
	v_fma_f32 v78, v125, v181, -v78
	v_fmac_f32_e32 v188, v126, v181
	v_add_f32_e32 v77, v77, v78
	s_waitcnt vmcnt(2)
	v_mul_f32_e32 v78, v128, v184
	v_add_f32_e32 v187, v187, v188
	v_mul_f32_e32 v188, v127, v184
	v_fma_f32 v78, v127, v183, -v78
	v_fmac_f32_e32 v188, v128, v183
	v_add_f32_e32 v77, v77, v78
	s_waitcnt vmcnt(0) lgkmcnt(0)
	v_mul_f32_e32 v78, v130, v186
	v_add_f32_e32 v187, v187, v188
	v_mul_f32_e32 v188, v129, v186
	v_fma_f32 v78, v129, v185, -v78
	v_fmac_f32_e32 v188, v130, v185
	v_add_f32_e32 v77, v77, v78
	v_add_f32_e32 v187, v187, v188
	v_sub_f32_e32 v77, v163, v77
	v_sub_f32_e32 v78, v164, v187
	buffer_store_dword v77, off, s[0:3], 0 offset:72
	buffer_store_dword v78, off, s[0:3], 0 offset:76
	s_and_saveexec_b64 s[4:5], vcc
	s_cbranch_execz .LBB36_219
; %bb.218:
	buffer_load_dword v77, off, s[0:3], 0 offset:64
	buffer_load_dword v78, off, s[0:3], 0 offset:68
	s_waitcnt vmcnt(0)
	ds_write_b64 v75, v[77:78]
	buffer_store_dword v76, off, s[0:3], 0 offset:64
	buffer_store_dword v76, off, s[0:3], 0 offset:68
.LBB36_219:
	s_or_b64 exec, exec, s[4:5]
	s_waitcnt lgkmcnt(0)
	; wave barrier
	buffer_load_dword v133, off, s[0:3], 0 offset:76
	buffer_load_dword v134, off, s[0:3], 0 offset:84
	;; [unrolled: 1-line block ×34, first 2 shown]
	ds_read2_b64 v[77:80], v76 offset0:47 offset1:48
	ds_read2_b64 v[81:84], v76 offset0:49 offset1:50
	buffer_load_dword v167, off, s[0:3], 0 offset:204
	buffer_load_dword v168, off, s[0:3], 0 offset:200
	;; [unrolled: 1-line block ×6, first 2 shown]
	ds_read2_b64 v[85:88], v76 offset0:51 offset1:52
	ds_read2_b64 v[89:92], v76 offset0:53 offset1:54
	;; [unrolled: 1-line block ×4, first 2 shown]
	buffer_load_dword v173, off, s[0:3], 0 offset:228
	buffer_load_dword v174, off, s[0:3], 0 offset:224
	;; [unrolled: 1-line block ×18, first 2 shown]
	v_cmp_lt_u32_e32 vcc, 7, v0
	s_waitcnt vmcnt(57) lgkmcnt(5)
	v_mul_f32_e32 v101, v77, v133
	s_waitcnt vmcnt(56)
	v_mul_f32_e32 v102, v79, v134
	s_waitcnt vmcnt(55) lgkmcnt(4)
	v_mul_f32_e32 v103, v81, v135
	s_waitcnt vmcnt(54)
	v_mul_f32_e32 v104, v83, v136
	;; [unrolled: 4-line block ×4, first 2 shown]
	s_waitcnt vmcnt(49)
	v_fmac_f32_e32 v101, v78, v141
	s_waitcnt vmcnt(48)
	v_fmac_f32_e32 v102, v80, v142
	v_add_f32_e32 v101, 0, v101
	s_waitcnt vmcnt(47)
	v_fmac_f32_e32 v103, v82, v143
	v_add_f32_e32 v101, v101, v102
	;; [unrolled: 3-line block ×4, first 2 shown]
	v_mul_f32_e32 v78, v78, v133
	s_waitcnt vmcnt(44)
	v_fmac_f32_e32 v106, v88, v146
	v_add_f32_e32 v101, v101, v105
	v_fma_f32 v77, v77, v141, -v78
	v_mul_f32_e32 v78, v80, v134
	s_waitcnt vmcnt(43)
	v_fmac_f32_e32 v107, v90, v147
	v_add_f32_e32 v101, v101, v106
	v_add_f32_e32 v77, 0, v77
	v_fma_f32 v78, v79, v142, -v78
	s_waitcnt vmcnt(42)
	v_fmac_f32_e32 v108, v92, v148
	v_add_f32_e32 v101, v101, v107
	s_waitcnt vmcnt(41) lgkmcnt(1)
	v_mul_f32_e32 v102, v93, v149
	v_add_f32_e32 v77, v77, v78
	v_mul_f32_e32 v78, v82, v135
	v_add_f32_e32 v101, v101, v108
	s_waitcnt vmcnt(40)
	v_fmac_f32_e32 v102, v94, v150
	v_fma_f32 v78, v81, v143, -v78
	v_add_f32_e32 v101, v101, v102
	s_waitcnt vmcnt(39)
	v_mul_f32_e32 v102, v95, v151
	v_add_f32_e32 v77, v77, v78
	v_mul_f32_e32 v78, v84, v136
	s_waitcnt vmcnt(38)
	v_fmac_f32_e32 v102, v96, v152
	v_fma_f32 v78, v83, v144, -v78
	v_add_f32_e32 v101, v101, v102
	s_waitcnt vmcnt(37) lgkmcnt(0)
	v_mul_f32_e32 v102, v97, v153
	v_add_f32_e32 v77, v77, v78
	v_mul_f32_e32 v78, v86, v137
	s_waitcnt vmcnt(36)
	v_fmac_f32_e32 v102, v98, v154
	v_fma_f32 v78, v85, v145, -v78
	v_add_f32_e32 v105, v101, v102
	ds_read2_b64 v[101:104], v76 offset0:59 offset1:60
	v_add_f32_e32 v77, v77, v78
	v_mul_f32_e32 v78, v88, v138
	v_fma_f32 v78, v87, v146, -v78
	s_waitcnt vmcnt(35)
	v_mul_f32_e32 v106, v99, v155
	v_add_f32_e32 v77, v77, v78
	v_mul_f32_e32 v78, v90, v139
	s_waitcnt vmcnt(34)
	v_fmac_f32_e32 v106, v100, v156
	v_fma_f32 v78, v89, v147, -v78
	v_add_f32_e32 v109, v105, v106
	ds_read2_b64 v[105:108], v76 offset0:61 offset1:62
	v_add_f32_e32 v77, v77, v78
	v_mul_f32_e32 v78, v92, v140
	s_waitcnt vmcnt(33) lgkmcnt(1)
	v_mul_f32_e32 v110, v101, v157
	v_fma_f32 v78, v91, v148, -v78
	s_waitcnt vmcnt(32)
	v_fmac_f32_e32 v110, v102, v158
	v_add_f32_e32 v77, v77, v78
	v_mul_f32_e32 v78, v94, v149
	v_add_f32_e32 v109, v109, v110
	s_waitcnt vmcnt(31)
	v_mul_f32_e32 v110, v103, v159
	v_fma_f32 v78, v93, v150, -v78
	s_waitcnt vmcnt(30)
	v_fmac_f32_e32 v110, v104, v160
	v_add_f32_e32 v77, v77, v78
	v_mul_f32_e32 v78, v96, v151
	v_add_f32_e32 v109, v109, v110
	s_waitcnt vmcnt(29) lgkmcnt(0)
	v_mul_f32_e32 v110, v105, v161
	v_fma_f32 v78, v95, v152, -v78
	s_waitcnt vmcnt(28)
	v_fmac_f32_e32 v110, v106, v162
	v_add_f32_e32 v77, v77, v78
	v_mul_f32_e32 v78, v98, v153
	v_add_f32_e32 v113, v109, v110
	ds_read2_b64 v[109:112], v76 offset0:63 offset1:64
	v_fma_f32 v78, v97, v154, -v78
	v_add_f32_e32 v77, v77, v78
	v_mul_f32_e32 v78, v100, v155
	s_waitcnt vmcnt(25)
	v_mul_f32_e32 v114, v107, v165
	v_fma_f32 v78, v99, v156, -v78
	s_waitcnt vmcnt(24)
	v_fmac_f32_e32 v114, v108, v166
	v_add_f32_e32 v77, v77, v78
	v_mul_f32_e32 v78, v102, v157
	v_add_f32_e32 v117, v113, v114
	ds_read2_b64 v[113:116], v76 offset0:65 offset1:66
	v_fma_f32 v78, v101, v158, -v78
	s_waitcnt vmcnt(23) lgkmcnt(1)
	v_mul_f32_e32 v118, v109, v167
	v_add_f32_e32 v77, v77, v78
	v_mul_f32_e32 v78, v104, v159
	s_waitcnt vmcnt(22)
	v_fmac_f32_e32 v118, v110, v168
	v_fma_f32 v78, v103, v160, -v78
	v_add_f32_e32 v117, v117, v118
	s_waitcnt vmcnt(20)
	v_mul_f32_e32 v118, v111, v170
	v_add_f32_e32 v77, v77, v78
	v_mul_f32_e32 v78, v106, v161
	v_fmac_f32_e32 v118, v112, v169
	v_fma_f32 v78, v105, v162, -v78
	v_add_f32_e32 v117, v117, v118
	s_waitcnt vmcnt(18) lgkmcnt(0)
	v_mul_f32_e32 v118, v113, v172
	v_add_f32_e32 v77, v77, v78
	v_mul_f32_e32 v78, v108, v165
	v_fmac_f32_e32 v118, v114, v171
	v_fma_f32 v78, v107, v166, -v78
	v_add_f32_e32 v121, v117, v118
	ds_read2_b64 v[117:120], v76 offset0:67 offset1:68
	v_add_f32_e32 v77, v77, v78
	v_mul_f32_e32 v78, v110, v167
	v_fma_f32 v78, v109, v168, -v78
	s_waitcnt vmcnt(17)
	v_mul_f32_e32 v122, v115, v173
	v_add_f32_e32 v77, v77, v78
	v_mul_f32_e32 v78, v112, v170
	s_waitcnt vmcnt(16)
	v_fmac_f32_e32 v122, v116, v174
	v_fma_f32 v78, v111, v169, -v78
	v_add_f32_e32 v125, v121, v122
	ds_read2_b64 v[121:124], v76 offset0:69 offset1:70
	v_add_f32_e32 v77, v77, v78
	v_mul_f32_e32 v78, v114, v172
	s_waitcnt vmcnt(14) lgkmcnt(1)
	v_mul_f32_e32 v126, v117, v176
	v_fma_f32 v78, v113, v171, -v78
	v_fmac_f32_e32 v126, v118, v175
	v_add_f32_e32 v77, v77, v78
	v_mul_f32_e32 v78, v116, v173
	v_add_f32_e32 v125, v125, v126
	s_waitcnt vmcnt(12)
	v_mul_f32_e32 v126, v119, v178
	v_fma_f32 v78, v115, v174, -v78
	v_fmac_f32_e32 v126, v120, v177
	v_add_f32_e32 v77, v77, v78
	v_mul_f32_e32 v78, v118, v176
	v_add_f32_e32 v125, v125, v126
	s_waitcnt vmcnt(10) lgkmcnt(0)
	v_mul_f32_e32 v126, v121, v180
	v_fma_f32 v78, v117, v175, -v78
	v_fmac_f32_e32 v126, v122, v179
	v_add_f32_e32 v77, v77, v78
	v_mul_f32_e32 v78, v120, v178
	v_add_f32_e32 v129, v125, v126
	ds_read2_b64 v[125:128], v76 offset0:71 offset1:72
	v_fma_f32 v78, v119, v177, -v78
	v_add_f32_e32 v77, v77, v78
	v_mul_f32_e32 v78, v122, v180
	s_waitcnt vmcnt(8)
	v_mul_f32_e32 v130, v123, v182
	v_fma_f32 v78, v121, v179, -v78
	v_fmac_f32_e32 v130, v124, v181
	v_add_f32_e32 v77, v77, v78
	v_mul_f32_e32 v78, v124, v182
	v_add_f32_e32 v191, v129, v130
	ds_read2_b64 v[129:132], v76 offset0:73 offset1:74
	v_fma_f32 v78, v123, v181, -v78
	v_add_f32_e32 v77, v77, v78
	s_waitcnt vmcnt(6) lgkmcnt(1)
	v_mul_f32_e32 v78, v126, v184
	v_mul_f32_e32 v76, v125, v184
	v_fma_f32 v78, v125, v183, -v78
	v_fmac_f32_e32 v76, v126, v183
	v_add_f32_e32 v77, v77, v78
	s_waitcnt vmcnt(4)
	v_mul_f32_e32 v78, v128, v186
	v_add_f32_e32 v76, v191, v76
	v_mul_f32_e32 v191, v127, v186
	v_fma_f32 v78, v127, v185, -v78
	v_fmac_f32_e32 v191, v128, v185
	v_add_f32_e32 v77, v77, v78
	s_waitcnt vmcnt(2) lgkmcnt(0)
	v_mul_f32_e32 v78, v130, v188
	v_add_f32_e32 v76, v76, v191
	v_mul_f32_e32 v191, v129, v188
	v_fma_f32 v78, v129, v187, -v78
	v_fmac_f32_e32 v191, v130, v187
	v_add_f32_e32 v77, v77, v78
	s_waitcnt vmcnt(0)
	v_mul_f32_e32 v78, v132, v190
	v_add_f32_e32 v76, v76, v191
	v_mul_f32_e32 v191, v131, v190
	v_fma_f32 v78, v131, v189, -v78
	v_fmac_f32_e32 v191, v132, v189
	v_add_f32_e32 v77, v77, v78
	v_add_f32_e32 v76, v76, v191
	v_sub_f32_e32 v77, v163, v77
	v_sub_f32_e32 v76, v164, v76
	buffer_store_dword v77, off, s[0:3], 0 offset:64
	buffer_store_dword v76, off, s[0:3], 0 offset:68
	s_and_saveexec_b64 s[4:5], vcc
	s_cbranch_execz .LBB36_221
; %bb.220:
	buffer_load_dword v76, off, s[0:3], 0 offset:56
	buffer_load_dword v77, off, s[0:3], 0 offset:60
	v_mov_b32_e32 v78, 0
	buffer_store_dword v78, off, s[0:3], 0 offset:56
	buffer_store_dword v78, off, s[0:3], 0 offset:60
	s_waitcnt vmcnt(2)
	ds_write_b64 v75, v[76:77]
.LBB36_221:
	s_or_b64 exec, exec, s[4:5]
	s_waitcnt lgkmcnt(0)
	; wave barrier
	buffer_load_dword v135, off, s[0:3], 0 offset:68
	buffer_load_dword v136, off, s[0:3], 0 offset:76
	;; [unrolled: 1-line block ×60, first 2 shown]
	v_mov_b32_e32 v76, 0
	ds_read_b128 v[77:80], v76 offset:368
	ds_read_b128 v[81:84], v76 offset:384
	;; [unrolled: 1-line block ×5, first 2 shown]
	v_cmp_lt_u32_e32 vcc, 6, v0
	s_waitcnt vmcnt(59) lgkmcnt(4)
	v_mul_f32_e32 v97, v77, v135
	s_waitcnt vmcnt(58)
	v_mul_f32_e32 v98, v79, v136
	s_waitcnt vmcnt(57) lgkmcnt(3)
	v_mul_f32_e32 v99, v81, v137
	s_waitcnt vmcnt(56)
	v_mul_f32_e32 v100, v83, v138
	;; [unrolled: 4-line block ×3, first 2 shown]
	s_waitcnt vmcnt(53) lgkmcnt(1)
	v_mul_f32_e32 v103, v89, v141
	s_waitcnt vmcnt(52)
	v_fmac_f32_e32 v97, v78, v142
	s_waitcnt vmcnt(51)
	v_fmac_f32_e32 v98, v80, v143
	v_add_f32_e32 v97, 0, v97
	s_waitcnt vmcnt(50)
	v_fmac_f32_e32 v99, v82, v144
	v_add_f32_e32 v97, v97, v98
	;; [unrolled: 3-line block ×6, first 2 shown]
	s_waitcnt vmcnt(45)
	v_mul_f32_e32 v98, v91, v149
	v_add_f32_e32 v97, v97, v103
	s_waitcnt vmcnt(44)
	v_fmac_f32_e32 v98, v92, v150
	v_mul_f32_e32 v78, v78, v135
	v_add_f32_e32 v101, v97, v98
	ds_read_b128 v[97:100], v76 offset:448
	v_fma_f32 v77, v77, v142, -v78
	v_mul_f32_e32 v78, v80, v136
	s_waitcnt vmcnt(43) lgkmcnt(1)
	v_mul_f32_e32 v102, v93, v151
	v_add_f32_e32 v77, 0, v77
	v_fma_f32 v78, v79, v143, -v78
	s_waitcnt vmcnt(42)
	v_fmac_f32_e32 v102, v94, v152
	v_add_f32_e32 v77, v77, v78
	v_mul_f32_e32 v78, v82, v137
	v_add_f32_e32 v101, v101, v102
	s_waitcnt vmcnt(41)
	v_mul_f32_e32 v102, v95, v153
	v_fma_f32 v78, v81, v144, -v78
	s_waitcnt vmcnt(40)
	v_fmac_f32_e32 v102, v96, v154
	v_add_f32_e32 v77, v77, v78
	v_mul_f32_e32 v78, v84, v138
	v_add_f32_e32 v101, v101, v102
	s_waitcnt vmcnt(39) lgkmcnt(0)
	v_mul_f32_e32 v102, v97, v155
	v_fma_f32 v78, v83, v145, -v78
	s_waitcnt vmcnt(38)
	v_fmac_f32_e32 v102, v98, v156
	v_add_f32_e32 v77, v77, v78
	v_mul_f32_e32 v78, v86, v139
	v_add_f32_e32 v105, v101, v102
	ds_read_b128 v[101:104], v76 offset:464
	v_fma_f32 v78, v85, v146, -v78
	v_add_f32_e32 v77, v77, v78
	v_mul_f32_e32 v78, v88, v140
	s_waitcnt vmcnt(37)
	v_mul_f32_e32 v106, v99, v157
	v_fma_f32 v78, v87, v147, -v78
	s_waitcnt vmcnt(36)
	v_fmac_f32_e32 v106, v100, v158
	v_add_f32_e32 v77, v77, v78
	v_mul_f32_e32 v78, v90, v141
	v_add_f32_e32 v109, v105, v106
	ds_read_b128 v[105:108], v76 offset:480
	v_fma_f32 v78, v89, v148, -v78
	s_waitcnt vmcnt(34) lgkmcnt(1)
	v_mul_f32_e32 v110, v101, v160
	v_add_f32_e32 v77, v77, v78
	v_mul_f32_e32 v78, v92, v149
	v_fmac_f32_e32 v110, v102, v159
	v_fma_f32 v78, v91, v150, -v78
	v_add_f32_e32 v109, v109, v110
	s_waitcnt vmcnt(31)
	v_mul_f32_e32 v110, v103, v163
	v_add_f32_e32 v77, v77, v78
	v_mul_f32_e32 v78, v94, v151
	s_waitcnt vmcnt(30)
	v_fmac_f32_e32 v110, v104, v164
	v_fma_f32 v78, v93, v152, -v78
	v_add_f32_e32 v109, v109, v110
	s_waitcnt vmcnt(28) lgkmcnt(0)
	v_mul_f32_e32 v110, v105, v166
	v_add_f32_e32 v77, v77, v78
	v_mul_f32_e32 v78, v96, v153
	v_fmac_f32_e32 v110, v106, v165
	v_fma_f32 v78, v95, v154, -v78
	v_add_f32_e32 v113, v109, v110
	ds_read_b128 v[109:112], v76 offset:496
	v_add_f32_e32 v77, v77, v78
	v_mul_f32_e32 v78, v98, v155
	v_fma_f32 v78, v97, v156, -v78
	s_waitcnt vmcnt(26)
	v_mul_f32_e32 v114, v107, v168
	v_add_f32_e32 v77, v77, v78
	v_mul_f32_e32 v78, v100, v157
	v_fmac_f32_e32 v114, v108, v167
	v_fma_f32 v78, v99, v158, -v78
	v_add_f32_e32 v117, v113, v114
	ds_read_b128 v[113:116], v76 offset:512
	v_add_f32_e32 v77, v77, v78
	v_mul_f32_e32 v78, v102, v160
	s_waitcnt vmcnt(24) lgkmcnt(1)
	v_mul_f32_e32 v118, v109, v170
	v_fma_f32 v78, v101, v159, -v78
	v_fmac_f32_e32 v118, v110, v169
	v_add_f32_e32 v77, v77, v78
	v_mul_f32_e32 v78, v104, v163
	v_add_f32_e32 v117, v117, v118
	s_waitcnt vmcnt(22)
	v_mul_f32_e32 v118, v111, v172
	v_fma_f32 v78, v103, v164, -v78
	v_fmac_f32_e32 v118, v112, v171
	v_add_f32_e32 v77, v77, v78
	v_mul_f32_e32 v78, v106, v166
	v_add_f32_e32 v117, v117, v118
	s_waitcnt vmcnt(20) lgkmcnt(0)
	v_mul_f32_e32 v118, v113, v174
	v_fma_f32 v78, v105, v165, -v78
	v_fmac_f32_e32 v118, v114, v173
	v_add_f32_e32 v77, v77, v78
	v_mul_f32_e32 v78, v108, v168
	v_add_f32_e32 v121, v117, v118
	ds_read_b128 v[117:120], v76 offset:528
	v_fma_f32 v78, v107, v167, -v78
	v_add_f32_e32 v77, v77, v78
	v_mul_f32_e32 v78, v110, v170
	s_waitcnt vmcnt(18)
	v_mul_f32_e32 v122, v115, v176
	v_fma_f32 v78, v109, v169, -v78
	v_fmac_f32_e32 v122, v116, v175
	v_add_f32_e32 v77, v77, v78
	v_mul_f32_e32 v78, v112, v172
	v_add_f32_e32 v125, v121, v122
	ds_read_b128 v[121:124], v76 offset:544
	v_fma_f32 v78, v111, v171, -v78
	s_waitcnt vmcnt(16) lgkmcnt(1)
	v_mul_f32_e32 v126, v117, v178
	v_add_f32_e32 v77, v77, v78
	v_mul_f32_e32 v78, v114, v174
	v_fmac_f32_e32 v126, v118, v177
	v_fma_f32 v78, v113, v173, -v78
	v_add_f32_e32 v125, v125, v126
	s_waitcnt vmcnt(14)
	v_mul_f32_e32 v126, v119, v180
	v_add_f32_e32 v77, v77, v78
	v_mul_f32_e32 v78, v116, v176
	v_fmac_f32_e32 v126, v120, v179
	v_fma_f32 v78, v115, v175, -v78
	v_add_f32_e32 v125, v125, v126
	s_waitcnt vmcnt(12) lgkmcnt(0)
	v_mul_f32_e32 v126, v121, v182
	v_add_f32_e32 v77, v77, v78
	v_mul_f32_e32 v78, v118, v178
	v_fmac_f32_e32 v126, v122, v181
	v_fma_f32 v78, v117, v177, -v78
	v_add_f32_e32 v129, v125, v126
	ds_read_b128 v[125:128], v76 offset:560
	v_add_f32_e32 v77, v77, v78
	v_mul_f32_e32 v78, v120, v180
	v_fma_f32 v78, v119, v179, -v78
	v_add_f32_e32 v77, v77, v78
	v_mul_f32_e32 v78, v122, v182
	s_waitcnt vmcnt(10)
	v_mul_f32_e32 v130, v123, v184
	v_fma_f32 v78, v121, v181, -v78
	v_fmac_f32_e32 v130, v124, v183
	v_add_f32_e32 v77, v77, v78
	v_mul_f32_e32 v78, v124, v184
	v_add_f32_e32 v133, v129, v130
	ds_read_b128 v[129:132], v76 offset:576
	s_waitcnt vmcnt(8) lgkmcnt(1)
	v_mul_f32_e32 v134, v125, v186
	v_fma_f32 v78, v123, v183, -v78
	v_fmac_f32_e32 v134, v126, v185
	v_add_f32_e32 v77, v77, v78
	v_mul_f32_e32 v78, v126, v186
	v_add_f32_e32 v133, v133, v134
	s_waitcnt vmcnt(6)
	v_mul_f32_e32 v134, v127, v188
	v_fma_f32 v78, v125, v185, -v78
	v_fmac_f32_e32 v134, v128, v187
	v_add_f32_e32 v77, v77, v78
	v_mul_f32_e32 v78, v128, v188
	v_add_f32_e32 v195, v133, v134
	ds_read_b64 v[133:134], v76 offset:592
	v_fma_f32 v78, v127, v187, -v78
	v_add_f32_e32 v77, v77, v78
	s_waitcnt vmcnt(4) lgkmcnt(1)
	v_mul_f32_e32 v78, v130, v190
	v_mul_f32_e32 v196, v129, v190
	v_fma_f32 v78, v129, v189, -v78
	v_fmac_f32_e32 v196, v130, v189
	v_add_f32_e32 v77, v77, v78
	s_waitcnt vmcnt(2)
	v_mul_f32_e32 v78, v132, v192
	v_add_f32_e32 v195, v195, v196
	v_mul_f32_e32 v196, v131, v192
	v_fma_f32 v78, v131, v191, -v78
	v_fmac_f32_e32 v196, v132, v191
	v_add_f32_e32 v77, v77, v78
	s_waitcnt vmcnt(0) lgkmcnt(0)
	v_mul_f32_e32 v78, v134, v194
	v_add_f32_e32 v195, v195, v196
	v_mul_f32_e32 v196, v133, v194
	v_fma_f32 v78, v133, v193, -v78
	v_fmac_f32_e32 v196, v134, v193
	v_add_f32_e32 v77, v77, v78
	v_add_f32_e32 v195, v195, v196
	v_sub_f32_e32 v77, v161, v77
	v_sub_f32_e32 v78, v162, v195
	buffer_store_dword v77, off, s[0:3], 0 offset:56
	buffer_store_dword v78, off, s[0:3], 0 offset:60
	s_and_saveexec_b64 s[4:5], vcc
	s_cbranch_execz .LBB36_223
; %bb.222:
	buffer_load_dword v77, off, s[0:3], 0 offset:48
	buffer_load_dword v78, off, s[0:3], 0 offset:52
	s_waitcnt vmcnt(0)
	ds_write_b64 v75, v[77:78]
	buffer_store_dword v76, off, s[0:3], 0 offset:48
	buffer_store_dword v76, off, s[0:3], 0 offset:52
.LBB36_223:
	s_or_b64 exec, exec, s[4:5]
	s_waitcnt lgkmcnt(0)
	; wave barrier
	buffer_load_dword v137, off, s[0:3], 0 offset:60
	buffer_load_dword v138, off, s[0:3], 0 offset:68
	;; [unrolled: 1-line block ×32, first 2 shown]
	ds_read2_b64 v[77:80], v76 offset0:45 offset1:46
	ds_read2_b64 v[81:84], v76 offset0:47 offset1:48
	;; [unrolled: 1-line block ×4, first 2 shown]
	buffer_load_dword v169, off, s[0:3], 0 offset:180
	buffer_load_dword v170, off, s[0:3], 0 offset:176
	;; [unrolled: 1-line block ×30, first 2 shown]
	v_cmp_lt_u32_e32 vcc, 5, v0
	s_waitcnt vmcnt(61) lgkmcnt(3)
	v_mul_f32_e32 v93, v77, v137
	s_waitcnt vmcnt(60)
	v_mul_f32_e32 v94, v79, v138
	s_waitcnt vmcnt(59) lgkmcnt(2)
	v_mul_f32_e32 v95, v81, v139
	s_waitcnt vmcnt(58)
	v_mul_f32_e32 v96, v83, v140
	;; [unrolled: 4-line block ×3, first 2 shown]
	s_waitcnt vmcnt(55) lgkmcnt(0)
	v_mul_f32_e32 v99, v89, v143
	s_waitcnt vmcnt(54)
	v_fmac_f32_e32 v93, v78, v144
	s_waitcnt vmcnt(53)
	v_fmac_f32_e32 v94, v80, v145
	v_add_f32_e32 v93, 0, v93
	s_waitcnt vmcnt(52)
	v_fmac_f32_e32 v95, v82, v146
	v_add_f32_e32 v93, v93, v94
	;; [unrolled: 3-line block ×6, first 2 shown]
	v_add_f32_e32 v97, v93, v99
	ds_read2_b64 v[93:96], v76 offset0:53 offset1:54
	s_waitcnt vmcnt(47)
	v_mul_f32_e32 v98, v91, v151
	s_waitcnt vmcnt(46)
	v_fmac_f32_e32 v98, v92, v152
	v_mul_f32_e32 v78, v78, v137
	v_add_f32_e32 v101, v97, v98
	ds_read2_b64 v[97:100], v76 offset0:55 offset1:56
	v_fma_f32 v77, v77, v144, -v78
	v_mul_f32_e32 v78, v80, v138
	s_waitcnt vmcnt(45) lgkmcnt(1)
	v_mul_f32_e32 v102, v93, v153
	v_add_f32_e32 v77, 0, v77
	v_fma_f32 v78, v79, v145, -v78
	s_waitcnt vmcnt(44)
	v_fmac_f32_e32 v102, v94, v154
	v_add_f32_e32 v77, v77, v78
	v_mul_f32_e32 v78, v82, v139
	v_add_f32_e32 v101, v101, v102
	s_waitcnt vmcnt(43)
	v_mul_f32_e32 v102, v95, v155
	v_fma_f32 v78, v81, v146, -v78
	s_waitcnt vmcnt(42)
	v_fmac_f32_e32 v102, v96, v156
	v_add_f32_e32 v77, v77, v78
	v_mul_f32_e32 v78, v84, v140
	v_add_f32_e32 v101, v101, v102
	s_waitcnt vmcnt(41) lgkmcnt(0)
	v_mul_f32_e32 v102, v97, v157
	v_fma_f32 v78, v83, v147, -v78
	s_waitcnt vmcnt(40)
	v_fmac_f32_e32 v102, v98, v158
	v_add_f32_e32 v77, v77, v78
	v_mul_f32_e32 v78, v86, v141
	v_add_f32_e32 v105, v101, v102
	ds_read2_b64 v[101:104], v76 offset0:57 offset1:58
	v_fma_f32 v78, v85, v148, -v78
	v_add_f32_e32 v77, v77, v78
	v_mul_f32_e32 v78, v88, v142
	s_waitcnt vmcnt(39)
	v_mul_f32_e32 v106, v99, v159
	v_fma_f32 v78, v87, v149, -v78
	s_waitcnt vmcnt(38)
	v_fmac_f32_e32 v106, v100, v160
	v_add_f32_e32 v77, v77, v78
	v_mul_f32_e32 v78, v90, v143
	v_add_f32_e32 v109, v105, v106
	ds_read2_b64 v[105:108], v76 offset0:59 offset1:60
	v_fma_f32 v78, v89, v150, -v78
	s_waitcnt vmcnt(35) lgkmcnt(1)
	v_mul_f32_e32 v110, v101, v163
	v_add_f32_e32 v77, v77, v78
	v_mul_f32_e32 v78, v92, v151
	s_waitcnt vmcnt(34)
	v_fmac_f32_e32 v110, v102, v164
	v_fma_f32 v78, v91, v152, -v78
	v_add_f32_e32 v109, v109, v110
	s_waitcnt vmcnt(32)
	v_mul_f32_e32 v110, v103, v166
	v_add_f32_e32 v77, v77, v78
	v_mul_f32_e32 v78, v94, v153
	v_fmac_f32_e32 v110, v104, v165
	v_fma_f32 v78, v93, v154, -v78
	v_add_f32_e32 v109, v109, v110
	s_waitcnt vmcnt(30) lgkmcnt(0)
	v_mul_f32_e32 v110, v105, v168
	v_add_f32_e32 v77, v77, v78
	v_mul_f32_e32 v78, v96, v155
	v_fmac_f32_e32 v110, v106, v167
	v_fma_f32 v78, v95, v156, -v78
	v_add_f32_e32 v113, v109, v110
	ds_read2_b64 v[109:112], v76 offset0:61 offset1:62
	v_add_f32_e32 v77, v77, v78
	v_mul_f32_e32 v78, v98, v157
	v_fma_f32 v78, v97, v158, -v78
	s_waitcnt vmcnt(29)
	v_mul_f32_e32 v114, v107, v169
	v_add_f32_e32 v77, v77, v78
	v_mul_f32_e32 v78, v100, v159
	s_waitcnt vmcnt(28)
	v_fmac_f32_e32 v114, v108, v170
	v_fma_f32 v78, v99, v160, -v78
	v_add_f32_e32 v117, v113, v114
	ds_read2_b64 v[113:116], v76 offset0:63 offset1:64
	v_add_f32_e32 v77, v77, v78
	v_mul_f32_e32 v78, v102, v163
	s_waitcnt vmcnt(26) lgkmcnt(1)
	v_mul_f32_e32 v118, v109, v172
	v_fma_f32 v78, v101, v164, -v78
	v_fmac_f32_e32 v118, v110, v171
	v_add_f32_e32 v77, v77, v78
	v_mul_f32_e32 v78, v104, v166
	v_add_f32_e32 v117, v117, v118
	s_waitcnt vmcnt(24)
	v_mul_f32_e32 v118, v111, v174
	v_fma_f32 v78, v103, v165, -v78
	v_fmac_f32_e32 v118, v112, v173
	v_add_f32_e32 v77, v77, v78
	v_mul_f32_e32 v78, v106, v168
	v_add_f32_e32 v117, v117, v118
	s_waitcnt vmcnt(22) lgkmcnt(0)
	v_mul_f32_e32 v118, v113, v176
	v_fma_f32 v78, v105, v167, -v78
	v_fmac_f32_e32 v118, v114, v175
	v_add_f32_e32 v77, v77, v78
	v_mul_f32_e32 v78, v108, v169
	v_add_f32_e32 v121, v117, v118
	ds_read2_b64 v[117:120], v76 offset0:65 offset1:66
	v_fma_f32 v78, v107, v170, -v78
	v_add_f32_e32 v77, v77, v78
	v_mul_f32_e32 v78, v110, v172
	s_waitcnt vmcnt(20)
	v_mul_f32_e32 v122, v115, v178
	v_fma_f32 v78, v109, v171, -v78
	v_fmac_f32_e32 v122, v116, v177
	v_add_f32_e32 v77, v77, v78
	v_mul_f32_e32 v78, v112, v174
	v_add_f32_e32 v125, v121, v122
	ds_read2_b64 v[121:124], v76 offset0:67 offset1:68
	v_fma_f32 v78, v111, v173, -v78
	s_waitcnt vmcnt(18) lgkmcnt(1)
	v_mul_f32_e32 v126, v117, v180
	v_add_f32_e32 v77, v77, v78
	v_mul_f32_e32 v78, v114, v176
	v_fmac_f32_e32 v126, v118, v179
	v_fma_f32 v78, v113, v175, -v78
	v_add_f32_e32 v125, v125, v126
	s_waitcnt vmcnt(16)
	v_mul_f32_e32 v126, v119, v182
	v_add_f32_e32 v77, v77, v78
	v_mul_f32_e32 v78, v116, v178
	v_fmac_f32_e32 v126, v120, v181
	v_fma_f32 v78, v115, v177, -v78
	v_add_f32_e32 v125, v125, v126
	s_waitcnt vmcnt(14) lgkmcnt(0)
	v_mul_f32_e32 v126, v121, v184
	v_add_f32_e32 v77, v77, v78
	v_mul_f32_e32 v78, v118, v180
	v_fmac_f32_e32 v126, v122, v183
	v_fma_f32 v78, v117, v179, -v78
	v_add_f32_e32 v129, v125, v126
	ds_read2_b64 v[125:128], v76 offset0:69 offset1:70
	v_add_f32_e32 v77, v77, v78
	v_mul_f32_e32 v78, v120, v182
	v_fma_f32 v78, v119, v181, -v78
	v_add_f32_e32 v77, v77, v78
	v_mul_f32_e32 v78, v122, v184
	s_waitcnt vmcnt(12)
	v_mul_f32_e32 v130, v123, v186
	v_fma_f32 v78, v121, v183, -v78
	v_fmac_f32_e32 v130, v124, v185
	v_add_f32_e32 v77, v77, v78
	v_mul_f32_e32 v78, v124, v186
	v_add_f32_e32 v133, v129, v130
	ds_read2_b64 v[129:132], v76 offset0:71 offset1:72
	s_waitcnt vmcnt(10) lgkmcnt(1)
	v_mul_f32_e32 v134, v125, v188
	v_fma_f32 v78, v123, v185, -v78
	v_fmac_f32_e32 v134, v126, v187
	v_add_f32_e32 v77, v77, v78
	v_mul_f32_e32 v78, v126, v188
	v_add_f32_e32 v133, v133, v134
	s_waitcnt vmcnt(8)
	v_mul_f32_e32 v134, v127, v190
	v_fma_f32 v78, v125, v187, -v78
	v_fmac_f32_e32 v134, v128, v189
	v_add_f32_e32 v77, v77, v78
	v_mul_f32_e32 v78, v128, v190
	v_add_f32_e32 v199, v133, v134
	ds_read2_b64 v[133:136], v76 offset0:73 offset1:74
	v_fma_f32 v78, v127, v189, -v78
	v_add_f32_e32 v77, v77, v78
	s_waitcnt vmcnt(6) lgkmcnt(1)
	v_mul_f32_e32 v78, v130, v192
	v_mul_f32_e32 v200, v129, v192
	v_fma_f32 v78, v129, v191, -v78
	v_fmac_f32_e32 v200, v130, v191
	v_add_f32_e32 v77, v77, v78
	s_waitcnt vmcnt(4)
	v_mul_f32_e32 v78, v132, v194
	v_add_f32_e32 v76, v199, v200
	v_mul_f32_e32 v199, v131, v194
	v_fma_f32 v78, v131, v193, -v78
	v_fmac_f32_e32 v199, v132, v193
	v_add_f32_e32 v77, v77, v78
	s_waitcnt vmcnt(2) lgkmcnt(0)
	v_mul_f32_e32 v78, v134, v196
	v_add_f32_e32 v76, v76, v199
	v_mul_f32_e32 v199, v133, v196
	v_fma_f32 v78, v133, v195, -v78
	v_fmac_f32_e32 v199, v134, v195
	v_add_f32_e32 v77, v77, v78
	s_waitcnt vmcnt(0)
	v_mul_f32_e32 v78, v136, v198
	v_add_f32_e32 v76, v76, v199
	v_mul_f32_e32 v199, v135, v198
	v_fma_f32 v78, v135, v197, -v78
	v_fmac_f32_e32 v199, v136, v197
	v_add_f32_e32 v77, v77, v78
	v_add_f32_e32 v76, v76, v199
	v_sub_f32_e32 v77, v161, v77
	v_sub_f32_e32 v76, v162, v76
	buffer_store_dword v77, off, s[0:3], 0 offset:48
	buffer_store_dword v76, off, s[0:3], 0 offset:52
	s_and_saveexec_b64 s[4:5], vcc
	s_cbranch_execz .LBB36_225
; %bb.224:
	buffer_load_dword v76, off, s[0:3], 0 offset:40
	buffer_load_dword v77, off, s[0:3], 0 offset:44
	v_mov_b32_e32 v78, 0
	buffer_store_dword v78, off, s[0:3], 0 offset:40
	buffer_store_dword v78, off, s[0:3], 0 offset:44
	s_waitcnt vmcnt(2)
	ds_write_b64 v75, v[76:77]
.LBB36_225:
	s_or_b64 exec, exec, s[4:5]
	s_waitcnt lgkmcnt(0)
	; wave barrier
	buffer_load_dword v139, off, s[0:3], 0 offset:52
	buffer_load_dword v140, off, s[0:3], 0 offset:60
	;; [unrolled: 1-line block ×56, first 2 shown]
	v_mov_b32_e32 v76, 0
	ds_read_b128 v[77:80], v76 offset:352
	buffer_load_dword v195, off, s[0:3], 0 offset:264
	buffer_load_dword v196, off, s[0:3], 0 offset:268
	;; [unrolled: 1-line block ×4, first 2 shown]
	ds_read_b128 v[81:84], v76 offset:368
	ds_read_b128 v[85:88], v76 offset:384
	;; [unrolled: 1-line block ×3, first 2 shown]
	v_cmp_lt_u32_e32 vcc, 4, v0
	s_waitcnt vmcnt(59) lgkmcnt(3)
	v_mul_f32_e32 v93, v77, v139
	s_waitcnt vmcnt(58)
	v_mul_f32_e32 v94, v79, v140
	s_waitcnt vmcnt(57) lgkmcnt(2)
	v_mul_f32_e32 v95, v81, v141
	s_waitcnt vmcnt(56)
	v_mul_f32_e32 v96, v83, v142
	s_waitcnt vmcnt(55) lgkmcnt(1)
	v_mul_f32_e32 v97, v85, v143
	s_waitcnt vmcnt(54)
	v_mul_f32_e32 v98, v87, v144
	s_waitcnt vmcnt(53) lgkmcnt(0)
	v_mul_f32_e32 v99, v89, v145
	s_waitcnt vmcnt(52)
	v_mul_f32_e32 v100, v91, v146
	s_waitcnt vmcnt(51)
	v_fmac_f32_e32 v93, v78, v147
	s_waitcnt vmcnt(50)
	v_fmac_f32_e32 v94, v80, v148
	v_add_f32_e32 v93, 0, v93
	s_waitcnt vmcnt(49)
	v_fmac_f32_e32 v95, v82, v149
	v_add_f32_e32 v93, v93, v94
	s_waitcnt vmcnt(48)
	v_fmac_f32_e32 v96, v84, v150
	v_add_f32_e32 v93, v93, v95
	s_waitcnt vmcnt(47)
	v_fmac_f32_e32 v97, v86, v151
	v_add_f32_e32 v93, v93, v96
	s_waitcnt vmcnt(46)
	v_fmac_f32_e32 v98, v88, v152
	v_add_f32_e32 v93, v93, v97
	s_waitcnt vmcnt(45)
	v_fmac_f32_e32 v99, v90, v153
	v_add_f32_e32 v93, v93, v98
	v_add_f32_e32 v97, v93, v99
	ds_read_b128 v[93:96], v76 offset:416
	buffer_load_dword v199, off, s[0:3], 0 offset:284
	buffer_load_dword v200, off, s[0:3], 0 offset:280
	;; [unrolled: 1-line block ×4, first 2 shown]
	s_waitcnt vmcnt(48)
	v_fmac_f32_e32 v100, v92, v154
	v_add_f32_e32 v101, v97, v100
	ds_read_b128 v[97:100], v76 offset:432
	s_waitcnt vmcnt(47) lgkmcnt(1)
	v_mul_f32_e32 v102, v93, v155
	v_mul_f32_e32 v78, v78, v139
	s_waitcnt vmcnt(46)
	v_fmac_f32_e32 v102, v94, v156
	v_fma_f32 v77, v77, v147, -v78
	v_mul_f32_e32 v78, v80, v140
	v_add_f32_e32 v101, v101, v102
	s_waitcnt vmcnt(45)
	v_mul_f32_e32 v102, v95, v157
	v_add_f32_e32 v77, 0, v77
	v_fma_f32 v78, v79, v148, -v78
	s_waitcnt vmcnt(44)
	v_fmac_f32_e32 v102, v96, v158
	v_add_f32_e32 v77, v77, v78
	v_mul_f32_e32 v78, v82, v141
	v_add_f32_e32 v101, v101, v102
	s_waitcnt vmcnt(42) lgkmcnt(0)
	v_mul_f32_e32 v102, v97, v160
	v_fma_f32 v78, v81, v149, -v78
	v_fmac_f32_e32 v102, v98, v159
	v_add_f32_e32 v77, v77, v78
	v_mul_f32_e32 v78, v84, v142
	v_add_f32_e32 v105, v101, v102
	ds_read_b128 v[101:104], v76 offset:448
	v_fma_f32 v78, v83, v150, -v78
	v_add_f32_e32 v77, v77, v78
	v_mul_f32_e32 v78, v86, v143
	s_waitcnt vmcnt(39)
	v_mul_f32_e32 v106, v99, v163
	v_fma_f32 v78, v85, v151, -v78
	s_waitcnt vmcnt(38)
	v_fmac_f32_e32 v106, v100, v164
	v_add_f32_e32 v77, v77, v78
	v_mul_f32_e32 v78, v88, v144
	v_add_f32_e32 v109, v105, v106
	ds_read_b128 v[105:108], v76 offset:464
	v_fma_f32 v78, v87, v152, -v78
	s_waitcnt vmcnt(36) lgkmcnt(1)
	v_mul_f32_e32 v110, v101, v166
	v_add_f32_e32 v77, v77, v78
	v_mul_f32_e32 v78, v90, v145
	v_fmac_f32_e32 v110, v102, v165
	v_fma_f32 v78, v89, v153, -v78
	v_add_f32_e32 v109, v109, v110
	s_waitcnt vmcnt(34)
	v_mul_f32_e32 v110, v103, v168
	v_add_f32_e32 v77, v77, v78
	v_mul_f32_e32 v78, v92, v146
	v_fmac_f32_e32 v110, v104, v167
	v_fma_f32 v78, v91, v154, -v78
	v_add_f32_e32 v109, v109, v110
	s_waitcnt vmcnt(32) lgkmcnt(0)
	v_mul_f32_e32 v110, v105, v170
	v_add_f32_e32 v77, v77, v78
	v_mul_f32_e32 v78, v94, v155
	v_fmac_f32_e32 v110, v106, v169
	v_fma_f32 v78, v93, v156, -v78
	v_add_f32_e32 v113, v109, v110
	ds_read_b128 v[109:112], v76 offset:480
	v_add_f32_e32 v77, v77, v78
	v_mul_f32_e32 v78, v96, v157
	v_fma_f32 v78, v95, v158, -v78
	s_waitcnt vmcnt(30)
	v_mul_f32_e32 v114, v107, v172
	v_add_f32_e32 v77, v77, v78
	v_mul_f32_e32 v78, v98, v160
	v_fmac_f32_e32 v114, v108, v171
	v_fma_f32 v78, v97, v159, -v78
	v_add_f32_e32 v117, v113, v114
	ds_read_b128 v[113:116], v76 offset:496
	v_add_f32_e32 v77, v77, v78
	v_mul_f32_e32 v78, v100, v163
	s_waitcnt vmcnt(28) lgkmcnt(1)
	v_mul_f32_e32 v118, v109, v174
	v_fma_f32 v78, v99, v164, -v78
	v_fmac_f32_e32 v118, v110, v173
	v_add_f32_e32 v77, v77, v78
	v_mul_f32_e32 v78, v102, v166
	v_add_f32_e32 v117, v117, v118
	s_waitcnt vmcnt(26)
	v_mul_f32_e32 v118, v111, v176
	v_fma_f32 v78, v101, v165, -v78
	v_fmac_f32_e32 v118, v112, v175
	v_add_f32_e32 v77, v77, v78
	v_mul_f32_e32 v78, v104, v168
	v_add_f32_e32 v117, v117, v118
	s_waitcnt vmcnt(24) lgkmcnt(0)
	v_mul_f32_e32 v118, v113, v178
	v_fma_f32 v78, v103, v167, -v78
	v_fmac_f32_e32 v118, v114, v177
	v_add_f32_e32 v77, v77, v78
	v_mul_f32_e32 v78, v106, v170
	v_add_f32_e32 v121, v117, v118
	ds_read_b128 v[117:120], v76 offset:512
	v_fma_f32 v78, v105, v169, -v78
	v_add_f32_e32 v77, v77, v78
	v_mul_f32_e32 v78, v108, v172
	s_waitcnt vmcnt(22)
	v_mul_f32_e32 v122, v115, v180
	v_fma_f32 v78, v107, v171, -v78
	v_fmac_f32_e32 v122, v116, v179
	v_add_f32_e32 v77, v77, v78
	v_mul_f32_e32 v78, v110, v174
	v_add_f32_e32 v125, v121, v122
	ds_read_b128 v[121:124], v76 offset:528
	v_fma_f32 v78, v109, v173, -v78
	s_waitcnt vmcnt(20) lgkmcnt(1)
	v_mul_f32_e32 v126, v117, v182
	v_add_f32_e32 v77, v77, v78
	v_mul_f32_e32 v78, v112, v176
	v_fmac_f32_e32 v126, v118, v181
	v_fma_f32 v78, v111, v175, -v78
	v_add_f32_e32 v125, v125, v126
	s_waitcnt vmcnt(18)
	v_mul_f32_e32 v126, v119, v184
	v_add_f32_e32 v77, v77, v78
	v_mul_f32_e32 v78, v114, v178
	v_fmac_f32_e32 v126, v120, v183
	v_fma_f32 v78, v113, v177, -v78
	v_add_f32_e32 v125, v125, v126
	s_waitcnt vmcnt(16) lgkmcnt(0)
	v_mul_f32_e32 v126, v121, v186
	v_add_f32_e32 v77, v77, v78
	v_mul_f32_e32 v78, v116, v180
	v_fmac_f32_e32 v126, v122, v185
	v_fma_f32 v78, v115, v179, -v78
	v_add_f32_e32 v129, v125, v126
	ds_read_b128 v[125:128], v76 offset:544
	v_add_f32_e32 v77, v77, v78
	v_mul_f32_e32 v78, v118, v182
	v_fma_f32 v78, v117, v181, -v78
	s_waitcnt vmcnt(14)
	v_mul_f32_e32 v130, v123, v188
	v_add_f32_e32 v77, v77, v78
	v_mul_f32_e32 v78, v120, v184
	v_fmac_f32_e32 v130, v124, v187
	v_fma_f32 v78, v119, v183, -v78
	v_add_f32_e32 v133, v129, v130
	ds_read_b128 v[129:132], v76 offset:560
	v_add_f32_e32 v77, v77, v78
	v_mul_f32_e32 v78, v122, v186
	s_waitcnt vmcnt(12) lgkmcnt(1)
	v_mul_f32_e32 v134, v125, v190
	v_fma_f32 v78, v121, v185, -v78
	v_fmac_f32_e32 v134, v126, v189
	v_add_f32_e32 v77, v77, v78
	v_mul_f32_e32 v78, v124, v188
	v_add_f32_e32 v133, v133, v134
	s_waitcnt vmcnt(10)
	v_mul_f32_e32 v134, v127, v192
	v_fma_f32 v78, v123, v187, -v78
	v_fmac_f32_e32 v134, v128, v191
	v_add_f32_e32 v77, v77, v78
	v_mul_f32_e32 v78, v126, v190
	v_add_f32_e32 v133, v133, v134
	s_waitcnt vmcnt(8) lgkmcnt(0)
	v_mul_f32_e32 v134, v129, v194
	v_fma_f32 v78, v125, v189, -v78
	v_fmac_f32_e32 v134, v130, v193
	v_add_f32_e32 v77, v77, v78
	v_mul_f32_e32 v78, v128, v192
	v_add_f32_e32 v137, v133, v134
	ds_read_b128 v[133:136], v76 offset:576
	v_fma_f32 v78, v127, v191, -v78
	v_add_f32_e32 v77, v77, v78
	v_mul_f32_e32 v78, v130, v194
	s_waitcnt vmcnt(6)
	v_mul_f32_e32 v138, v131, v196
	v_fma_f32 v78, v129, v193, -v78
	v_fmac_f32_e32 v138, v132, v195
	v_add_f32_e32 v77, v77, v78
	v_mul_f32_e32 v78, v132, v196
	v_add_f32_e32 v203, v137, v138
	ds_read_b64 v[137:138], v76 offset:592
	v_fma_f32 v78, v131, v195, -v78
	v_add_f32_e32 v77, v77, v78
	s_waitcnt vmcnt(4) lgkmcnt(1)
	v_mul_f32_e32 v78, v134, v198
	v_mul_f32_e32 v204, v133, v198
	v_fma_f32 v78, v133, v197, -v78
	v_fmac_f32_e32 v204, v134, v197
	v_add_f32_e32 v77, v77, v78
	s_waitcnt vmcnt(3)
	v_mul_f32_e32 v78, v136, v199
	v_add_f32_e32 v203, v203, v204
	v_mul_f32_e32 v204, v135, v199
	s_waitcnt vmcnt(2)
	v_fma_f32 v78, v135, v200, -v78
	v_fmac_f32_e32 v204, v136, v200
	v_add_f32_e32 v77, v77, v78
	s_waitcnt vmcnt(0) lgkmcnt(0)
	v_mul_f32_e32 v78, v138, v202
	v_add_f32_e32 v203, v203, v204
	v_mul_f32_e32 v204, v137, v202
	v_fma_f32 v78, v137, v201, -v78
	v_fmac_f32_e32 v204, v138, v201
	v_add_f32_e32 v77, v77, v78
	v_add_f32_e32 v203, v203, v204
	v_sub_f32_e32 v77, v161, v77
	v_sub_f32_e32 v78, v162, v203
	buffer_store_dword v77, off, s[0:3], 0 offset:40
	buffer_store_dword v78, off, s[0:3], 0 offset:44
	s_and_saveexec_b64 s[4:5], vcc
	s_cbranch_execz .LBB36_227
; %bb.226:
	buffer_load_dword v77, off, s[0:3], 0 offset:32
	buffer_load_dword v78, off, s[0:3], 0 offset:36
	s_waitcnt vmcnt(0)
	ds_write_b64 v75, v[77:78]
	buffer_store_dword v76, off, s[0:3], 0 offset:32
	buffer_store_dword v76, off, s[0:3], 0 offset:36
.LBB36_227:
	s_or_b64 exec, exec, s[4:5]
	s_waitcnt lgkmcnt(0)
	; wave barrier
	buffer_load_dword v141, off, s[0:3], 0 offset:44
	buffer_load_dword v142, off, s[0:3], 0 offset:52
	buffer_load_dword v143, off, s[0:3], 0 offset:60
	buffer_load_dword v144, off, s[0:3], 0 offset:68
	buffer_load_dword v145, off, s[0:3], 0 offset:76
	buffer_load_dword v146, off, s[0:3], 0 offset:84
	buffer_load_dword v147, off, s[0:3], 0 offset:92
	buffer_load_dword v148, off, s[0:3], 0 offset:100
	buffer_load_dword v149, off, s[0:3], 0 offset:40
	buffer_load_dword v150, off, s[0:3], 0 offset:48
	buffer_load_dword v151, off, s[0:3], 0 offset:56
	buffer_load_dword v152, off, s[0:3], 0 offset:64
	buffer_load_dword v153, off, s[0:3], 0 offset:72
	buffer_load_dword v154, off, s[0:3], 0 offset:80
	buffer_load_dword v155, off, s[0:3], 0 offset:88
	buffer_load_dword v156, off, s[0:3], 0 offset:96
	buffer_load_dword v157, off, s[0:3], 0 offset:108
	buffer_load_dword v158, off, s[0:3], 0 offset:104
	buffer_load_dword v159, off, s[0:3], 0 offset:112
	buffer_load_dword v160, off, s[0:3], 0 offset:116
	buffer_load_dword v161, off, s[0:3], 0 offset:32
	buffer_load_dword v162, off, s[0:3], 0 offset:36
	buffer_load_dword v163, off, s[0:3], 0 offset:124
	buffer_load_dword v164, off, s[0:3], 0 offset:120
	buffer_load_dword v165, off, s[0:3], 0 offset:128
	buffer_load_dword v166, off, s[0:3], 0 offset:132
	ds_read2_b64 v[77:80], v76 offset0:43 offset1:44
	ds_read2_b64 v[81:84], v76 offset0:45 offset1:46
	;; [unrolled: 1-line block ×4, first 2 shown]
	buffer_load_dword v167, off, s[0:3], 0 offset:140
	buffer_load_dword v168, off, s[0:3], 0 offset:136
	;; [unrolled: 1-line block ×34, first 2 shown]
	v_cmp_lt_u32_e32 vcc, 3, v0
	s_waitcnt vmcnt(59) lgkmcnt(3)
	v_mul_f32_e32 v93, v77, v141
	s_waitcnt vmcnt(58)
	v_mul_f32_e32 v94, v79, v142
	s_waitcnt vmcnt(57) lgkmcnt(2)
	v_mul_f32_e32 v95, v81, v143
	s_waitcnt vmcnt(56)
	v_mul_f32_e32 v96, v83, v144
	s_waitcnt vmcnt(55) lgkmcnt(1)
	v_mul_f32_e32 v97, v85, v145
	s_waitcnt vmcnt(54)
	v_mul_f32_e32 v98, v87, v146
	s_waitcnt vmcnt(53) lgkmcnt(0)
	v_mul_f32_e32 v99, v89, v147
	s_waitcnt vmcnt(52)
	v_mul_f32_e32 v100, v91, v148
	s_waitcnt vmcnt(51)
	v_fmac_f32_e32 v93, v78, v149
	s_waitcnt vmcnt(50)
	v_fmac_f32_e32 v94, v80, v150
	v_add_f32_e32 v93, 0, v93
	s_waitcnt vmcnt(49)
	v_fmac_f32_e32 v95, v82, v151
	v_add_f32_e32 v93, v93, v94
	;; [unrolled: 3-line block ×7, first 2 shown]
	v_add_f32_e32 v101, v93, v100
	ds_read2_b64 v[93:96], v76 offset0:51 offset1:52
	buffer_load_dword v201, off, s[0:3], 0 offset:276
	buffer_load_dword v202, off, s[0:3], 0 offset:272
	;; [unrolled: 1-line block ×4, first 2 shown]
	ds_read2_b64 v[97:100], v76 offset0:53 offset1:54
	buffer_load_dword v205, off, s[0:3], 0 offset:288
	buffer_load_dword v206, off, s[0:3], 0 offset:292
	v_mul_f32_e32 v78, v78, v141
	s_waitcnt vmcnt(49) lgkmcnt(1)
	v_mul_f32_e32 v102, v93, v157
	s_waitcnt vmcnt(48)
	v_fmac_f32_e32 v102, v94, v158
	v_fma_f32 v77, v77, v149, -v78
	v_mul_f32_e32 v78, v80, v142
	v_add_f32_e32 v101, v101, v102
	s_waitcnt vmcnt(46)
	v_mul_f32_e32 v102, v95, v160
	v_add_f32_e32 v77, 0, v77
	v_fma_f32 v78, v79, v150, -v78
	v_fmac_f32_e32 v102, v96, v159
	v_add_f32_e32 v77, v77, v78
	v_mul_f32_e32 v78, v82, v143
	v_add_f32_e32 v101, v101, v102
	s_waitcnt vmcnt(43) lgkmcnt(0)
	v_mul_f32_e32 v102, v97, v163
	v_fma_f32 v78, v81, v151, -v78
	s_waitcnt vmcnt(42)
	v_fmac_f32_e32 v102, v98, v164
	v_add_f32_e32 v77, v77, v78
	v_mul_f32_e32 v78, v84, v144
	v_add_f32_e32 v105, v101, v102
	ds_read2_b64 v[101:104], v76 offset0:55 offset1:56
	v_fma_f32 v78, v83, v152, -v78
	v_add_f32_e32 v77, v77, v78
	v_mul_f32_e32 v78, v86, v145
	s_waitcnt vmcnt(40)
	v_mul_f32_e32 v106, v99, v166
	v_fma_f32 v78, v85, v153, -v78
	v_fmac_f32_e32 v106, v100, v165
	v_add_f32_e32 v77, v77, v78
	v_mul_f32_e32 v78, v88, v146
	v_add_f32_e32 v109, v105, v106
	ds_read2_b64 v[105:108], v76 offset0:57 offset1:58
	v_fma_f32 v78, v87, v154, -v78
	s_waitcnt vmcnt(39) lgkmcnt(1)
	v_mul_f32_e32 v110, v101, v167
	v_add_f32_e32 v77, v77, v78
	v_mul_f32_e32 v78, v90, v147
	s_waitcnt vmcnt(38)
	v_fmac_f32_e32 v110, v102, v168
	v_fma_f32 v78, v89, v155, -v78
	v_add_f32_e32 v109, v109, v110
	s_waitcnt vmcnt(36)
	v_mul_f32_e32 v110, v103, v170
	v_add_f32_e32 v77, v77, v78
	v_mul_f32_e32 v78, v92, v148
	v_fmac_f32_e32 v110, v104, v169
	v_fma_f32 v78, v91, v156, -v78
	v_add_f32_e32 v109, v109, v110
	s_waitcnt vmcnt(34) lgkmcnt(0)
	v_mul_f32_e32 v110, v105, v172
	v_add_f32_e32 v77, v77, v78
	v_mul_f32_e32 v78, v94, v157
	v_fmac_f32_e32 v110, v106, v171
	v_fma_f32 v78, v93, v158, -v78
	v_add_f32_e32 v113, v109, v110
	ds_read2_b64 v[109:112], v76 offset0:59 offset1:60
	v_add_f32_e32 v77, v77, v78
	v_mul_f32_e32 v78, v96, v160
	v_fma_f32 v78, v95, v159, -v78
	s_waitcnt vmcnt(32)
	v_mul_f32_e32 v114, v107, v174
	v_add_f32_e32 v77, v77, v78
	v_mul_f32_e32 v78, v98, v163
	v_fmac_f32_e32 v114, v108, v173
	v_fma_f32 v78, v97, v164, -v78
	v_add_f32_e32 v117, v113, v114
	ds_read2_b64 v[113:116], v76 offset0:61 offset1:62
	v_add_f32_e32 v77, v77, v78
	v_mul_f32_e32 v78, v100, v166
	s_waitcnt vmcnt(30) lgkmcnt(1)
	v_mul_f32_e32 v118, v109, v176
	v_fma_f32 v78, v99, v165, -v78
	v_fmac_f32_e32 v118, v110, v175
	v_add_f32_e32 v77, v77, v78
	v_mul_f32_e32 v78, v102, v167
	v_add_f32_e32 v117, v117, v118
	s_waitcnt vmcnt(28)
	v_mul_f32_e32 v118, v111, v178
	v_fma_f32 v78, v101, v168, -v78
	v_fmac_f32_e32 v118, v112, v177
	v_add_f32_e32 v77, v77, v78
	v_mul_f32_e32 v78, v104, v170
	v_add_f32_e32 v117, v117, v118
	s_waitcnt vmcnt(26) lgkmcnt(0)
	v_mul_f32_e32 v118, v113, v180
	v_fma_f32 v78, v103, v169, -v78
	v_fmac_f32_e32 v118, v114, v179
	v_add_f32_e32 v77, v77, v78
	v_mul_f32_e32 v78, v106, v172
	v_add_f32_e32 v121, v117, v118
	ds_read2_b64 v[117:120], v76 offset0:63 offset1:64
	v_fma_f32 v78, v105, v171, -v78
	v_add_f32_e32 v77, v77, v78
	v_mul_f32_e32 v78, v108, v174
	s_waitcnt vmcnt(24)
	v_mul_f32_e32 v122, v115, v182
	v_fma_f32 v78, v107, v173, -v78
	v_fmac_f32_e32 v122, v116, v181
	v_add_f32_e32 v77, v77, v78
	v_mul_f32_e32 v78, v110, v176
	v_add_f32_e32 v125, v121, v122
	ds_read2_b64 v[121:124], v76 offset0:65 offset1:66
	v_fma_f32 v78, v109, v175, -v78
	s_waitcnt vmcnt(22) lgkmcnt(1)
	v_mul_f32_e32 v126, v117, v184
	v_add_f32_e32 v77, v77, v78
	v_mul_f32_e32 v78, v112, v178
	v_fmac_f32_e32 v126, v118, v183
	v_fma_f32 v78, v111, v177, -v78
	v_add_f32_e32 v125, v125, v126
	s_waitcnt vmcnt(20)
	v_mul_f32_e32 v126, v119, v186
	v_add_f32_e32 v77, v77, v78
	v_mul_f32_e32 v78, v114, v180
	v_fmac_f32_e32 v126, v120, v185
	v_fma_f32 v78, v113, v179, -v78
	v_add_f32_e32 v125, v125, v126
	s_waitcnt vmcnt(18) lgkmcnt(0)
	v_mul_f32_e32 v126, v121, v188
	v_add_f32_e32 v77, v77, v78
	v_mul_f32_e32 v78, v116, v182
	v_fmac_f32_e32 v126, v122, v187
	v_fma_f32 v78, v115, v181, -v78
	v_add_f32_e32 v129, v125, v126
	ds_read2_b64 v[125:128], v76 offset0:67 offset1:68
	v_add_f32_e32 v77, v77, v78
	v_mul_f32_e32 v78, v118, v184
	v_fma_f32 v78, v117, v183, -v78
	s_waitcnt vmcnt(16)
	v_mul_f32_e32 v130, v123, v190
	v_add_f32_e32 v77, v77, v78
	v_mul_f32_e32 v78, v120, v186
	v_fmac_f32_e32 v130, v124, v189
	v_fma_f32 v78, v119, v185, -v78
	v_add_f32_e32 v133, v129, v130
	ds_read2_b64 v[129:132], v76 offset0:69 offset1:70
	v_add_f32_e32 v77, v77, v78
	v_mul_f32_e32 v78, v122, v188
	s_waitcnt vmcnt(14) lgkmcnt(1)
	v_mul_f32_e32 v134, v125, v192
	v_fma_f32 v78, v121, v187, -v78
	v_fmac_f32_e32 v134, v126, v191
	v_add_f32_e32 v77, v77, v78
	v_mul_f32_e32 v78, v124, v190
	v_add_f32_e32 v133, v133, v134
	s_waitcnt vmcnt(12)
	v_mul_f32_e32 v134, v127, v194
	v_fma_f32 v78, v123, v189, -v78
	v_fmac_f32_e32 v134, v128, v193
	v_add_f32_e32 v77, v77, v78
	v_mul_f32_e32 v78, v126, v192
	v_add_f32_e32 v133, v133, v134
	s_waitcnt vmcnt(10) lgkmcnt(0)
	v_mul_f32_e32 v134, v129, v196
	v_fma_f32 v78, v125, v191, -v78
	v_fmac_f32_e32 v134, v130, v195
	v_add_f32_e32 v77, v77, v78
	v_mul_f32_e32 v78, v128, v194
	v_add_f32_e32 v137, v133, v134
	ds_read2_b64 v[133:136], v76 offset0:71 offset1:72
	v_fma_f32 v78, v127, v193, -v78
	v_add_f32_e32 v77, v77, v78
	v_mul_f32_e32 v78, v130, v196
	s_waitcnt vmcnt(8)
	v_mul_f32_e32 v138, v131, v198
	v_fma_f32 v78, v129, v195, -v78
	v_fmac_f32_e32 v138, v132, v197
	v_add_f32_e32 v77, v77, v78
	v_mul_f32_e32 v78, v132, v198
	v_add_f32_e32 v207, v137, v138
	ds_read2_b64 v[137:140], v76 offset0:73 offset1:74
	v_fma_f32 v78, v131, v197, -v78
	v_add_f32_e32 v77, v77, v78
	s_waitcnt vmcnt(6) lgkmcnt(1)
	v_mul_f32_e32 v78, v134, v200
	v_mul_f32_e32 v76, v133, v200
	v_fma_f32 v78, v133, v199, -v78
	v_fmac_f32_e32 v76, v134, v199
	v_add_f32_e32 v77, v77, v78
	s_waitcnt vmcnt(5)
	v_mul_f32_e32 v78, v136, v201
	v_add_f32_e32 v76, v207, v76
	v_mul_f32_e32 v207, v135, v201
	s_waitcnt vmcnt(4)
	v_fma_f32 v78, v135, v202, -v78
	v_fmac_f32_e32 v207, v136, v202
	v_add_f32_e32 v77, v77, v78
	s_waitcnt vmcnt(2) lgkmcnt(0)
	v_mul_f32_e32 v78, v138, v204
	v_add_f32_e32 v76, v76, v207
	v_mul_f32_e32 v207, v137, v204
	v_fma_f32 v78, v137, v203, -v78
	v_fmac_f32_e32 v207, v138, v203
	v_add_f32_e32 v77, v77, v78
	s_waitcnt vmcnt(0)
	v_mul_f32_e32 v78, v140, v206
	v_add_f32_e32 v76, v76, v207
	v_mul_f32_e32 v207, v139, v206
	v_fma_f32 v78, v139, v205, -v78
	v_fmac_f32_e32 v207, v140, v205
	v_add_f32_e32 v77, v77, v78
	v_add_f32_e32 v76, v76, v207
	v_sub_f32_e32 v77, v161, v77
	v_sub_f32_e32 v76, v162, v76
	buffer_store_dword v77, off, s[0:3], 0 offset:32
	buffer_store_dword v76, off, s[0:3], 0 offset:36
	s_and_saveexec_b64 s[4:5], vcc
	s_cbranch_execz .LBB36_229
; %bb.228:
	buffer_load_dword v76, off, s[0:3], 0 offset:24
	buffer_load_dword v77, off, s[0:3], 0 offset:28
	v_mov_b32_e32 v78, 0
	buffer_store_dword v78, off, s[0:3], 0 offset:24
	buffer_store_dword v78, off, s[0:3], 0 offset:28
	s_waitcnt vmcnt(2)
	ds_write_b64 v75, v[76:77]
.LBB36_229:
	s_or_b64 exec, exec, s[4:5]
	s_waitcnt lgkmcnt(0)
	; wave barrier
	buffer_load_dword v143, off, s[0:3], 0 offset:36
	buffer_load_dword v144, off, s[0:3], 0 offset:44
	;; [unrolled: 1-line block ×58, first 2 shown]
	v_mov_b32_e32 v76, 0
	ds_read_b128 v[77:80], v76 offset:336
	ds_read_b128 v[81:84], v76 offset:352
	ds_read_b128 v[85:88], v76 offset:368
	ds_read_b128 v[89:92], v76 offset:384
	ds_read_b128 v[93:96], v76 offset:400
	buffer_load_dword v201, off, s[0:3], 0 offset:256
	buffer_load_dword v202, off, s[0:3], 0 offset:260
	v_cmp_lt_u32_e32 vcc, 2, v0
	s_waitcnt vmcnt(59) lgkmcnt(4)
	v_mul_f32_e32 v97, v77, v143
	s_waitcnt vmcnt(58)
	v_mul_f32_e32 v98, v79, v144
	s_waitcnt vmcnt(57) lgkmcnt(3)
	v_mul_f32_e32 v99, v81, v145
	s_waitcnt vmcnt(56)
	v_mul_f32_e32 v100, v83, v146
	;; [unrolled: 4-line block ×4, first 2 shown]
	s_waitcnt vmcnt(51)
	v_fmac_f32_e32 v97, v78, v151
	s_waitcnt vmcnt(50)
	v_fmac_f32_e32 v98, v80, v152
	v_add_f32_e32 v97, 0, v97
	s_waitcnt vmcnt(49)
	v_fmac_f32_e32 v99, v82, v153
	v_add_f32_e32 v97, v97, v98
	;; [unrolled: 3-line block ×7, first 2 shown]
	v_add_f32_e32 v101, v97, v104
	ds_read_b128 v[97:100], v76 offset:416
	buffer_load_dword v203, off, s[0:3], 0 offset:268
	buffer_load_dword v204, off, s[0:3], 0 offset:264
	;; [unrolled: 1-line block ×8, first 2 shown]
	s_waitcnt vmcnt(51) lgkmcnt(1)
	v_mul_f32_e32 v102, v93, v159
	s_waitcnt vmcnt(50)
	v_fmac_f32_e32 v102, v94, v160
	v_mul_f32_e32 v78, v78, v143
	v_add_f32_e32 v101, v101, v102
	s_waitcnt vmcnt(49)
	v_mul_f32_e32 v102, v95, v161
	v_fma_f32 v77, v77, v151, -v78
	v_mul_f32_e32 v78, v80, v144
	s_waitcnt vmcnt(46)
	v_fmac_f32_e32 v102, v96, v164
	v_add_f32_e32 v77, 0, v77
	v_fma_f32 v78, v79, v152, -v78
	v_add_f32_e32 v101, v101, v102
	s_waitcnt vmcnt(44) lgkmcnt(0)
	v_mul_f32_e32 v102, v97, v166
	v_add_f32_e32 v77, v77, v78
	v_mul_f32_e32 v78, v82, v145
	v_fmac_f32_e32 v102, v98, v165
	v_fma_f32 v78, v81, v153, -v78
	v_add_f32_e32 v105, v101, v102
	ds_read_b128 v[101:104], v76 offset:432
	v_add_f32_e32 v77, v77, v78
	v_mul_f32_e32 v78, v84, v146
	v_fma_f32 v78, v83, v154, -v78
	s_waitcnt vmcnt(42)
	v_mul_f32_e32 v106, v99, v168
	v_add_f32_e32 v77, v77, v78
	v_mul_f32_e32 v78, v86, v147
	v_fmac_f32_e32 v106, v100, v167
	v_fma_f32 v78, v85, v155, -v78
	v_add_f32_e32 v109, v105, v106
	ds_read_b128 v[105:108], v76 offset:448
	v_add_f32_e32 v77, v77, v78
	v_mul_f32_e32 v78, v88, v148
	s_waitcnt vmcnt(40) lgkmcnt(1)
	v_mul_f32_e32 v110, v101, v170
	v_fma_f32 v78, v87, v156, -v78
	v_fmac_f32_e32 v110, v102, v169
	v_add_f32_e32 v77, v77, v78
	v_mul_f32_e32 v78, v90, v149
	v_add_f32_e32 v109, v109, v110
	s_waitcnt vmcnt(38)
	v_mul_f32_e32 v110, v103, v172
	v_fma_f32 v78, v89, v157, -v78
	v_fmac_f32_e32 v110, v104, v171
	v_add_f32_e32 v77, v77, v78
	v_mul_f32_e32 v78, v92, v150
	v_add_f32_e32 v109, v109, v110
	s_waitcnt vmcnt(36) lgkmcnt(0)
	v_mul_f32_e32 v110, v105, v174
	v_fma_f32 v78, v91, v158, -v78
	v_fmac_f32_e32 v110, v106, v173
	v_add_f32_e32 v77, v77, v78
	v_mul_f32_e32 v78, v94, v159
	v_add_f32_e32 v113, v109, v110
	ds_read_b128 v[109:112], v76 offset:464
	v_fma_f32 v78, v93, v160, -v78
	v_add_f32_e32 v77, v77, v78
	v_mul_f32_e32 v78, v96, v161
	s_waitcnt vmcnt(34)
	v_mul_f32_e32 v114, v107, v176
	v_fma_f32 v78, v95, v164, -v78
	v_fmac_f32_e32 v114, v108, v175
	v_add_f32_e32 v77, v77, v78
	v_mul_f32_e32 v78, v98, v166
	v_add_f32_e32 v117, v113, v114
	ds_read_b128 v[113:116], v76 offset:480
	v_fma_f32 v78, v97, v165, -v78
	s_waitcnt vmcnt(32) lgkmcnt(1)
	v_mul_f32_e32 v118, v109, v178
	v_add_f32_e32 v77, v77, v78
	v_mul_f32_e32 v78, v100, v168
	v_fmac_f32_e32 v118, v110, v177
	v_fma_f32 v78, v99, v167, -v78
	v_add_f32_e32 v117, v117, v118
	s_waitcnt vmcnt(30)
	v_mul_f32_e32 v118, v111, v180
	v_add_f32_e32 v77, v77, v78
	v_mul_f32_e32 v78, v102, v170
	v_fmac_f32_e32 v118, v112, v179
	v_fma_f32 v78, v101, v169, -v78
	v_add_f32_e32 v117, v117, v118
	s_waitcnt vmcnt(28) lgkmcnt(0)
	v_mul_f32_e32 v118, v113, v182
	v_add_f32_e32 v77, v77, v78
	v_mul_f32_e32 v78, v104, v172
	v_fmac_f32_e32 v118, v114, v181
	v_fma_f32 v78, v103, v171, -v78
	v_add_f32_e32 v121, v117, v118
	ds_read_b128 v[117:120], v76 offset:496
	v_add_f32_e32 v77, v77, v78
	v_mul_f32_e32 v78, v106, v174
	v_fma_f32 v78, v105, v173, -v78
	s_waitcnt vmcnt(26)
	v_mul_f32_e32 v122, v115, v184
	v_add_f32_e32 v77, v77, v78
	v_mul_f32_e32 v78, v108, v176
	v_fmac_f32_e32 v122, v116, v183
	v_fma_f32 v78, v107, v175, -v78
	v_add_f32_e32 v125, v121, v122
	ds_read_b128 v[121:124], v76 offset:512
	v_add_f32_e32 v77, v77, v78
	v_mul_f32_e32 v78, v110, v178
	s_waitcnt vmcnt(24) lgkmcnt(1)
	v_mul_f32_e32 v126, v117, v186
	v_fma_f32 v78, v109, v177, -v78
	v_fmac_f32_e32 v126, v118, v185
	v_add_f32_e32 v77, v77, v78
	v_mul_f32_e32 v78, v112, v180
	v_add_f32_e32 v125, v125, v126
	s_waitcnt vmcnt(22)
	v_mul_f32_e32 v126, v119, v188
	v_fma_f32 v78, v111, v179, -v78
	v_fmac_f32_e32 v126, v120, v187
	v_add_f32_e32 v77, v77, v78
	v_mul_f32_e32 v78, v114, v182
	v_add_f32_e32 v125, v125, v126
	s_waitcnt vmcnt(20) lgkmcnt(0)
	v_mul_f32_e32 v126, v121, v190
	v_fma_f32 v78, v113, v181, -v78
	v_fmac_f32_e32 v126, v122, v189
	v_add_f32_e32 v77, v77, v78
	v_mul_f32_e32 v78, v116, v184
	v_add_f32_e32 v129, v125, v126
	ds_read_b128 v[125:128], v76 offset:528
	v_fma_f32 v78, v115, v183, -v78
	v_add_f32_e32 v77, v77, v78
	v_mul_f32_e32 v78, v118, v186
	s_waitcnt vmcnt(18)
	v_mul_f32_e32 v130, v123, v192
	v_fma_f32 v78, v117, v185, -v78
	v_fmac_f32_e32 v130, v124, v191
	v_add_f32_e32 v77, v77, v78
	v_mul_f32_e32 v78, v120, v188
	v_add_f32_e32 v133, v129, v130
	ds_read_b128 v[129:132], v76 offset:544
	v_fma_f32 v78, v119, v187, -v78
	s_waitcnt vmcnt(16) lgkmcnt(1)
	v_mul_f32_e32 v134, v125, v194
	v_add_f32_e32 v77, v77, v78
	v_mul_f32_e32 v78, v122, v190
	v_fmac_f32_e32 v134, v126, v193
	v_fma_f32 v78, v121, v189, -v78
	v_add_f32_e32 v133, v133, v134
	s_waitcnt vmcnt(14)
	v_mul_f32_e32 v134, v127, v196
	v_add_f32_e32 v77, v77, v78
	v_mul_f32_e32 v78, v124, v192
	v_fmac_f32_e32 v134, v128, v195
	v_fma_f32 v78, v123, v191, -v78
	v_add_f32_e32 v133, v133, v134
	s_waitcnt vmcnt(12) lgkmcnt(0)
	v_mul_f32_e32 v134, v129, v198
	v_add_f32_e32 v77, v77, v78
	v_mul_f32_e32 v78, v126, v194
	v_fmac_f32_e32 v134, v130, v197
	v_fma_f32 v78, v125, v193, -v78
	v_add_f32_e32 v137, v133, v134
	ds_read_b128 v[133:136], v76 offset:560
	v_add_f32_e32 v77, v77, v78
	v_mul_f32_e32 v78, v128, v196
	v_fma_f32 v78, v127, v195, -v78
	v_add_f32_e32 v77, v77, v78
	v_mul_f32_e32 v78, v130, v198
	s_waitcnt vmcnt(10)
	v_mul_f32_e32 v138, v131, v200
	v_fma_f32 v78, v129, v197, -v78
	v_fmac_f32_e32 v138, v132, v199
	v_add_f32_e32 v77, v77, v78
	v_mul_f32_e32 v78, v132, v200
	v_add_f32_e32 v141, v137, v138
	ds_read_b128 v[137:140], v76 offset:576
	s_waitcnt vmcnt(8) lgkmcnt(1)
	v_mul_f32_e32 v142, v133, v202
	v_fma_f32 v78, v131, v199, -v78
	v_fmac_f32_e32 v142, v134, v201
	v_add_f32_e32 v77, v77, v78
	v_mul_f32_e32 v78, v134, v202
	v_add_f32_e32 v141, v141, v142
	s_waitcnt vmcnt(7)
	v_mul_f32_e32 v142, v135, v203
	v_fma_f32 v78, v133, v201, -v78
	s_waitcnt vmcnt(6)
	v_fmac_f32_e32 v142, v136, v204
	v_add_f32_e32 v77, v77, v78
	v_mul_f32_e32 v78, v136, v203
	v_add_f32_e32 v211, v141, v142
	ds_read_b64 v[141:142], v76 offset:592
	v_fma_f32 v78, v135, v204, -v78
	v_add_f32_e32 v77, v77, v78
	s_waitcnt vmcnt(4) lgkmcnt(1)
	v_mul_f32_e32 v78, v138, v206
	v_mul_f32_e32 v212, v137, v206
	v_fma_f32 v78, v137, v205, -v78
	v_fmac_f32_e32 v212, v138, v205
	v_add_f32_e32 v77, v77, v78
	s_waitcnt vmcnt(3)
	v_mul_f32_e32 v78, v140, v207
	v_add_f32_e32 v211, v211, v212
	v_mul_f32_e32 v212, v139, v207
	s_waitcnt vmcnt(2)
	v_fma_f32 v78, v139, v208, -v78
	v_fmac_f32_e32 v212, v140, v208
	v_add_f32_e32 v77, v77, v78
	s_waitcnt vmcnt(0) lgkmcnt(0)
	v_mul_f32_e32 v78, v142, v210
	v_add_f32_e32 v211, v211, v212
	v_mul_f32_e32 v212, v141, v210
	v_fma_f32 v78, v141, v209, -v78
	v_fmac_f32_e32 v212, v142, v209
	v_add_f32_e32 v77, v77, v78
	v_add_f32_e32 v211, v211, v212
	v_sub_f32_e32 v77, v162, v77
	v_sub_f32_e32 v78, v163, v211
	buffer_store_dword v77, off, s[0:3], 0 offset:24
	buffer_store_dword v78, off, s[0:3], 0 offset:28
	s_and_saveexec_b64 s[4:5], vcc
	s_cbranch_execz .LBB36_231
; %bb.230:
	buffer_load_dword v77, off, s[0:3], 0 offset:16
	buffer_load_dword v78, off, s[0:3], 0 offset:20
	s_waitcnt vmcnt(0)
	ds_write_b64 v75, v[77:78]
	buffer_store_dword v76, off, s[0:3], 0 offset:16
	buffer_store_dword v76, off, s[0:3], 0 offset:20
.LBB36_231:
	s_or_b64 exec, exec, s[4:5]
	s_waitcnt lgkmcnt(0)
	; wave barrier
	buffer_load_dword v145, off, s[0:3], 0 offset:28
	buffer_load_dword v146, off, s[0:3], 0 offset:36
	;; [unrolled: 1-line block ×24, first 2 shown]
	ds_read2_b64 v[77:80], v76 offset0:41 offset1:42
	ds_read2_b64 v[81:84], v76 offset0:43 offset1:44
	;; [unrolled: 1-line block ×6, first 2 shown]
	buffer_load_dword v169, off, s[0:3], 0 offset:116
	buffer_load_dword v170, off, s[0:3], 0 offset:112
	;; [unrolled: 1-line block ×46, first 2 shown]
	v_cmp_lt_u32_e32 vcc, 1, v0
	s_waitcnt vmcnt(62) lgkmcnt(5)
	v_mul_f32_e32 v101, v77, v145
	v_mul_f32_e32 v102, v79, v146
	s_waitcnt lgkmcnt(4)
	v_mul_f32_e32 v103, v81, v147
	v_mul_f32_e32 v104, v83, v148
	s_waitcnt lgkmcnt(3)
	;; [unrolled: 3-line block ×3, first 2 shown]
	v_mul_f32_e32 v107, v89, v151
	v_mul_f32_e32 v108, v91, v152
	s_waitcnt vmcnt(61)
	v_fmac_f32_e32 v101, v78, v153
	s_waitcnt vmcnt(60)
	v_fmac_f32_e32 v102, v80, v154
	v_add_f32_e32 v101, 0, v101
	s_waitcnt vmcnt(59)
	v_fmac_f32_e32 v103, v82, v155
	v_add_f32_e32 v101, v101, v102
	;; [unrolled: 3-line block ×7, first 2 shown]
	s_waitcnt vmcnt(53) lgkmcnt(1)
	v_mul_f32_e32 v102, v93, v161
	v_add_f32_e32 v101, v101, v108
	s_waitcnt vmcnt(52)
	v_fmac_f32_e32 v102, v94, v162
	v_mul_f32_e32 v78, v78, v145
	v_add_f32_e32 v101, v101, v102
	s_waitcnt vmcnt(51)
	v_mul_f32_e32 v102, v95, v163
	v_fma_f32 v77, v77, v153, -v78
	v_mul_f32_e32 v78, v80, v146
	s_waitcnt vmcnt(50)
	v_fmac_f32_e32 v102, v96, v164
	v_add_f32_e32 v77, 0, v77
	v_fma_f32 v78, v79, v154, -v78
	v_add_f32_e32 v101, v101, v102
	s_waitcnt vmcnt(47) lgkmcnt(0)
	v_mul_f32_e32 v102, v97, v167
	v_add_f32_e32 v77, v77, v78
	v_mul_f32_e32 v78, v82, v147
	s_waitcnt vmcnt(46)
	v_fmac_f32_e32 v102, v98, v168
	v_fma_f32 v78, v81, v155, -v78
	v_add_f32_e32 v105, v101, v102
	ds_read2_b64 v[101:104], v76 offset0:53 offset1:54
	v_add_f32_e32 v77, v77, v78
	v_mul_f32_e32 v78, v84, v148
	v_fma_f32 v78, v83, v156, -v78
	s_waitcnt vmcnt(45)
	v_mul_f32_e32 v106, v99, v169
	v_add_f32_e32 v77, v77, v78
	v_mul_f32_e32 v78, v86, v149
	s_waitcnt vmcnt(44)
	v_fmac_f32_e32 v106, v100, v170
	v_fma_f32 v78, v85, v157, -v78
	v_add_f32_e32 v109, v105, v106
	ds_read2_b64 v[105:108], v76 offset0:55 offset1:56
	v_add_f32_e32 v77, v77, v78
	v_mul_f32_e32 v78, v88, v150
	s_waitcnt vmcnt(42) lgkmcnt(1)
	v_mul_f32_e32 v110, v101, v172
	v_fma_f32 v78, v87, v158, -v78
	v_fmac_f32_e32 v110, v102, v171
	v_add_f32_e32 v77, v77, v78
	v_mul_f32_e32 v78, v90, v151
	v_add_f32_e32 v109, v109, v110
	s_waitcnt vmcnt(40)
	v_mul_f32_e32 v110, v103, v174
	v_fma_f32 v78, v89, v159, -v78
	v_fmac_f32_e32 v110, v104, v173
	v_add_f32_e32 v77, v77, v78
	v_mul_f32_e32 v78, v92, v152
	v_add_f32_e32 v109, v109, v110
	s_waitcnt vmcnt(38) lgkmcnt(0)
	v_mul_f32_e32 v110, v105, v176
	v_fma_f32 v78, v91, v160, -v78
	v_fmac_f32_e32 v110, v106, v175
	v_add_f32_e32 v77, v77, v78
	v_mul_f32_e32 v78, v94, v161
	v_add_f32_e32 v113, v109, v110
	ds_read2_b64 v[109:112], v76 offset0:57 offset1:58
	v_fma_f32 v78, v93, v162, -v78
	v_add_f32_e32 v77, v77, v78
	v_mul_f32_e32 v78, v96, v163
	s_waitcnt vmcnt(36)
	v_mul_f32_e32 v114, v107, v178
	v_fma_f32 v78, v95, v164, -v78
	v_fmac_f32_e32 v114, v108, v177
	v_add_f32_e32 v77, v77, v78
	v_mul_f32_e32 v78, v98, v167
	v_add_f32_e32 v117, v113, v114
	ds_read2_b64 v[113:116], v76 offset0:59 offset1:60
	v_fma_f32 v78, v97, v168, -v78
	s_waitcnt vmcnt(34) lgkmcnt(1)
	v_mul_f32_e32 v118, v109, v180
	v_add_f32_e32 v77, v77, v78
	v_mul_f32_e32 v78, v100, v169
	v_fmac_f32_e32 v118, v110, v179
	v_fma_f32 v78, v99, v170, -v78
	v_add_f32_e32 v117, v117, v118
	s_waitcnt vmcnt(32)
	v_mul_f32_e32 v118, v111, v182
	v_add_f32_e32 v77, v77, v78
	v_mul_f32_e32 v78, v102, v172
	v_fmac_f32_e32 v118, v112, v181
	v_fma_f32 v78, v101, v171, -v78
	v_add_f32_e32 v117, v117, v118
	s_waitcnt vmcnt(30) lgkmcnt(0)
	v_mul_f32_e32 v118, v113, v184
	v_add_f32_e32 v77, v77, v78
	v_mul_f32_e32 v78, v104, v174
	v_fmac_f32_e32 v118, v114, v183
	v_fma_f32 v78, v103, v173, -v78
	v_add_f32_e32 v121, v117, v118
	ds_read2_b64 v[117:120], v76 offset0:61 offset1:62
	v_add_f32_e32 v77, v77, v78
	v_mul_f32_e32 v78, v106, v176
	v_fma_f32 v78, v105, v175, -v78
	s_waitcnt vmcnt(28)
	v_mul_f32_e32 v122, v115, v186
	v_add_f32_e32 v77, v77, v78
	v_mul_f32_e32 v78, v108, v178
	v_fmac_f32_e32 v122, v116, v185
	v_fma_f32 v78, v107, v177, -v78
	v_add_f32_e32 v125, v121, v122
	ds_read2_b64 v[121:124], v76 offset0:63 offset1:64
	v_add_f32_e32 v77, v77, v78
	v_mul_f32_e32 v78, v110, v180
	s_waitcnt vmcnt(26) lgkmcnt(1)
	v_mul_f32_e32 v126, v117, v188
	v_fma_f32 v78, v109, v179, -v78
	v_fmac_f32_e32 v126, v118, v187
	v_add_f32_e32 v77, v77, v78
	v_mul_f32_e32 v78, v112, v182
	v_add_f32_e32 v125, v125, v126
	s_waitcnt vmcnt(24)
	v_mul_f32_e32 v126, v119, v190
	v_fma_f32 v78, v111, v181, -v78
	v_fmac_f32_e32 v126, v120, v189
	v_add_f32_e32 v77, v77, v78
	v_mul_f32_e32 v78, v114, v184
	v_add_f32_e32 v125, v125, v126
	s_waitcnt vmcnt(22) lgkmcnt(0)
	v_mul_f32_e32 v126, v121, v192
	v_fma_f32 v78, v113, v183, -v78
	v_fmac_f32_e32 v126, v122, v191
	v_add_f32_e32 v77, v77, v78
	v_mul_f32_e32 v78, v116, v186
	v_add_f32_e32 v129, v125, v126
	ds_read2_b64 v[125:128], v76 offset0:65 offset1:66
	v_fma_f32 v78, v115, v185, -v78
	v_add_f32_e32 v77, v77, v78
	v_mul_f32_e32 v78, v118, v188
	s_waitcnt vmcnt(20)
	v_mul_f32_e32 v130, v123, v194
	v_fma_f32 v78, v117, v187, -v78
	v_fmac_f32_e32 v130, v124, v193
	v_add_f32_e32 v77, v77, v78
	v_mul_f32_e32 v78, v120, v190
	v_add_f32_e32 v133, v129, v130
	ds_read2_b64 v[129:132], v76 offset0:67 offset1:68
	v_fma_f32 v78, v119, v189, -v78
	s_waitcnt vmcnt(18) lgkmcnt(1)
	v_mul_f32_e32 v134, v125, v196
	v_add_f32_e32 v77, v77, v78
	v_mul_f32_e32 v78, v122, v192
	v_fmac_f32_e32 v134, v126, v195
	v_fma_f32 v78, v121, v191, -v78
	v_add_f32_e32 v133, v133, v134
	s_waitcnt vmcnt(16)
	v_mul_f32_e32 v134, v127, v198
	v_add_f32_e32 v77, v77, v78
	v_mul_f32_e32 v78, v124, v194
	v_fmac_f32_e32 v134, v128, v197
	v_fma_f32 v78, v123, v193, -v78
	v_add_f32_e32 v133, v133, v134
	s_waitcnt vmcnt(14) lgkmcnt(0)
	v_mul_f32_e32 v134, v129, v200
	v_add_f32_e32 v77, v77, v78
	v_mul_f32_e32 v78, v126, v196
	v_fmac_f32_e32 v134, v130, v199
	v_fma_f32 v78, v125, v195, -v78
	v_add_f32_e32 v137, v133, v134
	ds_read2_b64 v[133:136], v76 offset0:69 offset1:70
	v_add_f32_e32 v77, v77, v78
	v_mul_f32_e32 v78, v128, v198
	v_fma_f32 v78, v127, v197, -v78
	v_add_f32_e32 v77, v77, v78
	v_mul_f32_e32 v78, v130, v200
	s_waitcnt vmcnt(12)
	v_mul_f32_e32 v138, v131, v202
	v_fma_f32 v78, v129, v199, -v78
	v_fmac_f32_e32 v138, v132, v201
	v_add_f32_e32 v77, v77, v78
	v_mul_f32_e32 v78, v132, v202
	v_add_f32_e32 v141, v137, v138
	ds_read2_b64 v[137:140], v76 offset0:71 offset1:72
	s_waitcnt vmcnt(10) lgkmcnt(1)
	v_mul_f32_e32 v142, v133, v204
	v_fma_f32 v78, v131, v201, -v78
	v_fmac_f32_e32 v142, v134, v203
	v_add_f32_e32 v77, v77, v78
	v_mul_f32_e32 v78, v134, v204
	v_add_f32_e32 v141, v141, v142
	s_waitcnt vmcnt(9)
	v_mul_f32_e32 v142, v135, v205
	v_fma_f32 v78, v133, v203, -v78
	s_waitcnt vmcnt(8)
	v_fmac_f32_e32 v142, v136, v206
	v_add_f32_e32 v77, v77, v78
	v_mul_f32_e32 v78, v136, v205
	v_add_f32_e32 v215, v141, v142
	ds_read2_b64 v[141:144], v76 offset0:73 offset1:74
	v_fma_f32 v78, v135, v206, -v78
	v_add_f32_e32 v77, v77, v78
	s_waitcnt vmcnt(6) lgkmcnt(1)
	v_mul_f32_e32 v78, v138, v208
	v_mul_f32_e32 v216, v137, v208
	v_fma_f32 v78, v137, v207, -v78
	v_fmac_f32_e32 v216, v138, v207
	v_add_f32_e32 v77, v77, v78
	s_waitcnt vmcnt(4)
	v_mul_f32_e32 v78, v140, v210
	v_add_f32_e32 v76, v215, v216
	v_mul_f32_e32 v215, v139, v210
	v_fma_f32 v78, v139, v209, -v78
	v_fmac_f32_e32 v215, v140, v209
	v_add_f32_e32 v77, v77, v78
	s_waitcnt vmcnt(3) lgkmcnt(0)
	v_mul_f32_e32 v78, v142, v211
	v_add_f32_e32 v76, v76, v215
	v_mul_f32_e32 v215, v141, v211
	s_waitcnt vmcnt(2)
	v_fma_f32 v78, v141, v212, -v78
	v_fmac_f32_e32 v215, v142, v212
	v_add_f32_e32 v77, v77, v78
	s_waitcnt vmcnt(0)
	v_mul_f32_e32 v78, v144, v214
	v_add_f32_e32 v76, v76, v215
	v_mul_f32_e32 v215, v143, v214
	v_fma_f32 v78, v143, v213, -v78
	v_fmac_f32_e32 v215, v144, v213
	v_add_f32_e32 v77, v77, v78
	v_add_f32_e32 v76, v76, v215
	v_sub_f32_e32 v77, v165, v77
	v_sub_f32_e32 v76, v166, v76
	buffer_store_dword v77, off, s[0:3], 0 offset:16
	buffer_store_dword v76, off, s[0:3], 0 offset:20
	s_and_saveexec_b64 s[4:5], vcc
	s_cbranch_execz .LBB36_233
; %bb.232:
	buffer_load_dword v76, off, s[0:3], 0 offset:8
	buffer_load_dword v77, off, s[0:3], 0 offset:12
	v_mov_b32_e32 v78, 0
	buffer_store_dword v78, off, s[0:3], 0 offset:8
	buffer_store_dword v78, off, s[0:3], 0 offset:12
	s_waitcnt vmcnt(2)
	ds_write_b64 v75, v[76:77]
.LBB36_233:
	s_or_b64 exec, exec, s[4:5]
	s_waitcnt lgkmcnt(0)
	; wave barrier
	buffer_load_dword v147, off, s[0:3], 0 offset:20
	buffer_load_dword v148, off, s[0:3], 0 offset:28
	;; [unrolled: 1-line block ×56, first 2 shown]
	v_mov_b32_e32 v76, 0
	ds_read_b128 v[77:80], v76 offset:320
	ds_read_b128 v[81:84], v76 offset:336
	;; [unrolled: 1-line block ×6, first 2 shown]
	buffer_load_dword v203, off, s[0:3], 0 offset:232
	buffer_load_dword v204, off, s[0:3], 0 offset:236
	;; [unrolled: 1-line block ×12, first 2 shown]
	v_cmp_ne_u32_e32 vcc, 0, v0
	s_waitcnt vmcnt(62) lgkmcnt(5)
	v_mul_f32_e32 v101, v77, v147
	v_mul_f32_e32 v102, v79, v148
	s_waitcnt lgkmcnt(4)
	v_mul_f32_e32 v103, v81, v149
	v_mul_f32_e32 v104, v83, v150
	s_waitcnt lgkmcnt(3)
	v_mul_f32_e32 v105, v85, v151
	v_mul_f32_e32 v106, v87, v152
	s_waitcnt vmcnt(61) lgkmcnt(2)
	v_mul_f32_e32 v107, v89, v153
	s_waitcnt vmcnt(60)
	v_mul_f32_e32 v108, v91, v154
	s_waitcnt vmcnt(59) lgkmcnt(1)
	v_mul_f32_e32 v109, v93, v155
	s_waitcnt vmcnt(58)
	v_fmac_f32_e32 v101, v78, v156
	s_waitcnt vmcnt(57)
	v_fmac_f32_e32 v102, v80, v157
	v_add_f32_e32 v101, 0, v101
	s_waitcnt vmcnt(56)
	v_fmac_f32_e32 v103, v82, v158
	v_add_f32_e32 v101, v101, v102
	;; [unrolled: 3-line block ×7, first 2 shown]
	v_add_f32_e32 v101, v101, v108
	s_waitcnt vmcnt(50)
	v_fmac_f32_e32 v109, v94, v164
	s_waitcnt vmcnt(49)
	v_mul_f32_e32 v102, v95, v165
	v_add_f32_e32 v101, v101, v109
	s_waitcnt vmcnt(48)
	v_fmac_f32_e32 v102, v96, v166
	v_add_f32_e32 v101, v101, v102
	s_waitcnt vmcnt(47) lgkmcnt(0)
	v_mul_f32_e32 v102, v97, v167
	s_waitcnt vmcnt(44)
	v_fmac_f32_e32 v102, v98, v170
	v_add_f32_e32 v105, v101, v102
	ds_read_b128 v[101:104], v76 offset:416
	buffer_load_dword v215, off, s[0:3], 0 offset:284
	buffer_load_dword v216, off, s[0:3], 0 offset:280
	;; [unrolled: 1-line block ×4, first 2 shown]
	v_mul_f32_e32 v78, v78, v147
	v_fma_f32 v77, v77, v156, -v78
	v_mul_f32_e32 v78, v80, v148
	v_add_f32_e32 v77, 0, v77
	v_fma_f32 v78, v79, v157, -v78
	v_add_f32_e32 v77, v77, v78
	v_mul_f32_e32 v78, v82, v149
	v_fma_f32 v78, v81, v158, -v78
	s_waitcnt vmcnt(46)
	v_mul_f32_e32 v106, v99, v172
	v_add_f32_e32 v77, v77, v78
	v_mul_f32_e32 v78, v84, v150
	v_fmac_f32_e32 v106, v100, v171
	v_fma_f32 v78, v83, v159, -v78
	v_add_f32_e32 v109, v105, v106
	ds_read_b128 v[105:108], v76 offset:432
	v_add_f32_e32 v77, v77, v78
	v_mul_f32_e32 v78, v86, v151
	s_waitcnt vmcnt(44) lgkmcnt(1)
	v_mul_f32_e32 v110, v101, v174
	v_fma_f32 v78, v85, v160, -v78
	v_fmac_f32_e32 v110, v102, v173
	v_add_f32_e32 v77, v77, v78
	v_mul_f32_e32 v78, v88, v152
	v_add_f32_e32 v109, v109, v110
	s_waitcnt vmcnt(42)
	v_mul_f32_e32 v110, v103, v176
	v_fma_f32 v78, v87, v161, -v78
	v_fmac_f32_e32 v110, v104, v175
	v_add_f32_e32 v77, v77, v78
	v_mul_f32_e32 v78, v90, v153
	v_add_f32_e32 v109, v109, v110
	s_waitcnt vmcnt(40) lgkmcnt(0)
	v_mul_f32_e32 v110, v105, v178
	v_fma_f32 v78, v89, v162, -v78
	v_fmac_f32_e32 v110, v106, v177
	v_add_f32_e32 v77, v77, v78
	v_mul_f32_e32 v78, v92, v154
	v_add_f32_e32 v113, v109, v110
	ds_read_b128 v[109:112], v76 offset:448
	v_fma_f32 v78, v91, v163, -v78
	v_add_f32_e32 v77, v77, v78
	v_mul_f32_e32 v78, v94, v155
	s_waitcnt vmcnt(38)
	v_mul_f32_e32 v114, v107, v180
	v_fma_f32 v78, v93, v164, -v78
	v_fmac_f32_e32 v114, v108, v179
	v_add_f32_e32 v77, v77, v78
	v_mul_f32_e32 v78, v96, v165
	v_add_f32_e32 v117, v113, v114
	ds_read_b128 v[113:116], v76 offset:464
	v_fma_f32 v78, v95, v166, -v78
	s_waitcnt vmcnt(36) lgkmcnt(1)
	v_mul_f32_e32 v118, v109, v182
	v_add_f32_e32 v77, v77, v78
	v_mul_f32_e32 v78, v98, v167
	v_fmac_f32_e32 v118, v110, v181
	v_fma_f32 v78, v97, v170, -v78
	v_add_f32_e32 v117, v117, v118
	s_waitcnt vmcnt(34)
	v_mul_f32_e32 v118, v111, v184
	v_add_f32_e32 v77, v77, v78
	v_mul_f32_e32 v78, v100, v172
	v_fmac_f32_e32 v118, v112, v183
	v_fma_f32 v78, v99, v171, -v78
	v_add_f32_e32 v117, v117, v118
	s_waitcnt vmcnt(32) lgkmcnt(0)
	v_mul_f32_e32 v118, v113, v186
	v_add_f32_e32 v77, v77, v78
	v_mul_f32_e32 v78, v102, v174
	v_fmac_f32_e32 v118, v114, v185
	v_fma_f32 v78, v101, v173, -v78
	v_add_f32_e32 v121, v117, v118
	ds_read_b128 v[117:120], v76 offset:480
	v_add_f32_e32 v77, v77, v78
	v_mul_f32_e32 v78, v104, v176
	v_fma_f32 v78, v103, v175, -v78
	s_waitcnt vmcnt(30)
	v_mul_f32_e32 v122, v115, v188
	v_add_f32_e32 v77, v77, v78
	v_mul_f32_e32 v78, v106, v178
	v_fmac_f32_e32 v122, v116, v187
	v_fma_f32 v78, v105, v177, -v78
	v_add_f32_e32 v125, v121, v122
	ds_read_b128 v[121:124], v76 offset:496
	v_add_f32_e32 v77, v77, v78
	v_mul_f32_e32 v78, v108, v180
	s_waitcnt vmcnt(28) lgkmcnt(1)
	v_mul_f32_e32 v126, v117, v190
	v_fma_f32 v78, v107, v179, -v78
	v_fmac_f32_e32 v126, v118, v189
	v_add_f32_e32 v77, v77, v78
	v_mul_f32_e32 v78, v110, v182
	v_add_f32_e32 v125, v125, v126
	s_waitcnt vmcnt(26)
	v_mul_f32_e32 v126, v119, v192
	v_fma_f32 v78, v109, v181, -v78
	v_fmac_f32_e32 v126, v120, v191
	v_add_f32_e32 v77, v77, v78
	v_mul_f32_e32 v78, v112, v184
	v_add_f32_e32 v125, v125, v126
	s_waitcnt vmcnt(24) lgkmcnt(0)
	v_mul_f32_e32 v126, v121, v194
	v_fma_f32 v78, v111, v183, -v78
	v_fmac_f32_e32 v126, v122, v193
	v_add_f32_e32 v77, v77, v78
	v_mul_f32_e32 v78, v114, v186
	v_add_f32_e32 v129, v125, v126
	ds_read_b128 v[125:128], v76 offset:512
	v_fma_f32 v78, v113, v185, -v78
	v_add_f32_e32 v77, v77, v78
	v_mul_f32_e32 v78, v116, v188
	s_waitcnt vmcnt(22)
	v_mul_f32_e32 v130, v123, v196
	v_fma_f32 v78, v115, v187, -v78
	v_fmac_f32_e32 v130, v124, v195
	v_add_f32_e32 v77, v77, v78
	v_mul_f32_e32 v78, v118, v190
	v_add_f32_e32 v133, v129, v130
	ds_read_b128 v[129:132], v76 offset:528
	v_fma_f32 v78, v117, v189, -v78
	s_waitcnt vmcnt(20) lgkmcnt(1)
	v_mul_f32_e32 v134, v125, v198
	v_add_f32_e32 v77, v77, v78
	v_mul_f32_e32 v78, v120, v192
	v_fmac_f32_e32 v134, v126, v197
	v_fma_f32 v78, v119, v191, -v78
	v_add_f32_e32 v133, v133, v134
	s_waitcnt vmcnt(18)
	v_mul_f32_e32 v134, v127, v200
	v_add_f32_e32 v77, v77, v78
	v_mul_f32_e32 v78, v122, v194
	v_fmac_f32_e32 v134, v128, v199
	v_fma_f32 v78, v121, v193, -v78
	v_add_f32_e32 v133, v133, v134
	s_waitcnt vmcnt(16) lgkmcnt(0)
	v_mul_f32_e32 v134, v129, v202
	v_add_f32_e32 v77, v77, v78
	v_mul_f32_e32 v78, v124, v196
	v_fmac_f32_e32 v134, v130, v201
	v_fma_f32 v78, v123, v195, -v78
	v_add_f32_e32 v137, v133, v134
	ds_read_b128 v[133:136], v76 offset:544
	v_add_f32_e32 v77, v77, v78
	v_mul_f32_e32 v78, v126, v198
	v_fma_f32 v78, v125, v197, -v78
	s_waitcnt vmcnt(14)
	v_mul_f32_e32 v138, v131, v204
	v_add_f32_e32 v77, v77, v78
	v_mul_f32_e32 v78, v128, v200
	v_fmac_f32_e32 v138, v132, v203
	v_fma_f32 v78, v127, v199, -v78
	v_add_f32_e32 v141, v137, v138
	ds_read_b128 v[137:140], v76 offset:560
	v_add_f32_e32 v77, v77, v78
	v_mul_f32_e32 v78, v130, v202
	s_waitcnt vmcnt(12) lgkmcnt(1)
	v_mul_f32_e32 v142, v133, v206
	v_fma_f32 v78, v129, v201, -v78
	v_fmac_f32_e32 v142, v134, v205
	v_add_f32_e32 v77, v77, v78
	v_mul_f32_e32 v78, v132, v204
	v_add_f32_e32 v141, v141, v142
	s_waitcnt vmcnt(11)
	v_mul_f32_e32 v142, v135, v207
	v_fma_f32 v78, v131, v203, -v78
	s_waitcnt vmcnt(10)
	v_fmac_f32_e32 v142, v136, v208
	v_add_f32_e32 v77, v77, v78
	v_mul_f32_e32 v78, v134, v206
	v_add_f32_e32 v141, v141, v142
	s_waitcnt vmcnt(8) lgkmcnt(0)
	v_mul_f32_e32 v142, v137, v210
	v_fma_f32 v78, v133, v205, -v78
	v_fmac_f32_e32 v142, v138, v209
	v_add_f32_e32 v77, v77, v78
	v_mul_f32_e32 v78, v136, v207
	v_add_f32_e32 v145, v141, v142
	ds_read_b128 v[141:144], v76 offset:576
	v_fma_f32 v78, v135, v208, -v78
	v_add_f32_e32 v77, v77, v78
	v_mul_f32_e32 v78, v138, v210
	s_waitcnt vmcnt(6)
	v_mul_f32_e32 v146, v139, v212
	v_fma_f32 v78, v137, v209, -v78
	v_fmac_f32_e32 v146, v140, v211
	v_add_f32_e32 v77, v77, v78
	v_mul_f32_e32 v78, v140, v212
	v_add_f32_e32 v219, v145, v146
	ds_read_b64 v[145:146], v76 offset:592
	v_fma_f32 v78, v139, v211, -v78
	v_add_f32_e32 v77, v77, v78
	s_waitcnt vmcnt(4) lgkmcnt(1)
	v_mul_f32_e32 v78, v142, v214
	v_mul_f32_e32 v220, v141, v214
	v_fma_f32 v78, v141, v213, -v78
	v_fmac_f32_e32 v220, v142, v213
	v_add_f32_e32 v77, v77, v78
	s_waitcnt vmcnt(3)
	v_mul_f32_e32 v78, v144, v215
	v_add_f32_e32 v219, v219, v220
	v_mul_f32_e32 v220, v143, v215
	s_waitcnt vmcnt(2)
	v_fma_f32 v78, v143, v216, -v78
	v_fmac_f32_e32 v220, v144, v216
	v_add_f32_e32 v77, v77, v78
	s_waitcnt vmcnt(0) lgkmcnt(0)
	v_mul_f32_e32 v78, v146, v218
	v_add_f32_e32 v219, v219, v220
	v_mul_f32_e32 v220, v145, v218
	v_fma_f32 v78, v145, v217, -v78
	v_fmac_f32_e32 v220, v146, v217
	v_add_f32_e32 v77, v77, v78
	v_add_f32_e32 v219, v219, v220
	v_sub_f32_e32 v77, v168, v77
	v_sub_f32_e32 v78, v169, v219
	buffer_store_dword v77, off, s[0:3], 0 offset:8
	buffer_store_dword v78, off, s[0:3], 0 offset:12
	s_and_saveexec_b64 s[4:5], vcc
	s_cbranch_execz .LBB36_235
; %bb.234:
	buffer_load_dword v77, off, s[0:3], 0
	buffer_load_dword v78, off, s[0:3], 0 offset:4
	s_waitcnt vmcnt(0)
	ds_write_b64 v75, v[77:78]
	buffer_store_dword v76, off, s[0:3], 0
	buffer_store_dword v76, off, s[0:3], 0 offset:4
.LBB36_235:
	s_or_b64 exec, exec, s[4:5]
	s_waitcnt lgkmcnt(0)
	; wave barrier
	buffer_load_dword v0, off, s[0:3], 0 offset:12
	buffer_load_dword v75, off, s[0:3], 0 offset:20
	;; [unrolled: 1-line block ×22, first 2 shown]
	buffer_load_dword v169, off, s[0:3], 0
	buffer_load_dword v170, off, s[0:3], 0 offset:4
	buffer_load_dword v171, off, s[0:3], 0 offset:96
	;; [unrolled: 1-line block ×3, first 2 shown]
	ds_read2_b64 v[77:80], v76 offset0:39 offset1:40
	ds_read2_b64 v[81:84], v76 offset0:41 offset1:42
	;; [unrolled: 1-line block ×6, first 2 shown]
	buffer_load_dword v173, off, s[0:3], 0 offset:104
	buffer_load_dword v174, off, s[0:3], 0 offset:108
	;; [unrolled: 1-line block ×42, first 2 shown]
	s_and_b64 vcc, exec, s[22:23]
	s_waitcnt vmcnt(62) lgkmcnt(5)
	v_mul_f32_e32 v101, v77, v0
	v_mul_f32_e32 v102, v79, v75
	s_waitcnt lgkmcnt(4)
	v_mul_f32_e32 v103, v81, v149
	v_mul_f32_e32 v104, v83, v150
	s_waitcnt lgkmcnt(3)
	v_mul_f32_e32 v105, v85, v151
	v_mul_f32_e32 v106, v87, v152
	s_waitcnt vmcnt(61) lgkmcnt(2)
	v_mul_f32_e32 v107, v89, v153
	s_waitcnt vmcnt(60)
	v_mul_f32_e32 v108, v91, v154
	s_waitcnt vmcnt(59) lgkmcnt(1)
	v_mul_f32_e32 v109, v93, v155
	s_waitcnt vmcnt(58)
	v_fmac_f32_e32 v101, v78, v156
	s_waitcnt vmcnt(57)
	v_fmac_f32_e32 v102, v80, v157
	v_add_f32_e32 v101, 0, v101
	s_waitcnt vmcnt(56)
	v_fmac_f32_e32 v103, v82, v158
	v_add_f32_e32 v101, v101, v102
	;; [unrolled: 3-line block ×8, first 2 shown]
	s_waitcnt vmcnt(49)
	v_mul_f32_e32 v102, v95, v165
	v_add_f32_e32 v101, v101, v109
	s_waitcnt vmcnt(48)
	v_fmac_f32_e32 v102, v96, v166
	v_add_f32_e32 v101, v101, v102
	s_waitcnt vmcnt(47) lgkmcnt(0)
	v_mul_f32_e32 v102, v97, v167
	s_waitcnt vmcnt(46)
	v_fmac_f32_e32 v102, v98, v168
	v_add_f32_e32 v101, v101, v102
	s_waitcnt vmcnt(42)
	v_mul_f32_e32 v102, v99, v172
	v_fmac_f32_e32 v102, v100, v171
	v_add_f32_e32 v109, v101, v102
	ds_read2_b64 v[101:104], v76 offset0:51 offset1:52
	buffer_load_dword v215, off, s[0:3], 0 offset:276
	buffer_load_dword v216, off, s[0:3], 0 offset:272
	;; [unrolled: 1-line block ×4, first 2 shown]
	ds_read2_b64 v[105:108], v76 offset0:53 offset1:54
	buffer_load_dword v219, off, s[0:3], 0 offset:288
	buffer_load_dword v220, off, s[0:3], 0 offset:292
	v_mul_f32_e32 v0, v78, v0
	v_fma_f32 v0, v77, v156, -v0
	v_mul_f32_e32 v75, v80, v75
	v_add_f32_e32 v0, 0, v0
	v_fma_f32 v75, v79, v157, -v75
	v_add_f32_e32 v0, v0, v75
	v_mul_f32_e32 v75, v82, v149
	v_fma_f32 v75, v81, v158, -v75
	v_add_f32_e32 v0, v0, v75
	v_mul_f32_e32 v75, v84, v150
	;; [unrolled: 3-line block ×3, first 2 shown]
	s_waitcnt vmcnt(46) lgkmcnt(1)
	v_mul_f32_e32 v110, v101, v174
	v_fma_f32 v75, v85, v160, -v75
	v_fmac_f32_e32 v110, v102, v173
	v_add_f32_e32 v0, v0, v75
	v_mul_f32_e32 v75, v88, v152
	v_add_f32_e32 v109, v109, v110
	s_waitcnt vmcnt(44)
	v_mul_f32_e32 v110, v103, v176
	v_fma_f32 v75, v87, v161, -v75
	v_fmac_f32_e32 v110, v104, v175
	v_add_f32_e32 v0, v0, v75
	v_mul_f32_e32 v75, v90, v153
	v_add_f32_e32 v109, v109, v110
	s_waitcnt vmcnt(42) lgkmcnt(0)
	v_mul_f32_e32 v110, v105, v178
	v_fma_f32 v75, v89, v162, -v75
	v_fmac_f32_e32 v110, v106, v177
	v_add_f32_e32 v0, v0, v75
	v_mul_f32_e32 v75, v92, v154
	v_add_f32_e32 v113, v109, v110
	ds_read2_b64 v[109:112], v76 offset0:55 offset1:56
	v_fma_f32 v75, v91, v163, -v75
	v_add_f32_e32 v0, v0, v75
	v_mul_f32_e32 v75, v94, v155
	s_waitcnt vmcnt(40)
	v_mul_f32_e32 v114, v107, v180
	v_fma_f32 v75, v93, v164, -v75
	v_fmac_f32_e32 v114, v108, v179
	v_add_f32_e32 v0, v0, v75
	v_mul_f32_e32 v75, v96, v165
	v_add_f32_e32 v117, v113, v114
	ds_read2_b64 v[113:116], v76 offset0:57 offset1:58
	v_fma_f32 v75, v95, v166, -v75
	s_waitcnt vmcnt(38) lgkmcnt(1)
	v_mul_f32_e32 v118, v109, v182
	v_add_f32_e32 v0, v0, v75
	v_mul_f32_e32 v75, v98, v167
	v_fmac_f32_e32 v118, v110, v181
	v_fma_f32 v75, v97, v168, -v75
	v_add_f32_e32 v117, v117, v118
	s_waitcnt vmcnt(36)
	v_mul_f32_e32 v118, v111, v184
	v_add_f32_e32 v0, v0, v75
	v_mul_f32_e32 v75, v100, v172
	v_fmac_f32_e32 v118, v112, v183
	v_fma_f32 v75, v99, v171, -v75
	v_add_f32_e32 v117, v117, v118
	s_waitcnt vmcnt(34) lgkmcnt(0)
	v_mul_f32_e32 v118, v113, v186
	v_add_f32_e32 v0, v0, v75
	v_mul_f32_e32 v75, v102, v174
	v_fmac_f32_e32 v118, v114, v185
	v_fma_f32 v75, v101, v173, -v75
	v_add_f32_e32 v121, v117, v118
	ds_read2_b64 v[117:120], v76 offset0:59 offset1:60
	v_add_f32_e32 v0, v0, v75
	v_mul_f32_e32 v75, v104, v176
	v_fma_f32 v75, v103, v175, -v75
	s_waitcnt vmcnt(32)
	v_mul_f32_e32 v122, v115, v188
	v_add_f32_e32 v0, v0, v75
	v_mul_f32_e32 v75, v106, v178
	v_fmac_f32_e32 v122, v116, v187
	v_fma_f32 v75, v105, v177, -v75
	v_add_f32_e32 v125, v121, v122
	ds_read2_b64 v[121:124], v76 offset0:61 offset1:62
	v_add_f32_e32 v0, v0, v75
	v_mul_f32_e32 v75, v108, v180
	s_waitcnt vmcnt(30) lgkmcnt(1)
	v_mul_f32_e32 v126, v117, v190
	v_fma_f32 v75, v107, v179, -v75
	v_fmac_f32_e32 v126, v118, v189
	v_add_f32_e32 v0, v0, v75
	v_mul_f32_e32 v75, v110, v182
	v_add_f32_e32 v125, v125, v126
	s_waitcnt vmcnt(28)
	v_mul_f32_e32 v126, v119, v192
	v_fma_f32 v75, v109, v181, -v75
	v_fmac_f32_e32 v126, v120, v191
	v_add_f32_e32 v0, v0, v75
	v_mul_f32_e32 v75, v112, v184
	v_add_f32_e32 v125, v125, v126
	s_waitcnt vmcnt(26) lgkmcnt(0)
	v_mul_f32_e32 v126, v121, v194
	v_fma_f32 v75, v111, v183, -v75
	v_fmac_f32_e32 v126, v122, v193
	v_add_f32_e32 v0, v0, v75
	v_mul_f32_e32 v75, v114, v186
	v_add_f32_e32 v129, v125, v126
	ds_read2_b64 v[125:128], v76 offset0:63 offset1:64
	v_fma_f32 v75, v113, v185, -v75
	v_add_f32_e32 v0, v0, v75
	v_mul_f32_e32 v75, v116, v188
	s_waitcnt vmcnt(24)
	v_mul_f32_e32 v130, v123, v196
	v_fma_f32 v75, v115, v187, -v75
	v_fmac_f32_e32 v130, v124, v195
	v_add_f32_e32 v0, v0, v75
	v_mul_f32_e32 v75, v118, v190
	v_add_f32_e32 v133, v129, v130
	ds_read2_b64 v[129:132], v76 offset0:65 offset1:66
	v_fma_f32 v75, v117, v189, -v75
	s_waitcnt vmcnt(22) lgkmcnt(1)
	v_mul_f32_e32 v134, v125, v198
	v_add_f32_e32 v0, v0, v75
	v_mul_f32_e32 v75, v120, v192
	v_fmac_f32_e32 v134, v126, v197
	v_fma_f32 v75, v119, v191, -v75
	v_add_f32_e32 v133, v133, v134
	s_waitcnt vmcnt(20)
	v_mul_f32_e32 v134, v127, v200
	v_add_f32_e32 v0, v0, v75
	v_mul_f32_e32 v75, v122, v194
	v_fmac_f32_e32 v134, v128, v199
	v_fma_f32 v75, v121, v193, -v75
	v_add_f32_e32 v133, v133, v134
	s_waitcnt vmcnt(18) lgkmcnt(0)
	v_mul_f32_e32 v134, v129, v202
	v_add_f32_e32 v0, v0, v75
	v_mul_f32_e32 v75, v124, v196
	v_fmac_f32_e32 v134, v130, v201
	v_fma_f32 v75, v123, v195, -v75
	v_add_f32_e32 v137, v133, v134
	ds_read2_b64 v[133:136], v76 offset0:67 offset1:68
	v_add_f32_e32 v0, v0, v75
	v_mul_f32_e32 v75, v126, v198
	v_fma_f32 v75, v125, v197, -v75
	s_waitcnt vmcnt(16)
	v_mul_f32_e32 v138, v131, v204
	v_add_f32_e32 v0, v0, v75
	v_mul_f32_e32 v75, v128, v200
	v_fmac_f32_e32 v138, v132, v203
	v_fma_f32 v75, v127, v199, -v75
	v_add_f32_e32 v141, v137, v138
	ds_read2_b64 v[137:140], v76 offset0:69 offset1:70
	v_add_f32_e32 v0, v0, v75
	v_mul_f32_e32 v75, v130, v202
	s_waitcnt vmcnt(14) lgkmcnt(1)
	v_mul_f32_e32 v142, v133, v206
	v_fma_f32 v75, v129, v201, -v75
	v_fmac_f32_e32 v142, v134, v205
	v_add_f32_e32 v0, v0, v75
	v_mul_f32_e32 v75, v132, v204
	v_add_f32_e32 v141, v141, v142
	s_waitcnt vmcnt(13)
	v_mul_f32_e32 v142, v135, v207
	v_fma_f32 v75, v131, v203, -v75
	s_waitcnt vmcnt(12)
	v_fmac_f32_e32 v142, v136, v208
	v_add_f32_e32 v0, v0, v75
	v_mul_f32_e32 v75, v134, v206
	v_add_f32_e32 v141, v141, v142
	s_waitcnt vmcnt(10) lgkmcnt(0)
	v_mul_f32_e32 v142, v137, v210
	v_fma_f32 v75, v133, v205, -v75
	v_fmac_f32_e32 v142, v138, v209
	v_add_f32_e32 v0, v0, v75
	v_mul_f32_e32 v75, v136, v207
	v_add_f32_e32 v145, v141, v142
	ds_read2_b64 v[141:144], v76 offset0:71 offset1:72
	v_fma_f32 v75, v135, v208, -v75
	v_add_f32_e32 v0, v0, v75
	v_mul_f32_e32 v75, v138, v210
	s_waitcnt vmcnt(8)
	v_mul_f32_e32 v146, v139, v212
	v_fma_f32 v75, v137, v209, -v75
	v_fmac_f32_e32 v146, v140, v211
	v_add_f32_e32 v0, v0, v75
	v_mul_f32_e32 v75, v140, v212
	v_add_f32_e32 v221, v145, v146
	ds_read2_b64 v[145:148], v76 offset0:73 offset1:74
	v_fma_f32 v75, v139, v211, -v75
	v_add_f32_e32 v0, v0, v75
	s_waitcnt vmcnt(6) lgkmcnt(1)
	v_mul_f32_e32 v75, v142, v214
	v_mul_f32_e32 v76, v141, v214
	v_fma_f32 v75, v141, v213, -v75
	v_fmac_f32_e32 v76, v142, v213
	v_add_f32_e32 v0, v0, v75
	s_waitcnt vmcnt(5)
	v_mul_f32_e32 v75, v144, v215
	v_add_f32_e32 v76, v221, v76
	v_mul_f32_e32 v221, v143, v215
	s_waitcnt vmcnt(4)
	v_fma_f32 v75, v143, v216, -v75
	v_fmac_f32_e32 v221, v144, v216
	v_add_f32_e32 v0, v0, v75
	s_waitcnt vmcnt(2) lgkmcnt(0)
	v_mul_f32_e32 v75, v146, v218
	v_add_f32_e32 v76, v76, v221
	v_mul_f32_e32 v221, v145, v218
	v_fma_f32 v75, v145, v217, -v75
	v_fmac_f32_e32 v221, v146, v217
	v_add_f32_e32 v0, v0, v75
	s_waitcnt vmcnt(0)
	v_mul_f32_e32 v75, v148, v220
	v_add_f32_e32 v76, v76, v221
	v_mul_f32_e32 v221, v147, v220
	v_fma_f32 v75, v147, v219, -v75
	v_fmac_f32_e32 v221, v148, v219
	v_add_f32_e32 v0, v0, v75
	v_add_f32_e32 v76, v76, v221
	v_sub_f32_e32 v0, v169, v0
	v_sub_f32_e32 v75, v170, v76
	buffer_store_dword v0, off, s[0:3], 0
	buffer_store_dword v75, off, s[0:3], 0 offset:4
	s_cbranch_vccz .LBB36_308
; %bb.236:
	v_mov_b32_e32 v0, 0
	global_load_dword v75, v0, s[20:21] offset:140
	s_waitcnt vmcnt(0)
	v_add_u32_e32 v75, -1, v75
	v_cmp_ne_u32_e32 vcc, 35, v75
	s_cbranch_vccz .LBB36_238
; %bb.237:
	v_lshlrev_b32_e32 v75, 3, v75
	buffer_load_dword v76, v75, s[0:3], 0 offen
	buffer_load_dword v77, v75, s[0:3], 0 offen offset:4
	buffer_load_dword v78, off, s[0:3], 0 offset:280
	buffer_load_dword v79, off, s[0:3], 0 offset:284
	s_waitcnt vmcnt(3)
	buffer_store_dword v76, off, s[0:3], 0 offset:280
	s_waitcnt vmcnt(3)
	buffer_store_dword v77, off, s[0:3], 0 offset:284
	s_waitcnt vmcnt(3)
	buffer_store_dword v78, v75, s[0:3], 0 offen
	s_waitcnt vmcnt(3)
	buffer_store_dword v79, v75, s[0:3], 0 offen offset:4
.LBB36_238:
	global_load_dword v0, v0, s[20:21] offset:136
	s_waitcnt vmcnt(0)
	v_add_u32_e32 v0, -1, v0
	v_cmp_eq_u32_e32 vcc, 34, v0
	s_cbranch_vccnz .LBB36_240
; %bb.239:
	v_lshlrev_b32_e32 v0, 3, v0
	buffer_load_dword v75, v0, s[0:3], 0 offen
	buffer_load_dword v76, v0, s[0:3], 0 offen offset:4
	buffer_load_dword v77, off, s[0:3], 0 offset:276
	buffer_load_dword v78, off, s[0:3], 0 offset:272
	s_waitcnt vmcnt(3)
	buffer_store_dword v75, off, s[0:3], 0 offset:272
	s_waitcnt vmcnt(3)
	buffer_store_dword v76, off, s[0:3], 0 offset:276
	s_waitcnt vmcnt(3)
	buffer_store_dword v77, v0, s[0:3], 0 offen offset:4
	s_waitcnt vmcnt(3)
	buffer_store_dword v78, v0, s[0:3], 0 offen
.LBB36_240:
	v_mov_b32_e32 v0, 0
	global_load_dword v75, v0, s[20:21] offset:132
	s_waitcnt vmcnt(0)
	v_add_u32_e32 v75, -1, v75
	v_cmp_eq_u32_e32 vcc, 33, v75
	s_cbranch_vccnz .LBB36_242
; %bb.241:
	v_lshlrev_b32_e32 v75, 3, v75
	buffer_load_dword v76, v75, s[0:3], 0 offen
	buffer_load_dword v77, v75, s[0:3], 0 offen offset:4
	buffer_load_dword v78, off, s[0:3], 0 offset:264
	buffer_load_dword v79, off, s[0:3], 0 offset:268
	s_waitcnt vmcnt(3)
	buffer_store_dword v76, off, s[0:3], 0 offset:264
	s_waitcnt vmcnt(3)
	buffer_store_dword v77, off, s[0:3], 0 offset:268
	s_waitcnt vmcnt(3)
	buffer_store_dword v78, v75, s[0:3], 0 offen
	s_waitcnt vmcnt(3)
	buffer_store_dword v79, v75, s[0:3], 0 offen offset:4
.LBB36_242:
	global_load_dword v0, v0, s[20:21] offset:128
	s_waitcnt vmcnt(0)
	v_add_u32_e32 v0, -1, v0
	v_cmp_eq_u32_e32 vcc, 32, v0
	s_cbranch_vccnz .LBB36_244
; %bb.243:
	v_lshlrev_b32_e32 v0, 3, v0
	buffer_load_dword v75, v0, s[0:3], 0 offen
	buffer_load_dword v76, v0, s[0:3], 0 offen offset:4
	buffer_load_dword v77, off, s[0:3], 0 offset:260
	buffer_load_dword v78, off, s[0:3], 0 offset:256
	s_waitcnt vmcnt(3)
	buffer_store_dword v75, off, s[0:3], 0 offset:256
	s_waitcnt vmcnt(3)
	buffer_store_dword v76, off, s[0:3], 0 offset:260
	s_waitcnt vmcnt(3)
	buffer_store_dword v77, v0, s[0:3], 0 offen offset:4
	s_waitcnt vmcnt(3)
	buffer_store_dword v78, v0, s[0:3], 0 offen
.LBB36_244:
	v_mov_b32_e32 v0, 0
	global_load_dword v75, v0, s[20:21] offset:124
	s_waitcnt vmcnt(0)
	v_add_u32_e32 v75, -1, v75
	v_cmp_eq_u32_e32 vcc, 31, v75
	s_cbranch_vccnz .LBB36_246
; %bb.245:
	v_lshlrev_b32_e32 v75, 3, v75
	buffer_load_dword v76, v75, s[0:3], 0 offen
	buffer_load_dword v77, v75, s[0:3], 0 offen offset:4
	buffer_load_dword v78, off, s[0:3], 0 offset:248
	buffer_load_dword v79, off, s[0:3], 0 offset:252
	s_waitcnt vmcnt(3)
	buffer_store_dword v76, off, s[0:3], 0 offset:248
	s_waitcnt vmcnt(3)
	buffer_store_dword v77, off, s[0:3], 0 offset:252
	s_waitcnt vmcnt(3)
	buffer_store_dword v78, v75, s[0:3], 0 offen
	s_waitcnt vmcnt(3)
	buffer_store_dword v79, v75, s[0:3], 0 offen offset:4
.LBB36_246:
	;; [unrolled: 41-line block ×17, first 2 shown]
	global_load_dword v0, v0, s[20:21]
	s_waitcnt vmcnt(0)
	v_add_u32_e32 v0, -1, v0
	v_cmp_eq_u32_e32 vcc, 0, v0
	s_cbranch_vccnz .LBB36_308
; %bb.307:
	v_lshlrev_b32_e32 v0, 3, v0
	buffer_load_dword v75, v0, s[0:3], 0 offen
	buffer_load_dword v76, v0, s[0:3], 0 offen offset:4
	buffer_load_dword v77, off, s[0:3], 0 offset:4
	buffer_load_dword v78, off, s[0:3], 0
	s_waitcnt vmcnt(3)
	buffer_store_dword v75, off, s[0:3], 0
	s_waitcnt vmcnt(3)
	buffer_store_dword v76, off, s[0:3], 0 offset:4
	s_waitcnt vmcnt(3)
	buffer_store_dword v77, v0, s[0:3], 0 offen offset:4
	s_waitcnt vmcnt(3)
	buffer_store_dword v78, v0, s[0:3], 0 offen
.LBB36_308:
	buffer_load_dword v75, off, s[0:3], 0
	buffer_load_dword v76, off, s[0:3], 0 offset:4
	buffer_load_dword v77, off, s[0:3], 0 offset:8
	s_nop 0
	buffer_load_dword v78, off, s[0:3], 0 offset:12
	buffer_load_dword v79, off, s[0:3], 0 offset:16
	;; [unrolled: 1-line block ×71, first 2 shown]
	s_waitcnt vmcnt(62)
	global_store_dwordx2 v[63:64], v[75:76], off
	global_store_dwordx2 v[65:66], v[77:78], off
	;; [unrolled: 1-line block ×6, first 2 shown]
	s_waitcnt vmcnt(62)
	global_store_dwordx2 v[9:10], v[87:88], off
	global_store_dwordx2 v[11:12], v[89:90], off
	s_waitcnt vmcnt(58)
	global_store_dwordx2 v[13:14], v[91:92], off
	global_store_dwordx2 v[15:16], v[93:94], off
	;; [unrolled: 1-line block ×4, first 2 shown]
	s_waitcnt vmcnt(60)
	global_store_dwordx2 v[21:22], v[99:100], off
	s_waitcnt vmcnt(59)
	global_store_dwordx2 v[23:24], v[101:102], off
	;; [unrolled: 2-line block ×25, first 2 shown]
	s_endpgm
	.section	.rodata,"a",@progbits
	.p2align	6, 0x0
	.amdhsa_kernel _ZN9rocsolver6v33100L18getri_kernel_smallILi37E19rocblas_complex_numIfEPS3_EEvT1_iilPiilS6_bb
		.amdhsa_group_segment_fixed_size 600
		.amdhsa_private_segment_fixed_size 304
		.amdhsa_kernarg_size 60
		.amdhsa_user_sgpr_count 6
		.amdhsa_user_sgpr_private_segment_buffer 1
		.amdhsa_user_sgpr_dispatch_ptr 0
		.amdhsa_user_sgpr_queue_ptr 0
		.amdhsa_user_sgpr_kernarg_segment_ptr 1
		.amdhsa_user_sgpr_dispatch_id 0
		.amdhsa_user_sgpr_flat_scratch_init 0
		.amdhsa_user_sgpr_private_segment_size 0
		.amdhsa_uses_dynamic_stack 0
		.amdhsa_system_sgpr_private_segment_wavefront_offset 1
		.amdhsa_system_sgpr_workgroup_id_x 1
		.amdhsa_system_sgpr_workgroup_id_y 0
		.amdhsa_system_sgpr_workgroup_id_z 0
		.amdhsa_system_sgpr_workgroup_info 0
		.amdhsa_system_vgpr_workitem_id 0
		.amdhsa_next_free_vgpr 222
		.amdhsa_next_free_sgpr 24
		.amdhsa_reserve_vcc 1
		.amdhsa_reserve_flat_scratch 0
		.amdhsa_float_round_mode_32 0
		.amdhsa_float_round_mode_16_64 0
		.amdhsa_float_denorm_mode_32 3
		.amdhsa_float_denorm_mode_16_64 3
		.amdhsa_dx10_clamp 1
		.amdhsa_ieee_mode 1
		.amdhsa_fp16_overflow 0
		.amdhsa_exception_fp_ieee_invalid_op 0
		.amdhsa_exception_fp_denorm_src 0
		.amdhsa_exception_fp_ieee_div_zero 0
		.amdhsa_exception_fp_ieee_overflow 0
		.amdhsa_exception_fp_ieee_underflow 0
		.amdhsa_exception_fp_ieee_inexact 0
		.amdhsa_exception_int_div_zero 0
	.end_amdhsa_kernel
	.section	.text._ZN9rocsolver6v33100L18getri_kernel_smallILi37E19rocblas_complex_numIfEPS3_EEvT1_iilPiilS6_bb,"axG",@progbits,_ZN9rocsolver6v33100L18getri_kernel_smallILi37E19rocblas_complex_numIfEPS3_EEvT1_iilPiilS6_bb,comdat
.Lfunc_end36:
	.size	_ZN9rocsolver6v33100L18getri_kernel_smallILi37E19rocblas_complex_numIfEPS3_EEvT1_iilPiilS6_bb, .Lfunc_end36-_ZN9rocsolver6v33100L18getri_kernel_smallILi37E19rocblas_complex_numIfEPS3_EEvT1_iilPiilS6_bb
                                        ; -- End function
	.set _ZN9rocsolver6v33100L18getri_kernel_smallILi37E19rocblas_complex_numIfEPS3_EEvT1_iilPiilS6_bb.num_vgpr, 222
	.set _ZN9rocsolver6v33100L18getri_kernel_smallILi37E19rocblas_complex_numIfEPS3_EEvT1_iilPiilS6_bb.num_agpr, 0
	.set _ZN9rocsolver6v33100L18getri_kernel_smallILi37E19rocblas_complex_numIfEPS3_EEvT1_iilPiilS6_bb.numbered_sgpr, 24
	.set _ZN9rocsolver6v33100L18getri_kernel_smallILi37E19rocblas_complex_numIfEPS3_EEvT1_iilPiilS6_bb.num_named_barrier, 0
	.set _ZN9rocsolver6v33100L18getri_kernel_smallILi37E19rocblas_complex_numIfEPS3_EEvT1_iilPiilS6_bb.private_seg_size, 304
	.set _ZN9rocsolver6v33100L18getri_kernel_smallILi37E19rocblas_complex_numIfEPS3_EEvT1_iilPiilS6_bb.uses_vcc, 1
	.set _ZN9rocsolver6v33100L18getri_kernel_smallILi37E19rocblas_complex_numIfEPS3_EEvT1_iilPiilS6_bb.uses_flat_scratch, 0
	.set _ZN9rocsolver6v33100L18getri_kernel_smallILi37E19rocblas_complex_numIfEPS3_EEvT1_iilPiilS6_bb.has_dyn_sized_stack, 0
	.set _ZN9rocsolver6v33100L18getri_kernel_smallILi37E19rocblas_complex_numIfEPS3_EEvT1_iilPiilS6_bb.has_recursion, 0
	.set _ZN9rocsolver6v33100L18getri_kernel_smallILi37E19rocblas_complex_numIfEPS3_EEvT1_iilPiilS6_bb.has_indirect_call, 0
	.section	.AMDGPU.csdata,"",@progbits
; Kernel info:
; codeLenInByte = 56256
; TotalNumSgprs: 28
; NumVgprs: 222
; ScratchSize: 304
; MemoryBound: 0
; FloatMode: 240
; IeeeMode: 1
; LDSByteSize: 600 bytes/workgroup (compile time only)
; SGPRBlocks: 3
; VGPRBlocks: 55
; NumSGPRsForWavesPerEU: 28
; NumVGPRsForWavesPerEU: 222
; Occupancy: 1
; WaveLimiterHint : 1
; COMPUTE_PGM_RSRC2:SCRATCH_EN: 1
; COMPUTE_PGM_RSRC2:USER_SGPR: 6
; COMPUTE_PGM_RSRC2:TRAP_HANDLER: 0
; COMPUTE_PGM_RSRC2:TGID_X_EN: 1
; COMPUTE_PGM_RSRC2:TGID_Y_EN: 0
; COMPUTE_PGM_RSRC2:TGID_Z_EN: 0
; COMPUTE_PGM_RSRC2:TIDIG_COMP_CNT: 0
	.section	.text._ZN9rocsolver6v33100L18getri_kernel_smallILi38E19rocblas_complex_numIfEPS3_EEvT1_iilPiilS6_bb,"axG",@progbits,_ZN9rocsolver6v33100L18getri_kernel_smallILi38E19rocblas_complex_numIfEPS3_EEvT1_iilPiilS6_bb,comdat
	.globl	_ZN9rocsolver6v33100L18getri_kernel_smallILi38E19rocblas_complex_numIfEPS3_EEvT1_iilPiilS6_bb ; -- Begin function _ZN9rocsolver6v33100L18getri_kernel_smallILi38E19rocblas_complex_numIfEPS3_EEvT1_iilPiilS6_bb
	.p2align	8
	.type	_ZN9rocsolver6v33100L18getri_kernel_smallILi38E19rocblas_complex_numIfEPS3_EEvT1_iilPiilS6_bb,@function
_ZN9rocsolver6v33100L18getri_kernel_smallILi38E19rocblas_complex_numIfEPS3_EEvT1_iilPiilS6_bb: ; @_ZN9rocsolver6v33100L18getri_kernel_smallILi38E19rocblas_complex_numIfEPS3_EEvT1_iilPiilS6_bb
; %bb.0:
	s_add_u32 s0, s0, s7
	s_addc_u32 s1, s1, 0
	v_cmp_gt_u32_e32 vcc, 38, v0
	s_and_saveexec_b64 s[8:9], vcc
	s_cbranch_execz .LBB37_166
; %bb.1:
	s_load_dword s12, s[4:5], 0x38
	s_load_dwordx4 s[16:19], s[4:5], 0x10
	s_load_dwordx4 s[8:11], s[4:5], 0x28
                                        ; implicit-def: $sgpr20_sgpr21
	s_waitcnt lgkmcnt(0)
	s_bitcmp1_b32 s12, 8
	s_cselect_b64 s[22:23], -1, 0
	s_ashr_i32 s7, s6, 31
	s_bfe_u32 s12, s12, 0x10008
	s_cmp_eq_u32 s12, 0
	s_cbranch_scc1 .LBB37_3
; %bb.2:
	s_load_dword s12, s[4:5], 0x20
	s_mul_i32 s13, s8, s7
	s_mul_hi_u32 s14, s8, s6
	s_mul_i32 s9, s9, s6
	s_add_i32 s14, s14, s13
	s_add_i32 s9, s14, s9
	s_mul_i32 s8, s8, s6
	s_waitcnt lgkmcnt(0)
	s_ashr_i32 s13, s12, 31
	s_lshl_b64 s[8:9], s[8:9], 2
	s_add_u32 s14, s18, s8
	s_addc_u32 s15, s19, s9
	s_lshl_b64 s[8:9], s[12:13], 2
	s_add_u32 s20, s14, s8
	s_addc_u32 s21, s15, s9
.LBB37_3:
	s_load_dwordx4 s[12:15], s[4:5], 0x0
	s_load_dword s8, s[4:5], 0x38
	s_mul_i32 s9, s16, s7
	s_mul_hi_u32 s18, s16, s6
	s_add_i32 s9, s18, s9
	s_waitcnt lgkmcnt(0)
	s_ashr_i32 s5, s14, 31
	s_mov_b32 s4, s14
	s_mul_i32 s14, s17, s6
	s_add_i32 s17, s9, s14
	s_mul_i32 s16, s16, s6
	s_lshl_b64 s[16:17], s[16:17], 3
	s_add_u32 s9, s12, s16
	s_addc_u32 s12, s13, s17
	s_lshl_b64 s[4:5], s[4:5], 3
	s_add_u32 s4, s9, s4
	s_addc_u32 s5, s12, s5
	v_lshlrev_b32_e32 v119, 3, v0
	s_add_i32 s9, s15, s15
	v_mov_b32_e32 v2, s5
	v_add_co_u32_e32 v1, vcc, s4, v119
	s_ashr_i32 s13, s15, 31
	s_mov_b32 s12, s15
	v_add_u32_e32 v7, s9, v0
	v_addc_co_u32_e32 v2, vcc, 0, v2, vcc
	s_lshl_b64 s[12:13], s[12:13], 3
	v_ashrrev_i32_e32 v8, 31, v7
	v_mov_b32_e32 v4, s13
	v_add_co_u32_e32 v3, vcc, s12, v1
	v_lshlrev_b64 v[5:6], 3, v[7:8]
	v_addc_co_u32_e32 v4, vcc, v2, v4, vcc
	v_add_u32_e32 v9, s15, v7
	v_mov_b32_e32 v8, s5
	v_add_co_u32_e32 v5, vcc, s4, v5
	v_ashrrev_i32_e32 v10, 31, v9
	v_addc_co_u32_e32 v6, vcc, v8, v6, vcc
	v_lshlrev_b64 v[7:8], 3, v[9:10]
	v_add_u32_e32 v11, s15, v9
	v_mov_b32_e32 v10, s5
	v_add_co_u32_e32 v7, vcc, s4, v7
	v_ashrrev_i32_e32 v12, 31, v11
	v_addc_co_u32_e32 v8, vcc, v10, v8, vcc
	v_lshlrev_b64 v[9:10], 3, v[11:12]
	;; [unrolled: 6-line block ×34, first 2 shown]
	v_mov_b32_e32 v76, s5
	v_add_co_u32_e32 v73, vcc, s4, v73
	global_load_dwordx2 v[77:78], v119, s[4:5]
	global_load_dwordx2 v[85:86], v[3:4], off
	global_load_dwordx2 v[83:84], v[5:6], off
	;; [unrolled: 1-line block ×32, first 2 shown]
	v_addc_co_u32_e32 v74, vcc, v76, v74, vcc
	global_load_dwordx2 v[144:145], v[67:68], off
	global_load_dwordx2 v[146:147], v[69:70], off
	global_load_dwordx2 v[148:149], v[71:72], off
	global_load_dwordx2 v[150:151], v[73:74], off
	v_add_u32_e32 v75, s15, v75
	v_ashrrev_i32_e32 v76, 31, v75
	v_lshlrev_b64 v[75:76], 3, v[75:76]
	v_mov_b32_e32 v152, s5
	v_add_co_u32_e32 v75, vcc, s4, v75
	v_addc_co_u32_e32 v76, vcc, v152, v76, vcc
	global_load_dwordx2 v[152:153], v[75:76], off
	s_bitcmp0_b32 s8, 0
	s_mov_b64 s[8:9], -1
	s_waitcnt vmcnt(37)
	buffer_store_dword v78, off, s[0:3], 0 offset:4
	buffer_store_dword v77, off, s[0:3], 0
	s_waitcnt vmcnt(38)
	buffer_store_dword v86, off, s[0:3], 0 offset:12
	buffer_store_dword v85, off, s[0:3], 0 offset:8
	s_waitcnt vmcnt(39)
	buffer_store_dword v84, off, s[0:3], 0 offset:20
	buffer_store_dword v83, off, s[0:3], 0 offset:16
	;; [unrolled: 3-line block ×26, first 2 shown]
	buffer_store_dword v132, off, s[0:3], 0 offset:216
	buffer_store_dword v133, off, s[0:3], 0 offset:220
	s_waitcnt vmcnt(62)
	buffer_store_dword v134, off, s[0:3], 0 offset:224
	buffer_store_dword v135, off, s[0:3], 0 offset:228
	;; [unrolled: 1-line block ×8, first 2 shown]
	s_waitcnt vmcnt(62)
	buffer_store_dword v143, off, s[0:3], 0 offset:260
	buffer_store_dword v142, off, s[0:3], 0 offset:256
	;; [unrolled: 1-line block ×12, first 2 shown]
	s_cbranch_scc1 .LBB37_164
; %bb.4:
	v_cmp_eq_u32_e64 s[4:5], 0, v0
	s_and_saveexec_b64 s[8:9], s[4:5]
; %bb.5:
	v_mov_b32_e32 v77, 0
	ds_write_b32 v77, v77 offset:608
; %bb.6:
	s_or_b64 exec, exec, s[8:9]
	v_mov_b32_e32 v77, 0
	v_lshl_add_u32 v80, v0, 3, v77
	s_waitcnt lgkmcnt(0)
	; wave barrier
	buffer_load_dword v77, v80, s[0:3], 0 offen
	buffer_load_dword v78, v80, s[0:3], 0 offen offset:4
	s_waitcnt vmcnt(1)
	v_cmp_eq_f32_e32 vcc, 0, v77
	s_waitcnt vmcnt(0)
	v_cmp_eq_f32_e64 s[8:9], 0, v78
	s_and_b64 s[8:9], vcc, s[8:9]
	s_and_saveexec_b64 s[12:13], s[8:9]
	s_cbranch_execz .LBB37_10
; %bb.7:
	v_mov_b32_e32 v77, 0
	ds_read_b32 v79, v77 offset:608
	v_add_u32_e32 v78, 1, v0
	s_waitcnt lgkmcnt(0)
	v_readfirstlane_b32 s8, v79
	s_cmp_eq_u32 s8, 0
	s_cselect_b64 s[14:15], -1, 0
	v_cmp_gt_i32_e32 vcc, s8, v78
	s_or_b64 s[14:15], s[14:15], vcc
	s_and_b64 exec, exec, s[14:15]
	s_cbranch_execz .LBB37_10
; %bb.8:
	s_mov_b64 s[14:15], 0
	v_mov_b32_e32 v79, s8
.LBB37_9:                               ; =>This Inner Loop Header: Depth=1
	ds_cmpst_rtn_b32 v79, v77, v79, v78 offset:608
	s_waitcnt lgkmcnt(0)
	v_cmp_ne_u32_e32 vcc, 0, v79
	v_cmp_le_i32_e64 s[8:9], v79, v78
	s_and_b64 s[8:9], vcc, s[8:9]
	s_and_b64 s[8:9], exec, s[8:9]
	s_or_b64 s[14:15], s[8:9], s[14:15]
	s_andn2_b64 exec, exec, s[14:15]
	s_cbranch_execnz .LBB37_9
.LBB37_10:
	s_or_b64 exec, exec, s[12:13]
	v_mov_b32_e32 v78, 0
	; wave barrier
	ds_read_b32 v77, v78 offset:608
	s_and_saveexec_b64 s[8:9], s[4:5]
	s_cbranch_execz .LBB37_12
; %bb.11:
	s_lshl_b64 s[12:13], s[6:7], 2
	s_add_u32 s12, s10, s12
	s_addc_u32 s13, s11, s13
	s_waitcnt lgkmcnt(0)
	global_store_dword v78, v77, s[12:13]
.LBB37_12:
	s_or_b64 exec, exec, s[8:9]
	s_waitcnt lgkmcnt(0)
	v_cmp_ne_u32_e32 vcc, 0, v77
	s_mov_b64 s[8:9], 0
	s_cbranch_vccnz .LBB37_164
; %bb.13:
	buffer_load_dword v78, v80, s[0:3], 0 offen
	buffer_load_dword v79, v80, s[0:3], 0 offen offset:4
                                        ; implicit-def: $vgpr82
                                        ; implicit-def: $vgpr81
                                        ; implicit-def: $vgpr77
	s_waitcnt vmcnt(0)
	v_cmp_ngt_f32_e64 s[8:9], |v78|, |v79|
	s_and_saveexec_b64 s[12:13], s[8:9]
	s_xor_b64 s[8:9], exec, s[12:13]
	s_cbranch_execz .LBB37_15
; %bb.14:
	v_div_scale_f32 v77, s[12:13], v79, v79, v78
	v_div_scale_f32 v81, vcc, v78, v79, v78
	v_rcp_f32_e32 v82, v77
	v_fma_f32 v83, -v77, v82, 1.0
	v_fmac_f32_e32 v82, v83, v82
	v_mul_f32_e32 v83, v81, v82
	v_fma_f32 v84, -v77, v83, v81
	v_fmac_f32_e32 v83, v84, v82
	v_fma_f32 v77, -v77, v83, v81
	v_div_fmas_f32 v77, v77, v82, v83
	v_div_fixup_f32 v77, v77, v79, v78
	v_fmac_f32_e32 v79, v78, v77
	v_div_scale_f32 v78, s[12:13], v79, v79, 1.0
	v_div_scale_f32 v81, vcc, 1.0, v79, 1.0
	v_rcp_f32_e32 v82, v78
	v_fma_f32 v83, -v78, v82, 1.0
	v_fmac_f32_e32 v82, v83, v82
	v_mul_f32_e32 v83, v81, v82
	v_fma_f32 v84, -v78, v83, v81
	v_fmac_f32_e32 v83, v84, v82
	v_fma_f32 v78, -v78, v83, v81
	v_div_fmas_f32 v78, v78, v82, v83
	v_div_fixup_f32 v78, v78, v79, 1.0
	v_mul_f32_e32 v82, v77, v78
	v_xor_b32_e32 v81, 0x80000000, v78
	v_xor_b32_e32 v77, 0x80000000, v82
                                        ; implicit-def: $vgpr78
                                        ; implicit-def: $vgpr79
.LBB37_15:
	s_andn2_saveexec_b64 s[8:9], s[8:9]
	s_cbranch_execz .LBB37_17
; %bb.16:
	v_div_scale_f32 v77, s[12:13], v78, v78, v79
	v_div_scale_f32 v81, vcc, v79, v78, v79
	v_rcp_f32_e32 v82, v77
	v_fma_f32 v83, -v77, v82, 1.0
	v_fmac_f32_e32 v82, v83, v82
	v_mul_f32_e32 v83, v81, v82
	v_fma_f32 v84, -v77, v83, v81
	v_fmac_f32_e32 v83, v84, v82
	v_fma_f32 v77, -v77, v83, v81
	v_div_fmas_f32 v77, v77, v82, v83
	v_div_fixup_f32 v81, v77, v78, v79
	v_fmac_f32_e32 v78, v79, v81
	v_div_scale_f32 v77, s[12:13], v78, v78, 1.0
	v_div_scale_f32 v79, vcc, 1.0, v78, 1.0
	v_rcp_f32_e32 v82, v77
	v_fma_f32 v83, -v77, v82, 1.0
	v_fmac_f32_e32 v82, v83, v82
	v_mul_f32_e32 v83, v79, v82
	v_fma_f32 v84, -v77, v83, v79
	v_fmac_f32_e32 v83, v84, v82
	v_fma_f32 v77, -v77, v83, v79
	v_div_fmas_f32 v77, v77, v82, v83
	v_div_fixup_f32 v82, v77, v78, 1.0
	v_xor_b32_e32 v77, 0x80000000, v82
	v_mul_f32_e64 v81, v81, -v82
.LBB37_17:
	s_or_b64 exec, exec, s[8:9]
	buffer_store_dword v82, v80, s[0:3], 0 offen
	buffer_store_dword v81, v80, s[0:3], 0 offen offset:4
	buffer_load_dword v83, off, s[0:3], 0 offset:12
	s_nop 0
	buffer_load_dword v82, off, s[0:3], 0 offset:8
	v_xor_b32_e32 v78, 0x80000000, v81
	v_add_u32_e32 v79, 0x130, v119
	s_waitcnt vmcnt(0)
	ds_write2_b64 v119, v[77:78], v[82:83] offset1:38
	s_waitcnt lgkmcnt(0)
	; wave barrier
	s_and_saveexec_b64 s[8:9], s[4:5]
	s_cbranch_execz .LBB37_19
; %bb.18:
	buffer_load_dword v83, v80, s[0:3], 0 offen offset:4
	buffer_load_dword v84, v80, s[0:3], 0 offen
	ds_read_b64 v[77:78], v79
	v_mov_b32_e32 v81, 0
	ds_read_b64 v[81:82], v81 offset:8
	s_waitcnt vmcnt(1) lgkmcnt(1)
	v_mul_f32_e32 v85, v78, v83
	v_mul_f32_e32 v83, v77, v83
	s_waitcnt vmcnt(0)
	v_fmac_f32_e32 v83, v78, v84
	v_fma_f32 v77, v77, v84, -v85
	v_add_f32_e32 v78, 0, v83
	v_add_f32_e32 v77, 0, v77
	s_waitcnt lgkmcnt(0)
	v_mul_f32_e32 v83, v78, v82
	v_mul_f32_e32 v82, v77, v82
	v_fma_f32 v77, v77, v81, -v83
	v_fmac_f32_e32 v82, v78, v81
	buffer_store_dword v77, off, s[0:3], 0 offset:8
	buffer_store_dword v82, off, s[0:3], 0 offset:12
.LBB37_19:
	s_or_b64 exec, exec, s[8:9]
	; wave barrier
	buffer_load_dword v77, off, s[0:3], 0 offset:16
	buffer_load_dword v78, off, s[0:3], 0 offset:20
	v_cmp_gt_u32_e32 vcc, 2, v0
	s_waitcnt vmcnt(0)
	ds_write_b64 v79, v[77:78]
	s_waitcnt lgkmcnt(0)
	; wave barrier
	s_and_saveexec_b64 s[8:9], vcc
	s_cbranch_execz .LBB37_23
; %bb.20:
	buffer_load_dword v81, v80, s[0:3], 0 offen offset:4
	buffer_load_dword v82, v80, s[0:3], 0 offen
	ds_read_b64 v[77:78], v79
	s_waitcnt vmcnt(1) lgkmcnt(0)
	v_mul_f32_e32 v80, v78, v81
	v_mul_f32_e32 v81, v77, v81
	s_waitcnt vmcnt(0)
	v_fma_f32 v77, v77, v82, -v80
	v_fmac_f32_e32 v81, v78, v82
	v_add_f32_e32 v78, 0, v77
	v_add_f32_e32 v77, 0, v81
	s_and_saveexec_b64 s[12:13], s[4:5]
	s_cbranch_execz .LBB37_22
; %bb.21:
	buffer_load_dword v82, off, s[0:3], 0 offset:12
	buffer_load_dword v83, off, s[0:3], 0 offset:8
	v_mov_b32_e32 v80, 0
	ds_read_b64 v[80:81], v80 offset:312
	s_waitcnt vmcnt(1) lgkmcnt(0)
	v_mul_f32_e32 v84, v80, v82
	v_mul_f32_e32 v82, v81, v82
	s_waitcnt vmcnt(0)
	v_fmac_f32_e32 v84, v81, v83
	v_fma_f32 v80, v80, v83, -v82
	v_add_f32_e32 v77, v77, v84
	v_add_f32_e32 v78, v78, v80
.LBB37_22:
	s_or_b64 exec, exec, s[12:13]
	v_mov_b32_e32 v80, 0
	ds_read_b64 v[80:81], v80 offset:16
	s_waitcnt lgkmcnt(0)
	v_mul_f32_e32 v82, v77, v81
	v_mul_f32_e32 v81, v78, v81
	v_fma_f32 v78, v78, v80, -v82
	v_fmac_f32_e32 v81, v77, v80
	buffer_store_dword v78, off, s[0:3], 0 offset:16
	buffer_store_dword v81, off, s[0:3], 0 offset:20
.LBB37_23:
	s_or_b64 exec, exec, s[8:9]
	; wave barrier
	buffer_load_dword v77, off, s[0:3], 0 offset:24
	buffer_load_dword v78, off, s[0:3], 0 offset:28
	v_cmp_gt_u32_e32 vcc, 3, v0
	s_waitcnt vmcnt(0)
	ds_write_b64 v79, v[77:78]
	v_add_u32_e32 v77, -1, v0
	s_waitcnt lgkmcnt(0)
	; wave barrier
	s_and_saveexec_b64 s[4:5], vcc
	s_cbranch_execz .LBB37_27
; %bb.24:
	v_add_u32_e32 v80, -1, v0
	v_add_u32_e32 v81, 0x130, v119
	v_mov_b32_e32 v82, v119
	v_mov_b32_e32 v78, 0
	s_mov_b64 s[8:9], 0
	v_mov_b32_e32 v83, 0
.LBB37_25:                              ; =>This Inner Loop Header: Depth=1
	buffer_load_dword v86, v82, s[0:3], 0 offen offset:4
	buffer_load_dword v87, v82, s[0:3], 0 offen
	ds_read_b64 v[84:85], v81
	v_add_u32_e32 v80, 1, v80
	v_cmp_lt_u32_e32 vcc, 1, v80
	v_add_u32_e32 v81, 8, v81
	v_add_u32_e32 v82, 8, v82
	s_or_b64 s[8:9], vcc, s[8:9]
	s_waitcnt vmcnt(1) lgkmcnt(0)
	v_mul_f32_e32 v88, v85, v86
	v_mul_f32_e32 v86, v84, v86
	s_waitcnt vmcnt(0)
	v_fma_f32 v84, v84, v87, -v88
	v_fmac_f32_e32 v86, v85, v87
	v_add_f32_e32 v83, v83, v84
	v_add_f32_e32 v78, v78, v86
	s_andn2_b64 exec, exec, s[8:9]
	s_cbranch_execnz .LBB37_25
; %bb.26:
	s_or_b64 exec, exec, s[8:9]
	v_mov_b32_e32 v80, 0
	ds_read_b64 v[80:81], v80 offset:24
	s_waitcnt lgkmcnt(0)
	v_mul_f32_e32 v82, v78, v81
	v_mul_f32_e32 v81, v83, v81
	v_fma_f32 v82, v83, v80, -v82
	v_fmac_f32_e32 v81, v78, v80
	buffer_store_dword v82, off, s[0:3], 0 offset:24
	buffer_store_dword v81, off, s[0:3], 0 offset:28
.LBB37_27:
	s_or_b64 exec, exec, s[4:5]
	; wave barrier
	buffer_load_dword v80, off, s[0:3], 0 offset:32
	buffer_load_dword v81, off, s[0:3], 0 offset:36
	v_cmp_gt_u32_e32 vcc, 4, v0
	s_waitcnt vmcnt(0)
	ds_write_b64 v79, v[80:81]
	s_waitcnt lgkmcnt(0)
	; wave barrier
	s_and_saveexec_b64 s[4:5], vcc
	s_cbranch_execz .LBB37_31
; %bb.28:
	v_add_u32_e32 v80, -1, v0
	v_add_u32_e32 v81, 0x130, v119
	v_mov_b32_e32 v82, v119
	v_mov_b32_e32 v78, 0
	s_mov_b64 s[8:9], 0
	v_mov_b32_e32 v83, 0
.LBB37_29:                              ; =>This Inner Loop Header: Depth=1
	buffer_load_dword v86, v82, s[0:3], 0 offen offset:4
	buffer_load_dword v87, v82, s[0:3], 0 offen
	ds_read_b64 v[84:85], v81
	v_add_u32_e32 v80, 1, v80
	v_cmp_lt_u32_e32 vcc, 2, v80
	v_add_u32_e32 v81, 8, v81
	v_add_u32_e32 v82, 8, v82
	s_or_b64 s[8:9], vcc, s[8:9]
	s_waitcnt vmcnt(1) lgkmcnt(0)
	v_mul_f32_e32 v88, v85, v86
	v_mul_f32_e32 v86, v84, v86
	s_waitcnt vmcnt(0)
	v_fma_f32 v84, v84, v87, -v88
	v_fmac_f32_e32 v86, v85, v87
	v_add_f32_e32 v83, v83, v84
	v_add_f32_e32 v78, v78, v86
	s_andn2_b64 exec, exec, s[8:9]
	s_cbranch_execnz .LBB37_29
; %bb.30:
	s_or_b64 exec, exec, s[8:9]
	v_mov_b32_e32 v80, 0
	ds_read_b64 v[80:81], v80 offset:32
	s_waitcnt lgkmcnt(0)
	v_mul_f32_e32 v82, v78, v81
	v_mul_f32_e32 v81, v83, v81
	v_fma_f32 v82, v83, v80, -v82
	v_fmac_f32_e32 v81, v78, v80
	buffer_store_dword v82, off, s[0:3], 0 offset:32
	buffer_store_dword v81, off, s[0:3], 0 offset:36
.LBB37_31:
	s_or_b64 exec, exec, s[4:5]
	; wave barrier
	buffer_load_dword v80, off, s[0:3], 0 offset:40
	buffer_load_dword v81, off, s[0:3], 0 offset:44
	v_cmp_gt_u32_e32 vcc, 5, v0
	s_waitcnt vmcnt(0)
	ds_write_b64 v79, v[80:81]
	;; [unrolled: 49-line block ×19, first 2 shown]
	s_waitcnt lgkmcnt(0)
	; wave barrier
	s_and_saveexec_b64 s[4:5], vcc
	s_cbranch_execz .LBB37_103
; %bb.100:
	v_add_u32_e32 v80, -1, v0
	v_add_u32_e32 v81, 0x130, v119
	v_mov_b32_e32 v82, v119
	v_mov_b32_e32 v78, 0
	s_mov_b64 s[8:9], 0
	v_mov_b32_e32 v83, 0
.LBB37_101:                             ; =>This Inner Loop Header: Depth=1
	buffer_load_dword v86, v82, s[0:3], 0 offen offset:4
	buffer_load_dword v87, v82, s[0:3], 0 offen
	ds_read_b64 v[84:85], v81
	v_add_u32_e32 v80, 1, v80
	v_cmp_lt_u32_e32 vcc, 20, v80
	v_add_u32_e32 v81, 8, v81
	v_add_u32_e32 v82, 8, v82
	s_or_b64 s[8:9], vcc, s[8:9]
	s_waitcnt vmcnt(1) lgkmcnt(0)
	v_mul_f32_e32 v88, v85, v86
	v_mul_f32_e32 v86, v84, v86
	s_waitcnt vmcnt(0)
	v_fma_f32 v84, v84, v87, -v88
	v_fmac_f32_e32 v86, v85, v87
	v_add_f32_e32 v83, v83, v84
	v_add_f32_e32 v78, v78, v86
	s_andn2_b64 exec, exec, s[8:9]
	s_cbranch_execnz .LBB37_101
; %bb.102:
	s_or_b64 exec, exec, s[8:9]
	v_mov_b32_e32 v80, 0
	ds_read_b64 v[80:81], v80 offset:176
	s_waitcnt lgkmcnt(0)
	v_mul_f32_e32 v82, v78, v81
	v_mul_f32_e32 v81, v83, v81
	v_fma_f32 v82, v83, v80, -v82
	v_fmac_f32_e32 v81, v78, v80
	buffer_store_dword v82, off, s[0:3], 0 offset:176
	buffer_store_dword v81, off, s[0:3], 0 offset:180
.LBB37_103:
	s_or_b64 exec, exec, s[4:5]
	; wave barrier
	buffer_load_dword v80, off, s[0:3], 0 offset:184
	buffer_load_dword v81, off, s[0:3], 0 offset:188
	v_cmp_gt_u32_e32 vcc, 23, v0
	s_waitcnt vmcnt(0)
	ds_write_b64 v79, v[80:81]
	s_waitcnt lgkmcnt(0)
	; wave barrier
	s_and_saveexec_b64 s[4:5], vcc
	s_cbranch_execz .LBB37_107
; %bb.104:
	v_add_u32_e32 v80, -1, v0
	v_add_u32_e32 v81, 0x130, v119
	v_mov_b32_e32 v82, v119
	v_mov_b32_e32 v78, 0
	s_mov_b64 s[8:9], 0
	v_mov_b32_e32 v83, 0
.LBB37_105:                             ; =>This Inner Loop Header: Depth=1
	buffer_load_dword v86, v82, s[0:3], 0 offen offset:4
	buffer_load_dword v87, v82, s[0:3], 0 offen
	ds_read_b64 v[84:85], v81
	v_add_u32_e32 v80, 1, v80
	v_cmp_lt_u32_e32 vcc, 21, v80
	v_add_u32_e32 v81, 8, v81
	v_add_u32_e32 v82, 8, v82
	s_or_b64 s[8:9], vcc, s[8:9]
	s_waitcnt vmcnt(1) lgkmcnt(0)
	v_mul_f32_e32 v88, v85, v86
	v_mul_f32_e32 v86, v84, v86
	s_waitcnt vmcnt(0)
	v_fma_f32 v84, v84, v87, -v88
	v_fmac_f32_e32 v86, v85, v87
	v_add_f32_e32 v83, v83, v84
	v_add_f32_e32 v78, v78, v86
	s_andn2_b64 exec, exec, s[8:9]
	s_cbranch_execnz .LBB37_105
; %bb.106:
	s_or_b64 exec, exec, s[8:9]
	v_mov_b32_e32 v80, 0
	ds_read_b64 v[80:81], v80 offset:184
	s_waitcnt lgkmcnt(0)
	v_mul_f32_e32 v82, v78, v81
	v_mul_f32_e32 v81, v83, v81
	v_fma_f32 v82, v83, v80, -v82
	v_fmac_f32_e32 v81, v78, v80
	buffer_store_dword v82, off, s[0:3], 0 offset:184
	buffer_store_dword v81, off, s[0:3], 0 offset:188
.LBB37_107:
	s_or_b64 exec, exec, s[4:5]
	; wave barrier
	buffer_load_dword v80, off, s[0:3], 0 offset:192
	buffer_load_dword v81, off, s[0:3], 0 offset:196
	v_cmp_gt_u32_e32 vcc, 24, v0
	s_waitcnt vmcnt(0)
	ds_write_b64 v79, v[80:81]
	;; [unrolled: 49-line block ×14, first 2 shown]
	s_waitcnt lgkmcnt(0)
	; wave barrier
	s_and_saveexec_b64 s[4:5], vcc
	s_cbranch_execz .LBB37_159
; %bb.156:
	v_add_u32_e32 v80, -1, v0
	v_add_u32_e32 v81, 0x130, v119
	v_mov_b32_e32 v82, v119
	v_mov_b32_e32 v78, 0
	s_mov_b64 s[8:9], 0
	v_mov_b32_e32 v83, 0
.LBB37_157:                             ; =>This Inner Loop Header: Depth=1
	buffer_load_dword v86, v82, s[0:3], 0 offen offset:4
	buffer_load_dword v87, v82, s[0:3], 0 offen
	ds_read_b64 v[84:85], v81
	v_add_u32_e32 v80, 1, v80
	v_cmp_lt_u32_e32 vcc, 34, v80
	v_add_u32_e32 v81, 8, v81
	v_add_u32_e32 v82, 8, v82
	s_or_b64 s[8:9], vcc, s[8:9]
	s_waitcnt vmcnt(1) lgkmcnt(0)
	v_mul_f32_e32 v88, v85, v86
	v_mul_f32_e32 v86, v84, v86
	s_waitcnt vmcnt(0)
	v_fma_f32 v84, v84, v87, -v88
	v_fmac_f32_e32 v86, v85, v87
	v_add_f32_e32 v83, v83, v84
	v_add_f32_e32 v78, v78, v86
	s_andn2_b64 exec, exec, s[8:9]
	s_cbranch_execnz .LBB37_157
; %bb.158:
	s_or_b64 exec, exec, s[8:9]
	v_mov_b32_e32 v80, 0
	ds_read_b64 v[80:81], v80 offset:288
	s_waitcnt lgkmcnt(0)
	v_mul_f32_e32 v82, v78, v81
	v_mul_f32_e32 v81, v83, v81
	v_fma_f32 v82, v83, v80, -v82
	v_fmac_f32_e32 v81, v78, v80
	buffer_store_dword v82, off, s[0:3], 0 offset:288
	buffer_store_dword v81, off, s[0:3], 0 offset:292
.LBB37_159:
	s_or_b64 exec, exec, s[4:5]
	; wave barrier
	buffer_load_dword v80, off, s[0:3], 0 offset:296
	buffer_load_dword v81, off, s[0:3], 0 offset:300
	v_cmp_ne_u32_e32 vcc, 37, v0
	s_waitcnt vmcnt(0)
	ds_write_b64 v79, v[80:81]
	s_waitcnt lgkmcnt(0)
	; wave barrier
	s_and_saveexec_b64 s[4:5], vcc
	s_cbranch_execz .LBB37_163
; %bb.160:
	v_add_u32_e32 v79, 0x130, v119
	v_mov_b32_e32 v80, v119
	v_mov_b32_e32 v78, 0
	s_mov_b64 s[8:9], 0
	v_mov_b32_e32 v81, 0
.LBB37_161:                             ; =>This Inner Loop Header: Depth=1
	buffer_load_dword v84, v80, s[0:3], 0 offen offset:4
	buffer_load_dword v85, v80, s[0:3], 0 offen
	ds_read_b64 v[82:83], v79
	v_add_u32_e32 v77, 1, v77
	v_cmp_lt_u32_e32 vcc, 35, v77
	v_add_u32_e32 v79, 8, v79
	v_add_u32_e32 v80, 8, v80
	s_or_b64 s[8:9], vcc, s[8:9]
	s_waitcnt vmcnt(1) lgkmcnt(0)
	v_mul_f32_e32 v86, v83, v84
	v_mul_f32_e32 v84, v82, v84
	s_waitcnt vmcnt(0)
	v_fma_f32 v82, v82, v85, -v86
	v_fmac_f32_e32 v84, v83, v85
	v_add_f32_e32 v81, v81, v82
	v_add_f32_e32 v78, v78, v84
	s_andn2_b64 exec, exec, s[8:9]
	s_cbranch_execnz .LBB37_161
; %bb.162:
	s_or_b64 exec, exec, s[8:9]
	v_mov_b32_e32 v77, 0
	ds_read_b64 v[79:80], v77 offset:296
	s_waitcnt lgkmcnt(0)
	v_mul_f32_e32 v77, v78, v80
	v_mul_f32_e32 v80, v81, v80
	v_fma_f32 v77, v81, v79, -v77
	v_fmac_f32_e32 v80, v78, v79
	buffer_store_dword v77, off, s[0:3], 0 offset:296
	buffer_store_dword v80, off, s[0:3], 0 offset:300
.LBB37_163:
	s_or_b64 exec, exec, s[4:5]
	s_mov_b64 s[8:9], -1
	; wave barrier
.LBB37_164:
	s_and_b64 vcc, exec, s[8:9]
	s_cbranch_vccz .LBB37_166
; %bb.165:
	s_lshl_b64 s[4:5], s[6:7], 2
	s_add_u32 s4, s10, s4
	s_addc_u32 s5, s11, s5
	v_mov_b32_e32 v77, 0
	global_load_dword v77, v77, s[4:5]
	s_waitcnt vmcnt(0)
	v_cmp_ne_u32_e32 vcc, 0, v77
	s_cbranch_vccz .LBB37_167
.LBB37_166:
	s_endpgm
.LBB37_167:
	v_mov_b32_e32 v77, 0x130
	v_lshl_add_u32 v77, v0, 3, v77
	v_cmp_eq_u32_e32 vcc, 37, v0
	s_and_saveexec_b64 s[4:5], vcc
	s_cbranch_execz .LBB37_169
; %bb.168:
	buffer_load_dword v78, off, s[0:3], 0 offset:288
	buffer_load_dword v79, off, s[0:3], 0 offset:292
	v_mov_b32_e32 v80, 0
	buffer_store_dword v80, off, s[0:3], 0 offset:288
	buffer_store_dword v80, off, s[0:3], 0 offset:292
	s_waitcnt vmcnt(2)
	ds_write_b64 v77, v[78:79]
.LBB37_169:
	s_or_b64 exec, exec, s[4:5]
	s_waitcnt lgkmcnt(0)
	; wave barrier
	buffer_load_dword v81, off, s[0:3], 0 offset:300
	buffer_load_dword v82, off, s[0:3], 0 offset:296
	;; [unrolled: 1-line block ×4, first 2 shown]
	v_mov_b32_e32 v78, 0
	ds_read_b64 v[79:80], v78 offset:600
	v_cmp_lt_u32_e32 vcc, 35, v0
	s_waitcnt vmcnt(3) lgkmcnt(0)
	v_mul_f32_e32 v85, v79, v81
	v_mul_f32_e32 v81, v80, v81
	s_waitcnt vmcnt(2)
	v_fma_f32 v79, v79, v82, -v81
	v_fmac_f32_e32 v85, v80, v82
	v_add_f32_e32 v79, 0, v79
	v_add_f32_e32 v80, 0, v85
	s_waitcnt vmcnt(1)
	v_sub_f32_e32 v79, v83, v79
	s_waitcnt vmcnt(0)
	v_sub_f32_e32 v80, v84, v80
	buffer_store_dword v79, off, s[0:3], 0 offset:288
	buffer_store_dword v80, off, s[0:3], 0 offset:292
	s_and_saveexec_b64 s[4:5], vcc
	s_cbranch_execz .LBB37_171
; %bb.170:
	buffer_load_dword v79, off, s[0:3], 0 offset:280
	buffer_load_dword v80, off, s[0:3], 0 offset:284
	s_waitcnt vmcnt(0)
	ds_write_b64 v77, v[79:80]
	buffer_store_dword v78, off, s[0:3], 0 offset:280
	buffer_store_dword v78, off, s[0:3], 0 offset:284
.LBB37_171:
	s_or_b64 exec, exec, s[4:5]
	s_waitcnt lgkmcnt(0)
	; wave barrier
	buffer_load_dword v82, off, s[0:3], 0 offset:292
	buffer_load_dword v83, off, s[0:3], 0 offset:300
	;; [unrolled: 1-line block ×6, first 2 shown]
	ds_read_b128 v[78:81], v78 offset:592
	v_cmp_lt_u32_e32 vcc, 34, v0
	s_waitcnt vmcnt(5) lgkmcnt(0)
	v_mul_f32_e32 v88, v78, v82
	v_mul_f32_e32 v82, v79, v82
	s_waitcnt vmcnt(4)
	v_mul_f32_e32 v89, v80, v83
	v_mul_f32_e32 v83, v81, v83
	s_waitcnt vmcnt(3)
	v_fma_f32 v78, v78, v84, -v82
	v_fmac_f32_e32 v88, v79, v84
	s_waitcnt vmcnt(2)
	v_fma_f32 v79, v80, v85, -v83
	v_add_f32_e32 v78, 0, v78
	v_fmac_f32_e32 v89, v81, v85
	v_add_f32_e32 v80, 0, v88
	v_add_f32_e32 v78, v78, v79
	;; [unrolled: 1-line block ×3, first 2 shown]
	s_waitcnt vmcnt(1)
	v_sub_f32_e32 v78, v86, v78
	s_waitcnt vmcnt(0)
	v_sub_f32_e32 v79, v87, v80
	buffer_store_dword v78, off, s[0:3], 0 offset:280
	buffer_store_dword v79, off, s[0:3], 0 offset:284
	s_and_saveexec_b64 s[4:5], vcc
	s_cbranch_execz .LBB37_173
; %bb.172:
	buffer_load_dword v78, off, s[0:3], 0 offset:272
	buffer_load_dword v79, off, s[0:3], 0 offset:276
	v_mov_b32_e32 v80, 0
	buffer_store_dword v80, off, s[0:3], 0 offset:272
	buffer_store_dword v80, off, s[0:3], 0 offset:276
	s_waitcnt vmcnt(2)
	ds_write_b64 v77, v[78:79]
.LBB37_173:
	s_or_b64 exec, exec, s[4:5]
	s_waitcnt lgkmcnt(0)
	; wave barrier
	buffer_load_dword v85, off, s[0:3], 0 offset:284
	buffer_load_dword v86, off, s[0:3], 0 offset:292
	;; [unrolled: 1-line block ×8, first 2 shown]
	v_mov_b32_e32 v78, 0
	ds_read2_b64 v[79:82], v78 offset0:73 offset1:74
	ds_read_b64 v[83:84], v78 offset:600
	v_cmp_lt_u32_e32 vcc, 33, v0
	s_waitcnt vmcnt(7) lgkmcnt(1)
	v_mul_f32_e32 v93, v79, v85
	v_mul_f32_e32 v85, v80, v85
	s_waitcnt vmcnt(6)
	v_mul_f32_e32 v94, v81, v86
	v_mul_f32_e32 v86, v82, v86
	s_waitcnt vmcnt(4)
	v_fma_f32 v79, v79, v88, -v85
	s_waitcnt lgkmcnt(0)
	v_mul_f32_e32 v95, v83, v87
	v_mul_f32_e32 v87, v84, v87
	v_fmac_f32_e32 v93, v80, v88
	s_waitcnt vmcnt(3)
	v_fma_f32 v80, v81, v89, -v86
	v_add_f32_e32 v79, 0, v79
	v_fmac_f32_e32 v94, v82, v89
	s_waitcnt vmcnt(2)
	v_fma_f32 v81, v83, v90, -v87
	v_add_f32_e32 v82, 0, v93
	v_add_f32_e32 v79, v79, v80
	v_fmac_f32_e32 v95, v84, v90
	v_add_f32_e32 v82, v82, v94
	v_add_f32_e32 v79, v79, v81
	;; [unrolled: 1-line block ×3, first 2 shown]
	s_waitcnt vmcnt(1)
	v_sub_f32_e32 v79, v91, v79
	s_waitcnt vmcnt(0)
	v_sub_f32_e32 v80, v92, v80
	buffer_store_dword v79, off, s[0:3], 0 offset:272
	buffer_store_dword v80, off, s[0:3], 0 offset:276
	s_and_saveexec_b64 s[4:5], vcc
	s_cbranch_execz .LBB37_175
; %bb.174:
	buffer_load_dword v79, off, s[0:3], 0 offset:264
	buffer_load_dword v80, off, s[0:3], 0 offset:268
	s_waitcnt vmcnt(0)
	ds_write_b64 v77, v[79:80]
	buffer_store_dword v78, off, s[0:3], 0 offset:264
	buffer_store_dword v78, off, s[0:3], 0 offset:268
.LBB37_175:
	s_or_b64 exec, exec, s[4:5]
	s_waitcnt lgkmcnt(0)
	; wave barrier
	buffer_load_dword v87, off, s[0:3], 0 offset:276
	buffer_load_dword v88, off, s[0:3], 0 offset:284
	;; [unrolled: 1-line block ×10, first 2 shown]
	ds_read_b128 v[79:82], v78 offset:576
	ds_read_b128 v[83:86], v78 offset:592
	v_cmp_lt_u32_e32 vcc, 32, v0
	s_waitcnt vmcnt(9) lgkmcnt(1)
	v_mul_f32_e32 v78, v79, v87
	v_mul_f32_e32 v87, v80, v87
	s_waitcnt vmcnt(8)
	v_mul_f32_e32 v97, v81, v88
	v_mul_f32_e32 v88, v82, v88
	s_waitcnt vmcnt(5)
	v_fma_f32 v79, v79, v91, -v87
	s_waitcnt lgkmcnt(0)
	v_mul_f32_e32 v98, v83, v89
	v_mul_f32_e32 v89, v84, v89
	v_fmac_f32_e32 v78, v80, v91
	s_waitcnt vmcnt(4)
	v_fma_f32 v80, v81, v92, -v88
	v_add_f32_e32 v79, 0, v79
	v_mul_f32_e32 v99, v85, v90
	v_mul_f32_e32 v90, v86, v90
	v_fmac_f32_e32 v97, v82, v92
	s_waitcnt vmcnt(3)
	v_fma_f32 v81, v83, v93, -v89
	v_add_f32_e32 v78, 0, v78
	v_add_f32_e32 v79, v79, v80
	v_fmac_f32_e32 v98, v84, v93
	s_waitcnt vmcnt(2)
	v_fma_f32 v82, v85, v94, -v90
	v_add_f32_e32 v78, v78, v97
	v_add_f32_e32 v79, v79, v81
	v_fmac_f32_e32 v99, v86, v94
	v_add_f32_e32 v78, v78, v98
	v_add_f32_e32 v79, v79, v82
	;; [unrolled: 1-line block ×3, first 2 shown]
	s_waitcnt vmcnt(1)
	v_sub_f32_e32 v79, v95, v79
	s_waitcnt vmcnt(0)
	v_sub_f32_e32 v78, v96, v78
	buffer_store_dword v79, off, s[0:3], 0 offset:264
	buffer_store_dword v78, off, s[0:3], 0 offset:268
	s_and_saveexec_b64 s[4:5], vcc
	s_cbranch_execz .LBB37_177
; %bb.176:
	buffer_load_dword v78, off, s[0:3], 0 offset:256
	buffer_load_dword v79, off, s[0:3], 0 offset:260
	v_mov_b32_e32 v80, 0
	buffer_store_dword v80, off, s[0:3], 0 offset:256
	buffer_store_dword v80, off, s[0:3], 0 offset:260
	s_waitcnt vmcnt(2)
	ds_write_b64 v77, v[78:79]
.LBB37_177:
	s_or_b64 exec, exec, s[4:5]
	s_waitcnt lgkmcnt(0)
	; wave barrier
	buffer_load_dword v89, off, s[0:3], 0 offset:268
	buffer_load_dword v90, off, s[0:3], 0 offset:276
	;; [unrolled: 1-line block ×12, first 2 shown]
	v_mov_b32_e32 v78, 0
	ds_read2_b64 v[79:82], v78 offset0:71 offset1:72
	ds_read2_b64 v[83:86], v78 offset0:73 offset1:74
	ds_read_b64 v[87:88], v78 offset:600
	v_cmp_lt_u32_e32 vcc, 31, v0
	s_waitcnt vmcnt(11) lgkmcnt(2)
	v_mul_f32_e32 v101, v79, v89
	v_mul_f32_e32 v89, v80, v89
	s_waitcnt vmcnt(10)
	v_mul_f32_e32 v102, v81, v90
	v_mul_f32_e32 v90, v82, v90
	s_waitcnt vmcnt(9) lgkmcnt(1)
	v_mul_f32_e32 v103, v83, v91
	s_waitcnt vmcnt(6)
	v_fma_f32 v79, v79, v94, -v89
	v_mul_f32_e32 v91, v84, v91
	v_fmac_f32_e32 v101, v80, v94
	s_waitcnt vmcnt(5)
	v_fma_f32 v80, v81, v95, -v90
	v_add_f32_e32 v79, 0, v79
	v_mul_f32_e32 v104, v85, v92
	v_mul_f32_e32 v92, v86, v92
	v_fmac_f32_e32 v102, v82, v95
	s_waitcnt vmcnt(4)
	v_fmac_f32_e32 v103, v84, v96
	v_fma_f32 v81, v83, v96, -v91
	v_add_f32_e32 v84, 0, v101
	v_add_f32_e32 v79, v79, v80
	s_waitcnt lgkmcnt(0)
	v_mul_f32_e32 v105, v87, v93
	v_mul_f32_e32 v93, v88, v93
	s_waitcnt vmcnt(3)
	v_fma_f32 v82, v85, v97, -v92
	v_add_f32_e32 v84, v84, v102
	v_add_f32_e32 v79, v79, v81
	v_fmac_f32_e32 v104, v86, v97
	s_waitcnt vmcnt(2)
	v_fma_f32 v83, v87, v98, -v93
	v_add_f32_e32 v80, v84, v103
	v_add_f32_e32 v79, v79, v82
	v_fmac_f32_e32 v105, v88, v98
	v_add_f32_e32 v80, v80, v104
	v_add_f32_e32 v79, v79, v83
	;; [unrolled: 1-line block ×3, first 2 shown]
	s_waitcnt vmcnt(1)
	v_sub_f32_e32 v79, v99, v79
	s_waitcnt vmcnt(0)
	v_sub_f32_e32 v80, v100, v80
	buffer_store_dword v79, off, s[0:3], 0 offset:256
	buffer_store_dword v80, off, s[0:3], 0 offset:260
	s_and_saveexec_b64 s[4:5], vcc
	s_cbranch_execz .LBB37_179
; %bb.178:
	buffer_load_dword v79, off, s[0:3], 0 offset:248
	buffer_load_dword v80, off, s[0:3], 0 offset:252
	s_waitcnt vmcnt(0)
	ds_write_b64 v77, v[79:80]
	buffer_store_dword v78, off, s[0:3], 0 offset:248
	buffer_store_dword v78, off, s[0:3], 0 offset:252
.LBB37_179:
	s_or_b64 exec, exec, s[4:5]
	s_waitcnt lgkmcnt(0)
	; wave barrier
	buffer_load_dword v91, off, s[0:3], 0 offset:260
	buffer_load_dword v92, off, s[0:3], 0 offset:268
	;; [unrolled: 1-line block ×14, first 2 shown]
	ds_read_b128 v[79:82], v78 offset:560
	ds_read_b128 v[83:86], v78 offset:576
	;; [unrolled: 1-line block ×3, first 2 shown]
	v_cmp_lt_u32_e32 vcc, 30, v0
	s_waitcnt vmcnt(13) lgkmcnt(2)
	v_mul_f32_e32 v78, v79, v91
	v_mul_f32_e32 v91, v80, v91
	s_waitcnt vmcnt(12)
	v_mul_f32_e32 v105, v81, v92
	v_mul_f32_e32 v92, v82, v92
	s_waitcnt vmcnt(11) lgkmcnt(1)
	v_mul_f32_e32 v106, v83, v93
	v_mul_f32_e32 v93, v84, v93
	s_waitcnt vmcnt(7)
	v_fma_f32 v79, v79, v97, -v91
	v_fmac_f32_e32 v78, v80, v97
	s_waitcnt vmcnt(6)
	v_fma_f32 v80, v81, v98, -v92
	v_add_f32_e32 v79, 0, v79
	v_mul_f32_e32 v107, v85, v94
	v_mul_f32_e32 v94, v86, v94
	v_fmac_f32_e32 v105, v82, v98
	s_waitcnt vmcnt(5)
	v_fma_f32 v81, v83, v99, -v93
	v_add_f32_e32 v78, 0, v78
	v_add_f32_e32 v79, v79, v80
	s_waitcnt lgkmcnt(0)
	v_mul_f32_e32 v108, v87, v95
	v_mul_f32_e32 v95, v88, v95
	v_fmac_f32_e32 v106, v84, v99
	s_waitcnt vmcnt(4)
	v_fma_f32 v82, v85, v100, -v94
	v_add_f32_e32 v78, v78, v105
	v_add_f32_e32 v79, v79, v81
	v_mul_f32_e32 v109, v89, v96
	v_mul_f32_e32 v96, v90, v96
	v_fmac_f32_e32 v107, v86, v100
	s_waitcnt vmcnt(3)
	v_fma_f32 v83, v87, v101, -v95
	v_add_f32_e32 v78, v78, v106
	v_add_f32_e32 v79, v79, v82
	v_fmac_f32_e32 v108, v88, v101
	s_waitcnt vmcnt(2)
	v_fma_f32 v84, v89, v102, -v96
	v_add_f32_e32 v78, v78, v107
	v_add_f32_e32 v79, v79, v83
	v_fmac_f32_e32 v109, v90, v102
	v_add_f32_e32 v78, v78, v108
	v_add_f32_e32 v79, v79, v84
	v_add_f32_e32 v78, v78, v109
	s_waitcnt vmcnt(1)
	v_sub_f32_e32 v79, v103, v79
	s_waitcnt vmcnt(0)
	v_sub_f32_e32 v78, v104, v78
	buffer_store_dword v79, off, s[0:3], 0 offset:248
	buffer_store_dword v78, off, s[0:3], 0 offset:252
	s_and_saveexec_b64 s[4:5], vcc
	s_cbranch_execz .LBB37_181
; %bb.180:
	buffer_load_dword v78, off, s[0:3], 0 offset:240
	buffer_load_dword v79, off, s[0:3], 0 offset:244
	v_mov_b32_e32 v80, 0
	buffer_store_dword v80, off, s[0:3], 0 offset:240
	buffer_store_dword v80, off, s[0:3], 0 offset:244
	s_waitcnt vmcnt(2)
	ds_write_b64 v77, v[78:79]
.LBB37_181:
	s_or_b64 exec, exec, s[4:5]
	s_waitcnt lgkmcnt(0)
	; wave barrier
	buffer_load_dword v93, off, s[0:3], 0 offset:252
	buffer_load_dword v94, off, s[0:3], 0 offset:260
	;; [unrolled: 1-line block ×16, first 2 shown]
	v_mov_b32_e32 v78, 0
	ds_read2_b64 v[79:82], v78 offset0:69 offset1:70
	ds_read2_b64 v[83:86], v78 offset0:71 offset1:72
	;; [unrolled: 1-line block ×3, first 2 shown]
	ds_read_b64 v[91:92], v78 offset:600
	v_cmp_lt_u32_e32 vcc, 29, v0
	s_waitcnt vmcnt(15) lgkmcnt(3)
	v_mul_f32_e32 v109, v79, v93
	v_mul_f32_e32 v93, v80, v93
	s_waitcnt vmcnt(14)
	v_mul_f32_e32 v110, v81, v94
	v_mul_f32_e32 v94, v82, v94
	s_waitcnt vmcnt(13) lgkmcnt(2)
	v_mul_f32_e32 v111, v83, v95
	s_waitcnt vmcnt(12)
	v_mul_f32_e32 v112, v85, v96
	v_mul_f32_e32 v95, v84, v95
	s_waitcnt vmcnt(8)
	v_fma_f32 v79, v79, v100, -v93
	v_fmac_f32_e32 v109, v80, v100
	s_waitcnt vmcnt(7)
	v_fma_f32 v80, v81, v101, -v94
	v_add_f32_e32 v79, 0, v79
	v_mul_f32_e32 v96, v86, v96
	v_fmac_f32_e32 v110, v82, v101
	s_waitcnt vmcnt(5)
	v_fmac_f32_e32 v112, v86, v103
	v_fma_f32 v81, v83, v102, -v95
	v_add_f32_e32 v86, 0, v109
	v_add_f32_e32 v79, v79, v80
	s_waitcnt lgkmcnt(1)
	v_mul_f32_e32 v113, v87, v97
	v_mul_f32_e32 v97, v88, v97
	v_fmac_f32_e32 v111, v84, v102
	v_fma_f32 v82, v85, v103, -v96
	v_add_f32_e32 v86, v86, v110
	v_add_f32_e32 v79, v79, v81
	v_mul_f32_e32 v114, v89, v98
	v_mul_f32_e32 v98, v90, v98
	s_waitcnt vmcnt(4)
	v_fma_f32 v83, v87, v104, -v97
	v_add_f32_e32 v80, v86, v111
	v_add_f32_e32 v79, v79, v82
	s_waitcnt lgkmcnt(0)
	v_mul_f32_e32 v115, v91, v99
	v_mul_f32_e32 v99, v92, v99
	v_fmac_f32_e32 v113, v88, v104
	s_waitcnt vmcnt(3)
	v_fma_f32 v84, v89, v105, -v98
	v_add_f32_e32 v80, v80, v112
	v_add_f32_e32 v79, v79, v83
	v_fmac_f32_e32 v114, v90, v105
	s_waitcnt vmcnt(2)
	v_fma_f32 v85, v91, v106, -v99
	v_add_f32_e32 v80, v80, v113
	v_add_f32_e32 v79, v79, v84
	v_fmac_f32_e32 v115, v92, v106
	v_add_f32_e32 v80, v80, v114
	v_add_f32_e32 v79, v79, v85
	;; [unrolled: 1-line block ×3, first 2 shown]
	s_waitcnt vmcnt(1)
	v_sub_f32_e32 v79, v107, v79
	s_waitcnt vmcnt(0)
	v_sub_f32_e32 v80, v108, v80
	buffer_store_dword v79, off, s[0:3], 0 offset:240
	buffer_store_dword v80, off, s[0:3], 0 offset:244
	s_and_saveexec_b64 s[4:5], vcc
	s_cbranch_execz .LBB37_183
; %bb.182:
	buffer_load_dword v79, off, s[0:3], 0 offset:232
	buffer_load_dword v80, off, s[0:3], 0 offset:236
	s_waitcnt vmcnt(0)
	ds_write_b64 v77, v[79:80]
	buffer_store_dword v78, off, s[0:3], 0 offset:232
	buffer_store_dword v78, off, s[0:3], 0 offset:236
.LBB37_183:
	s_or_b64 exec, exec, s[4:5]
	s_waitcnt lgkmcnt(0)
	; wave barrier
	buffer_load_dword v95, off, s[0:3], 0 offset:244
	buffer_load_dword v96, off, s[0:3], 0 offset:252
	;; [unrolled: 1-line block ×18, first 2 shown]
	ds_read_b128 v[79:82], v78 offset:544
	ds_read_b128 v[83:86], v78 offset:560
	;; [unrolled: 1-line block ×4, first 2 shown]
	v_cmp_lt_u32_e32 vcc, 28, v0
	s_waitcnt vmcnt(17) lgkmcnt(3)
	v_mul_f32_e32 v78, v79, v95
	v_mul_f32_e32 v95, v80, v95
	s_waitcnt vmcnt(16)
	v_mul_f32_e32 v113, v81, v96
	v_mul_f32_e32 v96, v82, v96
	s_waitcnt vmcnt(15) lgkmcnt(2)
	v_mul_f32_e32 v114, v83, v97
	v_mul_f32_e32 v97, v84, v97
	s_waitcnt vmcnt(14)
	v_mul_f32_e32 v115, v85, v98
	v_mul_f32_e32 v98, v86, v98
	s_waitcnt vmcnt(9)
	v_fma_f32 v79, v79, v103, -v95
	v_fmac_f32_e32 v78, v80, v103
	s_waitcnt vmcnt(8)
	v_fma_f32 v80, v81, v104, -v96
	v_add_f32_e32 v79, 0, v79
	v_fmac_f32_e32 v113, v82, v104
	s_waitcnt vmcnt(7)
	v_fma_f32 v81, v83, v105, -v97
	v_add_f32_e32 v78, 0, v78
	v_add_f32_e32 v79, v79, v80
	s_waitcnt lgkmcnt(1)
	v_mul_f32_e32 v116, v87, v99
	v_mul_f32_e32 v99, v88, v99
	v_fmac_f32_e32 v114, v84, v105
	s_waitcnt vmcnt(6)
	v_fma_f32 v82, v85, v106, -v98
	v_add_f32_e32 v78, v78, v113
	v_add_f32_e32 v79, v79, v81
	v_mul_f32_e32 v117, v89, v100
	v_mul_f32_e32 v100, v90, v100
	v_fmac_f32_e32 v115, v86, v106
	s_waitcnt vmcnt(5)
	v_fma_f32 v83, v87, v107, -v99
	v_add_f32_e32 v78, v78, v114
	v_add_f32_e32 v79, v79, v82
	s_waitcnt lgkmcnt(0)
	v_mul_f32_e32 v118, v91, v101
	v_mul_f32_e32 v101, v92, v101
	v_fmac_f32_e32 v116, v88, v107
	s_waitcnt vmcnt(4)
	v_fma_f32 v84, v89, v108, -v100
	v_add_f32_e32 v78, v78, v115
	v_add_f32_e32 v79, v79, v83
	v_mul_f32_e32 v119, v93, v102
	v_mul_f32_e32 v102, v94, v102
	v_fmac_f32_e32 v117, v90, v108
	s_waitcnt vmcnt(3)
	v_fma_f32 v85, v91, v109, -v101
	v_add_f32_e32 v78, v78, v116
	v_add_f32_e32 v79, v79, v84
	v_fmac_f32_e32 v118, v92, v109
	s_waitcnt vmcnt(2)
	v_fma_f32 v86, v93, v110, -v102
	v_add_f32_e32 v78, v78, v117
	v_add_f32_e32 v79, v79, v85
	v_fmac_f32_e32 v119, v94, v110
	v_add_f32_e32 v78, v78, v118
	v_add_f32_e32 v79, v79, v86
	;; [unrolled: 1-line block ×3, first 2 shown]
	s_waitcnt vmcnt(1)
	v_sub_f32_e32 v79, v111, v79
	s_waitcnt vmcnt(0)
	v_sub_f32_e32 v78, v112, v78
	buffer_store_dword v79, off, s[0:3], 0 offset:232
	buffer_store_dword v78, off, s[0:3], 0 offset:236
	s_and_saveexec_b64 s[4:5], vcc
	s_cbranch_execz .LBB37_185
; %bb.184:
	buffer_load_dword v78, off, s[0:3], 0 offset:224
	buffer_load_dword v79, off, s[0:3], 0 offset:228
	v_mov_b32_e32 v80, 0
	buffer_store_dword v80, off, s[0:3], 0 offset:224
	buffer_store_dword v80, off, s[0:3], 0 offset:228
	s_waitcnt vmcnt(2)
	ds_write_b64 v77, v[78:79]
.LBB37_185:
	s_or_b64 exec, exec, s[4:5]
	s_waitcnt lgkmcnt(0)
	; wave barrier
	buffer_load_dword v97, off, s[0:3], 0 offset:236
	buffer_load_dword v98, off, s[0:3], 0 offset:244
	;; [unrolled: 1-line block ×20, first 2 shown]
	v_mov_b32_e32 v78, 0
	ds_read2_b64 v[79:82], v78 offset0:67 offset1:68
	ds_read2_b64 v[83:86], v78 offset0:69 offset1:70
	ds_read2_b64 v[87:90], v78 offset0:71 offset1:72
	ds_read2_b64 v[91:94], v78 offset0:73 offset1:74
	ds_read_b64 v[95:96], v78 offset:600
	v_cmp_lt_u32_e32 vcc, 27, v0
	s_waitcnt vmcnt(19) lgkmcnt(4)
	v_mul_f32_e32 v117, v79, v97
	v_mul_f32_e32 v97, v80, v97
	s_waitcnt vmcnt(18)
	v_mul_f32_e32 v118, v81, v98
	v_mul_f32_e32 v98, v82, v98
	s_waitcnt vmcnt(17) lgkmcnt(3)
	v_mul_f32_e32 v119, v83, v99
	s_waitcnt vmcnt(15) lgkmcnt(2)
	v_mul_f32_e32 v121, v87, v101
	v_mul_f32_e32 v99, v84, v99
	;; [unrolled: 1-line block ×4, first 2 shown]
	s_waitcnt vmcnt(10)
	v_fma_f32 v79, v79, v106, -v97
	v_fmac_f32_e32 v117, v80, v106
	s_waitcnt vmcnt(9)
	v_fma_f32 v80, v81, v107, -v98
	v_add_f32_e32 v79, 0, v79
	v_mul_f32_e32 v101, v88, v101
	v_fmac_f32_e32 v118, v82, v107
	s_waitcnt vmcnt(6)
	v_fmac_f32_e32 v121, v88, v110
	v_fma_f32 v81, v83, v108, -v99
	v_add_f32_e32 v88, 0, v117
	v_add_f32_e32 v79, v79, v80
	v_fmac_f32_e32 v119, v84, v108
	v_fma_f32 v82, v85, v109, -v100
	v_add_f32_e32 v88, v88, v118
	v_add_f32_e32 v79, v79, v81
	v_mul_f32_e32 v122, v89, v102
	v_mul_f32_e32 v102, v90, v102
	v_fmac_f32_e32 v120, v86, v109
	v_fma_f32 v83, v87, v110, -v101
	v_add_f32_e32 v80, v88, v119
	v_add_f32_e32 v79, v79, v82
	s_waitcnt lgkmcnt(1)
	v_mul_f32_e32 v123, v91, v103
	v_mul_f32_e32 v103, v92, v103
	s_waitcnt vmcnt(5)
	v_fma_f32 v84, v89, v111, -v102
	v_add_f32_e32 v80, v80, v120
	v_add_f32_e32 v79, v79, v83
	v_mul_f32_e32 v124, v93, v104
	v_mul_f32_e32 v104, v94, v104
	v_fmac_f32_e32 v122, v90, v111
	s_waitcnt vmcnt(4)
	v_fma_f32 v85, v91, v112, -v103
	v_add_f32_e32 v80, v80, v121
	v_add_f32_e32 v79, v79, v84
	s_waitcnt lgkmcnt(0)
	v_mul_f32_e32 v125, v95, v105
	v_mul_f32_e32 v105, v96, v105
	v_fmac_f32_e32 v123, v92, v112
	s_waitcnt vmcnt(3)
	v_fma_f32 v86, v93, v113, -v104
	v_add_f32_e32 v80, v80, v122
	v_add_f32_e32 v79, v79, v85
	v_fmac_f32_e32 v124, v94, v113
	s_waitcnt vmcnt(2)
	v_fma_f32 v87, v95, v114, -v105
	v_add_f32_e32 v80, v80, v123
	v_add_f32_e32 v79, v79, v86
	v_fmac_f32_e32 v125, v96, v114
	v_add_f32_e32 v80, v80, v124
	v_add_f32_e32 v79, v79, v87
	;; [unrolled: 1-line block ×3, first 2 shown]
	s_waitcnt vmcnt(1)
	v_sub_f32_e32 v79, v115, v79
	s_waitcnt vmcnt(0)
	v_sub_f32_e32 v80, v116, v80
	buffer_store_dword v79, off, s[0:3], 0 offset:224
	buffer_store_dword v80, off, s[0:3], 0 offset:228
	s_and_saveexec_b64 s[4:5], vcc
	s_cbranch_execz .LBB37_187
; %bb.186:
	buffer_load_dword v79, off, s[0:3], 0 offset:216
	buffer_load_dword v80, off, s[0:3], 0 offset:220
	s_waitcnt vmcnt(0)
	ds_write_b64 v77, v[79:80]
	buffer_store_dword v78, off, s[0:3], 0 offset:216
	buffer_store_dword v78, off, s[0:3], 0 offset:220
.LBB37_187:
	s_or_b64 exec, exec, s[4:5]
	s_waitcnt lgkmcnt(0)
	; wave barrier
	ds_read_b128 v[79:82], v78 offset:528
	ds_read_b128 v[83:86], v78 offset:544
	;; [unrolled: 1-line block ×4, first 2 shown]
	buffer_load_dword v99, off, s[0:3], 0 offset:216
	buffer_load_dword v100, off, s[0:3], 0 offset:220
	;; [unrolled: 1-line block ×18, first 2 shown]
	v_cmp_lt_u32_e32 vcc, 26, v0
	s_waitcnt vmcnt(14) lgkmcnt(3)
	v_mul_f32_e32 v95, v79, v102
	v_fmac_f32_e32 v95, v80, v101
	s_waitcnt vmcnt(12)
	v_mul_f32_e32 v96, v81, v104
	v_add_f32_e32 v95, 0, v95
	v_fmac_f32_e32 v96, v82, v103
	v_add_f32_e32 v95, v95, v96
	s_waitcnt vmcnt(10) lgkmcnt(2)
	v_mul_f32_e32 v96, v83, v106
	v_fmac_f32_e32 v96, v84, v105
	v_add_f32_e32 v95, v95, v96
	s_waitcnt vmcnt(8)
	v_mul_f32_e32 v96, v85, v108
	v_fmac_f32_e32 v96, v86, v107
	v_add_f32_e32 v95, v95, v96
	s_waitcnt vmcnt(6) lgkmcnt(1)
	v_mul_f32_e32 v96, v87, v110
	v_fmac_f32_e32 v96, v88, v109
	v_add_f32_e32 v95, v95, v96
	s_waitcnt vmcnt(4)
	v_mul_f32_e32 v96, v89, v112
	;; [unrolled: 8-line block ×3, first 2 shown]
	v_fmac_f32_e32 v96, v94, v115
	v_add_f32_e32 v117, v95, v96
	ds_read_b128 v[95:98], v78 offset:592
	buffer_load_dword v78, off, s[0:3], 0 offset:288
	buffer_load_dword v118, off, s[0:3], 0 offset:292
	v_mul_f32_e32 v80, v80, v102
	v_fma_f32 v79, v79, v101, -v80
	v_mul_f32_e32 v80, v82, v104
	v_add_f32_e32 v79, 0, v79
	v_fma_f32 v80, v81, v103, -v80
	v_add_f32_e32 v79, v79, v80
	v_mul_f32_e32 v80, v84, v106
	v_fma_f32 v80, v83, v105, -v80
	v_add_f32_e32 v79, v79, v80
	v_mul_f32_e32 v80, v86, v108
	;; [unrolled: 3-line block ×6, first 2 shown]
	v_fma_f32 v80, v93, v115, -v80
	v_add_f32_e32 v79, v79, v80
	s_waitcnt vmcnt(0) lgkmcnt(0)
	v_mul_f32_e32 v119, v95, v118
	v_fmac_f32_e32 v119, v96, v78
	v_add_f32_e32 v117, v117, v119
	buffer_load_dword v119, off, s[0:3], 0 offset:296
	buffer_load_dword v120, off, s[0:3], 0 offset:300
	v_mul_f32_e32 v80, v96, v118
	v_fma_f32 v78, v95, v78, -v80
	v_add_f32_e32 v78, v79, v78
	s_waitcnt vmcnt(0)
	v_mul_f32_e32 v79, v98, v120
	v_mul_f32_e32 v121, v97, v120
	v_fma_f32 v79, v97, v119, -v79
	v_fmac_f32_e32 v121, v98, v119
	v_add_f32_e32 v78, v78, v79
	v_add_f32_e32 v117, v117, v121
	v_sub_f32_e32 v78, v99, v78
	v_sub_f32_e32 v79, v100, v117
	buffer_store_dword v78, off, s[0:3], 0 offset:216
	buffer_store_dword v79, off, s[0:3], 0 offset:220
	s_and_saveexec_b64 s[4:5], vcc
	s_cbranch_execz .LBB37_189
; %bb.188:
	buffer_load_dword v78, off, s[0:3], 0 offset:208
	buffer_load_dword v79, off, s[0:3], 0 offset:212
	v_mov_b32_e32 v80, 0
	buffer_store_dword v80, off, s[0:3], 0 offset:208
	buffer_store_dword v80, off, s[0:3], 0 offset:212
	s_waitcnt vmcnt(2)
	ds_write_b64 v77, v[78:79]
.LBB37_189:
	s_or_b64 exec, exec, s[4:5]
	v_mov_b32_e32 v78, 0
	s_waitcnt lgkmcnt(0)
	; wave barrier
	ds_read2_b64 v[79:82], v78 offset0:65 offset1:66
	buffer_load_dword v101, off, s[0:3], 0 offset:208
	buffer_load_dword v102, off, s[0:3], 0 offset:212
	;; [unrolled: 1-line block ×16, first 2 shown]
	v_cmp_lt_u32_e32 vcc, 25, v0
	s_waitcnt vmcnt(12) lgkmcnt(0)
	v_mul_f32_e32 v83, v79, v104
	v_fmac_f32_e32 v83, v80, v103
	s_waitcnt vmcnt(10)
	v_mul_f32_e32 v84, v81, v106
	v_add_f32_e32 v83, 0, v83
	v_fmac_f32_e32 v84, v82, v105
	v_add_f32_e32 v87, v83, v84
	ds_read2_b64 v[83:86], v78 offset0:67 offset1:68
	v_mul_f32_e32 v80, v80, v104
	v_fma_f32 v79, v79, v103, -v80
	v_mul_f32_e32 v80, v82, v106
	v_add_f32_e32 v79, 0, v79
	s_waitcnt vmcnt(8) lgkmcnt(0)
	v_mul_f32_e32 v88, v83, v108
	v_fmac_f32_e32 v88, v84, v107
	v_add_f32_e32 v87, v87, v88
	s_waitcnt vmcnt(6)
	v_mul_f32_e32 v88, v85, v110
	v_fmac_f32_e32 v88, v86, v109
	v_add_f32_e32 v91, v87, v88
	ds_read2_b64 v[87:90], v78 offset0:69 offset1:70
	v_fma_f32 v80, v81, v105, -v80
	v_add_f32_e32 v79, v79, v80
	v_mul_f32_e32 v80, v84, v108
	v_fma_f32 v80, v83, v107, -v80
	s_waitcnt vmcnt(4) lgkmcnt(0)
	v_mul_f32_e32 v92, v87, v112
	v_fmac_f32_e32 v92, v88, v111
	v_add_f32_e32 v91, v91, v92
	s_waitcnt vmcnt(2)
	v_mul_f32_e32 v92, v89, v114
	v_fmac_f32_e32 v92, v90, v113
	v_add_f32_e32 v95, v91, v92
	ds_read2_b64 v[91:94], v78 offset0:71 offset1:72
	buffer_load_dword v117, off, s[0:3], 0 offset:272
	buffer_load_dword v118, off, s[0:3], 0 offset:276
	v_add_f32_e32 v79, v79, v80
	v_mul_f32_e32 v80, v86, v110
	v_fma_f32 v80, v85, v109, -v80
	s_waitcnt vmcnt(2) lgkmcnt(0)
	v_mul_f32_e32 v96, v91, v116
	v_fmac_f32_e32 v96, v92, v115
	v_add_f32_e32 v95, v95, v96
	v_add_f32_e32 v79, v79, v80
	v_mul_f32_e32 v80, v88, v112
	v_fma_f32 v80, v87, v111, -v80
	v_add_f32_e32 v79, v79, v80
	v_mul_f32_e32 v80, v90, v114
	v_fma_f32 v80, v89, v113, -v80
	;; [unrolled: 3-line block ×3, first 2 shown]
	v_add_f32_e32 v79, v79, v80
	s_waitcnt vmcnt(0)
	v_mul_f32_e32 v96, v93, v118
	v_fmac_f32_e32 v96, v94, v117
	v_add_f32_e32 v99, v95, v96
	ds_read2_b64 v[95:98], v78 offset0:73 offset1:74
	buffer_load_dword v119, off, s[0:3], 0 offset:280
	buffer_load_dword v120, off, s[0:3], 0 offset:284
	;; [unrolled: 1-line block ×4, first 2 shown]
	v_mul_f32_e32 v80, v94, v118
	v_fma_f32 v80, v93, v117, -v80
	v_add_f32_e32 v79, v79, v80
	s_waitcnt vmcnt(2) lgkmcnt(0)
	v_mul_f32_e32 v100, v95, v120
	v_fmac_f32_e32 v100, v96, v119
	v_add_f32_e32 v99, v99, v100
	s_waitcnt vmcnt(0)
	v_mul_f32_e32 v100, v97, v122
	v_fmac_f32_e32 v100, v98, v121
	v_add_f32_e32 v123, v99, v100
	ds_read_b64 v[99:100], v78 offset:600
	buffer_load_dword v124, off, s[0:3], 0 offset:296
	buffer_load_dword v125, off, s[0:3], 0 offset:300
	v_mul_f32_e32 v80, v96, v120
	v_fma_f32 v80, v95, v119, -v80
	v_add_f32_e32 v79, v79, v80
	v_mul_f32_e32 v80, v98, v122
	v_fma_f32 v80, v97, v121, -v80
	v_add_f32_e32 v79, v79, v80
	s_waitcnt vmcnt(0) lgkmcnt(0)
	v_mul_f32_e32 v80, v100, v125
	v_mul_f32_e32 v126, v99, v125
	v_fma_f32 v80, v99, v124, -v80
	v_fmac_f32_e32 v126, v100, v124
	v_add_f32_e32 v79, v79, v80
	v_add_f32_e32 v123, v123, v126
	v_sub_f32_e32 v79, v101, v79
	v_sub_f32_e32 v80, v102, v123
	buffer_store_dword v79, off, s[0:3], 0 offset:208
	buffer_store_dword v80, off, s[0:3], 0 offset:212
	s_and_saveexec_b64 s[4:5], vcc
	s_cbranch_execz .LBB37_191
; %bb.190:
	buffer_load_dword v79, off, s[0:3], 0 offset:200
	buffer_load_dword v80, off, s[0:3], 0 offset:204
	s_waitcnt vmcnt(0)
	ds_write_b64 v77, v[79:80]
	buffer_store_dword v78, off, s[0:3], 0 offset:200
	buffer_store_dword v78, off, s[0:3], 0 offset:204
.LBB37_191:
	s_or_b64 exec, exec, s[4:5]
	s_waitcnt lgkmcnt(0)
	; wave barrier
	buffer_load_dword v103, off, s[0:3], 0 offset:212
	buffer_load_dword v104, off, s[0:3], 0 offset:220
	;; [unrolled: 1-line block ×26, first 2 shown]
	ds_read_b128 v[79:82], v78 offset:512
	ds_read_b128 v[83:86], v78 offset:528
	ds_read_b128 v[87:90], v78 offset:544
	ds_read_b128 v[91:94], v78 offset:560
	ds_read_b128 v[95:98], v78 offset:576
	ds_read_b128 v[99:102], v78 offset:592
	v_cmp_lt_u32_e32 vcc, 24, v0
	s_waitcnt vmcnt(25) lgkmcnt(5)
	v_mul_f32_e32 v78, v79, v103
	v_mul_f32_e32 v103, v80, v103
	s_waitcnt vmcnt(24)
	v_mul_f32_e32 v129, v81, v104
	v_mul_f32_e32 v104, v82, v104
	s_waitcnt vmcnt(23) lgkmcnt(4)
	v_mul_f32_e32 v130, v83, v105
	v_mul_f32_e32 v105, v84, v105
	s_waitcnt vmcnt(22)
	v_mul_f32_e32 v131, v85, v106
	v_mul_f32_e32 v106, v86, v106
	;; [unrolled: 6-line block ×3, first 2 shown]
	s_waitcnt vmcnt(13)
	v_fma_f32 v79, v79, v115, -v103
	v_fmac_f32_e32 v78, v80, v115
	s_waitcnt vmcnt(12)
	v_fma_f32 v80, v81, v116, -v104
	v_add_f32_e32 v79, 0, v79
	s_waitcnt vmcnt(11)
	v_fma_f32 v81, v83, v117, -v105
	v_add_f32_e32 v79, v79, v80
	v_fmac_f32_e32 v129, v82, v116
	s_waitcnt vmcnt(10)
	v_fma_f32 v82, v85, v118, -v106
	v_add_f32_e32 v79, v79, v81
	s_waitcnt vmcnt(9)
	v_fma_f32 v83, v87, v119, -v107
	v_add_f32_e32 v79, v79, v82
	s_waitcnt lgkmcnt(2)
	v_mul_f32_e32 v134, v91, v109
	v_mul_f32_e32 v109, v92, v109
	v_fmac_f32_e32 v130, v84, v117
	s_waitcnt vmcnt(8)
	v_fma_f32 v84, v89, v120, -v108
	v_add_f32_e32 v78, 0, v78
	v_add_f32_e32 v79, v79, v83
	v_mul_f32_e32 v135, v93, v110
	v_mul_f32_e32 v110, v94, v110
	s_waitcnt vmcnt(7)
	v_fma_f32 v85, v91, v121, -v109
	v_add_f32_e32 v78, v78, v129
	v_add_f32_e32 v79, v79, v84
	v_fmac_f32_e32 v131, v86, v118
	s_waitcnt vmcnt(6)
	v_fma_f32 v86, v93, v122, -v110
	v_add_f32_e32 v78, v78, v130
	v_add_f32_e32 v79, v79, v85
	s_waitcnt lgkmcnt(1)
	v_mul_f32_e32 v80, v96, v111
	v_fmac_f32_e32 v132, v88, v119
	v_add_f32_e32 v78, v78, v131
	v_add_f32_e32 v79, v79, v86
	s_waitcnt vmcnt(5)
	v_fma_f32 v80, v95, v123, -v80
	v_fmac_f32_e32 v133, v90, v120
	v_add_f32_e32 v78, v78, v132
	v_add_f32_e32 v79, v79, v80
	v_mul_f32_e32 v80, v98, v112
	v_fmac_f32_e32 v134, v92, v121
	v_add_f32_e32 v78, v78, v133
	s_waitcnt vmcnt(4)
	v_fma_f32 v80, v97, v124, -v80
	v_mul_f32_e32 v136, v95, v111
	v_fmac_f32_e32 v135, v94, v122
	v_add_f32_e32 v78, v78, v134
	v_add_f32_e32 v79, v79, v80
	s_waitcnt lgkmcnt(0)
	v_mul_f32_e32 v80, v100, v113
	v_mul_f32_e32 v137, v97, v112
	v_fmac_f32_e32 v136, v96, v123
	v_add_f32_e32 v78, v78, v135
	s_waitcnt vmcnt(3)
	v_fma_f32 v80, v99, v125, -v80
	v_mul_f32_e32 v138, v99, v113
	v_fmac_f32_e32 v137, v98, v124
	v_add_f32_e32 v78, v78, v136
	v_add_f32_e32 v79, v79, v80
	v_mul_f32_e32 v80, v102, v114
	v_mul_f32_e32 v139, v101, v114
	v_fmac_f32_e32 v138, v100, v125
	v_add_f32_e32 v78, v78, v137
	s_waitcnt vmcnt(2)
	v_fma_f32 v80, v101, v126, -v80
	v_fmac_f32_e32 v139, v102, v126
	v_add_f32_e32 v78, v78, v138
	v_add_f32_e32 v79, v79, v80
	;; [unrolled: 1-line block ×3, first 2 shown]
	s_waitcnt vmcnt(1)
	v_sub_f32_e32 v79, v127, v79
	s_waitcnt vmcnt(0)
	v_sub_f32_e32 v78, v128, v78
	buffer_store_dword v79, off, s[0:3], 0 offset:200
	buffer_store_dword v78, off, s[0:3], 0 offset:204
	s_and_saveexec_b64 s[4:5], vcc
	s_cbranch_execz .LBB37_193
; %bb.192:
	buffer_load_dword v78, off, s[0:3], 0 offset:192
	buffer_load_dword v79, off, s[0:3], 0 offset:196
	v_mov_b32_e32 v80, 0
	buffer_store_dword v80, off, s[0:3], 0 offset:192
	buffer_store_dword v80, off, s[0:3], 0 offset:196
	s_waitcnt vmcnt(2)
	ds_write_b64 v77, v[78:79]
.LBB37_193:
	s_or_b64 exec, exec, s[4:5]
	s_waitcnt lgkmcnt(0)
	; wave barrier
	buffer_load_dword v105, off, s[0:3], 0 offset:204
	buffer_load_dword v106, off, s[0:3], 0 offset:212
	;; [unrolled: 1-line block ×28, first 2 shown]
	v_mov_b32_e32 v78, 0
	ds_read2_b64 v[79:82], v78 offset0:63 offset1:64
	ds_read2_b64 v[83:86], v78 offset0:65 offset1:66
	;; [unrolled: 1-line block ×6, first 2 shown]
	ds_read_b64 v[103:104], v78 offset:600
	v_cmp_lt_u32_e32 vcc, 23, v0
	s_waitcnt vmcnt(27) lgkmcnt(6)
	v_mul_f32_e32 v133, v79, v105
	v_mul_f32_e32 v105, v80, v105
	s_waitcnt vmcnt(26)
	v_mul_f32_e32 v134, v81, v106
	v_mul_f32_e32 v106, v82, v106
	s_waitcnt vmcnt(25) lgkmcnt(5)
	v_mul_f32_e32 v135, v83, v107
	v_mul_f32_e32 v107, v84, v107
	s_waitcnt vmcnt(24)
	v_mul_f32_e32 v136, v85, v108
	v_mul_f32_e32 v108, v86, v108
	;; [unrolled: 6-line block ×3, first 2 shown]
	s_waitcnt vmcnt(21) lgkmcnt(3)
	v_mul_f32_e32 v139, v91, v111
	s_waitcnt vmcnt(14)
	v_fma_f32 v79, v79, v118, -v105
	v_fmac_f32_e32 v133, v80, v118
	s_waitcnt vmcnt(13)
	v_fma_f32 v80, v81, v119, -v106
	v_add_f32_e32 v79, 0, v79
	s_waitcnt vmcnt(12)
	v_fma_f32 v81, v83, v120, -v107
	v_add_f32_e32 v79, v79, v80
	v_fmac_f32_e32 v134, v82, v119
	s_waitcnt vmcnt(11)
	v_fma_f32 v82, v85, v121, -v108
	v_add_f32_e32 v79, v79, v81
	s_waitcnt vmcnt(10)
	v_fma_f32 v83, v87, v122, -v109
	v_add_f32_e32 v79, v79, v82
	v_fmac_f32_e32 v135, v84, v120
	s_waitcnt vmcnt(9)
	v_fma_f32 v84, v89, v123, -v110
	v_add_f32_e32 v79, v79, v83
	v_mul_f32_e32 v81, v92, v111
	v_add_f32_e32 v79, v79, v84
	s_waitcnt vmcnt(8)
	v_fma_f32 v81, v91, v124, -v81
	v_add_f32_e32 v79, v79, v81
	v_mul_f32_e32 v81, v94, v112
	v_add_f32_e32 v85, 0, v133
	s_waitcnt vmcnt(7)
	v_fma_f32 v81, v93, v125, -v81
	v_add_f32_e32 v85, v85, v134
	v_add_f32_e32 v79, v79, v81
	s_waitcnt lgkmcnt(2)
	v_mul_f32_e32 v81, v96, v113
	v_fmac_f32_e32 v136, v86, v121
	v_add_f32_e32 v80, v85, v135
	s_waitcnt vmcnt(6)
	v_fma_f32 v81, v95, v126, -v81
	v_fmac_f32_e32 v137, v88, v122
	v_add_f32_e32 v80, v80, v136
	v_add_f32_e32 v79, v79, v81
	v_mul_f32_e32 v81, v98, v114
	v_fmac_f32_e32 v138, v90, v123
	v_add_f32_e32 v80, v80, v137
	s_waitcnt vmcnt(5)
	v_fma_f32 v81, v97, v127, -v81
	v_mul_f32_e32 v140, v93, v112
	v_fmac_f32_e32 v139, v92, v124
	v_add_f32_e32 v80, v80, v138
	v_add_f32_e32 v79, v79, v81
	s_waitcnt lgkmcnt(1)
	v_mul_f32_e32 v81, v100, v115
	v_mul_f32_e32 v141, v95, v113
	v_fmac_f32_e32 v140, v94, v125
	v_add_f32_e32 v80, v80, v139
	s_waitcnt vmcnt(4)
	v_fma_f32 v81, v99, v128, -v81
	v_mul_f32_e32 v142, v97, v114
	v_fmac_f32_e32 v141, v96, v126
	v_add_f32_e32 v80, v80, v140
	v_add_f32_e32 v79, v79, v81
	v_mul_f32_e32 v81, v102, v116
	v_mul_f32_e32 v143, v99, v115
	v_fmac_f32_e32 v142, v98, v127
	v_add_f32_e32 v80, v80, v141
	s_waitcnt vmcnt(3)
	v_fma_f32 v81, v101, v129, -v81
	v_mul_f32_e32 v144, v101, v116
	v_fmac_f32_e32 v143, v100, v128
	v_add_f32_e32 v80, v80, v142
	v_add_f32_e32 v79, v79, v81
	s_waitcnt lgkmcnt(0)
	v_mul_f32_e32 v81, v104, v117
	v_mul_f32_e32 v145, v103, v117
	v_fmac_f32_e32 v144, v102, v129
	v_add_f32_e32 v80, v80, v143
	s_waitcnt vmcnt(2)
	v_fma_f32 v81, v103, v130, -v81
	v_fmac_f32_e32 v145, v104, v130
	v_add_f32_e32 v80, v80, v144
	v_add_f32_e32 v79, v79, v81
	;; [unrolled: 1-line block ×3, first 2 shown]
	s_waitcnt vmcnt(1)
	v_sub_f32_e32 v79, v131, v79
	s_waitcnt vmcnt(0)
	v_sub_f32_e32 v80, v132, v80
	buffer_store_dword v79, off, s[0:3], 0 offset:192
	buffer_store_dword v80, off, s[0:3], 0 offset:196
	s_and_saveexec_b64 s[4:5], vcc
	s_cbranch_execz .LBB37_195
; %bb.194:
	buffer_load_dword v79, off, s[0:3], 0 offset:184
	buffer_load_dword v80, off, s[0:3], 0 offset:188
	s_waitcnt vmcnt(0)
	ds_write_b64 v77, v[79:80]
	buffer_store_dword v78, off, s[0:3], 0 offset:184
	buffer_store_dword v78, off, s[0:3], 0 offset:188
.LBB37_195:
	s_or_b64 exec, exec, s[4:5]
	s_waitcnt lgkmcnt(0)
	; wave barrier
	buffer_load_dword v107, off, s[0:3], 0 offset:196
	buffer_load_dword v108, off, s[0:3], 0 offset:204
	;; [unrolled: 1-line block ×30, first 2 shown]
	ds_read_b128 v[79:82], v78 offset:496
	ds_read_b128 v[83:86], v78 offset:512
	;; [unrolled: 1-line block ×7, first 2 shown]
	v_cmp_lt_u32_e32 vcc, 22, v0
	s_waitcnt vmcnt(29) lgkmcnt(6)
	v_mul_f32_e32 v78, v79, v107
	v_mul_f32_e32 v107, v80, v107
	s_waitcnt vmcnt(28)
	v_mul_f32_e32 v137, v81, v108
	v_mul_f32_e32 v108, v82, v108
	s_waitcnt vmcnt(27) lgkmcnt(5)
	v_mul_f32_e32 v138, v83, v109
	v_mul_f32_e32 v109, v84, v109
	s_waitcnt vmcnt(26)
	v_mul_f32_e32 v139, v85, v110
	v_mul_f32_e32 v110, v86, v110
	s_waitcnt vmcnt(25) lgkmcnt(4)
	v_mul_f32_e32 v140, v87, v111
	v_mul_f32_e32 v111, v88, v111
	s_waitcnt vmcnt(24)
	v_mul_f32_e32 v141, v89, v112
	s_waitcnt vmcnt(23) lgkmcnt(3)
	v_mul_f32_e32 v142, v91, v113
	s_waitcnt vmcnt(22)
	v_mul_f32_e32 v143, v93, v114
	s_waitcnt vmcnt(21) lgkmcnt(2)
	v_mul_f32_e32 v144, v95, v115
	s_waitcnt vmcnt(15)
	v_fma_f32 v79, v79, v121, -v107
	v_fmac_f32_e32 v78, v80, v121
	s_waitcnt vmcnt(14)
	v_fma_f32 v80, v81, v122, -v108
	v_add_f32_e32 v79, 0, v79
	s_waitcnt vmcnt(13)
	v_fma_f32 v81, v83, v123, -v109
	v_add_f32_e32 v79, v79, v80
	v_fmac_f32_e32 v137, v82, v122
	s_waitcnt vmcnt(12)
	v_fma_f32 v82, v85, v124, -v110
	v_add_f32_e32 v79, v79, v81
	s_waitcnt vmcnt(11)
	v_fma_f32 v83, v87, v125, -v111
	v_add_f32_e32 v79, v79, v82
	v_mul_f32_e32 v80, v90, v112
	v_add_f32_e32 v79, v79, v83
	s_waitcnt vmcnt(10)
	v_fma_f32 v80, v89, v126, -v80
	v_add_f32_e32 v79, v79, v80
	v_mul_f32_e32 v80, v92, v113
	s_waitcnt vmcnt(9)
	v_fma_f32 v80, v91, v127, -v80
	v_add_f32_e32 v79, v79, v80
	v_mul_f32_e32 v80, v94, v114
	s_waitcnt vmcnt(8)
	v_fma_f32 v80, v93, v128, -v80
	v_add_f32_e32 v78, 0, v78
	v_add_f32_e32 v79, v79, v80
	v_mul_f32_e32 v80, v96, v115
	v_fmac_f32_e32 v138, v84, v123
	v_add_f32_e32 v78, v78, v137
	s_waitcnt vmcnt(7)
	v_fma_f32 v80, v95, v129, -v80
	v_fmac_f32_e32 v139, v86, v124
	v_add_f32_e32 v78, v78, v138
	v_add_f32_e32 v79, v79, v80
	v_mul_f32_e32 v80, v98, v116
	v_fmac_f32_e32 v140, v88, v125
	v_add_f32_e32 v78, v78, v139
	s_waitcnt vmcnt(6)
	v_fma_f32 v80, v97, v130, -v80
	v_fmac_f32_e32 v141, v90, v126
	v_add_f32_e32 v78, v78, v140
	v_add_f32_e32 v79, v79, v80
	s_waitcnt lgkmcnt(1)
	v_mul_f32_e32 v80, v100, v117
	v_fmac_f32_e32 v142, v92, v127
	v_add_f32_e32 v78, v78, v141
	s_waitcnt vmcnt(5)
	v_fma_f32 v80, v99, v131, -v80
	v_fmac_f32_e32 v143, v94, v128
	v_add_f32_e32 v78, v78, v142
	v_add_f32_e32 v79, v79, v80
	v_mul_f32_e32 v80, v102, v118
	v_mul_f32_e32 v145, v97, v116
	v_fmac_f32_e32 v144, v96, v129
	v_add_f32_e32 v78, v78, v143
	s_waitcnt vmcnt(4)
	v_fma_f32 v80, v101, v132, -v80
	v_mul_f32_e32 v146, v99, v117
	v_fmac_f32_e32 v145, v98, v130
	v_add_f32_e32 v78, v78, v144
	v_add_f32_e32 v79, v79, v80
	s_waitcnt lgkmcnt(0)
	v_mul_f32_e32 v80, v104, v119
	v_mul_f32_e32 v147, v101, v118
	v_fmac_f32_e32 v146, v100, v131
	v_add_f32_e32 v78, v78, v145
	s_waitcnt vmcnt(3)
	v_fma_f32 v80, v103, v133, -v80
	v_mul_f32_e32 v148, v103, v119
	v_fmac_f32_e32 v147, v102, v132
	v_add_f32_e32 v78, v78, v146
	v_add_f32_e32 v79, v79, v80
	v_mul_f32_e32 v80, v106, v120
	v_mul_f32_e32 v149, v105, v120
	v_fmac_f32_e32 v148, v104, v133
	v_add_f32_e32 v78, v78, v147
	s_waitcnt vmcnt(2)
	v_fma_f32 v80, v105, v134, -v80
	v_fmac_f32_e32 v149, v106, v134
	v_add_f32_e32 v78, v78, v148
	v_add_f32_e32 v79, v79, v80
	;; [unrolled: 1-line block ×3, first 2 shown]
	s_waitcnt vmcnt(1)
	v_sub_f32_e32 v79, v135, v79
	s_waitcnt vmcnt(0)
	v_sub_f32_e32 v78, v136, v78
	buffer_store_dword v79, off, s[0:3], 0 offset:184
	buffer_store_dword v78, off, s[0:3], 0 offset:188
	s_and_saveexec_b64 s[4:5], vcc
	s_cbranch_execz .LBB37_197
; %bb.196:
	buffer_load_dword v78, off, s[0:3], 0 offset:176
	buffer_load_dword v79, off, s[0:3], 0 offset:180
	v_mov_b32_e32 v80, 0
	buffer_store_dword v80, off, s[0:3], 0 offset:176
	buffer_store_dword v80, off, s[0:3], 0 offset:180
	s_waitcnt vmcnt(2)
	ds_write_b64 v77, v[78:79]
.LBB37_197:
	s_or_b64 exec, exec, s[4:5]
	s_waitcnt lgkmcnt(0)
	; wave barrier
	buffer_load_dword v109, off, s[0:3], 0 offset:188
	buffer_load_dword v110, off, s[0:3], 0 offset:196
	;; [unrolled: 1-line block ×32, first 2 shown]
	v_mov_b32_e32 v78, 0
	ds_read2_b64 v[79:82], v78 offset0:61 offset1:62
	ds_read2_b64 v[83:86], v78 offset0:63 offset1:64
	;; [unrolled: 1-line block ×7, first 2 shown]
	ds_read_b64 v[107:108], v78 offset:600
	v_cmp_lt_u32_e32 vcc, 21, v0
	s_waitcnt vmcnt(31) lgkmcnt(7)
	v_mul_f32_e32 v141, v79, v109
	v_mul_f32_e32 v109, v80, v109
	s_waitcnt vmcnt(30)
	v_mul_f32_e32 v142, v81, v110
	v_mul_f32_e32 v110, v82, v110
	s_waitcnt vmcnt(29) lgkmcnt(6)
	v_mul_f32_e32 v143, v83, v111
	v_mul_f32_e32 v111, v84, v111
	s_waitcnt vmcnt(28)
	v_mul_f32_e32 v144, v85, v112
	s_waitcnt vmcnt(27) lgkmcnt(5)
	v_mul_f32_e32 v145, v87, v113
	s_waitcnt vmcnt(26)
	v_mul_f32_e32 v146, v89, v114
	s_waitcnt vmcnt(25) lgkmcnt(4)
	;; [unrolled: 4-line block ×4, first 2 shown]
	v_mul_f32_e32 v151, v99, v119
	s_waitcnt vmcnt(20)
	v_mul_f32_e32 v152, v101, v120
	s_waitcnt vmcnt(16)
	v_fma_f32 v79, v79, v124, -v109
	v_fmac_f32_e32 v141, v80, v124
	s_waitcnt vmcnt(15)
	v_fma_f32 v80, v81, v125, -v110
	v_add_f32_e32 v79, 0, v79
	s_waitcnt vmcnt(14)
	v_fma_f32 v81, v83, v126, -v111
	v_add_f32_e32 v79, v79, v80
	v_add_f32_e32 v79, v79, v81
	v_mul_f32_e32 v81, v86, v112
	s_waitcnt vmcnt(13)
	v_fma_f32 v81, v85, v127, -v81
	v_add_f32_e32 v79, v79, v81
	v_mul_f32_e32 v81, v88, v113
	s_waitcnt vmcnt(12)
	v_fma_f32 v81, v87, v128, -v81
	;; [unrolled: 4-line block ×5, first 2 shown]
	v_add_f32_e32 v79, v79, v81
	v_mul_f32_e32 v81, v96, v117
	v_fmac_f32_e32 v142, v82, v125
	v_add_f32_e32 v82, 0, v141
	s_waitcnt vmcnt(8)
	v_fma_f32 v81, v95, v132, -v81
	v_fmac_f32_e32 v143, v84, v126
	v_add_f32_e32 v82, v82, v142
	v_add_f32_e32 v79, v79, v81
	v_mul_f32_e32 v81, v98, v118
	v_fmac_f32_e32 v144, v86, v127
	v_add_f32_e32 v80, v82, v143
	s_waitcnt vmcnt(7)
	v_fma_f32 v81, v97, v133, -v81
	v_fmac_f32_e32 v145, v88, v128
	v_add_f32_e32 v80, v80, v144
	;; [unrolled: 8-line block ×4, first 2 shown]
	v_add_f32_e32 v79, v79, v81
	s_waitcnt lgkmcnt(1)
	v_mul_f32_e32 v81, v104, v121
	v_fmac_f32_e32 v150, v98, v133
	v_add_f32_e32 v80, v80, v149
	s_waitcnt vmcnt(4)
	v_fma_f32 v81, v103, v136, -v81
	v_fmac_f32_e32 v151, v100, v134
	v_add_f32_e32 v80, v80, v150
	v_add_f32_e32 v79, v79, v81
	v_mul_f32_e32 v81, v106, v122
	v_mul_f32_e32 v153, v103, v121
	v_fmac_f32_e32 v152, v102, v135
	v_add_f32_e32 v80, v80, v151
	s_waitcnt vmcnt(3)
	v_fma_f32 v81, v105, v137, -v81
	v_mul_f32_e32 v154, v105, v122
	v_fmac_f32_e32 v153, v104, v136
	v_add_f32_e32 v80, v80, v152
	v_add_f32_e32 v79, v79, v81
	s_waitcnt lgkmcnt(0)
	v_mul_f32_e32 v81, v108, v123
	v_mul_f32_e32 v155, v107, v123
	v_fmac_f32_e32 v154, v106, v137
	v_add_f32_e32 v80, v80, v153
	s_waitcnt vmcnt(2)
	v_fma_f32 v81, v107, v138, -v81
	v_fmac_f32_e32 v155, v108, v138
	v_add_f32_e32 v80, v80, v154
	v_add_f32_e32 v79, v79, v81
	;; [unrolled: 1-line block ×3, first 2 shown]
	s_waitcnt vmcnt(1)
	v_sub_f32_e32 v79, v139, v79
	s_waitcnt vmcnt(0)
	v_sub_f32_e32 v80, v140, v80
	buffer_store_dword v79, off, s[0:3], 0 offset:176
	buffer_store_dword v80, off, s[0:3], 0 offset:180
	s_and_saveexec_b64 s[4:5], vcc
	s_cbranch_execz .LBB37_199
; %bb.198:
	buffer_load_dword v79, off, s[0:3], 0 offset:168
	buffer_load_dword v80, off, s[0:3], 0 offset:172
	s_waitcnt vmcnt(0)
	ds_write_b64 v77, v[79:80]
	buffer_store_dword v78, off, s[0:3], 0 offset:168
	buffer_store_dword v78, off, s[0:3], 0 offset:172
.LBB37_199:
	s_or_b64 exec, exec, s[4:5]
	s_waitcnt lgkmcnt(0)
	; wave barrier
	buffer_load_dword v111, off, s[0:3], 0 offset:180
	buffer_load_dword v112, off, s[0:3], 0 offset:188
	;; [unrolled: 1-line block ×34, first 2 shown]
	ds_read_b128 v[79:82], v78 offset:480
	ds_read_b128 v[83:86], v78 offset:496
	;; [unrolled: 1-line block ×8, first 2 shown]
	v_cmp_lt_u32_e32 vcc, 20, v0
	s_waitcnt vmcnt(33) lgkmcnt(7)
	v_mul_f32_e32 v78, v79, v111
	v_mul_f32_e32 v111, v80, v111
	s_waitcnt vmcnt(32)
	v_mul_f32_e32 v145, v81, v112
	v_mul_f32_e32 v112, v82, v112
	s_waitcnt vmcnt(31) lgkmcnt(6)
	v_mul_f32_e32 v146, v83, v113
	s_waitcnt vmcnt(30)
	v_mul_f32_e32 v147, v85, v114
	s_waitcnt vmcnt(29) lgkmcnt(5)
	v_mul_f32_e32 v148, v87, v115
	s_waitcnt vmcnt(28)
	;; [unrolled: 4-line block ×6, first 2 shown]
	v_mul_f32_e32 v157, v105, v124
	s_waitcnt vmcnt(17)
	v_fma_f32 v79, v79, v127, -v111
	v_fmac_f32_e32 v78, v80, v127
	s_waitcnt vmcnt(16)
	v_fma_f32 v80, v81, v128, -v112
	v_add_f32_e32 v79, 0, v79
	v_add_f32_e32 v79, v79, v80
	v_mul_f32_e32 v80, v84, v113
	s_waitcnt vmcnt(15)
	v_fma_f32 v80, v83, v129, -v80
	v_add_f32_e32 v79, v79, v80
	v_mul_f32_e32 v80, v86, v114
	s_waitcnt vmcnt(14)
	v_fma_f32 v80, v85, v130, -v80
	;; [unrolled: 4-line block ×7, first 2 shown]
	v_fmac_f32_e32 v145, v82, v128
	v_add_f32_e32 v78, 0, v78
	v_add_f32_e32 v79, v79, v80
	v_mul_f32_e32 v80, v98, v120
	v_fmac_f32_e32 v146, v84, v129
	v_add_f32_e32 v78, v78, v145
	s_waitcnt vmcnt(8)
	v_fma_f32 v80, v97, v136, -v80
	v_fmac_f32_e32 v147, v86, v130
	v_add_f32_e32 v78, v78, v146
	v_add_f32_e32 v79, v79, v80
	v_mul_f32_e32 v80, v100, v121
	v_fmac_f32_e32 v148, v88, v131
	v_add_f32_e32 v78, v78, v147
	s_waitcnt vmcnt(7)
	v_fma_f32 v80, v99, v137, -v80
	;; [unrolled: 8-line block ×5, first 2 shown]
	v_fmac_f32_e32 v155, v102, v138
	v_add_f32_e32 v78, v78, v154
	v_add_f32_e32 v79, v79, v80
	s_waitcnt lgkmcnt(0)
	v_mul_f32_e32 v80, v108, v125
	v_fmac_f32_e32 v156, v104, v139
	v_add_f32_e32 v78, v78, v155
	s_waitcnt vmcnt(3)
	v_fma_f32 v80, v107, v141, -v80
	v_mul_f32_e32 v158, v107, v125
	v_fmac_f32_e32 v157, v106, v140
	v_add_f32_e32 v78, v78, v156
	v_add_f32_e32 v79, v79, v80
	v_mul_f32_e32 v80, v110, v126
	v_mul_f32_e32 v159, v109, v126
	v_fmac_f32_e32 v158, v108, v141
	v_add_f32_e32 v78, v78, v157
	s_waitcnt vmcnt(2)
	v_fma_f32 v80, v109, v142, -v80
	v_fmac_f32_e32 v159, v110, v142
	v_add_f32_e32 v78, v78, v158
	v_add_f32_e32 v79, v79, v80
	;; [unrolled: 1-line block ×3, first 2 shown]
	s_waitcnt vmcnt(1)
	v_sub_f32_e32 v79, v143, v79
	s_waitcnt vmcnt(0)
	v_sub_f32_e32 v78, v144, v78
	buffer_store_dword v79, off, s[0:3], 0 offset:168
	buffer_store_dword v78, off, s[0:3], 0 offset:172
	s_and_saveexec_b64 s[4:5], vcc
	s_cbranch_execz .LBB37_201
; %bb.200:
	buffer_load_dword v78, off, s[0:3], 0 offset:160
	buffer_load_dword v79, off, s[0:3], 0 offset:164
	v_mov_b32_e32 v80, 0
	buffer_store_dword v80, off, s[0:3], 0 offset:160
	buffer_store_dword v80, off, s[0:3], 0 offset:164
	s_waitcnt vmcnt(2)
	ds_write_b64 v77, v[78:79]
.LBB37_201:
	s_or_b64 exec, exec, s[4:5]
	s_waitcnt lgkmcnt(0)
	; wave barrier
	buffer_load_dword v113, off, s[0:3], 0 offset:172
	buffer_load_dword v114, off, s[0:3], 0 offset:180
	;; [unrolled: 1-line block ×36, first 2 shown]
	v_mov_b32_e32 v78, 0
	ds_read2_b64 v[79:82], v78 offset0:59 offset1:60
	ds_read2_b64 v[83:86], v78 offset0:61 offset1:62
	;; [unrolled: 1-line block ×8, first 2 shown]
	ds_read_b64 v[111:112], v78 offset:600
	v_cmp_lt_u32_e32 vcc, 19, v0
	s_waitcnt vmcnt(35) lgkmcnt(8)
	v_mul_f32_e32 v149, v79, v113
	s_waitcnt vmcnt(34)
	v_mul_f32_e32 v150, v81, v114
	s_waitcnt vmcnt(33) lgkmcnt(7)
	v_mul_f32_e32 v151, v83, v115
	s_waitcnt vmcnt(32)
	v_mul_f32_e32 v152, v85, v116
	s_waitcnt vmcnt(31) lgkmcnt(6)
	v_mul_f32_e32 v153, v87, v117
	s_waitcnt vmcnt(30)
	v_mul_f32_e32 v154, v89, v118
	s_waitcnt vmcnt(29) lgkmcnt(5)
	v_mul_f32_e32 v155, v91, v119
	s_waitcnt vmcnt(28)
	v_mul_f32_e32 v156, v93, v120
	s_waitcnt vmcnt(27) lgkmcnt(4)
	v_mul_f32_e32 v157, v95, v121
	s_waitcnt vmcnt(26)
	v_mul_f32_e32 v158, v97, v122
	s_waitcnt vmcnt(25) lgkmcnt(3)
	v_mul_f32_e32 v159, v99, v123
	s_waitcnt vmcnt(24)
	v_mul_f32_e32 v160, v101, v124
	s_waitcnt vmcnt(23) lgkmcnt(2)
	v_mul_f32_e32 v161, v103, v125
	s_waitcnt vmcnt(22)
	v_mul_f32_e32 v162, v105, v126
	s_waitcnt vmcnt(21) lgkmcnt(1)
	v_mul_f32_e32 v163, v107, v127
	s_waitcnt vmcnt(20)
	v_mul_f32_e32 v164, v109, v128
	s_waitcnt vmcnt(19) lgkmcnt(0)
	v_mul_f32_e32 v165, v111, v129
	s_waitcnt vmcnt(18)
	v_fmac_f32_e32 v149, v80, v130
	v_mul_f32_e32 v80, v80, v113
	v_fma_f32 v79, v79, v130, -v80
	v_mul_f32_e32 v80, v82, v114
	v_add_f32_e32 v79, 0, v79
	s_waitcnt vmcnt(17)
	v_fma_f32 v80, v81, v131, -v80
	v_add_f32_e32 v79, v79, v80
	v_mul_f32_e32 v80, v84, v115
	s_waitcnt vmcnt(16)
	v_fma_f32 v80, v83, v132, -v80
	v_add_f32_e32 v79, v79, v80
	v_mul_f32_e32 v80, v86, v116
	;; [unrolled: 4-line block ×8, first 2 shown]
	v_fmac_f32_e32 v150, v82, v131
	v_add_f32_e32 v149, 0, v149
	s_waitcnt vmcnt(9)
	v_fma_f32 v80, v97, v139, -v80
	v_fmac_f32_e32 v151, v84, v132
	v_add_f32_e32 v149, v149, v150
	v_add_f32_e32 v79, v79, v80
	v_mul_f32_e32 v80, v100, v123
	v_fmac_f32_e32 v152, v86, v133
	v_add_f32_e32 v149, v149, v151
	s_waitcnt vmcnt(8)
	v_fma_f32 v80, v99, v140, -v80
	v_fmac_f32_e32 v153, v88, v134
	v_add_f32_e32 v149, v149, v152
	v_add_f32_e32 v79, v79, v80
	v_mul_f32_e32 v80, v102, v124
	;; [unrolled: 8-line block ×7, first 2 shown]
	v_fmac_f32_e32 v164, v110, v145
	v_add_f32_e32 v149, v149, v163
	s_waitcnt vmcnt(2)
	v_fma_f32 v80, v111, v146, -v80
	v_fmac_f32_e32 v165, v112, v146
	v_add_f32_e32 v149, v149, v164
	v_add_f32_e32 v79, v79, v80
	;; [unrolled: 1-line block ×3, first 2 shown]
	s_waitcnt vmcnt(1)
	v_sub_f32_e32 v79, v147, v79
	s_waitcnt vmcnt(0)
	v_sub_f32_e32 v80, v148, v149
	buffer_store_dword v79, off, s[0:3], 0 offset:160
	buffer_store_dword v80, off, s[0:3], 0 offset:164
	s_and_saveexec_b64 s[4:5], vcc
	s_cbranch_execz .LBB37_203
; %bb.202:
	buffer_load_dword v79, off, s[0:3], 0 offset:152
	buffer_load_dword v80, off, s[0:3], 0 offset:156
	s_waitcnt vmcnt(0)
	ds_write_b64 v77, v[79:80]
	buffer_store_dword v78, off, s[0:3], 0 offset:152
	buffer_store_dword v78, off, s[0:3], 0 offset:156
.LBB37_203:
	s_or_b64 exec, exec, s[4:5]
	s_waitcnt lgkmcnt(0)
	; wave barrier
	buffer_load_dword v115, off, s[0:3], 0 offset:164
	buffer_load_dword v116, off, s[0:3], 0 offset:172
	buffer_load_dword v117, off, s[0:3], 0 offset:180
	buffer_load_dword v118, off, s[0:3], 0 offset:188
	buffer_load_dword v119, off, s[0:3], 0 offset:196
	buffer_load_dword v120, off, s[0:3], 0 offset:204
	buffer_load_dword v121, off, s[0:3], 0 offset:212
	buffer_load_dword v122, off, s[0:3], 0 offset:220
	buffer_load_dword v123, off, s[0:3], 0 offset:228
	buffer_load_dword v124, off, s[0:3], 0 offset:236
	buffer_load_dword v125, off, s[0:3], 0 offset:244
	buffer_load_dword v126, off, s[0:3], 0 offset:252
	buffer_load_dword v127, off, s[0:3], 0 offset:260
	buffer_load_dword v128, off, s[0:3], 0 offset:268
	buffer_load_dword v129, off, s[0:3], 0 offset:276
	buffer_load_dword v130, off, s[0:3], 0 offset:284
	buffer_load_dword v131, off, s[0:3], 0 offset:292
	buffer_load_dword v132, off, s[0:3], 0 offset:160
	buffer_load_dword v133, off, s[0:3], 0 offset:168
	buffer_load_dword v134, off, s[0:3], 0 offset:176
	buffer_load_dword v135, off, s[0:3], 0 offset:184
	buffer_load_dword v136, off, s[0:3], 0 offset:192
	buffer_load_dword v137, off, s[0:3], 0 offset:200
	buffer_load_dword v138, off, s[0:3], 0 offset:208
	buffer_load_dword v139, off, s[0:3], 0 offset:216
	buffer_load_dword v140, off, s[0:3], 0 offset:224
	buffer_load_dword v141, off, s[0:3], 0 offset:232
	buffer_load_dword v142, off, s[0:3], 0 offset:240
	buffer_load_dword v143, off, s[0:3], 0 offset:248
	buffer_load_dword v144, off, s[0:3], 0 offset:256
	buffer_load_dword v145, off, s[0:3], 0 offset:264
	buffer_load_dword v146, off, s[0:3], 0 offset:272
	buffer_load_dword v147, off, s[0:3], 0 offset:280
	buffer_load_dword v148, off, s[0:3], 0 offset:288
	buffer_load_dword v149, off, s[0:3], 0 offset:300
	buffer_load_dword v150, off, s[0:3], 0 offset:296
	buffer_load_dword v151, off, s[0:3], 0 offset:152
	buffer_load_dword v152, off, s[0:3], 0 offset:156
	ds_read_b128 v[79:82], v78 offset:464
	ds_read_b128 v[83:86], v78 offset:480
	;; [unrolled: 1-line block ×9, first 2 shown]
	v_cmp_lt_u32_e32 vcc, 18, v0
	s_waitcnt vmcnt(37) lgkmcnt(8)
	v_mul_f32_e32 v78, v79, v115
	s_waitcnt vmcnt(36)
	v_mul_f32_e32 v153, v81, v116
	s_waitcnt vmcnt(35) lgkmcnt(7)
	v_mul_f32_e32 v154, v83, v117
	s_waitcnt vmcnt(34)
	v_mul_f32_e32 v155, v85, v118
	s_waitcnt vmcnt(33) lgkmcnt(6)
	v_mul_f32_e32 v156, v87, v119
	s_waitcnt vmcnt(32)
	v_mul_f32_e32 v157, v89, v120
	s_waitcnt vmcnt(31) lgkmcnt(5)
	v_mul_f32_e32 v158, v91, v121
	s_waitcnt vmcnt(30)
	v_mul_f32_e32 v159, v93, v122
	s_waitcnt vmcnt(29) lgkmcnt(4)
	v_mul_f32_e32 v160, v95, v123
	s_waitcnt vmcnt(28)
	v_mul_f32_e32 v161, v97, v124
	s_waitcnt vmcnt(27) lgkmcnt(3)
	v_mul_f32_e32 v162, v99, v125
	s_waitcnt vmcnt(26)
	v_mul_f32_e32 v163, v101, v126
	s_waitcnt vmcnt(25) lgkmcnt(2)
	v_mul_f32_e32 v164, v103, v127
	s_waitcnt vmcnt(24)
	v_mul_f32_e32 v165, v105, v128
	s_waitcnt vmcnt(23) lgkmcnt(1)
	v_mul_f32_e32 v166, v107, v129
	s_waitcnt vmcnt(22)
	v_mul_f32_e32 v167, v109, v130
	s_waitcnt vmcnt(21) lgkmcnt(0)
	v_mul_f32_e32 v168, v111, v131
	s_waitcnt vmcnt(20)
	v_fmac_f32_e32 v78, v80, v132
	v_mul_f32_e32 v80, v80, v115
	v_fma_f32 v79, v79, v132, -v80
	v_mul_f32_e32 v80, v82, v116
	v_add_f32_e32 v79, 0, v79
	s_waitcnt vmcnt(19)
	v_fma_f32 v80, v81, v133, -v80
	v_add_f32_e32 v79, v79, v80
	v_mul_f32_e32 v80, v84, v117
	s_waitcnt vmcnt(18)
	v_fma_f32 v80, v83, v134, -v80
	v_add_f32_e32 v79, v79, v80
	v_mul_f32_e32 v80, v86, v118
	;; [unrolled: 4-line block ×8, first 2 shown]
	s_waitcnt vmcnt(11)
	v_fma_f32 v80, v97, v141, -v80
	v_fmac_f32_e32 v153, v82, v133
	v_add_f32_e32 v78, 0, v78
	v_add_f32_e32 v79, v79, v80
	v_mul_f32_e32 v80, v100, v125
	v_fmac_f32_e32 v154, v84, v134
	v_add_f32_e32 v78, v78, v153
	s_waitcnt vmcnt(10)
	v_fma_f32 v80, v99, v142, -v80
	v_fmac_f32_e32 v155, v86, v135
	v_add_f32_e32 v78, v78, v154
	v_add_f32_e32 v79, v79, v80
	v_mul_f32_e32 v80, v102, v126
	v_fmac_f32_e32 v156, v88, v136
	v_add_f32_e32 v78, v78, v155
	;; [unrolled: 8-line block ×7, first 2 shown]
	s_waitcnt vmcnt(4)
	v_fma_f32 v80, v111, v148, -v80
	v_fmac_f32_e32 v167, v110, v147
	v_add_f32_e32 v78, v78, v166
	v_add_f32_e32 v79, v79, v80
	s_waitcnt vmcnt(3)
	v_mul_f32_e32 v80, v114, v149
	v_add_f32_e32 v78, v78, v167
	v_fmac_f32_e32 v168, v112, v148
	v_mul_f32_e32 v153, v113, v149
	s_waitcnt vmcnt(2)
	v_fma_f32 v80, v113, v150, -v80
	v_add_f32_e32 v78, v78, v168
	v_fmac_f32_e32 v153, v114, v150
	v_add_f32_e32 v79, v79, v80
	v_add_f32_e32 v78, v78, v153
	s_waitcnt vmcnt(1)
	v_sub_f32_e32 v79, v151, v79
	s_waitcnt vmcnt(0)
	v_sub_f32_e32 v78, v152, v78
	buffer_store_dword v79, off, s[0:3], 0 offset:152
	buffer_store_dword v78, off, s[0:3], 0 offset:156
	s_and_saveexec_b64 s[4:5], vcc
	s_cbranch_execz .LBB37_205
; %bb.204:
	buffer_load_dword v78, off, s[0:3], 0 offset:144
	buffer_load_dword v79, off, s[0:3], 0 offset:148
	v_mov_b32_e32 v80, 0
	buffer_store_dword v80, off, s[0:3], 0 offset:144
	buffer_store_dword v80, off, s[0:3], 0 offset:148
	s_waitcnt vmcnt(2)
	ds_write_b64 v77, v[78:79]
.LBB37_205:
	s_or_b64 exec, exec, s[4:5]
	s_waitcnt lgkmcnt(0)
	; wave barrier
	buffer_load_dword v117, off, s[0:3], 0 offset:156
	buffer_load_dword v118, off, s[0:3], 0 offset:164
	;; [unrolled: 1-line block ×40, first 2 shown]
	v_mov_b32_e32 v78, 0
	ds_read2_b64 v[79:82], v78 offset0:57 offset1:58
	ds_read2_b64 v[83:86], v78 offset0:59 offset1:60
	;; [unrolled: 1-line block ×9, first 2 shown]
	v_cmp_lt_u32_e32 vcc, 17, v0
	s_waitcnt vmcnt(39) lgkmcnt(8)
	v_mul_f32_e32 v115, v79, v117
	s_waitcnt vmcnt(38)
	v_mul_f32_e32 v116, v81, v118
	s_waitcnt vmcnt(37) lgkmcnt(7)
	v_mul_f32_e32 v157, v83, v119
	s_waitcnt vmcnt(36)
	v_mul_f32_e32 v158, v85, v120
	;; [unrolled: 4-line block ×7, first 2 shown]
	s_waitcnt vmcnt(25) lgkmcnt(1)
	v_mul_f32_e32 v169, v107, v131
	s_waitcnt vmcnt(24)
	v_fmac_f32_e32 v115, v80, v132
	v_mul_f32_e32 v80, v80, v117
	v_fma_f32 v79, v79, v132, -v80
	v_mul_f32_e32 v80, v82, v118
	v_add_f32_e32 v79, 0, v79
	s_waitcnt vmcnt(23)
	v_fma_f32 v80, v81, v133, -v80
	v_add_f32_e32 v79, v79, v80
	v_mul_f32_e32 v80, v84, v119
	s_waitcnt vmcnt(22)
	v_fma_f32 v80, v83, v134, -v80
	v_add_f32_e32 v79, v79, v80
	v_mul_f32_e32 v80, v86, v120
	;; [unrolled: 4-line block ×6, first 2 shown]
	s_waitcnt vmcnt(17)
	v_fma_f32 v80, v93, v139, -v80
	v_fmac_f32_e32 v116, v82, v133
	v_add_f32_e32 v115, 0, v115
	v_add_f32_e32 v79, v79, v80
	v_mul_f32_e32 v80, v96, v125
	v_fmac_f32_e32 v157, v84, v134
	v_add_f32_e32 v115, v115, v116
	s_waitcnt vmcnt(16)
	v_fma_f32 v80, v95, v140, -v80
	v_fmac_f32_e32 v158, v86, v135
	v_add_f32_e32 v115, v115, v157
	v_add_f32_e32 v79, v79, v80
	v_mul_f32_e32 v80, v98, v126
	v_fmac_f32_e32 v159, v88, v136
	v_add_f32_e32 v115, v115, v158
	s_waitcnt vmcnt(15)
	v_fma_f32 v80, v97, v141, -v80
	v_fmac_f32_e32 v160, v90, v137
	v_add_f32_e32 v115, v115, v159
	v_add_f32_e32 v79, v79, v80
	v_mul_f32_e32 v80, v100, v127
	v_fmac_f32_e32 v161, v92, v138
	v_add_f32_e32 v115, v115, v160
	s_waitcnt vmcnt(14)
	v_fma_f32 v80, v99, v142, -v80
	v_fmac_f32_e32 v162, v94, v139
	v_add_f32_e32 v115, v115, v161
	v_add_f32_e32 v79, v79, v80
	v_mul_f32_e32 v80, v102, v128
	v_fmac_f32_e32 v163, v96, v140
	v_add_f32_e32 v115, v115, v162
	s_waitcnt vmcnt(13)
	v_fma_f32 v80, v101, v143, -v80
	v_fmac_f32_e32 v164, v98, v141
	v_add_f32_e32 v115, v115, v163
	v_add_f32_e32 v79, v79, v80
	v_mul_f32_e32 v80, v104, v129
	v_fmac_f32_e32 v165, v100, v142
	v_add_f32_e32 v115, v115, v164
	s_waitcnt vmcnt(12)
	v_fma_f32 v80, v103, v144, -v80
	v_fmac_f32_e32 v166, v102, v143
	v_add_f32_e32 v115, v115, v165
	v_add_f32_e32 v79, v79, v80
	v_mul_f32_e32 v80, v106, v130
	v_fmac_f32_e32 v167, v104, v144
	v_add_f32_e32 v115, v115, v166
	s_waitcnt vmcnt(11)
	v_fma_f32 v80, v105, v145, -v80
	v_fmac_f32_e32 v168, v106, v145
	v_add_f32_e32 v115, v115, v167
	v_add_f32_e32 v79, v79, v80
	v_mul_f32_e32 v80, v108, v131
	s_waitcnt vmcnt(10)
	v_fmac_f32_e32 v169, v108, v146
	v_add_f32_e32 v115, v115, v168
	s_waitcnt vmcnt(9)
	v_mul_f32_e32 v116, v109, v147
	v_fma_f32 v80, v107, v146, -v80
	v_add_f32_e32 v115, v115, v169
	s_waitcnt vmcnt(8)
	v_fmac_f32_e32 v116, v110, v148
	v_add_f32_e32 v79, v79, v80
	v_mul_f32_e32 v80, v110, v147
	v_add_f32_e32 v157, v115, v116
	ds_read_b64 v[115:116], v78 offset:600
	v_fma_f32 v80, v109, v148, -v80
	v_add_f32_e32 v79, v79, v80
	s_waitcnt vmcnt(7) lgkmcnt(1)
	v_mul_f32_e32 v80, v112, v149
	v_mul_f32_e32 v158, v111, v149
	s_waitcnt vmcnt(6)
	v_fma_f32 v80, v111, v150, -v80
	v_fmac_f32_e32 v158, v112, v150
	v_add_f32_e32 v79, v79, v80
	s_waitcnt vmcnt(5)
	v_mul_f32_e32 v80, v114, v151
	v_add_f32_e32 v157, v157, v158
	v_mul_f32_e32 v158, v113, v151
	s_waitcnt vmcnt(4)
	v_fma_f32 v80, v113, v152, -v80
	v_fmac_f32_e32 v158, v114, v152
	v_add_f32_e32 v79, v79, v80
	s_waitcnt vmcnt(3) lgkmcnt(0)
	v_mul_f32_e32 v80, v116, v153
	v_add_f32_e32 v157, v157, v158
	v_mul_f32_e32 v158, v115, v153
	s_waitcnt vmcnt(2)
	v_fma_f32 v80, v115, v154, -v80
	v_fmac_f32_e32 v158, v116, v154
	v_add_f32_e32 v79, v79, v80
	v_add_f32_e32 v157, v157, v158
	s_waitcnt vmcnt(1)
	v_sub_f32_e32 v79, v155, v79
	s_waitcnt vmcnt(0)
	v_sub_f32_e32 v80, v156, v157
	buffer_store_dword v79, off, s[0:3], 0 offset:144
	buffer_store_dword v80, off, s[0:3], 0 offset:148
	s_and_saveexec_b64 s[4:5], vcc
	s_cbranch_execz .LBB37_207
; %bb.206:
	buffer_load_dword v79, off, s[0:3], 0 offset:136
	buffer_load_dword v80, off, s[0:3], 0 offset:140
	s_waitcnt vmcnt(0)
	ds_write_b64 v77, v[79:80]
	buffer_store_dword v78, off, s[0:3], 0 offset:136
	buffer_store_dword v78, off, s[0:3], 0 offset:140
.LBB37_207:
	s_or_b64 exec, exec, s[4:5]
	s_waitcnt lgkmcnt(0)
	; wave barrier
	buffer_load_dword v119, off, s[0:3], 0 offset:148
	buffer_load_dword v120, off, s[0:3], 0 offset:156
	;; [unrolled: 1-line block ×42, first 2 shown]
	ds_read_b128 v[79:82], v78 offset:448
	ds_read_b128 v[83:86], v78 offset:464
	;; [unrolled: 1-line block ×8, first 2 shown]
	v_cmp_lt_u32_e32 vcc, 16, v0
	s_waitcnt vmcnt(41) lgkmcnt(7)
	v_mul_f32_e32 v111, v79, v119
	s_waitcnt vmcnt(40)
	v_mul_f32_e32 v112, v81, v120
	s_waitcnt vmcnt(39) lgkmcnt(6)
	v_mul_f32_e32 v113, v83, v121
	s_waitcnt vmcnt(38)
	v_mul_f32_e32 v114, v85, v122
	;; [unrolled: 4-line block ×7, first 2 shown]
	s_waitcnt vmcnt(27) lgkmcnt(0)
	v_mul_f32_e32 v167, v107, v133
	s_waitcnt vmcnt(26)
	v_fmac_f32_e32 v111, v80, v134
	v_mul_f32_e32 v80, v80, v119
	v_fma_f32 v79, v79, v134, -v80
	v_mul_f32_e32 v80, v82, v120
	v_add_f32_e32 v79, 0, v79
	s_waitcnt vmcnt(25)
	v_fma_f32 v80, v81, v135, -v80
	v_add_f32_e32 v79, v79, v80
	v_mul_f32_e32 v80, v84, v121
	s_waitcnt vmcnt(24)
	v_fma_f32 v80, v83, v136, -v80
	v_add_f32_e32 v79, v79, v80
	v_mul_f32_e32 v80, v86, v122
	;; [unrolled: 4-line block ×5, first 2 shown]
	v_fmac_f32_e32 v112, v82, v135
	v_add_f32_e32 v111, 0, v111
	s_waitcnt vmcnt(20)
	v_fma_f32 v80, v91, v140, -v80
	v_fmac_f32_e32 v113, v84, v136
	v_add_f32_e32 v111, v111, v112
	v_add_f32_e32 v79, v79, v80
	v_mul_f32_e32 v80, v94, v126
	v_fmac_f32_e32 v114, v86, v137
	v_add_f32_e32 v111, v111, v113
	s_waitcnt vmcnt(19)
	v_fma_f32 v80, v93, v141, -v80
	v_fmac_f32_e32 v115, v88, v138
	v_add_f32_e32 v111, v111, v114
	v_add_f32_e32 v79, v79, v80
	v_mul_f32_e32 v80, v96, v127
	;; [unrolled: 8-line block ×5, first 2 shown]
	s_waitcnt vmcnt(15)
	v_fmac_f32_e32 v164, v102, v145
	v_add_f32_e32 v111, v111, v163
	v_fma_f32 v80, v101, v145, -v80
	s_waitcnt vmcnt(14)
	v_fmac_f32_e32 v165, v104, v146
	v_add_f32_e32 v111, v111, v164
	v_add_f32_e32 v79, v79, v80
	v_mul_f32_e32 v80, v104, v131
	s_waitcnt vmcnt(13)
	v_fmac_f32_e32 v166, v106, v147
	v_add_f32_e32 v111, v111, v165
	v_fma_f32 v80, v103, v146, -v80
	s_waitcnt vmcnt(12)
	v_fmac_f32_e32 v167, v108, v148
	v_add_f32_e32 v111, v111, v166
	v_add_f32_e32 v79, v79, v80
	v_mul_f32_e32 v80, v106, v132
	v_add_f32_e32 v115, v111, v167
	ds_read_b128 v[111:114], v78 offset:576
	v_fma_f32 v80, v105, v147, -v80
	v_add_f32_e32 v79, v79, v80
	v_mul_f32_e32 v80, v108, v133
	s_waitcnt vmcnt(11)
	v_mul_f32_e32 v116, v109, v149
	v_fma_f32 v80, v107, v148, -v80
	s_waitcnt vmcnt(10)
	v_fmac_f32_e32 v116, v110, v150
	v_add_f32_e32 v79, v79, v80
	v_mul_f32_e32 v80, v110, v149
	v_add_f32_e32 v161, v115, v116
	ds_read_b128 v[115:118], v78 offset:592
	v_fma_f32 v80, v109, v150, -v80
	v_add_f32_e32 v79, v79, v80
	s_waitcnt vmcnt(9) lgkmcnt(1)
	v_mul_f32_e32 v80, v112, v151
	v_mul_f32_e32 v78, v111, v151
	s_waitcnt vmcnt(8)
	v_fma_f32 v80, v111, v152, -v80
	v_fmac_f32_e32 v78, v112, v152
	v_add_f32_e32 v79, v79, v80
	s_waitcnt vmcnt(7)
	v_mul_f32_e32 v80, v114, v153
	v_add_f32_e32 v78, v161, v78
	v_mul_f32_e32 v161, v113, v153
	s_waitcnt vmcnt(6)
	v_fma_f32 v80, v113, v154, -v80
	v_fmac_f32_e32 v161, v114, v154
	v_add_f32_e32 v79, v79, v80
	s_waitcnt vmcnt(5) lgkmcnt(0)
	v_mul_f32_e32 v80, v116, v155
	v_add_f32_e32 v78, v78, v161
	v_mul_f32_e32 v161, v115, v155
	s_waitcnt vmcnt(4)
	v_fma_f32 v80, v115, v156, -v80
	v_fmac_f32_e32 v161, v116, v156
	v_add_f32_e32 v79, v79, v80
	s_waitcnt vmcnt(3)
	v_mul_f32_e32 v80, v118, v157
	v_add_f32_e32 v78, v78, v161
	v_mul_f32_e32 v161, v117, v157
	s_waitcnt vmcnt(2)
	v_fma_f32 v80, v117, v158, -v80
	v_fmac_f32_e32 v161, v118, v158
	v_add_f32_e32 v79, v79, v80
	v_add_f32_e32 v78, v78, v161
	s_waitcnt vmcnt(1)
	v_sub_f32_e32 v79, v159, v79
	s_waitcnt vmcnt(0)
	v_sub_f32_e32 v78, v160, v78
	buffer_store_dword v79, off, s[0:3], 0 offset:136
	buffer_store_dword v78, off, s[0:3], 0 offset:140
	s_and_saveexec_b64 s[4:5], vcc
	s_cbranch_execz .LBB37_209
; %bb.208:
	buffer_load_dword v78, off, s[0:3], 0 offset:128
	buffer_load_dword v79, off, s[0:3], 0 offset:132
	v_mov_b32_e32 v80, 0
	buffer_store_dword v80, off, s[0:3], 0 offset:128
	buffer_store_dword v80, off, s[0:3], 0 offset:132
	s_waitcnt vmcnt(2)
	ds_write_b64 v77, v[78:79]
.LBB37_209:
	s_or_b64 exec, exec, s[4:5]
	s_waitcnt lgkmcnt(0)
	; wave barrier
	buffer_load_dword v121, off, s[0:3], 0 offset:140
	buffer_load_dword v122, off, s[0:3], 0 offset:148
	;; [unrolled: 1-line block ×44, first 2 shown]
	v_mov_b32_e32 v78, 0
	ds_read2_b64 v[79:82], v78 offset0:55 offset1:56
	ds_read2_b64 v[83:86], v78 offset0:57 offset1:58
	;; [unrolled: 1-line block ×8, first 2 shown]
	v_cmp_lt_u32_e32 vcc, 15, v0
	s_waitcnt vmcnt(43) lgkmcnt(7)
	v_mul_f32_e32 v111, v79, v121
	s_waitcnt vmcnt(42)
	v_mul_f32_e32 v112, v81, v122
	s_waitcnt vmcnt(41) lgkmcnt(6)
	v_mul_f32_e32 v113, v83, v123
	s_waitcnt vmcnt(40)
	v_mul_f32_e32 v114, v85, v124
	;; [unrolled: 4-line block ×7, first 2 shown]
	s_waitcnt vmcnt(29)
	v_fmac_f32_e32 v111, v80, v135
	v_mul_f32_e32 v80, v80, v121
	v_fma_f32 v79, v79, v135, -v80
	v_mul_f32_e32 v80, v82, v122
	v_add_f32_e32 v79, 0, v79
	s_waitcnt vmcnt(28)
	v_fma_f32 v80, v81, v136, -v80
	v_add_f32_e32 v79, v79, v80
	v_mul_f32_e32 v80, v84, v123
	s_waitcnt vmcnt(27)
	v_fma_f32 v80, v83, v137, -v80
	v_add_f32_e32 v79, v79, v80
	v_mul_f32_e32 v80, v86, v124
	;; [unrolled: 4-line block ×4, first 2 shown]
	s_waitcnt vmcnt(24)
	v_fma_f32 v80, v89, v140, -v80
	v_fmac_f32_e32 v112, v82, v136
	v_add_f32_e32 v111, 0, v111
	v_add_f32_e32 v79, v79, v80
	v_mul_f32_e32 v80, v92, v127
	v_fmac_f32_e32 v113, v84, v137
	v_add_f32_e32 v111, v111, v112
	s_waitcnt vmcnt(23)
	v_fma_f32 v80, v91, v141, -v80
	v_fmac_f32_e32 v114, v86, v138
	v_add_f32_e32 v111, v111, v113
	v_add_f32_e32 v79, v79, v80
	v_mul_f32_e32 v80, v94, v128
	v_fmac_f32_e32 v115, v88, v139
	v_add_f32_e32 v111, v111, v114
	;; [unrolled: 8-line block ×4, first 2 shown]
	s_waitcnt vmcnt(20)
	v_fma_f32 v80, v97, v144, -v80
	v_fmac_f32_e32 v120, v98, v144
	v_add_f32_e32 v111, v111, v119
	v_add_f32_e32 v79, v79, v80
	v_mul_f32_e32 v80, v100, v131
	s_waitcnt vmcnt(19)
	v_fmac_f32_e32 v165, v100, v145
	v_add_f32_e32 v111, v111, v120
	v_fma_f32 v80, v99, v145, -v80
	s_waitcnt vmcnt(18)
	v_fmac_f32_e32 v166, v102, v146
	v_add_f32_e32 v111, v111, v165
	v_add_f32_e32 v79, v79, v80
	v_mul_f32_e32 v80, v102, v132
	s_waitcnt vmcnt(17)
	v_fmac_f32_e32 v167, v104, v147
	v_add_f32_e32 v111, v111, v166
	v_fma_f32 v80, v101, v146, -v80
	v_add_f32_e32 v111, v111, v167
	s_waitcnt vmcnt(16)
	v_fmac_f32_e32 v168, v106, v148
	s_waitcnt vmcnt(15) lgkmcnt(0)
	v_mul_f32_e32 v112, v107, v149
	v_add_f32_e32 v79, v79, v80
	v_mul_f32_e32 v80, v104, v133
	v_add_f32_e32 v111, v111, v168
	s_waitcnt vmcnt(14)
	v_fmac_f32_e32 v112, v108, v150
	v_fma_f32 v80, v103, v147, -v80
	v_add_f32_e32 v115, v111, v112
	ds_read2_b64 v[111:114], v78 offset0:71 offset1:72
	v_add_f32_e32 v79, v79, v80
	v_mul_f32_e32 v80, v106, v134
	v_fma_f32 v80, v105, v148, -v80
	v_add_f32_e32 v79, v79, v80
	v_mul_f32_e32 v80, v108, v149
	s_waitcnt vmcnt(13)
	v_mul_f32_e32 v116, v109, v151
	v_fma_f32 v80, v107, v150, -v80
	s_waitcnt vmcnt(12)
	v_fmac_f32_e32 v116, v110, v152
	v_add_f32_e32 v79, v79, v80
	v_mul_f32_e32 v80, v110, v151
	v_add_f32_e32 v119, v115, v116
	ds_read2_b64 v[115:118], v78 offset0:73 offset1:74
	s_waitcnt vmcnt(11) lgkmcnt(1)
	v_mul_f32_e32 v120, v111, v153
	v_fma_f32 v80, v109, v152, -v80
	s_waitcnt vmcnt(10)
	v_fmac_f32_e32 v120, v112, v154
	v_add_f32_e32 v79, v79, v80
	v_mul_f32_e32 v80, v112, v153
	v_add_f32_e32 v119, v119, v120
	s_waitcnt vmcnt(9)
	v_mul_f32_e32 v120, v113, v155
	v_fma_f32 v80, v111, v154, -v80
	s_waitcnt vmcnt(8)
	v_fmac_f32_e32 v120, v114, v156
	v_add_f32_e32 v79, v79, v80
	v_mul_f32_e32 v80, v114, v155
	v_add_f32_e32 v165, v119, v120
	ds_read_b64 v[119:120], v78 offset:600
	v_fma_f32 v80, v113, v156, -v80
	v_add_f32_e32 v79, v79, v80
	s_waitcnt vmcnt(7) lgkmcnt(1)
	v_mul_f32_e32 v80, v116, v157
	v_mul_f32_e32 v166, v115, v157
	s_waitcnt vmcnt(6)
	v_fma_f32 v80, v115, v158, -v80
	v_fmac_f32_e32 v166, v116, v158
	v_add_f32_e32 v79, v79, v80
	s_waitcnt vmcnt(5)
	v_mul_f32_e32 v80, v118, v159
	v_add_f32_e32 v165, v165, v166
	v_mul_f32_e32 v166, v117, v159
	s_waitcnt vmcnt(4)
	v_fma_f32 v80, v117, v160, -v80
	v_fmac_f32_e32 v166, v118, v160
	v_add_f32_e32 v79, v79, v80
	s_waitcnt vmcnt(3) lgkmcnt(0)
	v_mul_f32_e32 v80, v120, v161
	v_add_f32_e32 v165, v165, v166
	v_mul_f32_e32 v166, v119, v161
	s_waitcnt vmcnt(2)
	v_fma_f32 v80, v119, v162, -v80
	v_fmac_f32_e32 v166, v120, v162
	v_add_f32_e32 v79, v79, v80
	v_add_f32_e32 v165, v165, v166
	s_waitcnt vmcnt(1)
	v_sub_f32_e32 v79, v163, v79
	s_waitcnt vmcnt(0)
	v_sub_f32_e32 v80, v164, v165
	buffer_store_dword v79, off, s[0:3], 0 offset:128
	buffer_store_dword v80, off, s[0:3], 0 offset:132
	s_and_saveexec_b64 s[4:5], vcc
	s_cbranch_execz .LBB37_211
; %bb.210:
	buffer_load_dword v79, off, s[0:3], 0 offset:120
	buffer_load_dword v80, off, s[0:3], 0 offset:124
	s_waitcnt vmcnt(0)
	ds_write_b64 v77, v[79:80]
	buffer_store_dword v78, off, s[0:3], 0 offset:120
	buffer_store_dword v78, off, s[0:3], 0 offset:124
.LBB37_211:
	s_or_b64 exec, exec, s[4:5]
	s_waitcnt lgkmcnt(0)
	; wave barrier
	buffer_load_dword v123, off, s[0:3], 0 offset:132
	buffer_load_dword v124, off, s[0:3], 0 offset:140
	;; [unrolled: 1-line block ×46, first 2 shown]
	ds_read_b128 v[79:82], v78 offset:432
	ds_read_b128 v[83:86], v78 offset:448
	;; [unrolled: 1-line block ×8, first 2 shown]
	v_cmp_lt_u32_e32 vcc, 14, v0
	s_waitcnt vmcnt(45) lgkmcnt(7)
	v_mul_f32_e32 v111, v79, v123
	s_waitcnt vmcnt(44)
	v_mul_f32_e32 v112, v81, v124
	s_waitcnt vmcnt(43) lgkmcnt(6)
	v_mul_f32_e32 v113, v83, v125
	s_waitcnt vmcnt(42)
	v_mul_f32_e32 v114, v85, v126
	;; [unrolled: 4-line block ×6, first 2 shown]
	s_waitcnt vmcnt(33) lgkmcnt(1)
	v_mul_f32_e32 v169, v103, v135
	s_waitcnt vmcnt(32)
	v_fmac_f32_e32 v111, v80, v136
	v_mul_f32_e32 v80, v80, v123
	v_fma_f32 v79, v79, v136, -v80
	v_mul_f32_e32 v80, v82, v124
	v_add_f32_e32 v79, 0, v79
	s_waitcnt vmcnt(31)
	v_fma_f32 v80, v81, v137, -v80
	v_add_f32_e32 v79, v79, v80
	v_mul_f32_e32 v80, v84, v125
	s_waitcnt vmcnt(30)
	v_fma_f32 v80, v83, v138, -v80
	v_add_f32_e32 v79, v79, v80
	v_mul_f32_e32 v80, v86, v126
	;; [unrolled: 4-line block ×4, first 2 shown]
	v_fmac_f32_e32 v112, v82, v137
	v_add_f32_e32 v111, 0, v111
	s_waitcnt vmcnt(27)
	v_fma_f32 v80, v89, v141, -v80
	v_fmac_f32_e32 v113, v84, v138
	v_add_f32_e32 v111, v111, v112
	v_add_f32_e32 v79, v79, v80
	v_mul_f32_e32 v80, v92, v129
	v_fmac_f32_e32 v114, v86, v139
	v_add_f32_e32 v111, v111, v113
	s_waitcnt vmcnt(26)
	v_fma_f32 v80, v91, v142, -v80
	v_fmac_f32_e32 v115, v88, v140
	v_add_f32_e32 v111, v111, v114
	v_add_f32_e32 v79, v79, v80
	v_mul_f32_e32 v80, v94, v130
	;; [unrolled: 8-line block ×4, first 2 shown]
	s_waitcnt vmcnt(23)
	v_fmac_f32_e32 v120, v98, v145
	v_add_f32_e32 v111, v111, v119
	v_fma_f32 v80, v97, v145, -v80
	s_waitcnt vmcnt(22)
	v_fmac_f32_e32 v121, v100, v146
	v_add_f32_e32 v111, v111, v120
	v_add_f32_e32 v79, v79, v80
	v_mul_f32_e32 v80, v100, v133
	s_waitcnt vmcnt(21)
	v_fmac_f32_e32 v122, v102, v147
	v_add_f32_e32 v111, v111, v121
	v_fma_f32 v80, v99, v146, -v80
	s_waitcnt vmcnt(20)
	v_fmac_f32_e32 v169, v104, v148
	v_add_f32_e32 v111, v111, v122
	s_waitcnt vmcnt(19)
	v_mul_f32_e32 v112, v105, v149
	v_add_f32_e32 v79, v79, v80
	v_mul_f32_e32 v80, v102, v134
	v_add_f32_e32 v111, v111, v169
	s_waitcnt vmcnt(18)
	v_fmac_f32_e32 v112, v106, v150
	v_fma_f32 v80, v101, v147, -v80
	v_add_f32_e32 v111, v111, v112
	s_waitcnt vmcnt(17) lgkmcnt(0)
	v_mul_f32_e32 v112, v107, v151
	v_add_f32_e32 v79, v79, v80
	v_mul_f32_e32 v80, v104, v135
	s_waitcnt vmcnt(16)
	v_fmac_f32_e32 v112, v108, v152
	v_fma_f32 v80, v103, v148, -v80
	v_add_f32_e32 v115, v111, v112
	ds_read_b128 v[111:114], v78 offset:560
	v_add_f32_e32 v79, v79, v80
	v_mul_f32_e32 v80, v106, v149
	v_fma_f32 v80, v105, v150, -v80
	v_add_f32_e32 v79, v79, v80
	v_mul_f32_e32 v80, v108, v151
	s_waitcnt vmcnt(15)
	v_mul_f32_e32 v116, v109, v153
	v_fma_f32 v80, v107, v152, -v80
	s_waitcnt vmcnt(14)
	v_fmac_f32_e32 v116, v110, v154
	v_add_f32_e32 v79, v79, v80
	v_mul_f32_e32 v80, v110, v153
	v_add_f32_e32 v119, v115, v116
	ds_read_b128 v[115:118], v78 offset:576
	s_waitcnt vmcnt(13) lgkmcnt(1)
	v_mul_f32_e32 v120, v111, v155
	v_fma_f32 v80, v109, v154, -v80
	s_waitcnt vmcnt(12)
	v_fmac_f32_e32 v120, v112, v156
	v_add_f32_e32 v79, v79, v80
	v_mul_f32_e32 v80, v112, v155
	v_add_f32_e32 v119, v119, v120
	s_waitcnt vmcnt(11)
	v_mul_f32_e32 v120, v113, v157
	v_fma_f32 v80, v111, v156, -v80
	s_waitcnt vmcnt(10)
	v_fmac_f32_e32 v120, v114, v158
	v_add_f32_e32 v79, v79, v80
	v_mul_f32_e32 v80, v114, v157
	v_add_f32_e32 v169, v119, v120
	ds_read_b128 v[119:122], v78 offset:592
	v_fma_f32 v80, v113, v158, -v80
	v_add_f32_e32 v79, v79, v80
	s_waitcnt vmcnt(9) lgkmcnt(1)
	v_mul_f32_e32 v80, v116, v159
	v_mul_f32_e32 v170, v115, v159
	s_waitcnt vmcnt(8)
	v_fma_f32 v80, v115, v160, -v80
	v_fmac_f32_e32 v170, v116, v160
	v_add_f32_e32 v79, v79, v80
	s_waitcnt vmcnt(7)
	v_mul_f32_e32 v80, v118, v161
	v_add_f32_e32 v78, v169, v170
	v_mul_f32_e32 v169, v117, v161
	s_waitcnt vmcnt(6)
	v_fma_f32 v80, v117, v162, -v80
	v_fmac_f32_e32 v169, v118, v162
	v_add_f32_e32 v79, v79, v80
	s_waitcnt vmcnt(5) lgkmcnt(0)
	v_mul_f32_e32 v80, v120, v163
	v_add_f32_e32 v78, v78, v169
	v_mul_f32_e32 v169, v119, v163
	s_waitcnt vmcnt(4)
	v_fma_f32 v80, v119, v164, -v80
	v_fmac_f32_e32 v169, v120, v164
	v_add_f32_e32 v79, v79, v80
	s_waitcnt vmcnt(3)
	v_mul_f32_e32 v80, v122, v165
	v_add_f32_e32 v78, v78, v169
	v_mul_f32_e32 v169, v121, v165
	s_waitcnt vmcnt(2)
	v_fma_f32 v80, v121, v166, -v80
	v_fmac_f32_e32 v169, v122, v166
	v_add_f32_e32 v79, v79, v80
	v_add_f32_e32 v78, v78, v169
	s_waitcnt vmcnt(1)
	v_sub_f32_e32 v79, v167, v79
	s_waitcnt vmcnt(0)
	v_sub_f32_e32 v78, v168, v78
	buffer_store_dword v79, off, s[0:3], 0 offset:120
	buffer_store_dword v78, off, s[0:3], 0 offset:124
	s_and_saveexec_b64 s[4:5], vcc
	s_cbranch_execz .LBB37_213
; %bb.212:
	buffer_load_dword v78, off, s[0:3], 0 offset:112
	buffer_load_dword v79, off, s[0:3], 0 offset:116
	v_mov_b32_e32 v80, 0
	buffer_store_dword v80, off, s[0:3], 0 offset:112
	buffer_store_dword v80, off, s[0:3], 0 offset:116
	s_waitcnt vmcnt(2)
	ds_write_b64 v77, v[78:79]
.LBB37_213:
	s_or_b64 exec, exec, s[4:5]
	s_waitcnt lgkmcnt(0)
	; wave barrier
	buffer_load_dword v125, off, s[0:3], 0 offset:124
	buffer_load_dword v126, off, s[0:3], 0 offset:132
	;; [unrolled: 1-line block ×48, first 2 shown]
	v_mov_b32_e32 v78, 0
	ds_read2_b64 v[79:82], v78 offset0:53 offset1:54
	ds_read2_b64 v[83:86], v78 offset0:55 offset1:56
	;; [unrolled: 1-line block ×7, first 2 shown]
	v_cmp_lt_u32_e32 vcc, 13, v0
	s_waitcnt vmcnt(47) lgkmcnt(6)
	v_mul_f32_e32 v107, v79, v125
	s_waitcnt vmcnt(46)
	v_mul_f32_e32 v108, v81, v126
	s_waitcnt vmcnt(45) lgkmcnt(5)
	v_mul_f32_e32 v109, v83, v127
	s_waitcnt vmcnt(44)
	v_mul_f32_e32 v110, v85, v128
	;; [unrolled: 4-line block ×6, first 2 shown]
	s_waitcnt vmcnt(35)
	v_fmac_f32_e32 v107, v80, v137
	v_mul_f32_e32 v80, v80, v125
	v_fma_f32 v79, v79, v137, -v80
	v_mul_f32_e32 v80, v82, v126
	v_add_f32_e32 v79, 0, v79
	s_waitcnt vmcnt(34)
	v_fma_f32 v80, v81, v138, -v80
	v_add_f32_e32 v79, v79, v80
	v_mul_f32_e32 v80, v84, v127
	s_waitcnt vmcnt(33)
	v_fma_f32 v80, v83, v139, -v80
	v_fmac_f32_e32 v108, v82, v138
	v_add_f32_e32 v107, 0, v107
	v_add_f32_e32 v79, v79, v80
	v_mul_f32_e32 v80, v86, v128
	v_fmac_f32_e32 v109, v84, v139
	v_add_f32_e32 v107, v107, v108
	s_waitcnt vmcnt(32)
	v_fma_f32 v80, v85, v140, -v80
	v_fmac_f32_e32 v110, v86, v140
	v_add_f32_e32 v107, v107, v109
	v_add_f32_e32 v79, v79, v80
	v_mul_f32_e32 v80, v88, v129
	s_waitcnt vmcnt(31)
	v_fmac_f32_e32 v111, v88, v141
	v_add_f32_e32 v107, v107, v110
	v_fma_f32 v80, v87, v141, -v80
	s_waitcnt vmcnt(30)
	v_fmac_f32_e32 v112, v90, v142
	v_add_f32_e32 v107, v107, v111
	v_add_f32_e32 v79, v79, v80
	v_mul_f32_e32 v80, v90, v130
	s_waitcnt vmcnt(29)
	v_fmac_f32_e32 v113, v92, v143
	v_add_f32_e32 v107, v107, v112
	v_fma_f32 v80, v89, v142, -v80
	s_waitcnt vmcnt(28)
	;; [unrolled: 9-line block ×4, first 2 shown]
	v_fmac_f32_e32 v118, v102, v148
	v_add_f32_e32 v107, v107, v117
	v_add_f32_e32 v79, v79, v80
	v_mul_f32_e32 v80, v96, v133
	v_add_f32_e32 v111, v107, v118
	ds_read2_b64 v[107:110], v78 offset0:67 offset1:68
	v_fma_f32 v80, v95, v145, -v80
	s_waitcnt vmcnt(23) lgkmcnt(1)
	v_mul_f32_e32 v112, v103, v149
	v_add_f32_e32 v79, v79, v80
	v_mul_f32_e32 v80, v98, v134
	s_waitcnt vmcnt(22)
	v_fmac_f32_e32 v112, v104, v150
	v_fma_f32 v80, v97, v146, -v80
	v_add_f32_e32 v111, v111, v112
	s_waitcnt vmcnt(21)
	v_mul_f32_e32 v112, v105, v151
	v_add_f32_e32 v79, v79, v80
	v_mul_f32_e32 v80, v100, v135
	s_waitcnt vmcnt(20)
	v_fmac_f32_e32 v112, v106, v152
	v_fma_f32 v80, v99, v147, -v80
	v_add_f32_e32 v111, v111, v112
	s_waitcnt vmcnt(19) lgkmcnt(0)
	v_mul_f32_e32 v112, v107, v153
	v_add_f32_e32 v79, v79, v80
	v_mul_f32_e32 v80, v102, v136
	s_waitcnt vmcnt(18)
	v_fmac_f32_e32 v112, v108, v154
	v_fma_f32 v80, v101, v148, -v80
	v_add_f32_e32 v115, v111, v112
	ds_read2_b64 v[111:114], v78 offset0:69 offset1:70
	v_add_f32_e32 v79, v79, v80
	v_mul_f32_e32 v80, v104, v149
	v_fma_f32 v80, v103, v150, -v80
	s_waitcnt vmcnt(17)
	v_mul_f32_e32 v116, v109, v155
	v_add_f32_e32 v79, v79, v80
	v_mul_f32_e32 v80, v106, v151
	s_waitcnt vmcnt(16)
	v_fmac_f32_e32 v116, v110, v156
	v_fma_f32 v80, v105, v152, -v80
	v_add_f32_e32 v119, v115, v116
	ds_read2_b64 v[115:118], v78 offset0:71 offset1:72
	v_add_f32_e32 v79, v79, v80
	v_mul_f32_e32 v80, v108, v153
	s_waitcnt vmcnt(15) lgkmcnt(1)
	v_mul_f32_e32 v120, v111, v157
	v_fma_f32 v80, v107, v154, -v80
	s_waitcnt vmcnt(14)
	v_fmac_f32_e32 v120, v112, v158
	v_add_f32_e32 v79, v79, v80
	v_mul_f32_e32 v80, v110, v155
	v_add_f32_e32 v119, v119, v120
	s_waitcnt vmcnt(13)
	v_mul_f32_e32 v120, v113, v159
	v_fma_f32 v80, v109, v156, -v80
	s_waitcnt vmcnt(12)
	v_fmac_f32_e32 v120, v114, v160
	v_add_f32_e32 v79, v79, v80
	v_mul_f32_e32 v80, v112, v157
	v_add_f32_e32 v119, v119, v120
	s_waitcnt vmcnt(11) lgkmcnt(0)
	v_mul_f32_e32 v120, v115, v161
	v_fma_f32 v80, v111, v158, -v80
	s_waitcnt vmcnt(10)
	v_fmac_f32_e32 v120, v116, v162
	v_add_f32_e32 v79, v79, v80
	v_mul_f32_e32 v80, v114, v159
	v_add_f32_e32 v123, v119, v120
	ds_read2_b64 v[119:122], v78 offset0:73 offset1:74
	v_fma_f32 v80, v113, v160, -v80
	v_add_f32_e32 v79, v79, v80
	v_mul_f32_e32 v80, v116, v161
	s_waitcnt vmcnt(9)
	v_mul_f32_e32 v124, v117, v163
	v_fma_f32 v80, v115, v162, -v80
	s_waitcnt vmcnt(8)
	v_fmac_f32_e32 v124, v118, v164
	v_add_f32_e32 v79, v79, v80
	v_mul_f32_e32 v80, v118, v163
	v_add_f32_e32 v173, v123, v124
	ds_read_b64 v[123:124], v78 offset:600
	v_fma_f32 v80, v117, v164, -v80
	v_add_f32_e32 v79, v79, v80
	s_waitcnt vmcnt(6) lgkmcnt(1)
	v_mul_f32_e32 v80, v120, v166
	v_mul_f32_e32 v174, v119, v166
	v_fma_f32 v80, v119, v165, -v80
	v_fmac_f32_e32 v174, v120, v165
	v_add_f32_e32 v79, v79, v80
	s_waitcnt vmcnt(3)
	v_mul_f32_e32 v80, v122, v169
	v_add_f32_e32 v173, v173, v174
	v_mul_f32_e32 v174, v121, v169
	s_waitcnt vmcnt(2)
	v_fma_f32 v80, v121, v170, -v80
	v_fmac_f32_e32 v174, v122, v170
	v_add_f32_e32 v79, v79, v80
	s_waitcnt vmcnt(0) lgkmcnt(0)
	v_mul_f32_e32 v80, v124, v172
	v_add_f32_e32 v173, v173, v174
	v_mul_f32_e32 v174, v123, v172
	v_fma_f32 v80, v123, v171, -v80
	v_fmac_f32_e32 v174, v124, v171
	v_add_f32_e32 v79, v79, v80
	v_add_f32_e32 v173, v173, v174
	v_sub_f32_e32 v79, v167, v79
	v_sub_f32_e32 v80, v168, v173
	buffer_store_dword v79, off, s[0:3], 0 offset:112
	buffer_store_dword v80, off, s[0:3], 0 offset:116
	s_and_saveexec_b64 s[4:5], vcc
	s_cbranch_execz .LBB37_215
; %bb.214:
	buffer_load_dword v79, off, s[0:3], 0 offset:104
	buffer_load_dword v80, off, s[0:3], 0 offset:108
	s_waitcnt vmcnt(0)
	ds_write_b64 v77, v[79:80]
	buffer_store_dword v78, off, s[0:3], 0 offset:104
	buffer_store_dword v78, off, s[0:3], 0 offset:108
.LBB37_215:
	s_or_b64 exec, exec, s[4:5]
	s_waitcnt lgkmcnt(0)
	; wave barrier
	buffer_load_dword v127, off, s[0:3], 0 offset:116
	buffer_load_dword v128, off, s[0:3], 0 offset:124
	;; [unrolled: 1-line block ×48, first 2 shown]
	ds_read_b128 v[79:82], v78 offset:416
	ds_read_b128 v[83:86], v78 offset:432
	buffer_load_dword v175, off, s[0:3], 0 offset:296
	buffer_load_dword v176, off, s[0:3], 0 offset:300
	ds_read_b128 v[87:90], v78 offset:448
	ds_read_b128 v[91:94], v78 offset:464
	;; [unrolled: 1-line block ×5, first 2 shown]
	v_cmp_lt_u32_e32 vcc, 12, v0
	s_waitcnt vmcnt(49) lgkmcnt(6)
	v_mul_f32_e32 v107, v79, v127
	s_waitcnt vmcnt(48)
	v_mul_f32_e32 v108, v81, v128
	s_waitcnt vmcnt(47) lgkmcnt(5)
	v_mul_f32_e32 v109, v83, v129
	s_waitcnt vmcnt(46)
	v_mul_f32_e32 v110, v85, v130
	;; [unrolled: 4-line block ×6, first 2 shown]
	s_waitcnt vmcnt(37)
	v_fmac_f32_e32 v107, v80, v139
	v_mul_f32_e32 v80, v80, v127
	v_fma_f32 v79, v79, v139, -v80
	v_mul_f32_e32 v80, v82, v128
	v_add_f32_e32 v79, 0, v79
	s_waitcnt vmcnt(36)
	v_fma_f32 v80, v81, v140, -v80
	v_add_f32_e32 v79, v79, v80
	v_mul_f32_e32 v80, v84, v129
	s_waitcnt vmcnt(35)
	v_fma_f32 v80, v83, v141, -v80
	v_fmac_f32_e32 v108, v82, v140
	v_add_f32_e32 v107, 0, v107
	v_add_f32_e32 v79, v79, v80
	v_mul_f32_e32 v80, v86, v130
	v_fmac_f32_e32 v109, v84, v141
	v_add_f32_e32 v107, v107, v108
	s_waitcnt vmcnt(34)
	v_fma_f32 v80, v85, v142, -v80
	v_fmac_f32_e32 v110, v86, v142
	v_add_f32_e32 v107, v107, v109
	v_add_f32_e32 v79, v79, v80
	v_mul_f32_e32 v80, v88, v131
	s_waitcnt vmcnt(33)
	v_fmac_f32_e32 v111, v88, v143
	v_add_f32_e32 v107, v107, v110
	v_fma_f32 v80, v87, v143, -v80
	s_waitcnt vmcnt(32)
	v_fmac_f32_e32 v112, v90, v144
	v_add_f32_e32 v107, v107, v111
	v_add_f32_e32 v79, v79, v80
	v_mul_f32_e32 v80, v90, v132
	s_waitcnt vmcnt(31)
	v_fmac_f32_e32 v113, v92, v145
	v_add_f32_e32 v107, v107, v112
	v_fma_f32 v80, v89, v144, -v80
	s_waitcnt vmcnt(30)
	;; [unrolled: 9-line block ×3, first 2 shown]
	v_fmac_f32_e32 v116, v98, v148
	v_add_f32_e32 v107, v107, v115
	v_add_f32_e32 v79, v79, v80
	v_mul_f32_e32 v80, v94, v134
	s_waitcnt vmcnt(27)
	v_fmac_f32_e32 v117, v100, v149
	v_add_f32_e32 v107, v107, v116
	v_fma_f32 v80, v93, v146, -v80
	v_add_f32_e32 v107, v107, v117
	s_waitcnt vmcnt(26)
	v_fmac_f32_e32 v118, v102, v150
	v_add_f32_e32 v79, v79, v80
	v_mul_f32_e32 v80, v96, v135
	v_add_f32_e32 v111, v107, v118
	ds_read_b128 v[107:110], v78 offset:528
	v_fma_f32 v80, v95, v147, -v80
	s_waitcnt vmcnt(25) lgkmcnt(1)
	v_mul_f32_e32 v112, v103, v151
	v_add_f32_e32 v79, v79, v80
	v_mul_f32_e32 v80, v98, v136
	s_waitcnt vmcnt(24)
	v_fmac_f32_e32 v112, v104, v152
	v_fma_f32 v80, v97, v148, -v80
	v_add_f32_e32 v111, v111, v112
	s_waitcnt vmcnt(23)
	v_mul_f32_e32 v112, v105, v153
	v_add_f32_e32 v79, v79, v80
	v_mul_f32_e32 v80, v100, v137
	s_waitcnt vmcnt(22)
	v_fmac_f32_e32 v112, v106, v154
	v_fma_f32 v80, v99, v149, -v80
	v_add_f32_e32 v111, v111, v112
	s_waitcnt vmcnt(21) lgkmcnt(0)
	v_mul_f32_e32 v112, v107, v155
	v_add_f32_e32 v79, v79, v80
	v_mul_f32_e32 v80, v102, v138
	s_waitcnt vmcnt(20)
	v_fmac_f32_e32 v112, v108, v156
	v_fma_f32 v80, v101, v150, -v80
	v_add_f32_e32 v115, v111, v112
	ds_read_b128 v[111:114], v78 offset:544
	v_add_f32_e32 v79, v79, v80
	v_mul_f32_e32 v80, v104, v151
	v_fma_f32 v80, v103, v152, -v80
	s_waitcnt vmcnt(19)
	v_mul_f32_e32 v116, v109, v157
	v_add_f32_e32 v79, v79, v80
	v_mul_f32_e32 v80, v106, v153
	s_waitcnt vmcnt(18)
	v_fmac_f32_e32 v116, v110, v158
	v_fma_f32 v80, v105, v154, -v80
	v_add_f32_e32 v119, v115, v116
	ds_read_b128 v[115:118], v78 offset:560
	v_add_f32_e32 v79, v79, v80
	v_mul_f32_e32 v80, v108, v155
	s_waitcnt vmcnt(17) lgkmcnt(1)
	v_mul_f32_e32 v120, v111, v159
	v_fma_f32 v80, v107, v156, -v80
	s_waitcnt vmcnt(16)
	v_fmac_f32_e32 v120, v112, v160
	v_add_f32_e32 v79, v79, v80
	v_mul_f32_e32 v80, v110, v157
	v_add_f32_e32 v119, v119, v120
	s_waitcnt vmcnt(15)
	v_mul_f32_e32 v120, v113, v161
	v_fma_f32 v80, v109, v158, -v80
	s_waitcnt vmcnt(14)
	v_fmac_f32_e32 v120, v114, v162
	v_add_f32_e32 v79, v79, v80
	v_mul_f32_e32 v80, v112, v159
	v_add_f32_e32 v119, v119, v120
	s_waitcnt vmcnt(13) lgkmcnt(0)
	v_mul_f32_e32 v120, v115, v163
	v_fma_f32 v80, v111, v160, -v80
	s_waitcnt vmcnt(12)
	v_fmac_f32_e32 v120, v116, v164
	v_add_f32_e32 v79, v79, v80
	v_mul_f32_e32 v80, v114, v161
	v_add_f32_e32 v123, v119, v120
	ds_read_b128 v[119:122], v78 offset:576
	v_fma_f32 v80, v113, v162, -v80
	v_add_f32_e32 v79, v79, v80
	v_mul_f32_e32 v80, v116, v163
	s_waitcnt vmcnt(11)
	v_mul_f32_e32 v124, v117, v165
	v_fma_f32 v80, v115, v164, -v80
	s_waitcnt vmcnt(10)
	v_fmac_f32_e32 v124, v118, v166
	v_add_f32_e32 v79, v79, v80
	v_mul_f32_e32 v80, v118, v165
	v_add_f32_e32 v177, v123, v124
	ds_read_b128 v[123:126], v78 offset:592
	v_fma_f32 v80, v117, v166, -v80
	v_add_f32_e32 v79, v79, v80
	s_waitcnt vmcnt(7) lgkmcnt(1)
	v_mul_f32_e32 v80, v120, v169
	v_mul_f32_e32 v78, v119, v169
	s_waitcnt vmcnt(6)
	v_fma_f32 v80, v119, v170, -v80
	v_fmac_f32_e32 v78, v120, v170
	v_add_f32_e32 v79, v79, v80
	s_waitcnt vmcnt(4)
	v_mul_f32_e32 v80, v122, v172
	v_add_f32_e32 v78, v177, v78
	v_mul_f32_e32 v177, v121, v172
	v_fma_f32 v80, v121, v171, -v80
	v_fmac_f32_e32 v177, v122, v171
	v_add_f32_e32 v79, v79, v80
	s_waitcnt vmcnt(2) lgkmcnt(0)
	v_mul_f32_e32 v80, v124, v174
	v_add_f32_e32 v78, v78, v177
	v_mul_f32_e32 v177, v123, v174
	v_fma_f32 v80, v123, v173, -v80
	v_fmac_f32_e32 v177, v124, v173
	v_add_f32_e32 v79, v79, v80
	s_waitcnt vmcnt(0)
	v_mul_f32_e32 v80, v126, v176
	v_add_f32_e32 v78, v78, v177
	v_mul_f32_e32 v177, v125, v176
	v_fma_f32 v80, v125, v175, -v80
	v_fmac_f32_e32 v177, v126, v175
	v_add_f32_e32 v79, v79, v80
	v_add_f32_e32 v78, v78, v177
	v_sub_f32_e32 v79, v167, v79
	v_sub_f32_e32 v78, v168, v78
	buffer_store_dword v79, off, s[0:3], 0 offset:104
	buffer_store_dword v78, off, s[0:3], 0 offset:108
	s_and_saveexec_b64 s[4:5], vcc
	s_cbranch_execz .LBB37_217
; %bb.216:
	buffer_load_dword v78, off, s[0:3], 0 offset:96
	buffer_load_dword v79, off, s[0:3], 0 offset:100
	v_mov_b32_e32 v80, 0
	buffer_store_dword v80, off, s[0:3], 0 offset:96
	buffer_store_dword v80, off, s[0:3], 0 offset:100
	s_waitcnt vmcnt(2)
	ds_write_b64 v77, v[78:79]
.LBB37_217:
	s_or_b64 exec, exec, s[4:5]
	s_waitcnt lgkmcnt(0)
	; wave barrier
	buffer_load_dword v129, off, s[0:3], 0 offset:108
	buffer_load_dword v130, off, s[0:3], 0 offset:116
	;; [unrolled: 1-line block ×52, first 2 shown]
	v_mov_b32_e32 v78, 0
	ds_read2_b64 v[79:82], v78 offset0:51 offset1:52
	ds_read2_b64 v[83:86], v78 offset0:53 offset1:54
	;; [unrolled: 1-line block ×6, first 2 shown]
	v_cmp_lt_u32_e32 vcc, 11, v0
	s_waitcnt vmcnt(51) lgkmcnt(5)
	v_mul_f32_e32 v103, v79, v129
	s_waitcnt vmcnt(50)
	v_mul_f32_e32 v104, v81, v130
	s_waitcnt vmcnt(49) lgkmcnt(4)
	v_mul_f32_e32 v105, v83, v131
	s_waitcnt vmcnt(48)
	v_mul_f32_e32 v106, v85, v132
	;; [unrolled: 4-line block ×5, first 2 shown]
	s_waitcnt vmcnt(41) lgkmcnt(0)
	v_mul_f32_e32 v113, v99, v139
	s_waitcnt vmcnt(40)
	v_fmac_f32_e32 v103, v80, v140
	v_mul_f32_e32 v80, v80, v129
	s_waitcnt vmcnt(39)
	v_fmac_f32_e32 v104, v82, v141
	v_add_f32_e32 v103, 0, v103
	v_fma_f32 v79, v79, v140, -v80
	v_mul_f32_e32 v80, v82, v130
	s_waitcnt vmcnt(38)
	v_fmac_f32_e32 v105, v84, v142
	v_add_f32_e32 v103, v103, v104
	v_add_f32_e32 v79, 0, v79
	v_fma_f32 v80, v81, v141, -v80
	s_waitcnt vmcnt(37)
	v_fmac_f32_e32 v106, v86, v143
	v_add_f32_e32 v103, v103, v105
	v_add_f32_e32 v79, v79, v80
	v_mul_f32_e32 v80, v84, v131
	s_waitcnt vmcnt(36)
	v_fmac_f32_e32 v107, v88, v144
	v_add_f32_e32 v103, v103, v106
	v_fma_f32 v80, v83, v142, -v80
	s_waitcnt vmcnt(35)
	v_fmac_f32_e32 v108, v90, v145
	v_add_f32_e32 v103, v103, v107
	v_add_f32_e32 v79, v79, v80
	v_mul_f32_e32 v80, v86, v132
	s_waitcnt vmcnt(34)
	v_fmac_f32_e32 v109, v92, v146
	;; [unrolled: 9-line block ×3, first 2 shown]
	v_add_f32_e32 v103, v103, v110
	v_fma_f32 v80, v87, v144, -v80
	s_waitcnt vmcnt(31)
	v_fmac_f32_e32 v112, v98, v149
	v_add_f32_e32 v103, v103, v111
	v_add_f32_e32 v79, v79, v80
	v_mul_f32_e32 v80, v90, v134
	v_add_f32_e32 v103, v103, v112
	s_waitcnt vmcnt(30)
	v_fmac_f32_e32 v113, v100, v150
	v_fma_f32 v80, v89, v145, -v80
	v_add_f32_e32 v107, v103, v113
	ds_read2_b64 v[103:106], v78 offset0:63 offset1:64
	v_add_f32_e32 v79, v79, v80
	v_mul_f32_e32 v80, v92, v135
	v_fma_f32 v80, v91, v146, -v80
	s_waitcnt vmcnt(29)
	v_mul_f32_e32 v108, v101, v151
	v_add_f32_e32 v79, v79, v80
	v_mul_f32_e32 v80, v94, v136
	s_waitcnt vmcnt(28)
	v_fmac_f32_e32 v108, v102, v152
	v_fma_f32 v80, v93, v147, -v80
	v_add_f32_e32 v111, v107, v108
	ds_read2_b64 v[107:110], v78 offset0:65 offset1:66
	v_add_f32_e32 v79, v79, v80
	v_mul_f32_e32 v80, v96, v137
	s_waitcnt vmcnt(27) lgkmcnt(1)
	v_mul_f32_e32 v112, v103, v153
	v_fma_f32 v80, v95, v148, -v80
	s_waitcnt vmcnt(26)
	v_fmac_f32_e32 v112, v104, v154
	v_add_f32_e32 v79, v79, v80
	v_mul_f32_e32 v80, v98, v138
	v_add_f32_e32 v111, v111, v112
	s_waitcnt vmcnt(25)
	v_mul_f32_e32 v112, v105, v155
	v_fma_f32 v80, v97, v149, -v80
	s_waitcnt vmcnt(24)
	v_fmac_f32_e32 v112, v106, v156
	v_add_f32_e32 v79, v79, v80
	v_mul_f32_e32 v80, v100, v139
	v_add_f32_e32 v111, v111, v112
	s_waitcnt vmcnt(23) lgkmcnt(0)
	v_mul_f32_e32 v112, v107, v157
	v_fma_f32 v80, v99, v150, -v80
	s_waitcnt vmcnt(22)
	v_fmac_f32_e32 v112, v108, v158
	v_add_f32_e32 v79, v79, v80
	v_mul_f32_e32 v80, v102, v151
	v_add_f32_e32 v115, v111, v112
	ds_read2_b64 v[111:114], v78 offset0:67 offset1:68
	v_fma_f32 v80, v101, v152, -v80
	v_add_f32_e32 v79, v79, v80
	v_mul_f32_e32 v80, v104, v153
	s_waitcnt vmcnt(21)
	v_mul_f32_e32 v116, v109, v159
	v_fma_f32 v80, v103, v154, -v80
	s_waitcnt vmcnt(20)
	v_fmac_f32_e32 v116, v110, v160
	v_add_f32_e32 v79, v79, v80
	v_mul_f32_e32 v80, v106, v155
	v_add_f32_e32 v119, v115, v116
	ds_read2_b64 v[115:118], v78 offset0:69 offset1:70
	v_fma_f32 v80, v105, v156, -v80
	s_waitcnt vmcnt(19) lgkmcnt(1)
	v_mul_f32_e32 v120, v111, v161
	v_add_f32_e32 v79, v79, v80
	v_mul_f32_e32 v80, v108, v157
	s_waitcnt vmcnt(18)
	v_fmac_f32_e32 v120, v112, v162
	v_fma_f32 v80, v107, v158, -v80
	v_add_f32_e32 v119, v119, v120
	s_waitcnt vmcnt(17)
	v_mul_f32_e32 v120, v113, v163
	v_add_f32_e32 v79, v79, v80
	v_mul_f32_e32 v80, v110, v159
	s_waitcnt vmcnt(16)
	v_fmac_f32_e32 v120, v114, v164
	v_fma_f32 v80, v109, v160, -v80
	v_add_f32_e32 v119, v119, v120
	s_waitcnt vmcnt(14) lgkmcnt(0)
	v_mul_f32_e32 v120, v115, v166
	v_add_f32_e32 v79, v79, v80
	v_mul_f32_e32 v80, v112, v161
	v_fmac_f32_e32 v120, v116, v165
	v_fma_f32 v80, v111, v162, -v80
	v_add_f32_e32 v123, v119, v120
	ds_read2_b64 v[119:122], v78 offset0:71 offset1:72
	v_add_f32_e32 v79, v79, v80
	v_mul_f32_e32 v80, v114, v163
	v_fma_f32 v80, v113, v164, -v80
	v_add_f32_e32 v79, v79, v80
	v_mul_f32_e32 v80, v116, v166
	s_waitcnt vmcnt(11)
	v_mul_f32_e32 v124, v117, v169
	v_fma_f32 v80, v115, v165, -v80
	s_waitcnt vmcnt(10)
	v_fmac_f32_e32 v124, v118, v170
	v_add_f32_e32 v79, v79, v80
	v_mul_f32_e32 v80, v118, v169
	v_add_f32_e32 v127, v123, v124
	ds_read2_b64 v[123:126], v78 offset0:73 offset1:74
	s_waitcnt vmcnt(8) lgkmcnt(1)
	v_mul_f32_e32 v128, v119, v172
	v_fma_f32 v80, v117, v170, -v80
	v_fmac_f32_e32 v128, v120, v171
	v_add_f32_e32 v79, v79, v80
	v_mul_f32_e32 v80, v120, v172
	v_add_f32_e32 v127, v127, v128
	s_waitcnt vmcnt(6)
	v_mul_f32_e32 v128, v121, v174
	v_fma_f32 v80, v119, v171, -v80
	v_fmac_f32_e32 v128, v122, v173
	v_add_f32_e32 v79, v79, v80
	v_mul_f32_e32 v80, v122, v174
	v_add_f32_e32 v181, v127, v128
	ds_read_b64 v[127:128], v78 offset:600
	v_fma_f32 v80, v121, v173, -v80
	v_add_f32_e32 v79, v79, v80
	s_waitcnt vmcnt(4) lgkmcnt(1)
	v_mul_f32_e32 v80, v124, v176
	v_mul_f32_e32 v182, v123, v176
	v_fma_f32 v80, v123, v175, -v80
	v_fmac_f32_e32 v182, v124, v175
	v_add_f32_e32 v79, v79, v80
	s_waitcnt vmcnt(2)
	v_mul_f32_e32 v80, v126, v178
	v_add_f32_e32 v181, v181, v182
	v_mul_f32_e32 v182, v125, v178
	v_fma_f32 v80, v125, v177, -v80
	v_fmac_f32_e32 v182, v126, v177
	v_add_f32_e32 v79, v79, v80
	s_waitcnt vmcnt(0) lgkmcnt(0)
	v_mul_f32_e32 v80, v128, v180
	v_add_f32_e32 v181, v181, v182
	v_mul_f32_e32 v182, v127, v180
	v_fma_f32 v80, v127, v179, -v80
	v_fmac_f32_e32 v182, v128, v179
	v_add_f32_e32 v79, v79, v80
	v_add_f32_e32 v181, v181, v182
	v_sub_f32_e32 v79, v167, v79
	v_sub_f32_e32 v80, v168, v181
	buffer_store_dword v79, off, s[0:3], 0 offset:96
	buffer_store_dword v80, off, s[0:3], 0 offset:100
	s_and_saveexec_b64 s[4:5], vcc
	s_cbranch_execz .LBB37_219
; %bb.218:
	buffer_load_dword v79, off, s[0:3], 0 offset:88
	buffer_load_dword v80, off, s[0:3], 0 offset:92
	s_waitcnt vmcnt(0)
	ds_write_b64 v77, v[79:80]
	buffer_store_dword v78, off, s[0:3], 0 offset:88
	buffer_store_dword v78, off, s[0:3], 0 offset:92
.LBB37_219:
	s_or_b64 exec, exec, s[4:5]
	s_waitcnt lgkmcnt(0)
	; wave barrier
	buffer_load_dword v131, off, s[0:3], 0 offset:100
	buffer_load_dword v132, off, s[0:3], 0 offset:108
	;; [unrolled: 1-line block ×42, first 2 shown]
	ds_read_b128 v[79:82], v78 offset:400
	ds_read_b128 v[83:86], v78 offset:416
	;; [unrolled: 1-line block ×4, first 2 shown]
	buffer_load_dword v173, off, s[0:3], 0 offset:260
	buffer_load_dword v174, off, s[0:3], 0 offset:256
	;; [unrolled: 1-line block ×6, first 2 shown]
	ds_read_b128 v[95:98], v78 offset:464
	ds_read_b128 v[99:102], v78 offset:480
	buffer_load_dword v179, off, s[0:3], 0 offset:280
	buffer_load_dword v180, off, s[0:3], 0 offset:284
	;; [unrolled: 1-line block ×6, first 2 shown]
	v_cmp_lt_u32_e32 vcc, 10, v0
	s_waitcnt vmcnt(53) lgkmcnt(5)
	v_mul_f32_e32 v103, v79, v131
	s_waitcnt vmcnt(52)
	v_mul_f32_e32 v104, v81, v132
	s_waitcnt vmcnt(51) lgkmcnt(4)
	v_mul_f32_e32 v105, v83, v133
	s_waitcnt vmcnt(50)
	v_mul_f32_e32 v106, v85, v134
	;; [unrolled: 4-line block ×5, first 2 shown]
	s_waitcnt vmcnt(43)
	v_fmac_f32_e32 v103, v80, v141
	v_mul_f32_e32 v80, v80, v131
	s_waitcnt vmcnt(42)
	v_fmac_f32_e32 v104, v82, v142
	v_add_f32_e32 v103, 0, v103
	v_fma_f32 v79, v79, v141, -v80
	v_mul_f32_e32 v80, v82, v132
	s_waitcnt vmcnt(41)
	v_fmac_f32_e32 v105, v84, v143
	v_add_f32_e32 v103, v103, v104
	v_add_f32_e32 v79, 0, v79
	v_fma_f32 v80, v81, v142, -v80
	s_waitcnt vmcnt(40)
	v_fmac_f32_e32 v106, v86, v144
	v_add_f32_e32 v103, v103, v105
	v_add_f32_e32 v79, v79, v80
	v_mul_f32_e32 v80, v84, v133
	s_waitcnt vmcnt(39)
	v_fmac_f32_e32 v107, v88, v145
	v_add_f32_e32 v103, v103, v106
	v_fma_f32 v80, v83, v143, -v80
	s_waitcnt vmcnt(38)
	v_fmac_f32_e32 v108, v90, v146
	v_add_f32_e32 v103, v103, v107
	v_add_f32_e32 v79, v79, v80
	v_mul_f32_e32 v80, v86, v134
	s_waitcnt vmcnt(37)
	v_fmac_f32_e32 v109, v92, v147
	;; [unrolled: 9-line block ×3, first 2 shown]
	v_add_f32_e32 v103, v103, v110
	v_fma_f32 v80, v87, v145, -v80
	s_waitcnt vmcnt(34)
	v_fmac_f32_e32 v112, v98, v150
	v_add_f32_e32 v103, v103, v111
	s_waitcnt vmcnt(33) lgkmcnt(0)
	v_mul_f32_e32 v104, v99, v151
	v_add_f32_e32 v79, v79, v80
	v_mul_f32_e32 v80, v90, v136
	v_add_f32_e32 v103, v103, v112
	s_waitcnt vmcnt(32)
	v_fmac_f32_e32 v104, v100, v152
	v_fma_f32 v80, v89, v146, -v80
	v_add_f32_e32 v107, v103, v104
	ds_read_b128 v[103:106], v78 offset:496
	v_add_f32_e32 v79, v79, v80
	v_mul_f32_e32 v80, v92, v137
	v_fma_f32 v80, v91, v147, -v80
	s_waitcnt vmcnt(31)
	v_mul_f32_e32 v108, v101, v153
	v_add_f32_e32 v79, v79, v80
	v_mul_f32_e32 v80, v94, v138
	s_waitcnt vmcnt(30)
	v_fmac_f32_e32 v108, v102, v154
	v_fma_f32 v80, v93, v148, -v80
	v_add_f32_e32 v111, v107, v108
	ds_read_b128 v[107:110], v78 offset:512
	v_add_f32_e32 v79, v79, v80
	v_mul_f32_e32 v80, v96, v139
	s_waitcnt vmcnt(29) lgkmcnt(1)
	v_mul_f32_e32 v112, v103, v155
	v_fma_f32 v80, v95, v149, -v80
	s_waitcnt vmcnt(28)
	v_fmac_f32_e32 v112, v104, v156
	v_add_f32_e32 v79, v79, v80
	v_mul_f32_e32 v80, v98, v140
	v_add_f32_e32 v111, v111, v112
	s_waitcnt vmcnt(27)
	v_mul_f32_e32 v112, v105, v157
	v_fma_f32 v80, v97, v150, -v80
	s_waitcnt vmcnt(26)
	v_fmac_f32_e32 v112, v106, v158
	v_add_f32_e32 v79, v79, v80
	v_mul_f32_e32 v80, v100, v151
	v_add_f32_e32 v111, v111, v112
	s_waitcnt vmcnt(25) lgkmcnt(0)
	v_mul_f32_e32 v112, v107, v159
	v_fma_f32 v80, v99, v152, -v80
	s_waitcnt vmcnt(24)
	v_fmac_f32_e32 v112, v108, v160
	v_add_f32_e32 v79, v79, v80
	v_mul_f32_e32 v80, v102, v153
	v_add_f32_e32 v115, v111, v112
	ds_read_b128 v[111:114], v78 offset:528
	v_fma_f32 v80, v101, v154, -v80
	v_add_f32_e32 v79, v79, v80
	v_mul_f32_e32 v80, v104, v155
	s_waitcnt vmcnt(23)
	v_mul_f32_e32 v116, v109, v161
	v_fma_f32 v80, v103, v156, -v80
	s_waitcnt vmcnt(22)
	v_fmac_f32_e32 v116, v110, v162
	v_add_f32_e32 v79, v79, v80
	v_mul_f32_e32 v80, v106, v157
	v_add_f32_e32 v119, v115, v116
	ds_read_b128 v[115:118], v78 offset:544
	v_fma_f32 v80, v105, v158, -v80
	s_waitcnt vmcnt(21) lgkmcnt(1)
	v_mul_f32_e32 v120, v111, v163
	v_add_f32_e32 v79, v79, v80
	v_mul_f32_e32 v80, v108, v159
	s_waitcnt vmcnt(20)
	v_fmac_f32_e32 v120, v112, v164
	v_fma_f32 v80, v107, v160, -v80
	v_add_f32_e32 v119, v119, v120
	s_waitcnt vmcnt(18)
	v_mul_f32_e32 v120, v113, v166
	v_add_f32_e32 v79, v79, v80
	v_mul_f32_e32 v80, v110, v161
	v_fmac_f32_e32 v120, v114, v165
	v_fma_f32 v80, v109, v162, -v80
	v_add_f32_e32 v119, v119, v120
	s_waitcnt vmcnt(15) lgkmcnt(0)
	v_mul_f32_e32 v120, v115, v169
	v_add_f32_e32 v79, v79, v80
	v_mul_f32_e32 v80, v112, v163
	s_waitcnt vmcnt(14)
	v_fmac_f32_e32 v120, v116, v170
	v_fma_f32 v80, v111, v164, -v80
	v_add_f32_e32 v123, v119, v120
	ds_read_b128 v[119:122], v78 offset:560
	v_add_f32_e32 v79, v79, v80
	v_mul_f32_e32 v80, v114, v166
	v_fma_f32 v80, v113, v165, -v80
	v_add_f32_e32 v79, v79, v80
	v_mul_f32_e32 v80, v116, v169
	s_waitcnt vmcnt(12)
	v_mul_f32_e32 v124, v117, v172
	v_fma_f32 v80, v115, v170, -v80
	v_fmac_f32_e32 v124, v118, v171
	v_add_f32_e32 v79, v79, v80
	v_mul_f32_e32 v80, v118, v172
	v_add_f32_e32 v127, v123, v124
	ds_read_b128 v[123:126], v78 offset:576
	s_waitcnt vmcnt(11) lgkmcnt(1)
	v_mul_f32_e32 v128, v119, v173
	v_fma_f32 v80, v117, v171, -v80
	s_waitcnt vmcnt(10)
	v_fmac_f32_e32 v128, v120, v174
	v_add_f32_e32 v79, v79, v80
	v_mul_f32_e32 v80, v120, v173
	v_add_f32_e32 v127, v127, v128
	s_waitcnt vmcnt(8)
	v_mul_f32_e32 v128, v121, v176
	v_fma_f32 v80, v119, v174, -v80
	v_fmac_f32_e32 v128, v122, v175
	v_add_f32_e32 v79, v79, v80
	v_mul_f32_e32 v80, v122, v176
	v_add_f32_e32 v185, v127, v128
	ds_read_b128 v[127:130], v78 offset:592
	v_fma_f32 v80, v121, v175, -v80
	v_add_f32_e32 v79, v79, v80
	s_waitcnt vmcnt(6) lgkmcnt(1)
	v_mul_f32_e32 v80, v124, v178
	v_mul_f32_e32 v186, v123, v178
	v_fma_f32 v80, v123, v177, -v80
	v_fmac_f32_e32 v186, v124, v177
	v_add_f32_e32 v79, v79, v80
	s_waitcnt vmcnt(4)
	v_mul_f32_e32 v80, v126, v180
	v_add_f32_e32 v78, v185, v186
	v_mul_f32_e32 v185, v125, v180
	v_fma_f32 v80, v125, v179, -v80
	v_fmac_f32_e32 v185, v126, v179
	v_add_f32_e32 v79, v79, v80
	s_waitcnt vmcnt(2) lgkmcnt(0)
	v_mul_f32_e32 v80, v128, v182
	v_add_f32_e32 v78, v78, v185
	v_mul_f32_e32 v185, v127, v182
	v_fma_f32 v80, v127, v181, -v80
	v_fmac_f32_e32 v185, v128, v181
	v_add_f32_e32 v79, v79, v80
	s_waitcnt vmcnt(0)
	v_mul_f32_e32 v80, v130, v184
	v_add_f32_e32 v78, v78, v185
	v_mul_f32_e32 v185, v129, v184
	v_fma_f32 v80, v129, v183, -v80
	v_fmac_f32_e32 v185, v130, v183
	v_add_f32_e32 v79, v79, v80
	v_add_f32_e32 v78, v78, v185
	v_sub_f32_e32 v79, v167, v79
	v_sub_f32_e32 v78, v168, v78
	buffer_store_dword v79, off, s[0:3], 0 offset:88
	buffer_store_dword v78, off, s[0:3], 0 offset:92
	s_and_saveexec_b64 s[4:5], vcc
	s_cbranch_execz .LBB37_221
; %bb.220:
	buffer_load_dword v78, off, s[0:3], 0 offset:80
	buffer_load_dword v79, off, s[0:3], 0 offset:84
	v_mov_b32_e32 v80, 0
	buffer_store_dword v80, off, s[0:3], 0 offset:80
	buffer_store_dword v80, off, s[0:3], 0 offset:84
	s_waitcnt vmcnt(2)
	ds_write_b64 v77, v[78:79]
.LBB37_221:
	s_or_b64 exec, exec, s[4:5]
	s_waitcnt lgkmcnt(0)
	; wave barrier
	buffer_load_dword v133, off, s[0:3], 0 offset:92
	buffer_load_dword v134, off, s[0:3], 0 offset:100
	buffer_load_dword v135, off, s[0:3], 0 offset:108
	buffer_load_dword v136, off, s[0:3], 0 offset:116
	buffer_load_dword v137, off, s[0:3], 0 offset:124
	buffer_load_dword v138, off, s[0:3], 0 offset:132
	buffer_load_dword v139, off, s[0:3], 0 offset:140
	buffer_load_dword v140, off, s[0:3], 0 offset:148
	buffer_load_dword v141, off, s[0:3], 0 offset:156
	buffer_load_dword v142, off, s[0:3], 0 offset:88
	buffer_load_dword v143, off, s[0:3], 0 offset:96
	buffer_load_dword v144, off, s[0:3], 0 offset:104
	buffer_load_dword v145, off, s[0:3], 0 offset:112
	buffer_load_dword v146, off, s[0:3], 0 offset:120
	buffer_load_dword v147, off, s[0:3], 0 offset:128
	buffer_load_dword v148, off, s[0:3], 0 offset:136
	buffer_load_dword v149, off, s[0:3], 0 offset:144
	buffer_load_dword v150, off, s[0:3], 0 offset:152
	buffer_load_dword v151, off, s[0:3], 0 offset:164
	buffer_load_dword v152, off, s[0:3], 0 offset:160
	buffer_load_dword v153, off, s[0:3], 0 offset:172
	buffer_load_dword v154, off, s[0:3], 0 offset:168
	buffer_load_dword v155, off, s[0:3], 0 offset:180
	buffer_load_dword v156, off, s[0:3], 0 offset:176
	buffer_load_dword v157, off, s[0:3], 0 offset:188
	buffer_load_dword v158, off, s[0:3], 0 offset:184
	buffer_load_dword v159, off, s[0:3], 0 offset:196
	buffer_load_dword v160, off, s[0:3], 0 offset:192
	buffer_load_dword v161, off, s[0:3], 0 offset:204
	buffer_load_dword v162, off, s[0:3], 0 offset:200
	buffer_load_dword v163, off, s[0:3], 0 offset:208
	buffer_load_dword v164, off, s[0:3], 0 offset:212
	buffer_load_dword v165, off, s[0:3], 0 offset:80
	buffer_load_dword v166, off, s[0:3], 0 offset:84
	buffer_load_dword v167, off, s[0:3], 0 offset:220
	buffer_load_dword v168, off, s[0:3], 0 offset:216
	buffer_load_dword v169, off, s[0:3], 0 offset:224
	buffer_load_dword v170, off, s[0:3], 0 offset:228
	buffer_load_dword v171, off, s[0:3], 0 offset:232
	buffer_load_dword v172, off, s[0:3], 0 offset:236
	buffer_load_dword v173, off, s[0:3], 0 offset:240
	buffer_load_dword v174, off, s[0:3], 0 offset:244
	buffer_load_dword v175, off, s[0:3], 0 offset:248
	buffer_load_dword v176, off, s[0:3], 0 offset:252
	buffer_load_dword v177, off, s[0:3], 0 offset:256
	buffer_load_dword v178, off, s[0:3], 0 offset:260
	buffer_load_dword v179, off, s[0:3], 0 offset:264
	buffer_load_dword v180, off, s[0:3], 0 offset:268
	buffer_load_dword v181, off, s[0:3], 0 offset:272
	buffer_load_dword v182, off, s[0:3], 0 offset:276
	buffer_load_dword v183, off, s[0:3], 0 offset:280
	buffer_load_dword v184, off, s[0:3], 0 offset:284
	buffer_load_dword v185, off, s[0:3], 0 offset:288
	buffer_load_dword v186, off, s[0:3], 0 offset:292
	buffer_load_dword v187, off, s[0:3], 0 offset:296
	buffer_load_dword v188, off, s[0:3], 0 offset:300
	v_mov_b32_e32 v78, 0
	ds_read2_b64 v[79:82], v78 offset0:49 offset1:50
	ds_read2_b64 v[83:86], v78 offset0:51 offset1:52
	;; [unrolled: 1-line block ×6, first 2 shown]
	v_cmp_lt_u32_e32 vcc, 9, v0
	s_waitcnt vmcnt(55) lgkmcnt(5)
	v_mul_f32_e32 v103, v79, v133
	s_waitcnt vmcnt(54)
	v_mul_f32_e32 v104, v81, v134
	s_waitcnt vmcnt(53) lgkmcnt(4)
	v_mul_f32_e32 v105, v83, v135
	s_waitcnt vmcnt(52)
	v_mul_f32_e32 v106, v85, v136
	;; [unrolled: 4-line block ×4, first 2 shown]
	s_waitcnt vmcnt(47) lgkmcnt(1)
	v_mul_f32_e32 v111, v95, v141
	s_waitcnt vmcnt(46)
	v_fmac_f32_e32 v103, v80, v142
	s_waitcnt vmcnt(45)
	v_fmac_f32_e32 v104, v82, v143
	v_add_f32_e32 v103, 0, v103
	s_waitcnt vmcnt(44)
	v_fmac_f32_e32 v105, v84, v144
	v_add_f32_e32 v103, v103, v104
	;; [unrolled: 3-line block ×3, first 2 shown]
	v_mul_f32_e32 v80, v80, v133
	s_waitcnt vmcnt(42)
	v_fmac_f32_e32 v107, v88, v146
	v_add_f32_e32 v103, v103, v106
	v_fma_f32 v79, v79, v142, -v80
	v_mul_f32_e32 v80, v82, v134
	s_waitcnt vmcnt(41)
	v_fmac_f32_e32 v108, v90, v147
	v_add_f32_e32 v103, v103, v107
	v_add_f32_e32 v79, 0, v79
	v_fma_f32 v80, v81, v143, -v80
	s_waitcnt vmcnt(40)
	v_fmac_f32_e32 v109, v92, v148
	v_add_f32_e32 v103, v103, v108
	v_add_f32_e32 v79, v79, v80
	v_mul_f32_e32 v80, v84, v135
	s_waitcnt vmcnt(39)
	v_fmac_f32_e32 v110, v94, v149
	v_add_f32_e32 v103, v103, v109
	v_fma_f32 v80, v83, v144, -v80
	v_add_f32_e32 v103, v103, v110
	s_waitcnt vmcnt(38)
	v_fmac_f32_e32 v111, v96, v150
	s_waitcnt vmcnt(37)
	v_mul_f32_e32 v104, v97, v151
	v_add_f32_e32 v79, v79, v80
	v_mul_f32_e32 v80, v86, v136
	v_add_f32_e32 v103, v103, v111
	s_waitcnt vmcnt(36)
	v_fmac_f32_e32 v104, v98, v152
	v_fma_f32 v80, v85, v145, -v80
	v_add_f32_e32 v103, v103, v104
	s_waitcnt vmcnt(35) lgkmcnt(0)
	v_mul_f32_e32 v104, v99, v153
	v_add_f32_e32 v79, v79, v80
	v_mul_f32_e32 v80, v88, v137
	s_waitcnt vmcnt(34)
	v_fmac_f32_e32 v104, v100, v154
	v_fma_f32 v80, v87, v146, -v80
	v_add_f32_e32 v107, v103, v104
	ds_read2_b64 v[103:106], v78 offset0:61 offset1:62
	v_add_f32_e32 v79, v79, v80
	v_mul_f32_e32 v80, v90, v138
	v_fma_f32 v80, v89, v147, -v80
	s_waitcnt vmcnt(33)
	v_mul_f32_e32 v108, v101, v155
	v_add_f32_e32 v79, v79, v80
	v_mul_f32_e32 v80, v92, v139
	s_waitcnt vmcnt(32)
	v_fmac_f32_e32 v108, v102, v156
	v_fma_f32 v80, v91, v148, -v80
	v_add_f32_e32 v111, v107, v108
	ds_read2_b64 v[107:110], v78 offset0:63 offset1:64
	v_add_f32_e32 v79, v79, v80
	v_mul_f32_e32 v80, v94, v140
	s_waitcnt vmcnt(31) lgkmcnt(1)
	v_mul_f32_e32 v112, v103, v157
	v_fma_f32 v80, v93, v149, -v80
	s_waitcnt vmcnt(30)
	v_fmac_f32_e32 v112, v104, v158
	v_add_f32_e32 v79, v79, v80
	v_mul_f32_e32 v80, v96, v141
	v_add_f32_e32 v111, v111, v112
	s_waitcnt vmcnt(29)
	v_mul_f32_e32 v112, v105, v159
	v_fma_f32 v80, v95, v150, -v80
	s_waitcnt vmcnt(28)
	v_fmac_f32_e32 v112, v106, v160
	v_add_f32_e32 v79, v79, v80
	v_mul_f32_e32 v80, v98, v151
	v_add_f32_e32 v111, v111, v112
	s_waitcnt vmcnt(27) lgkmcnt(0)
	v_mul_f32_e32 v112, v107, v161
	v_fma_f32 v80, v97, v152, -v80
	s_waitcnt vmcnt(26)
	v_fmac_f32_e32 v112, v108, v162
	v_add_f32_e32 v79, v79, v80
	v_mul_f32_e32 v80, v100, v153
	v_add_f32_e32 v115, v111, v112
	ds_read2_b64 v[111:114], v78 offset0:65 offset1:66
	v_fma_f32 v80, v99, v154, -v80
	v_add_f32_e32 v79, v79, v80
	v_mul_f32_e32 v80, v102, v155
	s_waitcnt vmcnt(24)
	v_mul_f32_e32 v116, v109, v164
	v_fma_f32 v80, v101, v156, -v80
	v_fmac_f32_e32 v116, v110, v163
	v_add_f32_e32 v79, v79, v80
	v_mul_f32_e32 v80, v104, v157
	v_add_f32_e32 v119, v115, v116
	ds_read2_b64 v[115:118], v78 offset0:67 offset1:68
	v_fma_f32 v80, v103, v158, -v80
	s_waitcnt vmcnt(21) lgkmcnt(1)
	v_mul_f32_e32 v120, v111, v167
	v_add_f32_e32 v79, v79, v80
	v_mul_f32_e32 v80, v106, v159
	s_waitcnt vmcnt(20)
	v_fmac_f32_e32 v120, v112, v168
	v_fma_f32 v80, v105, v160, -v80
	v_add_f32_e32 v119, v119, v120
	s_waitcnt vmcnt(18)
	v_mul_f32_e32 v120, v113, v170
	v_add_f32_e32 v79, v79, v80
	v_mul_f32_e32 v80, v108, v161
	v_fmac_f32_e32 v120, v114, v169
	v_fma_f32 v80, v107, v162, -v80
	v_add_f32_e32 v119, v119, v120
	s_waitcnt vmcnt(16) lgkmcnt(0)
	v_mul_f32_e32 v120, v115, v172
	v_add_f32_e32 v79, v79, v80
	v_mul_f32_e32 v80, v110, v164
	v_fmac_f32_e32 v120, v116, v171
	v_fma_f32 v80, v109, v163, -v80
	v_add_f32_e32 v123, v119, v120
	ds_read2_b64 v[119:122], v78 offset0:69 offset1:70
	v_add_f32_e32 v79, v79, v80
	v_mul_f32_e32 v80, v112, v167
	v_fma_f32 v80, v111, v168, -v80
	s_waitcnt vmcnt(14)
	v_mul_f32_e32 v124, v117, v174
	v_add_f32_e32 v79, v79, v80
	v_mul_f32_e32 v80, v114, v170
	v_fmac_f32_e32 v124, v118, v173
	v_fma_f32 v80, v113, v169, -v80
	v_add_f32_e32 v127, v123, v124
	ds_read2_b64 v[123:126], v78 offset0:71 offset1:72
	v_add_f32_e32 v79, v79, v80
	v_mul_f32_e32 v80, v116, v172
	s_waitcnt vmcnt(12) lgkmcnt(1)
	v_mul_f32_e32 v128, v119, v176
	v_fma_f32 v80, v115, v171, -v80
	v_fmac_f32_e32 v128, v120, v175
	v_add_f32_e32 v79, v79, v80
	v_mul_f32_e32 v80, v118, v174
	v_add_f32_e32 v127, v127, v128
	s_waitcnt vmcnt(10)
	v_mul_f32_e32 v128, v121, v178
	v_fma_f32 v80, v117, v173, -v80
	v_fmac_f32_e32 v128, v122, v177
	v_add_f32_e32 v79, v79, v80
	v_mul_f32_e32 v80, v120, v176
	v_add_f32_e32 v127, v127, v128
	s_waitcnt vmcnt(8) lgkmcnt(0)
	v_mul_f32_e32 v128, v123, v180
	v_fma_f32 v80, v119, v175, -v80
	v_fmac_f32_e32 v128, v124, v179
	v_add_f32_e32 v79, v79, v80
	v_mul_f32_e32 v80, v122, v178
	v_add_f32_e32 v131, v127, v128
	ds_read2_b64 v[127:130], v78 offset0:73 offset1:74
	v_fma_f32 v80, v121, v177, -v80
	v_add_f32_e32 v79, v79, v80
	v_mul_f32_e32 v80, v124, v180
	s_waitcnt vmcnt(6)
	v_mul_f32_e32 v132, v125, v182
	v_fma_f32 v80, v123, v179, -v80
	v_fmac_f32_e32 v132, v126, v181
	v_add_f32_e32 v79, v79, v80
	v_mul_f32_e32 v80, v126, v182
	v_add_f32_e32 v189, v131, v132
	ds_read_b64 v[131:132], v78 offset:600
	v_fma_f32 v80, v125, v181, -v80
	v_add_f32_e32 v79, v79, v80
	s_waitcnt vmcnt(4) lgkmcnt(1)
	v_mul_f32_e32 v80, v128, v184
	v_mul_f32_e32 v190, v127, v184
	v_fma_f32 v80, v127, v183, -v80
	v_fmac_f32_e32 v190, v128, v183
	v_add_f32_e32 v79, v79, v80
	s_waitcnt vmcnt(2)
	v_mul_f32_e32 v80, v130, v186
	v_add_f32_e32 v189, v189, v190
	v_mul_f32_e32 v190, v129, v186
	v_fma_f32 v80, v129, v185, -v80
	v_fmac_f32_e32 v190, v130, v185
	v_add_f32_e32 v79, v79, v80
	s_waitcnt vmcnt(0) lgkmcnt(0)
	v_mul_f32_e32 v80, v132, v188
	v_add_f32_e32 v189, v189, v190
	v_mul_f32_e32 v190, v131, v188
	v_fma_f32 v80, v131, v187, -v80
	v_fmac_f32_e32 v190, v132, v187
	v_add_f32_e32 v79, v79, v80
	v_add_f32_e32 v189, v189, v190
	v_sub_f32_e32 v79, v165, v79
	v_sub_f32_e32 v80, v166, v189
	buffer_store_dword v79, off, s[0:3], 0 offset:80
	buffer_store_dword v80, off, s[0:3], 0 offset:84
	s_and_saveexec_b64 s[4:5], vcc
	s_cbranch_execz .LBB37_223
; %bb.222:
	buffer_load_dword v79, off, s[0:3], 0 offset:72
	buffer_load_dword v80, off, s[0:3], 0 offset:76
	s_waitcnt vmcnt(0)
	ds_write_b64 v77, v[79:80]
	buffer_store_dword v78, off, s[0:3], 0 offset:72
	buffer_store_dword v78, off, s[0:3], 0 offset:76
.LBB37_223:
	s_or_b64 exec, exec, s[4:5]
	s_waitcnt lgkmcnt(0)
	; wave barrier
	buffer_load_dword v135, off, s[0:3], 0 offset:84
	buffer_load_dword v136, off, s[0:3], 0 offset:92
	buffer_load_dword v137, off, s[0:3], 0 offset:100
	buffer_load_dword v138, off, s[0:3], 0 offset:108
	buffer_load_dword v139, off, s[0:3], 0 offset:116
	buffer_load_dword v140, off, s[0:3], 0 offset:124
	buffer_load_dword v141, off, s[0:3], 0 offset:132
	buffer_load_dword v142, off, s[0:3], 0 offset:140
	buffer_load_dword v143, off, s[0:3], 0 offset:80
	buffer_load_dword v144, off, s[0:3], 0 offset:88
	buffer_load_dword v145, off, s[0:3], 0 offset:96
	buffer_load_dword v146, off, s[0:3], 0 offset:104
	buffer_load_dword v147, off, s[0:3], 0 offset:112
	buffer_load_dword v148, off, s[0:3], 0 offset:120
	buffer_load_dword v149, off, s[0:3], 0 offset:128
	buffer_load_dword v150, off, s[0:3], 0 offset:136
	buffer_load_dword v151, off, s[0:3], 0 offset:148
	buffer_load_dword v152, off, s[0:3], 0 offset:144
	buffer_load_dword v153, off, s[0:3], 0 offset:156
	buffer_load_dword v154, off, s[0:3], 0 offset:152
	buffer_load_dword v155, off, s[0:3], 0 offset:164
	buffer_load_dword v156, off, s[0:3], 0 offset:160
	buffer_load_dword v157, off, s[0:3], 0 offset:172
	buffer_load_dword v158, off, s[0:3], 0 offset:168
	buffer_load_dword v159, off, s[0:3], 0 offset:180
	buffer_load_dword v160, off, s[0:3], 0 offset:176
	buffer_load_dword v161, off, s[0:3], 0 offset:188
	buffer_load_dword v162, off, s[0:3], 0 offset:184
	buffer_load_dword v163, off, s[0:3], 0 offset:196
	buffer_load_dword v164, off, s[0:3], 0 offset:192
	buffer_load_dword v165, off, s[0:3], 0 offset:72
	buffer_load_dword v166, off, s[0:3], 0 offset:76
	buffer_load_dword v167, off, s[0:3], 0 offset:204
	buffer_load_dword v168, off, s[0:3], 0 offset:200
	ds_read_b128 v[79:82], v78 offset:384
	ds_read_b128 v[83:86], v78 offset:400
	buffer_load_dword v169, off, s[0:3], 0 offset:212
	buffer_load_dword v170, off, s[0:3], 0 offset:208
	;; [unrolled: 1-line block ×6, first 2 shown]
	ds_read_b128 v[87:90], v78 offset:416
	ds_read_b128 v[91:94], v78 offset:432
	;; [unrolled: 1-line block ×4, first 2 shown]
	buffer_load_dword v175, off, s[0:3], 0 offset:236
	buffer_load_dword v176, off, s[0:3], 0 offset:232
	;; [unrolled: 1-line block ×18, first 2 shown]
	v_cmp_lt_u32_e32 vcc, 8, v0
	s_waitcnt vmcnt(57) lgkmcnt(5)
	v_mul_f32_e32 v103, v79, v135
	s_waitcnt vmcnt(56)
	v_mul_f32_e32 v104, v81, v136
	s_waitcnt vmcnt(55) lgkmcnt(4)
	v_mul_f32_e32 v105, v83, v137
	s_waitcnt vmcnt(54)
	v_mul_f32_e32 v106, v85, v138
	;; [unrolled: 4-line block ×4, first 2 shown]
	s_waitcnt vmcnt(49)
	v_fmac_f32_e32 v103, v80, v143
	s_waitcnt vmcnt(48)
	v_fmac_f32_e32 v104, v82, v144
	v_add_f32_e32 v103, 0, v103
	s_waitcnt vmcnt(47)
	v_fmac_f32_e32 v105, v84, v145
	v_add_f32_e32 v103, v103, v104
	;; [unrolled: 3-line block ×4, first 2 shown]
	v_mul_f32_e32 v80, v80, v135
	s_waitcnt vmcnt(44)
	v_fmac_f32_e32 v108, v90, v148
	v_add_f32_e32 v103, v103, v107
	v_fma_f32 v79, v79, v143, -v80
	v_mul_f32_e32 v80, v82, v136
	s_waitcnt vmcnt(43)
	v_fmac_f32_e32 v109, v92, v149
	v_add_f32_e32 v103, v103, v108
	v_add_f32_e32 v79, 0, v79
	v_fma_f32 v80, v81, v144, -v80
	s_waitcnt vmcnt(42)
	v_fmac_f32_e32 v110, v94, v150
	v_add_f32_e32 v103, v103, v109
	s_waitcnt vmcnt(41) lgkmcnt(1)
	v_mul_f32_e32 v104, v95, v151
	v_add_f32_e32 v79, v79, v80
	v_mul_f32_e32 v80, v84, v137
	v_add_f32_e32 v103, v103, v110
	s_waitcnt vmcnt(40)
	v_fmac_f32_e32 v104, v96, v152
	v_fma_f32 v80, v83, v145, -v80
	v_add_f32_e32 v103, v103, v104
	s_waitcnt vmcnt(39)
	v_mul_f32_e32 v104, v97, v153
	v_add_f32_e32 v79, v79, v80
	v_mul_f32_e32 v80, v86, v138
	s_waitcnt vmcnt(38)
	v_fmac_f32_e32 v104, v98, v154
	v_fma_f32 v80, v85, v146, -v80
	v_add_f32_e32 v103, v103, v104
	s_waitcnt vmcnt(37) lgkmcnt(0)
	v_mul_f32_e32 v104, v99, v155
	v_add_f32_e32 v79, v79, v80
	v_mul_f32_e32 v80, v88, v139
	s_waitcnt vmcnt(36)
	v_fmac_f32_e32 v104, v100, v156
	v_fma_f32 v80, v87, v147, -v80
	v_add_f32_e32 v107, v103, v104
	ds_read_b128 v[103:106], v78 offset:480
	v_add_f32_e32 v79, v79, v80
	v_mul_f32_e32 v80, v90, v140
	v_fma_f32 v80, v89, v148, -v80
	s_waitcnt vmcnt(35)
	v_mul_f32_e32 v108, v101, v157
	v_add_f32_e32 v79, v79, v80
	v_mul_f32_e32 v80, v92, v141
	s_waitcnt vmcnt(34)
	v_fmac_f32_e32 v108, v102, v158
	v_fma_f32 v80, v91, v149, -v80
	v_add_f32_e32 v111, v107, v108
	ds_read_b128 v[107:110], v78 offset:496
	v_add_f32_e32 v79, v79, v80
	v_mul_f32_e32 v80, v94, v142
	s_waitcnt vmcnt(33) lgkmcnt(1)
	v_mul_f32_e32 v112, v103, v159
	v_fma_f32 v80, v93, v150, -v80
	s_waitcnt vmcnt(32)
	v_fmac_f32_e32 v112, v104, v160
	v_add_f32_e32 v79, v79, v80
	v_mul_f32_e32 v80, v96, v151
	v_add_f32_e32 v111, v111, v112
	s_waitcnt vmcnt(31)
	v_mul_f32_e32 v112, v105, v161
	v_fma_f32 v80, v95, v152, -v80
	s_waitcnt vmcnt(30)
	v_fmac_f32_e32 v112, v106, v162
	v_add_f32_e32 v79, v79, v80
	v_mul_f32_e32 v80, v98, v153
	v_add_f32_e32 v111, v111, v112
	s_waitcnt vmcnt(29) lgkmcnt(0)
	v_mul_f32_e32 v112, v107, v163
	v_fma_f32 v80, v97, v154, -v80
	s_waitcnt vmcnt(28)
	v_fmac_f32_e32 v112, v108, v164
	v_add_f32_e32 v79, v79, v80
	v_mul_f32_e32 v80, v100, v155
	v_add_f32_e32 v115, v111, v112
	ds_read_b128 v[111:114], v78 offset:512
	v_fma_f32 v80, v99, v156, -v80
	v_add_f32_e32 v79, v79, v80
	v_mul_f32_e32 v80, v102, v157
	s_waitcnt vmcnt(25)
	v_mul_f32_e32 v116, v109, v167
	v_fma_f32 v80, v101, v158, -v80
	s_waitcnt vmcnt(24)
	v_fmac_f32_e32 v116, v110, v168
	v_add_f32_e32 v79, v79, v80
	v_mul_f32_e32 v80, v104, v159
	v_add_f32_e32 v119, v115, v116
	ds_read_b128 v[115:118], v78 offset:528
	v_fma_f32 v80, v103, v160, -v80
	s_waitcnt vmcnt(23) lgkmcnt(1)
	v_mul_f32_e32 v120, v111, v169
	v_add_f32_e32 v79, v79, v80
	v_mul_f32_e32 v80, v106, v161
	s_waitcnt vmcnt(22)
	v_fmac_f32_e32 v120, v112, v170
	v_fma_f32 v80, v105, v162, -v80
	v_add_f32_e32 v119, v119, v120
	s_waitcnt vmcnt(20)
	v_mul_f32_e32 v120, v113, v172
	v_add_f32_e32 v79, v79, v80
	v_mul_f32_e32 v80, v108, v163
	v_fmac_f32_e32 v120, v114, v171
	v_fma_f32 v80, v107, v164, -v80
	v_add_f32_e32 v119, v119, v120
	s_waitcnt vmcnt(18) lgkmcnt(0)
	v_mul_f32_e32 v120, v115, v174
	v_add_f32_e32 v79, v79, v80
	v_mul_f32_e32 v80, v110, v167
	v_fmac_f32_e32 v120, v116, v173
	v_fma_f32 v80, v109, v168, -v80
	v_add_f32_e32 v123, v119, v120
	ds_read_b128 v[119:122], v78 offset:544
	v_add_f32_e32 v79, v79, v80
	v_mul_f32_e32 v80, v112, v169
	v_fma_f32 v80, v111, v170, -v80
	s_waitcnt vmcnt(17)
	v_mul_f32_e32 v124, v117, v175
	v_add_f32_e32 v79, v79, v80
	v_mul_f32_e32 v80, v114, v172
	s_waitcnt vmcnt(16)
	v_fmac_f32_e32 v124, v118, v176
	v_fma_f32 v80, v113, v171, -v80
	v_add_f32_e32 v127, v123, v124
	ds_read_b128 v[123:126], v78 offset:560
	v_add_f32_e32 v79, v79, v80
	v_mul_f32_e32 v80, v116, v174
	s_waitcnt vmcnt(14) lgkmcnt(1)
	v_mul_f32_e32 v128, v119, v178
	v_fma_f32 v80, v115, v173, -v80
	v_fmac_f32_e32 v128, v120, v177
	v_add_f32_e32 v79, v79, v80
	v_mul_f32_e32 v80, v118, v175
	v_add_f32_e32 v127, v127, v128
	s_waitcnt vmcnt(12)
	v_mul_f32_e32 v128, v121, v180
	v_fma_f32 v80, v117, v176, -v80
	v_fmac_f32_e32 v128, v122, v179
	v_add_f32_e32 v79, v79, v80
	v_mul_f32_e32 v80, v120, v178
	v_add_f32_e32 v127, v127, v128
	s_waitcnt vmcnt(10) lgkmcnt(0)
	v_mul_f32_e32 v128, v123, v182
	v_fma_f32 v80, v119, v177, -v80
	v_fmac_f32_e32 v128, v124, v181
	v_add_f32_e32 v79, v79, v80
	v_mul_f32_e32 v80, v122, v180
	v_add_f32_e32 v131, v127, v128
	ds_read_b128 v[127:130], v78 offset:576
	v_fma_f32 v80, v121, v179, -v80
	v_add_f32_e32 v79, v79, v80
	v_mul_f32_e32 v80, v124, v182
	s_waitcnt vmcnt(8)
	v_mul_f32_e32 v132, v125, v184
	v_fma_f32 v80, v123, v181, -v80
	v_fmac_f32_e32 v132, v126, v183
	v_add_f32_e32 v79, v79, v80
	v_mul_f32_e32 v80, v126, v184
	v_add_f32_e32 v193, v131, v132
	ds_read_b128 v[131:134], v78 offset:592
	v_fma_f32 v80, v125, v183, -v80
	v_add_f32_e32 v79, v79, v80
	s_waitcnt vmcnt(6) lgkmcnt(1)
	v_mul_f32_e32 v80, v128, v186
	v_mul_f32_e32 v78, v127, v186
	v_fma_f32 v80, v127, v185, -v80
	v_fmac_f32_e32 v78, v128, v185
	v_add_f32_e32 v79, v79, v80
	s_waitcnt vmcnt(4)
	v_mul_f32_e32 v80, v130, v188
	v_add_f32_e32 v78, v193, v78
	v_mul_f32_e32 v193, v129, v188
	v_fma_f32 v80, v129, v187, -v80
	v_fmac_f32_e32 v193, v130, v187
	v_add_f32_e32 v79, v79, v80
	s_waitcnt vmcnt(2) lgkmcnt(0)
	v_mul_f32_e32 v80, v132, v190
	v_add_f32_e32 v78, v78, v193
	v_mul_f32_e32 v193, v131, v190
	v_fma_f32 v80, v131, v189, -v80
	v_fmac_f32_e32 v193, v132, v189
	v_add_f32_e32 v79, v79, v80
	s_waitcnt vmcnt(0)
	v_mul_f32_e32 v80, v134, v192
	v_add_f32_e32 v78, v78, v193
	v_mul_f32_e32 v193, v133, v192
	v_fma_f32 v80, v133, v191, -v80
	v_fmac_f32_e32 v193, v134, v191
	v_add_f32_e32 v79, v79, v80
	v_add_f32_e32 v78, v78, v193
	v_sub_f32_e32 v79, v165, v79
	v_sub_f32_e32 v78, v166, v78
	buffer_store_dword v79, off, s[0:3], 0 offset:72
	buffer_store_dword v78, off, s[0:3], 0 offset:76
	s_and_saveexec_b64 s[4:5], vcc
	s_cbranch_execz .LBB37_225
; %bb.224:
	buffer_load_dword v78, off, s[0:3], 0 offset:64
	buffer_load_dword v79, off, s[0:3], 0 offset:68
	v_mov_b32_e32 v80, 0
	buffer_store_dword v80, off, s[0:3], 0 offset:64
	buffer_store_dword v80, off, s[0:3], 0 offset:68
	s_waitcnt vmcnt(2)
	ds_write_b64 v77, v[78:79]
.LBB37_225:
	s_or_b64 exec, exec, s[4:5]
	s_waitcnt lgkmcnt(0)
	; wave barrier
	buffer_load_dword v137, off, s[0:3], 0 offset:76
	buffer_load_dword v138, off, s[0:3], 0 offset:84
	;; [unrolled: 1-line block ×60, first 2 shown]
	v_mov_b32_e32 v78, 0
	ds_read2_b64 v[79:82], v78 offset0:47 offset1:48
	ds_read2_b64 v[83:86], v78 offset0:49 offset1:50
	;; [unrolled: 1-line block ×5, first 2 shown]
	v_cmp_lt_u32_e32 vcc, 7, v0
	s_waitcnt vmcnt(59) lgkmcnt(4)
	v_mul_f32_e32 v99, v79, v137
	s_waitcnt vmcnt(58)
	v_mul_f32_e32 v100, v81, v138
	s_waitcnt vmcnt(57) lgkmcnt(3)
	v_mul_f32_e32 v101, v83, v139
	s_waitcnt vmcnt(56)
	v_mul_f32_e32 v102, v85, v140
	;; [unrolled: 4-line block ×3, first 2 shown]
	s_waitcnt vmcnt(53) lgkmcnt(1)
	v_mul_f32_e32 v105, v91, v143
	s_waitcnt vmcnt(52)
	v_fmac_f32_e32 v99, v80, v144
	s_waitcnt vmcnt(51)
	v_fmac_f32_e32 v100, v82, v145
	v_add_f32_e32 v99, 0, v99
	s_waitcnt vmcnt(50)
	v_fmac_f32_e32 v101, v84, v146
	v_add_f32_e32 v99, v99, v100
	;; [unrolled: 3-line block ×6, first 2 shown]
	s_waitcnt vmcnt(45)
	v_mul_f32_e32 v100, v93, v151
	v_add_f32_e32 v99, v99, v105
	s_waitcnt vmcnt(44)
	v_fmac_f32_e32 v100, v94, v152
	v_mul_f32_e32 v80, v80, v137
	v_add_f32_e32 v103, v99, v100
	ds_read2_b64 v[99:102], v78 offset0:57 offset1:58
	v_fma_f32 v79, v79, v144, -v80
	v_mul_f32_e32 v80, v82, v138
	s_waitcnt vmcnt(43) lgkmcnt(1)
	v_mul_f32_e32 v104, v95, v153
	v_add_f32_e32 v79, 0, v79
	v_fma_f32 v80, v81, v145, -v80
	s_waitcnt vmcnt(42)
	v_fmac_f32_e32 v104, v96, v154
	v_add_f32_e32 v79, v79, v80
	v_mul_f32_e32 v80, v84, v139
	v_add_f32_e32 v103, v103, v104
	s_waitcnt vmcnt(41)
	v_mul_f32_e32 v104, v97, v155
	v_fma_f32 v80, v83, v146, -v80
	s_waitcnt vmcnt(40)
	v_fmac_f32_e32 v104, v98, v156
	v_add_f32_e32 v79, v79, v80
	v_mul_f32_e32 v80, v86, v140
	v_add_f32_e32 v103, v103, v104
	s_waitcnt vmcnt(39) lgkmcnt(0)
	v_mul_f32_e32 v104, v99, v157
	v_fma_f32 v80, v85, v147, -v80
	s_waitcnt vmcnt(38)
	v_fmac_f32_e32 v104, v100, v158
	v_add_f32_e32 v79, v79, v80
	v_mul_f32_e32 v80, v88, v141
	v_add_f32_e32 v107, v103, v104
	ds_read2_b64 v[103:106], v78 offset0:59 offset1:60
	v_fma_f32 v80, v87, v148, -v80
	v_add_f32_e32 v79, v79, v80
	v_mul_f32_e32 v80, v90, v142
	s_waitcnt vmcnt(37)
	v_mul_f32_e32 v108, v101, v159
	v_fma_f32 v80, v89, v149, -v80
	s_waitcnt vmcnt(36)
	v_fmac_f32_e32 v108, v102, v160
	v_add_f32_e32 v79, v79, v80
	v_mul_f32_e32 v80, v92, v143
	v_add_f32_e32 v111, v107, v108
	ds_read2_b64 v[107:110], v78 offset0:61 offset1:62
	v_fma_f32 v80, v91, v150, -v80
	s_waitcnt vmcnt(34) lgkmcnt(1)
	v_mul_f32_e32 v112, v103, v162
	v_add_f32_e32 v79, v79, v80
	v_mul_f32_e32 v80, v94, v151
	v_fmac_f32_e32 v112, v104, v161
	v_fma_f32 v80, v93, v152, -v80
	v_add_f32_e32 v111, v111, v112
	s_waitcnt vmcnt(31)
	v_mul_f32_e32 v112, v105, v165
	v_add_f32_e32 v79, v79, v80
	v_mul_f32_e32 v80, v96, v153
	s_waitcnt vmcnt(30)
	v_fmac_f32_e32 v112, v106, v166
	v_fma_f32 v80, v95, v154, -v80
	v_add_f32_e32 v111, v111, v112
	s_waitcnt vmcnt(28) lgkmcnt(0)
	v_mul_f32_e32 v112, v107, v168
	v_add_f32_e32 v79, v79, v80
	v_mul_f32_e32 v80, v98, v155
	v_fmac_f32_e32 v112, v108, v167
	v_fma_f32 v80, v97, v156, -v80
	v_add_f32_e32 v115, v111, v112
	ds_read2_b64 v[111:114], v78 offset0:63 offset1:64
	v_add_f32_e32 v79, v79, v80
	v_mul_f32_e32 v80, v100, v157
	v_fma_f32 v80, v99, v158, -v80
	s_waitcnt vmcnt(26)
	v_mul_f32_e32 v116, v109, v170
	v_add_f32_e32 v79, v79, v80
	v_mul_f32_e32 v80, v102, v159
	v_fmac_f32_e32 v116, v110, v169
	v_fma_f32 v80, v101, v160, -v80
	v_add_f32_e32 v119, v115, v116
	ds_read2_b64 v[115:118], v78 offset0:65 offset1:66
	v_add_f32_e32 v79, v79, v80
	v_mul_f32_e32 v80, v104, v162
	s_waitcnt vmcnt(24) lgkmcnt(1)
	v_mul_f32_e32 v120, v111, v172
	v_fma_f32 v80, v103, v161, -v80
	v_fmac_f32_e32 v120, v112, v171
	v_add_f32_e32 v79, v79, v80
	v_mul_f32_e32 v80, v106, v165
	v_add_f32_e32 v119, v119, v120
	s_waitcnt vmcnt(22)
	v_mul_f32_e32 v120, v113, v174
	v_fma_f32 v80, v105, v166, -v80
	v_fmac_f32_e32 v120, v114, v173
	v_add_f32_e32 v79, v79, v80
	v_mul_f32_e32 v80, v108, v168
	v_add_f32_e32 v119, v119, v120
	s_waitcnt vmcnt(20) lgkmcnt(0)
	v_mul_f32_e32 v120, v115, v176
	v_fma_f32 v80, v107, v167, -v80
	v_fmac_f32_e32 v120, v116, v175
	v_add_f32_e32 v79, v79, v80
	v_mul_f32_e32 v80, v110, v170
	v_add_f32_e32 v123, v119, v120
	ds_read2_b64 v[119:122], v78 offset0:67 offset1:68
	v_fma_f32 v80, v109, v169, -v80
	v_add_f32_e32 v79, v79, v80
	v_mul_f32_e32 v80, v112, v172
	s_waitcnt vmcnt(18)
	v_mul_f32_e32 v124, v117, v178
	v_fma_f32 v80, v111, v171, -v80
	v_fmac_f32_e32 v124, v118, v177
	v_add_f32_e32 v79, v79, v80
	v_mul_f32_e32 v80, v114, v174
	v_add_f32_e32 v127, v123, v124
	ds_read2_b64 v[123:126], v78 offset0:69 offset1:70
	v_fma_f32 v80, v113, v173, -v80
	s_waitcnt vmcnt(16) lgkmcnt(1)
	v_mul_f32_e32 v128, v119, v180
	v_add_f32_e32 v79, v79, v80
	v_mul_f32_e32 v80, v116, v176
	v_fmac_f32_e32 v128, v120, v179
	v_fma_f32 v80, v115, v175, -v80
	v_add_f32_e32 v127, v127, v128
	s_waitcnt vmcnt(14)
	v_mul_f32_e32 v128, v121, v182
	v_add_f32_e32 v79, v79, v80
	v_mul_f32_e32 v80, v118, v178
	v_fmac_f32_e32 v128, v122, v181
	v_fma_f32 v80, v117, v177, -v80
	v_add_f32_e32 v127, v127, v128
	s_waitcnt vmcnt(12) lgkmcnt(0)
	v_mul_f32_e32 v128, v123, v184
	v_add_f32_e32 v79, v79, v80
	v_mul_f32_e32 v80, v120, v180
	v_fmac_f32_e32 v128, v124, v183
	v_fma_f32 v80, v119, v179, -v80
	v_add_f32_e32 v131, v127, v128
	ds_read2_b64 v[127:130], v78 offset0:71 offset1:72
	v_add_f32_e32 v79, v79, v80
	v_mul_f32_e32 v80, v122, v182
	v_fma_f32 v80, v121, v181, -v80
	v_add_f32_e32 v79, v79, v80
	v_mul_f32_e32 v80, v124, v184
	s_waitcnt vmcnt(10)
	v_mul_f32_e32 v132, v125, v186
	v_fma_f32 v80, v123, v183, -v80
	v_fmac_f32_e32 v132, v126, v185
	v_add_f32_e32 v79, v79, v80
	v_mul_f32_e32 v80, v126, v186
	v_add_f32_e32 v135, v131, v132
	ds_read2_b64 v[131:134], v78 offset0:73 offset1:74
	s_waitcnt vmcnt(8) lgkmcnt(1)
	v_mul_f32_e32 v136, v127, v188
	v_fma_f32 v80, v125, v185, -v80
	v_fmac_f32_e32 v136, v128, v187
	v_add_f32_e32 v79, v79, v80
	v_mul_f32_e32 v80, v128, v188
	v_add_f32_e32 v135, v135, v136
	s_waitcnt vmcnt(6)
	v_mul_f32_e32 v136, v129, v190
	v_fma_f32 v80, v127, v187, -v80
	v_fmac_f32_e32 v136, v130, v189
	v_add_f32_e32 v79, v79, v80
	v_mul_f32_e32 v80, v130, v190
	v_add_f32_e32 v197, v135, v136
	ds_read_b64 v[135:136], v78 offset:600
	v_fma_f32 v80, v129, v189, -v80
	v_add_f32_e32 v79, v79, v80
	s_waitcnt vmcnt(4) lgkmcnt(1)
	v_mul_f32_e32 v80, v132, v192
	v_mul_f32_e32 v198, v131, v192
	v_fma_f32 v80, v131, v191, -v80
	v_fmac_f32_e32 v198, v132, v191
	v_add_f32_e32 v79, v79, v80
	s_waitcnt vmcnt(2)
	v_mul_f32_e32 v80, v134, v194
	v_add_f32_e32 v197, v197, v198
	v_mul_f32_e32 v198, v133, v194
	v_fma_f32 v80, v133, v193, -v80
	v_fmac_f32_e32 v198, v134, v193
	v_add_f32_e32 v79, v79, v80
	s_waitcnt vmcnt(0) lgkmcnt(0)
	v_mul_f32_e32 v80, v136, v196
	v_add_f32_e32 v197, v197, v198
	v_mul_f32_e32 v198, v135, v196
	v_fma_f32 v80, v135, v195, -v80
	v_fmac_f32_e32 v198, v136, v195
	v_add_f32_e32 v79, v79, v80
	v_add_f32_e32 v197, v197, v198
	v_sub_f32_e32 v79, v163, v79
	v_sub_f32_e32 v80, v164, v197
	buffer_store_dword v79, off, s[0:3], 0 offset:64
	buffer_store_dword v80, off, s[0:3], 0 offset:68
	s_and_saveexec_b64 s[4:5], vcc
	s_cbranch_execz .LBB37_227
; %bb.226:
	buffer_load_dword v79, off, s[0:3], 0 offset:56
	buffer_load_dword v80, off, s[0:3], 0 offset:60
	s_waitcnt vmcnt(0)
	ds_write_b64 v77, v[79:80]
	buffer_store_dword v78, off, s[0:3], 0 offset:56
	buffer_store_dword v78, off, s[0:3], 0 offset:60
.LBB37_227:
	s_or_b64 exec, exec, s[4:5]
	s_waitcnt lgkmcnt(0)
	; wave barrier
	buffer_load_dword v139, off, s[0:3], 0 offset:68
	buffer_load_dword v140, off, s[0:3], 0 offset:76
	;; [unrolled: 1-line block ×32, first 2 shown]
	ds_read_b128 v[79:82], v78 offset:368
	ds_read_b128 v[83:86], v78 offset:384
	;; [unrolled: 1-line block ×4, first 2 shown]
	buffer_load_dword v171, off, s[0:3], 0 offset:188
	buffer_load_dword v172, off, s[0:3], 0 offset:184
	;; [unrolled: 1-line block ×30, first 2 shown]
	v_cmp_lt_u32_e32 vcc, 6, v0
	s_waitcnt vmcnt(61) lgkmcnt(3)
	v_mul_f32_e32 v95, v79, v139
	s_waitcnt vmcnt(60)
	v_mul_f32_e32 v96, v81, v140
	s_waitcnt vmcnt(59) lgkmcnt(2)
	v_mul_f32_e32 v97, v83, v141
	s_waitcnt vmcnt(58)
	v_mul_f32_e32 v98, v85, v142
	;; [unrolled: 4-line block ×3, first 2 shown]
	s_waitcnt vmcnt(55) lgkmcnt(0)
	v_mul_f32_e32 v101, v91, v145
	s_waitcnt vmcnt(54)
	v_fmac_f32_e32 v95, v80, v146
	s_waitcnt vmcnt(53)
	v_fmac_f32_e32 v96, v82, v147
	v_add_f32_e32 v95, 0, v95
	s_waitcnt vmcnt(52)
	v_fmac_f32_e32 v97, v84, v148
	v_add_f32_e32 v95, v95, v96
	s_waitcnt vmcnt(51)
	v_fmac_f32_e32 v98, v86, v149
	v_add_f32_e32 v95, v95, v97
	s_waitcnt vmcnt(50)
	v_fmac_f32_e32 v99, v88, v150
	v_add_f32_e32 v95, v95, v98
	s_waitcnt vmcnt(49)
	v_fmac_f32_e32 v100, v90, v151
	v_add_f32_e32 v95, v95, v99
	s_waitcnt vmcnt(48)
	v_fmac_f32_e32 v101, v92, v152
	v_add_f32_e32 v95, v95, v100
	v_add_f32_e32 v99, v95, v101
	ds_read_b128 v[95:98], v78 offset:432
	s_waitcnt vmcnt(47)
	v_mul_f32_e32 v100, v93, v153
	s_waitcnt vmcnt(46)
	v_fmac_f32_e32 v100, v94, v154
	v_mul_f32_e32 v80, v80, v139
	v_add_f32_e32 v103, v99, v100
	ds_read_b128 v[99:102], v78 offset:448
	v_fma_f32 v79, v79, v146, -v80
	v_mul_f32_e32 v80, v82, v140
	s_waitcnt vmcnt(45) lgkmcnt(1)
	v_mul_f32_e32 v104, v95, v155
	v_add_f32_e32 v79, 0, v79
	v_fma_f32 v80, v81, v147, -v80
	s_waitcnt vmcnt(44)
	v_fmac_f32_e32 v104, v96, v156
	v_add_f32_e32 v79, v79, v80
	v_mul_f32_e32 v80, v84, v141
	v_add_f32_e32 v103, v103, v104
	s_waitcnt vmcnt(43)
	v_mul_f32_e32 v104, v97, v157
	v_fma_f32 v80, v83, v148, -v80
	s_waitcnt vmcnt(42)
	v_fmac_f32_e32 v104, v98, v158
	v_add_f32_e32 v79, v79, v80
	v_mul_f32_e32 v80, v86, v142
	v_add_f32_e32 v103, v103, v104
	s_waitcnt vmcnt(41) lgkmcnt(0)
	v_mul_f32_e32 v104, v99, v159
	v_fma_f32 v80, v85, v149, -v80
	s_waitcnt vmcnt(40)
	v_fmac_f32_e32 v104, v100, v160
	v_add_f32_e32 v79, v79, v80
	v_mul_f32_e32 v80, v88, v143
	v_add_f32_e32 v107, v103, v104
	ds_read_b128 v[103:106], v78 offset:464
	v_fma_f32 v80, v87, v150, -v80
	v_add_f32_e32 v79, v79, v80
	v_mul_f32_e32 v80, v90, v144
	s_waitcnt vmcnt(39)
	v_mul_f32_e32 v108, v101, v161
	v_fma_f32 v80, v89, v151, -v80
	s_waitcnt vmcnt(38)
	v_fmac_f32_e32 v108, v102, v162
	v_add_f32_e32 v79, v79, v80
	v_mul_f32_e32 v80, v92, v145
	v_add_f32_e32 v111, v107, v108
	ds_read_b128 v[107:110], v78 offset:480
	v_fma_f32 v80, v91, v152, -v80
	s_waitcnt vmcnt(35) lgkmcnt(1)
	v_mul_f32_e32 v112, v103, v165
	v_add_f32_e32 v79, v79, v80
	v_mul_f32_e32 v80, v94, v153
	s_waitcnt vmcnt(34)
	v_fmac_f32_e32 v112, v104, v166
	v_fma_f32 v80, v93, v154, -v80
	v_add_f32_e32 v111, v111, v112
	s_waitcnt vmcnt(32)
	v_mul_f32_e32 v112, v105, v168
	v_add_f32_e32 v79, v79, v80
	v_mul_f32_e32 v80, v96, v155
	v_fmac_f32_e32 v112, v106, v167
	v_fma_f32 v80, v95, v156, -v80
	v_add_f32_e32 v111, v111, v112
	s_waitcnt vmcnt(30) lgkmcnt(0)
	v_mul_f32_e32 v112, v107, v170
	v_add_f32_e32 v79, v79, v80
	v_mul_f32_e32 v80, v98, v157
	v_fmac_f32_e32 v112, v108, v169
	v_fma_f32 v80, v97, v158, -v80
	v_add_f32_e32 v115, v111, v112
	ds_read_b128 v[111:114], v78 offset:496
	v_add_f32_e32 v79, v79, v80
	v_mul_f32_e32 v80, v100, v159
	v_fma_f32 v80, v99, v160, -v80
	s_waitcnt vmcnt(29)
	v_mul_f32_e32 v116, v109, v171
	v_add_f32_e32 v79, v79, v80
	v_mul_f32_e32 v80, v102, v161
	s_waitcnt vmcnt(28)
	v_fmac_f32_e32 v116, v110, v172
	v_fma_f32 v80, v101, v162, -v80
	v_add_f32_e32 v119, v115, v116
	ds_read_b128 v[115:118], v78 offset:512
	v_add_f32_e32 v79, v79, v80
	v_mul_f32_e32 v80, v104, v165
	s_waitcnt vmcnt(26) lgkmcnt(1)
	v_mul_f32_e32 v120, v111, v174
	v_fma_f32 v80, v103, v166, -v80
	v_fmac_f32_e32 v120, v112, v173
	v_add_f32_e32 v79, v79, v80
	v_mul_f32_e32 v80, v106, v168
	v_add_f32_e32 v119, v119, v120
	s_waitcnt vmcnt(24)
	v_mul_f32_e32 v120, v113, v176
	v_fma_f32 v80, v105, v167, -v80
	v_fmac_f32_e32 v120, v114, v175
	v_add_f32_e32 v79, v79, v80
	v_mul_f32_e32 v80, v108, v170
	v_add_f32_e32 v119, v119, v120
	s_waitcnt vmcnt(22) lgkmcnt(0)
	v_mul_f32_e32 v120, v115, v178
	v_fma_f32 v80, v107, v169, -v80
	v_fmac_f32_e32 v120, v116, v177
	v_add_f32_e32 v79, v79, v80
	v_mul_f32_e32 v80, v110, v171
	v_add_f32_e32 v123, v119, v120
	ds_read_b128 v[119:122], v78 offset:528
	v_fma_f32 v80, v109, v172, -v80
	v_add_f32_e32 v79, v79, v80
	v_mul_f32_e32 v80, v112, v174
	s_waitcnt vmcnt(20)
	v_mul_f32_e32 v124, v117, v180
	v_fma_f32 v80, v111, v173, -v80
	v_fmac_f32_e32 v124, v118, v179
	v_add_f32_e32 v79, v79, v80
	v_mul_f32_e32 v80, v114, v176
	v_add_f32_e32 v127, v123, v124
	ds_read_b128 v[123:126], v78 offset:544
	v_fma_f32 v80, v113, v175, -v80
	s_waitcnt vmcnt(18) lgkmcnt(1)
	v_mul_f32_e32 v128, v119, v182
	v_add_f32_e32 v79, v79, v80
	v_mul_f32_e32 v80, v116, v178
	v_fmac_f32_e32 v128, v120, v181
	v_fma_f32 v80, v115, v177, -v80
	v_add_f32_e32 v127, v127, v128
	s_waitcnt vmcnt(16)
	v_mul_f32_e32 v128, v121, v184
	v_add_f32_e32 v79, v79, v80
	v_mul_f32_e32 v80, v118, v180
	v_fmac_f32_e32 v128, v122, v183
	v_fma_f32 v80, v117, v179, -v80
	v_add_f32_e32 v127, v127, v128
	s_waitcnt vmcnt(14) lgkmcnt(0)
	v_mul_f32_e32 v128, v123, v186
	v_add_f32_e32 v79, v79, v80
	v_mul_f32_e32 v80, v120, v182
	v_fmac_f32_e32 v128, v124, v185
	v_fma_f32 v80, v119, v181, -v80
	v_add_f32_e32 v131, v127, v128
	ds_read_b128 v[127:130], v78 offset:560
	v_add_f32_e32 v79, v79, v80
	v_mul_f32_e32 v80, v122, v184
	v_fma_f32 v80, v121, v183, -v80
	v_add_f32_e32 v79, v79, v80
	v_mul_f32_e32 v80, v124, v186
	s_waitcnt vmcnt(12)
	v_mul_f32_e32 v132, v125, v188
	v_fma_f32 v80, v123, v185, -v80
	v_fmac_f32_e32 v132, v126, v187
	v_add_f32_e32 v79, v79, v80
	v_mul_f32_e32 v80, v126, v188
	v_add_f32_e32 v135, v131, v132
	ds_read_b128 v[131:134], v78 offset:576
	s_waitcnt vmcnt(10) lgkmcnt(1)
	v_mul_f32_e32 v136, v127, v190
	v_fma_f32 v80, v125, v187, -v80
	v_fmac_f32_e32 v136, v128, v189
	v_add_f32_e32 v79, v79, v80
	v_mul_f32_e32 v80, v128, v190
	v_add_f32_e32 v135, v135, v136
	s_waitcnt vmcnt(8)
	v_mul_f32_e32 v136, v129, v192
	v_fma_f32 v80, v127, v189, -v80
	v_fmac_f32_e32 v136, v130, v191
	v_add_f32_e32 v79, v79, v80
	v_mul_f32_e32 v80, v130, v192
	v_add_f32_e32 v201, v135, v136
	ds_read_b128 v[135:138], v78 offset:592
	v_fma_f32 v80, v129, v191, -v80
	v_add_f32_e32 v79, v79, v80
	s_waitcnt vmcnt(6) lgkmcnt(1)
	v_mul_f32_e32 v80, v132, v194
	v_mul_f32_e32 v202, v131, v194
	v_fma_f32 v80, v131, v193, -v80
	v_fmac_f32_e32 v202, v132, v193
	v_add_f32_e32 v79, v79, v80
	s_waitcnt vmcnt(4)
	v_mul_f32_e32 v80, v134, v196
	v_add_f32_e32 v78, v201, v202
	v_mul_f32_e32 v201, v133, v196
	v_fma_f32 v80, v133, v195, -v80
	v_fmac_f32_e32 v201, v134, v195
	v_add_f32_e32 v79, v79, v80
	s_waitcnt vmcnt(2) lgkmcnt(0)
	v_mul_f32_e32 v80, v136, v198
	v_add_f32_e32 v78, v78, v201
	v_mul_f32_e32 v201, v135, v198
	v_fma_f32 v80, v135, v197, -v80
	v_fmac_f32_e32 v201, v136, v197
	v_add_f32_e32 v79, v79, v80
	s_waitcnt vmcnt(0)
	v_mul_f32_e32 v80, v138, v200
	v_add_f32_e32 v78, v78, v201
	v_mul_f32_e32 v201, v137, v200
	v_fma_f32 v80, v137, v199, -v80
	v_fmac_f32_e32 v201, v138, v199
	v_add_f32_e32 v79, v79, v80
	v_add_f32_e32 v78, v78, v201
	v_sub_f32_e32 v79, v163, v79
	v_sub_f32_e32 v78, v164, v78
	buffer_store_dword v79, off, s[0:3], 0 offset:56
	buffer_store_dword v78, off, s[0:3], 0 offset:60
	s_and_saveexec_b64 s[4:5], vcc
	s_cbranch_execz .LBB37_229
; %bb.228:
	buffer_load_dword v78, off, s[0:3], 0 offset:48
	buffer_load_dword v79, off, s[0:3], 0 offset:52
	v_mov_b32_e32 v80, 0
	buffer_store_dword v80, off, s[0:3], 0 offset:48
	buffer_store_dword v80, off, s[0:3], 0 offset:52
	s_waitcnt vmcnt(2)
	ds_write_b64 v77, v[78:79]
.LBB37_229:
	s_or_b64 exec, exec, s[4:5]
	s_waitcnt lgkmcnt(0)
	; wave barrier
	buffer_load_dword v141, off, s[0:3], 0 offset:60
	buffer_load_dword v142, off, s[0:3], 0 offset:68
	;; [unrolled: 1-line block ×56, first 2 shown]
	v_mov_b32_e32 v78, 0
	ds_read2_b64 v[79:82], v78 offset0:45 offset1:46
	buffer_load_dword v197, off, s[0:3], 0 offset:272
	buffer_load_dword v198, off, s[0:3], 0 offset:276
	buffer_load_dword v199, off, s[0:3], 0 offset:280
	buffer_load_dword v200, off, s[0:3], 0 offset:284
	ds_read2_b64 v[83:86], v78 offset0:47 offset1:48
	ds_read2_b64 v[87:90], v78 offset0:49 offset1:50
	;; [unrolled: 1-line block ×3, first 2 shown]
	v_cmp_lt_u32_e32 vcc, 5, v0
	s_waitcnt vmcnt(59) lgkmcnt(3)
	v_mul_f32_e32 v95, v79, v141
	s_waitcnt vmcnt(58)
	v_mul_f32_e32 v96, v81, v142
	s_waitcnt vmcnt(57) lgkmcnt(2)
	v_mul_f32_e32 v97, v83, v143
	s_waitcnt vmcnt(56)
	v_mul_f32_e32 v98, v85, v144
	;; [unrolled: 4-line block ×4, first 2 shown]
	s_waitcnt vmcnt(51)
	v_fmac_f32_e32 v95, v80, v149
	s_waitcnt vmcnt(50)
	v_fmac_f32_e32 v96, v82, v150
	v_add_f32_e32 v95, 0, v95
	s_waitcnt vmcnt(49)
	v_fmac_f32_e32 v97, v84, v151
	v_add_f32_e32 v95, v95, v96
	;; [unrolled: 3-line block ×6, first 2 shown]
	v_add_f32_e32 v99, v95, v101
	ds_read2_b64 v[95:98], v78 offset0:53 offset1:54
	buffer_load_dword v201, off, s[0:3], 0 offset:292
	buffer_load_dword v202, off, s[0:3], 0 offset:288
	;; [unrolled: 1-line block ×4, first 2 shown]
	s_waitcnt vmcnt(48)
	v_fmac_f32_e32 v102, v94, v156
	v_add_f32_e32 v103, v99, v102
	ds_read2_b64 v[99:102], v78 offset0:55 offset1:56
	s_waitcnt vmcnt(47) lgkmcnt(1)
	v_mul_f32_e32 v104, v95, v157
	v_mul_f32_e32 v80, v80, v141
	s_waitcnt vmcnt(46)
	v_fmac_f32_e32 v104, v96, v158
	v_fma_f32 v79, v79, v149, -v80
	v_mul_f32_e32 v80, v82, v142
	v_add_f32_e32 v103, v103, v104
	s_waitcnt vmcnt(45)
	v_mul_f32_e32 v104, v97, v159
	v_add_f32_e32 v79, 0, v79
	v_fma_f32 v80, v81, v150, -v80
	s_waitcnt vmcnt(44)
	v_fmac_f32_e32 v104, v98, v160
	v_add_f32_e32 v79, v79, v80
	v_mul_f32_e32 v80, v84, v143
	v_add_f32_e32 v103, v103, v104
	s_waitcnt vmcnt(42) lgkmcnt(0)
	v_mul_f32_e32 v104, v99, v162
	v_fma_f32 v80, v83, v151, -v80
	v_fmac_f32_e32 v104, v100, v161
	v_add_f32_e32 v79, v79, v80
	v_mul_f32_e32 v80, v86, v144
	v_add_f32_e32 v107, v103, v104
	ds_read2_b64 v[103:106], v78 offset0:57 offset1:58
	v_fma_f32 v80, v85, v152, -v80
	v_add_f32_e32 v79, v79, v80
	v_mul_f32_e32 v80, v88, v145
	s_waitcnt vmcnt(39)
	v_mul_f32_e32 v108, v101, v165
	v_fma_f32 v80, v87, v153, -v80
	s_waitcnt vmcnt(38)
	v_fmac_f32_e32 v108, v102, v166
	v_add_f32_e32 v79, v79, v80
	v_mul_f32_e32 v80, v90, v146
	v_add_f32_e32 v111, v107, v108
	ds_read2_b64 v[107:110], v78 offset0:59 offset1:60
	v_fma_f32 v80, v89, v154, -v80
	s_waitcnt vmcnt(36) lgkmcnt(1)
	v_mul_f32_e32 v112, v103, v168
	v_add_f32_e32 v79, v79, v80
	v_mul_f32_e32 v80, v92, v147
	v_fmac_f32_e32 v112, v104, v167
	v_fma_f32 v80, v91, v155, -v80
	v_add_f32_e32 v111, v111, v112
	s_waitcnt vmcnt(34)
	v_mul_f32_e32 v112, v105, v170
	v_add_f32_e32 v79, v79, v80
	v_mul_f32_e32 v80, v94, v148
	v_fmac_f32_e32 v112, v106, v169
	v_fma_f32 v80, v93, v156, -v80
	v_add_f32_e32 v111, v111, v112
	s_waitcnt vmcnt(32) lgkmcnt(0)
	v_mul_f32_e32 v112, v107, v172
	v_add_f32_e32 v79, v79, v80
	v_mul_f32_e32 v80, v96, v157
	v_fmac_f32_e32 v112, v108, v171
	v_fma_f32 v80, v95, v158, -v80
	v_add_f32_e32 v115, v111, v112
	ds_read2_b64 v[111:114], v78 offset0:61 offset1:62
	v_add_f32_e32 v79, v79, v80
	v_mul_f32_e32 v80, v98, v159
	v_fma_f32 v80, v97, v160, -v80
	s_waitcnt vmcnt(30)
	v_mul_f32_e32 v116, v109, v174
	v_add_f32_e32 v79, v79, v80
	v_mul_f32_e32 v80, v100, v162
	v_fmac_f32_e32 v116, v110, v173
	v_fma_f32 v80, v99, v161, -v80
	v_add_f32_e32 v119, v115, v116
	ds_read2_b64 v[115:118], v78 offset0:63 offset1:64
	v_add_f32_e32 v79, v79, v80
	v_mul_f32_e32 v80, v102, v165
	s_waitcnt vmcnt(28) lgkmcnt(1)
	v_mul_f32_e32 v120, v111, v176
	v_fma_f32 v80, v101, v166, -v80
	v_fmac_f32_e32 v120, v112, v175
	v_add_f32_e32 v79, v79, v80
	v_mul_f32_e32 v80, v104, v168
	v_add_f32_e32 v119, v119, v120
	s_waitcnt vmcnt(26)
	v_mul_f32_e32 v120, v113, v178
	v_fma_f32 v80, v103, v167, -v80
	v_fmac_f32_e32 v120, v114, v177
	v_add_f32_e32 v79, v79, v80
	v_mul_f32_e32 v80, v106, v170
	v_add_f32_e32 v119, v119, v120
	s_waitcnt vmcnt(24) lgkmcnt(0)
	v_mul_f32_e32 v120, v115, v180
	v_fma_f32 v80, v105, v169, -v80
	v_fmac_f32_e32 v120, v116, v179
	v_add_f32_e32 v79, v79, v80
	v_mul_f32_e32 v80, v108, v172
	v_add_f32_e32 v123, v119, v120
	ds_read2_b64 v[119:122], v78 offset0:65 offset1:66
	v_fma_f32 v80, v107, v171, -v80
	v_add_f32_e32 v79, v79, v80
	v_mul_f32_e32 v80, v110, v174
	s_waitcnt vmcnt(22)
	v_mul_f32_e32 v124, v117, v182
	v_fma_f32 v80, v109, v173, -v80
	v_fmac_f32_e32 v124, v118, v181
	v_add_f32_e32 v79, v79, v80
	v_mul_f32_e32 v80, v112, v176
	v_add_f32_e32 v127, v123, v124
	ds_read2_b64 v[123:126], v78 offset0:67 offset1:68
	v_fma_f32 v80, v111, v175, -v80
	s_waitcnt vmcnt(20) lgkmcnt(1)
	v_mul_f32_e32 v128, v119, v184
	v_add_f32_e32 v79, v79, v80
	v_mul_f32_e32 v80, v114, v178
	v_fmac_f32_e32 v128, v120, v183
	v_fma_f32 v80, v113, v177, -v80
	v_add_f32_e32 v127, v127, v128
	s_waitcnt vmcnt(18)
	v_mul_f32_e32 v128, v121, v186
	v_add_f32_e32 v79, v79, v80
	v_mul_f32_e32 v80, v116, v180
	v_fmac_f32_e32 v128, v122, v185
	v_fma_f32 v80, v115, v179, -v80
	v_add_f32_e32 v127, v127, v128
	s_waitcnt vmcnt(16) lgkmcnt(0)
	v_mul_f32_e32 v128, v123, v188
	v_add_f32_e32 v79, v79, v80
	v_mul_f32_e32 v80, v118, v182
	v_fmac_f32_e32 v128, v124, v187
	v_fma_f32 v80, v117, v181, -v80
	v_add_f32_e32 v131, v127, v128
	ds_read2_b64 v[127:130], v78 offset0:69 offset1:70
	v_add_f32_e32 v79, v79, v80
	v_mul_f32_e32 v80, v120, v184
	v_fma_f32 v80, v119, v183, -v80
	s_waitcnt vmcnt(14)
	v_mul_f32_e32 v132, v125, v190
	v_add_f32_e32 v79, v79, v80
	v_mul_f32_e32 v80, v122, v186
	v_fmac_f32_e32 v132, v126, v189
	v_fma_f32 v80, v121, v185, -v80
	v_add_f32_e32 v135, v131, v132
	ds_read2_b64 v[131:134], v78 offset0:71 offset1:72
	v_add_f32_e32 v79, v79, v80
	v_mul_f32_e32 v80, v124, v188
	s_waitcnt vmcnt(12) lgkmcnt(1)
	v_mul_f32_e32 v136, v127, v192
	v_fma_f32 v80, v123, v187, -v80
	v_fmac_f32_e32 v136, v128, v191
	v_add_f32_e32 v79, v79, v80
	v_mul_f32_e32 v80, v126, v190
	v_add_f32_e32 v135, v135, v136
	s_waitcnt vmcnt(10)
	v_mul_f32_e32 v136, v129, v194
	v_fma_f32 v80, v125, v189, -v80
	v_fmac_f32_e32 v136, v130, v193
	v_add_f32_e32 v79, v79, v80
	v_mul_f32_e32 v80, v128, v192
	v_add_f32_e32 v135, v135, v136
	s_waitcnt vmcnt(8) lgkmcnt(0)
	v_mul_f32_e32 v136, v131, v196
	v_fma_f32 v80, v127, v191, -v80
	v_fmac_f32_e32 v136, v132, v195
	v_add_f32_e32 v79, v79, v80
	v_mul_f32_e32 v80, v130, v194
	v_add_f32_e32 v139, v135, v136
	ds_read2_b64 v[135:138], v78 offset0:73 offset1:74
	v_fma_f32 v80, v129, v193, -v80
	v_add_f32_e32 v79, v79, v80
	v_mul_f32_e32 v80, v132, v196
	s_waitcnt vmcnt(6)
	v_mul_f32_e32 v140, v133, v198
	v_fma_f32 v80, v131, v195, -v80
	v_fmac_f32_e32 v140, v134, v197
	v_add_f32_e32 v79, v79, v80
	v_mul_f32_e32 v80, v134, v198
	v_add_f32_e32 v205, v139, v140
	ds_read_b64 v[139:140], v78 offset:600
	v_fma_f32 v80, v133, v197, -v80
	v_add_f32_e32 v79, v79, v80
	s_waitcnt vmcnt(4) lgkmcnt(1)
	v_mul_f32_e32 v80, v136, v200
	v_mul_f32_e32 v206, v135, v200
	v_fma_f32 v80, v135, v199, -v80
	v_fmac_f32_e32 v206, v136, v199
	v_add_f32_e32 v79, v79, v80
	s_waitcnt vmcnt(3)
	v_mul_f32_e32 v80, v138, v201
	v_add_f32_e32 v205, v205, v206
	v_mul_f32_e32 v206, v137, v201
	s_waitcnt vmcnt(2)
	v_fma_f32 v80, v137, v202, -v80
	v_fmac_f32_e32 v206, v138, v202
	v_add_f32_e32 v79, v79, v80
	s_waitcnt vmcnt(0) lgkmcnt(0)
	v_mul_f32_e32 v80, v140, v204
	v_add_f32_e32 v205, v205, v206
	v_mul_f32_e32 v206, v139, v204
	v_fma_f32 v80, v139, v203, -v80
	v_fmac_f32_e32 v206, v140, v203
	v_add_f32_e32 v79, v79, v80
	v_add_f32_e32 v205, v205, v206
	v_sub_f32_e32 v79, v163, v79
	v_sub_f32_e32 v80, v164, v205
	buffer_store_dword v79, off, s[0:3], 0 offset:48
	buffer_store_dword v80, off, s[0:3], 0 offset:52
	s_and_saveexec_b64 s[4:5], vcc
	s_cbranch_execz .LBB37_231
; %bb.230:
	buffer_load_dword v79, off, s[0:3], 0 offset:40
	buffer_load_dword v80, off, s[0:3], 0 offset:44
	s_waitcnt vmcnt(0)
	ds_write_b64 v77, v[79:80]
	buffer_store_dword v78, off, s[0:3], 0 offset:40
	buffer_store_dword v78, off, s[0:3], 0 offset:44
.LBB37_231:
	s_or_b64 exec, exec, s[4:5]
	s_waitcnt lgkmcnt(0)
	; wave barrier
	buffer_load_dword v143, off, s[0:3], 0 offset:52
	buffer_load_dword v144, off, s[0:3], 0 offset:60
	buffer_load_dword v145, off, s[0:3], 0 offset:68
	buffer_load_dword v146, off, s[0:3], 0 offset:76
	buffer_load_dword v147, off, s[0:3], 0 offset:84
	buffer_load_dword v148, off, s[0:3], 0 offset:92
	buffer_load_dword v149, off, s[0:3], 0 offset:100
	buffer_load_dword v150, off, s[0:3], 0 offset:108
	buffer_load_dword v151, off, s[0:3], 0 offset:48
	buffer_load_dword v152, off, s[0:3], 0 offset:56
	buffer_load_dword v153, off, s[0:3], 0 offset:64
	buffer_load_dword v154, off, s[0:3], 0 offset:72
	buffer_load_dword v155, off, s[0:3], 0 offset:80
	buffer_load_dword v156, off, s[0:3], 0 offset:88
	buffer_load_dword v157, off, s[0:3], 0 offset:96
	buffer_load_dword v158, off, s[0:3], 0 offset:104
	buffer_load_dword v159, off, s[0:3], 0 offset:116
	buffer_load_dword v160, off, s[0:3], 0 offset:112
	buffer_load_dword v161, off, s[0:3], 0 offset:120
	buffer_load_dword v162, off, s[0:3], 0 offset:124
	buffer_load_dword v163, off, s[0:3], 0 offset:40
	buffer_load_dword v164, off, s[0:3], 0 offset:44
	buffer_load_dword v165, off, s[0:3], 0 offset:132
	buffer_load_dword v166, off, s[0:3], 0 offset:128
	buffer_load_dword v167, off, s[0:3], 0 offset:136
	buffer_load_dword v168, off, s[0:3], 0 offset:140
	ds_read_b128 v[79:82], v78 offset:352
	ds_read_b128 v[83:86], v78 offset:368
	;; [unrolled: 1-line block ×4, first 2 shown]
	buffer_load_dword v169, off, s[0:3], 0 offset:148
	buffer_load_dword v170, off, s[0:3], 0 offset:144
	;; [unrolled: 1-line block ×34, first 2 shown]
	v_cmp_lt_u32_e32 vcc, 4, v0
	s_waitcnt vmcnt(59) lgkmcnt(3)
	v_mul_f32_e32 v95, v79, v143
	s_waitcnt vmcnt(58)
	v_mul_f32_e32 v96, v81, v144
	s_waitcnt vmcnt(57) lgkmcnt(2)
	v_mul_f32_e32 v97, v83, v145
	s_waitcnt vmcnt(56)
	v_mul_f32_e32 v98, v85, v146
	;; [unrolled: 4-line block ×4, first 2 shown]
	s_waitcnt vmcnt(51)
	v_fmac_f32_e32 v95, v80, v151
	s_waitcnt vmcnt(50)
	v_fmac_f32_e32 v96, v82, v152
	v_add_f32_e32 v95, 0, v95
	s_waitcnt vmcnt(49)
	v_fmac_f32_e32 v97, v84, v153
	v_add_f32_e32 v95, v95, v96
	;; [unrolled: 3-line block ×7, first 2 shown]
	v_add_f32_e32 v103, v95, v102
	ds_read_b128 v[95:98], v78 offset:416
	buffer_load_dword v203, off, s[0:3], 0 offset:284
	buffer_load_dword v204, off, s[0:3], 0 offset:280
	buffer_load_dword v205, off, s[0:3], 0 offset:288
	buffer_load_dword v206, off, s[0:3], 0 offset:292
	ds_read_b128 v[99:102], v78 offset:432
	buffer_load_dword v207, off, s[0:3], 0 offset:296
	buffer_load_dword v208, off, s[0:3], 0 offset:300
	v_mul_f32_e32 v80, v80, v143
	s_waitcnt vmcnt(49) lgkmcnt(1)
	v_mul_f32_e32 v104, v95, v159
	s_waitcnt vmcnt(48)
	v_fmac_f32_e32 v104, v96, v160
	v_fma_f32 v79, v79, v151, -v80
	v_mul_f32_e32 v80, v82, v144
	v_add_f32_e32 v103, v103, v104
	s_waitcnt vmcnt(46)
	v_mul_f32_e32 v104, v97, v162
	v_add_f32_e32 v79, 0, v79
	v_fma_f32 v80, v81, v152, -v80
	v_fmac_f32_e32 v104, v98, v161
	v_add_f32_e32 v79, v79, v80
	v_mul_f32_e32 v80, v84, v145
	v_add_f32_e32 v103, v103, v104
	s_waitcnt vmcnt(43) lgkmcnt(0)
	v_mul_f32_e32 v104, v99, v165
	v_fma_f32 v80, v83, v153, -v80
	s_waitcnt vmcnt(42)
	v_fmac_f32_e32 v104, v100, v166
	v_add_f32_e32 v79, v79, v80
	v_mul_f32_e32 v80, v86, v146
	v_add_f32_e32 v107, v103, v104
	ds_read_b128 v[103:106], v78 offset:448
	v_fma_f32 v80, v85, v154, -v80
	v_add_f32_e32 v79, v79, v80
	v_mul_f32_e32 v80, v88, v147
	s_waitcnt vmcnt(40)
	v_mul_f32_e32 v108, v101, v168
	v_fma_f32 v80, v87, v155, -v80
	v_fmac_f32_e32 v108, v102, v167
	v_add_f32_e32 v79, v79, v80
	v_mul_f32_e32 v80, v90, v148
	v_add_f32_e32 v111, v107, v108
	ds_read_b128 v[107:110], v78 offset:464
	v_fma_f32 v80, v89, v156, -v80
	s_waitcnt vmcnt(39) lgkmcnt(1)
	v_mul_f32_e32 v112, v103, v169
	v_add_f32_e32 v79, v79, v80
	v_mul_f32_e32 v80, v92, v149
	s_waitcnt vmcnt(38)
	v_fmac_f32_e32 v112, v104, v170
	v_fma_f32 v80, v91, v157, -v80
	v_add_f32_e32 v111, v111, v112
	s_waitcnt vmcnt(36)
	v_mul_f32_e32 v112, v105, v172
	v_add_f32_e32 v79, v79, v80
	v_mul_f32_e32 v80, v94, v150
	v_fmac_f32_e32 v112, v106, v171
	v_fma_f32 v80, v93, v158, -v80
	v_add_f32_e32 v111, v111, v112
	s_waitcnt vmcnt(34) lgkmcnt(0)
	v_mul_f32_e32 v112, v107, v174
	v_add_f32_e32 v79, v79, v80
	v_mul_f32_e32 v80, v96, v159
	v_fmac_f32_e32 v112, v108, v173
	v_fma_f32 v80, v95, v160, -v80
	v_add_f32_e32 v115, v111, v112
	ds_read_b128 v[111:114], v78 offset:480
	v_add_f32_e32 v79, v79, v80
	v_mul_f32_e32 v80, v98, v162
	v_fma_f32 v80, v97, v161, -v80
	s_waitcnt vmcnt(32)
	v_mul_f32_e32 v116, v109, v176
	v_add_f32_e32 v79, v79, v80
	v_mul_f32_e32 v80, v100, v165
	v_fmac_f32_e32 v116, v110, v175
	v_fma_f32 v80, v99, v166, -v80
	v_add_f32_e32 v119, v115, v116
	ds_read_b128 v[115:118], v78 offset:496
	v_add_f32_e32 v79, v79, v80
	v_mul_f32_e32 v80, v102, v168
	s_waitcnt vmcnt(30) lgkmcnt(1)
	v_mul_f32_e32 v120, v111, v178
	v_fma_f32 v80, v101, v167, -v80
	v_fmac_f32_e32 v120, v112, v177
	v_add_f32_e32 v79, v79, v80
	v_mul_f32_e32 v80, v104, v169
	v_add_f32_e32 v119, v119, v120
	s_waitcnt vmcnt(28)
	v_mul_f32_e32 v120, v113, v180
	v_fma_f32 v80, v103, v170, -v80
	v_fmac_f32_e32 v120, v114, v179
	v_add_f32_e32 v79, v79, v80
	v_mul_f32_e32 v80, v106, v172
	v_add_f32_e32 v119, v119, v120
	s_waitcnt vmcnt(26) lgkmcnt(0)
	v_mul_f32_e32 v120, v115, v182
	v_fma_f32 v80, v105, v171, -v80
	v_fmac_f32_e32 v120, v116, v181
	v_add_f32_e32 v79, v79, v80
	v_mul_f32_e32 v80, v108, v174
	v_add_f32_e32 v123, v119, v120
	ds_read_b128 v[119:122], v78 offset:512
	v_fma_f32 v80, v107, v173, -v80
	v_add_f32_e32 v79, v79, v80
	v_mul_f32_e32 v80, v110, v176
	s_waitcnt vmcnt(24)
	v_mul_f32_e32 v124, v117, v184
	v_fma_f32 v80, v109, v175, -v80
	v_fmac_f32_e32 v124, v118, v183
	v_add_f32_e32 v79, v79, v80
	v_mul_f32_e32 v80, v112, v178
	v_add_f32_e32 v127, v123, v124
	ds_read_b128 v[123:126], v78 offset:528
	v_fma_f32 v80, v111, v177, -v80
	s_waitcnt vmcnt(22) lgkmcnt(1)
	v_mul_f32_e32 v128, v119, v186
	v_add_f32_e32 v79, v79, v80
	v_mul_f32_e32 v80, v114, v180
	v_fmac_f32_e32 v128, v120, v185
	v_fma_f32 v80, v113, v179, -v80
	v_add_f32_e32 v127, v127, v128
	s_waitcnt vmcnt(20)
	v_mul_f32_e32 v128, v121, v188
	v_add_f32_e32 v79, v79, v80
	v_mul_f32_e32 v80, v116, v182
	v_fmac_f32_e32 v128, v122, v187
	v_fma_f32 v80, v115, v181, -v80
	v_add_f32_e32 v127, v127, v128
	s_waitcnt vmcnt(18) lgkmcnt(0)
	v_mul_f32_e32 v128, v123, v190
	v_add_f32_e32 v79, v79, v80
	v_mul_f32_e32 v80, v118, v184
	v_fmac_f32_e32 v128, v124, v189
	v_fma_f32 v80, v117, v183, -v80
	v_add_f32_e32 v131, v127, v128
	ds_read_b128 v[127:130], v78 offset:544
	v_add_f32_e32 v79, v79, v80
	v_mul_f32_e32 v80, v120, v186
	v_fma_f32 v80, v119, v185, -v80
	s_waitcnt vmcnt(16)
	v_mul_f32_e32 v132, v125, v192
	v_add_f32_e32 v79, v79, v80
	v_mul_f32_e32 v80, v122, v188
	v_fmac_f32_e32 v132, v126, v191
	v_fma_f32 v80, v121, v187, -v80
	v_add_f32_e32 v135, v131, v132
	ds_read_b128 v[131:134], v78 offset:560
	v_add_f32_e32 v79, v79, v80
	v_mul_f32_e32 v80, v124, v190
	s_waitcnt vmcnt(14) lgkmcnt(1)
	v_mul_f32_e32 v136, v127, v194
	v_fma_f32 v80, v123, v189, -v80
	v_fmac_f32_e32 v136, v128, v193
	v_add_f32_e32 v79, v79, v80
	v_mul_f32_e32 v80, v126, v192
	v_add_f32_e32 v135, v135, v136
	s_waitcnt vmcnt(12)
	v_mul_f32_e32 v136, v129, v196
	v_fma_f32 v80, v125, v191, -v80
	v_fmac_f32_e32 v136, v130, v195
	v_add_f32_e32 v79, v79, v80
	v_mul_f32_e32 v80, v128, v194
	v_add_f32_e32 v135, v135, v136
	s_waitcnt vmcnt(10) lgkmcnt(0)
	v_mul_f32_e32 v136, v131, v198
	v_fma_f32 v80, v127, v193, -v80
	v_fmac_f32_e32 v136, v132, v197
	v_add_f32_e32 v79, v79, v80
	v_mul_f32_e32 v80, v130, v196
	v_add_f32_e32 v139, v135, v136
	ds_read_b128 v[135:138], v78 offset:576
	v_fma_f32 v80, v129, v195, -v80
	v_add_f32_e32 v79, v79, v80
	v_mul_f32_e32 v80, v132, v198
	s_waitcnt vmcnt(8)
	v_mul_f32_e32 v140, v133, v200
	v_fma_f32 v80, v131, v197, -v80
	v_fmac_f32_e32 v140, v134, v199
	v_add_f32_e32 v79, v79, v80
	v_mul_f32_e32 v80, v134, v200
	v_add_f32_e32 v209, v139, v140
	ds_read_b128 v[139:142], v78 offset:592
	v_fma_f32 v80, v133, v199, -v80
	v_add_f32_e32 v79, v79, v80
	s_waitcnt vmcnt(6) lgkmcnt(1)
	v_mul_f32_e32 v80, v136, v202
	v_mul_f32_e32 v78, v135, v202
	v_fma_f32 v80, v135, v201, -v80
	v_fmac_f32_e32 v78, v136, v201
	v_add_f32_e32 v79, v79, v80
	s_waitcnt vmcnt(5)
	v_mul_f32_e32 v80, v138, v203
	v_add_f32_e32 v78, v209, v78
	v_mul_f32_e32 v209, v137, v203
	s_waitcnt vmcnt(4)
	v_fma_f32 v80, v137, v204, -v80
	v_fmac_f32_e32 v209, v138, v204
	v_add_f32_e32 v79, v79, v80
	s_waitcnt vmcnt(2) lgkmcnt(0)
	v_mul_f32_e32 v80, v140, v206
	v_add_f32_e32 v78, v78, v209
	v_mul_f32_e32 v209, v139, v206
	v_fma_f32 v80, v139, v205, -v80
	v_fmac_f32_e32 v209, v140, v205
	v_add_f32_e32 v79, v79, v80
	s_waitcnt vmcnt(0)
	v_mul_f32_e32 v80, v142, v208
	v_add_f32_e32 v78, v78, v209
	v_mul_f32_e32 v209, v141, v208
	v_fma_f32 v80, v141, v207, -v80
	v_fmac_f32_e32 v209, v142, v207
	v_add_f32_e32 v79, v79, v80
	v_add_f32_e32 v78, v78, v209
	v_sub_f32_e32 v79, v163, v79
	v_sub_f32_e32 v78, v164, v78
	buffer_store_dword v79, off, s[0:3], 0 offset:40
	buffer_store_dword v78, off, s[0:3], 0 offset:44
	s_and_saveexec_b64 s[4:5], vcc
	s_cbranch_execz .LBB37_233
; %bb.232:
	buffer_load_dword v78, off, s[0:3], 0 offset:32
	buffer_load_dword v79, off, s[0:3], 0 offset:36
	v_mov_b32_e32 v80, 0
	buffer_store_dword v80, off, s[0:3], 0 offset:32
	buffer_store_dword v80, off, s[0:3], 0 offset:36
	s_waitcnt vmcnt(2)
	ds_write_b64 v77, v[78:79]
.LBB37_233:
	s_or_b64 exec, exec, s[4:5]
	s_waitcnt lgkmcnt(0)
	; wave barrier
	buffer_load_dword v145, off, s[0:3], 0 offset:44
	buffer_load_dword v146, off, s[0:3], 0 offset:52
	;; [unrolled: 1-line block ×58, first 2 shown]
	v_mov_b32_e32 v78, 0
	ds_read2_b64 v[79:82], v78 offset0:43 offset1:44
	ds_read2_b64 v[83:86], v78 offset0:45 offset1:46
	;; [unrolled: 1-line block ×5, first 2 shown]
	buffer_load_dword v203, off, s[0:3], 0 offset:264
	buffer_load_dword v204, off, s[0:3], 0 offset:268
	v_cmp_lt_u32_e32 vcc, 3, v0
	s_waitcnt vmcnt(59) lgkmcnt(4)
	v_mul_f32_e32 v99, v79, v145
	s_waitcnt vmcnt(58)
	v_mul_f32_e32 v100, v81, v146
	s_waitcnt vmcnt(57) lgkmcnt(3)
	v_mul_f32_e32 v101, v83, v147
	s_waitcnt vmcnt(56)
	v_mul_f32_e32 v102, v85, v148
	;; [unrolled: 4-line block ×4, first 2 shown]
	s_waitcnt vmcnt(51)
	v_fmac_f32_e32 v99, v80, v153
	s_waitcnt vmcnt(50)
	v_fmac_f32_e32 v100, v82, v154
	v_add_f32_e32 v99, 0, v99
	s_waitcnt vmcnt(49)
	v_fmac_f32_e32 v101, v84, v155
	v_add_f32_e32 v99, v99, v100
	;; [unrolled: 3-line block ×7, first 2 shown]
	v_add_f32_e32 v103, v99, v106
	ds_read2_b64 v[99:102], v78 offset0:53 offset1:54
	buffer_load_dword v205, off, s[0:3], 0 offset:276
	buffer_load_dword v206, off, s[0:3], 0 offset:272
	buffer_load_dword v207, off, s[0:3], 0 offset:280
	buffer_load_dword v208, off, s[0:3], 0 offset:284
	buffer_load_dword v209, off, s[0:3], 0 offset:292
	buffer_load_dword v210, off, s[0:3], 0 offset:288
	buffer_load_dword v211, off, s[0:3], 0 offset:296
	buffer_load_dword v212, off, s[0:3], 0 offset:300
	s_waitcnt vmcnt(51) lgkmcnt(1)
	v_mul_f32_e32 v104, v95, v161
	s_waitcnt vmcnt(50)
	v_fmac_f32_e32 v104, v96, v162
	v_mul_f32_e32 v80, v80, v145
	v_add_f32_e32 v103, v103, v104
	s_waitcnt vmcnt(49)
	v_mul_f32_e32 v104, v97, v163
	v_fma_f32 v79, v79, v153, -v80
	v_mul_f32_e32 v80, v82, v146
	s_waitcnt vmcnt(46)
	v_fmac_f32_e32 v104, v98, v166
	v_add_f32_e32 v79, 0, v79
	v_fma_f32 v80, v81, v154, -v80
	v_add_f32_e32 v103, v103, v104
	s_waitcnt vmcnt(44) lgkmcnt(0)
	v_mul_f32_e32 v104, v99, v168
	v_add_f32_e32 v79, v79, v80
	v_mul_f32_e32 v80, v84, v147
	v_fmac_f32_e32 v104, v100, v167
	v_fma_f32 v80, v83, v155, -v80
	v_add_f32_e32 v107, v103, v104
	ds_read2_b64 v[103:106], v78 offset0:55 offset1:56
	v_add_f32_e32 v79, v79, v80
	v_mul_f32_e32 v80, v86, v148
	v_fma_f32 v80, v85, v156, -v80
	s_waitcnt vmcnt(42)
	v_mul_f32_e32 v108, v101, v170
	v_add_f32_e32 v79, v79, v80
	v_mul_f32_e32 v80, v88, v149
	v_fmac_f32_e32 v108, v102, v169
	v_fma_f32 v80, v87, v157, -v80
	v_add_f32_e32 v111, v107, v108
	ds_read2_b64 v[107:110], v78 offset0:57 offset1:58
	v_add_f32_e32 v79, v79, v80
	v_mul_f32_e32 v80, v90, v150
	s_waitcnt vmcnt(40) lgkmcnt(1)
	v_mul_f32_e32 v112, v103, v172
	v_fma_f32 v80, v89, v158, -v80
	v_fmac_f32_e32 v112, v104, v171
	v_add_f32_e32 v79, v79, v80
	v_mul_f32_e32 v80, v92, v151
	v_add_f32_e32 v111, v111, v112
	s_waitcnt vmcnt(38)
	v_mul_f32_e32 v112, v105, v174
	v_fma_f32 v80, v91, v159, -v80
	v_fmac_f32_e32 v112, v106, v173
	v_add_f32_e32 v79, v79, v80
	v_mul_f32_e32 v80, v94, v152
	v_add_f32_e32 v111, v111, v112
	s_waitcnt vmcnt(36) lgkmcnt(0)
	v_mul_f32_e32 v112, v107, v176
	v_fma_f32 v80, v93, v160, -v80
	v_fmac_f32_e32 v112, v108, v175
	v_add_f32_e32 v79, v79, v80
	v_mul_f32_e32 v80, v96, v161
	v_add_f32_e32 v115, v111, v112
	ds_read2_b64 v[111:114], v78 offset0:59 offset1:60
	v_fma_f32 v80, v95, v162, -v80
	v_add_f32_e32 v79, v79, v80
	v_mul_f32_e32 v80, v98, v163
	s_waitcnt vmcnt(34)
	v_mul_f32_e32 v116, v109, v178
	v_fma_f32 v80, v97, v166, -v80
	v_fmac_f32_e32 v116, v110, v177
	v_add_f32_e32 v79, v79, v80
	v_mul_f32_e32 v80, v100, v168
	v_add_f32_e32 v119, v115, v116
	ds_read2_b64 v[115:118], v78 offset0:61 offset1:62
	v_fma_f32 v80, v99, v167, -v80
	s_waitcnt vmcnt(32) lgkmcnt(1)
	v_mul_f32_e32 v120, v111, v180
	v_add_f32_e32 v79, v79, v80
	v_mul_f32_e32 v80, v102, v170
	v_fmac_f32_e32 v120, v112, v179
	v_fma_f32 v80, v101, v169, -v80
	v_add_f32_e32 v119, v119, v120
	s_waitcnt vmcnt(30)
	v_mul_f32_e32 v120, v113, v182
	v_add_f32_e32 v79, v79, v80
	v_mul_f32_e32 v80, v104, v172
	v_fmac_f32_e32 v120, v114, v181
	v_fma_f32 v80, v103, v171, -v80
	v_add_f32_e32 v119, v119, v120
	s_waitcnt vmcnt(28) lgkmcnt(0)
	v_mul_f32_e32 v120, v115, v184
	v_add_f32_e32 v79, v79, v80
	v_mul_f32_e32 v80, v106, v174
	v_fmac_f32_e32 v120, v116, v183
	v_fma_f32 v80, v105, v173, -v80
	v_add_f32_e32 v123, v119, v120
	ds_read2_b64 v[119:122], v78 offset0:63 offset1:64
	v_add_f32_e32 v79, v79, v80
	v_mul_f32_e32 v80, v108, v176
	v_fma_f32 v80, v107, v175, -v80
	s_waitcnt vmcnt(26)
	v_mul_f32_e32 v124, v117, v186
	v_add_f32_e32 v79, v79, v80
	v_mul_f32_e32 v80, v110, v178
	v_fmac_f32_e32 v124, v118, v185
	v_fma_f32 v80, v109, v177, -v80
	v_add_f32_e32 v127, v123, v124
	ds_read2_b64 v[123:126], v78 offset0:65 offset1:66
	v_add_f32_e32 v79, v79, v80
	v_mul_f32_e32 v80, v112, v180
	s_waitcnt vmcnt(24) lgkmcnt(1)
	v_mul_f32_e32 v128, v119, v188
	v_fma_f32 v80, v111, v179, -v80
	v_fmac_f32_e32 v128, v120, v187
	v_add_f32_e32 v79, v79, v80
	v_mul_f32_e32 v80, v114, v182
	v_add_f32_e32 v127, v127, v128
	s_waitcnt vmcnt(22)
	v_mul_f32_e32 v128, v121, v190
	v_fma_f32 v80, v113, v181, -v80
	v_fmac_f32_e32 v128, v122, v189
	v_add_f32_e32 v79, v79, v80
	v_mul_f32_e32 v80, v116, v184
	v_add_f32_e32 v127, v127, v128
	s_waitcnt vmcnt(20) lgkmcnt(0)
	v_mul_f32_e32 v128, v123, v192
	v_fma_f32 v80, v115, v183, -v80
	v_fmac_f32_e32 v128, v124, v191
	v_add_f32_e32 v79, v79, v80
	v_mul_f32_e32 v80, v118, v186
	v_add_f32_e32 v131, v127, v128
	ds_read2_b64 v[127:130], v78 offset0:67 offset1:68
	v_fma_f32 v80, v117, v185, -v80
	v_add_f32_e32 v79, v79, v80
	v_mul_f32_e32 v80, v120, v188
	s_waitcnt vmcnt(18)
	v_mul_f32_e32 v132, v125, v194
	v_fma_f32 v80, v119, v187, -v80
	v_fmac_f32_e32 v132, v126, v193
	v_add_f32_e32 v79, v79, v80
	v_mul_f32_e32 v80, v122, v190
	v_add_f32_e32 v135, v131, v132
	ds_read2_b64 v[131:134], v78 offset0:69 offset1:70
	v_fma_f32 v80, v121, v189, -v80
	s_waitcnt vmcnt(16) lgkmcnt(1)
	v_mul_f32_e32 v136, v127, v196
	v_add_f32_e32 v79, v79, v80
	v_mul_f32_e32 v80, v124, v192
	v_fmac_f32_e32 v136, v128, v195
	v_fma_f32 v80, v123, v191, -v80
	v_add_f32_e32 v135, v135, v136
	s_waitcnt vmcnt(14)
	v_mul_f32_e32 v136, v129, v198
	v_add_f32_e32 v79, v79, v80
	v_mul_f32_e32 v80, v126, v194
	v_fmac_f32_e32 v136, v130, v197
	v_fma_f32 v80, v125, v193, -v80
	v_add_f32_e32 v135, v135, v136
	s_waitcnt vmcnt(12) lgkmcnt(0)
	v_mul_f32_e32 v136, v131, v200
	v_add_f32_e32 v79, v79, v80
	v_mul_f32_e32 v80, v128, v196
	v_fmac_f32_e32 v136, v132, v199
	v_fma_f32 v80, v127, v195, -v80
	v_add_f32_e32 v139, v135, v136
	ds_read2_b64 v[135:138], v78 offset0:71 offset1:72
	v_add_f32_e32 v79, v79, v80
	v_mul_f32_e32 v80, v130, v198
	v_fma_f32 v80, v129, v197, -v80
	v_add_f32_e32 v79, v79, v80
	v_mul_f32_e32 v80, v132, v200
	s_waitcnt vmcnt(10)
	v_mul_f32_e32 v140, v133, v202
	v_fma_f32 v80, v131, v199, -v80
	v_fmac_f32_e32 v140, v134, v201
	v_add_f32_e32 v79, v79, v80
	v_mul_f32_e32 v80, v134, v202
	v_add_f32_e32 v143, v139, v140
	ds_read2_b64 v[139:142], v78 offset0:73 offset1:74
	s_waitcnt vmcnt(8) lgkmcnt(1)
	v_mul_f32_e32 v144, v135, v204
	v_fma_f32 v80, v133, v201, -v80
	v_fmac_f32_e32 v144, v136, v203
	v_add_f32_e32 v79, v79, v80
	v_mul_f32_e32 v80, v136, v204
	v_add_f32_e32 v143, v143, v144
	s_waitcnt vmcnt(7)
	v_mul_f32_e32 v144, v137, v205
	v_fma_f32 v80, v135, v203, -v80
	s_waitcnt vmcnt(6)
	v_fmac_f32_e32 v144, v138, v206
	v_add_f32_e32 v79, v79, v80
	v_mul_f32_e32 v80, v138, v205
	v_add_f32_e32 v213, v143, v144
	ds_read_b64 v[143:144], v78 offset:600
	v_fma_f32 v80, v137, v206, -v80
	v_add_f32_e32 v79, v79, v80
	s_waitcnt vmcnt(4) lgkmcnt(1)
	v_mul_f32_e32 v80, v140, v208
	v_mul_f32_e32 v214, v139, v208
	v_fma_f32 v80, v139, v207, -v80
	v_fmac_f32_e32 v214, v140, v207
	v_add_f32_e32 v79, v79, v80
	s_waitcnt vmcnt(3)
	v_mul_f32_e32 v80, v142, v209
	v_add_f32_e32 v213, v213, v214
	v_mul_f32_e32 v214, v141, v209
	s_waitcnt vmcnt(2)
	v_fma_f32 v80, v141, v210, -v80
	v_fmac_f32_e32 v214, v142, v210
	v_add_f32_e32 v79, v79, v80
	s_waitcnt vmcnt(0) lgkmcnt(0)
	v_mul_f32_e32 v80, v144, v212
	v_add_f32_e32 v213, v213, v214
	v_mul_f32_e32 v214, v143, v212
	v_fma_f32 v80, v143, v211, -v80
	v_fmac_f32_e32 v214, v144, v211
	v_add_f32_e32 v79, v79, v80
	v_add_f32_e32 v213, v213, v214
	v_sub_f32_e32 v79, v164, v79
	v_sub_f32_e32 v80, v165, v213
	buffer_store_dword v79, off, s[0:3], 0 offset:32
	buffer_store_dword v80, off, s[0:3], 0 offset:36
	s_and_saveexec_b64 s[4:5], vcc
	s_cbranch_execz .LBB37_235
; %bb.234:
	buffer_load_dword v79, off, s[0:3], 0 offset:24
	buffer_load_dword v80, off, s[0:3], 0 offset:28
	s_waitcnt vmcnt(0)
	ds_write_b64 v77, v[79:80]
	buffer_store_dword v78, off, s[0:3], 0 offset:24
	buffer_store_dword v78, off, s[0:3], 0 offset:28
.LBB37_235:
	s_or_b64 exec, exec, s[4:5]
	s_waitcnt lgkmcnt(0)
	; wave barrier
	buffer_load_dword v147, off, s[0:3], 0 offset:36
	buffer_load_dword v148, off, s[0:3], 0 offset:44
	buffer_load_dword v149, off, s[0:3], 0 offset:52
	buffer_load_dword v150, off, s[0:3], 0 offset:60
	buffer_load_dword v151, off, s[0:3], 0 offset:68
	buffer_load_dword v152, off, s[0:3], 0 offset:76
	buffer_load_dword v153, off, s[0:3], 0 offset:84
	buffer_load_dword v154, off, s[0:3], 0 offset:92
	buffer_load_dword v155, off, s[0:3], 0 offset:32
	buffer_load_dword v156, off, s[0:3], 0 offset:40
	buffer_load_dword v157, off, s[0:3], 0 offset:48
	buffer_load_dword v158, off, s[0:3], 0 offset:56
	buffer_load_dword v159, off, s[0:3], 0 offset:64
	buffer_load_dword v160, off, s[0:3], 0 offset:72
	buffer_load_dword v161, off, s[0:3], 0 offset:80
	buffer_load_dword v162, off, s[0:3], 0 offset:88
	buffer_load_dword v163, off, s[0:3], 0 offset:100
	buffer_load_dword v164, off, s[0:3], 0 offset:96
	buffer_load_dword v165, off, s[0:3], 0 offset:108
	buffer_load_dword v166, off, s[0:3], 0 offset:104
	buffer_load_dword v167, off, s[0:3], 0 offset:24
	buffer_load_dword v168, off, s[0:3], 0 offset:28
	buffer_load_dword v169, off, s[0:3], 0 offset:116
	buffer_load_dword v170, off, s[0:3], 0 offset:112
	ds_read_b128 v[79:82], v78 offset:336
	ds_read_b128 v[83:86], v78 offset:352
	;; [unrolled: 1-line block ×6, first 2 shown]
	buffer_load_dword v171, off, s[0:3], 0 offset:124
	buffer_load_dword v172, off, s[0:3], 0 offset:120
	;; [unrolled: 1-line block ×46, first 2 shown]
	v_cmp_lt_u32_e32 vcc, 2, v0
	s_waitcnt vmcnt(62) lgkmcnt(5)
	v_mul_f32_e32 v103, v79, v147
	v_mul_f32_e32 v104, v81, v148
	s_waitcnt lgkmcnt(4)
	v_mul_f32_e32 v105, v83, v149
	v_mul_f32_e32 v106, v85, v150
	s_waitcnt lgkmcnt(3)
	;; [unrolled: 3-line block ×3, first 2 shown]
	v_mul_f32_e32 v109, v91, v153
	v_mul_f32_e32 v110, v93, v154
	s_waitcnt vmcnt(61)
	v_fmac_f32_e32 v103, v80, v155
	s_waitcnt vmcnt(60)
	v_fmac_f32_e32 v104, v82, v156
	v_add_f32_e32 v103, 0, v103
	s_waitcnt vmcnt(59)
	v_fmac_f32_e32 v105, v84, v157
	v_add_f32_e32 v103, v103, v104
	;; [unrolled: 3-line block ×7, first 2 shown]
	s_waitcnt vmcnt(53) lgkmcnt(1)
	v_mul_f32_e32 v104, v95, v163
	v_add_f32_e32 v103, v103, v110
	s_waitcnt vmcnt(52)
	v_fmac_f32_e32 v104, v96, v164
	v_mul_f32_e32 v80, v80, v147
	v_add_f32_e32 v103, v103, v104
	s_waitcnt vmcnt(51)
	v_mul_f32_e32 v104, v97, v165
	v_fma_f32 v79, v79, v155, -v80
	v_mul_f32_e32 v80, v82, v148
	s_waitcnt vmcnt(50)
	v_fmac_f32_e32 v104, v98, v166
	v_add_f32_e32 v79, 0, v79
	v_fma_f32 v80, v81, v156, -v80
	v_add_f32_e32 v103, v103, v104
	s_waitcnt vmcnt(47) lgkmcnt(0)
	v_mul_f32_e32 v104, v99, v169
	v_add_f32_e32 v79, v79, v80
	v_mul_f32_e32 v80, v84, v149
	s_waitcnt vmcnt(46)
	v_fmac_f32_e32 v104, v100, v170
	v_fma_f32 v80, v83, v157, -v80
	v_add_f32_e32 v107, v103, v104
	ds_read_b128 v[103:106], v78 offset:432
	v_add_f32_e32 v79, v79, v80
	v_mul_f32_e32 v80, v86, v150
	v_fma_f32 v80, v85, v158, -v80
	s_waitcnt vmcnt(45)
	v_mul_f32_e32 v108, v101, v171
	v_add_f32_e32 v79, v79, v80
	v_mul_f32_e32 v80, v88, v151
	s_waitcnt vmcnt(44)
	v_fmac_f32_e32 v108, v102, v172
	v_fma_f32 v80, v87, v159, -v80
	v_add_f32_e32 v111, v107, v108
	ds_read_b128 v[107:110], v78 offset:448
	v_add_f32_e32 v79, v79, v80
	v_mul_f32_e32 v80, v90, v152
	s_waitcnt vmcnt(42) lgkmcnt(1)
	v_mul_f32_e32 v112, v103, v174
	v_fma_f32 v80, v89, v160, -v80
	v_fmac_f32_e32 v112, v104, v173
	v_add_f32_e32 v79, v79, v80
	v_mul_f32_e32 v80, v92, v153
	v_add_f32_e32 v111, v111, v112
	s_waitcnt vmcnt(40)
	v_mul_f32_e32 v112, v105, v176
	v_fma_f32 v80, v91, v161, -v80
	v_fmac_f32_e32 v112, v106, v175
	v_add_f32_e32 v79, v79, v80
	v_mul_f32_e32 v80, v94, v154
	v_add_f32_e32 v111, v111, v112
	s_waitcnt vmcnt(38) lgkmcnt(0)
	v_mul_f32_e32 v112, v107, v178
	v_fma_f32 v80, v93, v162, -v80
	v_fmac_f32_e32 v112, v108, v177
	v_add_f32_e32 v79, v79, v80
	v_mul_f32_e32 v80, v96, v163
	v_add_f32_e32 v115, v111, v112
	ds_read_b128 v[111:114], v78 offset:464
	v_fma_f32 v80, v95, v164, -v80
	v_add_f32_e32 v79, v79, v80
	v_mul_f32_e32 v80, v98, v165
	s_waitcnt vmcnt(36)
	v_mul_f32_e32 v116, v109, v180
	v_fma_f32 v80, v97, v166, -v80
	v_fmac_f32_e32 v116, v110, v179
	v_add_f32_e32 v79, v79, v80
	v_mul_f32_e32 v80, v100, v169
	v_add_f32_e32 v119, v115, v116
	ds_read_b128 v[115:118], v78 offset:480
	v_fma_f32 v80, v99, v170, -v80
	s_waitcnt vmcnt(34) lgkmcnt(1)
	v_mul_f32_e32 v120, v111, v182
	v_add_f32_e32 v79, v79, v80
	v_mul_f32_e32 v80, v102, v171
	v_fmac_f32_e32 v120, v112, v181
	v_fma_f32 v80, v101, v172, -v80
	v_add_f32_e32 v119, v119, v120
	s_waitcnt vmcnt(32)
	v_mul_f32_e32 v120, v113, v184
	v_add_f32_e32 v79, v79, v80
	v_mul_f32_e32 v80, v104, v174
	v_fmac_f32_e32 v120, v114, v183
	v_fma_f32 v80, v103, v173, -v80
	v_add_f32_e32 v119, v119, v120
	s_waitcnt vmcnt(30) lgkmcnt(0)
	v_mul_f32_e32 v120, v115, v186
	v_add_f32_e32 v79, v79, v80
	v_mul_f32_e32 v80, v106, v176
	v_fmac_f32_e32 v120, v116, v185
	v_fma_f32 v80, v105, v175, -v80
	v_add_f32_e32 v123, v119, v120
	ds_read_b128 v[119:122], v78 offset:496
	v_add_f32_e32 v79, v79, v80
	v_mul_f32_e32 v80, v108, v178
	v_fma_f32 v80, v107, v177, -v80
	s_waitcnt vmcnt(28)
	v_mul_f32_e32 v124, v117, v188
	v_add_f32_e32 v79, v79, v80
	v_mul_f32_e32 v80, v110, v180
	v_fmac_f32_e32 v124, v118, v187
	v_fma_f32 v80, v109, v179, -v80
	v_add_f32_e32 v127, v123, v124
	ds_read_b128 v[123:126], v78 offset:512
	v_add_f32_e32 v79, v79, v80
	v_mul_f32_e32 v80, v112, v182
	s_waitcnt vmcnt(26) lgkmcnt(1)
	v_mul_f32_e32 v128, v119, v190
	v_fma_f32 v80, v111, v181, -v80
	v_fmac_f32_e32 v128, v120, v189
	v_add_f32_e32 v79, v79, v80
	v_mul_f32_e32 v80, v114, v184
	v_add_f32_e32 v127, v127, v128
	s_waitcnt vmcnt(24)
	v_mul_f32_e32 v128, v121, v192
	v_fma_f32 v80, v113, v183, -v80
	v_fmac_f32_e32 v128, v122, v191
	v_add_f32_e32 v79, v79, v80
	v_mul_f32_e32 v80, v116, v186
	v_add_f32_e32 v127, v127, v128
	s_waitcnt vmcnt(22) lgkmcnt(0)
	v_mul_f32_e32 v128, v123, v194
	v_fma_f32 v80, v115, v185, -v80
	v_fmac_f32_e32 v128, v124, v193
	v_add_f32_e32 v79, v79, v80
	v_mul_f32_e32 v80, v118, v188
	v_add_f32_e32 v131, v127, v128
	ds_read_b128 v[127:130], v78 offset:528
	v_fma_f32 v80, v117, v187, -v80
	v_add_f32_e32 v79, v79, v80
	v_mul_f32_e32 v80, v120, v190
	s_waitcnt vmcnt(20)
	v_mul_f32_e32 v132, v125, v196
	v_fma_f32 v80, v119, v189, -v80
	v_fmac_f32_e32 v132, v126, v195
	v_add_f32_e32 v79, v79, v80
	v_mul_f32_e32 v80, v122, v192
	v_add_f32_e32 v135, v131, v132
	ds_read_b128 v[131:134], v78 offset:544
	v_fma_f32 v80, v121, v191, -v80
	s_waitcnt vmcnt(18) lgkmcnt(1)
	v_mul_f32_e32 v136, v127, v198
	v_add_f32_e32 v79, v79, v80
	v_mul_f32_e32 v80, v124, v194
	v_fmac_f32_e32 v136, v128, v197
	v_fma_f32 v80, v123, v193, -v80
	v_add_f32_e32 v135, v135, v136
	s_waitcnt vmcnt(16)
	v_mul_f32_e32 v136, v129, v200
	v_add_f32_e32 v79, v79, v80
	v_mul_f32_e32 v80, v126, v196
	v_fmac_f32_e32 v136, v130, v199
	v_fma_f32 v80, v125, v195, -v80
	v_add_f32_e32 v135, v135, v136
	s_waitcnt vmcnt(14) lgkmcnt(0)
	v_mul_f32_e32 v136, v131, v202
	v_add_f32_e32 v79, v79, v80
	v_mul_f32_e32 v80, v128, v198
	v_fmac_f32_e32 v136, v132, v201
	v_fma_f32 v80, v127, v197, -v80
	v_add_f32_e32 v139, v135, v136
	ds_read_b128 v[135:138], v78 offset:560
	v_add_f32_e32 v79, v79, v80
	v_mul_f32_e32 v80, v130, v200
	v_fma_f32 v80, v129, v199, -v80
	v_add_f32_e32 v79, v79, v80
	v_mul_f32_e32 v80, v132, v202
	s_waitcnt vmcnt(12)
	v_mul_f32_e32 v140, v133, v204
	v_fma_f32 v80, v131, v201, -v80
	v_fmac_f32_e32 v140, v134, v203
	v_add_f32_e32 v79, v79, v80
	v_mul_f32_e32 v80, v134, v204
	v_add_f32_e32 v143, v139, v140
	ds_read_b128 v[139:142], v78 offset:576
	s_waitcnt vmcnt(10) lgkmcnt(1)
	v_mul_f32_e32 v144, v135, v206
	v_fma_f32 v80, v133, v203, -v80
	v_fmac_f32_e32 v144, v136, v205
	v_add_f32_e32 v79, v79, v80
	v_mul_f32_e32 v80, v136, v206
	v_add_f32_e32 v143, v143, v144
	s_waitcnt vmcnt(9)
	v_mul_f32_e32 v144, v137, v207
	v_fma_f32 v80, v135, v205, -v80
	s_waitcnt vmcnt(8)
	v_fmac_f32_e32 v144, v138, v208
	v_add_f32_e32 v79, v79, v80
	v_mul_f32_e32 v80, v138, v207
	v_add_f32_e32 v217, v143, v144
	ds_read_b128 v[143:146], v78 offset:592
	v_fma_f32 v80, v137, v208, -v80
	v_add_f32_e32 v79, v79, v80
	s_waitcnt vmcnt(6) lgkmcnt(1)
	v_mul_f32_e32 v80, v140, v210
	v_mul_f32_e32 v218, v139, v210
	v_fma_f32 v80, v139, v209, -v80
	v_fmac_f32_e32 v218, v140, v209
	v_add_f32_e32 v79, v79, v80
	s_waitcnt vmcnt(4)
	v_mul_f32_e32 v80, v142, v212
	v_add_f32_e32 v78, v217, v218
	v_mul_f32_e32 v217, v141, v212
	v_fma_f32 v80, v141, v211, -v80
	v_fmac_f32_e32 v217, v142, v211
	v_add_f32_e32 v79, v79, v80
	s_waitcnt vmcnt(3) lgkmcnt(0)
	v_mul_f32_e32 v80, v144, v213
	v_add_f32_e32 v78, v78, v217
	v_mul_f32_e32 v217, v143, v213
	s_waitcnt vmcnt(2)
	v_fma_f32 v80, v143, v214, -v80
	v_fmac_f32_e32 v217, v144, v214
	v_add_f32_e32 v79, v79, v80
	s_waitcnt vmcnt(0)
	v_mul_f32_e32 v80, v146, v216
	v_add_f32_e32 v78, v78, v217
	v_mul_f32_e32 v217, v145, v216
	v_fma_f32 v80, v145, v215, -v80
	v_fmac_f32_e32 v217, v146, v215
	v_add_f32_e32 v79, v79, v80
	v_add_f32_e32 v78, v78, v217
	v_sub_f32_e32 v79, v167, v79
	v_sub_f32_e32 v78, v168, v78
	buffer_store_dword v79, off, s[0:3], 0 offset:24
	buffer_store_dword v78, off, s[0:3], 0 offset:28
	s_and_saveexec_b64 s[4:5], vcc
	s_cbranch_execz .LBB37_237
; %bb.236:
	buffer_load_dword v78, off, s[0:3], 0 offset:16
	buffer_load_dword v79, off, s[0:3], 0 offset:20
	v_mov_b32_e32 v80, 0
	buffer_store_dword v80, off, s[0:3], 0 offset:16
	buffer_store_dword v80, off, s[0:3], 0 offset:20
	s_waitcnt vmcnt(2)
	ds_write_b64 v77, v[78:79]
.LBB37_237:
	s_or_b64 exec, exec, s[4:5]
	s_waitcnt lgkmcnt(0)
	; wave barrier
	buffer_load_dword v149, off, s[0:3], 0 offset:28
	buffer_load_dword v150, off, s[0:3], 0 offset:36
	;; [unrolled: 1-line block ×56, first 2 shown]
	v_mov_b32_e32 v78, 0
	ds_read2_b64 v[79:82], v78 offset0:41 offset1:42
	ds_read2_b64 v[83:86], v78 offset0:43 offset1:44
	;; [unrolled: 1-line block ×6, first 2 shown]
	buffer_load_dword v205, off, s[0:3], 0 offset:240
	buffer_load_dword v206, off, s[0:3], 0 offset:244
	;; [unrolled: 1-line block ×12, first 2 shown]
	v_cmp_lt_u32_e32 vcc, 1, v0
	s_waitcnt vmcnt(62) lgkmcnt(5)
	v_mul_f32_e32 v103, v79, v149
	v_mul_f32_e32 v104, v81, v150
	s_waitcnt lgkmcnt(4)
	v_mul_f32_e32 v105, v83, v151
	v_mul_f32_e32 v106, v85, v152
	s_waitcnt lgkmcnt(3)
	v_mul_f32_e32 v107, v87, v153
	v_mul_f32_e32 v108, v89, v154
	s_waitcnt vmcnt(61) lgkmcnt(2)
	v_mul_f32_e32 v109, v91, v155
	s_waitcnt vmcnt(60)
	v_mul_f32_e32 v110, v93, v156
	s_waitcnt vmcnt(59) lgkmcnt(1)
	v_mul_f32_e32 v111, v95, v157
	s_waitcnt vmcnt(58)
	v_fmac_f32_e32 v103, v80, v158
	s_waitcnt vmcnt(57)
	v_fmac_f32_e32 v104, v82, v159
	v_add_f32_e32 v103, 0, v103
	s_waitcnt vmcnt(56)
	v_fmac_f32_e32 v105, v84, v160
	v_add_f32_e32 v103, v103, v104
	;; [unrolled: 3-line block ×7, first 2 shown]
	v_add_f32_e32 v103, v103, v110
	s_waitcnt vmcnt(50)
	v_fmac_f32_e32 v111, v96, v166
	s_waitcnt vmcnt(49)
	v_mul_f32_e32 v104, v97, v167
	v_add_f32_e32 v103, v103, v111
	s_waitcnt vmcnt(48)
	v_fmac_f32_e32 v104, v98, v168
	v_add_f32_e32 v103, v103, v104
	s_waitcnt vmcnt(47) lgkmcnt(0)
	v_mul_f32_e32 v104, v99, v169
	s_waitcnt vmcnt(44)
	v_fmac_f32_e32 v104, v100, v172
	v_add_f32_e32 v107, v103, v104
	ds_read2_b64 v[103:106], v78 offset0:53 offset1:54
	buffer_load_dword v217, off, s[0:3], 0 offset:292
	buffer_load_dword v218, off, s[0:3], 0 offset:288
	;; [unrolled: 1-line block ×4, first 2 shown]
	v_mul_f32_e32 v80, v80, v149
	v_fma_f32 v79, v79, v158, -v80
	v_mul_f32_e32 v80, v82, v150
	v_add_f32_e32 v79, 0, v79
	v_fma_f32 v80, v81, v159, -v80
	v_add_f32_e32 v79, v79, v80
	v_mul_f32_e32 v80, v84, v151
	v_fma_f32 v80, v83, v160, -v80
	s_waitcnt vmcnt(46)
	v_mul_f32_e32 v108, v101, v174
	v_add_f32_e32 v79, v79, v80
	v_mul_f32_e32 v80, v86, v152
	v_fmac_f32_e32 v108, v102, v173
	v_fma_f32 v80, v85, v161, -v80
	v_add_f32_e32 v111, v107, v108
	ds_read2_b64 v[107:110], v78 offset0:55 offset1:56
	v_add_f32_e32 v79, v79, v80
	v_mul_f32_e32 v80, v88, v153
	s_waitcnt vmcnt(44) lgkmcnt(1)
	v_mul_f32_e32 v112, v103, v176
	v_fma_f32 v80, v87, v162, -v80
	v_fmac_f32_e32 v112, v104, v175
	v_add_f32_e32 v79, v79, v80
	v_mul_f32_e32 v80, v90, v154
	v_add_f32_e32 v111, v111, v112
	s_waitcnt vmcnt(42)
	v_mul_f32_e32 v112, v105, v178
	v_fma_f32 v80, v89, v163, -v80
	v_fmac_f32_e32 v112, v106, v177
	v_add_f32_e32 v79, v79, v80
	v_mul_f32_e32 v80, v92, v155
	v_add_f32_e32 v111, v111, v112
	s_waitcnt vmcnt(40) lgkmcnt(0)
	v_mul_f32_e32 v112, v107, v180
	v_fma_f32 v80, v91, v164, -v80
	v_fmac_f32_e32 v112, v108, v179
	v_add_f32_e32 v79, v79, v80
	v_mul_f32_e32 v80, v94, v156
	v_add_f32_e32 v115, v111, v112
	ds_read2_b64 v[111:114], v78 offset0:57 offset1:58
	v_fma_f32 v80, v93, v165, -v80
	v_add_f32_e32 v79, v79, v80
	v_mul_f32_e32 v80, v96, v157
	s_waitcnt vmcnt(38)
	v_mul_f32_e32 v116, v109, v182
	v_fma_f32 v80, v95, v166, -v80
	v_fmac_f32_e32 v116, v110, v181
	v_add_f32_e32 v79, v79, v80
	v_mul_f32_e32 v80, v98, v167
	v_add_f32_e32 v119, v115, v116
	ds_read2_b64 v[115:118], v78 offset0:59 offset1:60
	v_fma_f32 v80, v97, v168, -v80
	s_waitcnt vmcnt(36) lgkmcnt(1)
	v_mul_f32_e32 v120, v111, v184
	v_add_f32_e32 v79, v79, v80
	v_mul_f32_e32 v80, v100, v169
	v_fmac_f32_e32 v120, v112, v183
	v_fma_f32 v80, v99, v172, -v80
	v_add_f32_e32 v119, v119, v120
	s_waitcnt vmcnt(34)
	v_mul_f32_e32 v120, v113, v186
	v_add_f32_e32 v79, v79, v80
	v_mul_f32_e32 v80, v102, v174
	v_fmac_f32_e32 v120, v114, v185
	v_fma_f32 v80, v101, v173, -v80
	v_add_f32_e32 v119, v119, v120
	s_waitcnt vmcnt(32) lgkmcnt(0)
	v_mul_f32_e32 v120, v115, v188
	v_add_f32_e32 v79, v79, v80
	v_mul_f32_e32 v80, v104, v176
	v_fmac_f32_e32 v120, v116, v187
	v_fma_f32 v80, v103, v175, -v80
	v_add_f32_e32 v123, v119, v120
	ds_read2_b64 v[119:122], v78 offset0:61 offset1:62
	v_add_f32_e32 v79, v79, v80
	v_mul_f32_e32 v80, v106, v178
	v_fma_f32 v80, v105, v177, -v80
	s_waitcnt vmcnt(30)
	v_mul_f32_e32 v124, v117, v190
	v_add_f32_e32 v79, v79, v80
	v_mul_f32_e32 v80, v108, v180
	v_fmac_f32_e32 v124, v118, v189
	v_fma_f32 v80, v107, v179, -v80
	v_add_f32_e32 v127, v123, v124
	ds_read2_b64 v[123:126], v78 offset0:63 offset1:64
	v_add_f32_e32 v79, v79, v80
	v_mul_f32_e32 v80, v110, v182
	s_waitcnt vmcnt(28) lgkmcnt(1)
	v_mul_f32_e32 v128, v119, v192
	v_fma_f32 v80, v109, v181, -v80
	v_fmac_f32_e32 v128, v120, v191
	v_add_f32_e32 v79, v79, v80
	v_mul_f32_e32 v80, v112, v184
	v_add_f32_e32 v127, v127, v128
	s_waitcnt vmcnt(26)
	v_mul_f32_e32 v128, v121, v194
	v_fma_f32 v80, v111, v183, -v80
	v_fmac_f32_e32 v128, v122, v193
	v_add_f32_e32 v79, v79, v80
	v_mul_f32_e32 v80, v114, v186
	v_add_f32_e32 v127, v127, v128
	s_waitcnt vmcnt(24) lgkmcnt(0)
	v_mul_f32_e32 v128, v123, v196
	v_fma_f32 v80, v113, v185, -v80
	v_fmac_f32_e32 v128, v124, v195
	v_add_f32_e32 v79, v79, v80
	v_mul_f32_e32 v80, v116, v188
	v_add_f32_e32 v131, v127, v128
	ds_read2_b64 v[127:130], v78 offset0:65 offset1:66
	v_fma_f32 v80, v115, v187, -v80
	v_add_f32_e32 v79, v79, v80
	v_mul_f32_e32 v80, v118, v190
	s_waitcnt vmcnt(22)
	v_mul_f32_e32 v132, v125, v198
	v_fma_f32 v80, v117, v189, -v80
	v_fmac_f32_e32 v132, v126, v197
	v_add_f32_e32 v79, v79, v80
	v_mul_f32_e32 v80, v120, v192
	v_add_f32_e32 v135, v131, v132
	ds_read2_b64 v[131:134], v78 offset0:67 offset1:68
	v_fma_f32 v80, v119, v191, -v80
	s_waitcnt vmcnt(20) lgkmcnt(1)
	v_mul_f32_e32 v136, v127, v200
	v_add_f32_e32 v79, v79, v80
	v_mul_f32_e32 v80, v122, v194
	v_fmac_f32_e32 v136, v128, v199
	v_fma_f32 v80, v121, v193, -v80
	v_add_f32_e32 v135, v135, v136
	s_waitcnt vmcnt(18)
	v_mul_f32_e32 v136, v129, v202
	v_add_f32_e32 v79, v79, v80
	v_mul_f32_e32 v80, v124, v196
	v_fmac_f32_e32 v136, v130, v201
	v_fma_f32 v80, v123, v195, -v80
	v_add_f32_e32 v135, v135, v136
	s_waitcnt vmcnt(16) lgkmcnt(0)
	v_mul_f32_e32 v136, v131, v204
	v_add_f32_e32 v79, v79, v80
	v_mul_f32_e32 v80, v126, v198
	v_fmac_f32_e32 v136, v132, v203
	v_fma_f32 v80, v125, v197, -v80
	v_add_f32_e32 v139, v135, v136
	ds_read2_b64 v[135:138], v78 offset0:69 offset1:70
	v_add_f32_e32 v79, v79, v80
	v_mul_f32_e32 v80, v128, v200
	v_fma_f32 v80, v127, v199, -v80
	s_waitcnt vmcnt(14)
	v_mul_f32_e32 v140, v133, v206
	v_add_f32_e32 v79, v79, v80
	v_mul_f32_e32 v80, v130, v202
	v_fmac_f32_e32 v140, v134, v205
	v_fma_f32 v80, v129, v201, -v80
	v_add_f32_e32 v143, v139, v140
	ds_read2_b64 v[139:142], v78 offset0:71 offset1:72
	v_add_f32_e32 v79, v79, v80
	v_mul_f32_e32 v80, v132, v204
	s_waitcnt vmcnt(12) lgkmcnt(1)
	v_mul_f32_e32 v144, v135, v208
	v_fma_f32 v80, v131, v203, -v80
	v_fmac_f32_e32 v144, v136, v207
	v_add_f32_e32 v79, v79, v80
	v_mul_f32_e32 v80, v134, v206
	v_add_f32_e32 v143, v143, v144
	s_waitcnt vmcnt(11)
	v_mul_f32_e32 v144, v137, v209
	v_fma_f32 v80, v133, v205, -v80
	s_waitcnt vmcnt(10)
	v_fmac_f32_e32 v144, v138, v210
	v_add_f32_e32 v79, v79, v80
	v_mul_f32_e32 v80, v136, v208
	v_add_f32_e32 v143, v143, v144
	s_waitcnt vmcnt(8) lgkmcnt(0)
	v_mul_f32_e32 v144, v139, v212
	v_fma_f32 v80, v135, v207, -v80
	v_fmac_f32_e32 v144, v140, v211
	v_add_f32_e32 v79, v79, v80
	v_mul_f32_e32 v80, v138, v209
	v_add_f32_e32 v147, v143, v144
	ds_read2_b64 v[143:146], v78 offset0:73 offset1:74
	v_fma_f32 v80, v137, v210, -v80
	v_add_f32_e32 v79, v79, v80
	v_mul_f32_e32 v80, v140, v212
	s_waitcnt vmcnt(6)
	v_mul_f32_e32 v148, v141, v214
	v_fma_f32 v80, v139, v211, -v80
	v_fmac_f32_e32 v148, v142, v213
	v_add_f32_e32 v79, v79, v80
	v_mul_f32_e32 v80, v142, v214
	v_add_f32_e32 v221, v147, v148
	ds_read_b64 v[147:148], v78 offset:600
	v_fma_f32 v80, v141, v213, -v80
	v_add_f32_e32 v79, v79, v80
	s_waitcnt vmcnt(4) lgkmcnt(1)
	v_mul_f32_e32 v80, v144, v216
	v_mul_f32_e32 v222, v143, v216
	v_fma_f32 v80, v143, v215, -v80
	v_fmac_f32_e32 v222, v144, v215
	v_add_f32_e32 v79, v79, v80
	s_waitcnt vmcnt(3)
	v_mul_f32_e32 v80, v146, v217
	v_add_f32_e32 v221, v221, v222
	v_mul_f32_e32 v222, v145, v217
	s_waitcnt vmcnt(2)
	v_fma_f32 v80, v145, v218, -v80
	v_fmac_f32_e32 v222, v146, v218
	v_add_f32_e32 v79, v79, v80
	s_waitcnt vmcnt(0) lgkmcnt(0)
	v_mul_f32_e32 v80, v148, v220
	v_add_f32_e32 v221, v221, v222
	v_mul_f32_e32 v222, v147, v220
	v_fma_f32 v80, v147, v219, -v80
	v_fmac_f32_e32 v222, v148, v219
	v_add_f32_e32 v79, v79, v80
	v_add_f32_e32 v221, v221, v222
	v_sub_f32_e32 v79, v170, v79
	v_sub_f32_e32 v80, v171, v221
	buffer_store_dword v79, off, s[0:3], 0 offset:16
	buffer_store_dword v80, off, s[0:3], 0 offset:20
	s_and_saveexec_b64 s[4:5], vcc
	s_cbranch_execz .LBB37_239
; %bb.238:
	buffer_load_dword v79, off, s[0:3], 0 offset:8
	buffer_load_dword v80, off, s[0:3], 0 offset:12
	s_waitcnt vmcnt(0)
	ds_write_b64 v77, v[79:80]
	buffer_store_dword v78, off, s[0:3], 0 offset:8
	buffer_store_dword v78, off, s[0:3], 0 offset:12
.LBB37_239:
	s_or_b64 exec, exec, s[4:5]
	s_waitcnt lgkmcnt(0)
	; wave barrier
	buffer_load_dword v151, off, s[0:3], 0 offset:20
	buffer_load_dword v152, off, s[0:3], 0 offset:28
	;; [unrolled: 1-line block ×26, first 2 shown]
	ds_read_b128 v[79:82], v78 offset:320
	ds_read_b128 v[83:86], v78 offset:336
	;; [unrolled: 1-line block ×6, first 2 shown]
	buffer_load_dword v177, off, s[0:3], 0 offset:112
	buffer_load_dword v178, off, s[0:3], 0 offset:116
	;; [unrolled: 1-line block ×42, first 2 shown]
	v_cmp_ne_u32_e32 vcc, 0, v0
	s_waitcnt vmcnt(62) lgkmcnt(5)
	v_mul_f32_e32 v103, v79, v151
	v_mul_f32_e32 v104, v81, v152
	s_waitcnt lgkmcnt(4)
	v_mul_f32_e32 v105, v83, v153
	v_mul_f32_e32 v106, v85, v154
	s_waitcnt lgkmcnt(3)
	v_mul_f32_e32 v107, v87, v155
	v_mul_f32_e32 v108, v89, v156
	s_waitcnt vmcnt(61) lgkmcnt(2)
	v_mul_f32_e32 v109, v91, v157
	s_waitcnt vmcnt(60)
	v_mul_f32_e32 v110, v93, v158
	s_waitcnt vmcnt(59) lgkmcnt(1)
	v_mul_f32_e32 v111, v95, v159
	s_waitcnt vmcnt(58)
	v_fmac_f32_e32 v103, v80, v160
	s_waitcnt vmcnt(57)
	v_fmac_f32_e32 v104, v82, v161
	v_add_f32_e32 v103, 0, v103
	s_waitcnt vmcnt(56)
	v_fmac_f32_e32 v105, v84, v162
	v_add_f32_e32 v103, v103, v104
	;; [unrolled: 3-line block ×8, first 2 shown]
	s_waitcnt vmcnt(49)
	v_mul_f32_e32 v104, v97, v169
	v_add_f32_e32 v103, v103, v111
	s_waitcnt vmcnt(48)
	v_fmac_f32_e32 v104, v98, v170
	v_add_f32_e32 v103, v103, v104
	s_waitcnt vmcnt(47) lgkmcnt(0)
	v_mul_f32_e32 v104, v99, v171
	s_waitcnt vmcnt(46)
	v_fmac_f32_e32 v104, v100, v172
	v_add_f32_e32 v103, v103, v104
	s_waitcnt vmcnt(42)
	v_mul_f32_e32 v104, v101, v176
	v_fmac_f32_e32 v104, v102, v175
	v_add_f32_e32 v111, v103, v104
	ds_read_b128 v[103:106], v78 offset:416
	buffer_load_dword v219, off, s[0:3], 0 offset:284
	buffer_load_dword v220, off, s[0:3], 0 offset:280
	;; [unrolled: 1-line block ×4, first 2 shown]
	ds_read_b128 v[107:110], v78 offset:432
	buffer_load_dword v223, off, s[0:3], 0 offset:296
	buffer_load_dword v224, off, s[0:3], 0 offset:300
	v_mul_f32_e32 v80, v80, v151
	v_fma_f32 v79, v79, v160, -v80
	v_mul_f32_e32 v80, v82, v152
	v_add_f32_e32 v79, 0, v79
	v_fma_f32 v80, v81, v161, -v80
	v_add_f32_e32 v79, v79, v80
	v_mul_f32_e32 v80, v84, v153
	v_fma_f32 v80, v83, v162, -v80
	v_add_f32_e32 v79, v79, v80
	v_mul_f32_e32 v80, v86, v154
	;; [unrolled: 3-line block ×3, first 2 shown]
	s_waitcnt vmcnt(46) lgkmcnt(1)
	v_mul_f32_e32 v112, v103, v178
	v_fma_f32 v80, v87, v164, -v80
	v_fmac_f32_e32 v112, v104, v177
	v_add_f32_e32 v79, v79, v80
	v_mul_f32_e32 v80, v90, v156
	v_add_f32_e32 v111, v111, v112
	s_waitcnt vmcnt(44)
	v_mul_f32_e32 v112, v105, v180
	v_fma_f32 v80, v89, v165, -v80
	v_fmac_f32_e32 v112, v106, v179
	v_add_f32_e32 v79, v79, v80
	v_mul_f32_e32 v80, v92, v157
	v_add_f32_e32 v111, v111, v112
	s_waitcnt vmcnt(42) lgkmcnt(0)
	v_mul_f32_e32 v112, v107, v182
	v_fma_f32 v80, v91, v166, -v80
	v_fmac_f32_e32 v112, v108, v181
	v_add_f32_e32 v79, v79, v80
	v_mul_f32_e32 v80, v94, v158
	v_add_f32_e32 v115, v111, v112
	ds_read_b128 v[111:114], v78 offset:448
	v_fma_f32 v80, v93, v167, -v80
	v_add_f32_e32 v79, v79, v80
	v_mul_f32_e32 v80, v96, v159
	s_waitcnt vmcnt(40)
	v_mul_f32_e32 v116, v109, v184
	v_fma_f32 v80, v95, v168, -v80
	v_fmac_f32_e32 v116, v110, v183
	v_add_f32_e32 v79, v79, v80
	v_mul_f32_e32 v80, v98, v169
	v_add_f32_e32 v119, v115, v116
	ds_read_b128 v[115:118], v78 offset:464
	v_fma_f32 v80, v97, v170, -v80
	s_waitcnt vmcnt(38) lgkmcnt(1)
	v_mul_f32_e32 v120, v111, v186
	v_add_f32_e32 v79, v79, v80
	v_mul_f32_e32 v80, v100, v171
	v_fmac_f32_e32 v120, v112, v185
	v_fma_f32 v80, v99, v172, -v80
	v_add_f32_e32 v119, v119, v120
	s_waitcnt vmcnt(36)
	v_mul_f32_e32 v120, v113, v188
	v_add_f32_e32 v79, v79, v80
	v_mul_f32_e32 v80, v102, v176
	v_fmac_f32_e32 v120, v114, v187
	v_fma_f32 v80, v101, v175, -v80
	v_add_f32_e32 v119, v119, v120
	s_waitcnt vmcnt(34) lgkmcnt(0)
	v_mul_f32_e32 v120, v115, v190
	v_add_f32_e32 v79, v79, v80
	v_mul_f32_e32 v80, v104, v178
	v_fmac_f32_e32 v120, v116, v189
	v_fma_f32 v80, v103, v177, -v80
	v_add_f32_e32 v123, v119, v120
	ds_read_b128 v[119:122], v78 offset:480
	v_add_f32_e32 v79, v79, v80
	v_mul_f32_e32 v80, v106, v180
	v_fma_f32 v80, v105, v179, -v80
	s_waitcnt vmcnt(32)
	v_mul_f32_e32 v124, v117, v192
	v_add_f32_e32 v79, v79, v80
	v_mul_f32_e32 v80, v108, v182
	v_fmac_f32_e32 v124, v118, v191
	v_fma_f32 v80, v107, v181, -v80
	v_add_f32_e32 v127, v123, v124
	ds_read_b128 v[123:126], v78 offset:496
	v_add_f32_e32 v79, v79, v80
	v_mul_f32_e32 v80, v110, v184
	s_waitcnt vmcnt(30) lgkmcnt(1)
	v_mul_f32_e32 v128, v119, v194
	v_fma_f32 v80, v109, v183, -v80
	v_fmac_f32_e32 v128, v120, v193
	v_add_f32_e32 v79, v79, v80
	v_mul_f32_e32 v80, v112, v186
	v_add_f32_e32 v127, v127, v128
	s_waitcnt vmcnt(28)
	v_mul_f32_e32 v128, v121, v196
	v_fma_f32 v80, v111, v185, -v80
	v_fmac_f32_e32 v128, v122, v195
	v_add_f32_e32 v79, v79, v80
	v_mul_f32_e32 v80, v114, v188
	v_add_f32_e32 v127, v127, v128
	s_waitcnt vmcnt(26) lgkmcnt(0)
	v_mul_f32_e32 v128, v123, v198
	v_fma_f32 v80, v113, v187, -v80
	v_fmac_f32_e32 v128, v124, v197
	v_add_f32_e32 v79, v79, v80
	v_mul_f32_e32 v80, v116, v190
	v_add_f32_e32 v131, v127, v128
	ds_read_b128 v[127:130], v78 offset:512
	v_fma_f32 v80, v115, v189, -v80
	v_add_f32_e32 v79, v79, v80
	v_mul_f32_e32 v80, v118, v192
	s_waitcnt vmcnt(24)
	v_mul_f32_e32 v132, v125, v200
	v_fma_f32 v80, v117, v191, -v80
	v_fmac_f32_e32 v132, v126, v199
	v_add_f32_e32 v79, v79, v80
	v_mul_f32_e32 v80, v120, v194
	v_add_f32_e32 v135, v131, v132
	ds_read_b128 v[131:134], v78 offset:528
	v_fma_f32 v80, v119, v193, -v80
	s_waitcnt vmcnt(22) lgkmcnt(1)
	v_mul_f32_e32 v136, v127, v202
	v_add_f32_e32 v79, v79, v80
	v_mul_f32_e32 v80, v122, v196
	v_fmac_f32_e32 v136, v128, v201
	v_fma_f32 v80, v121, v195, -v80
	v_add_f32_e32 v135, v135, v136
	s_waitcnt vmcnt(20)
	v_mul_f32_e32 v136, v129, v204
	v_add_f32_e32 v79, v79, v80
	v_mul_f32_e32 v80, v124, v198
	v_fmac_f32_e32 v136, v130, v203
	v_fma_f32 v80, v123, v197, -v80
	v_add_f32_e32 v135, v135, v136
	s_waitcnt vmcnt(18) lgkmcnt(0)
	v_mul_f32_e32 v136, v131, v206
	v_add_f32_e32 v79, v79, v80
	v_mul_f32_e32 v80, v126, v200
	v_fmac_f32_e32 v136, v132, v205
	v_fma_f32 v80, v125, v199, -v80
	v_add_f32_e32 v139, v135, v136
	ds_read_b128 v[135:138], v78 offset:544
	v_add_f32_e32 v79, v79, v80
	v_mul_f32_e32 v80, v128, v202
	v_fma_f32 v80, v127, v201, -v80
	s_waitcnt vmcnt(16)
	v_mul_f32_e32 v140, v133, v208
	v_add_f32_e32 v79, v79, v80
	v_mul_f32_e32 v80, v130, v204
	v_fmac_f32_e32 v140, v134, v207
	v_fma_f32 v80, v129, v203, -v80
	v_add_f32_e32 v143, v139, v140
	ds_read_b128 v[139:142], v78 offset:560
	v_add_f32_e32 v79, v79, v80
	v_mul_f32_e32 v80, v132, v206
	s_waitcnt vmcnt(14) lgkmcnt(1)
	v_mul_f32_e32 v144, v135, v210
	v_fma_f32 v80, v131, v205, -v80
	v_fmac_f32_e32 v144, v136, v209
	v_add_f32_e32 v79, v79, v80
	v_mul_f32_e32 v80, v134, v208
	v_add_f32_e32 v143, v143, v144
	s_waitcnt vmcnt(13)
	v_mul_f32_e32 v144, v137, v211
	v_fma_f32 v80, v133, v207, -v80
	s_waitcnt vmcnt(12)
	v_fmac_f32_e32 v144, v138, v212
	v_add_f32_e32 v79, v79, v80
	v_mul_f32_e32 v80, v136, v210
	v_add_f32_e32 v143, v143, v144
	s_waitcnt vmcnt(10) lgkmcnt(0)
	v_mul_f32_e32 v144, v139, v214
	v_fma_f32 v80, v135, v209, -v80
	v_fmac_f32_e32 v144, v140, v213
	v_add_f32_e32 v79, v79, v80
	v_mul_f32_e32 v80, v138, v211
	v_add_f32_e32 v147, v143, v144
	ds_read_b128 v[143:146], v78 offset:576
	v_fma_f32 v80, v137, v212, -v80
	v_add_f32_e32 v79, v79, v80
	v_mul_f32_e32 v80, v140, v214
	s_waitcnt vmcnt(8)
	v_mul_f32_e32 v148, v141, v216
	v_fma_f32 v80, v139, v213, -v80
	v_fmac_f32_e32 v148, v142, v215
	v_add_f32_e32 v79, v79, v80
	v_mul_f32_e32 v80, v142, v216
	v_add_f32_e32 v225, v147, v148
	ds_read_b128 v[147:150], v78 offset:592
	v_fma_f32 v80, v141, v215, -v80
	v_add_f32_e32 v79, v79, v80
	s_waitcnt vmcnt(6) lgkmcnt(1)
	v_mul_f32_e32 v80, v144, v218
	v_mul_f32_e32 v78, v143, v218
	v_fma_f32 v80, v143, v217, -v80
	v_fmac_f32_e32 v78, v144, v217
	v_add_f32_e32 v79, v79, v80
	s_waitcnt vmcnt(5)
	v_mul_f32_e32 v80, v146, v219
	v_add_f32_e32 v78, v225, v78
	v_mul_f32_e32 v225, v145, v219
	s_waitcnt vmcnt(4)
	v_fma_f32 v80, v145, v220, -v80
	v_fmac_f32_e32 v225, v146, v220
	v_add_f32_e32 v79, v79, v80
	s_waitcnt vmcnt(2) lgkmcnt(0)
	v_mul_f32_e32 v80, v148, v222
	v_add_f32_e32 v78, v78, v225
	v_mul_f32_e32 v225, v147, v222
	v_fma_f32 v80, v147, v221, -v80
	v_fmac_f32_e32 v225, v148, v221
	v_add_f32_e32 v79, v79, v80
	s_waitcnt vmcnt(0)
	v_mul_f32_e32 v80, v150, v224
	v_add_f32_e32 v78, v78, v225
	v_mul_f32_e32 v225, v149, v224
	v_fma_f32 v80, v149, v223, -v80
	v_fmac_f32_e32 v225, v150, v223
	v_add_f32_e32 v79, v79, v80
	v_add_f32_e32 v78, v78, v225
	v_sub_f32_e32 v79, v173, v79
	v_sub_f32_e32 v78, v174, v78
	buffer_store_dword v79, off, s[0:3], 0 offset:8
	buffer_store_dword v78, off, s[0:3], 0 offset:12
	s_and_saveexec_b64 s[4:5], vcc
	s_cbranch_execz .LBB37_241
; %bb.240:
	buffer_load_dword v78, off, s[0:3], 0
	buffer_load_dword v79, off, s[0:3], 0 offset:4
	v_mov_b32_e32 v0, 0
	buffer_store_dword v0, off, s[0:3], 0
	buffer_store_dword v0, off, s[0:3], 0 offset:4
	s_waitcnt vmcnt(2)
	ds_write_b64 v77, v[78:79]
.LBB37_241:
	s_or_b64 exec, exec, s[4:5]
	s_waitcnt lgkmcnt(0)
	; wave barrier
	buffer_load_dword v151, off, s[0:3], 0 offset:12
	buffer_load_dword v152, off, s[0:3], 0 offset:20
	;; [unrolled: 1-line block ×22, first 2 shown]
	buffer_load_dword v173, off, s[0:3], 0
	buffer_load_dword v174, off, s[0:3], 0 offset:4
	buffer_load_dword v175, off, s[0:3], 0 offset:100
	;; [unrolled: 1-line block ×29, first 2 shown]
	v_mov_b32_e32 v0, 0
	ds_read2_b64 v[77:80], v0 offset0:39 offset1:40
	ds_read2_b64 v[81:84], v0 offset0:41 offset1:42
	;; [unrolled: 1-line block ×6, first 2 shown]
	buffer_load_dword v203, off, s[0:3], 0 offset:212
	buffer_load_dword v204, off, s[0:3], 0 offset:208
	;; [unrolled: 1-line block ×14, first 2 shown]
	s_and_b64 vcc, exec, s[22:23]
	s_waitcnt vmcnt(62) lgkmcnt(5)
	v_mul_f32_e32 v101, v77, v151
	v_mul_f32_e32 v102, v79, v152
	s_waitcnt lgkmcnt(4)
	v_mul_f32_e32 v103, v81, v153
	v_mul_f32_e32 v104, v83, v154
	s_waitcnt vmcnt(61) lgkmcnt(3)
	v_mul_f32_e32 v105, v85, v155
	s_waitcnt vmcnt(60)
	v_mul_f32_e32 v106, v87, v156
	s_waitcnt vmcnt(59) lgkmcnt(2)
	v_mul_f32_e32 v107, v89, v157
	s_waitcnt vmcnt(58)
	;; [unrolled: 4-line block ×3, first 2 shown]
	v_fmac_f32_e32 v101, v78, v160
	s_waitcnt vmcnt(55)
	v_fmac_f32_e32 v102, v80, v161
	v_add_f32_e32 v101, 0, v101
	s_waitcnt vmcnt(54)
	v_fmac_f32_e32 v103, v82, v162
	v_add_f32_e32 v101, v101, v102
	;; [unrolled: 3-line block ×8, first 2 shown]
	s_waitcnt vmcnt(47)
	v_mul_f32_e32 v102, v95, v169
	v_add_f32_e32 v101, v101, v109
	s_waitcnt vmcnt(46)
	v_fmac_f32_e32 v102, v96, v170
	v_add_f32_e32 v101, v101, v102
	s_waitcnt vmcnt(45) lgkmcnt(0)
	v_mul_f32_e32 v102, v97, v171
	s_waitcnt vmcnt(44)
	v_fmac_f32_e32 v102, v98, v172
	v_add_f32_e32 v105, v101, v102
	ds_read2_b64 v[101:104], v0 offset0:51 offset1:52
	buffer_load_dword v217, off, s[0:3], 0 offset:264
	buffer_load_dword v218, off, s[0:3], 0 offset:268
	s_waitcnt vmcnt(43)
	v_mul_f32_e32 v106, v99, v175
	s_waitcnt vmcnt(42)
	v_fmac_f32_e32 v106, v100, v176
	v_add_f32_e32 v109, v105, v106
	ds_read2_b64 v[105:108], v0 offset0:53 offset1:54
	buffer_load_dword v219, off, s[0:3], 0 offset:276
	buffer_load_dword v220, off, s[0:3], 0 offset:272
	;; [unrolled: 1-line block ×8, first 2 shown]
	v_mul_f32_e32 v78, v78, v151
	v_fma_f32 v77, v77, v160, -v78
	v_mul_f32_e32 v78, v80, v152
	v_add_f32_e32 v77, 0, v77
	v_fma_f32 v78, v79, v161, -v78
	v_add_f32_e32 v77, v77, v78
	v_mul_f32_e32 v78, v82, v153
	v_fma_f32 v78, v81, v162, -v78
	v_add_f32_e32 v77, v77, v78
	v_mul_f32_e32 v78, v84, v154
	v_fma_f32 v78, v83, v163, -v78
	s_waitcnt vmcnt(48) lgkmcnt(1)
	v_mul_f32_e32 v110, v101, v178
	v_add_f32_e32 v77, v77, v78
	v_mul_f32_e32 v78, v86, v155
	v_fmac_f32_e32 v110, v102, v177
	v_fma_f32 v78, v85, v164, -v78
	v_add_f32_e32 v109, v109, v110
	s_waitcnt vmcnt(46)
	v_mul_f32_e32 v110, v103, v180
	v_add_f32_e32 v77, v77, v78
	v_mul_f32_e32 v78, v88, v156
	v_fmac_f32_e32 v110, v104, v179
	v_fma_f32 v78, v87, v165, -v78
	v_add_f32_e32 v109, v109, v110
	s_waitcnt vmcnt(44) lgkmcnt(0)
	v_mul_f32_e32 v110, v105, v182
	v_add_f32_e32 v77, v77, v78
	v_mul_f32_e32 v78, v90, v157
	v_fmac_f32_e32 v110, v106, v181
	v_fma_f32 v78, v89, v166, -v78
	v_add_f32_e32 v113, v109, v110
	ds_read2_b64 v[109:112], v0 offset0:55 offset1:56
	v_add_f32_e32 v77, v77, v78
	v_mul_f32_e32 v78, v92, v158
	v_fma_f32 v78, v91, v167, -v78
	s_waitcnt vmcnt(42)
	v_mul_f32_e32 v114, v107, v184
	v_add_f32_e32 v77, v77, v78
	v_mul_f32_e32 v78, v94, v159
	v_fmac_f32_e32 v114, v108, v183
	v_fma_f32 v78, v93, v168, -v78
	v_add_f32_e32 v117, v113, v114
	ds_read2_b64 v[113:116], v0 offset0:57 offset1:58
	v_add_f32_e32 v77, v77, v78
	v_mul_f32_e32 v78, v96, v169
	s_waitcnt vmcnt(40) lgkmcnt(1)
	v_mul_f32_e32 v118, v109, v186
	v_fma_f32 v78, v95, v170, -v78
	v_fmac_f32_e32 v118, v110, v185
	v_add_f32_e32 v77, v77, v78
	v_mul_f32_e32 v78, v98, v171
	v_add_f32_e32 v117, v117, v118
	s_waitcnt vmcnt(38)
	v_mul_f32_e32 v118, v111, v188
	v_fma_f32 v78, v97, v172, -v78
	v_fmac_f32_e32 v118, v112, v187
	v_add_f32_e32 v77, v77, v78
	v_mul_f32_e32 v78, v100, v175
	v_add_f32_e32 v117, v117, v118
	s_waitcnt vmcnt(36) lgkmcnt(0)
	v_mul_f32_e32 v118, v113, v190
	v_fma_f32 v78, v99, v176, -v78
	v_fmac_f32_e32 v118, v114, v189
	v_add_f32_e32 v77, v77, v78
	v_mul_f32_e32 v78, v102, v178
	v_add_f32_e32 v121, v117, v118
	ds_read2_b64 v[117:120], v0 offset0:59 offset1:60
	v_fma_f32 v78, v101, v177, -v78
	v_add_f32_e32 v77, v77, v78
	v_mul_f32_e32 v78, v104, v180
	s_waitcnt vmcnt(34)
	v_mul_f32_e32 v122, v115, v192
	v_fma_f32 v78, v103, v179, -v78
	v_fmac_f32_e32 v122, v116, v191
	v_add_f32_e32 v77, v77, v78
	v_mul_f32_e32 v78, v106, v182
	v_add_f32_e32 v125, v121, v122
	ds_read2_b64 v[121:124], v0 offset0:61 offset1:62
	v_fma_f32 v78, v105, v181, -v78
	s_waitcnt vmcnt(32) lgkmcnt(1)
	v_mul_f32_e32 v126, v117, v194
	v_add_f32_e32 v77, v77, v78
	v_mul_f32_e32 v78, v108, v184
	v_fmac_f32_e32 v126, v118, v193
	v_fma_f32 v78, v107, v183, -v78
	v_add_f32_e32 v125, v125, v126
	s_waitcnt vmcnt(30)
	v_mul_f32_e32 v126, v119, v196
	v_add_f32_e32 v77, v77, v78
	v_mul_f32_e32 v78, v110, v186
	v_fmac_f32_e32 v126, v120, v195
	v_fma_f32 v78, v109, v185, -v78
	v_add_f32_e32 v125, v125, v126
	s_waitcnt vmcnt(28) lgkmcnt(0)
	v_mul_f32_e32 v126, v121, v198
	v_add_f32_e32 v77, v77, v78
	v_mul_f32_e32 v78, v112, v188
	v_fmac_f32_e32 v126, v122, v197
	v_fma_f32 v78, v111, v187, -v78
	v_add_f32_e32 v129, v125, v126
	ds_read2_b64 v[125:128], v0 offset0:63 offset1:64
	v_add_f32_e32 v77, v77, v78
	v_mul_f32_e32 v78, v114, v190
	v_fma_f32 v78, v113, v189, -v78
	s_waitcnt vmcnt(26)
	v_mul_f32_e32 v130, v123, v200
	v_add_f32_e32 v77, v77, v78
	v_mul_f32_e32 v78, v116, v192
	v_fmac_f32_e32 v130, v124, v199
	v_fma_f32 v78, v115, v191, -v78
	v_add_f32_e32 v133, v129, v130
	ds_read2_b64 v[129:132], v0 offset0:65 offset1:66
	v_add_f32_e32 v77, v77, v78
	v_mul_f32_e32 v78, v118, v194
	s_waitcnt vmcnt(24) lgkmcnt(1)
	v_mul_f32_e32 v134, v125, v202
	v_fma_f32 v78, v117, v193, -v78
	v_fmac_f32_e32 v134, v126, v201
	v_add_f32_e32 v77, v77, v78
	v_mul_f32_e32 v78, v120, v196
	v_add_f32_e32 v133, v133, v134
	s_waitcnt vmcnt(23)
	v_mul_f32_e32 v134, v127, v203
	v_fma_f32 v78, v119, v195, -v78
	s_waitcnt vmcnt(22)
	v_fmac_f32_e32 v134, v128, v204
	v_add_f32_e32 v77, v77, v78
	v_mul_f32_e32 v78, v122, v198
	v_add_f32_e32 v133, v133, v134
	s_waitcnt vmcnt(20) lgkmcnt(0)
	v_mul_f32_e32 v134, v129, v206
	v_fma_f32 v78, v121, v197, -v78
	v_fmac_f32_e32 v134, v130, v205
	v_add_f32_e32 v77, v77, v78
	v_mul_f32_e32 v78, v124, v200
	v_add_f32_e32 v137, v133, v134
	ds_read2_b64 v[133:136], v0 offset0:67 offset1:68
	v_fma_f32 v78, v123, v199, -v78
	v_add_f32_e32 v77, v77, v78
	v_mul_f32_e32 v78, v126, v202
	s_waitcnt vmcnt(18)
	v_mul_f32_e32 v138, v131, v208
	v_fma_f32 v78, v125, v201, -v78
	v_fmac_f32_e32 v138, v132, v207
	v_add_f32_e32 v77, v77, v78
	v_mul_f32_e32 v78, v128, v203
	v_add_f32_e32 v141, v137, v138
	ds_read2_b64 v[137:140], v0 offset0:69 offset1:70
	v_fma_f32 v78, v127, v204, -v78
	s_waitcnt vmcnt(16) lgkmcnt(1)
	v_mul_f32_e32 v142, v133, v210
	v_add_f32_e32 v77, v77, v78
	v_mul_f32_e32 v78, v130, v206
	v_fmac_f32_e32 v142, v134, v209
	v_fma_f32 v78, v129, v205, -v78
	v_add_f32_e32 v141, v141, v142
	s_waitcnt vmcnt(15)
	v_mul_f32_e32 v142, v135, v211
	v_add_f32_e32 v77, v77, v78
	v_mul_f32_e32 v78, v132, v208
	s_waitcnt vmcnt(14)
	v_fmac_f32_e32 v142, v136, v212
	v_fma_f32 v78, v131, v207, -v78
	v_add_f32_e32 v141, v141, v142
	s_waitcnt vmcnt(12) lgkmcnt(0)
	v_mul_f32_e32 v142, v137, v214
	v_add_f32_e32 v77, v77, v78
	v_mul_f32_e32 v78, v134, v210
	v_fmac_f32_e32 v142, v138, v213
	v_fma_f32 v78, v133, v209, -v78
	v_add_f32_e32 v145, v141, v142
	ds_read2_b64 v[141:144], v0 offset0:71 offset1:72
	v_add_f32_e32 v77, v77, v78
	v_mul_f32_e32 v78, v136, v211
	v_fma_f32 v78, v135, v212, -v78
	v_add_f32_e32 v77, v77, v78
	v_mul_f32_e32 v78, v138, v214
	s_waitcnt vmcnt(10)
	v_mul_f32_e32 v146, v139, v216
	v_fma_f32 v78, v137, v213, -v78
	v_fmac_f32_e32 v146, v140, v215
	v_add_f32_e32 v77, v77, v78
	v_mul_f32_e32 v78, v140, v216
	v_add_f32_e32 v149, v145, v146
	ds_read2_b64 v[145:148], v0 offset0:73 offset1:74
	s_waitcnt vmcnt(8) lgkmcnt(1)
	v_mul_f32_e32 v150, v141, v218
	v_fma_f32 v78, v139, v215, -v78
	v_fmac_f32_e32 v150, v142, v217
	v_add_f32_e32 v77, v77, v78
	v_mul_f32_e32 v78, v142, v218
	v_add_f32_e32 v149, v149, v150
	s_waitcnt vmcnt(7)
	v_mul_f32_e32 v150, v143, v219
	v_fma_f32 v78, v141, v217, -v78
	s_waitcnt vmcnt(6)
	v_fmac_f32_e32 v150, v144, v220
	v_add_f32_e32 v77, v77, v78
	v_mul_f32_e32 v78, v144, v219
	v_add_f32_e32 v227, v149, v150
	ds_read_b64 v[149:150], v0 offset:600
	v_fma_f32 v78, v143, v220, -v78
	v_add_f32_e32 v77, v77, v78
	s_waitcnt vmcnt(4) lgkmcnt(1)
	v_mul_f32_e32 v78, v146, v222
	v_mul_f32_e32 v228, v145, v222
	v_fma_f32 v78, v145, v221, -v78
	v_fmac_f32_e32 v228, v146, v221
	v_add_f32_e32 v77, v77, v78
	s_waitcnt vmcnt(3)
	v_mul_f32_e32 v78, v148, v223
	v_add_f32_e32 v227, v227, v228
	v_mul_f32_e32 v228, v147, v223
	s_waitcnt vmcnt(2)
	v_fma_f32 v78, v147, v224, -v78
	v_fmac_f32_e32 v228, v148, v224
	v_add_f32_e32 v77, v77, v78
	s_waitcnt vmcnt(0) lgkmcnt(0)
	v_mul_f32_e32 v78, v150, v226
	v_add_f32_e32 v227, v227, v228
	v_mul_f32_e32 v228, v149, v226
	v_fma_f32 v78, v149, v225, -v78
	v_fmac_f32_e32 v228, v150, v225
	v_add_f32_e32 v77, v77, v78
	v_add_f32_e32 v227, v227, v228
	v_sub_f32_e32 v77, v173, v77
	v_sub_f32_e32 v78, v174, v227
	buffer_store_dword v77, off, s[0:3], 0
	buffer_store_dword v78, off, s[0:3], 0 offset:4
	s_cbranch_vccz .LBB37_316
; %bb.242:
	global_load_dword v0, v0, s[20:21] offset:144
	s_waitcnt vmcnt(0)
	v_add_u32_e32 v0, -1, v0
	v_cmp_ne_u32_e32 vcc, 36, v0
	s_cbranch_vccz .LBB37_244
; %bb.243:
	v_lshlrev_b32_e32 v0, 3, v0
	buffer_load_dword v77, v0, s[0:3], 0 offen
	buffer_load_dword v78, v0, s[0:3], 0 offen offset:4
	buffer_load_dword v79, off, s[0:3], 0 offset:292
	buffer_load_dword v80, off, s[0:3], 0 offset:288
	s_waitcnt vmcnt(3)
	buffer_store_dword v77, off, s[0:3], 0 offset:288
	s_waitcnt vmcnt(3)
	buffer_store_dword v78, off, s[0:3], 0 offset:292
	s_waitcnt vmcnt(3)
	buffer_store_dword v79, v0, s[0:3], 0 offen offset:4
	s_waitcnt vmcnt(3)
	buffer_store_dword v80, v0, s[0:3], 0 offen
.LBB37_244:
	v_mov_b32_e32 v0, 0
	global_load_dword v77, v0, s[20:21] offset:140
	s_waitcnt vmcnt(0)
	v_add_u32_e32 v77, -1, v77
	v_cmp_eq_u32_e32 vcc, 35, v77
	s_cbranch_vccnz .LBB37_246
; %bb.245:
	v_lshlrev_b32_e32 v77, 3, v77
	buffer_load_dword v78, v77, s[0:3], 0 offen
	buffer_load_dword v79, v77, s[0:3], 0 offen offset:4
	buffer_load_dword v80, off, s[0:3], 0 offset:280
	buffer_load_dword v81, off, s[0:3], 0 offset:284
	s_waitcnt vmcnt(3)
	buffer_store_dword v78, off, s[0:3], 0 offset:280
	s_waitcnt vmcnt(3)
	buffer_store_dword v79, off, s[0:3], 0 offset:284
	s_waitcnt vmcnt(3)
	buffer_store_dword v80, v77, s[0:3], 0 offen
	s_waitcnt vmcnt(3)
	buffer_store_dword v81, v77, s[0:3], 0 offen offset:4
.LBB37_246:
	global_load_dword v0, v0, s[20:21] offset:136
	s_waitcnt vmcnt(0)
	v_add_u32_e32 v0, -1, v0
	v_cmp_eq_u32_e32 vcc, 34, v0
	s_cbranch_vccnz .LBB37_248
; %bb.247:
	v_lshlrev_b32_e32 v0, 3, v0
	buffer_load_dword v77, v0, s[0:3], 0 offen
	buffer_load_dword v78, v0, s[0:3], 0 offen offset:4
	buffer_load_dword v79, off, s[0:3], 0 offset:276
	buffer_load_dword v80, off, s[0:3], 0 offset:272
	s_waitcnt vmcnt(3)
	buffer_store_dword v77, off, s[0:3], 0 offset:272
	s_waitcnt vmcnt(3)
	buffer_store_dword v78, off, s[0:3], 0 offset:276
	s_waitcnt vmcnt(3)
	buffer_store_dword v79, v0, s[0:3], 0 offen offset:4
	s_waitcnt vmcnt(3)
	buffer_store_dword v80, v0, s[0:3], 0 offen
.LBB37_248:
	v_mov_b32_e32 v0, 0
	global_load_dword v77, v0, s[20:21] offset:132
	s_waitcnt vmcnt(0)
	v_add_u32_e32 v77, -1, v77
	v_cmp_eq_u32_e32 vcc, 33, v77
	s_cbranch_vccnz .LBB37_250
; %bb.249:
	v_lshlrev_b32_e32 v77, 3, v77
	buffer_load_dword v78, v77, s[0:3], 0 offen
	buffer_load_dword v79, v77, s[0:3], 0 offen offset:4
	buffer_load_dword v80, off, s[0:3], 0 offset:264
	buffer_load_dword v81, off, s[0:3], 0 offset:268
	s_waitcnt vmcnt(3)
	buffer_store_dword v78, off, s[0:3], 0 offset:264
	s_waitcnt vmcnt(3)
	buffer_store_dword v79, off, s[0:3], 0 offset:268
	s_waitcnt vmcnt(3)
	buffer_store_dword v80, v77, s[0:3], 0 offen
	s_waitcnt vmcnt(3)
	buffer_store_dword v81, v77, s[0:3], 0 offen offset:4
.LBB37_250:
	global_load_dword v0, v0, s[20:21] offset:128
	s_waitcnt vmcnt(0)
	v_add_u32_e32 v0, -1, v0
	v_cmp_eq_u32_e32 vcc, 32, v0
	s_cbranch_vccnz .LBB37_252
; %bb.251:
	v_lshlrev_b32_e32 v0, 3, v0
	buffer_load_dword v77, v0, s[0:3], 0 offen
	buffer_load_dword v78, v0, s[0:3], 0 offen offset:4
	buffer_load_dword v79, off, s[0:3], 0 offset:260
	buffer_load_dword v80, off, s[0:3], 0 offset:256
	s_waitcnt vmcnt(3)
	buffer_store_dword v77, off, s[0:3], 0 offset:256
	s_waitcnt vmcnt(3)
	buffer_store_dword v78, off, s[0:3], 0 offset:260
	s_waitcnt vmcnt(3)
	buffer_store_dword v79, v0, s[0:3], 0 offen offset:4
	s_waitcnt vmcnt(3)
	buffer_store_dword v80, v0, s[0:3], 0 offen
.LBB37_252:
	;; [unrolled: 41-line block ×17, first 2 shown]
	v_mov_b32_e32 v0, 0
	global_load_dword v77, v0, s[20:21] offset:4
	s_waitcnt vmcnt(0)
	v_add_u32_e32 v77, -1, v77
	v_cmp_eq_u32_e32 vcc, 1, v77
	s_cbranch_vccnz .LBB37_314
; %bb.313:
	v_lshlrev_b32_e32 v77, 3, v77
	buffer_load_dword v78, v77, s[0:3], 0 offen
	buffer_load_dword v79, v77, s[0:3], 0 offen offset:4
	buffer_load_dword v80, off, s[0:3], 0 offset:8
	buffer_load_dword v81, off, s[0:3], 0 offset:12
	s_waitcnt vmcnt(3)
	buffer_store_dword v78, off, s[0:3], 0 offset:8
	s_waitcnt vmcnt(3)
	buffer_store_dword v79, off, s[0:3], 0 offset:12
	s_waitcnt vmcnt(3)
	buffer_store_dword v80, v77, s[0:3], 0 offen
	s_waitcnt vmcnt(3)
	buffer_store_dword v81, v77, s[0:3], 0 offen offset:4
.LBB37_314:
	global_load_dword v0, v0, s[20:21]
	s_waitcnt vmcnt(0)
	v_add_u32_e32 v0, -1, v0
	v_cmp_eq_u32_e32 vcc, 0, v0
	s_cbranch_vccnz .LBB37_316
; %bb.315:
	v_lshlrev_b32_e32 v0, 3, v0
	buffer_load_dword v77, v0, s[0:3], 0 offen
	buffer_load_dword v78, v0, s[0:3], 0 offen offset:4
	buffer_load_dword v79, off, s[0:3], 0 offset:4
	buffer_load_dword v80, off, s[0:3], 0
	s_waitcnt vmcnt(3)
	buffer_store_dword v77, off, s[0:3], 0
	s_waitcnt vmcnt(3)
	buffer_store_dword v78, off, s[0:3], 0 offset:4
	s_waitcnt vmcnt(3)
	buffer_store_dword v79, v0, s[0:3], 0 offen offset:4
	s_waitcnt vmcnt(3)
	buffer_store_dword v80, v0, s[0:3], 0 offen
.LBB37_316:
	buffer_load_dword v77, off, s[0:3], 0
	buffer_load_dword v78, off, s[0:3], 0 offset:4
	buffer_load_dword v79, off, s[0:3], 0 offset:8
	s_nop 0
	buffer_load_dword v80, off, s[0:3], 0 offset:12
	buffer_load_dword v81, off, s[0:3], 0 offset:16
	;; [unrolled: 1-line block ×73, first 2 shown]
	s_waitcnt vmcnt(62)
	global_store_dwordx2 v[1:2], v[77:78], off
	global_store_dwordx2 v[3:4], v[79:80], off
	;; [unrolled: 1-line block ×7, first 2 shown]
	s_waitcnt vmcnt(62)
	global_store_dwordx2 v[15:16], v[91:92], off
	s_waitcnt vmcnt(60)
	global_store_dwordx2 v[17:18], v[93:94], off
	global_store_dwordx2 v[19:20], v[95:96], off
	;; [unrolled: 1-line block ×4, first 2 shown]
	s_waitcnt vmcnt(62)
	global_store_dwordx2 v[25:26], v[101:102], off
	s_waitcnt vmcnt(61)
	global_store_dwordx2 v[27:28], v[103:104], off
	;; [unrolled: 2-line block ×26, first 2 shown]
	s_endpgm
	.section	.rodata,"a",@progbits
	.p2align	6, 0x0
	.amdhsa_kernel _ZN9rocsolver6v33100L18getri_kernel_smallILi38E19rocblas_complex_numIfEPS3_EEvT1_iilPiilS6_bb
		.amdhsa_group_segment_fixed_size 612
		.amdhsa_private_segment_fixed_size 320
		.amdhsa_kernarg_size 60
		.amdhsa_user_sgpr_count 6
		.amdhsa_user_sgpr_private_segment_buffer 1
		.amdhsa_user_sgpr_dispatch_ptr 0
		.amdhsa_user_sgpr_queue_ptr 0
		.amdhsa_user_sgpr_kernarg_segment_ptr 1
		.amdhsa_user_sgpr_dispatch_id 0
		.amdhsa_user_sgpr_flat_scratch_init 0
		.amdhsa_user_sgpr_private_segment_size 0
		.amdhsa_uses_dynamic_stack 0
		.amdhsa_system_sgpr_private_segment_wavefront_offset 1
		.amdhsa_system_sgpr_workgroup_id_x 1
		.amdhsa_system_sgpr_workgroup_id_y 0
		.amdhsa_system_sgpr_workgroup_id_z 0
		.amdhsa_system_sgpr_workgroup_info 0
		.amdhsa_system_vgpr_workitem_id 0
		.amdhsa_next_free_vgpr 229
		.amdhsa_next_free_sgpr 24
		.amdhsa_reserve_vcc 1
		.amdhsa_reserve_flat_scratch 0
		.amdhsa_float_round_mode_32 0
		.amdhsa_float_round_mode_16_64 0
		.amdhsa_float_denorm_mode_32 3
		.amdhsa_float_denorm_mode_16_64 3
		.amdhsa_dx10_clamp 1
		.amdhsa_ieee_mode 1
		.amdhsa_fp16_overflow 0
		.amdhsa_exception_fp_ieee_invalid_op 0
		.amdhsa_exception_fp_denorm_src 0
		.amdhsa_exception_fp_ieee_div_zero 0
		.amdhsa_exception_fp_ieee_overflow 0
		.amdhsa_exception_fp_ieee_underflow 0
		.amdhsa_exception_fp_ieee_inexact 0
		.amdhsa_exception_int_div_zero 0
	.end_amdhsa_kernel
	.section	.text._ZN9rocsolver6v33100L18getri_kernel_smallILi38E19rocblas_complex_numIfEPS3_EEvT1_iilPiilS6_bb,"axG",@progbits,_ZN9rocsolver6v33100L18getri_kernel_smallILi38E19rocblas_complex_numIfEPS3_EEvT1_iilPiilS6_bb,comdat
.Lfunc_end37:
	.size	_ZN9rocsolver6v33100L18getri_kernel_smallILi38E19rocblas_complex_numIfEPS3_EEvT1_iilPiilS6_bb, .Lfunc_end37-_ZN9rocsolver6v33100L18getri_kernel_smallILi38E19rocblas_complex_numIfEPS3_EEvT1_iilPiilS6_bb
                                        ; -- End function
	.set _ZN9rocsolver6v33100L18getri_kernel_smallILi38E19rocblas_complex_numIfEPS3_EEvT1_iilPiilS6_bb.num_vgpr, 229
	.set _ZN9rocsolver6v33100L18getri_kernel_smallILi38E19rocblas_complex_numIfEPS3_EEvT1_iilPiilS6_bb.num_agpr, 0
	.set _ZN9rocsolver6v33100L18getri_kernel_smallILi38E19rocblas_complex_numIfEPS3_EEvT1_iilPiilS6_bb.numbered_sgpr, 24
	.set _ZN9rocsolver6v33100L18getri_kernel_smallILi38E19rocblas_complex_numIfEPS3_EEvT1_iilPiilS6_bb.num_named_barrier, 0
	.set _ZN9rocsolver6v33100L18getri_kernel_smallILi38E19rocblas_complex_numIfEPS3_EEvT1_iilPiilS6_bb.private_seg_size, 320
	.set _ZN9rocsolver6v33100L18getri_kernel_smallILi38E19rocblas_complex_numIfEPS3_EEvT1_iilPiilS6_bb.uses_vcc, 1
	.set _ZN9rocsolver6v33100L18getri_kernel_smallILi38E19rocblas_complex_numIfEPS3_EEvT1_iilPiilS6_bb.uses_flat_scratch, 0
	.set _ZN9rocsolver6v33100L18getri_kernel_smallILi38E19rocblas_complex_numIfEPS3_EEvT1_iilPiilS6_bb.has_dyn_sized_stack, 0
	.set _ZN9rocsolver6v33100L18getri_kernel_smallILi38E19rocblas_complex_numIfEPS3_EEvT1_iilPiilS6_bb.has_recursion, 0
	.set _ZN9rocsolver6v33100L18getri_kernel_smallILi38E19rocblas_complex_numIfEPS3_EEvT1_iilPiilS6_bb.has_indirect_call, 0
	.section	.AMDGPU.csdata,"",@progbits
; Kernel info:
; codeLenInByte = 58768
; TotalNumSgprs: 28
; NumVgprs: 229
; ScratchSize: 320
; MemoryBound: 0
; FloatMode: 240
; IeeeMode: 1
; LDSByteSize: 612 bytes/workgroup (compile time only)
; SGPRBlocks: 3
; VGPRBlocks: 57
; NumSGPRsForWavesPerEU: 28
; NumVGPRsForWavesPerEU: 229
; Occupancy: 1
; WaveLimiterHint : 1
; COMPUTE_PGM_RSRC2:SCRATCH_EN: 1
; COMPUTE_PGM_RSRC2:USER_SGPR: 6
; COMPUTE_PGM_RSRC2:TRAP_HANDLER: 0
; COMPUTE_PGM_RSRC2:TGID_X_EN: 1
; COMPUTE_PGM_RSRC2:TGID_Y_EN: 0
; COMPUTE_PGM_RSRC2:TGID_Z_EN: 0
; COMPUTE_PGM_RSRC2:TIDIG_COMP_CNT: 0
	.section	.text._ZN9rocsolver6v33100L18getri_kernel_smallILi39E19rocblas_complex_numIfEPS3_EEvT1_iilPiilS6_bb,"axG",@progbits,_ZN9rocsolver6v33100L18getri_kernel_smallILi39E19rocblas_complex_numIfEPS3_EEvT1_iilPiilS6_bb,comdat
	.globl	_ZN9rocsolver6v33100L18getri_kernel_smallILi39E19rocblas_complex_numIfEPS3_EEvT1_iilPiilS6_bb ; -- Begin function _ZN9rocsolver6v33100L18getri_kernel_smallILi39E19rocblas_complex_numIfEPS3_EEvT1_iilPiilS6_bb
	.p2align	8
	.type	_ZN9rocsolver6v33100L18getri_kernel_smallILi39E19rocblas_complex_numIfEPS3_EEvT1_iilPiilS6_bb,@function
_ZN9rocsolver6v33100L18getri_kernel_smallILi39E19rocblas_complex_numIfEPS3_EEvT1_iilPiilS6_bb: ; @_ZN9rocsolver6v33100L18getri_kernel_smallILi39E19rocblas_complex_numIfEPS3_EEvT1_iilPiilS6_bb
; %bb.0:
	s_add_u32 s0, s0, s7
	s_addc_u32 s1, s1, 0
	v_cmp_gt_u32_e32 vcc, 39, v0
	s_and_saveexec_b64 s[8:9], vcc
	s_cbranch_execz .LBB38_170
; %bb.1:
	s_load_dword s12, s[4:5], 0x38
	s_load_dwordx4 s[16:19], s[4:5], 0x10
	s_load_dwordx4 s[8:11], s[4:5], 0x28
                                        ; implicit-def: $sgpr20_sgpr21
	s_waitcnt lgkmcnt(0)
	s_bitcmp1_b32 s12, 8
	s_cselect_b64 s[22:23], -1, 0
	s_ashr_i32 s7, s6, 31
	s_bfe_u32 s12, s12, 0x10008
	s_cmp_eq_u32 s12, 0
	s_cbranch_scc1 .LBB38_3
; %bb.2:
	s_load_dword s12, s[4:5], 0x20
	s_mul_i32 s13, s8, s7
	s_mul_hi_u32 s14, s8, s6
	s_mul_i32 s9, s9, s6
	s_add_i32 s14, s14, s13
	s_add_i32 s9, s14, s9
	s_mul_i32 s8, s8, s6
	s_waitcnt lgkmcnt(0)
	s_ashr_i32 s13, s12, 31
	s_lshl_b64 s[8:9], s[8:9], 2
	s_add_u32 s14, s18, s8
	s_addc_u32 s15, s19, s9
	s_lshl_b64 s[8:9], s[12:13], 2
	s_add_u32 s20, s14, s8
	s_addc_u32 s21, s15, s9
.LBB38_3:
	s_load_dwordx4 s[12:15], s[4:5], 0x0
	s_load_dword s8, s[4:5], 0x38
	s_mul_i32 s9, s16, s7
	s_mul_hi_u32 s18, s16, s6
	s_add_i32 s9, s18, s9
	s_waitcnt lgkmcnt(0)
	s_ashr_i32 s5, s14, 31
	s_mov_b32 s4, s14
	s_mul_i32 s14, s17, s6
	s_add_i32 s17, s9, s14
	s_mul_i32 s16, s16, s6
	s_lshl_b64 s[16:17], s[16:17], 3
	s_add_u32 s9, s12, s16
	s_addc_u32 s12, s13, s17
	s_lshl_b64 s[4:5], s[4:5], 3
	s_add_u32 s4, s9, s4
	s_addc_u32 s5, s12, s5
	v_lshlrev_b32_e32 v121, 3, v0
	s_add_i32 s9, s15, s15
	v_mov_b32_e32 v2, s5
	v_add_co_u32_e32 v1, vcc, s4, v121
	s_ashr_i32 s13, s15, 31
	s_mov_b32 s12, s15
	v_add_u32_e32 v7, s9, v0
	v_addc_co_u32_e32 v2, vcc, 0, v2, vcc
	s_lshl_b64 s[12:13], s[12:13], 3
	v_ashrrev_i32_e32 v8, 31, v7
	v_mov_b32_e32 v4, s13
	v_add_co_u32_e32 v3, vcc, s12, v1
	v_lshlrev_b64 v[5:6], 3, v[7:8]
	v_addc_co_u32_e32 v4, vcc, v2, v4, vcc
	v_add_u32_e32 v9, s15, v7
	v_mov_b32_e32 v8, s5
	v_add_co_u32_e32 v5, vcc, s4, v5
	v_ashrrev_i32_e32 v10, 31, v9
	v_addc_co_u32_e32 v6, vcc, v8, v6, vcc
	v_lshlrev_b64 v[7:8], 3, v[9:10]
	v_add_u32_e32 v11, s15, v9
	v_mov_b32_e32 v10, s5
	v_add_co_u32_e32 v7, vcc, s4, v7
	v_ashrrev_i32_e32 v12, 31, v11
	v_addc_co_u32_e32 v8, vcc, v10, v8, vcc
	v_lshlrev_b64 v[9:10], 3, v[11:12]
	v_add_u32_e32 v13, s15, v11
	v_mov_b32_e32 v12, s5
	v_add_co_u32_e32 v9, vcc, s4, v9
	v_ashrrev_i32_e32 v14, 31, v13
	v_addc_co_u32_e32 v10, vcc, v12, v10, vcc
	v_lshlrev_b64 v[11:12], 3, v[13:14]
	v_add_u32_e32 v15, s15, v13
	v_mov_b32_e32 v14, s5
	v_add_co_u32_e32 v11, vcc, s4, v11
	v_ashrrev_i32_e32 v16, 31, v15
	v_addc_co_u32_e32 v12, vcc, v14, v12, vcc
	v_lshlrev_b64 v[13:14], 3, v[15:16]
	v_add_u32_e32 v17, s15, v15
	v_mov_b32_e32 v16, s5
	v_add_co_u32_e32 v13, vcc, s4, v13
	v_ashrrev_i32_e32 v18, 31, v17
	v_addc_co_u32_e32 v14, vcc, v16, v14, vcc
	v_lshlrev_b64 v[15:16], 3, v[17:18]
	v_add_u32_e32 v19, s15, v17
	v_mov_b32_e32 v18, s5
	v_add_co_u32_e32 v15, vcc, s4, v15
	v_ashrrev_i32_e32 v20, 31, v19
	v_addc_co_u32_e32 v16, vcc, v18, v16, vcc
	v_lshlrev_b64 v[17:18], 3, v[19:20]
	v_add_u32_e32 v21, s15, v19
	v_mov_b32_e32 v20, s5
	v_add_co_u32_e32 v17, vcc, s4, v17
	v_ashrrev_i32_e32 v22, 31, v21
	v_addc_co_u32_e32 v18, vcc, v20, v18, vcc
	v_lshlrev_b64 v[19:20], 3, v[21:22]
	v_add_u32_e32 v23, s15, v21
	v_mov_b32_e32 v22, s5
	v_add_co_u32_e32 v19, vcc, s4, v19
	v_ashrrev_i32_e32 v24, 31, v23
	v_addc_co_u32_e32 v20, vcc, v22, v20, vcc
	v_lshlrev_b64 v[21:22], 3, v[23:24]
	v_add_u32_e32 v25, s15, v23
	v_mov_b32_e32 v24, s5
	v_add_co_u32_e32 v21, vcc, s4, v21
	v_ashrrev_i32_e32 v26, 31, v25
	v_addc_co_u32_e32 v22, vcc, v24, v22, vcc
	v_lshlrev_b64 v[23:24], 3, v[25:26]
	v_add_u32_e32 v27, s15, v25
	v_mov_b32_e32 v26, s5
	v_add_co_u32_e32 v23, vcc, s4, v23
	v_ashrrev_i32_e32 v28, 31, v27
	v_addc_co_u32_e32 v24, vcc, v26, v24, vcc
	v_lshlrev_b64 v[25:26], 3, v[27:28]
	v_add_u32_e32 v29, s15, v27
	v_mov_b32_e32 v28, s5
	v_add_co_u32_e32 v25, vcc, s4, v25
	v_ashrrev_i32_e32 v30, 31, v29
	v_addc_co_u32_e32 v26, vcc, v28, v26, vcc
	v_lshlrev_b64 v[27:28], 3, v[29:30]
	v_add_u32_e32 v31, s15, v29
	v_mov_b32_e32 v30, s5
	v_add_co_u32_e32 v27, vcc, s4, v27
	v_ashrrev_i32_e32 v32, 31, v31
	v_addc_co_u32_e32 v28, vcc, v30, v28, vcc
	v_lshlrev_b64 v[29:30], 3, v[31:32]
	v_add_u32_e32 v33, s15, v31
	v_mov_b32_e32 v32, s5
	v_add_co_u32_e32 v29, vcc, s4, v29
	v_ashrrev_i32_e32 v34, 31, v33
	v_addc_co_u32_e32 v30, vcc, v32, v30, vcc
	v_lshlrev_b64 v[31:32], 3, v[33:34]
	v_add_u32_e32 v35, s15, v33
	v_mov_b32_e32 v34, s5
	v_add_co_u32_e32 v31, vcc, s4, v31
	v_ashrrev_i32_e32 v36, 31, v35
	v_addc_co_u32_e32 v32, vcc, v34, v32, vcc
	v_lshlrev_b64 v[33:34], 3, v[35:36]
	v_add_u32_e32 v37, s15, v35
	v_mov_b32_e32 v36, s5
	v_add_co_u32_e32 v33, vcc, s4, v33
	v_ashrrev_i32_e32 v38, 31, v37
	v_addc_co_u32_e32 v34, vcc, v36, v34, vcc
	v_lshlrev_b64 v[35:36], 3, v[37:38]
	v_add_u32_e32 v39, s15, v37
	v_mov_b32_e32 v38, s5
	v_add_co_u32_e32 v35, vcc, s4, v35
	v_ashrrev_i32_e32 v40, 31, v39
	v_addc_co_u32_e32 v36, vcc, v38, v36, vcc
	v_lshlrev_b64 v[37:38], 3, v[39:40]
	v_add_u32_e32 v41, s15, v39
	v_mov_b32_e32 v40, s5
	v_add_co_u32_e32 v37, vcc, s4, v37
	v_ashrrev_i32_e32 v42, 31, v41
	v_addc_co_u32_e32 v38, vcc, v40, v38, vcc
	v_lshlrev_b64 v[39:40], 3, v[41:42]
	v_add_u32_e32 v43, s15, v41
	v_mov_b32_e32 v42, s5
	v_add_co_u32_e32 v39, vcc, s4, v39
	v_ashrrev_i32_e32 v44, 31, v43
	v_addc_co_u32_e32 v40, vcc, v42, v40, vcc
	v_lshlrev_b64 v[41:42], 3, v[43:44]
	v_add_u32_e32 v45, s15, v43
	v_mov_b32_e32 v44, s5
	v_add_co_u32_e32 v41, vcc, s4, v41
	v_ashrrev_i32_e32 v46, 31, v45
	v_addc_co_u32_e32 v42, vcc, v44, v42, vcc
	v_lshlrev_b64 v[43:44], 3, v[45:46]
	v_add_u32_e32 v47, s15, v45
	v_mov_b32_e32 v46, s5
	v_add_co_u32_e32 v43, vcc, s4, v43
	v_ashrrev_i32_e32 v48, 31, v47
	v_addc_co_u32_e32 v44, vcc, v46, v44, vcc
	v_lshlrev_b64 v[45:46], 3, v[47:48]
	v_add_u32_e32 v49, s15, v47
	v_mov_b32_e32 v48, s5
	v_add_co_u32_e32 v45, vcc, s4, v45
	v_ashrrev_i32_e32 v50, 31, v49
	v_addc_co_u32_e32 v46, vcc, v48, v46, vcc
	v_lshlrev_b64 v[47:48], 3, v[49:50]
	v_add_u32_e32 v51, s15, v49
	v_mov_b32_e32 v50, s5
	v_add_co_u32_e32 v47, vcc, s4, v47
	v_ashrrev_i32_e32 v52, 31, v51
	v_addc_co_u32_e32 v48, vcc, v50, v48, vcc
	v_lshlrev_b64 v[49:50], 3, v[51:52]
	v_add_u32_e32 v53, s15, v51
	v_mov_b32_e32 v52, s5
	v_add_co_u32_e32 v49, vcc, s4, v49
	v_ashrrev_i32_e32 v54, 31, v53
	v_addc_co_u32_e32 v50, vcc, v52, v50, vcc
	v_lshlrev_b64 v[51:52], 3, v[53:54]
	v_add_u32_e32 v55, s15, v53
	v_mov_b32_e32 v54, s5
	v_add_co_u32_e32 v51, vcc, s4, v51
	v_ashrrev_i32_e32 v56, 31, v55
	v_addc_co_u32_e32 v52, vcc, v54, v52, vcc
	v_lshlrev_b64 v[53:54], 3, v[55:56]
	v_add_u32_e32 v57, s15, v55
	v_mov_b32_e32 v56, s5
	v_add_co_u32_e32 v53, vcc, s4, v53
	v_ashrrev_i32_e32 v58, 31, v57
	v_addc_co_u32_e32 v54, vcc, v56, v54, vcc
	v_lshlrev_b64 v[55:56], 3, v[57:58]
	v_add_u32_e32 v59, s15, v57
	v_mov_b32_e32 v58, s5
	v_add_co_u32_e32 v55, vcc, s4, v55
	v_ashrrev_i32_e32 v60, 31, v59
	v_addc_co_u32_e32 v56, vcc, v58, v56, vcc
	v_lshlrev_b64 v[57:58], 3, v[59:60]
	v_add_u32_e32 v61, s15, v59
	v_mov_b32_e32 v60, s5
	v_add_co_u32_e32 v57, vcc, s4, v57
	v_ashrrev_i32_e32 v62, 31, v61
	v_addc_co_u32_e32 v58, vcc, v60, v58, vcc
	v_lshlrev_b64 v[59:60], 3, v[61:62]
	v_add_u32_e32 v63, s15, v61
	v_mov_b32_e32 v62, s5
	v_add_co_u32_e32 v59, vcc, s4, v59
	v_ashrrev_i32_e32 v64, 31, v63
	v_addc_co_u32_e32 v60, vcc, v62, v60, vcc
	v_lshlrev_b64 v[61:62], 3, v[63:64]
	v_add_u32_e32 v65, s15, v63
	v_mov_b32_e32 v64, s5
	v_add_co_u32_e32 v61, vcc, s4, v61
	v_ashrrev_i32_e32 v66, 31, v65
	v_addc_co_u32_e32 v62, vcc, v64, v62, vcc
	v_lshlrev_b64 v[63:64], 3, v[65:66]
	v_add_u32_e32 v67, s15, v65
	v_mov_b32_e32 v66, s5
	v_add_co_u32_e32 v63, vcc, s4, v63
	v_ashrrev_i32_e32 v68, 31, v67
	v_addc_co_u32_e32 v64, vcc, v66, v64, vcc
	v_lshlrev_b64 v[65:66], 3, v[67:68]
	v_add_u32_e32 v69, s15, v67
	v_mov_b32_e32 v68, s5
	v_add_co_u32_e32 v65, vcc, s4, v65
	v_ashrrev_i32_e32 v70, 31, v69
	v_addc_co_u32_e32 v66, vcc, v68, v66, vcc
	v_lshlrev_b64 v[67:68], 3, v[69:70]
	v_add_u32_e32 v71, s15, v69
	v_mov_b32_e32 v70, s5
	v_add_co_u32_e32 v67, vcc, s4, v67
	v_ashrrev_i32_e32 v72, 31, v71
	v_addc_co_u32_e32 v68, vcc, v70, v68, vcc
	v_lshlrev_b64 v[69:70], 3, v[71:72]
	v_add_u32_e32 v73, s15, v71
	v_mov_b32_e32 v72, s5
	v_add_co_u32_e32 v69, vcc, s4, v69
	v_ashrrev_i32_e32 v74, 31, v73
	v_addc_co_u32_e32 v70, vcc, v72, v70, vcc
	v_lshlrev_b64 v[71:72], 3, v[73:74]
	v_add_u32_e32 v75, s15, v73
	v_mov_b32_e32 v74, s5
	v_add_co_u32_e32 v71, vcc, s4, v71
	v_ashrrev_i32_e32 v76, 31, v75
	v_addc_co_u32_e32 v72, vcc, v74, v72, vcc
	v_lshlrev_b64 v[73:74], 3, v[75:76]
	v_mov_b32_e32 v76, s5
	v_add_co_u32_e32 v73, vcc, s4, v73
	global_load_dwordx2 v[79:80], v121, s[4:5]
	global_load_dwordx2 v[87:88], v[3:4], off
	global_load_dwordx2 v[85:86], v[5:6], off
	;; [unrolled: 1-line block ×32, first 2 shown]
	v_addc_co_u32_e32 v74, vcc, v76, v74, vcc
	global_load_dwordx2 v[146:147], v[67:68], off
	global_load_dwordx2 v[148:149], v[69:70], off
	;; [unrolled: 1-line block ×4, first 2 shown]
	v_add_u32_e32 v77, s15, v75
	v_ashrrev_i32_e32 v78, 31, v77
	v_lshlrev_b64 v[75:76], 3, v[77:78]
	v_mov_b32_e32 v78, s5
	v_add_co_u32_e32 v75, vcc, s4, v75
	v_add_u32_e32 v77, s15, v77
	v_addc_co_u32_e32 v76, vcc, v78, v76, vcc
	v_ashrrev_i32_e32 v78, 31, v77
	v_lshlrev_b64 v[77:78], 3, v[77:78]
	global_load_dwordx2 v[154:155], v[75:76], off
	v_mov_b32_e32 v156, s5
	v_add_co_u32_e32 v77, vcc, s4, v77
	v_addc_co_u32_e32 v78, vcc, v156, v78, vcc
	global_load_dwordx2 v[156:157], v[77:78], off
	s_bitcmp0_b32 s8, 0
	s_mov_b64 s[8:9], -1
	s_waitcnt vmcnt(38)
	buffer_store_dword v80, off, s[0:3], 0 offset:4
	buffer_store_dword v79, off, s[0:3], 0
	s_waitcnt vmcnt(39)
	buffer_store_dword v88, off, s[0:3], 0 offset:12
	buffer_store_dword v87, off, s[0:3], 0 offset:8
	s_waitcnt vmcnt(40)
	buffer_store_dword v86, off, s[0:3], 0 offset:20
	buffer_store_dword v85, off, s[0:3], 0 offset:16
	;; [unrolled: 3-line block ×25, first 2 shown]
	buffer_store_dword v133, off, s[0:3], 0 offset:212
	buffer_store_dword v132, off, s[0:3], 0 offset:208
	s_waitcnt vmcnt(62)
	buffer_store_dword v134, off, s[0:3], 0 offset:216
	buffer_store_dword v135, off, s[0:3], 0 offset:220
	;; [unrolled: 1-line block ×8, first 2 shown]
	s_waitcnt vmcnt(62)
	buffer_store_dword v143, off, s[0:3], 0 offset:252
	buffer_store_dword v142, off, s[0:3], 0 offset:248
	;; [unrolled: 1-line block ×16, first 2 shown]
	s_cbranch_scc1 .LBB38_168
; %bb.4:
	v_cmp_eq_u32_e64 s[4:5], 0, v0
	s_and_saveexec_b64 s[8:9], s[4:5]
; %bb.5:
	v_mov_b32_e32 v79, 0
	ds_write_b32 v79, v79 offset:312
; %bb.6:
	s_or_b64 exec, exec, s[8:9]
	v_mov_b32_e32 v79, 0
	v_lshl_add_u32 v82, v0, 3, v79
	s_waitcnt lgkmcnt(0)
	; wave barrier
	buffer_load_dword v79, v82, s[0:3], 0 offen
	buffer_load_dword v80, v82, s[0:3], 0 offen offset:4
	s_waitcnt vmcnt(1)
	v_cmp_eq_f32_e32 vcc, 0, v79
	s_waitcnt vmcnt(0)
	v_cmp_eq_f32_e64 s[8:9], 0, v80
	s_and_b64 s[8:9], vcc, s[8:9]
	s_and_saveexec_b64 s[12:13], s[8:9]
	s_cbranch_execz .LBB38_10
; %bb.7:
	v_mov_b32_e32 v79, 0
	ds_read_b32 v81, v79 offset:312
	v_add_u32_e32 v80, 1, v0
	s_waitcnt lgkmcnt(0)
	v_readfirstlane_b32 s8, v81
	s_cmp_eq_u32 s8, 0
	s_cselect_b64 s[14:15], -1, 0
	v_cmp_gt_i32_e32 vcc, s8, v80
	s_or_b64 s[14:15], s[14:15], vcc
	s_and_b64 exec, exec, s[14:15]
	s_cbranch_execz .LBB38_10
; %bb.8:
	s_mov_b64 s[14:15], 0
	v_mov_b32_e32 v81, s8
.LBB38_9:                               ; =>This Inner Loop Header: Depth=1
	ds_cmpst_rtn_b32 v81, v79, v81, v80 offset:312
	s_waitcnt lgkmcnt(0)
	v_cmp_ne_u32_e32 vcc, 0, v81
	v_cmp_le_i32_e64 s[8:9], v81, v80
	s_and_b64 s[8:9], vcc, s[8:9]
	s_and_b64 s[8:9], exec, s[8:9]
	s_or_b64 s[14:15], s[8:9], s[14:15]
	s_andn2_b64 exec, exec, s[14:15]
	s_cbranch_execnz .LBB38_9
.LBB38_10:
	s_or_b64 exec, exec, s[12:13]
	v_mov_b32_e32 v80, 0
	; wave barrier
	ds_read_b32 v79, v80 offset:312
	s_and_saveexec_b64 s[8:9], s[4:5]
	s_cbranch_execz .LBB38_12
; %bb.11:
	s_lshl_b64 s[12:13], s[6:7], 2
	s_add_u32 s12, s10, s12
	s_addc_u32 s13, s11, s13
	s_waitcnt lgkmcnt(0)
	global_store_dword v80, v79, s[12:13]
.LBB38_12:
	s_or_b64 exec, exec, s[8:9]
	s_waitcnt lgkmcnt(0)
	v_cmp_ne_u32_e32 vcc, 0, v79
	s_mov_b64 s[8:9], 0
	s_cbranch_vccnz .LBB38_168
; %bb.13:
	buffer_load_dword v80, v82, s[0:3], 0 offen
	buffer_load_dword v81, v82, s[0:3], 0 offen offset:4
                                        ; implicit-def: $vgpr84
                                        ; implicit-def: $vgpr83
                                        ; implicit-def: $vgpr79
	s_waitcnt vmcnt(0)
	v_cmp_ngt_f32_e64 s[8:9], |v80|, |v81|
	s_and_saveexec_b64 s[12:13], s[8:9]
	s_xor_b64 s[8:9], exec, s[12:13]
	s_cbranch_execz .LBB38_15
; %bb.14:
	v_div_scale_f32 v79, s[12:13], v81, v81, v80
	v_div_scale_f32 v83, vcc, v80, v81, v80
	v_rcp_f32_e32 v84, v79
	v_fma_f32 v85, -v79, v84, 1.0
	v_fmac_f32_e32 v84, v85, v84
	v_mul_f32_e32 v85, v83, v84
	v_fma_f32 v86, -v79, v85, v83
	v_fmac_f32_e32 v85, v86, v84
	v_fma_f32 v79, -v79, v85, v83
	v_div_fmas_f32 v79, v79, v84, v85
	v_div_fixup_f32 v79, v79, v81, v80
	v_fmac_f32_e32 v81, v80, v79
	v_div_scale_f32 v80, s[12:13], v81, v81, 1.0
	v_div_scale_f32 v83, vcc, 1.0, v81, 1.0
	v_rcp_f32_e32 v84, v80
	v_fma_f32 v85, -v80, v84, 1.0
	v_fmac_f32_e32 v84, v85, v84
	v_mul_f32_e32 v85, v83, v84
	v_fma_f32 v86, -v80, v85, v83
	v_fmac_f32_e32 v85, v86, v84
	v_fma_f32 v80, -v80, v85, v83
	v_div_fmas_f32 v80, v80, v84, v85
	v_div_fixup_f32 v80, v80, v81, 1.0
	v_mul_f32_e32 v84, v79, v80
	v_xor_b32_e32 v83, 0x80000000, v80
	v_xor_b32_e32 v79, 0x80000000, v84
                                        ; implicit-def: $vgpr80
                                        ; implicit-def: $vgpr81
.LBB38_15:
	s_andn2_saveexec_b64 s[8:9], s[8:9]
	s_cbranch_execz .LBB38_17
; %bb.16:
	v_div_scale_f32 v79, s[12:13], v80, v80, v81
	v_div_scale_f32 v83, vcc, v81, v80, v81
	v_rcp_f32_e32 v84, v79
	v_fma_f32 v85, -v79, v84, 1.0
	v_fmac_f32_e32 v84, v85, v84
	v_mul_f32_e32 v85, v83, v84
	v_fma_f32 v86, -v79, v85, v83
	v_fmac_f32_e32 v85, v86, v84
	v_fma_f32 v79, -v79, v85, v83
	v_div_fmas_f32 v79, v79, v84, v85
	v_div_fixup_f32 v83, v79, v80, v81
	v_fmac_f32_e32 v80, v81, v83
	v_div_scale_f32 v79, s[12:13], v80, v80, 1.0
	v_div_scale_f32 v81, vcc, 1.0, v80, 1.0
	v_rcp_f32_e32 v84, v79
	v_fma_f32 v85, -v79, v84, 1.0
	v_fmac_f32_e32 v84, v85, v84
	v_mul_f32_e32 v85, v81, v84
	v_fma_f32 v86, -v79, v85, v81
	v_fmac_f32_e32 v85, v86, v84
	v_fma_f32 v79, -v79, v85, v81
	v_div_fmas_f32 v79, v79, v84, v85
	v_div_fixup_f32 v84, v79, v80, 1.0
	v_xor_b32_e32 v79, 0x80000000, v84
	v_mul_f32_e64 v83, v83, -v84
.LBB38_17:
	s_or_b64 exec, exec, s[8:9]
	buffer_store_dword v84, v82, s[0:3], 0 offen
	buffer_store_dword v83, v82, s[0:3], 0 offen offset:4
	buffer_load_dword v85, off, s[0:3], 0 offset:12
	s_nop 0
	buffer_load_dword v84, off, s[0:3], 0 offset:8
	v_xor_b32_e32 v80, 0x80000000, v83
	v_add_u32_e32 v81, 0x140, v121
	s_waitcnt vmcnt(0)
	ds_write2_b64 v121, v[79:80], v[84:85] offset1:40
	s_waitcnt lgkmcnt(0)
	; wave barrier
	s_and_saveexec_b64 s[8:9], s[4:5]
	s_cbranch_execz .LBB38_19
; %bb.18:
	buffer_load_dword v85, v82, s[0:3], 0 offen offset:4
	buffer_load_dword v86, v82, s[0:3], 0 offen
	ds_read_b64 v[79:80], v81
	v_mov_b32_e32 v83, 0
	ds_read_b64 v[83:84], v83 offset:8
	s_waitcnt vmcnt(1) lgkmcnt(1)
	v_mul_f32_e32 v87, v80, v85
	v_mul_f32_e32 v85, v79, v85
	s_waitcnt vmcnt(0)
	v_fmac_f32_e32 v85, v80, v86
	v_fma_f32 v79, v79, v86, -v87
	v_add_f32_e32 v80, 0, v85
	v_add_f32_e32 v79, 0, v79
	s_waitcnt lgkmcnt(0)
	v_mul_f32_e32 v85, v80, v84
	v_mul_f32_e32 v84, v79, v84
	v_fma_f32 v79, v79, v83, -v85
	v_fmac_f32_e32 v84, v80, v83
	buffer_store_dword v79, off, s[0:3], 0 offset:8
	buffer_store_dword v84, off, s[0:3], 0 offset:12
.LBB38_19:
	s_or_b64 exec, exec, s[8:9]
	; wave barrier
	buffer_load_dword v79, off, s[0:3], 0 offset:16
	buffer_load_dword v80, off, s[0:3], 0 offset:20
	v_cmp_gt_u32_e32 vcc, 2, v0
	s_waitcnt vmcnt(0)
	ds_write_b64 v81, v[79:80]
	s_waitcnt lgkmcnt(0)
	; wave barrier
	s_and_saveexec_b64 s[8:9], vcc
	s_cbranch_execz .LBB38_23
; %bb.20:
	buffer_load_dword v83, v82, s[0:3], 0 offen offset:4
	buffer_load_dword v84, v82, s[0:3], 0 offen
	ds_read_b64 v[79:80], v81
	s_waitcnt vmcnt(1) lgkmcnt(0)
	v_mul_f32_e32 v82, v80, v83
	v_mul_f32_e32 v83, v79, v83
	s_waitcnt vmcnt(0)
	v_fma_f32 v79, v79, v84, -v82
	v_fmac_f32_e32 v83, v80, v84
	v_add_f32_e32 v80, 0, v79
	v_add_f32_e32 v79, 0, v83
	s_and_saveexec_b64 s[12:13], s[4:5]
	s_cbranch_execz .LBB38_22
; %bb.21:
	buffer_load_dword v84, off, s[0:3], 0 offset:12
	buffer_load_dword v85, off, s[0:3], 0 offset:8
	v_mov_b32_e32 v82, 0
	ds_read_b64 v[82:83], v82 offset:328
	s_waitcnt vmcnt(1) lgkmcnt(0)
	v_mul_f32_e32 v86, v82, v84
	v_mul_f32_e32 v84, v83, v84
	s_waitcnt vmcnt(0)
	v_fmac_f32_e32 v86, v83, v85
	v_fma_f32 v82, v82, v85, -v84
	v_add_f32_e32 v79, v79, v86
	v_add_f32_e32 v80, v80, v82
.LBB38_22:
	s_or_b64 exec, exec, s[12:13]
	v_mov_b32_e32 v82, 0
	ds_read_b64 v[82:83], v82 offset:16
	s_waitcnt lgkmcnt(0)
	v_mul_f32_e32 v84, v79, v83
	v_mul_f32_e32 v83, v80, v83
	v_fma_f32 v80, v80, v82, -v84
	v_fmac_f32_e32 v83, v79, v82
	buffer_store_dword v80, off, s[0:3], 0 offset:16
	buffer_store_dword v83, off, s[0:3], 0 offset:20
.LBB38_23:
	s_or_b64 exec, exec, s[8:9]
	; wave barrier
	buffer_load_dword v79, off, s[0:3], 0 offset:24
	buffer_load_dword v80, off, s[0:3], 0 offset:28
	v_cmp_gt_u32_e32 vcc, 3, v0
	s_waitcnt vmcnt(0)
	ds_write_b64 v81, v[79:80]
	v_add_u32_e32 v79, -1, v0
	s_waitcnt lgkmcnt(0)
	; wave barrier
	s_and_saveexec_b64 s[4:5], vcc
	s_cbranch_execz .LBB38_27
; %bb.24:
	v_add_u32_e32 v82, -1, v0
	v_add_u32_e32 v83, 0x140, v121
	v_mov_b32_e32 v84, v121
	v_mov_b32_e32 v80, 0
	s_mov_b64 s[8:9], 0
	v_mov_b32_e32 v85, 0
.LBB38_25:                              ; =>This Inner Loop Header: Depth=1
	buffer_load_dword v88, v84, s[0:3], 0 offen offset:4
	buffer_load_dword v89, v84, s[0:3], 0 offen
	ds_read_b64 v[86:87], v83
	v_add_u32_e32 v82, 1, v82
	v_cmp_lt_u32_e32 vcc, 1, v82
	v_add_u32_e32 v83, 8, v83
	v_add_u32_e32 v84, 8, v84
	s_or_b64 s[8:9], vcc, s[8:9]
	s_waitcnt vmcnt(1) lgkmcnt(0)
	v_mul_f32_e32 v90, v87, v88
	v_mul_f32_e32 v88, v86, v88
	s_waitcnt vmcnt(0)
	v_fma_f32 v86, v86, v89, -v90
	v_fmac_f32_e32 v88, v87, v89
	v_add_f32_e32 v85, v85, v86
	v_add_f32_e32 v80, v80, v88
	s_andn2_b64 exec, exec, s[8:9]
	s_cbranch_execnz .LBB38_25
; %bb.26:
	s_or_b64 exec, exec, s[8:9]
	v_mov_b32_e32 v82, 0
	ds_read_b64 v[82:83], v82 offset:24
	s_waitcnt lgkmcnt(0)
	v_mul_f32_e32 v84, v80, v83
	v_mul_f32_e32 v83, v85, v83
	v_fma_f32 v84, v85, v82, -v84
	v_fmac_f32_e32 v83, v80, v82
	buffer_store_dword v84, off, s[0:3], 0 offset:24
	buffer_store_dword v83, off, s[0:3], 0 offset:28
.LBB38_27:
	s_or_b64 exec, exec, s[4:5]
	; wave barrier
	buffer_load_dword v82, off, s[0:3], 0 offset:32
	buffer_load_dword v83, off, s[0:3], 0 offset:36
	v_cmp_gt_u32_e32 vcc, 4, v0
	s_waitcnt vmcnt(0)
	ds_write_b64 v81, v[82:83]
	s_waitcnt lgkmcnt(0)
	; wave barrier
	s_and_saveexec_b64 s[4:5], vcc
	s_cbranch_execz .LBB38_31
; %bb.28:
	v_add_u32_e32 v82, -1, v0
	v_add_u32_e32 v83, 0x140, v121
	v_mov_b32_e32 v84, v121
	v_mov_b32_e32 v80, 0
	s_mov_b64 s[8:9], 0
	v_mov_b32_e32 v85, 0
.LBB38_29:                              ; =>This Inner Loop Header: Depth=1
	buffer_load_dword v88, v84, s[0:3], 0 offen offset:4
	buffer_load_dword v89, v84, s[0:3], 0 offen
	ds_read_b64 v[86:87], v83
	v_add_u32_e32 v82, 1, v82
	v_cmp_lt_u32_e32 vcc, 2, v82
	v_add_u32_e32 v83, 8, v83
	v_add_u32_e32 v84, 8, v84
	s_or_b64 s[8:9], vcc, s[8:9]
	s_waitcnt vmcnt(1) lgkmcnt(0)
	v_mul_f32_e32 v90, v87, v88
	v_mul_f32_e32 v88, v86, v88
	s_waitcnt vmcnt(0)
	v_fma_f32 v86, v86, v89, -v90
	v_fmac_f32_e32 v88, v87, v89
	v_add_f32_e32 v85, v85, v86
	v_add_f32_e32 v80, v80, v88
	s_andn2_b64 exec, exec, s[8:9]
	s_cbranch_execnz .LBB38_29
; %bb.30:
	s_or_b64 exec, exec, s[8:9]
	v_mov_b32_e32 v82, 0
	ds_read_b64 v[82:83], v82 offset:32
	s_waitcnt lgkmcnt(0)
	v_mul_f32_e32 v84, v80, v83
	v_mul_f32_e32 v83, v85, v83
	v_fma_f32 v84, v85, v82, -v84
	v_fmac_f32_e32 v83, v80, v82
	buffer_store_dword v84, off, s[0:3], 0 offset:32
	buffer_store_dword v83, off, s[0:3], 0 offset:36
.LBB38_31:
	s_or_b64 exec, exec, s[4:5]
	; wave barrier
	buffer_load_dword v82, off, s[0:3], 0 offset:40
	buffer_load_dword v83, off, s[0:3], 0 offset:44
	v_cmp_gt_u32_e32 vcc, 5, v0
	s_waitcnt vmcnt(0)
	ds_write_b64 v81, v[82:83]
	;; [unrolled: 49-line block ×19, first 2 shown]
	s_waitcnt lgkmcnt(0)
	; wave barrier
	s_and_saveexec_b64 s[4:5], vcc
	s_cbranch_execz .LBB38_103
; %bb.100:
	v_add_u32_e32 v82, -1, v0
	v_add_u32_e32 v83, 0x140, v121
	v_mov_b32_e32 v84, v121
	v_mov_b32_e32 v80, 0
	s_mov_b64 s[8:9], 0
	v_mov_b32_e32 v85, 0
.LBB38_101:                             ; =>This Inner Loop Header: Depth=1
	buffer_load_dword v88, v84, s[0:3], 0 offen offset:4
	buffer_load_dword v89, v84, s[0:3], 0 offen
	ds_read_b64 v[86:87], v83
	v_add_u32_e32 v82, 1, v82
	v_cmp_lt_u32_e32 vcc, 20, v82
	v_add_u32_e32 v83, 8, v83
	v_add_u32_e32 v84, 8, v84
	s_or_b64 s[8:9], vcc, s[8:9]
	s_waitcnt vmcnt(1) lgkmcnt(0)
	v_mul_f32_e32 v90, v87, v88
	v_mul_f32_e32 v88, v86, v88
	s_waitcnt vmcnt(0)
	v_fma_f32 v86, v86, v89, -v90
	v_fmac_f32_e32 v88, v87, v89
	v_add_f32_e32 v85, v85, v86
	v_add_f32_e32 v80, v80, v88
	s_andn2_b64 exec, exec, s[8:9]
	s_cbranch_execnz .LBB38_101
; %bb.102:
	s_or_b64 exec, exec, s[8:9]
	v_mov_b32_e32 v82, 0
	ds_read_b64 v[82:83], v82 offset:176
	s_waitcnt lgkmcnt(0)
	v_mul_f32_e32 v84, v80, v83
	v_mul_f32_e32 v83, v85, v83
	v_fma_f32 v84, v85, v82, -v84
	v_fmac_f32_e32 v83, v80, v82
	buffer_store_dword v84, off, s[0:3], 0 offset:176
	buffer_store_dword v83, off, s[0:3], 0 offset:180
.LBB38_103:
	s_or_b64 exec, exec, s[4:5]
	; wave barrier
	buffer_load_dword v82, off, s[0:3], 0 offset:184
	buffer_load_dword v83, off, s[0:3], 0 offset:188
	v_cmp_gt_u32_e32 vcc, 23, v0
	s_waitcnt vmcnt(0)
	ds_write_b64 v81, v[82:83]
	s_waitcnt lgkmcnt(0)
	; wave barrier
	s_and_saveexec_b64 s[4:5], vcc
	s_cbranch_execz .LBB38_107
; %bb.104:
	v_add_u32_e32 v82, -1, v0
	v_add_u32_e32 v83, 0x140, v121
	v_mov_b32_e32 v84, v121
	v_mov_b32_e32 v80, 0
	s_mov_b64 s[8:9], 0
	v_mov_b32_e32 v85, 0
.LBB38_105:                             ; =>This Inner Loop Header: Depth=1
	buffer_load_dword v88, v84, s[0:3], 0 offen offset:4
	buffer_load_dword v89, v84, s[0:3], 0 offen
	ds_read_b64 v[86:87], v83
	v_add_u32_e32 v82, 1, v82
	v_cmp_lt_u32_e32 vcc, 21, v82
	v_add_u32_e32 v83, 8, v83
	v_add_u32_e32 v84, 8, v84
	s_or_b64 s[8:9], vcc, s[8:9]
	s_waitcnt vmcnt(1) lgkmcnt(0)
	v_mul_f32_e32 v90, v87, v88
	v_mul_f32_e32 v88, v86, v88
	s_waitcnt vmcnt(0)
	v_fma_f32 v86, v86, v89, -v90
	v_fmac_f32_e32 v88, v87, v89
	v_add_f32_e32 v85, v85, v86
	v_add_f32_e32 v80, v80, v88
	s_andn2_b64 exec, exec, s[8:9]
	s_cbranch_execnz .LBB38_105
; %bb.106:
	s_or_b64 exec, exec, s[8:9]
	v_mov_b32_e32 v82, 0
	ds_read_b64 v[82:83], v82 offset:184
	s_waitcnt lgkmcnt(0)
	v_mul_f32_e32 v84, v80, v83
	v_mul_f32_e32 v83, v85, v83
	v_fma_f32 v84, v85, v82, -v84
	v_fmac_f32_e32 v83, v80, v82
	buffer_store_dword v84, off, s[0:3], 0 offset:184
	buffer_store_dword v83, off, s[0:3], 0 offset:188
.LBB38_107:
	s_or_b64 exec, exec, s[4:5]
	; wave barrier
	buffer_load_dword v82, off, s[0:3], 0 offset:192
	buffer_load_dword v83, off, s[0:3], 0 offset:196
	v_cmp_gt_u32_e32 vcc, 24, v0
	s_waitcnt vmcnt(0)
	ds_write_b64 v81, v[82:83]
	;; [unrolled: 49-line block ×15, first 2 shown]
	s_waitcnt lgkmcnt(0)
	; wave barrier
	s_and_saveexec_b64 s[4:5], vcc
	s_cbranch_execz .LBB38_163
; %bb.160:
	v_add_u32_e32 v82, -1, v0
	v_add_u32_e32 v83, 0x140, v121
	v_mov_b32_e32 v84, v121
	v_mov_b32_e32 v80, 0
	s_mov_b64 s[8:9], 0
	v_mov_b32_e32 v85, 0
.LBB38_161:                             ; =>This Inner Loop Header: Depth=1
	buffer_load_dword v88, v84, s[0:3], 0 offen offset:4
	buffer_load_dword v89, v84, s[0:3], 0 offen
	ds_read_b64 v[86:87], v83
	v_add_u32_e32 v82, 1, v82
	v_cmp_lt_u32_e32 vcc, 35, v82
	v_add_u32_e32 v83, 8, v83
	v_add_u32_e32 v84, 8, v84
	s_or_b64 s[8:9], vcc, s[8:9]
	s_waitcnt vmcnt(1) lgkmcnt(0)
	v_mul_f32_e32 v90, v87, v88
	v_mul_f32_e32 v88, v86, v88
	s_waitcnt vmcnt(0)
	v_fma_f32 v86, v86, v89, -v90
	v_fmac_f32_e32 v88, v87, v89
	v_add_f32_e32 v85, v85, v86
	v_add_f32_e32 v80, v80, v88
	s_andn2_b64 exec, exec, s[8:9]
	s_cbranch_execnz .LBB38_161
; %bb.162:
	s_or_b64 exec, exec, s[8:9]
	v_mov_b32_e32 v82, 0
	ds_read_b64 v[82:83], v82 offset:296
	s_waitcnt lgkmcnt(0)
	v_mul_f32_e32 v84, v80, v83
	v_mul_f32_e32 v83, v85, v83
	v_fma_f32 v84, v85, v82, -v84
	v_fmac_f32_e32 v83, v80, v82
	buffer_store_dword v84, off, s[0:3], 0 offset:296
	buffer_store_dword v83, off, s[0:3], 0 offset:300
.LBB38_163:
	s_or_b64 exec, exec, s[4:5]
	; wave barrier
	buffer_load_dword v82, off, s[0:3], 0 offset:304
	buffer_load_dword v83, off, s[0:3], 0 offset:308
	v_cmp_ne_u32_e32 vcc, 38, v0
	s_waitcnt vmcnt(0)
	ds_write_b64 v81, v[82:83]
	s_waitcnt lgkmcnt(0)
	; wave barrier
	s_and_saveexec_b64 s[4:5], vcc
	s_cbranch_execz .LBB38_167
; %bb.164:
	v_add_u32_e32 v81, 0x140, v121
	v_mov_b32_e32 v82, v121
	v_mov_b32_e32 v80, 0
	s_mov_b64 s[8:9], 0
	v_mov_b32_e32 v83, 0
.LBB38_165:                             ; =>This Inner Loop Header: Depth=1
	buffer_load_dword v86, v82, s[0:3], 0 offen offset:4
	buffer_load_dword v87, v82, s[0:3], 0 offen
	ds_read_b64 v[84:85], v81
	v_add_u32_e32 v79, 1, v79
	v_cmp_lt_u32_e32 vcc, 36, v79
	v_add_u32_e32 v81, 8, v81
	v_add_u32_e32 v82, 8, v82
	s_or_b64 s[8:9], vcc, s[8:9]
	s_waitcnt vmcnt(1) lgkmcnt(0)
	v_mul_f32_e32 v88, v85, v86
	v_mul_f32_e32 v86, v84, v86
	s_waitcnt vmcnt(0)
	v_fma_f32 v84, v84, v87, -v88
	v_fmac_f32_e32 v86, v85, v87
	v_add_f32_e32 v83, v83, v84
	v_add_f32_e32 v80, v80, v86
	s_andn2_b64 exec, exec, s[8:9]
	s_cbranch_execnz .LBB38_165
; %bb.166:
	s_or_b64 exec, exec, s[8:9]
	v_mov_b32_e32 v79, 0
	ds_read_b64 v[81:82], v79 offset:304
	s_waitcnt lgkmcnt(0)
	v_mul_f32_e32 v79, v80, v82
	v_mul_f32_e32 v82, v83, v82
	v_fma_f32 v79, v83, v81, -v79
	v_fmac_f32_e32 v82, v80, v81
	buffer_store_dword v79, off, s[0:3], 0 offset:304
	buffer_store_dword v82, off, s[0:3], 0 offset:308
.LBB38_167:
	s_or_b64 exec, exec, s[4:5]
	s_mov_b64 s[8:9], -1
	; wave barrier
.LBB38_168:
	s_and_b64 vcc, exec, s[8:9]
	s_cbranch_vccz .LBB38_170
; %bb.169:
	s_lshl_b64 s[4:5], s[6:7], 2
	s_add_u32 s4, s10, s4
	s_addc_u32 s5, s11, s5
	v_mov_b32_e32 v79, 0
	global_load_dword v79, v79, s[4:5]
	s_waitcnt vmcnt(0)
	v_cmp_ne_u32_e32 vcc, 0, v79
	s_cbranch_vccz .LBB38_171
.LBB38_170:
	s_endpgm
.LBB38_171:
	v_mov_b32_e32 v79, 0x140
	v_lshl_add_u32 v79, v0, 3, v79
	v_cmp_eq_u32_e32 vcc, 38, v0
	s_and_saveexec_b64 s[4:5], vcc
	s_cbranch_execz .LBB38_173
; %bb.172:
	buffer_load_dword v80, off, s[0:3], 0 offset:296
	buffer_load_dword v81, off, s[0:3], 0 offset:300
	v_mov_b32_e32 v82, 0
	buffer_store_dword v82, off, s[0:3], 0 offset:296
	buffer_store_dword v82, off, s[0:3], 0 offset:300
	s_waitcnt vmcnt(2)
	ds_write_b64 v79, v[80:81]
.LBB38_173:
	s_or_b64 exec, exec, s[4:5]
	s_waitcnt lgkmcnt(0)
	; wave barrier
	buffer_load_dword v83, off, s[0:3], 0 offset:308
	buffer_load_dword v84, off, s[0:3], 0 offset:304
	;; [unrolled: 1-line block ×4, first 2 shown]
	v_mov_b32_e32 v80, 0
	ds_read_b64 v[81:82], v80 offset:624
	v_cmp_lt_u32_e32 vcc, 36, v0
	s_waitcnt vmcnt(3) lgkmcnt(0)
	v_mul_f32_e32 v87, v81, v83
	v_mul_f32_e32 v83, v82, v83
	s_waitcnt vmcnt(2)
	v_fma_f32 v81, v81, v84, -v83
	v_fmac_f32_e32 v87, v82, v84
	v_add_f32_e32 v81, 0, v81
	v_add_f32_e32 v82, 0, v87
	s_waitcnt vmcnt(1)
	v_sub_f32_e32 v81, v85, v81
	s_waitcnt vmcnt(0)
	v_sub_f32_e32 v82, v86, v82
	buffer_store_dword v81, off, s[0:3], 0 offset:296
	buffer_store_dword v82, off, s[0:3], 0 offset:300
	s_and_saveexec_b64 s[4:5], vcc
	s_cbranch_execz .LBB38_175
; %bb.174:
	buffer_load_dword v81, off, s[0:3], 0 offset:288
	buffer_load_dword v82, off, s[0:3], 0 offset:292
	s_waitcnt vmcnt(0)
	ds_write_b64 v79, v[81:82]
	buffer_store_dword v80, off, s[0:3], 0 offset:288
	buffer_store_dword v80, off, s[0:3], 0 offset:292
.LBB38_175:
	s_or_b64 exec, exec, s[4:5]
	s_waitcnt lgkmcnt(0)
	; wave barrier
	buffer_load_dword v84, off, s[0:3], 0 offset:300
	buffer_load_dword v85, off, s[0:3], 0 offset:308
	;; [unrolled: 1-line block ×6, first 2 shown]
	ds_read2_b64 v[80:83], v80 offset0:77 offset1:78
	v_cmp_lt_u32_e32 vcc, 35, v0
	s_waitcnt vmcnt(5) lgkmcnt(0)
	v_mul_f32_e32 v90, v80, v84
	v_mul_f32_e32 v84, v81, v84
	s_waitcnt vmcnt(4)
	v_mul_f32_e32 v91, v82, v85
	v_mul_f32_e32 v85, v83, v85
	s_waitcnt vmcnt(3)
	v_fma_f32 v80, v80, v86, -v84
	v_fmac_f32_e32 v90, v81, v86
	s_waitcnt vmcnt(2)
	v_fma_f32 v81, v82, v87, -v85
	v_add_f32_e32 v80, 0, v80
	v_fmac_f32_e32 v91, v83, v87
	v_add_f32_e32 v82, 0, v90
	v_add_f32_e32 v80, v80, v81
	;; [unrolled: 1-line block ×3, first 2 shown]
	s_waitcnt vmcnt(1)
	v_sub_f32_e32 v80, v88, v80
	s_waitcnt vmcnt(0)
	v_sub_f32_e32 v81, v89, v82
	buffer_store_dword v80, off, s[0:3], 0 offset:288
	buffer_store_dword v81, off, s[0:3], 0 offset:292
	s_and_saveexec_b64 s[4:5], vcc
	s_cbranch_execz .LBB38_177
; %bb.176:
	buffer_load_dword v80, off, s[0:3], 0 offset:280
	buffer_load_dword v81, off, s[0:3], 0 offset:284
	v_mov_b32_e32 v82, 0
	buffer_store_dword v82, off, s[0:3], 0 offset:280
	buffer_store_dword v82, off, s[0:3], 0 offset:284
	s_waitcnt vmcnt(2)
	ds_write_b64 v79, v[80:81]
.LBB38_177:
	s_or_b64 exec, exec, s[4:5]
	s_waitcnt lgkmcnt(0)
	; wave barrier
	buffer_load_dword v87, off, s[0:3], 0 offset:292
	buffer_load_dword v88, off, s[0:3], 0 offset:300
	;; [unrolled: 1-line block ×8, first 2 shown]
	v_mov_b32_e32 v80, 0
	ds_read_b128 v[81:84], v80 offset:608
	ds_read_b64 v[85:86], v80 offset:624
	v_cmp_lt_u32_e32 vcc, 34, v0
	s_waitcnt vmcnt(7) lgkmcnt(1)
	v_mul_f32_e32 v95, v81, v87
	v_mul_f32_e32 v87, v82, v87
	s_waitcnt vmcnt(6)
	v_mul_f32_e32 v96, v83, v88
	v_mul_f32_e32 v88, v84, v88
	s_waitcnt vmcnt(4)
	v_fma_f32 v81, v81, v90, -v87
	s_waitcnt lgkmcnt(0)
	v_mul_f32_e32 v97, v85, v89
	v_mul_f32_e32 v89, v86, v89
	v_fmac_f32_e32 v95, v82, v90
	s_waitcnt vmcnt(3)
	v_fma_f32 v82, v83, v91, -v88
	v_add_f32_e32 v81, 0, v81
	v_fmac_f32_e32 v96, v84, v91
	s_waitcnt vmcnt(2)
	v_fma_f32 v83, v85, v92, -v89
	v_add_f32_e32 v84, 0, v95
	v_add_f32_e32 v81, v81, v82
	v_fmac_f32_e32 v97, v86, v92
	v_add_f32_e32 v84, v84, v96
	v_add_f32_e32 v81, v81, v83
	;; [unrolled: 1-line block ×3, first 2 shown]
	s_waitcnt vmcnt(1)
	v_sub_f32_e32 v81, v93, v81
	s_waitcnt vmcnt(0)
	v_sub_f32_e32 v82, v94, v82
	buffer_store_dword v81, off, s[0:3], 0 offset:280
	buffer_store_dword v82, off, s[0:3], 0 offset:284
	s_and_saveexec_b64 s[4:5], vcc
	s_cbranch_execz .LBB38_179
; %bb.178:
	buffer_load_dword v81, off, s[0:3], 0 offset:272
	buffer_load_dword v82, off, s[0:3], 0 offset:276
	s_waitcnt vmcnt(0)
	ds_write_b64 v79, v[81:82]
	buffer_store_dword v80, off, s[0:3], 0 offset:272
	buffer_store_dword v80, off, s[0:3], 0 offset:276
.LBB38_179:
	s_or_b64 exec, exec, s[4:5]
	s_waitcnt lgkmcnt(0)
	; wave barrier
	buffer_load_dword v89, off, s[0:3], 0 offset:284
	buffer_load_dword v90, off, s[0:3], 0 offset:292
	buffer_load_dword v91, off, s[0:3], 0 offset:300
	buffer_load_dword v92, off, s[0:3], 0 offset:308
	buffer_load_dword v93, off, s[0:3], 0 offset:280
	buffer_load_dword v94, off, s[0:3], 0 offset:288
	buffer_load_dword v95, off, s[0:3], 0 offset:296
	buffer_load_dword v96, off, s[0:3], 0 offset:304
	buffer_load_dword v97, off, s[0:3], 0 offset:272
	buffer_load_dword v98, off, s[0:3], 0 offset:276
	ds_read2_b64 v[81:84], v80 offset0:75 offset1:76
	ds_read2_b64 v[85:88], v80 offset0:77 offset1:78
	v_cmp_lt_u32_e32 vcc, 33, v0
	s_waitcnt vmcnt(9) lgkmcnt(1)
	v_mul_f32_e32 v80, v81, v89
	v_mul_f32_e32 v89, v82, v89
	s_waitcnt vmcnt(8)
	v_mul_f32_e32 v99, v83, v90
	v_mul_f32_e32 v90, v84, v90
	s_waitcnt vmcnt(5)
	v_fma_f32 v81, v81, v93, -v89
	s_waitcnt lgkmcnt(0)
	v_mul_f32_e32 v100, v85, v91
	v_mul_f32_e32 v91, v86, v91
	v_fmac_f32_e32 v80, v82, v93
	s_waitcnt vmcnt(4)
	v_fma_f32 v82, v83, v94, -v90
	v_add_f32_e32 v81, 0, v81
	v_mul_f32_e32 v101, v87, v92
	v_mul_f32_e32 v92, v88, v92
	v_fmac_f32_e32 v99, v84, v94
	s_waitcnt vmcnt(3)
	v_fma_f32 v83, v85, v95, -v91
	v_add_f32_e32 v80, 0, v80
	v_add_f32_e32 v81, v81, v82
	v_fmac_f32_e32 v100, v86, v95
	s_waitcnt vmcnt(2)
	v_fma_f32 v84, v87, v96, -v92
	v_add_f32_e32 v80, v80, v99
	v_add_f32_e32 v81, v81, v83
	v_fmac_f32_e32 v101, v88, v96
	v_add_f32_e32 v80, v80, v100
	v_add_f32_e32 v81, v81, v84
	;; [unrolled: 1-line block ×3, first 2 shown]
	s_waitcnt vmcnt(1)
	v_sub_f32_e32 v81, v97, v81
	s_waitcnt vmcnt(0)
	v_sub_f32_e32 v80, v98, v80
	buffer_store_dword v81, off, s[0:3], 0 offset:272
	buffer_store_dword v80, off, s[0:3], 0 offset:276
	s_and_saveexec_b64 s[4:5], vcc
	s_cbranch_execz .LBB38_181
; %bb.180:
	buffer_load_dword v80, off, s[0:3], 0 offset:264
	buffer_load_dword v81, off, s[0:3], 0 offset:268
	v_mov_b32_e32 v82, 0
	buffer_store_dword v82, off, s[0:3], 0 offset:264
	buffer_store_dword v82, off, s[0:3], 0 offset:268
	s_waitcnt vmcnt(2)
	ds_write_b64 v79, v[80:81]
.LBB38_181:
	s_or_b64 exec, exec, s[4:5]
	s_waitcnt lgkmcnt(0)
	; wave barrier
	buffer_load_dword v91, off, s[0:3], 0 offset:276
	buffer_load_dword v92, off, s[0:3], 0 offset:284
	buffer_load_dword v93, off, s[0:3], 0 offset:292
	buffer_load_dword v94, off, s[0:3], 0 offset:300
	buffer_load_dword v95, off, s[0:3], 0 offset:308
	buffer_load_dword v96, off, s[0:3], 0 offset:272
	buffer_load_dword v97, off, s[0:3], 0 offset:280
	buffer_load_dword v98, off, s[0:3], 0 offset:288
	buffer_load_dword v99, off, s[0:3], 0 offset:296
	buffer_load_dword v100, off, s[0:3], 0 offset:304
	buffer_load_dword v101, off, s[0:3], 0 offset:264
	buffer_load_dword v102, off, s[0:3], 0 offset:268
	v_mov_b32_e32 v80, 0
	ds_read_b128 v[81:84], v80 offset:592
	ds_read_b128 v[85:88], v80 offset:608
	ds_read_b64 v[89:90], v80 offset:624
	v_cmp_lt_u32_e32 vcc, 32, v0
	s_waitcnt vmcnt(11) lgkmcnt(2)
	v_mul_f32_e32 v103, v81, v91
	v_mul_f32_e32 v91, v82, v91
	s_waitcnt vmcnt(10)
	v_mul_f32_e32 v104, v83, v92
	v_mul_f32_e32 v92, v84, v92
	s_waitcnt vmcnt(9) lgkmcnt(1)
	v_mul_f32_e32 v105, v85, v93
	s_waitcnt vmcnt(6)
	v_fma_f32 v81, v81, v96, -v91
	v_mul_f32_e32 v93, v86, v93
	v_fmac_f32_e32 v103, v82, v96
	s_waitcnt vmcnt(5)
	v_fma_f32 v82, v83, v97, -v92
	v_add_f32_e32 v81, 0, v81
	v_mul_f32_e32 v106, v87, v94
	v_mul_f32_e32 v94, v88, v94
	v_fmac_f32_e32 v104, v84, v97
	s_waitcnt vmcnt(4)
	v_fmac_f32_e32 v105, v86, v98
	v_fma_f32 v83, v85, v98, -v93
	v_add_f32_e32 v86, 0, v103
	v_add_f32_e32 v81, v81, v82
	s_waitcnt lgkmcnt(0)
	v_mul_f32_e32 v107, v89, v95
	v_mul_f32_e32 v95, v90, v95
	s_waitcnt vmcnt(3)
	v_fma_f32 v84, v87, v99, -v94
	v_add_f32_e32 v86, v86, v104
	v_add_f32_e32 v81, v81, v83
	v_fmac_f32_e32 v106, v88, v99
	s_waitcnt vmcnt(2)
	v_fma_f32 v85, v89, v100, -v95
	v_add_f32_e32 v82, v86, v105
	v_add_f32_e32 v81, v81, v84
	v_fmac_f32_e32 v107, v90, v100
	v_add_f32_e32 v82, v82, v106
	v_add_f32_e32 v81, v81, v85
	;; [unrolled: 1-line block ×3, first 2 shown]
	s_waitcnt vmcnt(1)
	v_sub_f32_e32 v81, v101, v81
	s_waitcnt vmcnt(0)
	v_sub_f32_e32 v82, v102, v82
	buffer_store_dword v81, off, s[0:3], 0 offset:264
	buffer_store_dword v82, off, s[0:3], 0 offset:268
	s_and_saveexec_b64 s[4:5], vcc
	s_cbranch_execz .LBB38_183
; %bb.182:
	buffer_load_dword v81, off, s[0:3], 0 offset:256
	buffer_load_dword v82, off, s[0:3], 0 offset:260
	s_waitcnt vmcnt(0)
	ds_write_b64 v79, v[81:82]
	buffer_store_dword v80, off, s[0:3], 0 offset:256
	buffer_store_dword v80, off, s[0:3], 0 offset:260
.LBB38_183:
	s_or_b64 exec, exec, s[4:5]
	s_waitcnt lgkmcnt(0)
	; wave barrier
	buffer_load_dword v93, off, s[0:3], 0 offset:268
	buffer_load_dword v94, off, s[0:3], 0 offset:276
	;; [unrolled: 1-line block ×14, first 2 shown]
	ds_read2_b64 v[81:84], v80 offset0:73 offset1:74
	ds_read2_b64 v[85:88], v80 offset0:75 offset1:76
	ds_read2_b64 v[89:92], v80 offset0:77 offset1:78
	v_cmp_lt_u32_e32 vcc, 31, v0
	s_waitcnt vmcnt(13) lgkmcnt(2)
	v_mul_f32_e32 v80, v81, v93
	v_mul_f32_e32 v93, v82, v93
	s_waitcnt vmcnt(12)
	v_mul_f32_e32 v107, v83, v94
	v_mul_f32_e32 v94, v84, v94
	s_waitcnt vmcnt(11) lgkmcnt(1)
	v_mul_f32_e32 v108, v85, v95
	v_mul_f32_e32 v95, v86, v95
	s_waitcnt vmcnt(7)
	v_fma_f32 v81, v81, v99, -v93
	v_fmac_f32_e32 v80, v82, v99
	s_waitcnt vmcnt(6)
	v_fma_f32 v82, v83, v100, -v94
	v_add_f32_e32 v81, 0, v81
	v_mul_f32_e32 v109, v87, v96
	v_mul_f32_e32 v96, v88, v96
	v_fmac_f32_e32 v107, v84, v100
	s_waitcnt vmcnt(5)
	v_fma_f32 v83, v85, v101, -v95
	v_add_f32_e32 v80, 0, v80
	v_add_f32_e32 v81, v81, v82
	s_waitcnt lgkmcnt(0)
	v_mul_f32_e32 v110, v89, v97
	v_mul_f32_e32 v97, v90, v97
	v_fmac_f32_e32 v108, v86, v101
	s_waitcnt vmcnt(4)
	v_fma_f32 v84, v87, v102, -v96
	v_add_f32_e32 v80, v80, v107
	v_add_f32_e32 v81, v81, v83
	v_mul_f32_e32 v111, v91, v98
	v_mul_f32_e32 v98, v92, v98
	v_fmac_f32_e32 v109, v88, v102
	s_waitcnt vmcnt(3)
	v_fma_f32 v85, v89, v103, -v97
	v_add_f32_e32 v80, v80, v108
	v_add_f32_e32 v81, v81, v84
	v_fmac_f32_e32 v110, v90, v103
	s_waitcnt vmcnt(2)
	v_fma_f32 v86, v91, v104, -v98
	v_add_f32_e32 v80, v80, v109
	v_add_f32_e32 v81, v81, v85
	v_fmac_f32_e32 v111, v92, v104
	v_add_f32_e32 v80, v80, v110
	v_add_f32_e32 v81, v81, v86
	;; [unrolled: 1-line block ×3, first 2 shown]
	s_waitcnt vmcnt(1)
	v_sub_f32_e32 v81, v105, v81
	s_waitcnt vmcnt(0)
	v_sub_f32_e32 v80, v106, v80
	buffer_store_dword v81, off, s[0:3], 0 offset:256
	buffer_store_dword v80, off, s[0:3], 0 offset:260
	s_and_saveexec_b64 s[4:5], vcc
	s_cbranch_execz .LBB38_185
; %bb.184:
	buffer_load_dword v80, off, s[0:3], 0 offset:248
	buffer_load_dword v81, off, s[0:3], 0 offset:252
	v_mov_b32_e32 v82, 0
	buffer_store_dword v82, off, s[0:3], 0 offset:248
	buffer_store_dword v82, off, s[0:3], 0 offset:252
	s_waitcnt vmcnt(2)
	ds_write_b64 v79, v[80:81]
.LBB38_185:
	s_or_b64 exec, exec, s[4:5]
	s_waitcnt lgkmcnt(0)
	; wave barrier
	buffer_load_dword v95, off, s[0:3], 0 offset:260
	buffer_load_dword v96, off, s[0:3], 0 offset:268
	;; [unrolled: 1-line block ×16, first 2 shown]
	v_mov_b32_e32 v80, 0
	ds_read_b128 v[81:84], v80 offset:576
	ds_read_b128 v[85:88], v80 offset:592
	;; [unrolled: 1-line block ×3, first 2 shown]
	ds_read_b64 v[93:94], v80 offset:624
	v_cmp_lt_u32_e32 vcc, 30, v0
	s_waitcnt vmcnt(15) lgkmcnt(3)
	v_mul_f32_e32 v111, v81, v95
	v_mul_f32_e32 v95, v82, v95
	s_waitcnt vmcnt(14)
	v_mul_f32_e32 v112, v83, v96
	v_mul_f32_e32 v96, v84, v96
	s_waitcnt vmcnt(13) lgkmcnt(2)
	v_mul_f32_e32 v113, v85, v97
	s_waitcnt vmcnt(12)
	v_mul_f32_e32 v114, v87, v98
	v_mul_f32_e32 v97, v86, v97
	s_waitcnt vmcnt(8)
	v_fma_f32 v81, v81, v102, -v95
	v_fmac_f32_e32 v111, v82, v102
	s_waitcnt vmcnt(7)
	v_fma_f32 v82, v83, v103, -v96
	v_add_f32_e32 v81, 0, v81
	v_mul_f32_e32 v98, v88, v98
	v_fmac_f32_e32 v112, v84, v103
	s_waitcnt vmcnt(5)
	v_fmac_f32_e32 v114, v88, v105
	v_fma_f32 v83, v85, v104, -v97
	v_add_f32_e32 v88, 0, v111
	v_add_f32_e32 v81, v81, v82
	s_waitcnt lgkmcnt(1)
	v_mul_f32_e32 v115, v89, v99
	v_mul_f32_e32 v99, v90, v99
	v_fmac_f32_e32 v113, v86, v104
	v_fma_f32 v84, v87, v105, -v98
	v_add_f32_e32 v88, v88, v112
	v_add_f32_e32 v81, v81, v83
	v_mul_f32_e32 v116, v91, v100
	v_mul_f32_e32 v100, v92, v100
	s_waitcnt vmcnt(4)
	v_fma_f32 v85, v89, v106, -v99
	v_add_f32_e32 v82, v88, v113
	v_add_f32_e32 v81, v81, v84
	s_waitcnt lgkmcnt(0)
	v_mul_f32_e32 v117, v93, v101
	v_mul_f32_e32 v101, v94, v101
	v_fmac_f32_e32 v115, v90, v106
	s_waitcnt vmcnt(3)
	v_fma_f32 v86, v91, v107, -v100
	v_add_f32_e32 v82, v82, v114
	v_add_f32_e32 v81, v81, v85
	v_fmac_f32_e32 v116, v92, v107
	s_waitcnt vmcnt(2)
	v_fma_f32 v87, v93, v108, -v101
	v_add_f32_e32 v82, v82, v115
	v_add_f32_e32 v81, v81, v86
	v_fmac_f32_e32 v117, v94, v108
	v_add_f32_e32 v82, v82, v116
	v_add_f32_e32 v81, v81, v87
	;; [unrolled: 1-line block ×3, first 2 shown]
	s_waitcnt vmcnt(1)
	v_sub_f32_e32 v81, v109, v81
	s_waitcnt vmcnt(0)
	v_sub_f32_e32 v82, v110, v82
	buffer_store_dword v81, off, s[0:3], 0 offset:248
	buffer_store_dword v82, off, s[0:3], 0 offset:252
	s_and_saveexec_b64 s[4:5], vcc
	s_cbranch_execz .LBB38_187
; %bb.186:
	buffer_load_dword v81, off, s[0:3], 0 offset:240
	buffer_load_dword v82, off, s[0:3], 0 offset:244
	s_waitcnt vmcnt(0)
	ds_write_b64 v79, v[81:82]
	buffer_store_dword v80, off, s[0:3], 0 offset:240
	buffer_store_dword v80, off, s[0:3], 0 offset:244
.LBB38_187:
	s_or_b64 exec, exec, s[4:5]
	s_waitcnt lgkmcnt(0)
	; wave barrier
	buffer_load_dword v97, off, s[0:3], 0 offset:252
	buffer_load_dword v98, off, s[0:3], 0 offset:260
	;; [unrolled: 1-line block ×18, first 2 shown]
	ds_read2_b64 v[81:84], v80 offset0:71 offset1:72
	ds_read2_b64 v[85:88], v80 offset0:73 offset1:74
	;; [unrolled: 1-line block ×4, first 2 shown]
	v_cmp_lt_u32_e32 vcc, 29, v0
	s_waitcnt vmcnt(17) lgkmcnt(3)
	v_mul_f32_e32 v80, v81, v97
	v_mul_f32_e32 v97, v82, v97
	s_waitcnt vmcnt(16)
	v_mul_f32_e32 v115, v83, v98
	v_mul_f32_e32 v98, v84, v98
	s_waitcnt vmcnt(15) lgkmcnt(2)
	v_mul_f32_e32 v116, v85, v99
	v_mul_f32_e32 v99, v86, v99
	s_waitcnt vmcnt(14)
	v_mul_f32_e32 v117, v87, v100
	v_mul_f32_e32 v100, v88, v100
	s_waitcnt vmcnt(9)
	v_fma_f32 v81, v81, v105, -v97
	v_fmac_f32_e32 v80, v82, v105
	s_waitcnt vmcnt(8)
	v_fma_f32 v82, v83, v106, -v98
	v_add_f32_e32 v81, 0, v81
	v_fmac_f32_e32 v115, v84, v106
	s_waitcnt vmcnt(7)
	v_fma_f32 v83, v85, v107, -v99
	v_add_f32_e32 v80, 0, v80
	v_add_f32_e32 v81, v81, v82
	s_waitcnt lgkmcnt(1)
	v_mul_f32_e32 v118, v89, v101
	v_mul_f32_e32 v101, v90, v101
	v_fmac_f32_e32 v116, v86, v107
	s_waitcnt vmcnt(6)
	v_fma_f32 v84, v87, v108, -v100
	v_add_f32_e32 v80, v80, v115
	v_add_f32_e32 v81, v81, v83
	v_mul_f32_e32 v119, v91, v102
	v_mul_f32_e32 v102, v92, v102
	v_fmac_f32_e32 v117, v88, v108
	s_waitcnt vmcnt(5)
	v_fma_f32 v85, v89, v109, -v101
	v_add_f32_e32 v80, v80, v116
	v_add_f32_e32 v81, v81, v84
	s_waitcnt lgkmcnt(0)
	v_mul_f32_e32 v120, v93, v103
	v_mul_f32_e32 v103, v94, v103
	v_fmac_f32_e32 v118, v90, v109
	s_waitcnt vmcnt(4)
	v_fma_f32 v86, v91, v110, -v102
	v_add_f32_e32 v80, v80, v117
	v_add_f32_e32 v81, v81, v85
	v_mul_f32_e32 v121, v95, v104
	v_mul_f32_e32 v104, v96, v104
	v_fmac_f32_e32 v119, v92, v110
	s_waitcnt vmcnt(3)
	v_fma_f32 v87, v93, v111, -v103
	v_add_f32_e32 v80, v80, v118
	v_add_f32_e32 v81, v81, v86
	v_fmac_f32_e32 v120, v94, v111
	s_waitcnt vmcnt(2)
	v_fma_f32 v88, v95, v112, -v104
	v_add_f32_e32 v80, v80, v119
	v_add_f32_e32 v81, v81, v87
	v_fmac_f32_e32 v121, v96, v112
	v_add_f32_e32 v80, v80, v120
	v_add_f32_e32 v81, v81, v88
	;; [unrolled: 1-line block ×3, first 2 shown]
	s_waitcnt vmcnt(1)
	v_sub_f32_e32 v81, v113, v81
	s_waitcnt vmcnt(0)
	v_sub_f32_e32 v80, v114, v80
	buffer_store_dword v81, off, s[0:3], 0 offset:240
	buffer_store_dword v80, off, s[0:3], 0 offset:244
	s_and_saveexec_b64 s[4:5], vcc
	s_cbranch_execz .LBB38_189
; %bb.188:
	buffer_load_dword v80, off, s[0:3], 0 offset:232
	buffer_load_dword v81, off, s[0:3], 0 offset:236
	v_mov_b32_e32 v82, 0
	buffer_store_dword v82, off, s[0:3], 0 offset:232
	buffer_store_dword v82, off, s[0:3], 0 offset:236
	s_waitcnt vmcnt(2)
	ds_write_b64 v79, v[80:81]
.LBB38_189:
	s_or_b64 exec, exec, s[4:5]
	v_mov_b32_e32 v80, 0
	s_waitcnt lgkmcnt(0)
	; wave barrier
	ds_read_b128 v[81:84], v80 offset:560
	ds_read_b128 v[85:88], v80 offset:576
	;; [unrolled: 1-line block ×4, first 2 shown]
	buffer_load_dword v99, off, s[0:3], 0 offset:232
	buffer_load_dword v100, off, s[0:3], 0 offset:236
	;; [unrolled: 1-line block ×18, first 2 shown]
	v_cmp_lt_u32_e32 vcc, 28, v0
	s_waitcnt vmcnt(14) lgkmcnt(3)
	v_mul_f32_e32 v97, v81, v102
	v_fmac_f32_e32 v97, v82, v101
	s_waitcnt vmcnt(12)
	v_mul_f32_e32 v98, v83, v104
	v_add_f32_e32 v97, 0, v97
	v_fmac_f32_e32 v98, v84, v103
	v_add_f32_e32 v97, v97, v98
	s_waitcnt vmcnt(10) lgkmcnt(2)
	v_mul_f32_e32 v98, v85, v106
	v_fmac_f32_e32 v98, v86, v105
	v_add_f32_e32 v97, v97, v98
	s_waitcnt vmcnt(8)
	v_mul_f32_e32 v98, v87, v108
	v_fmac_f32_e32 v98, v88, v107
	v_add_f32_e32 v97, v97, v98
	s_waitcnt vmcnt(6) lgkmcnt(1)
	v_mul_f32_e32 v98, v89, v110
	v_fmac_f32_e32 v98, v90, v109
	v_add_f32_e32 v97, v97, v98
	s_waitcnt vmcnt(4)
	v_mul_f32_e32 v98, v91, v112
	;; [unrolled: 8-line block ×3, first 2 shown]
	v_fmac_f32_e32 v98, v96, v115
	v_add_f32_e32 v117, v97, v98
	ds_read_b64 v[97:98], v80 offset:624
	buffer_load_dword v118, off, s[0:3], 0 offset:304
	buffer_load_dword v119, off, s[0:3], 0 offset:308
	v_mul_f32_e32 v82, v82, v102
	v_fma_f32 v81, v81, v101, -v82
	v_mul_f32_e32 v82, v84, v104
	v_add_f32_e32 v81, 0, v81
	v_fma_f32 v82, v83, v103, -v82
	v_add_f32_e32 v81, v81, v82
	v_mul_f32_e32 v82, v86, v106
	v_fma_f32 v82, v85, v105, -v82
	v_add_f32_e32 v81, v81, v82
	v_mul_f32_e32 v82, v88, v108
	;; [unrolled: 3-line block ×6, first 2 shown]
	v_fma_f32 v82, v95, v115, -v82
	v_add_f32_e32 v81, v81, v82
	s_waitcnt vmcnt(0) lgkmcnt(0)
	v_mul_f32_e32 v82, v98, v119
	v_mul_f32_e32 v120, v97, v119
	v_fma_f32 v82, v97, v118, -v82
	v_fmac_f32_e32 v120, v98, v118
	v_add_f32_e32 v81, v81, v82
	v_add_f32_e32 v117, v117, v120
	v_sub_f32_e32 v81, v99, v81
	v_sub_f32_e32 v82, v100, v117
	buffer_store_dword v81, off, s[0:3], 0 offset:232
	buffer_store_dword v82, off, s[0:3], 0 offset:236
	s_and_saveexec_b64 s[4:5], vcc
	s_cbranch_execz .LBB38_191
; %bb.190:
	buffer_load_dword v81, off, s[0:3], 0 offset:224
	buffer_load_dword v82, off, s[0:3], 0 offset:228
	s_waitcnt vmcnt(0)
	ds_write_b64 v79, v[81:82]
	buffer_store_dword v80, off, s[0:3], 0 offset:224
	buffer_store_dword v80, off, s[0:3], 0 offset:228
.LBB38_191:
	s_or_b64 exec, exec, s[4:5]
	s_waitcnt lgkmcnt(0)
	; wave barrier
	ds_read2_b64 v[81:84], v80 offset0:69 offset1:70
	buffer_load_dword v101, off, s[0:3], 0 offset:224
	buffer_load_dword v102, off, s[0:3], 0 offset:228
	;; [unrolled: 1-line block ×16, first 2 shown]
	v_cmp_lt_u32_e32 vcc, 27, v0
	s_waitcnt vmcnt(12) lgkmcnt(0)
	v_mul_f32_e32 v85, v81, v104
	v_fmac_f32_e32 v85, v82, v103
	s_waitcnt vmcnt(10)
	v_mul_f32_e32 v86, v83, v106
	v_add_f32_e32 v85, 0, v85
	v_fmac_f32_e32 v86, v84, v105
	v_add_f32_e32 v89, v85, v86
	ds_read2_b64 v[85:88], v80 offset0:71 offset1:72
	v_mul_f32_e32 v82, v82, v104
	v_fma_f32 v81, v81, v103, -v82
	v_mul_f32_e32 v82, v84, v106
	v_add_f32_e32 v81, 0, v81
	s_waitcnt vmcnt(8) lgkmcnt(0)
	v_mul_f32_e32 v90, v85, v108
	v_fmac_f32_e32 v90, v86, v107
	v_add_f32_e32 v89, v89, v90
	s_waitcnt vmcnt(6)
	v_mul_f32_e32 v90, v87, v110
	v_fmac_f32_e32 v90, v88, v109
	v_add_f32_e32 v93, v89, v90
	ds_read2_b64 v[89:92], v80 offset0:73 offset1:74
	v_fma_f32 v82, v83, v105, -v82
	v_add_f32_e32 v81, v81, v82
	v_mul_f32_e32 v82, v86, v108
	v_fma_f32 v82, v85, v107, -v82
	s_waitcnt vmcnt(4) lgkmcnt(0)
	v_mul_f32_e32 v94, v89, v112
	v_fmac_f32_e32 v94, v90, v111
	v_add_f32_e32 v93, v93, v94
	s_waitcnt vmcnt(2)
	v_mul_f32_e32 v94, v91, v114
	v_fmac_f32_e32 v94, v92, v113
	v_add_f32_e32 v97, v93, v94
	ds_read2_b64 v[93:96], v80 offset0:75 offset1:76
	buffer_load_dword v117, off, s[0:3], 0 offset:288
	buffer_load_dword v118, off, s[0:3], 0 offset:292
	v_add_f32_e32 v81, v81, v82
	v_mul_f32_e32 v82, v88, v110
	v_fma_f32 v82, v87, v109, -v82
	s_waitcnt vmcnt(2) lgkmcnt(0)
	v_mul_f32_e32 v98, v93, v116
	v_fmac_f32_e32 v98, v94, v115
	v_add_f32_e32 v97, v97, v98
	v_add_f32_e32 v81, v81, v82
	v_mul_f32_e32 v82, v90, v112
	v_fma_f32 v82, v89, v111, -v82
	v_add_f32_e32 v81, v81, v82
	v_mul_f32_e32 v82, v92, v114
	v_fma_f32 v82, v91, v113, -v82
	;; [unrolled: 3-line block ×3, first 2 shown]
	v_add_f32_e32 v81, v81, v82
	s_waitcnt vmcnt(0)
	v_mul_f32_e32 v98, v95, v118
	v_fmac_f32_e32 v98, v96, v117
	v_add_f32_e32 v119, v97, v98
	ds_read2_b64 v[97:100], v80 offset0:77 offset1:78
	buffer_load_dword v80, off, s[0:3], 0 offset:296
	buffer_load_dword v120, off, s[0:3], 0 offset:300
	v_mul_f32_e32 v82, v96, v118
	v_fma_f32 v82, v95, v117, -v82
	v_add_f32_e32 v81, v81, v82
	s_waitcnt vmcnt(0) lgkmcnt(0)
	v_mul_f32_e32 v121, v97, v120
	v_fmac_f32_e32 v121, v98, v80
	v_add_f32_e32 v119, v119, v121
	buffer_load_dword v121, off, s[0:3], 0 offset:304
	buffer_load_dword v122, off, s[0:3], 0 offset:308
	v_mul_f32_e32 v82, v98, v120
	v_fma_f32 v80, v97, v80, -v82
	v_add_f32_e32 v80, v81, v80
	s_waitcnt vmcnt(0)
	v_mul_f32_e32 v81, v100, v122
	v_mul_f32_e32 v123, v99, v122
	v_fma_f32 v81, v99, v121, -v81
	v_fmac_f32_e32 v123, v100, v121
	v_add_f32_e32 v80, v80, v81
	v_add_f32_e32 v119, v119, v123
	v_sub_f32_e32 v80, v101, v80
	v_sub_f32_e32 v81, v102, v119
	buffer_store_dword v80, off, s[0:3], 0 offset:224
	buffer_store_dword v81, off, s[0:3], 0 offset:228
	s_and_saveexec_b64 s[4:5], vcc
	s_cbranch_execz .LBB38_193
; %bb.192:
	buffer_load_dword v80, off, s[0:3], 0 offset:216
	buffer_load_dword v81, off, s[0:3], 0 offset:220
	v_mov_b32_e32 v82, 0
	buffer_store_dword v82, off, s[0:3], 0 offset:216
	buffer_store_dword v82, off, s[0:3], 0 offset:220
	s_waitcnt vmcnt(2)
	ds_write_b64 v79, v[80:81]
.LBB38_193:
	s_or_b64 exec, exec, s[4:5]
	s_waitcnt lgkmcnt(0)
	; wave barrier
	buffer_load_dword v103, off, s[0:3], 0 offset:228
	buffer_load_dword v104, off, s[0:3], 0 offset:236
	;; [unrolled: 1-line block ×24, first 2 shown]
	v_mov_b32_e32 v80, 0
	ds_read_b128 v[81:84], v80 offset:544
	ds_read_b128 v[85:88], v80 offset:560
	;; [unrolled: 1-line block ×5, first 2 shown]
	ds_read_b64 v[101:102], v80 offset:624
	v_cmp_lt_u32_e32 vcc, 26, v0
	s_waitcnt vmcnt(23) lgkmcnt(5)
	v_mul_f32_e32 v127, v81, v103
	v_mul_f32_e32 v103, v82, v103
	s_waitcnt vmcnt(22)
	v_mul_f32_e32 v128, v83, v104
	v_mul_f32_e32 v104, v84, v104
	s_waitcnt vmcnt(21) lgkmcnt(4)
	v_mul_f32_e32 v129, v85, v105
	v_mul_f32_e32 v105, v86, v105
	s_waitcnt vmcnt(20)
	v_mul_f32_e32 v130, v87, v106
	s_waitcnt vmcnt(19) lgkmcnt(3)
	v_mul_f32_e32 v131, v89, v107
	v_mul_f32_e32 v106, v88, v106
	;; [unrolled: 1-line block ×3, first 2 shown]
	s_waitcnt vmcnt(18)
	v_mul_f32_e32 v132, v91, v108
	s_waitcnt vmcnt(12)
	v_fma_f32 v81, v81, v114, -v103
	v_fmac_f32_e32 v127, v82, v114
	s_waitcnt vmcnt(11)
	v_fma_f32 v82, v83, v115, -v104
	v_add_f32_e32 v81, 0, v81
	s_waitcnt vmcnt(10)
	v_fma_f32 v83, v85, v116, -v105
	v_add_f32_e32 v81, v81, v82
	v_fmac_f32_e32 v128, v84, v115
	s_waitcnt vmcnt(8)
	v_fmac_f32_e32 v131, v90, v118
	v_fma_f32 v84, v87, v117, -v106
	v_add_f32_e32 v90, 0, v127
	v_add_f32_e32 v81, v81, v83
	v_mul_f32_e32 v108, v92, v108
	v_fmac_f32_e32 v129, v86, v116
	v_fma_f32 v85, v89, v118, -v107
	v_add_f32_e32 v90, v90, v128
	v_add_f32_e32 v81, v81, v84
	s_waitcnt lgkmcnt(2)
	v_mul_f32_e32 v133, v93, v109
	v_mul_f32_e32 v109, v94, v109
	v_fmac_f32_e32 v130, v88, v117
	s_waitcnt vmcnt(7)
	v_fma_f32 v86, v91, v119, -v108
	v_add_f32_e32 v82, v90, v129
	v_add_f32_e32 v81, v81, v85
	v_mul_f32_e32 v134, v95, v110
	v_mul_f32_e32 v110, v96, v110
	s_waitcnt vmcnt(6)
	v_fma_f32 v87, v93, v120, -v109
	v_add_f32_e32 v82, v82, v130
	v_add_f32_e32 v81, v81, v86
	s_waitcnt lgkmcnt(1)
	v_mul_f32_e32 v135, v97, v111
	v_mul_f32_e32 v111, v98, v111
	v_fmac_f32_e32 v132, v92, v119
	s_waitcnt vmcnt(5)
	v_fma_f32 v88, v95, v121, -v110
	v_add_f32_e32 v82, v82, v131
	v_add_f32_e32 v81, v81, v87
	v_fmac_f32_e32 v133, v94, v120
	s_waitcnt vmcnt(4)
	v_fma_f32 v89, v97, v122, -v111
	v_add_f32_e32 v82, v82, v132
	v_add_f32_e32 v81, v81, v88
	v_mul_f32_e32 v83, v100, v112
	v_fmac_f32_e32 v134, v96, v121
	v_add_f32_e32 v82, v82, v133
	v_add_f32_e32 v81, v81, v89
	s_waitcnt vmcnt(3)
	v_fma_f32 v83, v99, v123, -v83
	v_mul_f32_e32 v136, v99, v112
	v_fmac_f32_e32 v135, v98, v122
	v_add_f32_e32 v82, v82, v134
	v_add_f32_e32 v81, v81, v83
	s_waitcnt lgkmcnt(0)
	v_mul_f32_e32 v83, v102, v113
	v_mul_f32_e32 v137, v101, v113
	v_fmac_f32_e32 v136, v100, v123
	v_add_f32_e32 v82, v82, v135
	s_waitcnt vmcnt(2)
	v_fma_f32 v83, v101, v124, -v83
	v_fmac_f32_e32 v137, v102, v124
	v_add_f32_e32 v82, v82, v136
	v_add_f32_e32 v81, v81, v83
	;; [unrolled: 1-line block ×3, first 2 shown]
	s_waitcnt vmcnt(1)
	v_sub_f32_e32 v81, v125, v81
	s_waitcnt vmcnt(0)
	v_sub_f32_e32 v82, v126, v82
	buffer_store_dword v81, off, s[0:3], 0 offset:216
	buffer_store_dword v82, off, s[0:3], 0 offset:220
	s_and_saveexec_b64 s[4:5], vcc
	s_cbranch_execz .LBB38_195
; %bb.194:
	buffer_load_dword v81, off, s[0:3], 0 offset:208
	buffer_load_dword v82, off, s[0:3], 0 offset:212
	s_waitcnt vmcnt(0)
	ds_write_b64 v79, v[81:82]
	buffer_store_dword v80, off, s[0:3], 0 offset:208
	buffer_store_dword v80, off, s[0:3], 0 offset:212
.LBB38_195:
	s_or_b64 exec, exec, s[4:5]
	s_waitcnt lgkmcnt(0)
	; wave barrier
	buffer_load_dword v105, off, s[0:3], 0 offset:220
	buffer_load_dword v106, off, s[0:3], 0 offset:228
	;; [unrolled: 1-line block ×26, first 2 shown]
	ds_read2_b64 v[81:84], v80 offset0:67 offset1:68
	ds_read2_b64 v[85:88], v80 offset0:69 offset1:70
	;; [unrolled: 1-line block ×6, first 2 shown]
	v_cmp_lt_u32_e32 vcc, 25, v0
	s_waitcnt vmcnt(25) lgkmcnt(5)
	v_mul_f32_e32 v80, v81, v105
	v_mul_f32_e32 v105, v82, v105
	s_waitcnt vmcnt(24)
	v_mul_f32_e32 v131, v83, v106
	v_mul_f32_e32 v106, v84, v106
	s_waitcnt vmcnt(23) lgkmcnt(4)
	v_mul_f32_e32 v132, v85, v107
	v_mul_f32_e32 v107, v86, v107
	s_waitcnt vmcnt(22)
	v_mul_f32_e32 v133, v87, v108
	v_mul_f32_e32 v108, v88, v108
	;; [unrolled: 6-line block ×3, first 2 shown]
	s_waitcnt vmcnt(13)
	v_fma_f32 v81, v81, v117, -v105
	v_fmac_f32_e32 v80, v82, v117
	s_waitcnt vmcnt(12)
	v_fma_f32 v82, v83, v118, -v106
	v_add_f32_e32 v81, 0, v81
	s_waitcnt vmcnt(11)
	v_fma_f32 v83, v85, v119, -v107
	v_add_f32_e32 v81, v81, v82
	v_fmac_f32_e32 v131, v84, v118
	s_waitcnt vmcnt(10)
	v_fma_f32 v84, v87, v120, -v108
	v_add_f32_e32 v81, v81, v83
	s_waitcnt vmcnt(9)
	v_fma_f32 v85, v89, v121, -v109
	v_add_f32_e32 v81, v81, v84
	s_waitcnt lgkmcnt(2)
	v_mul_f32_e32 v136, v93, v111
	v_mul_f32_e32 v111, v94, v111
	v_fmac_f32_e32 v132, v86, v119
	s_waitcnt vmcnt(8)
	v_fma_f32 v86, v91, v122, -v110
	v_add_f32_e32 v80, 0, v80
	v_add_f32_e32 v81, v81, v85
	v_mul_f32_e32 v137, v95, v112
	v_mul_f32_e32 v112, v96, v112
	s_waitcnt vmcnt(7)
	v_fma_f32 v87, v93, v123, -v111
	v_add_f32_e32 v80, v80, v131
	v_add_f32_e32 v81, v81, v86
	v_fmac_f32_e32 v133, v88, v120
	s_waitcnt vmcnt(6)
	v_fma_f32 v88, v95, v124, -v112
	v_add_f32_e32 v80, v80, v132
	v_add_f32_e32 v81, v81, v87
	s_waitcnt lgkmcnt(1)
	v_mul_f32_e32 v82, v98, v113
	v_fmac_f32_e32 v134, v90, v121
	v_add_f32_e32 v80, v80, v133
	v_add_f32_e32 v81, v81, v88
	s_waitcnt vmcnt(5)
	v_fma_f32 v82, v97, v125, -v82
	v_fmac_f32_e32 v135, v92, v122
	v_add_f32_e32 v80, v80, v134
	v_add_f32_e32 v81, v81, v82
	v_mul_f32_e32 v82, v100, v114
	v_fmac_f32_e32 v136, v94, v123
	v_add_f32_e32 v80, v80, v135
	s_waitcnt vmcnt(4)
	v_fma_f32 v82, v99, v126, -v82
	v_mul_f32_e32 v138, v97, v113
	v_fmac_f32_e32 v137, v96, v124
	v_add_f32_e32 v80, v80, v136
	v_add_f32_e32 v81, v81, v82
	s_waitcnt lgkmcnt(0)
	v_mul_f32_e32 v82, v102, v115
	v_mul_f32_e32 v139, v99, v114
	v_fmac_f32_e32 v138, v98, v125
	v_add_f32_e32 v80, v80, v137
	s_waitcnt vmcnt(3)
	v_fma_f32 v82, v101, v127, -v82
	v_mul_f32_e32 v140, v101, v115
	v_fmac_f32_e32 v139, v100, v126
	v_add_f32_e32 v80, v80, v138
	v_add_f32_e32 v81, v81, v82
	v_mul_f32_e32 v82, v104, v116
	v_mul_f32_e32 v141, v103, v116
	v_fmac_f32_e32 v140, v102, v127
	v_add_f32_e32 v80, v80, v139
	s_waitcnt vmcnt(2)
	v_fma_f32 v82, v103, v128, -v82
	v_fmac_f32_e32 v141, v104, v128
	v_add_f32_e32 v80, v80, v140
	v_add_f32_e32 v81, v81, v82
	;; [unrolled: 1-line block ×3, first 2 shown]
	s_waitcnt vmcnt(1)
	v_sub_f32_e32 v81, v129, v81
	s_waitcnt vmcnt(0)
	v_sub_f32_e32 v80, v130, v80
	buffer_store_dword v81, off, s[0:3], 0 offset:208
	buffer_store_dword v80, off, s[0:3], 0 offset:212
	s_and_saveexec_b64 s[4:5], vcc
	s_cbranch_execz .LBB38_197
; %bb.196:
	buffer_load_dword v80, off, s[0:3], 0 offset:200
	buffer_load_dword v81, off, s[0:3], 0 offset:204
	v_mov_b32_e32 v82, 0
	buffer_store_dword v82, off, s[0:3], 0 offset:200
	buffer_store_dword v82, off, s[0:3], 0 offset:204
	s_waitcnt vmcnt(2)
	ds_write_b64 v79, v[80:81]
.LBB38_197:
	s_or_b64 exec, exec, s[4:5]
	s_waitcnt lgkmcnt(0)
	; wave barrier
	buffer_load_dword v107, off, s[0:3], 0 offset:212
	buffer_load_dword v108, off, s[0:3], 0 offset:220
	;; [unrolled: 1-line block ×28, first 2 shown]
	v_mov_b32_e32 v80, 0
	ds_read_b128 v[81:84], v80 offset:528
	ds_read_b128 v[85:88], v80 offset:544
	;; [unrolled: 1-line block ×6, first 2 shown]
	ds_read_b64 v[105:106], v80 offset:624
	v_cmp_lt_u32_e32 vcc, 24, v0
	s_waitcnt vmcnt(27) lgkmcnt(6)
	v_mul_f32_e32 v135, v81, v107
	v_mul_f32_e32 v107, v82, v107
	s_waitcnt vmcnt(26)
	v_mul_f32_e32 v136, v83, v108
	v_mul_f32_e32 v108, v84, v108
	s_waitcnt vmcnt(25) lgkmcnt(5)
	v_mul_f32_e32 v137, v85, v109
	v_mul_f32_e32 v109, v86, v109
	s_waitcnt vmcnt(24)
	v_mul_f32_e32 v138, v87, v110
	v_mul_f32_e32 v110, v88, v110
	;; [unrolled: 6-line block ×3, first 2 shown]
	s_waitcnt vmcnt(21) lgkmcnt(3)
	v_mul_f32_e32 v141, v93, v113
	s_waitcnt vmcnt(14)
	v_fma_f32 v81, v81, v120, -v107
	v_fmac_f32_e32 v135, v82, v120
	s_waitcnt vmcnt(13)
	v_fma_f32 v82, v83, v121, -v108
	v_add_f32_e32 v81, 0, v81
	s_waitcnt vmcnt(12)
	v_fma_f32 v83, v85, v122, -v109
	v_add_f32_e32 v81, v81, v82
	v_fmac_f32_e32 v136, v84, v121
	s_waitcnt vmcnt(11)
	v_fma_f32 v84, v87, v123, -v110
	v_add_f32_e32 v81, v81, v83
	s_waitcnt vmcnt(10)
	v_fma_f32 v85, v89, v124, -v111
	v_add_f32_e32 v81, v81, v84
	v_fmac_f32_e32 v137, v86, v122
	s_waitcnt vmcnt(9)
	v_fma_f32 v86, v91, v125, -v112
	v_add_f32_e32 v81, v81, v85
	v_mul_f32_e32 v83, v94, v113
	v_add_f32_e32 v81, v81, v86
	s_waitcnt vmcnt(8)
	v_fma_f32 v83, v93, v126, -v83
	v_add_f32_e32 v81, v81, v83
	v_mul_f32_e32 v83, v96, v114
	v_add_f32_e32 v87, 0, v135
	s_waitcnt vmcnt(7)
	v_fma_f32 v83, v95, v127, -v83
	v_add_f32_e32 v87, v87, v136
	v_add_f32_e32 v81, v81, v83
	s_waitcnt lgkmcnt(2)
	v_mul_f32_e32 v83, v98, v115
	v_fmac_f32_e32 v138, v88, v123
	v_add_f32_e32 v82, v87, v137
	s_waitcnt vmcnt(6)
	v_fma_f32 v83, v97, v128, -v83
	v_fmac_f32_e32 v139, v90, v124
	v_add_f32_e32 v82, v82, v138
	v_add_f32_e32 v81, v81, v83
	v_mul_f32_e32 v83, v100, v116
	v_fmac_f32_e32 v140, v92, v125
	v_add_f32_e32 v82, v82, v139
	s_waitcnt vmcnt(5)
	v_fma_f32 v83, v99, v129, -v83
	v_mul_f32_e32 v142, v95, v114
	v_fmac_f32_e32 v141, v94, v126
	v_add_f32_e32 v82, v82, v140
	v_add_f32_e32 v81, v81, v83
	s_waitcnt lgkmcnt(1)
	v_mul_f32_e32 v83, v102, v117
	v_mul_f32_e32 v143, v97, v115
	v_fmac_f32_e32 v142, v96, v127
	v_add_f32_e32 v82, v82, v141
	s_waitcnt vmcnt(4)
	v_fma_f32 v83, v101, v130, -v83
	v_mul_f32_e32 v144, v99, v116
	v_fmac_f32_e32 v143, v98, v128
	v_add_f32_e32 v82, v82, v142
	v_add_f32_e32 v81, v81, v83
	v_mul_f32_e32 v83, v104, v118
	v_mul_f32_e32 v145, v101, v117
	v_fmac_f32_e32 v144, v100, v129
	v_add_f32_e32 v82, v82, v143
	s_waitcnt vmcnt(3)
	v_fma_f32 v83, v103, v131, -v83
	v_mul_f32_e32 v146, v103, v118
	v_fmac_f32_e32 v145, v102, v130
	v_add_f32_e32 v82, v82, v144
	v_add_f32_e32 v81, v81, v83
	s_waitcnt lgkmcnt(0)
	v_mul_f32_e32 v83, v106, v119
	v_mul_f32_e32 v147, v105, v119
	v_fmac_f32_e32 v146, v104, v131
	v_add_f32_e32 v82, v82, v145
	s_waitcnt vmcnt(2)
	v_fma_f32 v83, v105, v132, -v83
	v_fmac_f32_e32 v147, v106, v132
	v_add_f32_e32 v82, v82, v146
	v_add_f32_e32 v81, v81, v83
	;; [unrolled: 1-line block ×3, first 2 shown]
	s_waitcnt vmcnt(1)
	v_sub_f32_e32 v81, v133, v81
	s_waitcnt vmcnt(0)
	v_sub_f32_e32 v82, v134, v82
	buffer_store_dword v81, off, s[0:3], 0 offset:200
	buffer_store_dword v82, off, s[0:3], 0 offset:204
	s_and_saveexec_b64 s[4:5], vcc
	s_cbranch_execz .LBB38_199
; %bb.198:
	buffer_load_dword v81, off, s[0:3], 0 offset:192
	buffer_load_dword v82, off, s[0:3], 0 offset:196
	s_waitcnt vmcnt(0)
	ds_write_b64 v79, v[81:82]
	buffer_store_dword v80, off, s[0:3], 0 offset:192
	buffer_store_dword v80, off, s[0:3], 0 offset:196
.LBB38_199:
	s_or_b64 exec, exec, s[4:5]
	s_waitcnt lgkmcnt(0)
	; wave barrier
	buffer_load_dword v109, off, s[0:3], 0 offset:204
	buffer_load_dword v110, off, s[0:3], 0 offset:212
	;; [unrolled: 1-line block ×30, first 2 shown]
	ds_read2_b64 v[81:84], v80 offset0:65 offset1:66
	ds_read2_b64 v[85:88], v80 offset0:67 offset1:68
	;; [unrolled: 1-line block ×7, first 2 shown]
	v_cmp_lt_u32_e32 vcc, 23, v0
	s_waitcnt vmcnt(29) lgkmcnt(6)
	v_mul_f32_e32 v80, v81, v109
	v_mul_f32_e32 v109, v82, v109
	s_waitcnt vmcnt(28)
	v_mul_f32_e32 v139, v83, v110
	v_mul_f32_e32 v110, v84, v110
	s_waitcnt vmcnt(27) lgkmcnt(5)
	v_mul_f32_e32 v140, v85, v111
	v_mul_f32_e32 v111, v86, v111
	s_waitcnt vmcnt(26)
	v_mul_f32_e32 v141, v87, v112
	v_mul_f32_e32 v112, v88, v112
	s_waitcnt vmcnt(25) lgkmcnt(4)
	v_mul_f32_e32 v142, v89, v113
	v_mul_f32_e32 v113, v90, v113
	s_waitcnt vmcnt(24)
	v_mul_f32_e32 v143, v91, v114
	s_waitcnt vmcnt(23) lgkmcnt(3)
	v_mul_f32_e32 v144, v93, v115
	s_waitcnt vmcnt(22)
	v_mul_f32_e32 v145, v95, v116
	s_waitcnt vmcnt(21) lgkmcnt(2)
	v_mul_f32_e32 v146, v97, v117
	s_waitcnt vmcnt(15)
	v_fma_f32 v81, v81, v123, -v109
	v_fmac_f32_e32 v80, v82, v123
	s_waitcnt vmcnt(14)
	v_fma_f32 v82, v83, v124, -v110
	v_add_f32_e32 v81, 0, v81
	s_waitcnt vmcnt(13)
	v_fma_f32 v83, v85, v125, -v111
	v_add_f32_e32 v81, v81, v82
	v_fmac_f32_e32 v139, v84, v124
	s_waitcnt vmcnt(12)
	v_fma_f32 v84, v87, v126, -v112
	v_add_f32_e32 v81, v81, v83
	s_waitcnt vmcnt(11)
	v_fma_f32 v85, v89, v127, -v113
	v_add_f32_e32 v81, v81, v84
	v_mul_f32_e32 v82, v92, v114
	v_add_f32_e32 v81, v81, v85
	s_waitcnt vmcnt(10)
	v_fma_f32 v82, v91, v128, -v82
	v_add_f32_e32 v81, v81, v82
	v_mul_f32_e32 v82, v94, v115
	s_waitcnt vmcnt(9)
	v_fma_f32 v82, v93, v129, -v82
	v_add_f32_e32 v81, v81, v82
	v_mul_f32_e32 v82, v96, v116
	s_waitcnt vmcnt(8)
	v_fma_f32 v82, v95, v130, -v82
	v_add_f32_e32 v80, 0, v80
	v_add_f32_e32 v81, v81, v82
	v_mul_f32_e32 v82, v98, v117
	v_fmac_f32_e32 v140, v86, v125
	v_add_f32_e32 v80, v80, v139
	s_waitcnt vmcnt(7)
	v_fma_f32 v82, v97, v131, -v82
	v_fmac_f32_e32 v141, v88, v126
	v_add_f32_e32 v80, v80, v140
	v_add_f32_e32 v81, v81, v82
	v_mul_f32_e32 v82, v100, v118
	v_fmac_f32_e32 v142, v90, v127
	v_add_f32_e32 v80, v80, v141
	s_waitcnt vmcnt(6)
	v_fma_f32 v82, v99, v132, -v82
	v_fmac_f32_e32 v143, v92, v128
	v_add_f32_e32 v80, v80, v142
	v_add_f32_e32 v81, v81, v82
	s_waitcnt lgkmcnt(1)
	v_mul_f32_e32 v82, v102, v119
	v_fmac_f32_e32 v144, v94, v129
	v_add_f32_e32 v80, v80, v143
	s_waitcnt vmcnt(5)
	v_fma_f32 v82, v101, v133, -v82
	v_fmac_f32_e32 v145, v96, v130
	v_add_f32_e32 v80, v80, v144
	v_add_f32_e32 v81, v81, v82
	v_mul_f32_e32 v82, v104, v120
	v_mul_f32_e32 v147, v99, v118
	v_fmac_f32_e32 v146, v98, v131
	v_add_f32_e32 v80, v80, v145
	s_waitcnt vmcnt(4)
	v_fma_f32 v82, v103, v134, -v82
	v_mul_f32_e32 v148, v101, v119
	v_fmac_f32_e32 v147, v100, v132
	v_add_f32_e32 v80, v80, v146
	v_add_f32_e32 v81, v81, v82
	s_waitcnt lgkmcnt(0)
	v_mul_f32_e32 v82, v106, v121
	v_mul_f32_e32 v149, v103, v120
	v_fmac_f32_e32 v148, v102, v133
	v_add_f32_e32 v80, v80, v147
	s_waitcnt vmcnt(3)
	v_fma_f32 v82, v105, v135, -v82
	v_mul_f32_e32 v150, v105, v121
	v_fmac_f32_e32 v149, v104, v134
	v_add_f32_e32 v80, v80, v148
	v_add_f32_e32 v81, v81, v82
	v_mul_f32_e32 v82, v108, v122
	v_mul_f32_e32 v151, v107, v122
	v_fmac_f32_e32 v150, v106, v135
	v_add_f32_e32 v80, v80, v149
	s_waitcnt vmcnt(2)
	v_fma_f32 v82, v107, v136, -v82
	v_fmac_f32_e32 v151, v108, v136
	v_add_f32_e32 v80, v80, v150
	v_add_f32_e32 v81, v81, v82
	;; [unrolled: 1-line block ×3, first 2 shown]
	s_waitcnt vmcnt(1)
	v_sub_f32_e32 v81, v137, v81
	s_waitcnt vmcnt(0)
	v_sub_f32_e32 v80, v138, v80
	buffer_store_dword v81, off, s[0:3], 0 offset:192
	buffer_store_dword v80, off, s[0:3], 0 offset:196
	s_and_saveexec_b64 s[4:5], vcc
	s_cbranch_execz .LBB38_201
; %bb.200:
	buffer_load_dword v80, off, s[0:3], 0 offset:184
	buffer_load_dword v81, off, s[0:3], 0 offset:188
	v_mov_b32_e32 v82, 0
	buffer_store_dword v82, off, s[0:3], 0 offset:184
	buffer_store_dword v82, off, s[0:3], 0 offset:188
	s_waitcnt vmcnt(2)
	ds_write_b64 v79, v[80:81]
.LBB38_201:
	s_or_b64 exec, exec, s[4:5]
	s_waitcnt lgkmcnt(0)
	; wave barrier
	buffer_load_dword v111, off, s[0:3], 0 offset:196
	buffer_load_dword v112, off, s[0:3], 0 offset:204
	;; [unrolled: 1-line block ×32, first 2 shown]
	v_mov_b32_e32 v80, 0
	ds_read_b128 v[81:84], v80 offset:512
	ds_read_b128 v[85:88], v80 offset:528
	;; [unrolled: 1-line block ×7, first 2 shown]
	ds_read_b64 v[109:110], v80 offset:624
	v_cmp_lt_u32_e32 vcc, 22, v0
	s_waitcnt vmcnt(31) lgkmcnt(7)
	v_mul_f32_e32 v143, v81, v111
	v_mul_f32_e32 v111, v82, v111
	s_waitcnt vmcnt(30)
	v_mul_f32_e32 v144, v83, v112
	v_mul_f32_e32 v112, v84, v112
	s_waitcnt vmcnt(29) lgkmcnt(6)
	v_mul_f32_e32 v145, v85, v113
	v_mul_f32_e32 v113, v86, v113
	s_waitcnt vmcnt(28)
	v_mul_f32_e32 v146, v87, v114
	s_waitcnt vmcnt(27) lgkmcnt(5)
	v_mul_f32_e32 v147, v89, v115
	s_waitcnt vmcnt(26)
	v_mul_f32_e32 v148, v91, v116
	s_waitcnt vmcnt(25) lgkmcnt(4)
	;; [unrolled: 4-line block ×4, first 2 shown]
	v_mul_f32_e32 v153, v101, v121
	s_waitcnt vmcnt(20)
	v_mul_f32_e32 v154, v103, v122
	s_waitcnt vmcnt(16)
	v_fma_f32 v81, v81, v126, -v111
	v_fmac_f32_e32 v143, v82, v126
	s_waitcnt vmcnt(15)
	v_fma_f32 v82, v83, v127, -v112
	v_add_f32_e32 v81, 0, v81
	s_waitcnt vmcnt(14)
	v_fma_f32 v83, v85, v128, -v113
	v_add_f32_e32 v81, v81, v82
	v_add_f32_e32 v81, v81, v83
	v_mul_f32_e32 v83, v88, v114
	s_waitcnt vmcnt(13)
	v_fma_f32 v83, v87, v129, -v83
	v_add_f32_e32 v81, v81, v83
	v_mul_f32_e32 v83, v90, v115
	s_waitcnt vmcnt(12)
	v_fma_f32 v83, v89, v130, -v83
	;; [unrolled: 4-line block ×5, first 2 shown]
	v_add_f32_e32 v81, v81, v83
	v_mul_f32_e32 v83, v98, v119
	v_fmac_f32_e32 v144, v84, v127
	v_add_f32_e32 v84, 0, v143
	s_waitcnt vmcnt(8)
	v_fma_f32 v83, v97, v134, -v83
	v_fmac_f32_e32 v145, v86, v128
	v_add_f32_e32 v84, v84, v144
	v_add_f32_e32 v81, v81, v83
	v_mul_f32_e32 v83, v100, v120
	v_fmac_f32_e32 v146, v88, v129
	v_add_f32_e32 v82, v84, v145
	s_waitcnt vmcnt(7)
	v_fma_f32 v83, v99, v135, -v83
	v_fmac_f32_e32 v147, v90, v130
	v_add_f32_e32 v82, v82, v146
	;; [unrolled: 8-line block ×4, first 2 shown]
	v_add_f32_e32 v81, v81, v83
	s_waitcnt lgkmcnt(1)
	v_mul_f32_e32 v83, v106, v123
	v_fmac_f32_e32 v152, v100, v135
	v_add_f32_e32 v82, v82, v151
	s_waitcnt vmcnt(4)
	v_fma_f32 v83, v105, v138, -v83
	v_fmac_f32_e32 v153, v102, v136
	v_add_f32_e32 v82, v82, v152
	v_add_f32_e32 v81, v81, v83
	v_mul_f32_e32 v83, v108, v124
	v_mul_f32_e32 v155, v105, v123
	v_fmac_f32_e32 v154, v104, v137
	v_add_f32_e32 v82, v82, v153
	s_waitcnt vmcnt(3)
	v_fma_f32 v83, v107, v139, -v83
	v_mul_f32_e32 v156, v107, v124
	v_fmac_f32_e32 v155, v106, v138
	v_add_f32_e32 v82, v82, v154
	v_add_f32_e32 v81, v81, v83
	s_waitcnt lgkmcnt(0)
	v_mul_f32_e32 v83, v110, v125
	v_mul_f32_e32 v157, v109, v125
	v_fmac_f32_e32 v156, v108, v139
	v_add_f32_e32 v82, v82, v155
	s_waitcnt vmcnt(2)
	v_fma_f32 v83, v109, v140, -v83
	v_fmac_f32_e32 v157, v110, v140
	v_add_f32_e32 v82, v82, v156
	v_add_f32_e32 v81, v81, v83
	v_add_f32_e32 v82, v82, v157
	s_waitcnt vmcnt(1)
	v_sub_f32_e32 v81, v141, v81
	s_waitcnt vmcnt(0)
	v_sub_f32_e32 v82, v142, v82
	buffer_store_dword v81, off, s[0:3], 0 offset:184
	buffer_store_dword v82, off, s[0:3], 0 offset:188
	s_and_saveexec_b64 s[4:5], vcc
	s_cbranch_execz .LBB38_203
; %bb.202:
	buffer_load_dword v81, off, s[0:3], 0 offset:176
	buffer_load_dword v82, off, s[0:3], 0 offset:180
	s_waitcnt vmcnt(0)
	ds_write_b64 v79, v[81:82]
	buffer_store_dword v80, off, s[0:3], 0 offset:176
	buffer_store_dword v80, off, s[0:3], 0 offset:180
.LBB38_203:
	s_or_b64 exec, exec, s[4:5]
	s_waitcnt lgkmcnt(0)
	; wave barrier
	buffer_load_dword v113, off, s[0:3], 0 offset:188
	buffer_load_dword v114, off, s[0:3], 0 offset:196
	;; [unrolled: 1-line block ×34, first 2 shown]
	ds_read2_b64 v[81:84], v80 offset0:63 offset1:64
	ds_read2_b64 v[85:88], v80 offset0:65 offset1:66
	;; [unrolled: 1-line block ×8, first 2 shown]
	v_cmp_lt_u32_e32 vcc, 21, v0
	s_waitcnt vmcnt(33) lgkmcnt(7)
	v_mul_f32_e32 v80, v81, v113
	v_mul_f32_e32 v113, v82, v113
	s_waitcnt vmcnt(32)
	v_mul_f32_e32 v147, v83, v114
	v_mul_f32_e32 v114, v84, v114
	s_waitcnt vmcnt(31) lgkmcnt(6)
	v_mul_f32_e32 v148, v85, v115
	s_waitcnt vmcnt(30)
	v_mul_f32_e32 v149, v87, v116
	s_waitcnt vmcnt(29) lgkmcnt(5)
	v_mul_f32_e32 v150, v89, v117
	s_waitcnt vmcnt(28)
	;; [unrolled: 4-line block ×6, first 2 shown]
	v_mul_f32_e32 v159, v107, v126
	s_waitcnt vmcnt(17)
	v_fma_f32 v81, v81, v129, -v113
	v_fmac_f32_e32 v80, v82, v129
	s_waitcnt vmcnt(16)
	v_fma_f32 v82, v83, v130, -v114
	v_add_f32_e32 v81, 0, v81
	v_add_f32_e32 v81, v81, v82
	v_mul_f32_e32 v82, v86, v115
	s_waitcnt vmcnt(15)
	v_fma_f32 v82, v85, v131, -v82
	v_add_f32_e32 v81, v81, v82
	v_mul_f32_e32 v82, v88, v116
	s_waitcnt vmcnt(14)
	v_fma_f32 v82, v87, v132, -v82
	;; [unrolled: 4-line block ×7, first 2 shown]
	v_fmac_f32_e32 v147, v84, v130
	v_add_f32_e32 v80, 0, v80
	v_add_f32_e32 v81, v81, v82
	v_mul_f32_e32 v82, v100, v122
	v_fmac_f32_e32 v148, v86, v131
	v_add_f32_e32 v80, v80, v147
	s_waitcnt vmcnt(8)
	v_fma_f32 v82, v99, v138, -v82
	v_fmac_f32_e32 v149, v88, v132
	v_add_f32_e32 v80, v80, v148
	v_add_f32_e32 v81, v81, v82
	v_mul_f32_e32 v82, v102, v123
	v_fmac_f32_e32 v150, v90, v133
	v_add_f32_e32 v80, v80, v149
	s_waitcnt vmcnt(7)
	v_fma_f32 v82, v101, v139, -v82
	;; [unrolled: 8-line block ×5, first 2 shown]
	v_fmac_f32_e32 v157, v104, v140
	v_add_f32_e32 v80, v80, v156
	v_add_f32_e32 v81, v81, v82
	s_waitcnt lgkmcnt(0)
	v_mul_f32_e32 v82, v110, v127
	v_fmac_f32_e32 v158, v106, v141
	v_add_f32_e32 v80, v80, v157
	s_waitcnt vmcnt(3)
	v_fma_f32 v82, v109, v143, -v82
	v_mul_f32_e32 v160, v109, v127
	v_fmac_f32_e32 v159, v108, v142
	v_add_f32_e32 v80, v80, v158
	v_add_f32_e32 v81, v81, v82
	v_mul_f32_e32 v82, v112, v128
	v_mul_f32_e32 v161, v111, v128
	v_fmac_f32_e32 v160, v110, v143
	v_add_f32_e32 v80, v80, v159
	s_waitcnt vmcnt(2)
	v_fma_f32 v82, v111, v144, -v82
	v_fmac_f32_e32 v161, v112, v144
	v_add_f32_e32 v80, v80, v160
	v_add_f32_e32 v81, v81, v82
	;; [unrolled: 1-line block ×3, first 2 shown]
	s_waitcnt vmcnt(1)
	v_sub_f32_e32 v81, v145, v81
	s_waitcnt vmcnt(0)
	v_sub_f32_e32 v80, v146, v80
	buffer_store_dword v81, off, s[0:3], 0 offset:176
	buffer_store_dword v80, off, s[0:3], 0 offset:180
	s_and_saveexec_b64 s[4:5], vcc
	s_cbranch_execz .LBB38_205
; %bb.204:
	buffer_load_dword v80, off, s[0:3], 0 offset:168
	buffer_load_dword v81, off, s[0:3], 0 offset:172
	v_mov_b32_e32 v82, 0
	buffer_store_dword v82, off, s[0:3], 0 offset:168
	buffer_store_dword v82, off, s[0:3], 0 offset:172
	s_waitcnt vmcnt(2)
	ds_write_b64 v79, v[80:81]
.LBB38_205:
	s_or_b64 exec, exec, s[4:5]
	s_waitcnt lgkmcnt(0)
	; wave barrier
	buffer_load_dword v115, off, s[0:3], 0 offset:180
	buffer_load_dword v116, off, s[0:3], 0 offset:188
	;; [unrolled: 1-line block ×36, first 2 shown]
	v_mov_b32_e32 v80, 0
	ds_read_b128 v[81:84], v80 offset:496
	ds_read_b128 v[85:88], v80 offset:512
	;; [unrolled: 1-line block ×8, first 2 shown]
	ds_read_b64 v[113:114], v80 offset:624
	v_cmp_lt_u32_e32 vcc, 20, v0
	s_waitcnt vmcnt(35) lgkmcnt(8)
	v_mul_f32_e32 v151, v81, v115
	s_waitcnt vmcnt(34)
	v_mul_f32_e32 v152, v83, v116
	s_waitcnt vmcnt(33) lgkmcnt(7)
	v_mul_f32_e32 v153, v85, v117
	s_waitcnt vmcnt(32)
	v_mul_f32_e32 v154, v87, v118
	s_waitcnt vmcnt(31) lgkmcnt(6)
	v_mul_f32_e32 v155, v89, v119
	s_waitcnt vmcnt(30)
	v_mul_f32_e32 v156, v91, v120
	s_waitcnt vmcnt(29) lgkmcnt(5)
	v_mul_f32_e32 v157, v93, v121
	s_waitcnt vmcnt(28)
	v_mul_f32_e32 v158, v95, v122
	s_waitcnt vmcnt(27) lgkmcnt(4)
	v_mul_f32_e32 v159, v97, v123
	s_waitcnt vmcnt(26)
	v_mul_f32_e32 v160, v99, v124
	s_waitcnt vmcnt(25) lgkmcnt(3)
	v_mul_f32_e32 v161, v101, v125
	s_waitcnt vmcnt(24)
	v_mul_f32_e32 v162, v103, v126
	s_waitcnt vmcnt(23) lgkmcnt(2)
	v_mul_f32_e32 v163, v105, v127
	s_waitcnt vmcnt(22)
	v_mul_f32_e32 v164, v107, v128
	s_waitcnt vmcnt(21) lgkmcnt(1)
	v_mul_f32_e32 v165, v109, v129
	s_waitcnt vmcnt(20)
	v_mul_f32_e32 v166, v111, v130
	s_waitcnt vmcnt(19) lgkmcnt(0)
	v_mul_f32_e32 v167, v113, v131
	s_waitcnt vmcnt(18)
	v_fmac_f32_e32 v151, v82, v132
	v_mul_f32_e32 v82, v82, v115
	v_fma_f32 v81, v81, v132, -v82
	v_mul_f32_e32 v82, v84, v116
	v_add_f32_e32 v81, 0, v81
	s_waitcnt vmcnt(17)
	v_fma_f32 v82, v83, v133, -v82
	v_add_f32_e32 v81, v81, v82
	v_mul_f32_e32 v82, v86, v117
	s_waitcnt vmcnt(16)
	v_fma_f32 v82, v85, v134, -v82
	v_add_f32_e32 v81, v81, v82
	v_mul_f32_e32 v82, v88, v118
	;; [unrolled: 4-line block ×8, first 2 shown]
	v_fmac_f32_e32 v152, v84, v133
	v_add_f32_e32 v151, 0, v151
	s_waitcnt vmcnt(9)
	v_fma_f32 v82, v99, v141, -v82
	v_fmac_f32_e32 v153, v86, v134
	v_add_f32_e32 v151, v151, v152
	v_add_f32_e32 v81, v81, v82
	v_mul_f32_e32 v82, v102, v125
	v_fmac_f32_e32 v154, v88, v135
	v_add_f32_e32 v151, v151, v153
	s_waitcnt vmcnt(8)
	v_fma_f32 v82, v101, v142, -v82
	v_fmac_f32_e32 v155, v90, v136
	v_add_f32_e32 v151, v151, v154
	v_add_f32_e32 v81, v81, v82
	v_mul_f32_e32 v82, v104, v126
	;; [unrolled: 8-line block ×7, first 2 shown]
	v_fmac_f32_e32 v166, v112, v147
	v_add_f32_e32 v151, v151, v165
	s_waitcnt vmcnt(2)
	v_fma_f32 v82, v113, v148, -v82
	v_fmac_f32_e32 v167, v114, v148
	v_add_f32_e32 v151, v151, v166
	v_add_f32_e32 v81, v81, v82
	;; [unrolled: 1-line block ×3, first 2 shown]
	s_waitcnt vmcnt(1)
	v_sub_f32_e32 v81, v149, v81
	s_waitcnt vmcnt(0)
	v_sub_f32_e32 v82, v150, v151
	buffer_store_dword v81, off, s[0:3], 0 offset:168
	buffer_store_dword v82, off, s[0:3], 0 offset:172
	s_and_saveexec_b64 s[4:5], vcc
	s_cbranch_execz .LBB38_207
; %bb.206:
	buffer_load_dword v81, off, s[0:3], 0 offset:160
	buffer_load_dword v82, off, s[0:3], 0 offset:164
	s_waitcnt vmcnt(0)
	ds_write_b64 v79, v[81:82]
	buffer_store_dword v80, off, s[0:3], 0 offset:160
	buffer_store_dword v80, off, s[0:3], 0 offset:164
.LBB38_207:
	s_or_b64 exec, exec, s[4:5]
	s_waitcnt lgkmcnt(0)
	; wave barrier
	buffer_load_dword v117, off, s[0:3], 0 offset:172
	buffer_load_dword v118, off, s[0:3], 0 offset:180
	;; [unrolled: 1-line block ×38, first 2 shown]
	ds_read2_b64 v[81:84], v80 offset0:61 offset1:62
	ds_read2_b64 v[85:88], v80 offset0:63 offset1:64
	;; [unrolled: 1-line block ×9, first 2 shown]
	v_cmp_lt_u32_e32 vcc, 19, v0
	s_waitcnt vmcnt(37) lgkmcnt(8)
	v_mul_f32_e32 v80, v81, v117
	s_waitcnt vmcnt(36)
	v_mul_f32_e32 v155, v83, v118
	s_waitcnt vmcnt(35) lgkmcnt(7)
	v_mul_f32_e32 v156, v85, v119
	s_waitcnt vmcnt(34)
	v_mul_f32_e32 v157, v87, v120
	;; [unrolled: 4-line block ×8, first 2 shown]
	s_waitcnt vmcnt(21) lgkmcnt(0)
	v_mul_f32_e32 v170, v113, v133
	s_waitcnt vmcnt(20)
	v_fmac_f32_e32 v80, v82, v134
	v_mul_f32_e32 v82, v82, v117
	v_fma_f32 v81, v81, v134, -v82
	v_mul_f32_e32 v82, v84, v118
	v_add_f32_e32 v81, 0, v81
	s_waitcnt vmcnt(19)
	v_fma_f32 v82, v83, v135, -v82
	v_add_f32_e32 v81, v81, v82
	v_mul_f32_e32 v82, v86, v119
	s_waitcnt vmcnt(18)
	v_fma_f32 v82, v85, v136, -v82
	v_add_f32_e32 v81, v81, v82
	v_mul_f32_e32 v82, v88, v120
	;; [unrolled: 4-line block ×8, first 2 shown]
	s_waitcnt vmcnt(11)
	v_fma_f32 v82, v99, v143, -v82
	v_fmac_f32_e32 v155, v84, v135
	v_add_f32_e32 v80, 0, v80
	v_add_f32_e32 v81, v81, v82
	v_mul_f32_e32 v82, v102, v127
	v_fmac_f32_e32 v156, v86, v136
	v_add_f32_e32 v80, v80, v155
	s_waitcnt vmcnt(10)
	v_fma_f32 v82, v101, v144, -v82
	v_fmac_f32_e32 v157, v88, v137
	v_add_f32_e32 v80, v80, v156
	v_add_f32_e32 v81, v81, v82
	v_mul_f32_e32 v82, v104, v128
	v_fmac_f32_e32 v158, v90, v138
	v_add_f32_e32 v80, v80, v157
	;; [unrolled: 8-line block ×7, first 2 shown]
	s_waitcnt vmcnt(4)
	v_fma_f32 v82, v113, v150, -v82
	v_fmac_f32_e32 v169, v112, v149
	v_add_f32_e32 v80, v80, v168
	v_add_f32_e32 v81, v81, v82
	s_waitcnt vmcnt(3)
	v_mul_f32_e32 v82, v116, v151
	v_add_f32_e32 v80, v80, v169
	v_fmac_f32_e32 v170, v114, v150
	v_mul_f32_e32 v155, v115, v151
	s_waitcnt vmcnt(2)
	v_fma_f32 v82, v115, v152, -v82
	v_add_f32_e32 v80, v80, v170
	v_fmac_f32_e32 v155, v116, v152
	v_add_f32_e32 v81, v81, v82
	v_add_f32_e32 v80, v80, v155
	s_waitcnt vmcnt(1)
	v_sub_f32_e32 v81, v153, v81
	s_waitcnt vmcnt(0)
	v_sub_f32_e32 v80, v154, v80
	buffer_store_dword v81, off, s[0:3], 0 offset:160
	buffer_store_dword v80, off, s[0:3], 0 offset:164
	s_and_saveexec_b64 s[4:5], vcc
	s_cbranch_execz .LBB38_209
; %bb.208:
	buffer_load_dword v80, off, s[0:3], 0 offset:152
	buffer_load_dword v81, off, s[0:3], 0 offset:156
	v_mov_b32_e32 v82, 0
	buffer_store_dword v82, off, s[0:3], 0 offset:152
	buffer_store_dword v82, off, s[0:3], 0 offset:156
	s_waitcnt vmcnt(2)
	ds_write_b64 v79, v[80:81]
.LBB38_209:
	s_or_b64 exec, exec, s[4:5]
	s_waitcnt lgkmcnt(0)
	; wave barrier
	buffer_load_dword v119, off, s[0:3], 0 offset:164
	buffer_load_dword v120, off, s[0:3], 0 offset:172
	;; [unrolled: 1-line block ×40, first 2 shown]
	v_mov_b32_e32 v80, 0
	ds_read_b128 v[81:84], v80 offset:480
	ds_read_b128 v[85:88], v80 offset:496
	ds_read_b128 v[89:92], v80 offset:512
	ds_read_b128 v[93:96], v80 offset:528
	ds_read_b128 v[97:100], v80 offset:544
	ds_read_b128 v[101:104], v80 offset:560
	ds_read_b128 v[105:108], v80 offset:576
	ds_read_b128 v[109:112], v80 offset:592
	ds_read_b128 v[113:116], v80 offset:608
	v_cmp_lt_u32_e32 vcc, 18, v0
	s_waitcnt vmcnt(39) lgkmcnt(8)
	v_mul_f32_e32 v117, v81, v119
	s_waitcnt vmcnt(38)
	v_mul_f32_e32 v118, v83, v120
	s_waitcnt vmcnt(37) lgkmcnt(7)
	v_mul_f32_e32 v159, v85, v121
	s_waitcnt vmcnt(36)
	v_mul_f32_e32 v160, v87, v122
	;; [unrolled: 4-line block ×7, first 2 shown]
	s_waitcnt vmcnt(25) lgkmcnt(1)
	v_mul_f32_e32 v171, v109, v133
	s_waitcnt vmcnt(24)
	v_fmac_f32_e32 v117, v82, v134
	v_mul_f32_e32 v82, v82, v119
	v_fma_f32 v81, v81, v134, -v82
	v_mul_f32_e32 v82, v84, v120
	v_add_f32_e32 v81, 0, v81
	s_waitcnt vmcnt(23)
	v_fma_f32 v82, v83, v135, -v82
	v_add_f32_e32 v81, v81, v82
	v_mul_f32_e32 v82, v86, v121
	s_waitcnt vmcnt(22)
	v_fma_f32 v82, v85, v136, -v82
	v_add_f32_e32 v81, v81, v82
	v_mul_f32_e32 v82, v88, v122
	;; [unrolled: 4-line block ×6, first 2 shown]
	s_waitcnt vmcnt(17)
	v_fma_f32 v82, v95, v141, -v82
	v_fmac_f32_e32 v118, v84, v135
	v_add_f32_e32 v117, 0, v117
	v_add_f32_e32 v81, v81, v82
	v_mul_f32_e32 v82, v98, v127
	v_fmac_f32_e32 v159, v86, v136
	v_add_f32_e32 v117, v117, v118
	s_waitcnt vmcnt(16)
	v_fma_f32 v82, v97, v142, -v82
	v_fmac_f32_e32 v160, v88, v137
	v_add_f32_e32 v117, v117, v159
	v_add_f32_e32 v81, v81, v82
	v_mul_f32_e32 v82, v100, v128
	v_fmac_f32_e32 v161, v90, v138
	v_add_f32_e32 v117, v117, v160
	;; [unrolled: 8-line block ×6, first 2 shown]
	s_waitcnt vmcnt(11)
	v_fma_f32 v82, v107, v147, -v82
	v_fmac_f32_e32 v170, v108, v147
	v_add_f32_e32 v117, v117, v169
	v_add_f32_e32 v81, v81, v82
	v_mul_f32_e32 v82, v110, v133
	s_waitcnt vmcnt(10)
	v_fmac_f32_e32 v171, v110, v148
	v_add_f32_e32 v117, v117, v170
	s_waitcnt vmcnt(9)
	v_mul_f32_e32 v118, v111, v149
	v_fma_f32 v82, v109, v148, -v82
	v_add_f32_e32 v117, v117, v171
	s_waitcnt vmcnt(8)
	v_fmac_f32_e32 v118, v112, v150
	v_add_f32_e32 v81, v81, v82
	v_mul_f32_e32 v82, v112, v149
	v_add_f32_e32 v159, v117, v118
	ds_read_b64 v[117:118], v80 offset:624
	v_fma_f32 v82, v111, v150, -v82
	v_add_f32_e32 v81, v81, v82
	s_waitcnt vmcnt(7) lgkmcnt(1)
	v_mul_f32_e32 v82, v114, v151
	v_mul_f32_e32 v160, v113, v151
	s_waitcnt vmcnt(6)
	v_fma_f32 v82, v113, v152, -v82
	v_fmac_f32_e32 v160, v114, v152
	v_add_f32_e32 v81, v81, v82
	s_waitcnt vmcnt(5)
	v_mul_f32_e32 v82, v116, v153
	v_add_f32_e32 v159, v159, v160
	v_mul_f32_e32 v160, v115, v153
	s_waitcnt vmcnt(4)
	v_fma_f32 v82, v115, v154, -v82
	v_fmac_f32_e32 v160, v116, v154
	v_add_f32_e32 v81, v81, v82
	s_waitcnt vmcnt(3) lgkmcnt(0)
	v_mul_f32_e32 v82, v118, v155
	v_add_f32_e32 v159, v159, v160
	v_mul_f32_e32 v160, v117, v155
	s_waitcnt vmcnt(2)
	v_fma_f32 v82, v117, v156, -v82
	v_fmac_f32_e32 v160, v118, v156
	v_add_f32_e32 v81, v81, v82
	v_add_f32_e32 v159, v159, v160
	s_waitcnt vmcnt(1)
	v_sub_f32_e32 v81, v157, v81
	s_waitcnt vmcnt(0)
	v_sub_f32_e32 v82, v158, v159
	buffer_store_dword v81, off, s[0:3], 0 offset:152
	buffer_store_dword v82, off, s[0:3], 0 offset:156
	s_and_saveexec_b64 s[4:5], vcc
	s_cbranch_execz .LBB38_211
; %bb.210:
	buffer_load_dword v81, off, s[0:3], 0 offset:144
	buffer_load_dword v82, off, s[0:3], 0 offset:148
	s_waitcnt vmcnt(0)
	ds_write_b64 v79, v[81:82]
	buffer_store_dword v80, off, s[0:3], 0 offset:144
	buffer_store_dword v80, off, s[0:3], 0 offset:148
.LBB38_211:
	s_or_b64 exec, exec, s[4:5]
	s_waitcnt lgkmcnt(0)
	; wave barrier
	buffer_load_dword v121, off, s[0:3], 0 offset:156
	buffer_load_dword v122, off, s[0:3], 0 offset:164
	;; [unrolled: 1-line block ×42, first 2 shown]
	ds_read2_b64 v[81:84], v80 offset0:59 offset1:60
	ds_read2_b64 v[85:88], v80 offset0:61 offset1:62
	;; [unrolled: 1-line block ×8, first 2 shown]
	v_cmp_lt_u32_e32 vcc, 17, v0
	s_waitcnt vmcnt(41) lgkmcnt(7)
	v_mul_f32_e32 v113, v81, v121
	s_waitcnt vmcnt(40)
	v_mul_f32_e32 v114, v83, v122
	s_waitcnt vmcnt(39) lgkmcnt(6)
	v_mul_f32_e32 v115, v85, v123
	s_waitcnt vmcnt(38)
	v_mul_f32_e32 v116, v87, v124
	;; [unrolled: 4-line block ×7, first 2 shown]
	s_waitcnt vmcnt(27) lgkmcnt(0)
	v_mul_f32_e32 v169, v109, v135
	s_waitcnt vmcnt(26)
	v_fmac_f32_e32 v113, v82, v136
	v_mul_f32_e32 v82, v82, v121
	v_fma_f32 v81, v81, v136, -v82
	v_mul_f32_e32 v82, v84, v122
	v_add_f32_e32 v81, 0, v81
	s_waitcnt vmcnt(25)
	v_fma_f32 v82, v83, v137, -v82
	v_add_f32_e32 v81, v81, v82
	v_mul_f32_e32 v82, v86, v123
	s_waitcnt vmcnt(24)
	v_fma_f32 v82, v85, v138, -v82
	v_add_f32_e32 v81, v81, v82
	v_mul_f32_e32 v82, v88, v124
	;; [unrolled: 4-line block ×5, first 2 shown]
	v_fmac_f32_e32 v114, v84, v137
	v_add_f32_e32 v113, 0, v113
	s_waitcnt vmcnt(20)
	v_fma_f32 v82, v93, v142, -v82
	v_fmac_f32_e32 v115, v86, v138
	v_add_f32_e32 v113, v113, v114
	v_add_f32_e32 v81, v81, v82
	v_mul_f32_e32 v82, v96, v128
	v_fmac_f32_e32 v116, v88, v139
	v_add_f32_e32 v113, v113, v115
	s_waitcnt vmcnt(19)
	v_fma_f32 v82, v95, v143, -v82
	v_fmac_f32_e32 v117, v90, v140
	v_add_f32_e32 v113, v113, v116
	v_add_f32_e32 v81, v81, v82
	v_mul_f32_e32 v82, v98, v129
	;; [unrolled: 8-line block ×5, first 2 shown]
	s_waitcnt vmcnt(15)
	v_fmac_f32_e32 v166, v104, v147
	v_add_f32_e32 v113, v113, v165
	v_fma_f32 v82, v103, v147, -v82
	s_waitcnt vmcnt(14)
	v_fmac_f32_e32 v167, v106, v148
	v_add_f32_e32 v113, v113, v166
	v_add_f32_e32 v81, v81, v82
	v_mul_f32_e32 v82, v106, v133
	s_waitcnt vmcnt(13)
	v_fmac_f32_e32 v168, v108, v149
	v_add_f32_e32 v113, v113, v167
	v_fma_f32 v82, v105, v148, -v82
	s_waitcnt vmcnt(12)
	v_fmac_f32_e32 v169, v110, v150
	v_add_f32_e32 v113, v113, v168
	v_add_f32_e32 v81, v81, v82
	v_mul_f32_e32 v82, v108, v134
	v_add_f32_e32 v117, v113, v169
	ds_read2_b64 v[113:116], v80 offset0:75 offset1:76
	v_fma_f32 v82, v107, v149, -v82
	v_add_f32_e32 v81, v81, v82
	v_mul_f32_e32 v82, v110, v135
	s_waitcnt vmcnt(11)
	v_mul_f32_e32 v118, v111, v151
	v_fma_f32 v82, v109, v150, -v82
	s_waitcnt vmcnt(10)
	v_fmac_f32_e32 v118, v112, v152
	v_add_f32_e32 v81, v81, v82
	v_mul_f32_e32 v82, v112, v151
	v_add_f32_e32 v163, v117, v118
	ds_read2_b64 v[117:120], v80 offset0:77 offset1:78
	v_fma_f32 v82, v111, v152, -v82
	v_add_f32_e32 v81, v81, v82
	s_waitcnt vmcnt(9) lgkmcnt(1)
	v_mul_f32_e32 v82, v114, v153
	v_mul_f32_e32 v80, v113, v153
	s_waitcnt vmcnt(8)
	v_fma_f32 v82, v113, v154, -v82
	v_fmac_f32_e32 v80, v114, v154
	v_add_f32_e32 v81, v81, v82
	s_waitcnt vmcnt(7)
	v_mul_f32_e32 v82, v116, v155
	v_add_f32_e32 v80, v163, v80
	v_mul_f32_e32 v163, v115, v155
	s_waitcnt vmcnt(6)
	v_fma_f32 v82, v115, v156, -v82
	v_fmac_f32_e32 v163, v116, v156
	v_add_f32_e32 v81, v81, v82
	s_waitcnt vmcnt(5) lgkmcnt(0)
	v_mul_f32_e32 v82, v118, v157
	v_add_f32_e32 v80, v80, v163
	v_mul_f32_e32 v163, v117, v157
	s_waitcnt vmcnt(4)
	v_fma_f32 v82, v117, v158, -v82
	v_fmac_f32_e32 v163, v118, v158
	v_add_f32_e32 v81, v81, v82
	s_waitcnt vmcnt(3)
	v_mul_f32_e32 v82, v120, v159
	v_add_f32_e32 v80, v80, v163
	v_mul_f32_e32 v163, v119, v159
	s_waitcnt vmcnt(2)
	v_fma_f32 v82, v119, v160, -v82
	v_fmac_f32_e32 v163, v120, v160
	v_add_f32_e32 v81, v81, v82
	v_add_f32_e32 v80, v80, v163
	s_waitcnt vmcnt(1)
	v_sub_f32_e32 v81, v161, v81
	s_waitcnt vmcnt(0)
	v_sub_f32_e32 v80, v162, v80
	buffer_store_dword v81, off, s[0:3], 0 offset:144
	buffer_store_dword v80, off, s[0:3], 0 offset:148
	s_and_saveexec_b64 s[4:5], vcc
	s_cbranch_execz .LBB38_213
; %bb.212:
	buffer_load_dword v80, off, s[0:3], 0 offset:136
	buffer_load_dword v81, off, s[0:3], 0 offset:140
	v_mov_b32_e32 v82, 0
	buffer_store_dword v82, off, s[0:3], 0 offset:136
	buffer_store_dword v82, off, s[0:3], 0 offset:140
	s_waitcnt vmcnt(2)
	ds_write_b64 v79, v[80:81]
.LBB38_213:
	s_or_b64 exec, exec, s[4:5]
	s_waitcnt lgkmcnt(0)
	; wave barrier
	buffer_load_dword v123, off, s[0:3], 0 offset:148
	buffer_load_dword v124, off, s[0:3], 0 offset:156
	;; [unrolled: 1-line block ×44, first 2 shown]
	v_mov_b32_e32 v80, 0
	ds_read_b128 v[81:84], v80 offset:464
	ds_read_b128 v[85:88], v80 offset:480
	;; [unrolled: 1-line block ×8, first 2 shown]
	v_cmp_lt_u32_e32 vcc, 16, v0
	s_waitcnt vmcnt(43) lgkmcnt(7)
	v_mul_f32_e32 v113, v81, v123
	s_waitcnt vmcnt(42)
	v_mul_f32_e32 v114, v83, v124
	s_waitcnt vmcnt(41) lgkmcnt(6)
	v_mul_f32_e32 v115, v85, v125
	s_waitcnt vmcnt(40)
	v_mul_f32_e32 v116, v87, v126
	;; [unrolled: 4-line block ×7, first 2 shown]
	s_waitcnt vmcnt(29)
	v_fmac_f32_e32 v113, v82, v137
	v_mul_f32_e32 v82, v82, v123
	v_fma_f32 v81, v81, v137, -v82
	v_mul_f32_e32 v82, v84, v124
	v_add_f32_e32 v81, 0, v81
	s_waitcnt vmcnt(28)
	v_fma_f32 v82, v83, v138, -v82
	v_add_f32_e32 v81, v81, v82
	v_mul_f32_e32 v82, v86, v125
	s_waitcnt vmcnt(27)
	v_fma_f32 v82, v85, v139, -v82
	v_add_f32_e32 v81, v81, v82
	v_mul_f32_e32 v82, v88, v126
	;; [unrolled: 4-line block ×4, first 2 shown]
	s_waitcnt vmcnt(24)
	v_fma_f32 v82, v91, v142, -v82
	v_fmac_f32_e32 v114, v84, v138
	v_add_f32_e32 v113, 0, v113
	v_add_f32_e32 v81, v81, v82
	v_mul_f32_e32 v82, v94, v129
	v_fmac_f32_e32 v115, v86, v139
	v_add_f32_e32 v113, v113, v114
	s_waitcnt vmcnt(23)
	v_fma_f32 v82, v93, v143, -v82
	v_fmac_f32_e32 v116, v88, v140
	v_add_f32_e32 v113, v113, v115
	v_add_f32_e32 v81, v81, v82
	v_mul_f32_e32 v82, v96, v130
	v_fmac_f32_e32 v117, v90, v141
	v_add_f32_e32 v113, v113, v116
	;; [unrolled: 8-line block ×4, first 2 shown]
	s_waitcnt vmcnt(20)
	v_fma_f32 v82, v99, v146, -v82
	v_fmac_f32_e32 v122, v100, v146
	v_add_f32_e32 v113, v113, v121
	v_add_f32_e32 v81, v81, v82
	v_mul_f32_e32 v82, v102, v133
	s_waitcnt vmcnt(19)
	v_fmac_f32_e32 v167, v102, v147
	v_add_f32_e32 v113, v113, v122
	v_fma_f32 v82, v101, v147, -v82
	s_waitcnt vmcnt(18)
	v_fmac_f32_e32 v168, v104, v148
	v_add_f32_e32 v113, v113, v167
	v_add_f32_e32 v81, v81, v82
	v_mul_f32_e32 v82, v104, v134
	s_waitcnt vmcnt(17)
	v_fmac_f32_e32 v169, v106, v149
	v_add_f32_e32 v113, v113, v168
	v_fma_f32 v82, v103, v148, -v82
	v_add_f32_e32 v113, v113, v169
	s_waitcnt vmcnt(16)
	v_fmac_f32_e32 v170, v108, v150
	s_waitcnt vmcnt(15) lgkmcnt(0)
	v_mul_f32_e32 v114, v109, v151
	v_add_f32_e32 v81, v81, v82
	v_mul_f32_e32 v82, v106, v135
	v_add_f32_e32 v113, v113, v170
	s_waitcnt vmcnt(14)
	v_fmac_f32_e32 v114, v110, v152
	v_fma_f32 v82, v105, v149, -v82
	v_add_f32_e32 v117, v113, v114
	ds_read_b128 v[113:116], v80 offset:592
	v_add_f32_e32 v81, v81, v82
	v_mul_f32_e32 v82, v108, v136
	v_fma_f32 v82, v107, v150, -v82
	v_add_f32_e32 v81, v81, v82
	v_mul_f32_e32 v82, v110, v151
	s_waitcnt vmcnt(13)
	v_mul_f32_e32 v118, v111, v153
	v_fma_f32 v82, v109, v152, -v82
	s_waitcnt vmcnt(12)
	v_fmac_f32_e32 v118, v112, v154
	v_add_f32_e32 v81, v81, v82
	v_mul_f32_e32 v82, v112, v153
	v_add_f32_e32 v121, v117, v118
	ds_read_b128 v[117:120], v80 offset:608
	s_waitcnt vmcnt(11) lgkmcnt(1)
	v_mul_f32_e32 v122, v113, v155
	v_fma_f32 v82, v111, v154, -v82
	s_waitcnt vmcnt(10)
	v_fmac_f32_e32 v122, v114, v156
	v_add_f32_e32 v81, v81, v82
	v_mul_f32_e32 v82, v114, v155
	v_add_f32_e32 v121, v121, v122
	s_waitcnt vmcnt(9)
	v_mul_f32_e32 v122, v115, v157
	v_fma_f32 v82, v113, v156, -v82
	s_waitcnt vmcnt(8)
	v_fmac_f32_e32 v122, v116, v158
	v_add_f32_e32 v81, v81, v82
	v_mul_f32_e32 v82, v116, v157
	v_add_f32_e32 v167, v121, v122
	ds_read_b64 v[121:122], v80 offset:624
	v_fma_f32 v82, v115, v158, -v82
	v_add_f32_e32 v81, v81, v82
	s_waitcnt vmcnt(7) lgkmcnt(1)
	v_mul_f32_e32 v82, v118, v159
	v_mul_f32_e32 v168, v117, v159
	s_waitcnt vmcnt(6)
	v_fma_f32 v82, v117, v160, -v82
	v_fmac_f32_e32 v168, v118, v160
	v_add_f32_e32 v81, v81, v82
	s_waitcnt vmcnt(5)
	v_mul_f32_e32 v82, v120, v161
	v_add_f32_e32 v167, v167, v168
	v_mul_f32_e32 v168, v119, v161
	s_waitcnt vmcnt(4)
	v_fma_f32 v82, v119, v162, -v82
	v_fmac_f32_e32 v168, v120, v162
	v_add_f32_e32 v81, v81, v82
	s_waitcnt vmcnt(3) lgkmcnt(0)
	v_mul_f32_e32 v82, v122, v163
	v_add_f32_e32 v167, v167, v168
	v_mul_f32_e32 v168, v121, v163
	s_waitcnt vmcnt(2)
	v_fma_f32 v82, v121, v164, -v82
	v_fmac_f32_e32 v168, v122, v164
	v_add_f32_e32 v81, v81, v82
	v_add_f32_e32 v167, v167, v168
	s_waitcnt vmcnt(1)
	v_sub_f32_e32 v81, v165, v81
	s_waitcnt vmcnt(0)
	v_sub_f32_e32 v82, v166, v167
	buffer_store_dword v81, off, s[0:3], 0 offset:136
	buffer_store_dword v82, off, s[0:3], 0 offset:140
	s_and_saveexec_b64 s[4:5], vcc
	s_cbranch_execz .LBB38_215
; %bb.214:
	buffer_load_dword v81, off, s[0:3], 0 offset:128
	buffer_load_dword v82, off, s[0:3], 0 offset:132
	s_waitcnt vmcnt(0)
	ds_write_b64 v79, v[81:82]
	buffer_store_dword v80, off, s[0:3], 0 offset:128
	buffer_store_dword v80, off, s[0:3], 0 offset:132
.LBB38_215:
	s_or_b64 exec, exec, s[4:5]
	s_waitcnt lgkmcnt(0)
	; wave barrier
	buffer_load_dword v125, off, s[0:3], 0 offset:140
	buffer_load_dword v126, off, s[0:3], 0 offset:148
	buffer_load_dword v127, off, s[0:3], 0 offset:156
	buffer_load_dword v128, off, s[0:3], 0 offset:164
	buffer_load_dword v129, off, s[0:3], 0 offset:172
	buffer_load_dword v130, off, s[0:3], 0 offset:180
	buffer_load_dword v131, off, s[0:3], 0 offset:188
	buffer_load_dword v132, off, s[0:3], 0 offset:196
	buffer_load_dword v133, off, s[0:3], 0 offset:204
	buffer_load_dword v134, off, s[0:3], 0 offset:212
	buffer_load_dword v135, off, s[0:3], 0 offset:220
	buffer_load_dword v136, off, s[0:3], 0 offset:228
	buffer_load_dword v137, off, s[0:3], 0 offset:236
	buffer_load_dword v138, off, s[0:3], 0 offset:136
	buffer_load_dword v139, off, s[0:3], 0 offset:144
	buffer_load_dword v140, off, s[0:3], 0 offset:152
	buffer_load_dword v141, off, s[0:3], 0 offset:160
	buffer_load_dword v142, off, s[0:3], 0 offset:168
	buffer_load_dword v143, off, s[0:3], 0 offset:176
	buffer_load_dword v144, off, s[0:3], 0 offset:184
	buffer_load_dword v145, off, s[0:3], 0 offset:192
	buffer_load_dword v146, off, s[0:3], 0 offset:200
	buffer_load_dword v147, off, s[0:3], 0 offset:208
	buffer_load_dword v148, off, s[0:3], 0 offset:216
	buffer_load_dword v149, off, s[0:3], 0 offset:224
	buffer_load_dword v150, off, s[0:3], 0 offset:232
	buffer_load_dword v151, off, s[0:3], 0 offset:244
	buffer_load_dword v152, off, s[0:3], 0 offset:240
	buffer_load_dword v153, off, s[0:3], 0 offset:252
	buffer_load_dword v154, off, s[0:3], 0 offset:248
	buffer_load_dword v155, off, s[0:3], 0 offset:260
	buffer_load_dword v156, off, s[0:3], 0 offset:256
	buffer_load_dword v157, off, s[0:3], 0 offset:268
	buffer_load_dword v158, off, s[0:3], 0 offset:264
	buffer_load_dword v159, off, s[0:3], 0 offset:276
	buffer_load_dword v160, off, s[0:3], 0 offset:272
	buffer_load_dword v161, off, s[0:3], 0 offset:284
	buffer_load_dword v162, off, s[0:3], 0 offset:280
	buffer_load_dword v163, off, s[0:3], 0 offset:292
	buffer_load_dword v164, off, s[0:3], 0 offset:288
	buffer_load_dword v165, off, s[0:3], 0 offset:300
	buffer_load_dword v166, off, s[0:3], 0 offset:296
	buffer_load_dword v167, off, s[0:3], 0 offset:308
	buffer_load_dword v168, off, s[0:3], 0 offset:304
	buffer_load_dword v169, off, s[0:3], 0 offset:128
	buffer_load_dword v170, off, s[0:3], 0 offset:132
	ds_read2_b64 v[81:84], v80 offset0:57 offset1:58
	ds_read2_b64 v[85:88], v80 offset0:59 offset1:60
	;; [unrolled: 1-line block ×8, first 2 shown]
	v_cmp_lt_u32_e32 vcc, 15, v0
	s_waitcnt vmcnt(45) lgkmcnt(7)
	v_mul_f32_e32 v113, v81, v125
	s_waitcnt vmcnt(44)
	v_mul_f32_e32 v114, v83, v126
	s_waitcnt vmcnt(43) lgkmcnt(6)
	v_mul_f32_e32 v115, v85, v127
	s_waitcnt vmcnt(42)
	v_mul_f32_e32 v116, v87, v128
	;; [unrolled: 4-line block ×6, first 2 shown]
	s_waitcnt vmcnt(33) lgkmcnt(1)
	v_mul_f32_e32 v171, v105, v137
	s_waitcnt vmcnt(32)
	v_fmac_f32_e32 v113, v82, v138
	v_mul_f32_e32 v82, v82, v125
	v_fma_f32 v81, v81, v138, -v82
	v_mul_f32_e32 v82, v84, v126
	v_add_f32_e32 v81, 0, v81
	s_waitcnt vmcnt(31)
	v_fma_f32 v82, v83, v139, -v82
	v_add_f32_e32 v81, v81, v82
	v_mul_f32_e32 v82, v86, v127
	s_waitcnt vmcnt(30)
	v_fma_f32 v82, v85, v140, -v82
	v_add_f32_e32 v81, v81, v82
	v_mul_f32_e32 v82, v88, v128
	;; [unrolled: 4-line block ×4, first 2 shown]
	v_fmac_f32_e32 v114, v84, v139
	v_add_f32_e32 v113, 0, v113
	s_waitcnt vmcnt(27)
	v_fma_f32 v82, v91, v143, -v82
	v_fmac_f32_e32 v115, v86, v140
	v_add_f32_e32 v113, v113, v114
	v_add_f32_e32 v81, v81, v82
	v_mul_f32_e32 v82, v94, v131
	v_fmac_f32_e32 v116, v88, v141
	v_add_f32_e32 v113, v113, v115
	s_waitcnt vmcnt(26)
	v_fma_f32 v82, v93, v144, -v82
	v_fmac_f32_e32 v117, v90, v142
	v_add_f32_e32 v113, v113, v116
	v_add_f32_e32 v81, v81, v82
	v_mul_f32_e32 v82, v96, v132
	;; [unrolled: 8-line block ×4, first 2 shown]
	s_waitcnt vmcnt(23)
	v_fmac_f32_e32 v122, v100, v147
	v_add_f32_e32 v113, v113, v121
	v_fma_f32 v82, v99, v147, -v82
	s_waitcnt vmcnt(22)
	v_fmac_f32_e32 v123, v102, v148
	v_add_f32_e32 v113, v113, v122
	v_add_f32_e32 v81, v81, v82
	v_mul_f32_e32 v82, v102, v135
	s_waitcnt vmcnt(21)
	v_fmac_f32_e32 v124, v104, v149
	v_add_f32_e32 v113, v113, v123
	v_fma_f32 v82, v101, v148, -v82
	s_waitcnt vmcnt(20)
	v_fmac_f32_e32 v171, v106, v150
	v_add_f32_e32 v113, v113, v124
	s_waitcnt vmcnt(19)
	v_mul_f32_e32 v114, v107, v151
	v_add_f32_e32 v81, v81, v82
	v_mul_f32_e32 v82, v104, v136
	v_add_f32_e32 v113, v113, v171
	s_waitcnt vmcnt(18)
	v_fmac_f32_e32 v114, v108, v152
	v_fma_f32 v82, v103, v149, -v82
	v_add_f32_e32 v113, v113, v114
	s_waitcnt vmcnt(17) lgkmcnt(0)
	v_mul_f32_e32 v114, v109, v153
	v_add_f32_e32 v81, v81, v82
	v_mul_f32_e32 v82, v106, v137
	s_waitcnt vmcnt(16)
	v_fmac_f32_e32 v114, v110, v154
	v_fma_f32 v82, v105, v150, -v82
	v_add_f32_e32 v117, v113, v114
	ds_read2_b64 v[113:116], v80 offset0:73 offset1:74
	v_add_f32_e32 v81, v81, v82
	v_mul_f32_e32 v82, v108, v151
	v_fma_f32 v82, v107, v152, -v82
	v_add_f32_e32 v81, v81, v82
	v_mul_f32_e32 v82, v110, v153
	s_waitcnt vmcnt(15)
	v_mul_f32_e32 v118, v111, v155
	v_fma_f32 v82, v109, v154, -v82
	s_waitcnt vmcnt(14)
	v_fmac_f32_e32 v118, v112, v156
	v_add_f32_e32 v81, v81, v82
	v_mul_f32_e32 v82, v112, v155
	v_add_f32_e32 v121, v117, v118
	ds_read2_b64 v[117:120], v80 offset0:75 offset1:76
	s_waitcnt vmcnt(13) lgkmcnt(1)
	v_mul_f32_e32 v122, v113, v157
	v_fma_f32 v82, v111, v156, -v82
	s_waitcnt vmcnt(12)
	v_fmac_f32_e32 v122, v114, v158
	v_add_f32_e32 v81, v81, v82
	v_mul_f32_e32 v82, v114, v157
	v_add_f32_e32 v121, v121, v122
	s_waitcnt vmcnt(11)
	v_mul_f32_e32 v122, v115, v159
	v_fma_f32 v82, v113, v158, -v82
	s_waitcnt vmcnt(10)
	v_fmac_f32_e32 v122, v116, v160
	v_add_f32_e32 v81, v81, v82
	v_mul_f32_e32 v82, v116, v159
	v_add_f32_e32 v171, v121, v122
	ds_read2_b64 v[121:124], v80 offset0:77 offset1:78
	v_fma_f32 v82, v115, v160, -v82
	v_add_f32_e32 v81, v81, v82
	s_waitcnt vmcnt(9) lgkmcnt(1)
	v_mul_f32_e32 v82, v118, v161
	v_mul_f32_e32 v172, v117, v161
	s_waitcnt vmcnt(8)
	v_fma_f32 v82, v117, v162, -v82
	v_fmac_f32_e32 v172, v118, v162
	v_add_f32_e32 v81, v81, v82
	s_waitcnt vmcnt(7)
	v_mul_f32_e32 v82, v120, v163
	v_add_f32_e32 v80, v171, v172
	v_mul_f32_e32 v171, v119, v163
	s_waitcnt vmcnt(6)
	v_fma_f32 v82, v119, v164, -v82
	v_fmac_f32_e32 v171, v120, v164
	v_add_f32_e32 v81, v81, v82
	s_waitcnt vmcnt(5) lgkmcnt(0)
	v_mul_f32_e32 v82, v122, v165
	v_add_f32_e32 v80, v80, v171
	v_mul_f32_e32 v171, v121, v165
	s_waitcnt vmcnt(4)
	v_fma_f32 v82, v121, v166, -v82
	v_fmac_f32_e32 v171, v122, v166
	v_add_f32_e32 v81, v81, v82
	s_waitcnt vmcnt(3)
	v_mul_f32_e32 v82, v124, v167
	v_add_f32_e32 v80, v80, v171
	v_mul_f32_e32 v171, v123, v167
	s_waitcnt vmcnt(2)
	v_fma_f32 v82, v123, v168, -v82
	v_fmac_f32_e32 v171, v124, v168
	v_add_f32_e32 v81, v81, v82
	v_add_f32_e32 v80, v80, v171
	s_waitcnt vmcnt(1)
	v_sub_f32_e32 v81, v169, v81
	s_waitcnt vmcnt(0)
	v_sub_f32_e32 v80, v170, v80
	buffer_store_dword v81, off, s[0:3], 0 offset:128
	buffer_store_dword v80, off, s[0:3], 0 offset:132
	s_and_saveexec_b64 s[4:5], vcc
	s_cbranch_execz .LBB38_217
; %bb.216:
	buffer_load_dword v80, off, s[0:3], 0 offset:120
	buffer_load_dword v81, off, s[0:3], 0 offset:124
	v_mov_b32_e32 v82, 0
	buffer_store_dword v82, off, s[0:3], 0 offset:120
	buffer_store_dword v82, off, s[0:3], 0 offset:124
	s_waitcnt vmcnt(2)
	ds_write_b64 v79, v[80:81]
.LBB38_217:
	s_or_b64 exec, exec, s[4:5]
	s_waitcnt lgkmcnt(0)
	; wave barrier
	buffer_load_dword v127, off, s[0:3], 0 offset:132
	buffer_load_dword v128, off, s[0:3], 0 offset:140
	;; [unrolled: 1-line block ×48, first 2 shown]
	v_mov_b32_e32 v80, 0
	ds_read_b128 v[81:84], v80 offset:448
	ds_read_b128 v[85:88], v80 offset:464
	;; [unrolled: 1-line block ×7, first 2 shown]
	v_cmp_lt_u32_e32 vcc, 14, v0
	s_waitcnt vmcnt(47) lgkmcnt(6)
	v_mul_f32_e32 v109, v81, v127
	s_waitcnt vmcnt(46)
	v_mul_f32_e32 v110, v83, v128
	s_waitcnt vmcnt(45) lgkmcnt(5)
	v_mul_f32_e32 v111, v85, v129
	s_waitcnt vmcnt(44)
	v_mul_f32_e32 v112, v87, v130
	;; [unrolled: 4-line block ×6, first 2 shown]
	s_waitcnt vmcnt(35)
	v_fmac_f32_e32 v109, v82, v139
	v_mul_f32_e32 v82, v82, v127
	v_fma_f32 v81, v81, v139, -v82
	v_mul_f32_e32 v82, v84, v128
	v_add_f32_e32 v81, 0, v81
	s_waitcnt vmcnt(34)
	v_fma_f32 v82, v83, v140, -v82
	v_add_f32_e32 v81, v81, v82
	v_mul_f32_e32 v82, v86, v129
	s_waitcnt vmcnt(33)
	v_fma_f32 v82, v85, v141, -v82
	v_fmac_f32_e32 v110, v84, v140
	v_add_f32_e32 v109, 0, v109
	v_add_f32_e32 v81, v81, v82
	v_mul_f32_e32 v82, v88, v130
	v_fmac_f32_e32 v111, v86, v141
	v_add_f32_e32 v109, v109, v110
	s_waitcnt vmcnt(32)
	v_fma_f32 v82, v87, v142, -v82
	v_fmac_f32_e32 v112, v88, v142
	v_add_f32_e32 v109, v109, v111
	v_add_f32_e32 v81, v81, v82
	v_mul_f32_e32 v82, v90, v131
	s_waitcnt vmcnt(31)
	v_fmac_f32_e32 v113, v90, v143
	v_add_f32_e32 v109, v109, v112
	v_fma_f32 v82, v89, v143, -v82
	s_waitcnt vmcnt(30)
	v_fmac_f32_e32 v114, v92, v144
	v_add_f32_e32 v109, v109, v113
	v_add_f32_e32 v81, v81, v82
	v_mul_f32_e32 v82, v92, v132
	s_waitcnt vmcnt(29)
	v_fmac_f32_e32 v115, v94, v145
	v_add_f32_e32 v109, v109, v114
	v_fma_f32 v82, v91, v144, -v82
	s_waitcnt vmcnt(28)
	;; [unrolled: 9-line block ×4, first 2 shown]
	v_fmac_f32_e32 v120, v104, v150
	v_add_f32_e32 v109, v109, v119
	v_add_f32_e32 v81, v81, v82
	v_mul_f32_e32 v82, v98, v135
	v_add_f32_e32 v113, v109, v120
	ds_read_b128 v[109:112], v80 offset:560
	v_fma_f32 v82, v97, v147, -v82
	s_waitcnt vmcnt(23) lgkmcnt(1)
	v_mul_f32_e32 v114, v105, v151
	v_add_f32_e32 v81, v81, v82
	v_mul_f32_e32 v82, v100, v136
	s_waitcnt vmcnt(22)
	v_fmac_f32_e32 v114, v106, v152
	v_fma_f32 v82, v99, v148, -v82
	v_add_f32_e32 v113, v113, v114
	s_waitcnt vmcnt(21)
	v_mul_f32_e32 v114, v107, v153
	v_add_f32_e32 v81, v81, v82
	v_mul_f32_e32 v82, v102, v137
	s_waitcnt vmcnt(20)
	v_fmac_f32_e32 v114, v108, v154
	v_fma_f32 v82, v101, v149, -v82
	v_add_f32_e32 v113, v113, v114
	s_waitcnt vmcnt(19) lgkmcnt(0)
	v_mul_f32_e32 v114, v109, v155
	v_add_f32_e32 v81, v81, v82
	v_mul_f32_e32 v82, v104, v138
	s_waitcnt vmcnt(18)
	v_fmac_f32_e32 v114, v110, v156
	v_fma_f32 v82, v103, v150, -v82
	v_add_f32_e32 v117, v113, v114
	ds_read_b128 v[113:116], v80 offset:576
	v_add_f32_e32 v81, v81, v82
	v_mul_f32_e32 v82, v106, v151
	v_fma_f32 v82, v105, v152, -v82
	s_waitcnt vmcnt(17)
	v_mul_f32_e32 v118, v111, v157
	v_add_f32_e32 v81, v81, v82
	v_mul_f32_e32 v82, v108, v153
	s_waitcnt vmcnt(16)
	v_fmac_f32_e32 v118, v112, v158
	v_fma_f32 v82, v107, v154, -v82
	v_add_f32_e32 v121, v117, v118
	ds_read_b128 v[117:120], v80 offset:592
	v_add_f32_e32 v81, v81, v82
	v_mul_f32_e32 v82, v110, v155
	s_waitcnt vmcnt(15) lgkmcnt(1)
	v_mul_f32_e32 v122, v113, v159
	v_fma_f32 v82, v109, v156, -v82
	s_waitcnt vmcnt(14)
	v_fmac_f32_e32 v122, v114, v160
	v_add_f32_e32 v81, v81, v82
	v_mul_f32_e32 v82, v112, v157
	v_add_f32_e32 v121, v121, v122
	s_waitcnt vmcnt(13)
	v_mul_f32_e32 v122, v115, v161
	v_fma_f32 v82, v111, v158, -v82
	s_waitcnt vmcnt(12)
	v_fmac_f32_e32 v122, v116, v162
	v_add_f32_e32 v81, v81, v82
	v_mul_f32_e32 v82, v114, v159
	v_add_f32_e32 v121, v121, v122
	s_waitcnt vmcnt(11) lgkmcnt(0)
	v_mul_f32_e32 v122, v117, v163
	v_fma_f32 v82, v113, v160, -v82
	s_waitcnt vmcnt(10)
	v_fmac_f32_e32 v122, v118, v164
	v_add_f32_e32 v81, v81, v82
	v_mul_f32_e32 v82, v116, v161
	v_add_f32_e32 v125, v121, v122
	ds_read_b128 v[121:124], v80 offset:608
	v_fma_f32 v82, v115, v162, -v82
	v_add_f32_e32 v81, v81, v82
	v_mul_f32_e32 v82, v118, v163
	s_waitcnt vmcnt(9)
	v_mul_f32_e32 v126, v119, v165
	v_fma_f32 v82, v117, v164, -v82
	s_waitcnt vmcnt(8)
	v_fmac_f32_e32 v126, v120, v166
	v_add_f32_e32 v81, v81, v82
	v_mul_f32_e32 v82, v120, v165
	v_add_f32_e32 v175, v125, v126
	ds_read_b64 v[125:126], v80 offset:624
	v_fma_f32 v82, v119, v166, -v82
	v_add_f32_e32 v81, v81, v82
	s_waitcnt vmcnt(6) lgkmcnt(1)
	v_mul_f32_e32 v82, v122, v168
	v_mul_f32_e32 v176, v121, v168
	v_fma_f32 v82, v121, v167, -v82
	v_fmac_f32_e32 v176, v122, v167
	v_add_f32_e32 v81, v81, v82
	s_waitcnt vmcnt(3)
	v_mul_f32_e32 v82, v124, v171
	v_add_f32_e32 v175, v175, v176
	v_mul_f32_e32 v176, v123, v171
	s_waitcnt vmcnt(2)
	v_fma_f32 v82, v123, v172, -v82
	v_fmac_f32_e32 v176, v124, v172
	v_add_f32_e32 v81, v81, v82
	s_waitcnt vmcnt(0) lgkmcnt(0)
	v_mul_f32_e32 v82, v126, v174
	v_add_f32_e32 v175, v175, v176
	v_mul_f32_e32 v176, v125, v174
	v_fma_f32 v82, v125, v173, -v82
	v_fmac_f32_e32 v176, v126, v173
	v_add_f32_e32 v81, v81, v82
	v_add_f32_e32 v175, v175, v176
	v_sub_f32_e32 v81, v169, v81
	v_sub_f32_e32 v82, v170, v175
	buffer_store_dword v81, off, s[0:3], 0 offset:120
	buffer_store_dword v82, off, s[0:3], 0 offset:124
	s_and_saveexec_b64 s[4:5], vcc
	s_cbranch_execz .LBB38_219
; %bb.218:
	buffer_load_dword v81, off, s[0:3], 0 offset:112
	buffer_load_dword v82, off, s[0:3], 0 offset:116
	s_waitcnt vmcnt(0)
	ds_write_b64 v79, v[81:82]
	buffer_store_dword v80, off, s[0:3], 0 offset:112
	buffer_store_dword v80, off, s[0:3], 0 offset:116
.LBB38_219:
	s_or_b64 exec, exec, s[4:5]
	s_waitcnt lgkmcnt(0)
	; wave barrier
	buffer_load_dword v129, off, s[0:3], 0 offset:124
	buffer_load_dword v130, off, s[0:3], 0 offset:132
	;; [unrolled: 1-line block ×48, first 2 shown]
	ds_read2_b64 v[81:84], v80 offset0:55 offset1:56
	ds_read2_b64 v[85:88], v80 offset0:57 offset1:58
	buffer_load_dword v177, off, s[0:3], 0 offset:304
	buffer_load_dword v178, off, s[0:3], 0 offset:308
	ds_read2_b64 v[89:92], v80 offset0:59 offset1:60
	ds_read2_b64 v[93:96], v80 offset0:61 offset1:62
	;; [unrolled: 1-line block ×5, first 2 shown]
	v_cmp_lt_u32_e32 vcc, 13, v0
	s_waitcnt vmcnt(49) lgkmcnt(6)
	v_mul_f32_e32 v109, v81, v129
	s_waitcnt vmcnt(48)
	v_mul_f32_e32 v110, v83, v130
	s_waitcnt vmcnt(47) lgkmcnt(5)
	v_mul_f32_e32 v111, v85, v131
	s_waitcnt vmcnt(46)
	v_mul_f32_e32 v112, v87, v132
	;; [unrolled: 4-line block ×6, first 2 shown]
	s_waitcnt vmcnt(37)
	v_fmac_f32_e32 v109, v82, v141
	v_mul_f32_e32 v82, v82, v129
	v_fma_f32 v81, v81, v141, -v82
	v_mul_f32_e32 v82, v84, v130
	v_add_f32_e32 v81, 0, v81
	s_waitcnt vmcnt(36)
	v_fma_f32 v82, v83, v142, -v82
	v_add_f32_e32 v81, v81, v82
	v_mul_f32_e32 v82, v86, v131
	s_waitcnt vmcnt(35)
	v_fma_f32 v82, v85, v143, -v82
	v_fmac_f32_e32 v110, v84, v142
	v_add_f32_e32 v109, 0, v109
	v_add_f32_e32 v81, v81, v82
	v_mul_f32_e32 v82, v88, v132
	v_fmac_f32_e32 v111, v86, v143
	v_add_f32_e32 v109, v109, v110
	s_waitcnt vmcnt(34)
	v_fma_f32 v82, v87, v144, -v82
	v_fmac_f32_e32 v112, v88, v144
	v_add_f32_e32 v109, v109, v111
	v_add_f32_e32 v81, v81, v82
	v_mul_f32_e32 v82, v90, v133
	s_waitcnt vmcnt(33)
	v_fmac_f32_e32 v113, v90, v145
	v_add_f32_e32 v109, v109, v112
	v_fma_f32 v82, v89, v145, -v82
	s_waitcnt vmcnt(32)
	v_fmac_f32_e32 v114, v92, v146
	v_add_f32_e32 v109, v109, v113
	v_add_f32_e32 v81, v81, v82
	v_mul_f32_e32 v82, v92, v134
	s_waitcnt vmcnt(31)
	v_fmac_f32_e32 v115, v94, v147
	v_add_f32_e32 v109, v109, v114
	v_fma_f32 v82, v91, v146, -v82
	s_waitcnt vmcnt(30)
	;; [unrolled: 9-line block ×3, first 2 shown]
	v_fmac_f32_e32 v118, v100, v150
	v_add_f32_e32 v109, v109, v117
	v_add_f32_e32 v81, v81, v82
	v_mul_f32_e32 v82, v96, v136
	s_waitcnt vmcnt(27)
	v_fmac_f32_e32 v119, v102, v151
	v_add_f32_e32 v109, v109, v118
	v_fma_f32 v82, v95, v148, -v82
	v_add_f32_e32 v109, v109, v119
	s_waitcnt vmcnt(26)
	v_fmac_f32_e32 v120, v104, v152
	v_add_f32_e32 v81, v81, v82
	v_mul_f32_e32 v82, v98, v137
	v_add_f32_e32 v113, v109, v120
	ds_read2_b64 v[109:112], v80 offset0:69 offset1:70
	v_fma_f32 v82, v97, v149, -v82
	s_waitcnt vmcnt(25) lgkmcnt(1)
	v_mul_f32_e32 v114, v105, v153
	v_add_f32_e32 v81, v81, v82
	v_mul_f32_e32 v82, v100, v138
	s_waitcnt vmcnt(24)
	v_fmac_f32_e32 v114, v106, v154
	v_fma_f32 v82, v99, v150, -v82
	v_add_f32_e32 v113, v113, v114
	s_waitcnt vmcnt(23)
	v_mul_f32_e32 v114, v107, v155
	v_add_f32_e32 v81, v81, v82
	v_mul_f32_e32 v82, v102, v139
	s_waitcnt vmcnt(22)
	v_fmac_f32_e32 v114, v108, v156
	v_fma_f32 v82, v101, v151, -v82
	v_add_f32_e32 v113, v113, v114
	s_waitcnt vmcnt(21) lgkmcnt(0)
	v_mul_f32_e32 v114, v109, v157
	v_add_f32_e32 v81, v81, v82
	v_mul_f32_e32 v82, v104, v140
	s_waitcnt vmcnt(20)
	v_fmac_f32_e32 v114, v110, v158
	v_fma_f32 v82, v103, v152, -v82
	v_add_f32_e32 v117, v113, v114
	ds_read2_b64 v[113:116], v80 offset0:71 offset1:72
	v_add_f32_e32 v81, v81, v82
	v_mul_f32_e32 v82, v106, v153
	v_fma_f32 v82, v105, v154, -v82
	s_waitcnt vmcnt(19)
	v_mul_f32_e32 v118, v111, v159
	v_add_f32_e32 v81, v81, v82
	v_mul_f32_e32 v82, v108, v155
	s_waitcnt vmcnt(18)
	v_fmac_f32_e32 v118, v112, v160
	v_fma_f32 v82, v107, v156, -v82
	v_add_f32_e32 v121, v117, v118
	ds_read2_b64 v[117:120], v80 offset0:73 offset1:74
	v_add_f32_e32 v81, v81, v82
	v_mul_f32_e32 v82, v110, v157
	s_waitcnt vmcnt(17) lgkmcnt(1)
	v_mul_f32_e32 v122, v113, v161
	v_fma_f32 v82, v109, v158, -v82
	s_waitcnt vmcnt(16)
	v_fmac_f32_e32 v122, v114, v162
	v_add_f32_e32 v81, v81, v82
	v_mul_f32_e32 v82, v112, v159
	v_add_f32_e32 v121, v121, v122
	s_waitcnt vmcnt(15)
	v_mul_f32_e32 v122, v115, v163
	v_fma_f32 v82, v111, v160, -v82
	s_waitcnt vmcnt(14)
	v_fmac_f32_e32 v122, v116, v164
	v_add_f32_e32 v81, v81, v82
	v_mul_f32_e32 v82, v114, v161
	v_add_f32_e32 v121, v121, v122
	s_waitcnt vmcnt(13) lgkmcnt(0)
	v_mul_f32_e32 v122, v117, v165
	v_fma_f32 v82, v113, v162, -v82
	s_waitcnt vmcnt(12)
	v_fmac_f32_e32 v122, v118, v166
	v_add_f32_e32 v81, v81, v82
	v_mul_f32_e32 v82, v116, v163
	v_add_f32_e32 v125, v121, v122
	ds_read2_b64 v[121:124], v80 offset0:75 offset1:76
	v_fma_f32 v82, v115, v164, -v82
	v_add_f32_e32 v81, v81, v82
	v_mul_f32_e32 v82, v118, v165
	s_waitcnt vmcnt(11)
	v_mul_f32_e32 v126, v119, v167
	v_fma_f32 v82, v117, v166, -v82
	s_waitcnt vmcnt(10)
	v_fmac_f32_e32 v126, v120, v168
	v_add_f32_e32 v81, v81, v82
	v_mul_f32_e32 v82, v120, v167
	v_add_f32_e32 v179, v125, v126
	ds_read2_b64 v[125:128], v80 offset0:77 offset1:78
	v_fma_f32 v82, v119, v168, -v82
	v_add_f32_e32 v81, v81, v82
	s_waitcnt vmcnt(7) lgkmcnt(1)
	v_mul_f32_e32 v82, v122, v171
	v_mul_f32_e32 v80, v121, v171
	s_waitcnt vmcnt(6)
	v_fma_f32 v82, v121, v172, -v82
	v_fmac_f32_e32 v80, v122, v172
	v_add_f32_e32 v81, v81, v82
	s_waitcnt vmcnt(4)
	v_mul_f32_e32 v82, v124, v174
	v_add_f32_e32 v80, v179, v80
	v_mul_f32_e32 v179, v123, v174
	v_fma_f32 v82, v123, v173, -v82
	v_fmac_f32_e32 v179, v124, v173
	v_add_f32_e32 v81, v81, v82
	s_waitcnt vmcnt(2) lgkmcnt(0)
	v_mul_f32_e32 v82, v126, v176
	v_add_f32_e32 v80, v80, v179
	v_mul_f32_e32 v179, v125, v176
	v_fma_f32 v82, v125, v175, -v82
	v_fmac_f32_e32 v179, v126, v175
	v_add_f32_e32 v81, v81, v82
	s_waitcnt vmcnt(0)
	v_mul_f32_e32 v82, v128, v178
	v_add_f32_e32 v80, v80, v179
	v_mul_f32_e32 v179, v127, v178
	v_fma_f32 v82, v127, v177, -v82
	v_fmac_f32_e32 v179, v128, v177
	v_add_f32_e32 v81, v81, v82
	v_add_f32_e32 v80, v80, v179
	v_sub_f32_e32 v81, v169, v81
	v_sub_f32_e32 v80, v170, v80
	buffer_store_dword v81, off, s[0:3], 0 offset:112
	buffer_store_dword v80, off, s[0:3], 0 offset:116
	s_and_saveexec_b64 s[4:5], vcc
	s_cbranch_execz .LBB38_221
; %bb.220:
	buffer_load_dword v80, off, s[0:3], 0 offset:104
	buffer_load_dword v81, off, s[0:3], 0 offset:108
	v_mov_b32_e32 v82, 0
	buffer_store_dword v82, off, s[0:3], 0 offset:104
	buffer_store_dword v82, off, s[0:3], 0 offset:108
	s_waitcnt vmcnt(2)
	ds_write_b64 v79, v[80:81]
.LBB38_221:
	s_or_b64 exec, exec, s[4:5]
	s_waitcnt lgkmcnt(0)
	; wave barrier
	buffer_load_dword v131, off, s[0:3], 0 offset:116
	buffer_load_dword v132, off, s[0:3], 0 offset:124
	;; [unrolled: 1-line block ×52, first 2 shown]
	v_mov_b32_e32 v80, 0
	ds_read_b128 v[81:84], v80 offset:432
	ds_read_b128 v[85:88], v80 offset:448
	;; [unrolled: 1-line block ×6, first 2 shown]
	v_cmp_lt_u32_e32 vcc, 12, v0
	s_waitcnt vmcnt(51) lgkmcnt(5)
	v_mul_f32_e32 v105, v81, v131
	s_waitcnt vmcnt(50)
	v_mul_f32_e32 v106, v83, v132
	s_waitcnt vmcnt(49) lgkmcnt(4)
	v_mul_f32_e32 v107, v85, v133
	s_waitcnt vmcnt(48)
	v_mul_f32_e32 v108, v87, v134
	;; [unrolled: 4-line block ×5, first 2 shown]
	s_waitcnt vmcnt(41) lgkmcnt(0)
	v_mul_f32_e32 v115, v101, v141
	s_waitcnt vmcnt(40)
	v_fmac_f32_e32 v105, v82, v142
	v_mul_f32_e32 v82, v82, v131
	s_waitcnt vmcnt(39)
	v_fmac_f32_e32 v106, v84, v143
	v_add_f32_e32 v105, 0, v105
	v_fma_f32 v81, v81, v142, -v82
	v_mul_f32_e32 v82, v84, v132
	s_waitcnt vmcnt(38)
	v_fmac_f32_e32 v107, v86, v144
	v_add_f32_e32 v105, v105, v106
	v_add_f32_e32 v81, 0, v81
	v_fma_f32 v82, v83, v143, -v82
	s_waitcnt vmcnt(37)
	v_fmac_f32_e32 v108, v88, v145
	v_add_f32_e32 v105, v105, v107
	v_add_f32_e32 v81, v81, v82
	v_mul_f32_e32 v82, v86, v133
	s_waitcnt vmcnt(36)
	v_fmac_f32_e32 v109, v90, v146
	v_add_f32_e32 v105, v105, v108
	v_fma_f32 v82, v85, v144, -v82
	s_waitcnt vmcnt(35)
	v_fmac_f32_e32 v110, v92, v147
	v_add_f32_e32 v105, v105, v109
	v_add_f32_e32 v81, v81, v82
	v_mul_f32_e32 v82, v88, v134
	s_waitcnt vmcnt(34)
	v_fmac_f32_e32 v111, v94, v148
	v_add_f32_e32 v105, v105, v110
	v_fma_f32 v82, v87, v145, -v82
	s_waitcnt vmcnt(33)
	v_fmac_f32_e32 v112, v96, v149
	v_add_f32_e32 v105, v105, v111
	v_add_f32_e32 v81, v81, v82
	v_mul_f32_e32 v82, v90, v135
	s_waitcnt vmcnt(32)
	v_fmac_f32_e32 v113, v98, v150
	v_add_f32_e32 v105, v105, v112
	v_fma_f32 v82, v89, v146, -v82
	s_waitcnt vmcnt(31)
	v_fmac_f32_e32 v114, v100, v151
	v_add_f32_e32 v105, v105, v113
	v_add_f32_e32 v81, v81, v82
	v_mul_f32_e32 v82, v92, v136
	v_add_f32_e32 v105, v105, v114
	s_waitcnt vmcnt(30)
	v_fmac_f32_e32 v115, v102, v152
	v_fma_f32 v82, v91, v147, -v82
	v_add_f32_e32 v109, v105, v115
	ds_read_b128 v[105:108], v80 offset:528
	v_add_f32_e32 v81, v81, v82
	v_mul_f32_e32 v82, v94, v137
	v_fma_f32 v82, v93, v148, -v82
	s_waitcnt vmcnt(29)
	v_mul_f32_e32 v110, v103, v153
	v_add_f32_e32 v81, v81, v82
	v_mul_f32_e32 v82, v96, v138
	s_waitcnt vmcnt(28)
	v_fmac_f32_e32 v110, v104, v154
	v_fma_f32 v82, v95, v149, -v82
	v_add_f32_e32 v113, v109, v110
	ds_read_b128 v[109:112], v80 offset:544
	v_add_f32_e32 v81, v81, v82
	v_mul_f32_e32 v82, v98, v139
	s_waitcnt vmcnt(27) lgkmcnt(1)
	v_mul_f32_e32 v114, v105, v155
	v_fma_f32 v82, v97, v150, -v82
	s_waitcnt vmcnt(26)
	v_fmac_f32_e32 v114, v106, v156
	v_add_f32_e32 v81, v81, v82
	v_mul_f32_e32 v82, v100, v140
	v_add_f32_e32 v113, v113, v114
	s_waitcnt vmcnt(25)
	v_mul_f32_e32 v114, v107, v157
	v_fma_f32 v82, v99, v151, -v82
	s_waitcnt vmcnt(24)
	v_fmac_f32_e32 v114, v108, v158
	v_add_f32_e32 v81, v81, v82
	v_mul_f32_e32 v82, v102, v141
	v_add_f32_e32 v113, v113, v114
	s_waitcnt vmcnt(23) lgkmcnt(0)
	v_mul_f32_e32 v114, v109, v159
	v_fma_f32 v82, v101, v152, -v82
	s_waitcnt vmcnt(22)
	v_fmac_f32_e32 v114, v110, v160
	v_add_f32_e32 v81, v81, v82
	v_mul_f32_e32 v82, v104, v153
	v_add_f32_e32 v117, v113, v114
	ds_read_b128 v[113:116], v80 offset:560
	v_fma_f32 v82, v103, v154, -v82
	v_add_f32_e32 v81, v81, v82
	v_mul_f32_e32 v82, v106, v155
	s_waitcnt vmcnt(21)
	v_mul_f32_e32 v118, v111, v161
	v_fma_f32 v82, v105, v156, -v82
	s_waitcnt vmcnt(20)
	v_fmac_f32_e32 v118, v112, v162
	v_add_f32_e32 v81, v81, v82
	v_mul_f32_e32 v82, v108, v157
	v_add_f32_e32 v121, v117, v118
	ds_read_b128 v[117:120], v80 offset:576
	v_fma_f32 v82, v107, v158, -v82
	s_waitcnt vmcnt(19) lgkmcnt(1)
	v_mul_f32_e32 v122, v113, v163
	v_add_f32_e32 v81, v81, v82
	v_mul_f32_e32 v82, v110, v159
	s_waitcnt vmcnt(18)
	v_fmac_f32_e32 v122, v114, v164
	v_fma_f32 v82, v109, v160, -v82
	v_add_f32_e32 v121, v121, v122
	s_waitcnt vmcnt(17)
	v_mul_f32_e32 v122, v115, v165
	v_add_f32_e32 v81, v81, v82
	v_mul_f32_e32 v82, v112, v161
	s_waitcnt vmcnt(16)
	v_fmac_f32_e32 v122, v116, v166
	v_fma_f32 v82, v111, v162, -v82
	v_add_f32_e32 v121, v121, v122
	s_waitcnt vmcnt(14) lgkmcnt(0)
	v_mul_f32_e32 v122, v117, v168
	v_add_f32_e32 v81, v81, v82
	v_mul_f32_e32 v82, v114, v163
	v_fmac_f32_e32 v122, v118, v167
	v_fma_f32 v82, v113, v164, -v82
	v_add_f32_e32 v125, v121, v122
	ds_read_b128 v[121:124], v80 offset:592
	v_add_f32_e32 v81, v81, v82
	v_mul_f32_e32 v82, v116, v165
	v_fma_f32 v82, v115, v166, -v82
	v_add_f32_e32 v81, v81, v82
	v_mul_f32_e32 v82, v118, v168
	s_waitcnt vmcnt(11)
	v_mul_f32_e32 v126, v119, v171
	v_fma_f32 v82, v117, v167, -v82
	s_waitcnt vmcnt(10)
	v_fmac_f32_e32 v126, v120, v172
	v_add_f32_e32 v81, v81, v82
	v_mul_f32_e32 v82, v120, v171
	v_add_f32_e32 v129, v125, v126
	ds_read_b128 v[125:128], v80 offset:608
	s_waitcnt vmcnt(8) lgkmcnt(1)
	v_mul_f32_e32 v130, v121, v174
	v_fma_f32 v82, v119, v172, -v82
	v_fmac_f32_e32 v130, v122, v173
	v_add_f32_e32 v81, v81, v82
	v_mul_f32_e32 v82, v122, v174
	v_add_f32_e32 v129, v129, v130
	s_waitcnt vmcnt(6)
	v_mul_f32_e32 v130, v123, v176
	v_fma_f32 v82, v121, v173, -v82
	v_fmac_f32_e32 v130, v124, v175
	v_add_f32_e32 v81, v81, v82
	v_mul_f32_e32 v82, v124, v176
	v_add_f32_e32 v183, v129, v130
	ds_read_b64 v[129:130], v80 offset:624
	v_fma_f32 v82, v123, v175, -v82
	v_add_f32_e32 v81, v81, v82
	s_waitcnt vmcnt(4) lgkmcnt(1)
	v_mul_f32_e32 v82, v126, v178
	v_mul_f32_e32 v184, v125, v178
	v_fma_f32 v82, v125, v177, -v82
	v_fmac_f32_e32 v184, v126, v177
	v_add_f32_e32 v81, v81, v82
	s_waitcnt vmcnt(2)
	v_mul_f32_e32 v82, v128, v180
	v_add_f32_e32 v183, v183, v184
	v_mul_f32_e32 v184, v127, v180
	v_fma_f32 v82, v127, v179, -v82
	v_fmac_f32_e32 v184, v128, v179
	v_add_f32_e32 v81, v81, v82
	s_waitcnt vmcnt(0) lgkmcnt(0)
	v_mul_f32_e32 v82, v130, v182
	v_add_f32_e32 v183, v183, v184
	v_mul_f32_e32 v184, v129, v182
	v_fma_f32 v82, v129, v181, -v82
	v_fmac_f32_e32 v184, v130, v181
	v_add_f32_e32 v81, v81, v82
	v_add_f32_e32 v183, v183, v184
	v_sub_f32_e32 v81, v169, v81
	v_sub_f32_e32 v82, v170, v183
	buffer_store_dword v81, off, s[0:3], 0 offset:104
	buffer_store_dword v82, off, s[0:3], 0 offset:108
	s_and_saveexec_b64 s[4:5], vcc
	s_cbranch_execz .LBB38_223
; %bb.222:
	buffer_load_dword v81, off, s[0:3], 0 offset:96
	buffer_load_dword v82, off, s[0:3], 0 offset:100
	s_waitcnt vmcnt(0)
	ds_write_b64 v79, v[81:82]
	buffer_store_dword v80, off, s[0:3], 0 offset:96
	buffer_store_dword v80, off, s[0:3], 0 offset:100
.LBB38_223:
	s_or_b64 exec, exec, s[4:5]
	s_waitcnt lgkmcnt(0)
	; wave barrier
	buffer_load_dword v133, off, s[0:3], 0 offset:108
	buffer_load_dword v134, off, s[0:3], 0 offset:116
	;; [unrolled: 1-line block ×42, first 2 shown]
	ds_read2_b64 v[81:84], v80 offset0:53 offset1:54
	ds_read2_b64 v[85:88], v80 offset0:55 offset1:56
	;; [unrolled: 1-line block ×4, first 2 shown]
	buffer_load_dword v175, off, s[0:3], 0 offset:268
	buffer_load_dword v176, off, s[0:3], 0 offset:264
	;; [unrolled: 1-line block ×6, first 2 shown]
	ds_read2_b64 v[97:100], v80 offset0:61 offset1:62
	ds_read2_b64 v[101:104], v80 offset0:63 offset1:64
	buffer_load_dword v181, off, s[0:3], 0 offset:288
	buffer_load_dword v182, off, s[0:3], 0 offset:292
	;; [unrolled: 1-line block ×6, first 2 shown]
	v_cmp_lt_u32_e32 vcc, 11, v0
	s_waitcnt vmcnt(53) lgkmcnt(5)
	v_mul_f32_e32 v105, v81, v133
	s_waitcnt vmcnt(52)
	v_mul_f32_e32 v106, v83, v134
	s_waitcnt vmcnt(51) lgkmcnt(4)
	v_mul_f32_e32 v107, v85, v135
	s_waitcnt vmcnt(50)
	v_mul_f32_e32 v108, v87, v136
	;; [unrolled: 4-line block ×5, first 2 shown]
	s_waitcnt vmcnt(43)
	v_fmac_f32_e32 v105, v82, v143
	v_mul_f32_e32 v82, v82, v133
	s_waitcnt vmcnt(42)
	v_fmac_f32_e32 v106, v84, v144
	v_add_f32_e32 v105, 0, v105
	v_fma_f32 v81, v81, v143, -v82
	v_mul_f32_e32 v82, v84, v134
	s_waitcnt vmcnt(41)
	v_fmac_f32_e32 v107, v86, v145
	v_add_f32_e32 v105, v105, v106
	v_add_f32_e32 v81, 0, v81
	v_fma_f32 v82, v83, v144, -v82
	s_waitcnt vmcnt(40)
	v_fmac_f32_e32 v108, v88, v146
	v_add_f32_e32 v105, v105, v107
	v_add_f32_e32 v81, v81, v82
	v_mul_f32_e32 v82, v86, v135
	s_waitcnt vmcnt(39)
	v_fmac_f32_e32 v109, v90, v147
	v_add_f32_e32 v105, v105, v108
	v_fma_f32 v82, v85, v145, -v82
	s_waitcnt vmcnt(38)
	v_fmac_f32_e32 v110, v92, v148
	v_add_f32_e32 v105, v105, v109
	v_add_f32_e32 v81, v81, v82
	v_mul_f32_e32 v82, v88, v136
	s_waitcnt vmcnt(37)
	v_fmac_f32_e32 v111, v94, v149
	;; [unrolled: 9-line block ×3, first 2 shown]
	v_add_f32_e32 v105, v105, v112
	v_fma_f32 v82, v89, v147, -v82
	s_waitcnt vmcnt(34)
	v_fmac_f32_e32 v114, v100, v152
	v_add_f32_e32 v105, v105, v113
	s_waitcnt vmcnt(33) lgkmcnt(0)
	v_mul_f32_e32 v106, v101, v153
	v_add_f32_e32 v81, v81, v82
	v_mul_f32_e32 v82, v92, v138
	v_add_f32_e32 v105, v105, v114
	s_waitcnt vmcnt(32)
	v_fmac_f32_e32 v106, v102, v154
	v_fma_f32 v82, v91, v148, -v82
	v_add_f32_e32 v109, v105, v106
	ds_read2_b64 v[105:108], v80 offset0:65 offset1:66
	v_add_f32_e32 v81, v81, v82
	v_mul_f32_e32 v82, v94, v139
	v_fma_f32 v82, v93, v149, -v82
	s_waitcnt vmcnt(31)
	v_mul_f32_e32 v110, v103, v155
	v_add_f32_e32 v81, v81, v82
	v_mul_f32_e32 v82, v96, v140
	s_waitcnt vmcnt(30)
	v_fmac_f32_e32 v110, v104, v156
	v_fma_f32 v82, v95, v150, -v82
	v_add_f32_e32 v113, v109, v110
	ds_read2_b64 v[109:112], v80 offset0:67 offset1:68
	v_add_f32_e32 v81, v81, v82
	v_mul_f32_e32 v82, v98, v141
	s_waitcnt vmcnt(29) lgkmcnt(1)
	v_mul_f32_e32 v114, v105, v157
	v_fma_f32 v82, v97, v151, -v82
	s_waitcnt vmcnt(28)
	v_fmac_f32_e32 v114, v106, v158
	v_add_f32_e32 v81, v81, v82
	v_mul_f32_e32 v82, v100, v142
	v_add_f32_e32 v113, v113, v114
	s_waitcnt vmcnt(27)
	v_mul_f32_e32 v114, v107, v159
	v_fma_f32 v82, v99, v152, -v82
	s_waitcnt vmcnt(26)
	v_fmac_f32_e32 v114, v108, v160
	v_add_f32_e32 v81, v81, v82
	v_mul_f32_e32 v82, v102, v153
	v_add_f32_e32 v113, v113, v114
	s_waitcnt vmcnt(25) lgkmcnt(0)
	v_mul_f32_e32 v114, v109, v161
	v_fma_f32 v82, v101, v154, -v82
	s_waitcnt vmcnt(24)
	v_fmac_f32_e32 v114, v110, v162
	v_add_f32_e32 v81, v81, v82
	v_mul_f32_e32 v82, v104, v155
	v_add_f32_e32 v117, v113, v114
	ds_read2_b64 v[113:116], v80 offset0:69 offset1:70
	v_fma_f32 v82, v103, v156, -v82
	v_add_f32_e32 v81, v81, v82
	v_mul_f32_e32 v82, v106, v157
	s_waitcnt vmcnt(23)
	v_mul_f32_e32 v118, v111, v163
	v_fma_f32 v82, v105, v158, -v82
	s_waitcnt vmcnt(22)
	v_fmac_f32_e32 v118, v112, v164
	v_add_f32_e32 v81, v81, v82
	v_mul_f32_e32 v82, v108, v159
	v_add_f32_e32 v121, v117, v118
	ds_read2_b64 v[117:120], v80 offset0:71 offset1:72
	v_fma_f32 v82, v107, v160, -v82
	s_waitcnt vmcnt(21) lgkmcnt(1)
	v_mul_f32_e32 v122, v113, v165
	v_add_f32_e32 v81, v81, v82
	v_mul_f32_e32 v82, v110, v161
	s_waitcnt vmcnt(20)
	v_fmac_f32_e32 v122, v114, v166
	v_fma_f32 v82, v109, v162, -v82
	v_add_f32_e32 v121, v121, v122
	s_waitcnt vmcnt(18)
	v_mul_f32_e32 v122, v115, v168
	v_add_f32_e32 v81, v81, v82
	v_mul_f32_e32 v82, v112, v163
	v_fmac_f32_e32 v122, v116, v167
	v_fma_f32 v82, v111, v164, -v82
	v_add_f32_e32 v121, v121, v122
	s_waitcnt vmcnt(15) lgkmcnt(0)
	v_mul_f32_e32 v122, v117, v171
	v_add_f32_e32 v81, v81, v82
	v_mul_f32_e32 v82, v114, v165
	s_waitcnt vmcnt(14)
	v_fmac_f32_e32 v122, v118, v172
	v_fma_f32 v82, v113, v166, -v82
	v_add_f32_e32 v125, v121, v122
	ds_read2_b64 v[121:124], v80 offset0:73 offset1:74
	v_add_f32_e32 v81, v81, v82
	v_mul_f32_e32 v82, v116, v168
	v_fma_f32 v82, v115, v167, -v82
	v_add_f32_e32 v81, v81, v82
	v_mul_f32_e32 v82, v118, v171
	s_waitcnt vmcnt(12)
	v_mul_f32_e32 v126, v119, v174
	v_fma_f32 v82, v117, v172, -v82
	v_fmac_f32_e32 v126, v120, v173
	v_add_f32_e32 v81, v81, v82
	v_mul_f32_e32 v82, v120, v174
	v_add_f32_e32 v129, v125, v126
	ds_read2_b64 v[125:128], v80 offset0:75 offset1:76
	s_waitcnt vmcnt(11) lgkmcnt(1)
	v_mul_f32_e32 v130, v121, v175
	v_fma_f32 v82, v119, v173, -v82
	s_waitcnt vmcnt(10)
	v_fmac_f32_e32 v130, v122, v176
	v_add_f32_e32 v81, v81, v82
	v_mul_f32_e32 v82, v122, v175
	v_add_f32_e32 v129, v129, v130
	s_waitcnt vmcnt(8)
	v_mul_f32_e32 v130, v123, v178
	v_fma_f32 v82, v121, v176, -v82
	v_fmac_f32_e32 v130, v124, v177
	v_add_f32_e32 v81, v81, v82
	v_mul_f32_e32 v82, v124, v178
	v_add_f32_e32 v187, v129, v130
	ds_read2_b64 v[129:132], v80 offset0:77 offset1:78
	v_fma_f32 v82, v123, v177, -v82
	v_add_f32_e32 v81, v81, v82
	s_waitcnt vmcnt(6) lgkmcnt(1)
	v_mul_f32_e32 v82, v126, v180
	v_mul_f32_e32 v188, v125, v180
	v_fma_f32 v82, v125, v179, -v82
	v_fmac_f32_e32 v188, v126, v179
	v_add_f32_e32 v81, v81, v82
	s_waitcnt vmcnt(4)
	v_mul_f32_e32 v82, v128, v182
	v_add_f32_e32 v80, v187, v188
	v_mul_f32_e32 v187, v127, v182
	v_fma_f32 v82, v127, v181, -v82
	v_fmac_f32_e32 v187, v128, v181
	v_add_f32_e32 v81, v81, v82
	s_waitcnt vmcnt(2) lgkmcnt(0)
	v_mul_f32_e32 v82, v130, v184
	v_add_f32_e32 v80, v80, v187
	v_mul_f32_e32 v187, v129, v184
	v_fma_f32 v82, v129, v183, -v82
	v_fmac_f32_e32 v187, v130, v183
	v_add_f32_e32 v81, v81, v82
	s_waitcnt vmcnt(0)
	v_mul_f32_e32 v82, v132, v186
	v_add_f32_e32 v80, v80, v187
	v_mul_f32_e32 v187, v131, v186
	v_fma_f32 v82, v131, v185, -v82
	v_fmac_f32_e32 v187, v132, v185
	v_add_f32_e32 v81, v81, v82
	v_add_f32_e32 v80, v80, v187
	v_sub_f32_e32 v81, v169, v81
	v_sub_f32_e32 v80, v170, v80
	buffer_store_dword v81, off, s[0:3], 0 offset:96
	buffer_store_dword v80, off, s[0:3], 0 offset:100
	s_and_saveexec_b64 s[4:5], vcc
	s_cbranch_execz .LBB38_225
; %bb.224:
	buffer_load_dword v80, off, s[0:3], 0 offset:88
	buffer_load_dword v81, off, s[0:3], 0 offset:92
	v_mov_b32_e32 v82, 0
	buffer_store_dword v82, off, s[0:3], 0 offset:88
	buffer_store_dword v82, off, s[0:3], 0 offset:92
	s_waitcnt vmcnt(2)
	ds_write_b64 v79, v[80:81]
.LBB38_225:
	s_or_b64 exec, exec, s[4:5]
	s_waitcnt lgkmcnt(0)
	; wave barrier
	buffer_load_dword v135, off, s[0:3], 0 offset:100
	buffer_load_dword v136, off, s[0:3], 0 offset:108
	;; [unrolled: 1-line block ×56, first 2 shown]
	v_mov_b32_e32 v80, 0
	ds_read_b128 v[81:84], v80 offset:416
	ds_read_b128 v[85:88], v80 offset:432
	;; [unrolled: 1-line block ×6, first 2 shown]
	v_cmp_lt_u32_e32 vcc, 10, v0
	s_waitcnt vmcnt(55) lgkmcnt(5)
	v_mul_f32_e32 v105, v81, v135
	s_waitcnt vmcnt(54)
	v_mul_f32_e32 v106, v83, v136
	s_waitcnt vmcnt(53) lgkmcnt(4)
	v_mul_f32_e32 v107, v85, v137
	s_waitcnt vmcnt(52)
	v_mul_f32_e32 v108, v87, v138
	;; [unrolled: 4-line block ×4, first 2 shown]
	s_waitcnt vmcnt(47) lgkmcnt(1)
	v_mul_f32_e32 v113, v97, v143
	s_waitcnt vmcnt(46)
	v_fmac_f32_e32 v105, v82, v144
	s_waitcnt vmcnt(45)
	v_fmac_f32_e32 v106, v84, v145
	v_add_f32_e32 v105, 0, v105
	s_waitcnt vmcnt(44)
	v_fmac_f32_e32 v107, v86, v146
	v_add_f32_e32 v105, v105, v106
	;; [unrolled: 3-line block ×3, first 2 shown]
	v_mul_f32_e32 v82, v82, v135
	s_waitcnt vmcnt(42)
	v_fmac_f32_e32 v109, v90, v148
	v_add_f32_e32 v105, v105, v108
	v_fma_f32 v81, v81, v144, -v82
	v_mul_f32_e32 v82, v84, v136
	s_waitcnt vmcnt(41)
	v_fmac_f32_e32 v110, v92, v149
	v_add_f32_e32 v105, v105, v109
	v_add_f32_e32 v81, 0, v81
	v_fma_f32 v82, v83, v145, -v82
	s_waitcnt vmcnt(40)
	v_fmac_f32_e32 v111, v94, v150
	v_add_f32_e32 v105, v105, v110
	v_add_f32_e32 v81, v81, v82
	v_mul_f32_e32 v82, v86, v137
	s_waitcnt vmcnt(39)
	v_fmac_f32_e32 v112, v96, v151
	v_add_f32_e32 v105, v105, v111
	v_fma_f32 v82, v85, v146, -v82
	v_add_f32_e32 v105, v105, v112
	s_waitcnt vmcnt(38)
	v_fmac_f32_e32 v113, v98, v152
	s_waitcnt vmcnt(37)
	v_mul_f32_e32 v106, v99, v153
	v_add_f32_e32 v81, v81, v82
	v_mul_f32_e32 v82, v88, v138
	v_add_f32_e32 v105, v105, v113
	s_waitcnt vmcnt(36)
	v_fmac_f32_e32 v106, v100, v154
	v_fma_f32 v82, v87, v147, -v82
	v_add_f32_e32 v105, v105, v106
	s_waitcnt vmcnt(35) lgkmcnt(0)
	v_mul_f32_e32 v106, v101, v155
	v_add_f32_e32 v81, v81, v82
	v_mul_f32_e32 v82, v90, v139
	s_waitcnt vmcnt(34)
	v_fmac_f32_e32 v106, v102, v156
	v_fma_f32 v82, v89, v148, -v82
	v_add_f32_e32 v109, v105, v106
	ds_read_b128 v[105:108], v80 offset:512
	v_add_f32_e32 v81, v81, v82
	v_mul_f32_e32 v82, v92, v140
	v_fma_f32 v82, v91, v149, -v82
	s_waitcnt vmcnt(33)
	v_mul_f32_e32 v110, v103, v157
	v_add_f32_e32 v81, v81, v82
	v_mul_f32_e32 v82, v94, v141
	s_waitcnt vmcnt(32)
	v_fmac_f32_e32 v110, v104, v158
	v_fma_f32 v82, v93, v150, -v82
	v_add_f32_e32 v113, v109, v110
	ds_read_b128 v[109:112], v80 offset:528
	v_add_f32_e32 v81, v81, v82
	v_mul_f32_e32 v82, v96, v142
	s_waitcnt vmcnt(31) lgkmcnt(1)
	v_mul_f32_e32 v114, v105, v159
	v_fma_f32 v82, v95, v151, -v82
	s_waitcnt vmcnt(30)
	v_fmac_f32_e32 v114, v106, v160
	v_add_f32_e32 v81, v81, v82
	v_mul_f32_e32 v82, v98, v143
	v_add_f32_e32 v113, v113, v114
	s_waitcnt vmcnt(29)
	v_mul_f32_e32 v114, v107, v161
	v_fma_f32 v82, v97, v152, -v82
	s_waitcnt vmcnt(28)
	v_fmac_f32_e32 v114, v108, v162
	v_add_f32_e32 v81, v81, v82
	v_mul_f32_e32 v82, v100, v153
	v_add_f32_e32 v113, v113, v114
	s_waitcnt vmcnt(27) lgkmcnt(0)
	v_mul_f32_e32 v114, v109, v163
	v_fma_f32 v82, v99, v154, -v82
	s_waitcnt vmcnt(26)
	v_fmac_f32_e32 v114, v110, v164
	v_add_f32_e32 v81, v81, v82
	v_mul_f32_e32 v82, v102, v155
	v_add_f32_e32 v117, v113, v114
	ds_read_b128 v[113:116], v80 offset:544
	v_fma_f32 v82, v101, v156, -v82
	v_add_f32_e32 v81, v81, v82
	v_mul_f32_e32 v82, v104, v157
	s_waitcnt vmcnt(24)
	v_mul_f32_e32 v118, v111, v166
	v_fma_f32 v82, v103, v158, -v82
	v_fmac_f32_e32 v118, v112, v165
	v_add_f32_e32 v81, v81, v82
	v_mul_f32_e32 v82, v106, v159
	v_add_f32_e32 v121, v117, v118
	ds_read_b128 v[117:120], v80 offset:560
	v_fma_f32 v82, v105, v160, -v82
	s_waitcnt vmcnt(21) lgkmcnt(1)
	v_mul_f32_e32 v122, v113, v169
	v_add_f32_e32 v81, v81, v82
	v_mul_f32_e32 v82, v108, v161
	s_waitcnt vmcnt(20)
	v_fmac_f32_e32 v122, v114, v170
	v_fma_f32 v82, v107, v162, -v82
	v_add_f32_e32 v121, v121, v122
	s_waitcnt vmcnt(18)
	v_mul_f32_e32 v122, v115, v172
	v_add_f32_e32 v81, v81, v82
	v_mul_f32_e32 v82, v110, v163
	v_fmac_f32_e32 v122, v116, v171
	v_fma_f32 v82, v109, v164, -v82
	v_add_f32_e32 v121, v121, v122
	s_waitcnt vmcnt(16) lgkmcnt(0)
	v_mul_f32_e32 v122, v117, v174
	v_add_f32_e32 v81, v81, v82
	v_mul_f32_e32 v82, v112, v166
	v_fmac_f32_e32 v122, v118, v173
	v_fma_f32 v82, v111, v165, -v82
	v_add_f32_e32 v125, v121, v122
	ds_read_b128 v[121:124], v80 offset:576
	v_add_f32_e32 v81, v81, v82
	v_mul_f32_e32 v82, v114, v169
	v_fma_f32 v82, v113, v170, -v82
	s_waitcnt vmcnt(14)
	v_mul_f32_e32 v126, v119, v176
	v_add_f32_e32 v81, v81, v82
	v_mul_f32_e32 v82, v116, v172
	v_fmac_f32_e32 v126, v120, v175
	v_fma_f32 v82, v115, v171, -v82
	v_add_f32_e32 v129, v125, v126
	ds_read_b128 v[125:128], v80 offset:592
	v_add_f32_e32 v81, v81, v82
	v_mul_f32_e32 v82, v118, v174
	s_waitcnt vmcnt(12) lgkmcnt(1)
	v_mul_f32_e32 v130, v121, v178
	v_fma_f32 v82, v117, v173, -v82
	v_fmac_f32_e32 v130, v122, v177
	v_add_f32_e32 v81, v81, v82
	v_mul_f32_e32 v82, v120, v176
	v_add_f32_e32 v129, v129, v130
	s_waitcnt vmcnt(10)
	v_mul_f32_e32 v130, v123, v180
	v_fma_f32 v82, v119, v175, -v82
	v_fmac_f32_e32 v130, v124, v179
	v_add_f32_e32 v81, v81, v82
	v_mul_f32_e32 v82, v122, v178
	v_add_f32_e32 v129, v129, v130
	s_waitcnt vmcnt(8) lgkmcnt(0)
	v_mul_f32_e32 v130, v125, v182
	v_fma_f32 v82, v121, v177, -v82
	v_fmac_f32_e32 v130, v126, v181
	v_add_f32_e32 v81, v81, v82
	v_mul_f32_e32 v82, v124, v180
	v_add_f32_e32 v133, v129, v130
	ds_read_b128 v[129:132], v80 offset:608
	v_fma_f32 v82, v123, v179, -v82
	v_add_f32_e32 v81, v81, v82
	v_mul_f32_e32 v82, v126, v182
	s_waitcnt vmcnt(6)
	v_mul_f32_e32 v134, v127, v184
	v_fma_f32 v82, v125, v181, -v82
	v_fmac_f32_e32 v134, v128, v183
	v_add_f32_e32 v81, v81, v82
	v_mul_f32_e32 v82, v128, v184
	v_add_f32_e32 v191, v133, v134
	ds_read_b64 v[133:134], v80 offset:624
	v_fma_f32 v82, v127, v183, -v82
	v_add_f32_e32 v81, v81, v82
	s_waitcnt vmcnt(4) lgkmcnt(1)
	v_mul_f32_e32 v82, v130, v186
	v_mul_f32_e32 v192, v129, v186
	v_fma_f32 v82, v129, v185, -v82
	v_fmac_f32_e32 v192, v130, v185
	v_add_f32_e32 v81, v81, v82
	s_waitcnt vmcnt(2)
	v_mul_f32_e32 v82, v132, v188
	v_add_f32_e32 v191, v191, v192
	v_mul_f32_e32 v192, v131, v188
	v_fma_f32 v82, v131, v187, -v82
	v_fmac_f32_e32 v192, v132, v187
	v_add_f32_e32 v81, v81, v82
	s_waitcnt vmcnt(0) lgkmcnt(0)
	v_mul_f32_e32 v82, v134, v190
	v_add_f32_e32 v191, v191, v192
	v_mul_f32_e32 v192, v133, v190
	v_fma_f32 v82, v133, v189, -v82
	v_fmac_f32_e32 v192, v134, v189
	v_add_f32_e32 v81, v81, v82
	v_add_f32_e32 v191, v191, v192
	v_sub_f32_e32 v81, v167, v81
	v_sub_f32_e32 v82, v168, v191
	buffer_store_dword v81, off, s[0:3], 0 offset:88
	buffer_store_dword v82, off, s[0:3], 0 offset:92
	s_and_saveexec_b64 s[4:5], vcc
	s_cbranch_execz .LBB38_227
; %bb.226:
	buffer_load_dword v81, off, s[0:3], 0 offset:80
	buffer_load_dword v82, off, s[0:3], 0 offset:84
	s_waitcnt vmcnt(0)
	ds_write_b64 v79, v[81:82]
	buffer_store_dword v80, off, s[0:3], 0 offset:80
	buffer_store_dword v80, off, s[0:3], 0 offset:84
.LBB38_227:
	s_or_b64 exec, exec, s[4:5]
	s_waitcnt lgkmcnt(0)
	; wave barrier
	buffer_load_dword v137, off, s[0:3], 0 offset:92
	buffer_load_dword v138, off, s[0:3], 0 offset:100
	;; [unrolled: 1-line block ×34, first 2 shown]
	ds_read2_b64 v[81:84], v80 offset0:51 offset1:52
	ds_read2_b64 v[85:88], v80 offset0:53 offset1:54
	buffer_load_dword v171, off, s[0:3], 0 offset:220
	buffer_load_dword v172, off, s[0:3], 0 offset:216
	;; [unrolled: 1-line block ×6, first 2 shown]
	ds_read2_b64 v[89:92], v80 offset0:55 offset1:56
	ds_read2_b64 v[93:96], v80 offset0:57 offset1:58
	;; [unrolled: 1-line block ×4, first 2 shown]
	buffer_load_dword v177, off, s[0:3], 0 offset:244
	buffer_load_dword v178, off, s[0:3], 0 offset:240
	;; [unrolled: 1-line block ×18, first 2 shown]
	v_cmp_lt_u32_e32 vcc, 9, v0
	s_waitcnt vmcnt(57) lgkmcnt(5)
	v_mul_f32_e32 v105, v81, v137
	s_waitcnt vmcnt(56)
	v_mul_f32_e32 v106, v83, v138
	s_waitcnt vmcnt(55) lgkmcnt(4)
	v_mul_f32_e32 v107, v85, v139
	s_waitcnt vmcnt(54)
	v_mul_f32_e32 v108, v87, v140
	;; [unrolled: 4-line block ×4, first 2 shown]
	s_waitcnt vmcnt(49)
	v_fmac_f32_e32 v105, v82, v145
	s_waitcnt vmcnt(48)
	v_fmac_f32_e32 v106, v84, v146
	v_add_f32_e32 v105, 0, v105
	s_waitcnt vmcnt(47)
	v_fmac_f32_e32 v107, v86, v147
	v_add_f32_e32 v105, v105, v106
	;; [unrolled: 3-line block ×4, first 2 shown]
	v_mul_f32_e32 v82, v82, v137
	s_waitcnt vmcnt(44)
	v_fmac_f32_e32 v110, v92, v150
	v_add_f32_e32 v105, v105, v109
	v_fma_f32 v81, v81, v145, -v82
	v_mul_f32_e32 v82, v84, v138
	s_waitcnt vmcnt(43)
	v_fmac_f32_e32 v111, v94, v151
	v_add_f32_e32 v105, v105, v110
	v_add_f32_e32 v81, 0, v81
	v_fma_f32 v82, v83, v146, -v82
	s_waitcnt vmcnt(42)
	v_fmac_f32_e32 v112, v96, v152
	v_add_f32_e32 v105, v105, v111
	s_waitcnt vmcnt(41) lgkmcnt(1)
	v_mul_f32_e32 v106, v97, v153
	v_add_f32_e32 v81, v81, v82
	v_mul_f32_e32 v82, v86, v139
	v_add_f32_e32 v105, v105, v112
	s_waitcnt vmcnt(40)
	v_fmac_f32_e32 v106, v98, v154
	v_fma_f32 v82, v85, v147, -v82
	v_add_f32_e32 v105, v105, v106
	s_waitcnt vmcnt(39)
	v_mul_f32_e32 v106, v99, v155
	v_add_f32_e32 v81, v81, v82
	v_mul_f32_e32 v82, v88, v140
	s_waitcnt vmcnt(38)
	v_fmac_f32_e32 v106, v100, v156
	v_fma_f32 v82, v87, v148, -v82
	v_add_f32_e32 v105, v105, v106
	s_waitcnt vmcnt(37) lgkmcnt(0)
	v_mul_f32_e32 v106, v101, v157
	v_add_f32_e32 v81, v81, v82
	v_mul_f32_e32 v82, v90, v141
	s_waitcnt vmcnt(36)
	v_fmac_f32_e32 v106, v102, v158
	v_fma_f32 v82, v89, v149, -v82
	v_add_f32_e32 v109, v105, v106
	ds_read2_b64 v[105:108], v80 offset0:63 offset1:64
	v_add_f32_e32 v81, v81, v82
	v_mul_f32_e32 v82, v92, v142
	v_fma_f32 v82, v91, v150, -v82
	s_waitcnt vmcnt(35)
	v_mul_f32_e32 v110, v103, v159
	v_add_f32_e32 v81, v81, v82
	v_mul_f32_e32 v82, v94, v143
	s_waitcnt vmcnt(34)
	v_fmac_f32_e32 v110, v104, v160
	v_fma_f32 v82, v93, v151, -v82
	v_add_f32_e32 v113, v109, v110
	ds_read2_b64 v[109:112], v80 offset0:65 offset1:66
	v_add_f32_e32 v81, v81, v82
	v_mul_f32_e32 v82, v96, v144
	s_waitcnt vmcnt(33) lgkmcnt(1)
	v_mul_f32_e32 v114, v105, v161
	v_fma_f32 v82, v95, v152, -v82
	s_waitcnt vmcnt(32)
	v_fmac_f32_e32 v114, v106, v162
	v_add_f32_e32 v81, v81, v82
	v_mul_f32_e32 v82, v98, v153
	v_add_f32_e32 v113, v113, v114
	s_waitcnt vmcnt(31)
	v_mul_f32_e32 v114, v107, v163
	v_fma_f32 v82, v97, v154, -v82
	s_waitcnt vmcnt(30)
	v_fmac_f32_e32 v114, v108, v164
	v_add_f32_e32 v81, v81, v82
	v_mul_f32_e32 v82, v100, v155
	v_add_f32_e32 v113, v113, v114
	s_waitcnt vmcnt(29) lgkmcnt(0)
	v_mul_f32_e32 v114, v109, v165
	v_fma_f32 v82, v99, v156, -v82
	s_waitcnt vmcnt(28)
	v_fmac_f32_e32 v114, v110, v166
	v_add_f32_e32 v81, v81, v82
	v_mul_f32_e32 v82, v102, v157
	v_add_f32_e32 v117, v113, v114
	ds_read2_b64 v[113:116], v80 offset0:67 offset1:68
	v_fma_f32 v82, v101, v158, -v82
	v_add_f32_e32 v81, v81, v82
	v_mul_f32_e32 v82, v104, v159
	s_waitcnt vmcnt(25)
	v_mul_f32_e32 v118, v111, v169
	v_fma_f32 v82, v103, v160, -v82
	s_waitcnt vmcnt(24)
	v_fmac_f32_e32 v118, v112, v170
	v_add_f32_e32 v81, v81, v82
	v_mul_f32_e32 v82, v106, v161
	v_add_f32_e32 v121, v117, v118
	ds_read2_b64 v[117:120], v80 offset0:69 offset1:70
	v_fma_f32 v82, v105, v162, -v82
	s_waitcnt vmcnt(23) lgkmcnt(1)
	v_mul_f32_e32 v122, v113, v171
	v_add_f32_e32 v81, v81, v82
	v_mul_f32_e32 v82, v108, v163
	s_waitcnt vmcnt(22)
	v_fmac_f32_e32 v122, v114, v172
	v_fma_f32 v82, v107, v164, -v82
	v_add_f32_e32 v121, v121, v122
	s_waitcnt vmcnt(20)
	v_mul_f32_e32 v122, v115, v174
	v_add_f32_e32 v81, v81, v82
	v_mul_f32_e32 v82, v110, v165
	v_fmac_f32_e32 v122, v116, v173
	v_fma_f32 v82, v109, v166, -v82
	v_add_f32_e32 v121, v121, v122
	s_waitcnt vmcnt(18) lgkmcnt(0)
	v_mul_f32_e32 v122, v117, v176
	v_add_f32_e32 v81, v81, v82
	v_mul_f32_e32 v82, v112, v169
	v_fmac_f32_e32 v122, v118, v175
	v_fma_f32 v82, v111, v170, -v82
	v_add_f32_e32 v125, v121, v122
	ds_read2_b64 v[121:124], v80 offset0:71 offset1:72
	v_add_f32_e32 v81, v81, v82
	v_mul_f32_e32 v82, v114, v171
	v_fma_f32 v82, v113, v172, -v82
	s_waitcnt vmcnt(17)
	v_mul_f32_e32 v126, v119, v177
	v_add_f32_e32 v81, v81, v82
	v_mul_f32_e32 v82, v116, v174
	s_waitcnt vmcnt(16)
	v_fmac_f32_e32 v126, v120, v178
	v_fma_f32 v82, v115, v173, -v82
	v_add_f32_e32 v129, v125, v126
	ds_read2_b64 v[125:128], v80 offset0:73 offset1:74
	v_add_f32_e32 v81, v81, v82
	v_mul_f32_e32 v82, v118, v176
	s_waitcnt vmcnt(14) lgkmcnt(1)
	v_mul_f32_e32 v130, v121, v180
	v_fma_f32 v82, v117, v175, -v82
	v_fmac_f32_e32 v130, v122, v179
	v_add_f32_e32 v81, v81, v82
	v_mul_f32_e32 v82, v120, v177
	v_add_f32_e32 v129, v129, v130
	s_waitcnt vmcnt(12)
	v_mul_f32_e32 v130, v123, v182
	v_fma_f32 v82, v119, v178, -v82
	v_fmac_f32_e32 v130, v124, v181
	v_add_f32_e32 v81, v81, v82
	v_mul_f32_e32 v82, v122, v180
	v_add_f32_e32 v129, v129, v130
	s_waitcnt vmcnt(10) lgkmcnt(0)
	v_mul_f32_e32 v130, v125, v184
	v_fma_f32 v82, v121, v179, -v82
	v_fmac_f32_e32 v130, v126, v183
	v_add_f32_e32 v81, v81, v82
	v_mul_f32_e32 v82, v124, v182
	v_add_f32_e32 v133, v129, v130
	ds_read2_b64 v[129:132], v80 offset0:75 offset1:76
	v_fma_f32 v82, v123, v181, -v82
	v_add_f32_e32 v81, v81, v82
	v_mul_f32_e32 v82, v126, v184
	s_waitcnt vmcnt(8)
	v_mul_f32_e32 v134, v127, v186
	v_fma_f32 v82, v125, v183, -v82
	v_fmac_f32_e32 v134, v128, v185
	v_add_f32_e32 v81, v81, v82
	v_mul_f32_e32 v82, v128, v186
	v_add_f32_e32 v195, v133, v134
	ds_read2_b64 v[133:136], v80 offset0:77 offset1:78
	v_fma_f32 v82, v127, v185, -v82
	v_add_f32_e32 v81, v81, v82
	s_waitcnt vmcnt(6) lgkmcnt(1)
	v_mul_f32_e32 v82, v130, v188
	v_mul_f32_e32 v80, v129, v188
	v_fma_f32 v82, v129, v187, -v82
	v_fmac_f32_e32 v80, v130, v187
	v_add_f32_e32 v81, v81, v82
	s_waitcnt vmcnt(4)
	v_mul_f32_e32 v82, v132, v190
	v_add_f32_e32 v80, v195, v80
	v_mul_f32_e32 v195, v131, v190
	v_fma_f32 v82, v131, v189, -v82
	v_fmac_f32_e32 v195, v132, v189
	v_add_f32_e32 v81, v81, v82
	s_waitcnt vmcnt(2) lgkmcnt(0)
	v_mul_f32_e32 v82, v134, v192
	v_add_f32_e32 v80, v80, v195
	v_mul_f32_e32 v195, v133, v192
	v_fma_f32 v82, v133, v191, -v82
	v_fmac_f32_e32 v195, v134, v191
	v_add_f32_e32 v81, v81, v82
	s_waitcnt vmcnt(0)
	v_mul_f32_e32 v82, v136, v194
	v_add_f32_e32 v80, v80, v195
	v_mul_f32_e32 v195, v135, v194
	v_fma_f32 v82, v135, v193, -v82
	v_fmac_f32_e32 v195, v136, v193
	v_add_f32_e32 v81, v81, v82
	v_add_f32_e32 v80, v80, v195
	v_sub_f32_e32 v81, v167, v81
	v_sub_f32_e32 v80, v168, v80
	buffer_store_dword v81, off, s[0:3], 0 offset:80
	buffer_store_dword v80, off, s[0:3], 0 offset:84
	s_and_saveexec_b64 s[4:5], vcc
	s_cbranch_execz .LBB38_229
; %bb.228:
	buffer_load_dword v80, off, s[0:3], 0 offset:72
	buffer_load_dword v81, off, s[0:3], 0 offset:76
	v_mov_b32_e32 v82, 0
	buffer_store_dword v82, off, s[0:3], 0 offset:72
	buffer_store_dword v82, off, s[0:3], 0 offset:76
	s_waitcnt vmcnt(2)
	ds_write_b64 v79, v[80:81]
.LBB38_229:
	s_or_b64 exec, exec, s[4:5]
	s_waitcnt lgkmcnt(0)
	; wave barrier
	buffer_load_dword v139, off, s[0:3], 0 offset:84
	buffer_load_dword v140, off, s[0:3], 0 offset:92
	;; [unrolled: 1-line block ×60, first 2 shown]
	v_mov_b32_e32 v80, 0
	ds_read_b128 v[81:84], v80 offset:400
	ds_read_b128 v[85:88], v80 offset:416
	;; [unrolled: 1-line block ×5, first 2 shown]
	v_cmp_lt_u32_e32 vcc, 8, v0
	s_waitcnt vmcnt(59) lgkmcnt(4)
	v_mul_f32_e32 v101, v81, v139
	s_waitcnt vmcnt(58)
	v_mul_f32_e32 v102, v83, v140
	s_waitcnt vmcnt(57) lgkmcnt(3)
	v_mul_f32_e32 v103, v85, v141
	s_waitcnt vmcnt(56)
	v_mul_f32_e32 v104, v87, v142
	;; [unrolled: 4-line block ×3, first 2 shown]
	s_waitcnt vmcnt(53) lgkmcnt(1)
	v_mul_f32_e32 v107, v93, v145
	s_waitcnt vmcnt(52)
	v_fmac_f32_e32 v101, v82, v146
	s_waitcnt vmcnt(51)
	v_fmac_f32_e32 v102, v84, v147
	v_add_f32_e32 v101, 0, v101
	s_waitcnt vmcnt(50)
	v_fmac_f32_e32 v103, v86, v148
	v_add_f32_e32 v101, v101, v102
	;; [unrolled: 3-line block ×6, first 2 shown]
	s_waitcnt vmcnt(45)
	v_mul_f32_e32 v102, v95, v153
	v_add_f32_e32 v101, v101, v107
	s_waitcnt vmcnt(44)
	v_fmac_f32_e32 v102, v96, v154
	v_mul_f32_e32 v82, v82, v139
	v_add_f32_e32 v105, v101, v102
	ds_read_b128 v[101:104], v80 offset:480
	v_fma_f32 v81, v81, v146, -v82
	v_mul_f32_e32 v82, v84, v140
	s_waitcnt vmcnt(43) lgkmcnt(1)
	v_mul_f32_e32 v106, v97, v155
	v_add_f32_e32 v81, 0, v81
	v_fma_f32 v82, v83, v147, -v82
	s_waitcnt vmcnt(42)
	v_fmac_f32_e32 v106, v98, v156
	v_add_f32_e32 v81, v81, v82
	v_mul_f32_e32 v82, v86, v141
	v_add_f32_e32 v105, v105, v106
	s_waitcnt vmcnt(41)
	v_mul_f32_e32 v106, v99, v157
	v_fma_f32 v82, v85, v148, -v82
	s_waitcnt vmcnt(40)
	v_fmac_f32_e32 v106, v100, v158
	v_add_f32_e32 v81, v81, v82
	v_mul_f32_e32 v82, v88, v142
	v_add_f32_e32 v105, v105, v106
	s_waitcnt vmcnt(39) lgkmcnt(0)
	v_mul_f32_e32 v106, v101, v159
	v_fma_f32 v82, v87, v149, -v82
	s_waitcnt vmcnt(38)
	v_fmac_f32_e32 v106, v102, v160
	v_add_f32_e32 v81, v81, v82
	v_mul_f32_e32 v82, v90, v143
	v_add_f32_e32 v109, v105, v106
	ds_read_b128 v[105:108], v80 offset:496
	v_fma_f32 v82, v89, v150, -v82
	v_add_f32_e32 v81, v81, v82
	v_mul_f32_e32 v82, v92, v144
	s_waitcnt vmcnt(37)
	v_mul_f32_e32 v110, v103, v161
	v_fma_f32 v82, v91, v151, -v82
	s_waitcnt vmcnt(36)
	v_fmac_f32_e32 v110, v104, v162
	v_add_f32_e32 v81, v81, v82
	v_mul_f32_e32 v82, v94, v145
	v_add_f32_e32 v113, v109, v110
	ds_read_b128 v[109:112], v80 offset:512
	v_fma_f32 v82, v93, v152, -v82
	s_waitcnt vmcnt(34) lgkmcnt(1)
	v_mul_f32_e32 v114, v105, v164
	v_add_f32_e32 v81, v81, v82
	v_mul_f32_e32 v82, v96, v153
	v_fmac_f32_e32 v114, v106, v163
	v_fma_f32 v82, v95, v154, -v82
	v_add_f32_e32 v113, v113, v114
	s_waitcnt vmcnt(31)
	v_mul_f32_e32 v114, v107, v167
	v_add_f32_e32 v81, v81, v82
	v_mul_f32_e32 v82, v98, v155
	s_waitcnt vmcnt(30)
	v_fmac_f32_e32 v114, v108, v168
	v_fma_f32 v82, v97, v156, -v82
	v_add_f32_e32 v113, v113, v114
	s_waitcnt vmcnt(28) lgkmcnt(0)
	v_mul_f32_e32 v114, v109, v170
	v_add_f32_e32 v81, v81, v82
	v_mul_f32_e32 v82, v100, v157
	v_fmac_f32_e32 v114, v110, v169
	v_fma_f32 v82, v99, v158, -v82
	v_add_f32_e32 v117, v113, v114
	ds_read_b128 v[113:116], v80 offset:528
	v_add_f32_e32 v81, v81, v82
	v_mul_f32_e32 v82, v102, v159
	v_fma_f32 v82, v101, v160, -v82
	s_waitcnt vmcnt(26)
	v_mul_f32_e32 v118, v111, v172
	v_add_f32_e32 v81, v81, v82
	v_mul_f32_e32 v82, v104, v161
	v_fmac_f32_e32 v118, v112, v171
	v_fma_f32 v82, v103, v162, -v82
	v_add_f32_e32 v121, v117, v118
	ds_read_b128 v[117:120], v80 offset:544
	v_add_f32_e32 v81, v81, v82
	v_mul_f32_e32 v82, v106, v164
	s_waitcnt vmcnt(24) lgkmcnt(1)
	v_mul_f32_e32 v122, v113, v174
	v_fma_f32 v82, v105, v163, -v82
	v_fmac_f32_e32 v122, v114, v173
	v_add_f32_e32 v81, v81, v82
	v_mul_f32_e32 v82, v108, v167
	v_add_f32_e32 v121, v121, v122
	s_waitcnt vmcnt(22)
	v_mul_f32_e32 v122, v115, v176
	v_fma_f32 v82, v107, v168, -v82
	v_fmac_f32_e32 v122, v116, v175
	v_add_f32_e32 v81, v81, v82
	v_mul_f32_e32 v82, v110, v170
	v_add_f32_e32 v121, v121, v122
	s_waitcnt vmcnt(20) lgkmcnt(0)
	v_mul_f32_e32 v122, v117, v178
	v_fma_f32 v82, v109, v169, -v82
	v_fmac_f32_e32 v122, v118, v177
	v_add_f32_e32 v81, v81, v82
	v_mul_f32_e32 v82, v112, v172
	v_add_f32_e32 v125, v121, v122
	ds_read_b128 v[121:124], v80 offset:560
	v_fma_f32 v82, v111, v171, -v82
	v_add_f32_e32 v81, v81, v82
	v_mul_f32_e32 v82, v114, v174
	s_waitcnt vmcnt(18)
	v_mul_f32_e32 v126, v119, v180
	v_fma_f32 v82, v113, v173, -v82
	v_fmac_f32_e32 v126, v120, v179
	v_add_f32_e32 v81, v81, v82
	v_mul_f32_e32 v82, v116, v176
	v_add_f32_e32 v129, v125, v126
	ds_read_b128 v[125:128], v80 offset:576
	v_fma_f32 v82, v115, v175, -v82
	s_waitcnt vmcnt(16) lgkmcnt(1)
	v_mul_f32_e32 v130, v121, v182
	v_add_f32_e32 v81, v81, v82
	v_mul_f32_e32 v82, v118, v178
	v_fmac_f32_e32 v130, v122, v181
	v_fma_f32 v82, v117, v177, -v82
	v_add_f32_e32 v129, v129, v130
	s_waitcnt vmcnt(14)
	v_mul_f32_e32 v130, v123, v184
	v_add_f32_e32 v81, v81, v82
	v_mul_f32_e32 v82, v120, v180
	v_fmac_f32_e32 v130, v124, v183
	v_fma_f32 v82, v119, v179, -v82
	v_add_f32_e32 v129, v129, v130
	s_waitcnt vmcnt(12) lgkmcnt(0)
	v_mul_f32_e32 v130, v125, v186
	v_add_f32_e32 v81, v81, v82
	v_mul_f32_e32 v82, v122, v182
	v_fmac_f32_e32 v130, v126, v185
	v_fma_f32 v82, v121, v181, -v82
	v_add_f32_e32 v133, v129, v130
	ds_read_b128 v[129:132], v80 offset:592
	v_add_f32_e32 v81, v81, v82
	v_mul_f32_e32 v82, v124, v184
	v_fma_f32 v82, v123, v183, -v82
	v_add_f32_e32 v81, v81, v82
	v_mul_f32_e32 v82, v126, v186
	s_waitcnt vmcnt(10)
	v_mul_f32_e32 v134, v127, v188
	v_fma_f32 v82, v125, v185, -v82
	v_fmac_f32_e32 v134, v128, v187
	v_add_f32_e32 v81, v81, v82
	v_mul_f32_e32 v82, v128, v188
	v_add_f32_e32 v137, v133, v134
	ds_read_b128 v[133:136], v80 offset:608
	s_waitcnt vmcnt(8) lgkmcnt(1)
	v_mul_f32_e32 v138, v129, v190
	v_fma_f32 v82, v127, v187, -v82
	v_fmac_f32_e32 v138, v130, v189
	v_add_f32_e32 v81, v81, v82
	v_mul_f32_e32 v82, v130, v190
	v_add_f32_e32 v137, v137, v138
	s_waitcnt vmcnt(6)
	v_mul_f32_e32 v138, v131, v192
	v_fma_f32 v82, v129, v189, -v82
	v_fmac_f32_e32 v138, v132, v191
	v_add_f32_e32 v81, v81, v82
	v_mul_f32_e32 v82, v132, v192
	v_add_f32_e32 v199, v137, v138
	ds_read_b64 v[137:138], v80 offset:624
	v_fma_f32 v82, v131, v191, -v82
	v_add_f32_e32 v81, v81, v82
	s_waitcnt vmcnt(4) lgkmcnt(1)
	v_mul_f32_e32 v82, v134, v194
	v_mul_f32_e32 v200, v133, v194
	v_fma_f32 v82, v133, v193, -v82
	v_fmac_f32_e32 v200, v134, v193
	v_add_f32_e32 v81, v81, v82
	s_waitcnt vmcnt(2)
	v_mul_f32_e32 v82, v136, v196
	v_add_f32_e32 v199, v199, v200
	v_mul_f32_e32 v200, v135, v196
	v_fma_f32 v82, v135, v195, -v82
	v_fmac_f32_e32 v200, v136, v195
	v_add_f32_e32 v81, v81, v82
	s_waitcnt vmcnt(0) lgkmcnt(0)
	v_mul_f32_e32 v82, v138, v198
	v_add_f32_e32 v199, v199, v200
	v_mul_f32_e32 v200, v137, v198
	v_fma_f32 v82, v137, v197, -v82
	v_fmac_f32_e32 v200, v138, v197
	v_add_f32_e32 v81, v81, v82
	v_add_f32_e32 v199, v199, v200
	v_sub_f32_e32 v81, v165, v81
	v_sub_f32_e32 v82, v166, v199
	buffer_store_dword v81, off, s[0:3], 0 offset:72
	buffer_store_dword v82, off, s[0:3], 0 offset:76
	s_and_saveexec_b64 s[4:5], vcc
	s_cbranch_execz .LBB38_231
; %bb.230:
	buffer_load_dword v81, off, s[0:3], 0 offset:64
	buffer_load_dword v82, off, s[0:3], 0 offset:68
	s_waitcnt vmcnt(0)
	ds_write_b64 v79, v[81:82]
	buffer_store_dword v80, off, s[0:3], 0 offset:64
	buffer_store_dword v80, off, s[0:3], 0 offset:68
.LBB38_231:
	s_or_b64 exec, exec, s[4:5]
	s_waitcnt lgkmcnt(0)
	; wave barrier
	buffer_load_dword v141, off, s[0:3], 0 offset:76
	buffer_load_dword v142, off, s[0:3], 0 offset:84
	;; [unrolled: 1-line block ×32, first 2 shown]
	ds_read2_b64 v[81:84], v80 offset0:49 offset1:50
	ds_read2_b64 v[85:88], v80 offset0:51 offset1:52
	;; [unrolled: 1-line block ×4, first 2 shown]
	buffer_load_dword v173, off, s[0:3], 0 offset:196
	buffer_load_dword v174, off, s[0:3], 0 offset:192
	;; [unrolled: 1-line block ×30, first 2 shown]
	v_cmp_lt_u32_e32 vcc, 7, v0
	s_waitcnt vmcnt(61) lgkmcnt(3)
	v_mul_f32_e32 v97, v81, v141
	s_waitcnt vmcnt(60)
	v_mul_f32_e32 v98, v83, v142
	s_waitcnt vmcnt(59) lgkmcnt(2)
	v_mul_f32_e32 v99, v85, v143
	s_waitcnt vmcnt(58)
	v_mul_f32_e32 v100, v87, v144
	;; [unrolled: 4-line block ×3, first 2 shown]
	s_waitcnt vmcnt(55) lgkmcnt(0)
	v_mul_f32_e32 v103, v93, v147
	s_waitcnt vmcnt(54)
	v_fmac_f32_e32 v97, v82, v148
	s_waitcnt vmcnt(53)
	v_fmac_f32_e32 v98, v84, v149
	v_add_f32_e32 v97, 0, v97
	s_waitcnt vmcnt(52)
	v_fmac_f32_e32 v99, v86, v150
	v_add_f32_e32 v97, v97, v98
	;; [unrolled: 3-line block ×6, first 2 shown]
	v_add_f32_e32 v101, v97, v103
	ds_read2_b64 v[97:100], v80 offset0:57 offset1:58
	s_waitcnt vmcnt(47)
	v_mul_f32_e32 v102, v95, v155
	s_waitcnt vmcnt(46)
	v_fmac_f32_e32 v102, v96, v156
	v_mul_f32_e32 v82, v82, v141
	v_add_f32_e32 v105, v101, v102
	ds_read2_b64 v[101:104], v80 offset0:59 offset1:60
	v_fma_f32 v81, v81, v148, -v82
	v_mul_f32_e32 v82, v84, v142
	s_waitcnt vmcnt(45) lgkmcnt(1)
	v_mul_f32_e32 v106, v97, v157
	v_add_f32_e32 v81, 0, v81
	v_fma_f32 v82, v83, v149, -v82
	s_waitcnt vmcnt(44)
	v_fmac_f32_e32 v106, v98, v158
	v_add_f32_e32 v81, v81, v82
	v_mul_f32_e32 v82, v86, v143
	v_add_f32_e32 v105, v105, v106
	s_waitcnt vmcnt(43)
	v_mul_f32_e32 v106, v99, v159
	v_fma_f32 v82, v85, v150, -v82
	s_waitcnt vmcnt(42)
	v_fmac_f32_e32 v106, v100, v160
	v_add_f32_e32 v81, v81, v82
	v_mul_f32_e32 v82, v88, v144
	v_add_f32_e32 v105, v105, v106
	s_waitcnt vmcnt(41) lgkmcnt(0)
	v_mul_f32_e32 v106, v101, v161
	v_fma_f32 v82, v87, v151, -v82
	s_waitcnt vmcnt(40)
	v_fmac_f32_e32 v106, v102, v162
	v_add_f32_e32 v81, v81, v82
	v_mul_f32_e32 v82, v90, v145
	v_add_f32_e32 v109, v105, v106
	ds_read2_b64 v[105:108], v80 offset0:61 offset1:62
	v_fma_f32 v82, v89, v152, -v82
	v_add_f32_e32 v81, v81, v82
	v_mul_f32_e32 v82, v92, v146
	s_waitcnt vmcnt(39)
	v_mul_f32_e32 v110, v103, v163
	v_fma_f32 v82, v91, v153, -v82
	s_waitcnt vmcnt(38)
	v_fmac_f32_e32 v110, v104, v164
	v_add_f32_e32 v81, v81, v82
	v_mul_f32_e32 v82, v94, v147
	v_add_f32_e32 v113, v109, v110
	ds_read2_b64 v[109:112], v80 offset0:63 offset1:64
	v_fma_f32 v82, v93, v154, -v82
	s_waitcnt vmcnt(35) lgkmcnt(1)
	v_mul_f32_e32 v114, v105, v167
	v_add_f32_e32 v81, v81, v82
	v_mul_f32_e32 v82, v96, v155
	s_waitcnt vmcnt(34)
	v_fmac_f32_e32 v114, v106, v168
	v_fma_f32 v82, v95, v156, -v82
	v_add_f32_e32 v113, v113, v114
	s_waitcnt vmcnt(32)
	v_mul_f32_e32 v114, v107, v170
	v_add_f32_e32 v81, v81, v82
	v_mul_f32_e32 v82, v98, v157
	v_fmac_f32_e32 v114, v108, v169
	v_fma_f32 v82, v97, v158, -v82
	v_add_f32_e32 v113, v113, v114
	s_waitcnt vmcnt(30) lgkmcnt(0)
	v_mul_f32_e32 v114, v109, v172
	v_add_f32_e32 v81, v81, v82
	v_mul_f32_e32 v82, v100, v159
	v_fmac_f32_e32 v114, v110, v171
	v_fma_f32 v82, v99, v160, -v82
	v_add_f32_e32 v117, v113, v114
	ds_read2_b64 v[113:116], v80 offset0:65 offset1:66
	v_add_f32_e32 v81, v81, v82
	v_mul_f32_e32 v82, v102, v161
	v_fma_f32 v82, v101, v162, -v82
	s_waitcnt vmcnt(29)
	v_mul_f32_e32 v118, v111, v173
	v_add_f32_e32 v81, v81, v82
	v_mul_f32_e32 v82, v104, v163
	s_waitcnt vmcnt(28)
	v_fmac_f32_e32 v118, v112, v174
	v_fma_f32 v82, v103, v164, -v82
	v_add_f32_e32 v121, v117, v118
	ds_read2_b64 v[117:120], v80 offset0:67 offset1:68
	v_add_f32_e32 v81, v81, v82
	v_mul_f32_e32 v82, v106, v167
	s_waitcnt vmcnt(26) lgkmcnt(1)
	v_mul_f32_e32 v122, v113, v176
	v_fma_f32 v82, v105, v168, -v82
	v_fmac_f32_e32 v122, v114, v175
	v_add_f32_e32 v81, v81, v82
	v_mul_f32_e32 v82, v108, v170
	v_add_f32_e32 v121, v121, v122
	s_waitcnt vmcnt(24)
	v_mul_f32_e32 v122, v115, v178
	v_fma_f32 v82, v107, v169, -v82
	v_fmac_f32_e32 v122, v116, v177
	v_add_f32_e32 v81, v81, v82
	v_mul_f32_e32 v82, v110, v172
	v_add_f32_e32 v121, v121, v122
	s_waitcnt vmcnt(22) lgkmcnt(0)
	v_mul_f32_e32 v122, v117, v180
	v_fma_f32 v82, v109, v171, -v82
	v_fmac_f32_e32 v122, v118, v179
	v_add_f32_e32 v81, v81, v82
	v_mul_f32_e32 v82, v112, v173
	v_add_f32_e32 v125, v121, v122
	ds_read2_b64 v[121:124], v80 offset0:69 offset1:70
	v_fma_f32 v82, v111, v174, -v82
	v_add_f32_e32 v81, v81, v82
	v_mul_f32_e32 v82, v114, v176
	s_waitcnt vmcnt(20)
	v_mul_f32_e32 v126, v119, v182
	v_fma_f32 v82, v113, v175, -v82
	v_fmac_f32_e32 v126, v120, v181
	v_add_f32_e32 v81, v81, v82
	v_mul_f32_e32 v82, v116, v178
	v_add_f32_e32 v129, v125, v126
	ds_read2_b64 v[125:128], v80 offset0:71 offset1:72
	v_fma_f32 v82, v115, v177, -v82
	s_waitcnt vmcnt(18) lgkmcnt(1)
	v_mul_f32_e32 v130, v121, v184
	v_add_f32_e32 v81, v81, v82
	v_mul_f32_e32 v82, v118, v180
	v_fmac_f32_e32 v130, v122, v183
	v_fma_f32 v82, v117, v179, -v82
	v_add_f32_e32 v129, v129, v130
	s_waitcnt vmcnt(16)
	v_mul_f32_e32 v130, v123, v186
	v_add_f32_e32 v81, v81, v82
	v_mul_f32_e32 v82, v120, v182
	v_fmac_f32_e32 v130, v124, v185
	v_fma_f32 v82, v119, v181, -v82
	v_add_f32_e32 v129, v129, v130
	s_waitcnt vmcnt(14) lgkmcnt(0)
	v_mul_f32_e32 v130, v125, v188
	v_add_f32_e32 v81, v81, v82
	v_mul_f32_e32 v82, v122, v184
	v_fmac_f32_e32 v130, v126, v187
	v_fma_f32 v82, v121, v183, -v82
	v_add_f32_e32 v133, v129, v130
	ds_read2_b64 v[129:132], v80 offset0:73 offset1:74
	v_add_f32_e32 v81, v81, v82
	v_mul_f32_e32 v82, v124, v186
	v_fma_f32 v82, v123, v185, -v82
	v_add_f32_e32 v81, v81, v82
	v_mul_f32_e32 v82, v126, v188
	s_waitcnt vmcnt(12)
	v_mul_f32_e32 v134, v127, v190
	v_fma_f32 v82, v125, v187, -v82
	v_fmac_f32_e32 v134, v128, v189
	v_add_f32_e32 v81, v81, v82
	v_mul_f32_e32 v82, v128, v190
	v_add_f32_e32 v137, v133, v134
	ds_read2_b64 v[133:136], v80 offset0:75 offset1:76
	s_waitcnt vmcnt(10) lgkmcnt(1)
	v_mul_f32_e32 v138, v129, v192
	v_fma_f32 v82, v127, v189, -v82
	v_fmac_f32_e32 v138, v130, v191
	v_add_f32_e32 v81, v81, v82
	v_mul_f32_e32 v82, v130, v192
	v_add_f32_e32 v137, v137, v138
	s_waitcnt vmcnt(8)
	v_mul_f32_e32 v138, v131, v194
	v_fma_f32 v82, v129, v191, -v82
	v_fmac_f32_e32 v138, v132, v193
	v_add_f32_e32 v81, v81, v82
	v_mul_f32_e32 v82, v132, v194
	v_add_f32_e32 v203, v137, v138
	ds_read2_b64 v[137:140], v80 offset0:77 offset1:78
	v_fma_f32 v82, v131, v193, -v82
	v_add_f32_e32 v81, v81, v82
	s_waitcnt vmcnt(6) lgkmcnt(1)
	v_mul_f32_e32 v82, v134, v196
	v_mul_f32_e32 v204, v133, v196
	v_fma_f32 v82, v133, v195, -v82
	v_fmac_f32_e32 v204, v134, v195
	v_add_f32_e32 v81, v81, v82
	s_waitcnt vmcnt(4)
	v_mul_f32_e32 v82, v136, v198
	v_add_f32_e32 v80, v203, v204
	v_mul_f32_e32 v203, v135, v198
	v_fma_f32 v82, v135, v197, -v82
	v_fmac_f32_e32 v203, v136, v197
	v_add_f32_e32 v81, v81, v82
	s_waitcnt vmcnt(2) lgkmcnt(0)
	v_mul_f32_e32 v82, v138, v200
	v_add_f32_e32 v80, v80, v203
	v_mul_f32_e32 v203, v137, v200
	v_fma_f32 v82, v137, v199, -v82
	v_fmac_f32_e32 v203, v138, v199
	v_add_f32_e32 v81, v81, v82
	s_waitcnt vmcnt(0)
	v_mul_f32_e32 v82, v140, v202
	v_add_f32_e32 v80, v80, v203
	v_mul_f32_e32 v203, v139, v202
	v_fma_f32 v82, v139, v201, -v82
	v_fmac_f32_e32 v203, v140, v201
	v_add_f32_e32 v81, v81, v82
	v_add_f32_e32 v80, v80, v203
	v_sub_f32_e32 v81, v165, v81
	v_sub_f32_e32 v80, v166, v80
	buffer_store_dword v81, off, s[0:3], 0 offset:64
	buffer_store_dword v80, off, s[0:3], 0 offset:68
	s_and_saveexec_b64 s[4:5], vcc
	s_cbranch_execz .LBB38_233
; %bb.232:
	buffer_load_dword v80, off, s[0:3], 0 offset:56
	buffer_load_dword v81, off, s[0:3], 0 offset:60
	v_mov_b32_e32 v82, 0
	buffer_store_dword v82, off, s[0:3], 0 offset:56
	buffer_store_dword v82, off, s[0:3], 0 offset:60
	s_waitcnt vmcnt(2)
	ds_write_b64 v79, v[80:81]
.LBB38_233:
	s_or_b64 exec, exec, s[4:5]
	s_waitcnt lgkmcnt(0)
	; wave barrier
	buffer_load_dword v143, off, s[0:3], 0 offset:68
	buffer_load_dword v144, off, s[0:3], 0 offset:76
	;; [unrolled: 1-line block ×56, first 2 shown]
	v_mov_b32_e32 v80, 0
	ds_read_b128 v[81:84], v80 offset:384
	buffer_load_dword v199, off, s[0:3], 0 offset:280
	buffer_load_dword v200, off, s[0:3], 0 offset:284
	;; [unrolled: 1-line block ×4, first 2 shown]
	ds_read_b128 v[85:88], v80 offset:400
	ds_read_b128 v[89:92], v80 offset:416
	ds_read_b128 v[93:96], v80 offset:432
	v_cmp_lt_u32_e32 vcc, 6, v0
	s_waitcnt vmcnt(59) lgkmcnt(3)
	v_mul_f32_e32 v97, v81, v143
	s_waitcnt vmcnt(58)
	v_mul_f32_e32 v98, v83, v144
	s_waitcnt vmcnt(57) lgkmcnt(2)
	v_mul_f32_e32 v99, v85, v145
	s_waitcnt vmcnt(56)
	v_mul_f32_e32 v100, v87, v146
	;; [unrolled: 4-line block ×4, first 2 shown]
	s_waitcnt vmcnt(51)
	v_fmac_f32_e32 v97, v82, v151
	s_waitcnt vmcnt(50)
	v_fmac_f32_e32 v98, v84, v152
	v_add_f32_e32 v97, 0, v97
	s_waitcnt vmcnt(49)
	v_fmac_f32_e32 v99, v86, v153
	v_add_f32_e32 v97, v97, v98
	;; [unrolled: 3-line block ×6, first 2 shown]
	v_add_f32_e32 v101, v97, v103
	ds_read_b128 v[97:100], v80 offset:448
	buffer_load_dword v203, off, s[0:3], 0 offset:300
	buffer_load_dword v204, off, s[0:3], 0 offset:296
	;; [unrolled: 1-line block ×4, first 2 shown]
	s_waitcnt vmcnt(48)
	v_fmac_f32_e32 v104, v96, v158
	v_add_f32_e32 v105, v101, v104
	ds_read_b128 v[101:104], v80 offset:464
	s_waitcnt vmcnt(47) lgkmcnt(1)
	v_mul_f32_e32 v106, v97, v159
	v_mul_f32_e32 v82, v82, v143
	s_waitcnt vmcnt(46)
	v_fmac_f32_e32 v106, v98, v160
	v_fma_f32 v81, v81, v151, -v82
	v_mul_f32_e32 v82, v84, v144
	v_add_f32_e32 v105, v105, v106
	s_waitcnt vmcnt(45)
	v_mul_f32_e32 v106, v99, v161
	v_add_f32_e32 v81, 0, v81
	v_fma_f32 v82, v83, v152, -v82
	s_waitcnt vmcnt(44)
	v_fmac_f32_e32 v106, v100, v162
	v_add_f32_e32 v81, v81, v82
	v_mul_f32_e32 v82, v86, v145
	v_add_f32_e32 v105, v105, v106
	s_waitcnt vmcnt(42) lgkmcnt(0)
	v_mul_f32_e32 v106, v101, v164
	v_fma_f32 v82, v85, v153, -v82
	v_fmac_f32_e32 v106, v102, v163
	v_add_f32_e32 v81, v81, v82
	v_mul_f32_e32 v82, v88, v146
	v_add_f32_e32 v109, v105, v106
	ds_read_b128 v[105:108], v80 offset:480
	v_fma_f32 v82, v87, v154, -v82
	v_add_f32_e32 v81, v81, v82
	v_mul_f32_e32 v82, v90, v147
	s_waitcnt vmcnt(39)
	v_mul_f32_e32 v110, v103, v167
	v_fma_f32 v82, v89, v155, -v82
	s_waitcnt vmcnt(38)
	v_fmac_f32_e32 v110, v104, v168
	v_add_f32_e32 v81, v81, v82
	v_mul_f32_e32 v82, v92, v148
	v_add_f32_e32 v113, v109, v110
	ds_read_b128 v[109:112], v80 offset:496
	v_fma_f32 v82, v91, v156, -v82
	s_waitcnt vmcnt(36) lgkmcnt(1)
	v_mul_f32_e32 v114, v105, v170
	v_add_f32_e32 v81, v81, v82
	v_mul_f32_e32 v82, v94, v149
	v_fmac_f32_e32 v114, v106, v169
	v_fma_f32 v82, v93, v157, -v82
	v_add_f32_e32 v113, v113, v114
	s_waitcnt vmcnt(34)
	v_mul_f32_e32 v114, v107, v172
	v_add_f32_e32 v81, v81, v82
	v_mul_f32_e32 v82, v96, v150
	v_fmac_f32_e32 v114, v108, v171
	v_fma_f32 v82, v95, v158, -v82
	v_add_f32_e32 v113, v113, v114
	s_waitcnt vmcnt(32) lgkmcnt(0)
	v_mul_f32_e32 v114, v109, v174
	v_add_f32_e32 v81, v81, v82
	v_mul_f32_e32 v82, v98, v159
	v_fmac_f32_e32 v114, v110, v173
	v_fma_f32 v82, v97, v160, -v82
	v_add_f32_e32 v117, v113, v114
	ds_read_b128 v[113:116], v80 offset:512
	v_add_f32_e32 v81, v81, v82
	v_mul_f32_e32 v82, v100, v161
	v_fma_f32 v82, v99, v162, -v82
	s_waitcnt vmcnt(30)
	v_mul_f32_e32 v118, v111, v176
	v_add_f32_e32 v81, v81, v82
	v_mul_f32_e32 v82, v102, v164
	v_fmac_f32_e32 v118, v112, v175
	v_fma_f32 v82, v101, v163, -v82
	v_add_f32_e32 v121, v117, v118
	ds_read_b128 v[117:120], v80 offset:528
	v_add_f32_e32 v81, v81, v82
	v_mul_f32_e32 v82, v104, v167
	s_waitcnt vmcnt(28) lgkmcnt(1)
	v_mul_f32_e32 v122, v113, v178
	v_fma_f32 v82, v103, v168, -v82
	v_fmac_f32_e32 v122, v114, v177
	v_add_f32_e32 v81, v81, v82
	v_mul_f32_e32 v82, v106, v170
	v_add_f32_e32 v121, v121, v122
	s_waitcnt vmcnt(26)
	v_mul_f32_e32 v122, v115, v180
	v_fma_f32 v82, v105, v169, -v82
	v_fmac_f32_e32 v122, v116, v179
	v_add_f32_e32 v81, v81, v82
	v_mul_f32_e32 v82, v108, v172
	v_add_f32_e32 v121, v121, v122
	s_waitcnt vmcnt(24) lgkmcnt(0)
	v_mul_f32_e32 v122, v117, v182
	v_fma_f32 v82, v107, v171, -v82
	v_fmac_f32_e32 v122, v118, v181
	v_add_f32_e32 v81, v81, v82
	v_mul_f32_e32 v82, v110, v174
	v_add_f32_e32 v125, v121, v122
	ds_read_b128 v[121:124], v80 offset:544
	v_fma_f32 v82, v109, v173, -v82
	v_add_f32_e32 v81, v81, v82
	v_mul_f32_e32 v82, v112, v176
	s_waitcnt vmcnt(22)
	v_mul_f32_e32 v126, v119, v184
	v_fma_f32 v82, v111, v175, -v82
	v_fmac_f32_e32 v126, v120, v183
	v_add_f32_e32 v81, v81, v82
	v_mul_f32_e32 v82, v114, v178
	v_add_f32_e32 v129, v125, v126
	ds_read_b128 v[125:128], v80 offset:560
	v_fma_f32 v82, v113, v177, -v82
	s_waitcnt vmcnt(20) lgkmcnt(1)
	v_mul_f32_e32 v130, v121, v186
	v_add_f32_e32 v81, v81, v82
	v_mul_f32_e32 v82, v116, v180
	v_fmac_f32_e32 v130, v122, v185
	v_fma_f32 v82, v115, v179, -v82
	v_add_f32_e32 v129, v129, v130
	s_waitcnt vmcnt(18)
	v_mul_f32_e32 v130, v123, v188
	v_add_f32_e32 v81, v81, v82
	v_mul_f32_e32 v82, v118, v182
	v_fmac_f32_e32 v130, v124, v187
	v_fma_f32 v82, v117, v181, -v82
	v_add_f32_e32 v129, v129, v130
	s_waitcnt vmcnt(16) lgkmcnt(0)
	v_mul_f32_e32 v130, v125, v190
	v_add_f32_e32 v81, v81, v82
	v_mul_f32_e32 v82, v120, v184
	v_fmac_f32_e32 v130, v126, v189
	v_fma_f32 v82, v119, v183, -v82
	v_add_f32_e32 v133, v129, v130
	ds_read_b128 v[129:132], v80 offset:576
	v_add_f32_e32 v81, v81, v82
	v_mul_f32_e32 v82, v122, v186
	v_fma_f32 v82, v121, v185, -v82
	s_waitcnt vmcnt(14)
	v_mul_f32_e32 v134, v127, v192
	v_add_f32_e32 v81, v81, v82
	v_mul_f32_e32 v82, v124, v188
	v_fmac_f32_e32 v134, v128, v191
	v_fma_f32 v82, v123, v187, -v82
	v_add_f32_e32 v137, v133, v134
	ds_read_b128 v[133:136], v80 offset:592
	v_add_f32_e32 v81, v81, v82
	v_mul_f32_e32 v82, v126, v190
	s_waitcnt vmcnt(12) lgkmcnt(1)
	v_mul_f32_e32 v138, v129, v194
	v_fma_f32 v82, v125, v189, -v82
	v_fmac_f32_e32 v138, v130, v193
	v_add_f32_e32 v81, v81, v82
	v_mul_f32_e32 v82, v128, v192
	v_add_f32_e32 v137, v137, v138
	s_waitcnt vmcnt(10)
	v_mul_f32_e32 v138, v131, v196
	v_fma_f32 v82, v127, v191, -v82
	v_fmac_f32_e32 v138, v132, v195
	v_add_f32_e32 v81, v81, v82
	v_mul_f32_e32 v82, v130, v194
	v_add_f32_e32 v137, v137, v138
	s_waitcnt vmcnt(8) lgkmcnt(0)
	v_mul_f32_e32 v138, v133, v198
	v_fma_f32 v82, v129, v193, -v82
	v_fmac_f32_e32 v138, v134, v197
	v_add_f32_e32 v81, v81, v82
	v_mul_f32_e32 v82, v132, v196
	v_add_f32_e32 v141, v137, v138
	ds_read_b128 v[137:140], v80 offset:608
	v_fma_f32 v82, v131, v195, -v82
	v_add_f32_e32 v81, v81, v82
	v_mul_f32_e32 v82, v134, v198
	s_waitcnt vmcnt(6)
	v_mul_f32_e32 v142, v135, v200
	v_fma_f32 v82, v133, v197, -v82
	v_fmac_f32_e32 v142, v136, v199
	v_add_f32_e32 v81, v81, v82
	v_mul_f32_e32 v82, v136, v200
	v_add_f32_e32 v207, v141, v142
	ds_read_b64 v[141:142], v80 offset:624
	v_fma_f32 v82, v135, v199, -v82
	v_add_f32_e32 v81, v81, v82
	s_waitcnt vmcnt(4) lgkmcnt(1)
	v_mul_f32_e32 v82, v138, v202
	v_mul_f32_e32 v208, v137, v202
	v_fma_f32 v82, v137, v201, -v82
	v_fmac_f32_e32 v208, v138, v201
	v_add_f32_e32 v81, v81, v82
	s_waitcnt vmcnt(3)
	v_mul_f32_e32 v82, v140, v203
	v_add_f32_e32 v207, v207, v208
	v_mul_f32_e32 v208, v139, v203
	s_waitcnt vmcnt(2)
	v_fma_f32 v82, v139, v204, -v82
	v_fmac_f32_e32 v208, v140, v204
	v_add_f32_e32 v81, v81, v82
	s_waitcnt vmcnt(0) lgkmcnt(0)
	v_mul_f32_e32 v82, v142, v206
	v_add_f32_e32 v207, v207, v208
	v_mul_f32_e32 v208, v141, v206
	v_fma_f32 v82, v141, v205, -v82
	v_fmac_f32_e32 v208, v142, v205
	v_add_f32_e32 v81, v81, v82
	v_add_f32_e32 v207, v207, v208
	v_sub_f32_e32 v81, v165, v81
	v_sub_f32_e32 v82, v166, v207
	buffer_store_dword v81, off, s[0:3], 0 offset:56
	buffer_store_dword v82, off, s[0:3], 0 offset:60
	s_and_saveexec_b64 s[4:5], vcc
	s_cbranch_execz .LBB38_235
; %bb.234:
	buffer_load_dword v81, off, s[0:3], 0 offset:48
	buffer_load_dword v82, off, s[0:3], 0 offset:52
	s_waitcnt vmcnt(0)
	ds_write_b64 v79, v[81:82]
	buffer_store_dword v80, off, s[0:3], 0 offset:48
	buffer_store_dword v80, off, s[0:3], 0 offset:52
.LBB38_235:
	s_or_b64 exec, exec, s[4:5]
	s_waitcnt lgkmcnt(0)
	; wave barrier
	buffer_load_dword v145, off, s[0:3], 0 offset:60
	buffer_load_dword v146, off, s[0:3], 0 offset:68
	;; [unrolled: 1-line block ×26, first 2 shown]
	ds_read2_b64 v[81:84], v80 offset0:47 offset1:48
	ds_read2_b64 v[85:88], v80 offset0:49 offset1:50
	;; [unrolled: 1-line block ×4, first 2 shown]
	buffer_load_dword v171, off, s[0:3], 0 offset:156
	buffer_load_dword v172, off, s[0:3], 0 offset:152
	;; [unrolled: 1-line block ×34, first 2 shown]
	v_cmp_lt_u32_e32 vcc, 5, v0
	s_waitcnt vmcnt(59) lgkmcnt(3)
	v_mul_f32_e32 v97, v81, v145
	s_waitcnt vmcnt(58)
	v_mul_f32_e32 v98, v83, v146
	s_waitcnt vmcnt(57) lgkmcnt(2)
	v_mul_f32_e32 v99, v85, v147
	s_waitcnt vmcnt(56)
	v_mul_f32_e32 v100, v87, v148
	s_waitcnt vmcnt(55) lgkmcnt(1)
	v_mul_f32_e32 v101, v89, v149
	s_waitcnt vmcnt(54)
	v_mul_f32_e32 v102, v91, v150
	s_waitcnt vmcnt(53) lgkmcnt(0)
	v_mul_f32_e32 v103, v93, v151
	s_waitcnt vmcnt(52)
	v_mul_f32_e32 v104, v95, v152
	s_waitcnt vmcnt(51)
	v_fmac_f32_e32 v97, v82, v153
	s_waitcnt vmcnt(50)
	v_fmac_f32_e32 v98, v84, v154
	v_add_f32_e32 v97, 0, v97
	s_waitcnt vmcnt(49)
	v_fmac_f32_e32 v99, v86, v155
	v_add_f32_e32 v97, v97, v98
	;; [unrolled: 3-line block ×7, first 2 shown]
	v_add_f32_e32 v105, v97, v104
	ds_read2_b64 v[97:100], v80 offset0:55 offset1:56
	buffer_load_dword v205, off, s[0:3], 0 offset:292
	buffer_load_dword v206, off, s[0:3], 0 offset:288
	;; [unrolled: 1-line block ×4, first 2 shown]
	ds_read2_b64 v[101:104], v80 offset0:57 offset1:58
	buffer_load_dword v209, off, s[0:3], 0 offset:304
	buffer_load_dword v210, off, s[0:3], 0 offset:308
	v_mul_f32_e32 v82, v82, v145
	s_waitcnt vmcnt(49) lgkmcnt(1)
	v_mul_f32_e32 v106, v97, v161
	s_waitcnt vmcnt(48)
	v_fmac_f32_e32 v106, v98, v162
	v_fma_f32 v81, v81, v153, -v82
	v_mul_f32_e32 v82, v84, v146
	v_add_f32_e32 v105, v105, v106
	s_waitcnt vmcnt(46)
	v_mul_f32_e32 v106, v99, v164
	v_add_f32_e32 v81, 0, v81
	v_fma_f32 v82, v83, v154, -v82
	v_fmac_f32_e32 v106, v100, v163
	v_add_f32_e32 v81, v81, v82
	v_mul_f32_e32 v82, v86, v147
	v_add_f32_e32 v105, v105, v106
	s_waitcnt vmcnt(43) lgkmcnt(0)
	v_mul_f32_e32 v106, v101, v167
	v_fma_f32 v82, v85, v155, -v82
	s_waitcnt vmcnt(42)
	v_fmac_f32_e32 v106, v102, v168
	v_add_f32_e32 v81, v81, v82
	v_mul_f32_e32 v82, v88, v148
	v_add_f32_e32 v109, v105, v106
	ds_read2_b64 v[105:108], v80 offset0:59 offset1:60
	v_fma_f32 v82, v87, v156, -v82
	v_add_f32_e32 v81, v81, v82
	v_mul_f32_e32 v82, v90, v149
	s_waitcnt vmcnt(40)
	v_mul_f32_e32 v110, v103, v170
	v_fma_f32 v82, v89, v157, -v82
	v_fmac_f32_e32 v110, v104, v169
	v_add_f32_e32 v81, v81, v82
	v_mul_f32_e32 v82, v92, v150
	v_add_f32_e32 v113, v109, v110
	ds_read2_b64 v[109:112], v80 offset0:61 offset1:62
	v_fma_f32 v82, v91, v158, -v82
	s_waitcnt vmcnt(39) lgkmcnt(1)
	v_mul_f32_e32 v114, v105, v171
	v_add_f32_e32 v81, v81, v82
	v_mul_f32_e32 v82, v94, v151
	s_waitcnt vmcnt(38)
	v_fmac_f32_e32 v114, v106, v172
	v_fma_f32 v82, v93, v159, -v82
	v_add_f32_e32 v113, v113, v114
	s_waitcnt vmcnt(36)
	v_mul_f32_e32 v114, v107, v174
	v_add_f32_e32 v81, v81, v82
	v_mul_f32_e32 v82, v96, v152
	v_fmac_f32_e32 v114, v108, v173
	v_fma_f32 v82, v95, v160, -v82
	v_add_f32_e32 v113, v113, v114
	s_waitcnt vmcnt(34) lgkmcnt(0)
	v_mul_f32_e32 v114, v109, v176
	v_add_f32_e32 v81, v81, v82
	v_mul_f32_e32 v82, v98, v161
	v_fmac_f32_e32 v114, v110, v175
	v_fma_f32 v82, v97, v162, -v82
	v_add_f32_e32 v117, v113, v114
	ds_read2_b64 v[113:116], v80 offset0:63 offset1:64
	v_add_f32_e32 v81, v81, v82
	v_mul_f32_e32 v82, v100, v164
	v_fma_f32 v82, v99, v163, -v82
	s_waitcnt vmcnt(32)
	v_mul_f32_e32 v118, v111, v178
	v_add_f32_e32 v81, v81, v82
	v_mul_f32_e32 v82, v102, v167
	v_fmac_f32_e32 v118, v112, v177
	v_fma_f32 v82, v101, v168, -v82
	v_add_f32_e32 v121, v117, v118
	ds_read2_b64 v[117:120], v80 offset0:65 offset1:66
	v_add_f32_e32 v81, v81, v82
	v_mul_f32_e32 v82, v104, v170
	s_waitcnt vmcnt(30) lgkmcnt(1)
	v_mul_f32_e32 v122, v113, v180
	v_fma_f32 v82, v103, v169, -v82
	v_fmac_f32_e32 v122, v114, v179
	v_add_f32_e32 v81, v81, v82
	v_mul_f32_e32 v82, v106, v171
	v_add_f32_e32 v121, v121, v122
	s_waitcnt vmcnt(28)
	v_mul_f32_e32 v122, v115, v182
	v_fma_f32 v82, v105, v172, -v82
	v_fmac_f32_e32 v122, v116, v181
	v_add_f32_e32 v81, v81, v82
	v_mul_f32_e32 v82, v108, v174
	v_add_f32_e32 v121, v121, v122
	s_waitcnt vmcnt(26) lgkmcnt(0)
	v_mul_f32_e32 v122, v117, v184
	v_fma_f32 v82, v107, v173, -v82
	v_fmac_f32_e32 v122, v118, v183
	v_add_f32_e32 v81, v81, v82
	v_mul_f32_e32 v82, v110, v176
	v_add_f32_e32 v125, v121, v122
	ds_read2_b64 v[121:124], v80 offset0:67 offset1:68
	v_fma_f32 v82, v109, v175, -v82
	v_add_f32_e32 v81, v81, v82
	v_mul_f32_e32 v82, v112, v178
	s_waitcnt vmcnt(24)
	v_mul_f32_e32 v126, v119, v186
	v_fma_f32 v82, v111, v177, -v82
	v_fmac_f32_e32 v126, v120, v185
	v_add_f32_e32 v81, v81, v82
	v_mul_f32_e32 v82, v114, v180
	v_add_f32_e32 v129, v125, v126
	ds_read2_b64 v[125:128], v80 offset0:69 offset1:70
	v_fma_f32 v82, v113, v179, -v82
	s_waitcnt vmcnt(22) lgkmcnt(1)
	v_mul_f32_e32 v130, v121, v188
	v_add_f32_e32 v81, v81, v82
	v_mul_f32_e32 v82, v116, v182
	v_fmac_f32_e32 v130, v122, v187
	v_fma_f32 v82, v115, v181, -v82
	v_add_f32_e32 v129, v129, v130
	s_waitcnt vmcnt(20)
	v_mul_f32_e32 v130, v123, v190
	v_add_f32_e32 v81, v81, v82
	v_mul_f32_e32 v82, v118, v184
	v_fmac_f32_e32 v130, v124, v189
	v_fma_f32 v82, v117, v183, -v82
	v_add_f32_e32 v129, v129, v130
	s_waitcnt vmcnt(18) lgkmcnt(0)
	v_mul_f32_e32 v130, v125, v192
	v_add_f32_e32 v81, v81, v82
	v_mul_f32_e32 v82, v120, v186
	v_fmac_f32_e32 v130, v126, v191
	v_fma_f32 v82, v119, v185, -v82
	v_add_f32_e32 v133, v129, v130
	ds_read2_b64 v[129:132], v80 offset0:71 offset1:72
	v_add_f32_e32 v81, v81, v82
	v_mul_f32_e32 v82, v122, v188
	v_fma_f32 v82, v121, v187, -v82
	s_waitcnt vmcnt(16)
	v_mul_f32_e32 v134, v127, v194
	v_add_f32_e32 v81, v81, v82
	v_mul_f32_e32 v82, v124, v190
	v_fmac_f32_e32 v134, v128, v193
	v_fma_f32 v82, v123, v189, -v82
	v_add_f32_e32 v137, v133, v134
	ds_read2_b64 v[133:136], v80 offset0:73 offset1:74
	v_add_f32_e32 v81, v81, v82
	v_mul_f32_e32 v82, v126, v192
	s_waitcnt vmcnt(14) lgkmcnt(1)
	v_mul_f32_e32 v138, v129, v196
	v_fma_f32 v82, v125, v191, -v82
	v_fmac_f32_e32 v138, v130, v195
	v_add_f32_e32 v81, v81, v82
	v_mul_f32_e32 v82, v128, v194
	v_add_f32_e32 v137, v137, v138
	s_waitcnt vmcnt(12)
	v_mul_f32_e32 v138, v131, v198
	v_fma_f32 v82, v127, v193, -v82
	v_fmac_f32_e32 v138, v132, v197
	v_add_f32_e32 v81, v81, v82
	v_mul_f32_e32 v82, v130, v196
	v_add_f32_e32 v137, v137, v138
	s_waitcnt vmcnt(10) lgkmcnt(0)
	v_mul_f32_e32 v138, v133, v200
	v_fma_f32 v82, v129, v195, -v82
	v_fmac_f32_e32 v138, v134, v199
	v_add_f32_e32 v81, v81, v82
	v_mul_f32_e32 v82, v132, v198
	v_add_f32_e32 v141, v137, v138
	ds_read2_b64 v[137:140], v80 offset0:75 offset1:76
	v_fma_f32 v82, v131, v197, -v82
	v_add_f32_e32 v81, v81, v82
	v_mul_f32_e32 v82, v134, v200
	s_waitcnt vmcnt(8)
	v_mul_f32_e32 v142, v135, v202
	v_fma_f32 v82, v133, v199, -v82
	v_fmac_f32_e32 v142, v136, v201
	v_add_f32_e32 v81, v81, v82
	v_mul_f32_e32 v82, v136, v202
	v_add_f32_e32 v211, v141, v142
	ds_read2_b64 v[141:144], v80 offset0:77 offset1:78
	v_fma_f32 v82, v135, v201, -v82
	v_add_f32_e32 v81, v81, v82
	s_waitcnt vmcnt(6) lgkmcnt(1)
	v_mul_f32_e32 v82, v138, v204
	v_mul_f32_e32 v80, v137, v204
	v_fma_f32 v82, v137, v203, -v82
	v_fmac_f32_e32 v80, v138, v203
	v_add_f32_e32 v81, v81, v82
	s_waitcnt vmcnt(5)
	v_mul_f32_e32 v82, v140, v205
	v_add_f32_e32 v80, v211, v80
	v_mul_f32_e32 v211, v139, v205
	s_waitcnt vmcnt(4)
	v_fma_f32 v82, v139, v206, -v82
	v_fmac_f32_e32 v211, v140, v206
	v_add_f32_e32 v81, v81, v82
	s_waitcnt vmcnt(2) lgkmcnt(0)
	v_mul_f32_e32 v82, v142, v208
	v_add_f32_e32 v80, v80, v211
	v_mul_f32_e32 v211, v141, v208
	v_fma_f32 v82, v141, v207, -v82
	v_fmac_f32_e32 v211, v142, v207
	v_add_f32_e32 v81, v81, v82
	s_waitcnt vmcnt(0)
	v_mul_f32_e32 v82, v144, v210
	v_add_f32_e32 v80, v80, v211
	v_mul_f32_e32 v211, v143, v210
	v_fma_f32 v82, v143, v209, -v82
	v_fmac_f32_e32 v211, v144, v209
	v_add_f32_e32 v81, v81, v82
	v_add_f32_e32 v80, v80, v211
	v_sub_f32_e32 v81, v165, v81
	v_sub_f32_e32 v80, v166, v80
	buffer_store_dword v81, off, s[0:3], 0 offset:48
	buffer_store_dword v80, off, s[0:3], 0 offset:52
	s_and_saveexec_b64 s[4:5], vcc
	s_cbranch_execz .LBB38_237
; %bb.236:
	buffer_load_dword v80, off, s[0:3], 0 offset:40
	buffer_load_dword v81, off, s[0:3], 0 offset:44
	v_mov_b32_e32 v82, 0
	buffer_store_dword v82, off, s[0:3], 0 offset:40
	buffer_store_dword v82, off, s[0:3], 0 offset:44
	s_waitcnt vmcnt(2)
	ds_write_b64 v79, v[80:81]
.LBB38_237:
	s_or_b64 exec, exec, s[4:5]
	s_waitcnt lgkmcnt(0)
	; wave barrier
	buffer_load_dword v147, off, s[0:3], 0 offset:52
	buffer_load_dword v148, off, s[0:3], 0 offset:60
	;; [unrolled: 1-line block ×58, first 2 shown]
	v_mov_b32_e32 v80, 0
	ds_read_b128 v[81:84], v80 offset:368
	ds_read_b128 v[85:88], v80 offset:384
	;; [unrolled: 1-line block ×5, first 2 shown]
	buffer_load_dword v205, off, s[0:3], 0 offset:272
	buffer_load_dword v206, off, s[0:3], 0 offset:276
	v_cmp_lt_u32_e32 vcc, 4, v0
	s_waitcnt vmcnt(59) lgkmcnt(4)
	v_mul_f32_e32 v101, v81, v147
	s_waitcnt vmcnt(58)
	v_mul_f32_e32 v102, v83, v148
	s_waitcnt vmcnt(57) lgkmcnt(3)
	v_mul_f32_e32 v103, v85, v149
	s_waitcnt vmcnt(56)
	v_mul_f32_e32 v104, v87, v150
	;; [unrolled: 4-line block ×4, first 2 shown]
	s_waitcnt vmcnt(51)
	v_fmac_f32_e32 v101, v82, v155
	s_waitcnt vmcnt(50)
	v_fmac_f32_e32 v102, v84, v156
	v_add_f32_e32 v101, 0, v101
	s_waitcnt vmcnt(49)
	v_fmac_f32_e32 v103, v86, v157
	v_add_f32_e32 v101, v101, v102
	;; [unrolled: 3-line block ×7, first 2 shown]
	v_add_f32_e32 v105, v101, v108
	ds_read_b128 v[101:104], v80 offset:448
	buffer_load_dword v207, off, s[0:3], 0 offset:284
	buffer_load_dword v208, off, s[0:3], 0 offset:280
	buffer_load_dword v209, off, s[0:3], 0 offset:288
	buffer_load_dword v210, off, s[0:3], 0 offset:292
	buffer_load_dword v211, off, s[0:3], 0 offset:300
	buffer_load_dword v212, off, s[0:3], 0 offset:296
	buffer_load_dword v213, off, s[0:3], 0 offset:304
	buffer_load_dword v214, off, s[0:3], 0 offset:308
	s_waitcnt vmcnt(51) lgkmcnt(1)
	v_mul_f32_e32 v106, v97, v163
	s_waitcnt vmcnt(50)
	v_fmac_f32_e32 v106, v98, v164
	v_mul_f32_e32 v82, v82, v147
	v_add_f32_e32 v105, v105, v106
	s_waitcnt vmcnt(49)
	v_mul_f32_e32 v106, v99, v165
	v_fma_f32 v81, v81, v155, -v82
	v_mul_f32_e32 v82, v84, v148
	s_waitcnt vmcnt(46)
	v_fmac_f32_e32 v106, v100, v168
	v_add_f32_e32 v81, 0, v81
	v_fma_f32 v82, v83, v156, -v82
	v_add_f32_e32 v105, v105, v106
	s_waitcnt vmcnt(44) lgkmcnt(0)
	v_mul_f32_e32 v106, v101, v170
	v_add_f32_e32 v81, v81, v82
	v_mul_f32_e32 v82, v86, v149
	v_fmac_f32_e32 v106, v102, v169
	v_fma_f32 v82, v85, v157, -v82
	v_add_f32_e32 v109, v105, v106
	ds_read_b128 v[105:108], v80 offset:464
	v_add_f32_e32 v81, v81, v82
	v_mul_f32_e32 v82, v88, v150
	v_fma_f32 v82, v87, v158, -v82
	s_waitcnt vmcnt(42)
	v_mul_f32_e32 v110, v103, v172
	v_add_f32_e32 v81, v81, v82
	v_mul_f32_e32 v82, v90, v151
	v_fmac_f32_e32 v110, v104, v171
	v_fma_f32 v82, v89, v159, -v82
	v_add_f32_e32 v113, v109, v110
	ds_read_b128 v[109:112], v80 offset:480
	v_add_f32_e32 v81, v81, v82
	v_mul_f32_e32 v82, v92, v152
	s_waitcnt vmcnt(40) lgkmcnt(1)
	v_mul_f32_e32 v114, v105, v174
	v_fma_f32 v82, v91, v160, -v82
	v_fmac_f32_e32 v114, v106, v173
	v_add_f32_e32 v81, v81, v82
	v_mul_f32_e32 v82, v94, v153
	v_add_f32_e32 v113, v113, v114
	s_waitcnt vmcnt(38)
	v_mul_f32_e32 v114, v107, v176
	v_fma_f32 v82, v93, v161, -v82
	v_fmac_f32_e32 v114, v108, v175
	v_add_f32_e32 v81, v81, v82
	v_mul_f32_e32 v82, v96, v154
	v_add_f32_e32 v113, v113, v114
	s_waitcnt vmcnt(36) lgkmcnt(0)
	v_mul_f32_e32 v114, v109, v178
	v_fma_f32 v82, v95, v162, -v82
	v_fmac_f32_e32 v114, v110, v177
	v_add_f32_e32 v81, v81, v82
	v_mul_f32_e32 v82, v98, v163
	v_add_f32_e32 v117, v113, v114
	ds_read_b128 v[113:116], v80 offset:496
	v_fma_f32 v82, v97, v164, -v82
	v_add_f32_e32 v81, v81, v82
	v_mul_f32_e32 v82, v100, v165
	s_waitcnt vmcnt(34)
	v_mul_f32_e32 v118, v111, v180
	v_fma_f32 v82, v99, v168, -v82
	v_fmac_f32_e32 v118, v112, v179
	v_add_f32_e32 v81, v81, v82
	v_mul_f32_e32 v82, v102, v170
	v_add_f32_e32 v121, v117, v118
	ds_read_b128 v[117:120], v80 offset:512
	v_fma_f32 v82, v101, v169, -v82
	s_waitcnt vmcnt(32) lgkmcnt(1)
	v_mul_f32_e32 v122, v113, v182
	v_add_f32_e32 v81, v81, v82
	v_mul_f32_e32 v82, v104, v172
	v_fmac_f32_e32 v122, v114, v181
	v_fma_f32 v82, v103, v171, -v82
	v_add_f32_e32 v121, v121, v122
	s_waitcnt vmcnt(30)
	v_mul_f32_e32 v122, v115, v184
	v_add_f32_e32 v81, v81, v82
	v_mul_f32_e32 v82, v106, v174
	v_fmac_f32_e32 v122, v116, v183
	v_fma_f32 v82, v105, v173, -v82
	v_add_f32_e32 v121, v121, v122
	s_waitcnt vmcnt(28) lgkmcnt(0)
	v_mul_f32_e32 v122, v117, v186
	v_add_f32_e32 v81, v81, v82
	v_mul_f32_e32 v82, v108, v176
	v_fmac_f32_e32 v122, v118, v185
	v_fma_f32 v82, v107, v175, -v82
	v_add_f32_e32 v125, v121, v122
	ds_read_b128 v[121:124], v80 offset:528
	v_add_f32_e32 v81, v81, v82
	v_mul_f32_e32 v82, v110, v178
	v_fma_f32 v82, v109, v177, -v82
	s_waitcnt vmcnt(26)
	v_mul_f32_e32 v126, v119, v188
	v_add_f32_e32 v81, v81, v82
	v_mul_f32_e32 v82, v112, v180
	v_fmac_f32_e32 v126, v120, v187
	v_fma_f32 v82, v111, v179, -v82
	v_add_f32_e32 v129, v125, v126
	ds_read_b128 v[125:128], v80 offset:544
	v_add_f32_e32 v81, v81, v82
	v_mul_f32_e32 v82, v114, v182
	s_waitcnt vmcnt(24) lgkmcnt(1)
	v_mul_f32_e32 v130, v121, v190
	v_fma_f32 v82, v113, v181, -v82
	v_fmac_f32_e32 v130, v122, v189
	v_add_f32_e32 v81, v81, v82
	v_mul_f32_e32 v82, v116, v184
	v_add_f32_e32 v129, v129, v130
	s_waitcnt vmcnt(22)
	v_mul_f32_e32 v130, v123, v192
	v_fma_f32 v82, v115, v183, -v82
	v_fmac_f32_e32 v130, v124, v191
	v_add_f32_e32 v81, v81, v82
	v_mul_f32_e32 v82, v118, v186
	v_add_f32_e32 v129, v129, v130
	s_waitcnt vmcnt(20) lgkmcnt(0)
	v_mul_f32_e32 v130, v125, v194
	v_fma_f32 v82, v117, v185, -v82
	v_fmac_f32_e32 v130, v126, v193
	v_add_f32_e32 v81, v81, v82
	v_mul_f32_e32 v82, v120, v188
	v_add_f32_e32 v133, v129, v130
	ds_read_b128 v[129:132], v80 offset:560
	v_fma_f32 v82, v119, v187, -v82
	v_add_f32_e32 v81, v81, v82
	v_mul_f32_e32 v82, v122, v190
	s_waitcnt vmcnt(18)
	v_mul_f32_e32 v134, v127, v196
	v_fma_f32 v82, v121, v189, -v82
	v_fmac_f32_e32 v134, v128, v195
	v_add_f32_e32 v81, v81, v82
	v_mul_f32_e32 v82, v124, v192
	v_add_f32_e32 v137, v133, v134
	ds_read_b128 v[133:136], v80 offset:576
	v_fma_f32 v82, v123, v191, -v82
	s_waitcnt vmcnt(16) lgkmcnt(1)
	v_mul_f32_e32 v138, v129, v198
	v_add_f32_e32 v81, v81, v82
	v_mul_f32_e32 v82, v126, v194
	v_fmac_f32_e32 v138, v130, v197
	v_fma_f32 v82, v125, v193, -v82
	v_add_f32_e32 v137, v137, v138
	s_waitcnt vmcnt(14)
	v_mul_f32_e32 v138, v131, v200
	v_add_f32_e32 v81, v81, v82
	v_mul_f32_e32 v82, v128, v196
	v_fmac_f32_e32 v138, v132, v199
	v_fma_f32 v82, v127, v195, -v82
	v_add_f32_e32 v137, v137, v138
	s_waitcnt vmcnt(12) lgkmcnt(0)
	v_mul_f32_e32 v138, v133, v202
	v_add_f32_e32 v81, v81, v82
	v_mul_f32_e32 v82, v130, v198
	v_fmac_f32_e32 v138, v134, v201
	v_fma_f32 v82, v129, v197, -v82
	v_add_f32_e32 v141, v137, v138
	ds_read_b128 v[137:140], v80 offset:592
	v_add_f32_e32 v81, v81, v82
	v_mul_f32_e32 v82, v132, v200
	v_fma_f32 v82, v131, v199, -v82
	v_add_f32_e32 v81, v81, v82
	v_mul_f32_e32 v82, v134, v202
	s_waitcnt vmcnt(10)
	v_mul_f32_e32 v142, v135, v204
	v_fma_f32 v82, v133, v201, -v82
	v_fmac_f32_e32 v142, v136, v203
	v_add_f32_e32 v81, v81, v82
	v_mul_f32_e32 v82, v136, v204
	v_add_f32_e32 v145, v141, v142
	ds_read_b128 v[141:144], v80 offset:608
	s_waitcnt vmcnt(8) lgkmcnt(1)
	v_mul_f32_e32 v146, v137, v206
	v_fma_f32 v82, v135, v203, -v82
	v_fmac_f32_e32 v146, v138, v205
	v_add_f32_e32 v81, v81, v82
	v_mul_f32_e32 v82, v138, v206
	v_add_f32_e32 v145, v145, v146
	s_waitcnt vmcnt(7)
	v_mul_f32_e32 v146, v139, v207
	v_fma_f32 v82, v137, v205, -v82
	s_waitcnt vmcnt(6)
	v_fmac_f32_e32 v146, v140, v208
	v_add_f32_e32 v81, v81, v82
	v_mul_f32_e32 v82, v140, v207
	v_add_f32_e32 v215, v145, v146
	ds_read_b64 v[145:146], v80 offset:624
	v_fma_f32 v82, v139, v208, -v82
	v_add_f32_e32 v81, v81, v82
	s_waitcnt vmcnt(4) lgkmcnt(1)
	v_mul_f32_e32 v82, v142, v210
	v_mul_f32_e32 v216, v141, v210
	v_fma_f32 v82, v141, v209, -v82
	v_fmac_f32_e32 v216, v142, v209
	v_add_f32_e32 v81, v81, v82
	s_waitcnt vmcnt(3)
	v_mul_f32_e32 v82, v144, v211
	v_add_f32_e32 v215, v215, v216
	v_mul_f32_e32 v216, v143, v211
	s_waitcnt vmcnt(2)
	v_fma_f32 v82, v143, v212, -v82
	v_fmac_f32_e32 v216, v144, v212
	v_add_f32_e32 v81, v81, v82
	s_waitcnt vmcnt(0) lgkmcnt(0)
	v_mul_f32_e32 v82, v146, v214
	v_add_f32_e32 v215, v215, v216
	v_mul_f32_e32 v216, v145, v214
	v_fma_f32 v82, v145, v213, -v82
	v_fmac_f32_e32 v216, v146, v213
	v_add_f32_e32 v81, v81, v82
	v_add_f32_e32 v215, v215, v216
	v_sub_f32_e32 v81, v166, v81
	v_sub_f32_e32 v82, v167, v215
	buffer_store_dword v81, off, s[0:3], 0 offset:40
	buffer_store_dword v82, off, s[0:3], 0 offset:44
	s_and_saveexec_b64 s[4:5], vcc
	s_cbranch_execz .LBB38_239
; %bb.238:
	buffer_load_dword v81, off, s[0:3], 0 offset:32
	buffer_load_dword v82, off, s[0:3], 0 offset:36
	s_waitcnt vmcnt(0)
	ds_write_b64 v79, v[81:82]
	buffer_store_dword v80, off, s[0:3], 0 offset:32
	buffer_store_dword v80, off, s[0:3], 0 offset:36
.LBB38_239:
	s_or_b64 exec, exec, s[4:5]
	s_waitcnt lgkmcnt(0)
	; wave barrier
	buffer_load_dword v149, off, s[0:3], 0 offset:44
	buffer_load_dword v150, off, s[0:3], 0 offset:52
	buffer_load_dword v151, off, s[0:3], 0 offset:60
	buffer_load_dword v152, off, s[0:3], 0 offset:68
	buffer_load_dword v153, off, s[0:3], 0 offset:76
	buffer_load_dword v154, off, s[0:3], 0 offset:84
	buffer_load_dword v155, off, s[0:3], 0 offset:92
	buffer_load_dword v156, off, s[0:3], 0 offset:100
	buffer_load_dword v157, off, s[0:3], 0 offset:40
	buffer_load_dword v158, off, s[0:3], 0 offset:48
	buffer_load_dword v159, off, s[0:3], 0 offset:56
	buffer_load_dword v160, off, s[0:3], 0 offset:64
	buffer_load_dword v161, off, s[0:3], 0 offset:72
	buffer_load_dword v162, off, s[0:3], 0 offset:80
	buffer_load_dword v163, off, s[0:3], 0 offset:88
	buffer_load_dword v164, off, s[0:3], 0 offset:96
	buffer_load_dword v165, off, s[0:3], 0 offset:108
	buffer_load_dword v166, off, s[0:3], 0 offset:104
	buffer_load_dword v167, off, s[0:3], 0 offset:116
	buffer_load_dword v168, off, s[0:3], 0 offset:112
	buffer_load_dword v169, off, s[0:3], 0 offset:32
	buffer_load_dword v170, off, s[0:3], 0 offset:36
	buffer_load_dword v171, off, s[0:3], 0 offset:124
	buffer_load_dword v172, off, s[0:3], 0 offset:120
	ds_read2_b64 v[81:84], v80 offset0:45 offset1:46
	ds_read2_b64 v[85:88], v80 offset0:47 offset1:48
	;; [unrolled: 1-line block ×6, first 2 shown]
	buffer_load_dword v173, off, s[0:3], 0 offset:132
	buffer_load_dword v174, off, s[0:3], 0 offset:128
	buffer_load_dword v175, off, s[0:3], 0 offset:136
	buffer_load_dword v176, off, s[0:3], 0 offset:140
	buffer_load_dword v177, off, s[0:3], 0 offset:144
	buffer_load_dword v178, off, s[0:3], 0 offset:148
	buffer_load_dword v179, off, s[0:3], 0 offset:152
	buffer_load_dword v180, off, s[0:3], 0 offset:156
	buffer_load_dword v181, off, s[0:3], 0 offset:160
	buffer_load_dword v182, off, s[0:3], 0 offset:164
	buffer_load_dword v183, off, s[0:3], 0 offset:168
	buffer_load_dword v184, off, s[0:3], 0 offset:172
	buffer_load_dword v185, off, s[0:3], 0 offset:176
	buffer_load_dword v186, off, s[0:3], 0 offset:180
	buffer_load_dword v187, off, s[0:3], 0 offset:184
	buffer_load_dword v188, off, s[0:3], 0 offset:188
	buffer_load_dword v189, off, s[0:3], 0 offset:192
	buffer_load_dword v190, off, s[0:3], 0 offset:196
	buffer_load_dword v191, off, s[0:3], 0 offset:200
	buffer_load_dword v192, off, s[0:3], 0 offset:204
	buffer_load_dword v193, off, s[0:3], 0 offset:208
	buffer_load_dword v194, off, s[0:3], 0 offset:212
	buffer_load_dword v195, off, s[0:3], 0 offset:216
	buffer_load_dword v196, off, s[0:3], 0 offset:220
	buffer_load_dword v197, off, s[0:3], 0 offset:224
	buffer_load_dword v198, off, s[0:3], 0 offset:228
	buffer_load_dword v199, off, s[0:3], 0 offset:232
	buffer_load_dword v200, off, s[0:3], 0 offset:236
	buffer_load_dword v201, off, s[0:3], 0 offset:240
	buffer_load_dword v202, off, s[0:3], 0 offset:244
	buffer_load_dword v203, off, s[0:3], 0 offset:248
	buffer_load_dword v204, off, s[0:3], 0 offset:252
	buffer_load_dword v205, off, s[0:3], 0 offset:256
	buffer_load_dword v206, off, s[0:3], 0 offset:260
	buffer_load_dword v207, off, s[0:3], 0 offset:264
	buffer_load_dword v208, off, s[0:3], 0 offset:268
	buffer_load_dword v209, off, s[0:3], 0 offset:276
	buffer_load_dword v210, off, s[0:3], 0 offset:272
	buffer_load_dword v211, off, s[0:3], 0 offset:280
	buffer_load_dword v212, off, s[0:3], 0 offset:284
	buffer_load_dword v213, off, s[0:3], 0 offset:288
	buffer_load_dword v214, off, s[0:3], 0 offset:292
	buffer_load_dword v215, off, s[0:3], 0 offset:300
	buffer_load_dword v216, off, s[0:3], 0 offset:296
	buffer_load_dword v217, off, s[0:3], 0 offset:304
	buffer_load_dword v218, off, s[0:3], 0 offset:308
	v_cmp_lt_u32_e32 vcc, 3, v0
	s_waitcnt vmcnt(62) lgkmcnt(5)
	v_mul_f32_e32 v105, v81, v149
	v_mul_f32_e32 v106, v83, v150
	s_waitcnt lgkmcnt(4)
	v_mul_f32_e32 v107, v85, v151
	v_mul_f32_e32 v108, v87, v152
	s_waitcnt lgkmcnt(3)
	;; [unrolled: 3-line block ×3, first 2 shown]
	v_mul_f32_e32 v111, v93, v155
	v_mul_f32_e32 v112, v95, v156
	s_waitcnt vmcnt(61)
	v_fmac_f32_e32 v105, v82, v157
	s_waitcnt vmcnt(60)
	v_fmac_f32_e32 v106, v84, v158
	v_add_f32_e32 v105, 0, v105
	s_waitcnt vmcnt(59)
	v_fmac_f32_e32 v107, v86, v159
	v_add_f32_e32 v105, v105, v106
	s_waitcnt vmcnt(58)
	v_fmac_f32_e32 v108, v88, v160
	v_add_f32_e32 v105, v105, v107
	s_waitcnt vmcnt(57)
	v_fmac_f32_e32 v109, v90, v161
	v_add_f32_e32 v105, v105, v108
	s_waitcnt vmcnt(56)
	v_fmac_f32_e32 v110, v92, v162
	v_add_f32_e32 v105, v105, v109
	s_waitcnt vmcnt(55)
	v_fmac_f32_e32 v111, v94, v163
	v_add_f32_e32 v105, v105, v110
	s_waitcnt vmcnt(54)
	v_fmac_f32_e32 v112, v96, v164
	v_add_f32_e32 v105, v105, v111
	s_waitcnt vmcnt(53) lgkmcnt(1)
	v_mul_f32_e32 v106, v97, v165
	v_add_f32_e32 v105, v105, v112
	s_waitcnt vmcnt(52)
	v_fmac_f32_e32 v106, v98, v166
	v_mul_f32_e32 v82, v82, v149
	v_add_f32_e32 v105, v105, v106
	s_waitcnt vmcnt(51)
	v_mul_f32_e32 v106, v99, v167
	v_fma_f32 v81, v81, v157, -v82
	v_mul_f32_e32 v82, v84, v150
	s_waitcnt vmcnt(50)
	v_fmac_f32_e32 v106, v100, v168
	v_add_f32_e32 v81, 0, v81
	v_fma_f32 v82, v83, v158, -v82
	v_add_f32_e32 v105, v105, v106
	s_waitcnt vmcnt(47) lgkmcnt(0)
	v_mul_f32_e32 v106, v101, v171
	v_add_f32_e32 v81, v81, v82
	v_mul_f32_e32 v82, v86, v151
	s_waitcnt vmcnt(46)
	v_fmac_f32_e32 v106, v102, v172
	v_fma_f32 v82, v85, v159, -v82
	v_add_f32_e32 v109, v105, v106
	ds_read2_b64 v[105:108], v80 offset0:57 offset1:58
	v_add_f32_e32 v81, v81, v82
	v_mul_f32_e32 v82, v88, v152
	v_fma_f32 v82, v87, v160, -v82
	s_waitcnt vmcnt(45)
	v_mul_f32_e32 v110, v103, v173
	v_add_f32_e32 v81, v81, v82
	v_mul_f32_e32 v82, v90, v153
	s_waitcnt vmcnt(44)
	v_fmac_f32_e32 v110, v104, v174
	v_fma_f32 v82, v89, v161, -v82
	v_add_f32_e32 v113, v109, v110
	ds_read2_b64 v[109:112], v80 offset0:59 offset1:60
	v_add_f32_e32 v81, v81, v82
	v_mul_f32_e32 v82, v92, v154
	s_waitcnt vmcnt(42) lgkmcnt(1)
	v_mul_f32_e32 v114, v105, v176
	v_fma_f32 v82, v91, v162, -v82
	v_fmac_f32_e32 v114, v106, v175
	v_add_f32_e32 v81, v81, v82
	v_mul_f32_e32 v82, v94, v155
	v_add_f32_e32 v113, v113, v114
	s_waitcnt vmcnt(40)
	v_mul_f32_e32 v114, v107, v178
	v_fma_f32 v82, v93, v163, -v82
	v_fmac_f32_e32 v114, v108, v177
	v_add_f32_e32 v81, v81, v82
	v_mul_f32_e32 v82, v96, v156
	v_add_f32_e32 v113, v113, v114
	s_waitcnt vmcnt(38) lgkmcnt(0)
	v_mul_f32_e32 v114, v109, v180
	v_fma_f32 v82, v95, v164, -v82
	v_fmac_f32_e32 v114, v110, v179
	v_add_f32_e32 v81, v81, v82
	v_mul_f32_e32 v82, v98, v165
	v_add_f32_e32 v117, v113, v114
	ds_read2_b64 v[113:116], v80 offset0:61 offset1:62
	v_fma_f32 v82, v97, v166, -v82
	v_add_f32_e32 v81, v81, v82
	v_mul_f32_e32 v82, v100, v167
	s_waitcnt vmcnt(36)
	v_mul_f32_e32 v118, v111, v182
	v_fma_f32 v82, v99, v168, -v82
	v_fmac_f32_e32 v118, v112, v181
	v_add_f32_e32 v81, v81, v82
	v_mul_f32_e32 v82, v102, v171
	v_add_f32_e32 v121, v117, v118
	ds_read2_b64 v[117:120], v80 offset0:63 offset1:64
	v_fma_f32 v82, v101, v172, -v82
	s_waitcnt vmcnt(34) lgkmcnt(1)
	v_mul_f32_e32 v122, v113, v184
	v_add_f32_e32 v81, v81, v82
	v_mul_f32_e32 v82, v104, v173
	v_fmac_f32_e32 v122, v114, v183
	v_fma_f32 v82, v103, v174, -v82
	v_add_f32_e32 v121, v121, v122
	s_waitcnt vmcnt(32)
	v_mul_f32_e32 v122, v115, v186
	v_add_f32_e32 v81, v81, v82
	v_mul_f32_e32 v82, v106, v176
	v_fmac_f32_e32 v122, v116, v185
	v_fma_f32 v82, v105, v175, -v82
	v_add_f32_e32 v121, v121, v122
	s_waitcnt vmcnt(30) lgkmcnt(0)
	v_mul_f32_e32 v122, v117, v188
	v_add_f32_e32 v81, v81, v82
	v_mul_f32_e32 v82, v108, v178
	v_fmac_f32_e32 v122, v118, v187
	v_fma_f32 v82, v107, v177, -v82
	v_add_f32_e32 v125, v121, v122
	ds_read2_b64 v[121:124], v80 offset0:65 offset1:66
	v_add_f32_e32 v81, v81, v82
	v_mul_f32_e32 v82, v110, v180
	v_fma_f32 v82, v109, v179, -v82
	s_waitcnt vmcnt(28)
	v_mul_f32_e32 v126, v119, v190
	v_add_f32_e32 v81, v81, v82
	v_mul_f32_e32 v82, v112, v182
	v_fmac_f32_e32 v126, v120, v189
	v_fma_f32 v82, v111, v181, -v82
	v_add_f32_e32 v129, v125, v126
	ds_read2_b64 v[125:128], v80 offset0:67 offset1:68
	v_add_f32_e32 v81, v81, v82
	v_mul_f32_e32 v82, v114, v184
	s_waitcnt vmcnt(26) lgkmcnt(1)
	v_mul_f32_e32 v130, v121, v192
	v_fma_f32 v82, v113, v183, -v82
	v_fmac_f32_e32 v130, v122, v191
	v_add_f32_e32 v81, v81, v82
	v_mul_f32_e32 v82, v116, v186
	v_add_f32_e32 v129, v129, v130
	s_waitcnt vmcnt(24)
	v_mul_f32_e32 v130, v123, v194
	v_fma_f32 v82, v115, v185, -v82
	v_fmac_f32_e32 v130, v124, v193
	v_add_f32_e32 v81, v81, v82
	v_mul_f32_e32 v82, v118, v188
	v_add_f32_e32 v129, v129, v130
	s_waitcnt vmcnt(22) lgkmcnt(0)
	v_mul_f32_e32 v130, v125, v196
	v_fma_f32 v82, v117, v187, -v82
	v_fmac_f32_e32 v130, v126, v195
	v_add_f32_e32 v81, v81, v82
	v_mul_f32_e32 v82, v120, v190
	v_add_f32_e32 v133, v129, v130
	ds_read2_b64 v[129:132], v80 offset0:69 offset1:70
	v_fma_f32 v82, v119, v189, -v82
	v_add_f32_e32 v81, v81, v82
	v_mul_f32_e32 v82, v122, v192
	s_waitcnt vmcnt(20)
	v_mul_f32_e32 v134, v127, v198
	v_fma_f32 v82, v121, v191, -v82
	v_fmac_f32_e32 v134, v128, v197
	v_add_f32_e32 v81, v81, v82
	v_mul_f32_e32 v82, v124, v194
	v_add_f32_e32 v137, v133, v134
	ds_read2_b64 v[133:136], v80 offset0:71 offset1:72
	v_fma_f32 v82, v123, v193, -v82
	s_waitcnt vmcnt(18) lgkmcnt(1)
	v_mul_f32_e32 v138, v129, v200
	v_add_f32_e32 v81, v81, v82
	v_mul_f32_e32 v82, v126, v196
	v_fmac_f32_e32 v138, v130, v199
	v_fma_f32 v82, v125, v195, -v82
	v_add_f32_e32 v137, v137, v138
	s_waitcnt vmcnt(16)
	v_mul_f32_e32 v138, v131, v202
	v_add_f32_e32 v81, v81, v82
	v_mul_f32_e32 v82, v128, v198
	v_fmac_f32_e32 v138, v132, v201
	v_fma_f32 v82, v127, v197, -v82
	v_add_f32_e32 v137, v137, v138
	s_waitcnt vmcnt(14) lgkmcnt(0)
	v_mul_f32_e32 v138, v133, v204
	v_add_f32_e32 v81, v81, v82
	v_mul_f32_e32 v82, v130, v200
	v_fmac_f32_e32 v138, v134, v203
	v_fma_f32 v82, v129, v199, -v82
	v_add_f32_e32 v141, v137, v138
	ds_read2_b64 v[137:140], v80 offset0:73 offset1:74
	v_add_f32_e32 v81, v81, v82
	v_mul_f32_e32 v82, v132, v202
	v_fma_f32 v82, v131, v201, -v82
	v_add_f32_e32 v81, v81, v82
	v_mul_f32_e32 v82, v134, v204
	s_waitcnt vmcnt(12)
	v_mul_f32_e32 v142, v135, v206
	v_fma_f32 v82, v133, v203, -v82
	v_fmac_f32_e32 v142, v136, v205
	v_add_f32_e32 v81, v81, v82
	v_mul_f32_e32 v82, v136, v206
	v_add_f32_e32 v145, v141, v142
	ds_read2_b64 v[141:144], v80 offset0:75 offset1:76
	s_waitcnt vmcnt(10) lgkmcnt(1)
	v_mul_f32_e32 v146, v137, v208
	v_fma_f32 v82, v135, v205, -v82
	v_fmac_f32_e32 v146, v138, v207
	v_add_f32_e32 v81, v81, v82
	v_mul_f32_e32 v82, v138, v208
	v_add_f32_e32 v145, v145, v146
	s_waitcnt vmcnt(9)
	v_mul_f32_e32 v146, v139, v209
	v_fma_f32 v82, v137, v207, -v82
	s_waitcnt vmcnt(8)
	v_fmac_f32_e32 v146, v140, v210
	v_add_f32_e32 v81, v81, v82
	v_mul_f32_e32 v82, v140, v209
	v_add_f32_e32 v219, v145, v146
	ds_read2_b64 v[145:148], v80 offset0:77 offset1:78
	v_fma_f32 v82, v139, v210, -v82
	v_add_f32_e32 v81, v81, v82
	s_waitcnt vmcnt(6) lgkmcnt(1)
	v_mul_f32_e32 v82, v142, v212
	v_mul_f32_e32 v220, v141, v212
	v_fma_f32 v82, v141, v211, -v82
	v_fmac_f32_e32 v220, v142, v211
	v_add_f32_e32 v81, v81, v82
	s_waitcnt vmcnt(4)
	v_mul_f32_e32 v82, v144, v214
	v_add_f32_e32 v80, v219, v220
	v_mul_f32_e32 v219, v143, v214
	v_fma_f32 v82, v143, v213, -v82
	v_fmac_f32_e32 v219, v144, v213
	v_add_f32_e32 v81, v81, v82
	s_waitcnt vmcnt(3) lgkmcnt(0)
	v_mul_f32_e32 v82, v146, v215
	v_add_f32_e32 v80, v80, v219
	v_mul_f32_e32 v219, v145, v215
	s_waitcnt vmcnt(2)
	v_fma_f32 v82, v145, v216, -v82
	v_fmac_f32_e32 v219, v146, v216
	v_add_f32_e32 v81, v81, v82
	s_waitcnt vmcnt(0)
	v_mul_f32_e32 v82, v148, v218
	v_add_f32_e32 v80, v80, v219
	v_mul_f32_e32 v219, v147, v218
	v_fma_f32 v82, v147, v217, -v82
	v_fmac_f32_e32 v219, v148, v217
	v_add_f32_e32 v81, v81, v82
	v_add_f32_e32 v80, v80, v219
	v_sub_f32_e32 v81, v169, v81
	v_sub_f32_e32 v80, v170, v80
	buffer_store_dword v81, off, s[0:3], 0 offset:32
	buffer_store_dword v80, off, s[0:3], 0 offset:36
	s_and_saveexec_b64 s[4:5], vcc
	s_cbranch_execz .LBB38_241
; %bb.240:
	buffer_load_dword v80, off, s[0:3], 0 offset:24
	buffer_load_dword v81, off, s[0:3], 0 offset:28
	v_mov_b32_e32 v82, 0
	buffer_store_dword v82, off, s[0:3], 0 offset:24
	buffer_store_dword v82, off, s[0:3], 0 offset:28
	s_waitcnt vmcnt(2)
	ds_write_b64 v79, v[80:81]
.LBB38_241:
	s_or_b64 exec, exec, s[4:5]
	s_waitcnt lgkmcnt(0)
	; wave barrier
	buffer_load_dword v151, off, s[0:3], 0 offset:36
	buffer_load_dword v152, off, s[0:3], 0 offset:44
	;; [unrolled: 1-line block ×56, first 2 shown]
	v_mov_b32_e32 v80, 0
	ds_read_b128 v[81:84], v80 offset:352
	ds_read_b128 v[85:88], v80 offset:368
	;; [unrolled: 1-line block ×6, first 2 shown]
	buffer_load_dword v207, off, s[0:3], 0 offset:248
	buffer_load_dword v208, off, s[0:3], 0 offset:252
	;; [unrolled: 1-line block ×12, first 2 shown]
	v_cmp_lt_u32_e32 vcc, 2, v0
	s_waitcnt vmcnt(62) lgkmcnt(5)
	v_mul_f32_e32 v105, v81, v151
	v_mul_f32_e32 v106, v83, v152
	s_waitcnt lgkmcnt(4)
	v_mul_f32_e32 v107, v85, v153
	v_mul_f32_e32 v108, v87, v154
	s_waitcnt lgkmcnt(3)
	v_mul_f32_e32 v109, v89, v155
	v_mul_f32_e32 v110, v91, v156
	s_waitcnt vmcnt(61) lgkmcnt(2)
	v_mul_f32_e32 v111, v93, v157
	s_waitcnt vmcnt(60)
	v_mul_f32_e32 v112, v95, v158
	s_waitcnt vmcnt(59) lgkmcnt(1)
	v_mul_f32_e32 v113, v97, v159
	s_waitcnt vmcnt(58)
	v_fmac_f32_e32 v105, v82, v160
	s_waitcnt vmcnt(57)
	v_fmac_f32_e32 v106, v84, v161
	v_add_f32_e32 v105, 0, v105
	s_waitcnt vmcnt(56)
	v_fmac_f32_e32 v107, v86, v162
	v_add_f32_e32 v105, v105, v106
	;; [unrolled: 3-line block ×7, first 2 shown]
	v_add_f32_e32 v105, v105, v112
	s_waitcnt vmcnt(50)
	v_fmac_f32_e32 v113, v98, v168
	s_waitcnt vmcnt(49)
	v_mul_f32_e32 v106, v99, v169
	v_add_f32_e32 v105, v105, v113
	s_waitcnt vmcnt(48)
	v_fmac_f32_e32 v106, v100, v170
	v_add_f32_e32 v105, v105, v106
	s_waitcnt vmcnt(47) lgkmcnt(0)
	v_mul_f32_e32 v106, v101, v171
	s_waitcnt vmcnt(44)
	v_fmac_f32_e32 v106, v102, v174
	v_add_f32_e32 v109, v105, v106
	ds_read_b128 v[105:108], v80 offset:448
	buffer_load_dword v219, off, s[0:3], 0 offset:300
	buffer_load_dword v220, off, s[0:3], 0 offset:296
	;; [unrolled: 1-line block ×4, first 2 shown]
	v_mul_f32_e32 v82, v82, v151
	v_fma_f32 v81, v81, v160, -v82
	v_mul_f32_e32 v82, v84, v152
	v_add_f32_e32 v81, 0, v81
	v_fma_f32 v82, v83, v161, -v82
	v_add_f32_e32 v81, v81, v82
	v_mul_f32_e32 v82, v86, v153
	v_fma_f32 v82, v85, v162, -v82
	s_waitcnt vmcnt(46)
	v_mul_f32_e32 v110, v103, v176
	v_add_f32_e32 v81, v81, v82
	v_mul_f32_e32 v82, v88, v154
	v_fmac_f32_e32 v110, v104, v175
	v_fma_f32 v82, v87, v163, -v82
	v_add_f32_e32 v113, v109, v110
	ds_read_b128 v[109:112], v80 offset:464
	v_add_f32_e32 v81, v81, v82
	v_mul_f32_e32 v82, v90, v155
	s_waitcnt vmcnt(44) lgkmcnt(1)
	v_mul_f32_e32 v114, v105, v178
	v_fma_f32 v82, v89, v164, -v82
	v_fmac_f32_e32 v114, v106, v177
	v_add_f32_e32 v81, v81, v82
	v_mul_f32_e32 v82, v92, v156
	v_add_f32_e32 v113, v113, v114
	s_waitcnt vmcnt(42)
	v_mul_f32_e32 v114, v107, v180
	v_fma_f32 v82, v91, v165, -v82
	v_fmac_f32_e32 v114, v108, v179
	v_add_f32_e32 v81, v81, v82
	v_mul_f32_e32 v82, v94, v157
	v_add_f32_e32 v113, v113, v114
	s_waitcnt vmcnt(40) lgkmcnt(0)
	v_mul_f32_e32 v114, v109, v182
	v_fma_f32 v82, v93, v166, -v82
	v_fmac_f32_e32 v114, v110, v181
	v_add_f32_e32 v81, v81, v82
	v_mul_f32_e32 v82, v96, v158
	v_add_f32_e32 v117, v113, v114
	ds_read_b128 v[113:116], v80 offset:480
	v_fma_f32 v82, v95, v167, -v82
	v_add_f32_e32 v81, v81, v82
	v_mul_f32_e32 v82, v98, v159
	s_waitcnt vmcnt(38)
	v_mul_f32_e32 v118, v111, v184
	v_fma_f32 v82, v97, v168, -v82
	v_fmac_f32_e32 v118, v112, v183
	v_add_f32_e32 v81, v81, v82
	v_mul_f32_e32 v82, v100, v169
	v_add_f32_e32 v121, v117, v118
	ds_read_b128 v[117:120], v80 offset:496
	v_fma_f32 v82, v99, v170, -v82
	s_waitcnt vmcnt(36) lgkmcnt(1)
	v_mul_f32_e32 v122, v113, v186
	v_add_f32_e32 v81, v81, v82
	v_mul_f32_e32 v82, v102, v171
	v_fmac_f32_e32 v122, v114, v185
	v_fma_f32 v82, v101, v174, -v82
	v_add_f32_e32 v121, v121, v122
	s_waitcnt vmcnt(34)
	v_mul_f32_e32 v122, v115, v188
	v_add_f32_e32 v81, v81, v82
	v_mul_f32_e32 v82, v104, v176
	v_fmac_f32_e32 v122, v116, v187
	v_fma_f32 v82, v103, v175, -v82
	v_add_f32_e32 v121, v121, v122
	s_waitcnt vmcnt(32) lgkmcnt(0)
	v_mul_f32_e32 v122, v117, v190
	v_add_f32_e32 v81, v81, v82
	v_mul_f32_e32 v82, v106, v178
	v_fmac_f32_e32 v122, v118, v189
	v_fma_f32 v82, v105, v177, -v82
	v_add_f32_e32 v125, v121, v122
	ds_read_b128 v[121:124], v80 offset:512
	v_add_f32_e32 v81, v81, v82
	v_mul_f32_e32 v82, v108, v180
	v_fma_f32 v82, v107, v179, -v82
	s_waitcnt vmcnt(30)
	v_mul_f32_e32 v126, v119, v192
	v_add_f32_e32 v81, v81, v82
	v_mul_f32_e32 v82, v110, v182
	v_fmac_f32_e32 v126, v120, v191
	v_fma_f32 v82, v109, v181, -v82
	v_add_f32_e32 v129, v125, v126
	ds_read_b128 v[125:128], v80 offset:528
	v_add_f32_e32 v81, v81, v82
	v_mul_f32_e32 v82, v112, v184
	s_waitcnt vmcnt(28) lgkmcnt(1)
	v_mul_f32_e32 v130, v121, v194
	v_fma_f32 v82, v111, v183, -v82
	v_fmac_f32_e32 v130, v122, v193
	v_add_f32_e32 v81, v81, v82
	v_mul_f32_e32 v82, v114, v186
	v_add_f32_e32 v129, v129, v130
	s_waitcnt vmcnt(26)
	v_mul_f32_e32 v130, v123, v196
	v_fma_f32 v82, v113, v185, -v82
	v_fmac_f32_e32 v130, v124, v195
	v_add_f32_e32 v81, v81, v82
	v_mul_f32_e32 v82, v116, v188
	v_add_f32_e32 v129, v129, v130
	s_waitcnt vmcnt(24) lgkmcnt(0)
	v_mul_f32_e32 v130, v125, v198
	v_fma_f32 v82, v115, v187, -v82
	v_fmac_f32_e32 v130, v126, v197
	v_add_f32_e32 v81, v81, v82
	v_mul_f32_e32 v82, v118, v190
	v_add_f32_e32 v133, v129, v130
	ds_read_b128 v[129:132], v80 offset:544
	v_fma_f32 v82, v117, v189, -v82
	v_add_f32_e32 v81, v81, v82
	v_mul_f32_e32 v82, v120, v192
	s_waitcnt vmcnt(22)
	v_mul_f32_e32 v134, v127, v200
	v_fma_f32 v82, v119, v191, -v82
	v_fmac_f32_e32 v134, v128, v199
	v_add_f32_e32 v81, v81, v82
	v_mul_f32_e32 v82, v122, v194
	v_add_f32_e32 v137, v133, v134
	ds_read_b128 v[133:136], v80 offset:560
	v_fma_f32 v82, v121, v193, -v82
	s_waitcnt vmcnt(20) lgkmcnt(1)
	v_mul_f32_e32 v138, v129, v202
	v_add_f32_e32 v81, v81, v82
	v_mul_f32_e32 v82, v124, v196
	v_fmac_f32_e32 v138, v130, v201
	v_fma_f32 v82, v123, v195, -v82
	v_add_f32_e32 v137, v137, v138
	s_waitcnt vmcnt(18)
	v_mul_f32_e32 v138, v131, v204
	v_add_f32_e32 v81, v81, v82
	v_mul_f32_e32 v82, v126, v198
	v_fmac_f32_e32 v138, v132, v203
	v_fma_f32 v82, v125, v197, -v82
	v_add_f32_e32 v137, v137, v138
	s_waitcnt vmcnt(16) lgkmcnt(0)
	v_mul_f32_e32 v138, v133, v206
	v_add_f32_e32 v81, v81, v82
	v_mul_f32_e32 v82, v128, v200
	v_fmac_f32_e32 v138, v134, v205
	v_fma_f32 v82, v127, v199, -v82
	v_add_f32_e32 v141, v137, v138
	ds_read_b128 v[137:140], v80 offset:576
	v_add_f32_e32 v81, v81, v82
	v_mul_f32_e32 v82, v130, v202
	v_fma_f32 v82, v129, v201, -v82
	s_waitcnt vmcnt(14)
	v_mul_f32_e32 v142, v135, v208
	v_add_f32_e32 v81, v81, v82
	v_mul_f32_e32 v82, v132, v204
	v_fmac_f32_e32 v142, v136, v207
	v_fma_f32 v82, v131, v203, -v82
	v_add_f32_e32 v145, v141, v142
	ds_read_b128 v[141:144], v80 offset:592
	v_add_f32_e32 v81, v81, v82
	v_mul_f32_e32 v82, v134, v206
	s_waitcnt vmcnt(12) lgkmcnt(1)
	v_mul_f32_e32 v146, v137, v210
	v_fma_f32 v82, v133, v205, -v82
	v_fmac_f32_e32 v146, v138, v209
	v_add_f32_e32 v81, v81, v82
	v_mul_f32_e32 v82, v136, v208
	v_add_f32_e32 v145, v145, v146
	s_waitcnt vmcnt(11)
	v_mul_f32_e32 v146, v139, v211
	v_fma_f32 v82, v135, v207, -v82
	s_waitcnt vmcnt(10)
	v_fmac_f32_e32 v146, v140, v212
	v_add_f32_e32 v81, v81, v82
	v_mul_f32_e32 v82, v138, v210
	v_add_f32_e32 v145, v145, v146
	s_waitcnt vmcnt(8) lgkmcnt(0)
	v_mul_f32_e32 v146, v141, v214
	v_fma_f32 v82, v137, v209, -v82
	v_fmac_f32_e32 v146, v142, v213
	v_add_f32_e32 v81, v81, v82
	v_mul_f32_e32 v82, v140, v211
	v_add_f32_e32 v149, v145, v146
	ds_read_b128 v[145:148], v80 offset:608
	v_fma_f32 v82, v139, v212, -v82
	v_add_f32_e32 v81, v81, v82
	v_mul_f32_e32 v82, v142, v214
	s_waitcnt vmcnt(6)
	v_mul_f32_e32 v150, v143, v216
	v_fma_f32 v82, v141, v213, -v82
	v_fmac_f32_e32 v150, v144, v215
	v_add_f32_e32 v81, v81, v82
	v_mul_f32_e32 v82, v144, v216
	v_add_f32_e32 v223, v149, v150
	ds_read_b64 v[149:150], v80 offset:624
	v_fma_f32 v82, v143, v215, -v82
	v_add_f32_e32 v81, v81, v82
	s_waitcnt vmcnt(4) lgkmcnt(1)
	v_mul_f32_e32 v82, v146, v218
	v_mul_f32_e32 v224, v145, v218
	v_fma_f32 v82, v145, v217, -v82
	v_fmac_f32_e32 v224, v146, v217
	v_add_f32_e32 v81, v81, v82
	s_waitcnt vmcnt(3)
	v_mul_f32_e32 v82, v148, v219
	v_add_f32_e32 v223, v223, v224
	v_mul_f32_e32 v224, v147, v219
	s_waitcnt vmcnt(2)
	v_fma_f32 v82, v147, v220, -v82
	v_fmac_f32_e32 v224, v148, v220
	v_add_f32_e32 v81, v81, v82
	s_waitcnt vmcnt(0) lgkmcnt(0)
	v_mul_f32_e32 v82, v150, v222
	v_add_f32_e32 v223, v223, v224
	v_mul_f32_e32 v224, v149, v222
	v_fma_f32 v82, v149, v221, -v82
	v_fmac_f32_e32 v224, v150, v221
	v_add_f32_e32 v81, v81, v82
	v_add_f32_e32 v223, v223, v224
	v_sub_f32_e32 v81, v172, v81
	v_sub_f32_e32 v82, v173, v223
	buffer_store_dword v81, off, s[0:3], 0 offset:24
	buffer_store_dword v82, off, s[0:3], 0 offset:28
	s_and_saveexec_b64 s[4:5], vcc
	s_cbranch_execz .LBB38_243
; %bb.242:
	buffer_load_dword v81, off, s[0:3], 0 offset:16
	buffer_load_dword v82, off, s[0:3], 0 offset:20
	s_waitcnt vmcnt(0)
	ds_write_b64 v79, v[81:82]
	buffer_store_dword v80, off, s[0:3], 0 offset:16
	buffer_store_dword v80, off, s[0:3], 0 offset:20
.LBB38_243:
	s_or_b64 exec, exec, s[4:5]
	s_waitcnt lgkmcnt(0)
	; wave barrier
	buffer_load_dword v153, off, s[0:3], 0 offset:28
	buffer_load_dword v154, off, s[0:3], 0 offset:36
	;; [unrolled: 1-line block ×26, first 2 shown]
	ds_read2_b64 v[81:84], v80 offset0:43 offset1:44
	ds_read2_b64 v[85:88], v80 offset0:45 offset1:46
	;; [unrolled: 1-line block ×6, first 2 shown]
	buffer_load_dword v179, off, s[0:3], 0 offset:120
	buffer_load_dword v180, off, s[0:3], 0 offset:124
	;; [unrolled: 1-line block ×42, first 2 shown]
	v_cmp_lt_u32_e32 vcc, 1, v0
	s_waitcnt vmcnt(62) lgkmcnt(5)
	v_mul_f32_e32 v105, v81, v153
	v_mul_f32_e32 v106, v83, v154
	s_waitcnt lgkmcnt(4)
	v_mul_f32_e32 v107, v85, v155
	v_mul_f32_e32 v108, v87, v156
	s_waitcnt lgkmcnt(3)
	v_mul_f32_e32 v109, v89, v157
	v_mul_f32_e32 v110, v91, v158
	s_waitcnt vmcnt(61) lgkmcnt(2)
	v_mul_f32_e32 v111, v93, v159
	s_waitcnt vmcnt(60)
	v_mul_f32_e32 v112, v95, v160
	s_waitcnt vmcnt(59) lgkmcnt(1)
	v_mul_f32_e32 v113, v97, v161
	s_waitcnt vmcnt(58)
	v_fmac_f32_e32 v105, v82, v162
	s_waitcnt vmcnt(57)
	v_fmac_f32_e32 v106, v84, v163
	v_add_f32_e32 v105, 0, v105
	s_waitcnt vmcnt(56)
	v_fmac_f32_e32 v107, v86, v164
	v_add_f32_e32 v105, v105, v106
	;; [unrolled: 3-line block ×8, first 2 shown]
	s_waitcnt vmcnt(49)
	v_mul_f32_e32 v106, v99, v171
	v_add_f32_e32 v105, v105, v113
	s_waitcnt vmcnt(48)
	v_fmac_f32_e32 v106, v100, v172
	v_add_f32_e32 v105, v105, v106
	s_waitcnt vmcnt(47) lgkmcnt(0)
	v_mul_f32_e32 v106, v101, v173
	s_waitcnt vmcnt(46)
	v_fmac_f32_e32 v106, v102, v174
	v_add_f32_e32 v105, v105, v106
	s_waitcnt vmcnt(42)
	v_mul_f32_e32 v106, v103, v178
	v_fmac_f32_e32 v106, v104, v177
	v_add_f32_e32 v113, v105, v106
	ds_read2_b64 v[105:108], v80 offset0:55 offset1:56
	buffer_load_dword v221, off, s[0:3], 0 offset:292
	buffer_load_dword v222, off, s[0:3], 0 offset:288
	;; [unrolled: 1-line block ×4, first 2 shown]
	ds_read2_b64 v[109:112], v80 offset0:57 offset1:58
	buffer_load_dword v225, off, s[0:3], 0 offset:304
	buffer_load_dword v226, off, s[0:3], 0 offset:308
	v_mul_f32_e32 v82, v82, v153
	v_fma_f32 v81, v81, v162, -v82
	v_mul_f32_e32 v82, v84, v154
	v_add_f32_e32 v81, 0, v81
	v_fma_f32 v82, v83, v163, -v82
	v_add_f32_e32 v81, v81, v82
	v_mul_f32_e32 v82, v86, v155
	v_fma_f32 v82, v85, v164, -v82
	v_add_f32_e32 v81, v81, v82
	v_mul_f32_e32 v82, v88, v156
	;; [unrolled: 3-line block ×3, first 2 shown]
	s_waitcnt vmcnt(46) lgkmcnt(1)
	v_mul_f32_e32 v114, v105, v180
	v_fma_f32 v82, v89, v166, -v82
	v_fmac_f32_e32 v114, v106, v179
	v_add_f32_e32 v81, v81, v82
	v_mul_f32_e32 v82, v92, v158
	v_add_f32_e32 v113, v113, v114
	s_waitcnt vmcnt(44)
	v_mul_f32_e32 v114, v107, v182
	v_fma_f32 v82, v91, v167, -v82
	v_fmac_f32_e32 v114, v108, v181
	v_add_f32_e32 v81, v81, v82
	v_mul_f32_e32 v82, v94, v159
	v_add_f32_e32 v113, v113, v114
	s_waitcnt vmcnt(42) lgkmcnt(0)
	v_mul_f32_e32 v114, v109, v184
	v_fma_f32 v82, v93, v168, -v82
	v_fmac_f32_e32 v114, v110, v183
	v_add_f32_e32 v81, v81, v82
	v_mul_f32_e32 v82, v96, v160
	v_add_f32_e32 v117, v113, v114
	ds_read2_b64 v[113:116], v80 offset0:59 offset1:60
	v_fma_f32 v82, v95, v169, -v82
	v_add_f32_e32 v81, v81, v82
	v_mul_f32_e32 v82, v98, v161
	s_waitcnt vmcnt(40)
	v_mul_f32_e32 v118, v111, v186
	v_fma_f32 v82, v97, v170, -v82
	v_fmac_f32_e32 v118, v112, v185
	v_add_f32_e32 v81, v81, v82
	v_mul_f32_e32 v82, v100, v171
	v_add_f32_e32 v121, v117, v118
	ds_read2_b64 v[117:120], v80 offset0:61 offset1:62
	v_fma_f32 v82, v99, v172, -v82
	s_waitcnt vmcnt(38) lgkmcnt(1)
	v_mul_f32_e32 v122, v113, v188
	v_add_f32_e32 v81, v81, v82
	v_mul_f32_e32 v82, v102, v173
	v_fmac_f32_e32 v122, v114, v187
	v_fma_f32 v82, v101, v174, -v82
	v_add_f32_e32 v121, v121, v122
	s_waitcnt vmcnt(36)
	v_mul_f32_e32 v122, v115, v190
	v_add_f32_e32 v81, v81, v82
	v_mul_f32_e32 v82, v104, v178
	v_fmac_f32_e32 v122, v116, v189
	v_fma_f32 v82, v103, v177, -v82
	v_add_f32_e32 v121, v121, v122
	s_waitcnt vmcnt(34) lgkmcnt(0)
	v_mul_f32_e32 v122, v117, v192
	v_add_f32_e32 v81, v81, v82
	v_mul_f32_e32 v82, v106, v180
	v_fmac_f32_e32 v122, v118, v191
	v_fma_f32 v82, v105, v179, -v82
	v_add_f32_e32 v125, v121, v122
	ds_read2_b64 v[121:124], v80 offset0:63 offset1:64
	v_add_f32_e32 v81, v81, v82
	v_mul_f32_e32 v82, v108, v182
	v_fma_f32 v82, v107, v181, -v82
	s_waitcnt vmcnt(32)
	v_mul_f32_e32 v126, v119, v194
	v_add_f32_e32 v81, v81, v82
	v_mul_f32_e32 v82, v110, v184
	v_fmac_f32_e32 v126, v120, v193
	v_fma_f32 v82, v109, v183, -v82
	v_add_f32_e32 v129, v125, v126
	ds_read2_b64 v[125:128], v80 offset0:65 offset1:66
	v_add_f32_e32 v81, v81, v82
	v_mul_f32_e32 v82, v112, v186
	s_waitcnt vmcnt(30) lgkmcnt(1)
	v_mul_f32_e32 v130, v121, v196
	v_fma_f32 v82, v111, v185, -v82
	v_fmac_f32_e32 v130, v122, v195
	v_add_f32_e32 v81, v81, v82
	v_mul_f32_e32 v82, v114, v188
	v_add_f32_e32 v129, v129, v130
	s_waitcnt vmcnt(28)
	v_mul_f32_e32 v130, v123, v198
	v_fma_f32 v82, v113, v187, -v82
	v_fmac_f32_e32 v130, v124, v197
	v_add_f32_e32 v81, v81, v82
	v_mul_f32_e32 v82, v116, v190
	v_add_f32_e32 v129, v129, v130
	s_waitcnt vmcnt(26) lgkmcnt(0)
	v_mul_f32_e32 v130, v125, v200
	v_fma_f32 v82, v115, v189, -v82
	v_fmac_f32_e32 v130, v126, v199
	v_add_f32_e32 v81, v81, v82
	v_mul_f32_e32 v82, v118, v192
	v_add_f32_e32 v133, v129, v130
	ds_read2_b64 v[129:132], v80 offset0:67 offset1:68
	v_fma_f32 v82, v117, v191, -v82
	v_add_f32_e32 v81, v81, v82
	v_mul_f32_e32 v82, v120, v194
	s_waitcnt vmcnt(24)
	v_mul_f32_e32 v134, v127, v202
	v_fma_f32 v82, v119, v193, -v82
	v_fmac_f32_e32 v134, v128, v201
	v_add_f32_e32 v81, v81, v82
	v_mul_f32_e32 v82, v122, v196
	v_add_f32_e32 v137, v133, v134
	ds_read2_b64 v[133:136], v80 offset0:69 offset1:70
	v_fma_f32 v82, v121, v195, -v82
	s_waitcnt vmcnt(22) lgkmcnt(1)
	v_mul_f32_e32 v138, v129, v204
	v_add_f32_e32 v81, v81, v82
	v_mul_f32_e32 v82, v124, v198
	v_fmac_f32_e32 v138, v130, v203
	v_fma_f32 v82, v123, v197, -v82
	v_add_f32_e32 v137, v137, v138
	s_waitcnt vmcnt(20)
	v_mul_f32_e32 v138, v131, v206
	v_add_f32_e32 v81, v81, v82
	v_mul_f32_e32 v82, v126, v200
	v_fmac_f32_e32 v138, v132, v205
	v_fma_f32 v82, v125, v199, -v82
	v_add_f32_e32 v137, v137, v138
	s_waitcnt vmcnt(18) lgkmcnt(0)
	v_mul_f32_e32 v138, v133, v208
	v_add_f32_e32 v81, v81, v82
	v_mul_f32_e32 v82, v128, v202
	v_fmac_f32_e32 v138, v134, v207
	v_fma_f32 v82, v127, v201, -v82
	v_add_f32_e32 v141, v137, v138
	ds_read2_b64 v[137:140], v80 offset0:71 offset1:72
	v_add_f32_e32 v81, v81, v82
	v_mul_f32_e32 v82, v130, v204
	v_fma_f32 v82, v129, v203, -v82
	s_waitcnt vmcnt(16)
	v_mul_f32_e32 v142, v135, v210
	v_add_f32_e32 v81, v81, v82
	v_mul_f32_e32 v82, v132, v206
	v_fmac_f32_e32 v142, v136, v209
	v_fma_f32 v82, v131, v205, -v82
	v_add_f32_e32 v145, v141, v142
	ds_read2_b64 v[141:144], v80 offset0:73 offset1:74
	v_add_f32_e32 v81, v81, v82
	v_mul_f32_e32 v82, v134, v208
	s_waitcnt vmcnt(14) lgkmcnt(1)
	v_mul_f32_e32 v146, v137, v212
	v_fma_f32 v82, v133, v207, -v82
	v_fmac_f32_e32 v146, v138, v211
	v_add_f32_e32 v81, v81, v82
	v_mul_f32_e32 v82, v136, v210
	v_add_f32_e32 v145, v145, v146
	s_waitcnt vmcnt(13)
	v_mul_f32_e32 v146, v139, v213
	v_fma_f32 v82, v135, v209, -v82
	s_waitcnt vmcnt(12)
	v_fmac_f32_e32 v146, v140, v214
	v_add_f32_e32 v81, v81, v82
	v_mul_f32_e32 v82, v138, v212
	v_add_f32_e32 v145, v145, v146
	s_waitcnt vmcnt(10) lgkmcnt(0)
	v_mul_f32_e32 v146, v141, v216
	v_fma_f32 v82, v137, v211, -v82
	v_fmac_f32_e32 v146, v142, v215
	v_add_f32_e32 v81, v81, v82
	v_mul_f32_e32 v82, v140, v213
	v_add_f32_e32 v149, v145, v146
	ds_read2_b64 v[145:148], v80 offset0:75 offset1:76
	v_fma_f32 v82, v139, v214, -v82
	v_add_f32_e32 v81, v81, v82
	v_mul_f32_e32 v82, v142, v216
	s_waitcnt vmcnt(8)
	v_mul_f32_e32 v150, v143, v218
	v_fma_f32 v82, v141, v215, -v82
	v_fmac_f32_e32 v150, v144, v217
	v_add_f32_e32 v81, v81, v82
	v_mul_f32_e32 v82, v144, v218
	v_add_f32_e32 v227, v149, v150
	ds_read2_b64 v[149:152], v80 offset0:77 offset1:78
	v_fma_f32 v82, v143, v217, -v82
	v_add_f32_e32 v81, v81, v82
	s_waitcnt vmcnt(6) lgkmcnt(1)
	v_mul_f32_e32 v82, v146, v220
	v_mul_f32_e32 v80, v145, v220
	v_fma_f32 v82, v145, v219, -v82
	v_fmac_f32_e32 v80, v146, v219
	v_add_f32_e32 v81, v81, v82
	s_waitcnt vmcnt(5)
	v_mul_f32_e32 v82, v148, v221
	v_add_f32_e32 v80, v227, v80
	v_mul_f32_e32 v227, v147, v221
	s_waitcnt vmcnt(4)
	v_fma_f32 v82, v147, v222, -v82
	v_fmac_f32_e32 v227, v148, v222
	v_add_f32_e32 v81, v81, v82
	s_waitcnt vmcnt(2) lgkmcnt(0)
	v_mul_f32_e32 v82, v150, v224
	v_add_f32_e32 v80, v80, v227
	v_mul_f32_e32 v227, v149, v224
	v_fma_f32 v82, v149, v223, -v82
	v_fmac_f32_e32 v227, v150, v223
	v_add_f32_e32 v81, v81, v82
	s_waitcnt vmcnt(0)
	v_mul_f32_e32 v82, v152, v226
	v_add_f32_e32 v80, v80, v227
	v_mul_f32_e32 v227, v151, v226
	v_fma_f32 v82, v151, v225, -v82
	v_fmac_f32_e32 v227, v152, v225
	v_add_f32_e32 v81, v81, v82
	v_add_f32_e32 v80, v80, v227
	v_sub_f32_e32 v81, v175, v81
	v_sub_f32_e32 v80, v176, v80
	buffer_store_dword v81, off, s[0:3], 0 offset:16
	buffer_store_dword v80, off, s[0:3], 0 offset:20
	s_and_saveexec_b64 s[4:5], vcc
	s_cbranch_execz .LBB38_245
; %bb.244:
	buffer_load_dword v80, off, s[0:3], 0 offset:8
	buffer_load_dword v81, off, s[0:3], 0 offset:12
	v_mov_b32_e32 v82, 0
	buffer_store_dword v82, off, s[0:3], 0 offset:8
	buffer_store_dword v82, off, s[0:3], 0 offset:12
	s_waitcnt vmcnt(2)
	ds_write_b64 v79, v[80:81]
.LBB38_245:
	s_or_b64 exec, exec, s[4:5]
	s_waitcnt lgkmcnt(0)
	; wave barrier
	buffer_load_dword v155, off, s[0:3], 0 offset:20
	buffer_load_dword v156, off, s[0:3], 0 offset:28
	;; [unrolled: 1-line block ×52, first 2 shown]
	v_mov_b32_e32 v80, 0
	ds_read_b128 v[81:84], v80 offset:336
	ds_read_b128 v[85:88], v80 offset:352
	;; [unrolled: 1-line block ×6, first 2 shown]
	buffer_load_dword v207, off, s[0:3], 0 offset:220
	buffer_load_dword v208, off, s[0:3], 0 offset:216
	;; [unrolled: 1-line block ×14, first 2 shown]
	v_cmp_ne_u32_e32 vcc, 0, v0
	s_waitcnt vmcnt(62) lgkmcnt(5)
	v_mul_f32_e32 v105, v81, v155
	v_mul_f32_e32 v106, v83, v156
	s_waitcnt lgkmcnt(4)
	v_mul_f32_e32 v107, v85, v157
	v_mul_f32_e32 v108, v87, v158
	s_waitcnt vmcnt(61) lgkmcnt(3)
	v_mul_f32_e32 v109, v89, v159
	s_waitcnt vmcnt(60)
	v_mul_f32_e32 v110, v91, v160
	s_waitcnt vmcnt(59) lgkmcnt(2)
	v_mul_f32_e32 v111, v93, v161
	s_waitcnt vmcnt(58)
	;; [unrolled: 4-line block ×3, first 2 shown]
	v_fmac_f32_e32 v105, v82, v164
	s_waitcnt vmcnt(55)
	v_fmac_f32_e32 v106, v84, v165
	v_add_f32_e32 v105, 0, v105
	s_waitcnt vmcnt(54)
	v_fmac_f32_e32 v107, v86, v166
	v_add_f32_e32 v105, v105, v106
	;; [unrolled: 3-line block ×8, first 2 shown]
	s_waitcnt vmcnt(47)
	v_mul_f32_e32 v106, v99, v173
	v_add_f32_e32 v105, v105, v113
	s_waitcnt vmcnt(46)
	v_fmac_f32_e32 v106, v100, v174
	v_add_f32_e32 v105, v105, v106
	s_waitcnt vmcnt(45) lgkmcnt(0)
	v_mul_f32_e32 v106, v101, v175
	s_waitcnt vmcnt(44)
	v_fmac_f32_e32 v106, v102, v176
	v_add_f32_e32 v109, v105, v106
	ds_read_b128 v[105:108], v80 offset:432
	buffer_load_dword v221, off, s[0:3], 0 offset:272
	buffer_load_dword v222, off, s[0:3], 0 offset:276
	s_waitcnt vmcnt(43)
	v_mul_f32_e32 v110, v103, v179
	s_waitcnt vmcnt(42)
	v_fmac_f32_e32 v110, v104, v180
	v_add_f32_e32 v113, v109, v110
	ds_read_b128 v[109:112], v80 offset:448
	buffer_load_dword v223, off, s[0:3], 0 offset:284
	buffer_load_dword v224, off, s[0:3], 0 offset:280
	;; [unrolled: 1-line block ×8, first 2 shown]
	v_mul_f32_e32 v82, v82, v155
	v_fma_f32 v81, v81, v164, -v82
	v_mul_f32_e32 v82, v84, v156
	v_add_f32_e32 v81, 0, v81
	v_fma_f32 v82, v83, v165, -v82
	v_add_f32_e32 v81, v81, v82
	v_mul_f32_e32 v82, v86, v157
	v_fma_f32 v82, v85, v166, -v82
	v_add_f32_e32 v81, v81, v82
	v_mul_f32_e32 v82, v88, v158
	v_fma_f32 v82, v87, v167, -v82
	s_waitcnt vmcnt(48) lgkmcnt(1)
	v_mul_f32_e32 v114, v105, v182
	v_add_f32_e32 v81, v81, v82
	v_mul_f32_e32 v82, v90, v159
	v_fmac_f32_e32 v114, v106, v181
	v_fma_f32 v82, v89, v168, -v82
	v_add_f32_e32 v113, v113, v114
	s_waitcnt vmcnt(46)
	v_mul_f32_e32 v114, v107, v184
	v_add_f32_e32 v81, v81, v82
	v_mul_f32_e32 v82, v92, v160
	v_fmac_f32_e32 v114, v108, v183
	v_fma_f32 v82, v91, v169, -v82
	v_add_f32_e32 v113, v113, v114
	s_waitcnt vmcnt(44) lgkmcnt(0)
	v_mul_f32_e32 v114, v109, v186
	v_add_f32_e32 v81, v81, v82
	v_mul_f32_e32 v82, v94, v161
	v_fmac_f32_e32 v114, v110, v185
	v_fma_f32 v82, v93, v170, -v82
	v_add_f32_e32 v117, v113, v114
	ds_read_b128 v[113:116], v80 offset:464
	v_add_f32_e32 v81, v81, v82
	v_mul_f32_e32 v82, v96, v162
	v_fma_f32 v82, v95, v171, -v82
	s_waitcnt vmcnt(42)
	v_mul_f32_e32 v118, v111, v188
	v_add_f32_e32 v81, v81, v82
	v_mul_f32_e32 v82, v98, v163
	v_fmac_f32_e32 v118, v112, v187
	v_fma_f32 v82, v97, v172, -v82
	v_add_f32_e32 v121, v117, v118
	ds_read_b128 v[117:120], v80 offset:480
	v_add_f32_e32 v81, v81, v82
	v_mul_f32_e32 v82, v100, v173
	s_waitcnt vmcnt(40) lgkmcnt(1)
	v_mul_f32_e32 v122, v113, v190
	v_fma_f32 v82, v99, v174, -v82
	v_fmac_f32_e32 v122, v114, v189
	v_add_f32_e32 v81, v81, v82
	v_mul_f32_e32 v82, v102, v175
	v_add_f32_e32 v121, v121, v122
	s_waitcnt vmcnt(38)
	v_mul_f32_e32 v122, v115, v192
	v_fma_f32 v82, v101, v176, -v82
	v_fmac_f32_e32 v122, v116, v191
	v_add_f32_e32 v81, v81, v82
	v_mul_f32_e32 v82, v104, v179
	v_add_f32_e32 v121, v121, v122
	s_waitcnt vmcnt(36) lgkmcnt(0)
	v_mul_f32_e32 v122, v117, v194
	v_fma_f32 v82, v103, v180, -v82
	v_fmac_f32_e32 v122, v118, v193
	v_add_f32_e32 v81, v81, v82
	v_mul_f32_e32 v82, v106, v182
	v_add_f32_e32 v125, v121, v122
	ds_read_b128 v[121:124], v80 offset:496
	v_fma_f32 v82, v105, v181, -v82
	v_add_f32_e32 v81, v81, v82
	v_mul_f32_e32 v82, v108, v184
	s_waitcnt vmcnt(34)
	v_mul_f32_e32 v126, v119, v196
	v_fma_f32 v82, v107, v183, -v82
	v_fmac_f32_e32 v126, v120, v195
	v_add_f32_e32 v81, v81, v82
	v_mul_f32_e32 v82, v110, v186
	v_add_f32_e32 v129, v125, v126
	ds_read_b128 v[125:128], v80 offset:512
	v_fma_f32 v82, v109, v185, -v82
	s_waitcnt vmcnt(32) lgkmcnt(1)
	v_mul_f32_e32 v130, v121, v198
	v_add_f32_e32 v81, v81, v82
	v_mul_f32_e32 v82, v112, v188
	v_fmac_f32_e32 v130, v122, v197
	v_fma_f32 v82, v111, v187, -v82
	v_add_f32_e32 v129, v129, v130
	s_waitcnt vmcnt(30)
	v_mul_f32_e32 v130, v123, v200
	v_add_f32_e32 v81, v81, v82
	v_mul_f32_e32 v82, v114, v190
	v_fmac_f32_e32 v130, v124, v199
	v_fma_f32 v82, v113, v189, -v82
	v_add_f32_e32 v129, v129, v130
	s_waitcnt vmcnt(28) lgkmcnt(0)
	v_mul_f32_e32 v130, v125, v202
	v_add_f32_e32 v81, v81, v82
	v_mul_f32_e32 v82, v116, v192
	v_fmac_f32_e32 v130, v126, v201
	v_fma_f32 v82, v115, v191, -v82
	v_add_f32_e32 v133, v129, v130
	ds_read_b128 v[129:132], v80 offset:528
	v_add_f32_e32 v81, v81, v82
	v_mul_f32_e32 v82, v118, v194
	v_fma_f32 v82, v117, v193, -v82
	s_waitcnt vmcnt(26)
	v_mul_f32_e32 v134, v127, v204
	v_add_f32_e32 v81, v81, v82
	v_mul_f32_e32 v82, v120, v196
	v_fmac_f32_e32 v134, v128, v203
	v_fma_f32 v82, v119, v195, -v82
	v_add_f32_e32 v137, v133, v134
	ds_read_b128 v[133:136], v80 offset:544
	v_add_f32_e32 v81, v81, v82
	v_mul_f32_e32 v82, v122, v198
	s_waitcnt vmcnt(24) lgkmcnt(1)
	v_mul_f32_e32 v138, v129, v206
	v_fma_f32 v82, v121, v197, -v82
	v_fmac_f32_e32 v138, v130, v205
	v_add_f32_e32 v81, v81, v82
	v_mul_f32_e32 v82, v124, v200
	v_add_f32_e32 v137, v137, v138
	s_waitcnt vmcnt(23)
	v_mul_f32_e32 v138, v131, v207
	v_fma_f32 v82, v123, v199, -v82
	s_waitcnt vmcnt(22)
	v_fmac_f32_e32 v138, v132, v208
	v_add_f32_e32 v81, v81, v82
	v_mul_f32_e32 v82, v126, v202
	v_add_f32_e32 v137, v137, v138
	s_waitcnt vmcnt(20) lgkmcnt(0)
	v_mul_f32_e32 v138, v133, v210
	v_fma_f32 v82, v125, v201, -v82
	v_fmac_f32_e32 v138, v134, v209
	v_add_f32_e32 v81, v81, v82
	v_mul_f32_e32 v82, v128, v204
	v_add_f32_e32 v141, v137, v138
	ds_read_b128 v[137:140], v80 offset:560
	v_fma_f32 v82, v127, v203, -v82
	v_add_f32_e32 v81, v81, v82
	v_mul_f32_e32 v82, v130, v206
	s_waitcnt vmcnt(18)
	v_mul_f32_e32 v142, v135, v212
	v_fma_f32 v82, v129, v205, -v82
	v_fmac_f32_e32 v142, v136, v211
	v_add_f32_e32 v81, v81, v82
	v_mul_f32_e32 v82, v132, v207
	v_add_f32_e32 v145, v141, v142
	ds_read_b128 v[141:144], v80 offset:576
	v_fma_f32 v82, v131, v208, -v82
	s_waitcnt vmcnt(16) lgkmcnt(1)
	v_mul_f32_e32 v146, v137, v214
	v_add_f32_e32 v81, v81, v82
	v_mul_f32_e32 v82, v134, v210
	v_fmac_f32_e32 v146, v138, v213
	v_fma_f32 v82, v133, v209, -v82
	v_add_f32_e32 v145, v145, v146
	s_waitcnt vmcnt(15)
	v_mul_f32_e32 v146, v139, v215
	v_add_f32_e32 v81, v81, v82
	v_mul_f32_e32 v82, v136, v212
	s_waitcnt vmcnt(14)
	v_fmac_f32_e32 v146, v140, v216
	v_fma_f32 v82, v135, v211, -v82
	v_add_f32_e32 v145, v145, v146
	s_waitcnt vmcnt(12) lgkmcnt(0)
	v_mul_f32_e32 v146, v141, v218
	v_add_f32_e32 v81, v81, v82
	v_mul_f32_e32 v82, v138, v214
	v_fmac_f32_e32 v146, v142, v217
	v_fma_f32 v82, v137, v213, -v82
	v_add_f32_e32 v149, v145, v146
	ds_read_b128 v[145:148], v80 offset:592
	v_add_f32_e32 v81, v81, v82
	v_mul_f32_e32 v82, v140, v215
	v_fma_f32 v82, v139, v216, -v82
	v_add_f32_e32 v81, v81, v82
	v_mul_f32_e32 v82, v142, v218
	s_waitcnt vmcnt(10)
	v_mul_f32_e32 v150, v143, v220
	v_fma_f32 v82, v141, v217, -v82
	v_fmac_f32_e32 v150, v144, v219
	v_add_f32_e32 v81, v81, v82
	v_mul_f32_e32 v82, v144, v220
	v_add_f32_e32 v153, v149, v150
	ds_read_b128 v[149:152], v80 offset:608
	s_waitcnt vmcnt(8) lgkmcnt(1)
	v_mul_f32_e32 v154, v145, v222
	v_fma_f32 v82, v143, v219, -v82
	v_fmac_f32_e32 v154, v146, v221
	v_add_f32_e32 v81, v81, v82
	v_mul_f32_e32 v82, v146, v222
	v_add_f32_e32 v153, v153, v154
	s_waitcnt vmcnt(7)
	v_mul_f32_e32 v154, v147, v223
	v_fma_f32 v82, v145, v221, -v82
	s_waitcnt vmcnt(6)
	v_fmac_f32_e32 v154, v148, v224
	v_add_f32_e32 v81, v81, v82
	v_mul_f32_e32 v82, v148, v223
	v_add_f32_e32 v231, v153, v154
	ds_read_b64 v[153:154], v80 offset:624
	v_fma_f32 v82, v147, v224, -v82
	v_add_f32_e32 v81, v81, v82
	s_waitcnt vmcnt(4) lgkmcnt(1)
	v_mul_f32_e32 v82, v150, v226
	v_mul_f32_e32 v232, v149, v226
	v_fma_f32 v82, v149, v225, -v82
	v_fmac_f32_e32 v232, v150, v225
	v_add_f32_e32 v81, v81, v82
	s_waitcnt vmcnt(3)
	v_mul_f32_e32 v82, v152, v227
	v_add_f32_e32 v231, v231, v232
	v_mul_f32_e32 v232, v151, v227
	s_waitcnt vmcnt(2)
	v_fma_f32 v82, v151, v228, -v82
	v_fmac_f32_e32 v232, v152, v228
	v_add_f32_e32 v81, v81, v82
	s_waitcnt vmcnt(0) lgkmcnt(0)
	v_mul_f32_e32 v82, v154, v230
	v_add_f32_e32 v231, v231, v232
	v_mul_f32_e32 v232, v153, v230
	v_fma_f32 v82, v153, v229, -v82
	v_fmac_f32_e32 v232, v154, v229
	v_add_f32_e32 v81, v81, v82
	v_add_f32_e32 v231, v231, v232
	v_sub_f32_e32 v81, v177, v81
	v_sub_f32_e32 v82, v178, v231
	buffer_store_dword v81, off, s[0:3], 0 offset:8
	buffer_store_dword v82, off, s[0:3], 0 offset:12
	s_and_saveexec_b64 s[4:5], vcc
	s_cbranch_execz .LBB38_247
; %bb.246:
	buffer_load_dword v81, off, s[0:3], 0
	buffer_load_dword v82, off, s[0:3], 0 offset:4
	s_waitcnt vmcnt(0)
	ds_write_b64 v79, v[81:82]
	buffer_store_dword v80, off, s[0:3], 0
	buffer_store_dword v80, off, s[0:3], 0 offset:4
.LBB38_247:
	s_or_b64 exec, exec, s[4:5]
	s_waitcnt lgkmcnt(0)
	; wave barrier
	buffer_load_dword v0, off, s[0:3], 0 offset:12
	buffer_load_dword v79, off, s[0:3], 0 offset:20
	;; [unrolled: 1-line block ×24, first 2 shown]
	buffer_load_dword v179, off, s[0:3], 0
	buffer_load_dword v180, off, s[0:3], 0 offset:4
	ds_read2_b64 v[81:84], v80 offset0:41 offset1:42
	ds_read2_b64 v[85:88], v80 offset0:43 offset1:44
	;; [unrolled: 1-line block ×4, first 2 shown]
	buffer_load_dword v181, off, s[0:3], 0 offset:108
	ds_read2_b64 v[97:100], v80 offset0:49 offset1:50
	ds_read2_b64 v[101:104], v80 offset0:51 offset1:52
	buffer_load_dword v182, off, s[0:3], 0 offset:104
	buffer_load_dword v183, off, s[0:3], 0 offset:112
	;; [unrolled: 1-line block ×37, first 2 shown]
	s_and_b64 vcc, exec, s[22:23]
	s_waitcnt vmcnt(62) lgkmcnt(5)
	v_mul_f32_e32 v105, v81, v0
	v_mul_f32_e32 v106, v83, v79
	s_waitcnt vmcnt(61) lgkmcnt(4)
	v_mul_f32_e32 v107, v85, v157
	s_waitcnt vmcnt(60)
	v_mul_f32_e32 v108, v87, v158
	s_waitcnt vmcnt(59) lgkmcnt(3)
	v_mul_f32_e32 v109, v89, v159
	s_waitcnt vmcnt(58)
	;; [unrolled: 4-line block ×4, first 2 shown]
	v_mul_f32_e32 v114, v99, v164
	s_waitcnt vmcnt(53)
	v_fmac_f32_e32 v105, v82, v165
	s_waitcnt vmcnt(52)
	v_fmac_f32_e32 v106, v84, v166
	v_add_f32_e32 v105, 0, v105
	s_waitcnt vmcnt(51)
	v_fmac_f32_e32 v107, v86, v167
	v_add_f32_e32 v105, v105, v106
	;; [unrolled: 3-line block ×9, first 2 shown]
	s_waitcnt vmcnt(43) lgkmcnt(0)
	v_mul_f32_e32 v106, v101, v175
	v_add_f32_e32 v105, v105, v114
	s_waitcnt vmcnt(42)
	v_fmac_f32_e32 v106, v102, v176
	v_add_f32_e32 v109, v105, v106
	s_waitcnt vmcnt(41)
	v_mul_f32_e32 v110, v103, v177
	ds_read2_b64 v[105:108], v80 offset0:53 offset1:54
	buffer_load_dword v219, off, s[0:3], 0 offset:256
	buffer_load_dword v220, off, s[0:3], 0 offset:260
	s_waitcnt vmcnt(42)
	v_fmac_f32_e32 v110, v104, v178
	v_add_f32_e32 v113, v109, v110
	ds_read2_b64 v[109:112], v80 offset0:55 offset1:56
	buffer_load_dword v221, off, s[0:3], 0 offset:264
	buffer_load_dword v222, off, s[0:3], 0 offset:268
	;; [unrolled: 1-line block ×12, first 2 shown]
	v_mul_f32_e32 v0, v82, v0
	v_fma_f32 v0, v81, v165, -v0
	v_mul_f32_e32 v79, v84, v79
	v_add_f32_e32 v0, 0, v0
	v_fma_f32 v79, v83, v166, -v79
	v_add_f32_e32 v0, v0, v79
	v_mul_f32_e32 v79, v86, v157
	v_fma_f32 v79, v85, v167, -v79
	v_add_f32_e32 v0, v0, v79
	v_mul_f32_e32 v79, v88, v158
	v_fma_f32 v79, v87, v168, -v79
	s_waitcnt vmcnt(51) lgkmcnt(1)
	v_mul_f32_e32 v114, v105, v181
	v_add_f32_e32 v0, v0, v79
	v_mul_f32_e32 v79, v90, v159
	s_waitcnt vmcnt(50)
	v_fmac_f32_e32 v114, v106, v182
	v_fma_f32 v79, v89, v169, -v79
	v_add_f32_e32 v113, v113, v114
	s_waitcnt vmcnt(48)
	v_mul_f32_e32 v114, v107, v184
	v_add_f32_e32 v0, v0, v79
	v_mul_f32_e32 v79, v92, v160
	v_fmac_f32_e32 v114, v108, v183
	v_fma_f32 v79, v91, v170, -v79
	v_add_f32_e32 v113, v113, v114
	s_waitcnt vmcnt(46) lgkmcnt(0)
	v_mul_f32_e32 v114, v109, v186
	v_add_f32_e32 v0, v0, v79
	v_mul_f32_e32 v79, v94, v161
	v_fmac_f32_e32 v114, v110, v185
	v_fma_f32 v79, v93, v171, -v79
	v_add_f32_e32 v117, v113, v114
	ds_read2_b64 v[113:116], v80 offset0:57 offset1:58
	v_add_f32_e32 v0, v0, v79
	v_mul_f32_e32 v79, v96, v162
	v_fma_f32 v79, v95, v172, -v79
	s_waitcnt vmcnt(44)
	v_mul_f32_e32 v118, v111, v188
	v_add_f32_e32 v0, v0, v79
	v_mul_f32_e32 v79, v98, v163
	v_fmac_f32_e32 v118, v112, v187
	v_fma_f32 v79, v97, v173, -v79
	v_add_f32_e32 v121, v117, v118
	ds_read2_b64 v[117:120], v80 offset0:59 offset1:60
	v_add_f32_e32 v0, v0, v79
	v_mul_f32_e32 v79, v100, v164
	s_waitcnt vmcnt(42) lgkmcnt(1)
	v_mul_f32_e32 v122, v113, v190
	v_fma_f32 v79, v99, v174, -v79
	v_fmac_f32_e32 v122, v114, v189
	v_add_f32_e32 v0, v0, v79
	v_mul_f32_e32 v79, v102, v175
	v_add_f32_e32 v121, v121, v122
	s_waitcnt vmcnt(40)
	v_mul_f32_e32 v122, v115, v192
	v_fma_f32 v79, v101, v176, -v79
	v_fmac_f32_e32 v122, v116, v191
	v_add_f32_e32 v0, v0, v79
	v_mul_f32_e32 v79, v104, v177
	v_add_f32_e32 v121, v121, v122
	s_waitcnt vmcnt(38) lgkmcnt(0)
	v_mul_f32_e32 v122, v117, v194
	v_fma_f32 v79, v103, v178, -v79
	v_fmac_f32_e32 v122, v118, v193
	v_add_f32_e32 v0, v0, v79
	v_mul_f32_e32 v79, v106, v181
	v_add_f32_e32 v125, v121, v122
	ds_read2_b64 v[121:124], v80 offset0:61 offset1:62
	v_fma_f32 v79, v105, v182, -v79
	v_add_f32_e32 v0, v0, v79
	v_mul_f32_e32 v79, v108, v184
	s_waitcnt vmcnt(36)
	v_mul_f32_e32 v126, v119, v196
	v_fma_f32 v79, v107, v183, -v79
	v_fmac_f32_e32 v126, v120, v195
	v_add_f32_e32 v0, v0, v79
	v_mul_f32_e32 v79, v110, v186
	v_add_f32_e32 v129, v125, v126
	ds_read2_b64 v[125:128], v80 offset0:63 offset1:64
	v_fma_f32 v79, v109, v185, -v79
	s_waitcnt vmcnt(34) lgkmcnt(1)
	v_mul_f32_e32 v130, v121, v198
	v_add_f32_e32 v0, v0, v79
	v_mul_f32_e32 v79, v112, v188
	v_fmac_f32_e32 v130, v122, v197
	v_fma_f32 v79, v111, v187, -v79
	v_add_f32_e32 v129, v129, v130
	s_waitcnt vmcnt(32)
	v_mul_f32_e32 v130, v123, v200
	v_add_f32_e32 v0, v0, v79
	v_mul_f32_e32 v79, v114, v190
	v_fmac_f32_e32 v130, v124, v199
	v_fma_f32 v79, v113, v189, -v79
	v_add_f32_e32 v129, v129, v130
	s_waitcnt vmcnt(30) lgkmcnt(0)
	v_mul_f32_e32 v130, v125, v202
	v_add_f32_e32 v0, v0, v79
	v_mul_f32_e32 v79, v116, v192
	v_fmac_f32_e32 v130, v126, v201
	v_fma_f32 v79, v115, v191, -v79
	v_add_f32_e32 v133, v129, v130
	ds_read2_b64 v[129:132], v80 offset0:65 offset1:66
	v_add_f32_e32 v0, v0, v79
	v_mul_f32_e32 v79, v118, v194
	v_fma_f32 v79, v117, v193, -v79
	s_waitcnt vmcnt(28)
	v_mul_f32_e32 v134, v127, v204
	v_add_f32_e32 v0, v0, v79
	v_mul_f32_e32 v79, v120, v196
	v_fmac_f32_e32 v134, v128, v203
	v_fma_f32 v79, v119, v195, -v79
	v_add_f32_e32 v137, v133, v134
	ds_read2_b64 v[133:136], v80 offset0:67 offset1:68
	v_add_f32_e32 v0, v0, v79
	v_mul_f32_e32 v79, v122, v198
	s_waitcnt vmcnt(26) lgkmcnt(1)
	v_mul_f32_e32 v138, v129, v206
	v_fma_f32 v79, v121, v197, -v79
	v_fmac_f32_e32 v138, v130, v205
	v_add_f32_e32 v0, v0, v79
	v_mul_f32_e32 v79, v124, v200
	v_add_f32_e32 v137, v137, v138
	s_waitcnt vmcnt(25)
	v_mul_f32_e32 v138, v131, v207
	v_fma_f32 v79, v123, v199, -v79
	s_waitcnt vmcnt(24)
	v_fmac_f32_e32 v138, v132, v208
	v_add_f32_e32 v0, v0, v79
	v_mul_f32_e32 v79, v126, v202
	v_add_f32_e32 v137, v137, v138
	s_waitcnt vmcnt(22) lgkmcnt(0)
	v_mul_f32_e32 v138, v133, v210
	v_fma_f32 v79, v125, v201, -v79
	v_fmac_f32_e32 v138, v134, v209
	v_add_f32_e32 v0, v0, v79
	v_mul_f32_e32 v79, v128, v204
	v_add_f32_e32 v141, v137, v138
	ds_read2_b64 v[137:140], v80 offset0:69 offset1:70
	v_fma_f32 v79, v127, v203, -v79
	v_add_f32_e32 v0, v0, v79
	v_mul_f32_e32 v79, v130, v206
	s_waitcnt vmcnt(20)
	v_mul_f32_e32 v142, v135, v212
	v_fma_f32 v79, v129, v205, -v79
	v_fmac_f32_e32 v142, v136, v211
	v_add_f32_e32 v0, v0, v79
	v_mul_f32_e32 v79, v132, v207
	v_add_f32_e32 v145, v141, v142
	ds_read2_b64 v[141:144], v80 offset0:71 offset1:72
	v_fma_f32 v79, v131, v208, -v79
	s_waitcnt vmcnt(18) lgkmcnt(1)
	v_mul_f32_e32 v146, v137, v214
	v_add_f32_e32 v0, v0, v79
	v_mul_f32_e32 v79, v134, v210
	v_fmac_f32_e32 v146, v138, v213
	v_fma_f32 v79, v133, v209, -v79
	v_add_f32_e32 v145, v145, v146
	s_waitcnt vmcnt(17)
	v_mul_f32_e32 v146, v139, v215
	v_add_f32_e32 v0, v0, v79
	v_mul_f32_e32 v79, v136, v212
	s_waitcnt vmcnt(16)
	v_fmac_f32_e32 v146, v140, v216
	v_fma_f32 v79, v135, v211, -v79
	v_add_f32_e32 v145, v145, v146
	s_waitcnt vmcnt(14) lgkmcnt(0)
	v_mul_f32_e32 v146, v141, v218
	v_add_f32_e32 v0, v0, v79
	v_mul_f32_e32 v79, v138, v214
	v_fmac_f32_e32 v146, v142, v217
	v_fma_f32 v79, v137, v213, -v79
	v_add_f32_e32 v149, v145, v146
	ds_read2_b64 v[145:148], v80 offset0:73 offset1:74
	v_add_f32_e32 v0, v0, v79
	v_mul_f32_e32 v79, v140, v215
	v_fma_f32 v79, v139, v216, -v79
	v_add_f32_e32 v0, v0, v79
	v_mul_f32_e32 v79, v142, v218
	s_waitcnt vmcnt(12)
	v_mul_f32_e32 v150, v143, v220
	v_fma_f32 v79, v141, v217, -v79
	v_fmac_f32_e32 v150, v144, v219
	v_add_f32_e32 v0, v0, v79
	v_mul_f32_e32 v79, v144, v220
	v_add_f32_e32 v153, v149, v150
	ds_read2_b64 v[149:152], v80 offset0:75 offset1:76
	s_waitcnt vmcnt(10) lgkmcnt(1)
	v_mul_f32_e32 v154, v145, v222
	v_fma_f32 v79, v143, v219, -v79
	v_fmac_f32_e32 v154, v146, v221
	v_add_f32_e32 v0, v0, v79
	v_mul_f32_e32 v79, v146, v222
	v_add_f32_e32 v153, v153, v154
	s_waitcnt vmcnt(9)
	v_mul_f32_e32 v154, v147, v223
	v_fma_f32 v79, v145, v221, -v79
	s_waitcnt vmcnt(8)
	v_fmac_f32_e32 v154, v148, v224
	v_add_f32_e32 v0, v0, v79
	v_mul_f32_e32 v79, v148, v223
	v_add_f32_e32 v233, v153, v154
	ds_read2_b64 v[153:156], v80 offset0:77 offset1:78
	v_fma_f32 v79, v147, v224, -v79
	v_add_f32_e32 v0, v0, v79
	s_waitcnt vmcnt(6) lgkmcnt(1)
	v_mul_f32_e32 v79, v150, v226
	v_mul_f32_e32 v234, v149, v226
	v_fma_f32 v79, v149, v225, -v79
	v_fmac_f32_e32 v234, v150, v225
	v_add_f32_e32 v0, v0, v79
	s_waitcnt vmcnt(4)
	v_mul_f32_e32 v79, v152, v228
	v_add_f32_e32 v80, v233, v234
	v_mul_f32_e32 v233, v151, v228
	v_fma_f32 v79, v151, v227, -v79
	v_fmac_f32_e32 v233, v152, v227
	v_add_f32_e32 v0, v0, v79
	s_waitcnt vmcnt(3) lgkmcnt(0)
	v_mul_f32_e32 v79, v154, v229
	v_add_f32_e32 v80, v80, v233
	v_mul_f32_e32 v233, v153, v229
	s_waitcnt vmcnt(2)
	v_fma_f32 v79, v153, v230, -v79
	v_fmac_f32_e32 v233, v154, v230
	v_add_f32_e32 v0, v0, v79
	s_waitcnt vmcnt(0)
	v_mul_f32_e32 v79, v156, v232
	v_add_f32_e32 v80, v80, v233
	v_mul_f32_e32 v233, v155, v232
	v_fma_f32 v79, v155, v231, -v79
	v_fmac_f32_e32 v233, v156, v231
	v_add_f32_e32 v0, v0, v79
	v_add_f32_e32 v80, v80, v233
	v_sub_f32_e32 v0, v179, v0
	v_sub_f32_e32 v79, v180, v80
	buffer_store_dword v0, off, s[0:3], 0
	buffer_store_dword v79, off, s[0:3], 0 offset:4
	s_cbranch_vccz .LBB38_324
; %bb.248:
	v_mov_b32_e32 v0, 0
	global_load_dword v79, v0, s[20:21] offset:148
	s_waitcnt vmcnt(0)
	v_add_u32_e32 v79, -1, v79
	v_cmp_ne_u32_e32 vcc, 37, v79
	s_cbranch_vccz .LBB38_250
; %bb.249:
	v_lshlrev_b32_e32 v79, 3, v79
	buffer_load_dword v80, v79, s[0:3], 0 offen
	buffer_load_dword v81, v79, s[0:3], 0 offen offset:4
	buffer_load_dword v82, off, s[0:3], 0 offset:296
	buffer_load_dword v83, off, s[0:3], 0 offset:300
	s_waitcnt vmcnt(3)
	buffer_store_dword v80, off, s[0:3], 0 offset:296
	s_waitcnt vmcnt(3)
	buffer_store_dword v81, off, s[0:3], 0 offset:300
	s_waitcnt vmcnt(3)
	buffer_store_dword v82, v79, s[0:3], 0 offen
	s_waitcnt vmcnt(3)
	buffer_store_dword v83, v79, s[0:3], 0 offen offset:4
.LBB38_250:
	global_load_dword v0, v0, s[20:21] offset:144
	s_waitcnt vmcnt(0)
	v_add_u32_e32 v0, -1, v0
	v_cmp_eq_u32_e32 vcc, 36, v0
	s_cbranch_vccnz .LBB38_252
; %bb.251:
	v_lshlrev_b32_e32 v0, 3, v0
	buffer_load_dword v79, v0, s[0:3], 0 offen
	buffer_load_dword v80, v0, s[0:3], 0 offen offset:4
	buffer_load_dword v81, off, s[0:3], 0 offset:292
	buffer_load_dword v82, off, s[0:3], 0 offset:288
	s_waitcnt vmcnt(3)
	buffer_store_dword v79, off, s[0:3], 0 offset:288
	s_waitcnt vmcnt(3)
	buffer_store_dword v80, off, s[0:3], 0 offset:292
	s_waitcnt vmcnt(3)
	buffer_store_dword v81, v0, s[0:3], 0 offen offset:4
	s_waitcnt vmcnt(3)
	buffer_store_dword v82, v0, s[0:3], 0 offen
.LBB38_252:
	v_mov_b32_e32 v0, 0
	global_load_dword v79, v0, s[20:21] offset:140
	s_waitcnt vmcnt(0)
	v_add_u32_e32 v79, -1, v79
	v_cmp_eq_u32_e32 vcc, 35, v79
	s_cbranch_vccnz .LBB38_254
; %bb.253:
	v_lshlrev_b32_e32 v79, 3, v79
	buffer_load_dword v80, v79, s[0:3], 0 offen
	buffer_load_dword v81, v79, s[0:3], 0 offen offset:4
	buffer_load_dword v82, off, s[0:3], 0 offset:280
	buffer_load_dword v83, off, s[0:3], 0 offset:284
	s_waitcnt vmcnt(3)
	buffer_store_dword v80, off, s[0:3], 0 offset:280
	s_waitcnt vmcnt(3)
	buffer_store_dword v81, off, s[0:3], 0 offset:284
	s_waitcnt vmcnt(3)
	buffer_store_dword v82, v79, s[0:3], 0 offen
	s_waitcnt vmcnt(3)
	buffer_store_dword v83, v79, s[0:3], 0 offen offset:4
.LBB38_254:
	global_load_dword v0, v0, s[20:21] offset:136
	s_waitcnt vmcnt(0)
	v_add_u32_e32 v0, -1, v0
	v_cmp_eq_u32_e32 vcc, 34, v0
	s_cbranch_vccnz .LBB38_256
; %bb.255:
	v_lshlrev_b32_e32 v0, 3, v0
	buffer_load_dword v79, v0, s[0:3], 0 offen
	buffer_load_dword v80, v0, s[0:3], 0 offen offset:4
	buffer_load_dword v81, off, s[0:3], 0 offset:276
	buffer_load_dword v82, off, s[0:3], 0 offset:272
	s_waitcnt vmcnt(3)
	buffer_store_dword v79, off, s[0:3], 0 offset:272
	s_waitcnt vmcnt(3)
	buffer_store_dword v80, off, s[0:3], 0 offset:276
	s_waitcnt vmcnt(3)
	buffer_store_dword v81, v0, s[0:3], 0 offen offset:4
	s_waitcnt vmcnt(3)
	buffer_store_dword v82, v0, s[0:3], 0 offen
.LBB38_256:
	v_mov_b32_e32 v0, 0
	global_load_dword v79, v0, s[20:21] offset:132
	s_waitcnt vmcnt(0)
	v_add_u32_e32 v79, -1, v79
	v_cmp_eq_u32_e32 vcc, 33, v79
	s_cbranch_vccnz .LBB38_258
; %bb.257:
	v_lshlrev_b32_e32 v79, 3, v79
	buffer_load_dword v80, v79, s[0:3], 0 offen
	buffer_load_dword v81, v79, s[0:3], 0 offen offset:4
	buffer_load_dword v82, off, s[0:3], 0 offset:264
	buffer_load_dword v83, off, s[0:3], 0 offset:268
	s_waitcnt vmcnt(3)
	buffer_store_dword v80, off, s[0:3], 0 offset:264
	s_waitcnt vmcnt(3)
	buffer_store_dword v81, off, s[0:3], 0 offset:268
	s_waitcnt vmcnt(3)
	buffer_store_dword v82, v79, s[0:3], 0 offen
	s_waitcnt vmcnt(3)
	buffer_store_dword v83, v79, s[0:3], 0 offen offset:4
.LBB38_258:
	;; [unrolled: 41-line block ×18, first 2 shown]
	global_load_dword v0, v0, s[20:21]
	s_waitcnt vmcnt(0)
	v_add_u32_e32 v0, -1, v0
	v_cmp_eq_u32_e32 vcc, 0, v0
	s_cbranch_vccnz .LBB38_324
; %bb.323:
	v_lshlrev_b32_e32 v0, 3, v0
	buffer_load_dword v79, v0, s[0:3], 0 offen
	buffer_load_dword v80, v0, s[0:3], 0 offen offset:4
	buffer_load_dword v81, off, s[0:3], 0 offset:4
	buffer_load_dword v82, off, s[0:3], 0
	s_waitcnt vmcnt(3)
	buffer_store_dword v79, off, s[0:3], 0
	s_waitcnt vmcnt(3)
	buffer_store_dword v80, off, s[0:3], 0 offset:4
	s_waitcnt vmcnt(3)
	buffer_store_dword v81, v0, s[0:3], 0 offen offset:4
	s_waitcnt vmcnt(3)
	buffer_store_dword v82, v0, s[0:3], 0 offen
.LBB38_324:
	buffer_load_dword v79, off, s[0:3], 0
	buffer_load_dword v80, off, s[0:3], 0 offset:4
	buffer_load_dword v81, off, s[0:3], 0 offset:8
	s_nop 0
	buffer_load_dword v82, off, s[0:3], 0 offset:12
	buffer_load_dword v83, off, s[0:3], 0 offset:16
	;; [unrolled: 1-line block ×75, first 2 shown]
	s_waitcnt vmcnt(62)
	global_store_dwordx2 v[1:2], v[79:80], off
	global_store_dwordx2 v[3:4], v[81:82], off
	;; [unrolled: 1-line block ×8, first 2 shown]
	s_waitcnt vmcnt(62)
	global_store_dwordx2 v[17:18], v[95:96], off
	global_store_dwordx2 v[19:20], v[97:98], off
	;; [unrolled: 1-line block ×4, first 2 shown]
	s_waitcnt vmcnt(62)
	global_store_dwordx2 v[25:26], v[103:104], off
	global_store_dwordx2 v[27:28], v[105:106], off
	s_waitcnt vmcnt(62)
	global_store_dwordx2 v[29:30], v[107:108], off
	s_waitcnt vmcnt(61)
	;; [unrolled: 2-line block ×25, first 2 shown]
	global_store_dwordx2 v[77:78], v[155:156], off
	s_endpgm
	.section	.rodata,"a",@progbits
	.p2align	6, 0x0
	.amdhsa_kernel _ZN9rocsolver6v33100L18getri_kernel_smallILi39E19rocblas_complex_numIfEPS3_EEvT1_iilPiilS6_bb
		.amdhsa_group_segment_fixed_size 632
		.amdhsa_private_segment_fixed_size 320
		.amdhsa_kernarg_size 60
		.amdhsa_user_sgpr_count 6
		.amdhsa_user_sgpr_private_segment_buffer 1
		.amdhsa_user_sgpr_dispatch_ptr 0
		.amdhsa_user_sgpr_queue_ptr 0
		.amdhsa_user_sgpr_kernarg_segment_ptr 1
		.amdhsa_user_sgpr_dispatch_id 0
		.amdhsa_user_sgpr_flat_scratch_init 0
		.amdhsa_user_sgpr_private_segment_size 0
		.amdhsa_uses_dynamic_stack 0
		.amdhsa_system_sgpr_private_segment_wavefront_offset 1
		.amdhsa_system_sgpr_workgroup_id_x 1
		.amdhsa_system_sgpr_workgroup_id_y 0
		.amdhsa_system_sgpr_workgroup_id_z 0
		.amdhsa_system_sgpr_workgroup_info 0
		.amdhsa_system_vgpr_workitem_id 0
		.amdhsa_next_free_vgpr 235
		.amdhsa_next_free_sgpr 24
		.amdhsa_reserve_vcc 1
		.amdhsa_reserve_flat_scratch 0
		.amdhsa_float_round_mode_32 0
		.amdhsa_float_round_mode_16_64 0
		.amdhsa_float_denorm_mode_32 3
		.amdhsa_float_denorm_mode_16_64 3
		.amdhsa_dx10_clamp 1
		.amdhsa_ieee_mode 1
		.amdhsa_fp16_overflow 0
		.amdhsa_exception_fp_ieee_invalid_op 0
		.amdhsa_exception_fp_denorm_src 0
		.amdhsa_exception_fp_ieee_div_zero 0
		.amdhsa_exception_fp_ieee_overflow 0
		.amdhsa_exception_fp_ieee_underflow 0
		.amdhsa_exception_fp_ieee_inexact 0
		.amdhsa_exception_int_div_zero 0
	.end_amdhsa_kernel
	.section	.text._ZN9rocsolver6v33100L18getri_kernel_smallILi39E19rocblas_complex_numIfEPS3_EEvT1_iilPiilS6_bb,"axG",@progbits,_ZN9rocsolver6v33100L18getri_kernel_smallILi39E19rocblas_complex_numIfEPS3_EEvT1_iilPiilS6_bb,comdat
.Lfunc_end38:
	.size	_ZN9rocsolver6v33100L18getri_kernel_smallILi39E19rocblas_complex_numIfEPS3_EEvT1_iilPiilS6_bb, .Lfunc_end38-_ZN9rocsolver6v33100L18getri_kernel_smallILi39E19rocblas_complex_numIfEPS3_EEvT1_iilPiilS6_bb
                                        ; -- End function
	.set _ZN9rocsolver6v33100L18getri_kernel_smallILi39E19rocblas_complex_numIfEPS3_EEvT1_iilPiilS6_bb.num_vgpr, 235
	.set _ZN9rocsolver6v33100L18getri_kernel_smallILi39E19rocblas_complex_numIfEPS3_EEvT1_iilPiilS6_bb.num_agpr, 0
	.set _ZN9rocsolver6v33100L18getri_kernel_smallILi39E19rocblas_complex_numIfEPS3_EEvT1_iilPiilS6_bb.numbered_sgpr, 24
	.set _ZN9rocsolver6v33100L18getri_kernel_smallILi39E19rocblas_complex_numIfEPS3_EEvT1_iilPiilS6_bb.num_named_barrier, 0
	.set _ZN9rocsolver6v33100L18getri_kernel_smallILi39E19rocblas_complex_numIfEPS3_EEvT1_iilPiilS6_bb.private_seg_size, 320
	.set _ZN9rocsolver6v33100L18getri_kernel_smallILi39E19rocblas_complex_numIfEPS3_EEvT1_iilPiilS6_bb.uses_vcc, 1
	.set _ZN9rocsolver6v33100L18getri_kernel_smallILi39E19rocblas_complex_numIfEPS3_EEvT1_iilPiilS6_bb.uses_flat_scratch, 0
	.set _ZN9rocsolver6v33100L18getri_kernel_smallILi39E19rocblas_complex_numIfEPS3_EEvT1_iilPiilS6_bb.has_dyn_sized_stack, 0
	.set _ZN9rocsolver6v33100L18getri_kernel_smallILi39E19rocblas_complex_numIfEPS3_EEvT1_iilPiilS6_bb.has_recursion, 0
	.set _ZN9rocsolver6v33100L18getri_kernel_smallILi39E19rocblas_complex_numIfEPS3_EEvT1_iilPiilS6_bb.has_indirect_call, 0
	.section	.AMDGPU.csdata,"",@progbits
; Kernel info:
; codeLenInByte = 61328
; TotalNumSgprs: 28
; NumVgprs: 235
; ScratchSize: 320
; MemoryBound: 0
; FloatMode: 240
; IeeeMode: 1
; LDSByteSize: 632 bytes/workgroup (compile time only)
; SGPRBlocks: 3
; VGPRBlocks: 58
; NumSGPRsForWavesPerEU: 28
; NumVGPRsForWavesPerEU: 235
; Occupancy: 1
; WaveLimiterHint : 1
; COMPUTE_PGM_RSRC2:SCRATCH_EN: 1
; COMPUTE_PGM_RSRC2:USER_SGPR: 6
; COMPUTE_PGM_RSRC2:TRAP_HANDLER: 0
; COMPUTE_PGM_RSRC2:TGID_X_EN: 1
; COMPUTE_PGM_RSRC2:TGID_Y_EN: 0
; COMPUTE_PGM_RSRC2:TGID_Z_EN: 0
; COMPUTE_PGM_RSRC2:TIDIG_COMP_CNT: 0
	.section	.text._ZN9rocsolver6v33100L18getri_kernel_smallILi40E19rocblas_complex_numIfEPS3_EEvT1_iilPiilS6_bb,"axG",@progbits,_ZN9rocsolver6v33100L18getri_kernel_smallILi40E19rocblas_complex_numIfEPS3_EEvT1_iilPiilS6_bb,comdat
	.globl	_ZN9rocsolver6v33100L18getri_kernel_smallILi40E19rocblas_complex_numIfEPS3_EEvT1_iilPiilS6_bb ; -- Begin function _ZN9rocsolver6v33100L18getri_kernel_smallILi40E19rocblas_complex_numIfEPS3_EEvT1_iilPiilS6_bb
	.p2align	8
	.type	_ZN9rocsolver6v33100L18getri_kernel_smallILi40E19rocblas_complex_numIfEPS3_EEvT1_iilPiilS6_bb,@function
_ZN9rocsolver6v33100L18getri_kernel_smallILi40E19rocblas_complex_numIfEPS3_EEvT1_iilPiilS6_bb: ; @_ZN9rocsolver6v33100L18getri_kernel_smallILi40E19rocblas_complex_numIfEPS3_EEvT1_iilPiilS6_bb
; %bb.0:
	s_add_u32 s0, s0, s7
	s_addc_u32 s1, s1, 0
	v_cmp_gt_u32_e32 vcc, 40, v0
	s_and_saveexec_b64 s[8:9], vcc
	s_cbranch_execz .LBB39_174
; %bb.1:
	s_load_dword s12, s[4:5], 0x38
	s_load_dwordx4 s[16:19], s[4:5], 0x10
	s_load_dwordx4 s[8:11], s[4:5], 0x28
                                        ; implicit-def: $sgpr20_sgpr21
	s_waitcnt lgkmcnt(0)
	s_bitcmp1_b32 s12, 8
	s_cselect_b64 s[22:23], -1, 0
	s_ashr_i32 s7, s6, 31
	s_bfe_u32 s12, s12, 0x10008
	s_cmp_eq_u32 s12, 0
	s_cbranch_scc1 .LBB39_3
; %bb.2:
	s_load_dword s12, s[4:5], 0x20
	s_mul_i32 s13, s8, s7
	s_mul_hi_u32 s14, s8, s6
	s_mul_i32 s9, s9, s6
	s_add_i32 s14, s14, s13
	s_add_i32 s9, s14, s9
	s_mul_i32 s8, s8, s6
	s_waitcnt lgkmcnt(0)
	s_ashr_i32 s13, s12, 31
	s_lshl_b64 s[8:9], s[8:9], 2
	s_add_u32 s14, s18, s8
	s_addc_u32 s15, s19, s9
	s_lshl_b64 s[8:9], s[12:13], 2
	s_add_u32 s20, s14, s8
	s_addc_u32 s21, s15, s9
.LBB39_3:
	s_load_dwordx4 s[12:15], s[4:5], 0x0
	s_load_dword s8, s[4:5], 0x38
	s_mul_i32 s9, s16, s7
	s_mul_hi_u32 s18, s16, s6
	s_add_i32 s9, s18, s9
	s_waitcnt lgkmcnt(0)
	s_ashr_i32 s5, s14, 31
	s_mov_b32 s4, s14
	s_mul_i32 s14, s17, s6
	s_add_i32 s17, s9, s14
	s_mul_i32 s16, s16, s6
	s_lshl_b64 s[16:17], s[16:17], 3
	s_add_u32 s9, s12, s16
	s_addc_u32 s12, s13, s17
	s_lshl_b64 s[4:5], s[4:5], 3
	s_add_u32 s4, s9, s4
	s_addc_u32 s5, s12, s5
	v_lshlrev_b32_e32 v123, 3, v0
	s_add_i32 s9, s15, s15
	v_mov_b32_e32 v2, s5
	v_add_co_u32_e32 v1, vcc, s4, v123
	s_ashr_i32 s13, s15, 31
	s_mov_b32 s12, s15
	v_add_u32_e32 v7, s9, v0
	v_addc_co_u32_e32 v2, vcc, 0, v2, vcc
	s_lshl_b64 s[12:13], s[12:13], 3
	v_ashrrev_i32_e32 v8, 31, v7
	v_mov_b32_e32 v4, s13
	v_add_co_u32_e32 v3, vcc, s12, v1
	v_lshlrev_b64 v[5:6], 3, v[7:8]
	v_addc_co_u32_e32 v4, vcc, v2, v4, vcc
	v_add_u32_e32 v9, s15, v7
	v_mov_b32_e32 v8, s5
	v_add_co_u32_e32 v5, vcc, s4, v5
	v_ashrrev_i32_e32 v10, 31, v9
	v_addc_co_u32_e32 v6, vcc, v8, v6, vcc
	v_lshlrev_b64 v[7:8], 3, v[9:10]
	v_add_u32_e32 v11, s15, v9
	v_mov_b32_e32 v10, s5
	v_add_co_u32_e32 v7, vcc, s4, v7
	v_ashrrev_i32_e32 v12, 31, v11
	v_addc_co_u32_e32 v8, vcc, v10, v8, vcc
	v_lshlrev_b64 v[9:10], 3, v[11:12]
	;; [unrolled: 6-line block ×36, first 2 shown]
	v_mov_b32_e32 v80, s5
	v_add_co_u32_e32 v77, vcc, s4, v77
	global_load_dwordx2 v[81:82], v123, s[4:5]
	global_load_dwordx2 v[89:90], v[3:4], off
	global_load_dwordx2 v[87:88], v[5:6], off
	;; [unrolled: 1-line block ×36, first 2 shown]
	v_addc_co_u32_e32 v78, vcc, v80, v78, vcc
	global_load_dwordx2 v[156:157], v[75:76], off
	global_load_dwordx2 v[158:159], v[77:78], off
	v_add_u32_e32 v79, s15, v79
	v_ashrrev_i32_e32 v80, 31, v79
	v_lshlrev_b64 v[79:80], 3, v[79:80]
	v_mov_b32_e32 v160, s5
	v_add_co_u32_e32 v79, vcc, s4, v79
	v_addc_co_u32_e32 v80, vcc, v160, v80, vcc
	global_load_dwordx2 v[160:161], v[79:80], off
	s_bitcmp0_b32 s8, 0
	s_mov_b64 s[8:9], -1
	s_waitcnt vmcnt(39)
	buffer_store_dword v82, off, s[0:3], 0 offset:4
	buffer_store_dword v81, off, s[0:3], 0
	s_waitcnt vmcnt(40)
	buffer_store_dword v90, off, s[0:3], 0 offset:12
	buffer_store_dword v89, off, s[0:3], 0 offset:8
	s_waitcnt vmcnt(41)
	buffer_store_dword v88, off, s[0:3], 0 offset:20
	buffer_store_dword v87, off, s[0:3], 0 offset:16
	;; [unrolled: 3-line block ×24, first 2 shown]
	buffer_store_dword v133, off, s[0:3], 0 offset:204
	buffer_store_dword v132, off, s[0:3], 0 offset:200
	s_waitcnt vmcnt(62)
	buffer_store_dword v135, off, s[0:3], 0 offset:212
	buffer_store_dword v134, off, s[0:3], 0 offset:208
	;; [unrolled: 1-line block ×8, first 2 shown]
	s_waitcnt vmcnt(62)
	buffer_store_dword v142, off, s[0:3], 0 offset:240
	buffer_store_dword v143, off, s[0:3], 0 offset:244
	;; [unrolled: 1-line block ×16, first 2 shown]
	s_waitcnt vmcnt(62)
	buffer_store_dword v159, off, s[0:3], 0 offset:308
	buffer_store_dword v158, off, s[0:3], 0 offset:304
	;; [unrolled: 1-line block ×4, first 2 shown]
	s_cbranch_scc1 .LBB39_172
; %bb.4:
	v_cmp_eq_u32_e64 s[4:5], 0, v0
	s_and_saveexec_b64 s[8:9], s[4:5]
; %bb.5:
	v_mov_b32_e32 v81, 0
	ds_write_b32 v81, v81 offset:640
; %bb.6:
	s_or_b64 exec, exec, s[8:9]
	v_mov_b32_e32 v81, 0
	v_lshl_add_u32 v84, v0, 3, v81
	s_waitcnt lgkmcnt(0)
	; wave barrier
	buffer_load_dword v81, v84, s[0:3], 0 offen
	buffer_load_dword v82, v84, s[0:3], 0 offen offset:4
	s_waitcnt vmcnt(1)
	v_cmp_eq_f32_e32 vcc, 0, v81
	s_waitcnt vmcnt(0)
	v_cmp_eq_f32_e64 s[8:9], 0, v82
	s_and_b64 s[8:9], vcc, s[8:9]
	s_and_saveexec_b64 s[12:13], s[8:9]
	s_cbranch_execz .LBB39_10
; %bb.7:
	v_mov_b32_e32 v81, 0
	ds_read_b32 v83, v81 offset:640
	v_add_u32_e32 v82, 1, v0
	s_waitcnt lgkmcnt(0)
	v_readfirstlane_b32 s8, v83
	s_cmp_eq_u32 s8, 0
	s_cselect_b64 s[14:15], -1, 0
	v_cmp_gt_i32_e32 vcc, s8, v82
	s_or_b64 s[14:15], s[14:15], vcc
	s_and_b64 exec, exec, s[14:15]
	s_cbranch_execz .LBB39_10
; %bb.8:
	s_mov_b64 s[14:15], 0
	v_mov_b32_e32 v83, s8
.LBB39_9:                               ; =>This Inner Loop Header: Depth=1
	ds_cmpst_rtn_b32 v83, v81, v83, v82 offset:640
	s_waitcnt lgkmcnt(0)
	v_cmp_ne_u32_e32 vcc, 0, v83
	v_cmp_le_i32_e64 s[8:9], v83, v82
	s_and_b64 s[8:9], vcc, s[8:9]
	s_and_b64 s[8:9], exec, s[8:9]
	s_or_b64 s[14:15], s[8:9], s[14:15]
	s_andn2_b64 exec, exec, s[14:15]
	s_cbranch_execnz .LBB39_9
.LBB39_10:
	s_or_b64 exec, exec, s[12:13]
	v_mov_b32_e32 v82, 0
	; wave barrier
	ds_read_b32 v81, v82 offset:640
	s_and_saveexec_b64 s[8:9], s[4:5]
	s_cbranch_execz .LBB39_12
; %bb.11:
	s_lshl_b64 s[12:13], s[6:7], 2
	s_add_u32 s12, s10, s12
	s_addc_u32 s13, s11, s13
	s_waitcnt lgkmcnt(0)
	global_store_dword v82, v81, s[12:13]
.LBB39_12:
	s_or_b64 exec, exec, s[8:9]
	s_waitcnt lgkmcnt(0)
	v_cmp_ne_u32_e32 vcc, 0, v81
	s_mov_b64 s[8:9], 0
	s_cbranch_vccnz .LBB39_172
; %bb.13:
	buffer_load_dword v82, v84, s[0:3], 0 offen
	buffer_load_dword v83, v84, s[0:3], 0 offen offset:4
                                        ; implicit-def: $vgpr86
                                        ; implicit-def: $vgpr85
                                        ; implicit-def: $vgpr81
	s_waitcnt vmcnt(0)
	v_cmp_ngt_f32_e64 s[8:9], |v82|, |v83|
	s_and_saveexec_b64 s[12:13], s[8:9]
	s_xor_b64 s[8:9], exec, s[12:13]
	s_cbranch_execz .LBB39_15
; %bb.14:
	v_div_scale_f32 v81, s[12:13], v83, v83, v82
	v_div_scale_f32 v85, vcc, v82, v83, v82
	v_rcp_f32_e32 v86, v81
	v_fma_f32 v87, -v81, v86, 1.0
	v_fmac_f32_e32 v86, v87, v86
	v_mul_f32_e32 v87, v85, v86
	v_fma_f32 v88, -v81, v87, v85
	v_fmac_f32_e32 v87, v88, v86
	v_fma_f32 v81, -v81, v87, v85
	v_div_fmas_f32 v81, v81, v86, v87
	v_div_fixup_f32 v81, v81, v83, v82
	v_fmac_f32_e32 v83, v82, v81
	v_div_scale_f32 v82, s[12:13], v83, v83, 1.0
	v_div_scale_f32 v85, vcc, 1.0, v83, 1.0
	v_rcp_f32_e32 v86, v82
	v_fma_f32 v87, -v82, v86, 1.0
	v_fmac_f32_e32 v86, v87, v86
	v_mul_f32_e32 v87, v85, v86
	v_fma_f32 v88, -v82, v87, v85
	v_fmac_f32_e32 v87, v88, v86
	v_fma_f32 v82, -v82, v87, v85
	v_div_fmas_f32 v82, v82, v86, v87
	v_div_fixup_f32 v82, v82, v83, 1.0
	v_mul_f32_e32 v86, v81, v82
	v_xor_b32_e32 v85, 0x80000000, v82
	v_xor_b32_e32 v81, 0x80000000, v86
                                        ; implicit-def: $vgpr82
                                        ; implicit-def: $vgpr83
.LBB39_15:
	s_andn2_saveexec_b64 s[8:9], s[8:9]
	s_cbranch_execz .LBB39_17
; %bb.16:
	v_div_scale_f32 v81, s[12:13], v82, v82, v83
	v_div_scale_f32 v85, vcc, v83, v82, v83
	v_rcp_f32_e32 v86, v81
	v_fma_f32 v87, -v81, v86, 1.0
	v_fmac_f32_e32 v86, v87, v86
	v_mul_f32_e32 v87, v85, v86
	v_fma_f32 v88, -v81, v87, v85
	v_fmac_f32_e32 v87, v88, v86
	v_fma_f32 v81, -v81, v87, v85
	v_div_fmas_f32 v81, v81, v86, v87
	v_div_fixup_f32 v85, v81, v82, v83
	v_fmac_f32_e32 v82, v83, v85
	v_div_scale_f32 v81, s[12:13], v82, v82, 1.0
	v_div_scale_f32 v83, vcc, 1.0, v82, 1.0
	v_rcp_f32_e32 v86, v81
	v_fma_f32 v87, -v81, v86, 1.0
	v_fmac_f32_e32 v86, v87, v86
	v_mul_f32_e32 v87, v83, v86
	v_fma_f32 v88, -v81, v87, v83
	v_fmac_f32_e32 v87, v88, v86
	v_fma_f32 v81, -v81, v87, v83
	v_div_fmas_f32 v81, v81, v86, v87
	v_div_fixup_f32 v86, v81, v82, 1.0
	v_xor_b32_e32 v81, 0x80000000, v86
	v_mul_f32_e64 v85, v85, -v86
.LBB39_17:
	s_or_b64 exec, exec, s[8:9]
	buffer_store_dword v86, v84, s[0:3], 0 offen
	buffer_store_dword v85, v84, s[0:3], 0 offen offset:4
	buffer_load_dword v87, off, s[0:3], 0 offset:12
	s_nop 0
	buffer_load_dword v86, off, s[0:3], 0 offset:8
	v_xor_b32_e32 v82, 0x80000000, v85
	v_add_u32_e32 v83, 0x140, v123
	s_waitcnt vmcnt(0)
	ds_write2_b64 v123, v[81:82], v[86:87] offset1:40
	s_waitcnt lgkmcnt(0)
	; wave barrier
	s_and_saveexec_b64 s[8:9], s[4:5]
	s_cbranch_execz .LBB39_19
; %bb.18:
	buffer_load_dword v87, v84, s[0:3], 0 offen offset:4
	buffer_load_dword v88, v84, s[0:3], 0 offen
	ds_read_b64 v[81:82], v83
	v_mov_b32_e32 v85, 0
	ds_read_b64 v[85:86], v85 offset:8
	s_waitcnt vmcnt(1) lgkmcnt(1)
	v_mul_f32_e32 v89, v82, v87
	v_mul_f32_e32 v87, v81, v87
	s_waitcnt vmcnt(0)
	v_fmac_f32_e32 v87, v82, v88
	v_fma_f32 v81, v81, v88, -v89
	v_add_f32_e32 v82, 0, v87
	v_add_f32_e32 v81, 0, v81
	s_waitcnt lgkmcnt(0)
	v_mul_f32_e32 v87, v82, v86
	v_mul_f32_e32 v86, v81, v86
	v_fma_f32 v81, v81, v85, -v87
	v_fmac_f32_e32 v86, v82, v85
	buffer_store_dword v81, off, s[0:3], 0 offset:8
	buffer_store_dword v86, off, s[0:3], 0 offset:12
.LBB39_19:
	s_or_b64 exec, exec, s[8:9]
	; wave barrier
	buffer_load_dword v81, off, s[0:3], 0 offset:16
	buffer_load_dword v82, off, s[0:3], 0 offset:20
	v_cmp_gt_u32_e32 vcc, 2, v0
	s_waitcnt vmcnt(0)
	ds_write_b64 v83, v[81:82]
	s_waitcnt lgkmcnt(0)
	; wave barrier
	s_and_saveexec_b64 s[8:9], vcc
	s_cbranch_execz .LBB39_23
; %bb.20:
	buffer_load_dword v85, v84, s[0:3], 0 offen offset:4
	buffer_load_dword v86, v84, s[0:3], 0 offen
	ds_read_b64 v[81:82], v83
	s_waitcnt vmcnt(1) lgkmcnt(0)
	v_mul_f32_e32 v84, v82, v85
	v_mul_f32_e32 v85, v81, v85
	s_waitcnt vmcnt(0)
	v_fma_f32 v81, v81, v86, -v84
	v_fmac_f32_e32 v85, v82, v86
	v_add_f32_e32 v82, 0, v81
	v_add_f32_e32 v81, 0, v85
	s_and_saveexec_b64 s[12:13], s[4:5]
	s_cbranch_execz .LBB39_22
; %bb.21:
	buffer_load_dword v86, off, s[0:3], 0 offset:12
	buffer_load_dword v87, off, s[0:3], 0 offset:8
	v_mov_b32_e32 v84, 0
	ds_read_b64 v[84:85], v84 offset:328
	s_waitcnt vmcnt(1) lgkmcnt(0)
	v_mul_f32_e32 v88, v84, v86
	v_mul_f32_e32 v86, v85, v86
	s_waitcnt vmcnt(0)
	v_fmac_f32_e32 v88, v85, v87
	v_fma_f32 v84, v84, v87, -v86
	v_add_f32_e32 v81, v81, v88
	v_add_f32_e32 v82, v82, v84
.LBB39_22:
	s_or_b64 exec, exec, s[12:13]
	v_mov_b32_e32 v84, 0
	ds_read_b64 v[84:85], v84 offset:16
	s_waitcnt lgkmcnt(0)
	v_mul_f32_e32 v86, v81, v85
	v_mul_f32_e32 v85, v82, v85
	v_fma_f32 v82, v82, v84, -v86
	v_fmac_f32_e32 v85, v81, v84
	buffer_store_dword v82, off, s[0:3], 0 offset:16
	buffer_store_dword v85, off, s[0:3], 0 offset:20
.LBB39_23:
	s_or_b64 exec, exec, s[8:9]
	; wave barrier
	buffer_load_dword v81, off, s[0:3], 0 offset:24
	buffer_load_dword v82, off, s[0:3], 0 offset:28
	v_cmp_gt_u32_e32 vcc, 3, v0
	s_waitcnt vmcnt(0)
	ds_write_b64 v83, v[81:82]
	v_add_u32_e32 v81, -1, v0
	s_waitcnt lgkmcnt(0)
	; wave barrier
	s_and_saveexec_b64 s[4:5], vcc
	s_cbranch_execz .LBB39_27
; %bb.24:
	v_add_u32_e32 v84, -1, v0
	v_add_u32_e32 v85, 0x140, v123
	v_mov_b32_e32 v86, v123
	v_mov_b32_e32 v82, 0
	s_mov_b64 s[8:9], 0
	v_mov_b32_e32 v87, 0
.LBB39_25:                              ; =>This Inner Loop Header: Depth=1
	buffer_load_dword v90, v86, s[0:3], 0 offen offset:4
	buffer_load_dword v91, v86, s[0:3], 0 offen
	ds_read_b64 v[88:89], v85
	v_add_u32_e32 v84, 1, v84
	v_cmp_lt_u32_e32 vcc, 1, v84
	v_add_u32_e32 v85, 8, v85
	v_add_u32_e32 v86, 8, v86
	s_or_b64 s[8:9], vcc, s[8:9]
	s_waitcnt vmcnt(1) lgkmcnt(0)
	v_mul_f32_e32 v92, v89, v90
	v_mul_f32_e32 v90, v88, v90
	s_waitcnt vmcnt(0)
	v_fma_f32 v88, v88, v91, -v92
	v_fmac_f32_e32 v90, v89, v91
	v_add_f32_e32 v87, v87, v88
	v_add_f32_e32 v82, v82, v90
	s_andn2_b64 exec, exec, s[8:9]
	s_cbranch_execnz .LBB39_25
; %bb.26:
	s_or_b64 exec, exec, s[8:9]
	v_mov_b32_e32 v84, 0
	ds_read_b64 v[84:85], v84 offset:24
	s_waitcnt lgkmcnt(0)
	v_mul_f32_e32 v86, v82, v85
	v_mul_f32_e32 v85, v87, v85
	v_fma_f32 v86, v87, v84, -v86
	v_fmac_f32_e32 v85, v82, v84
	buffer_store_dword v86, off, s[0:3], 0 offset:24
	buffer_store_dword v85, off, s[0:3], 0 offset:28
.LBB39_27:
	s_or_b64 exec, exec, s[4:5]
	; wave barrier
	buffer_load_dword v84, off, s[0:3], 0 offset:32
	buffer_load_dword v85, off, s[0:3], 0 offset:36
	v_cmp_gt_u32_e32 vcc, 4, v0
	s_waitcnt vmcnt(0)
	ds_write_b64 v83, v[84:85]
	s_waitcnt lgkmcnt(0)
	; wave barrier
	s_and_saveexec_b64 s[4:5], vcc
	s_cbranch_execz .LBB39_31
; %bb.28:
	v_add_u32_e32 v84, -1, v0
	v_add_u32_e32 v85, 0x140, v123
	v_mov_b32_e32 v86, v123
	v_mov_b32_e32 v82, 0
	s_mov_b64 s[8:9], 0
	v_mov_b32_e32 v87, 0
.LBB39_29:                              ; =>This Inner Loop Header: Depth=1
	buffer_load_dword v90, v86, s[0:3], 0 offen offset:4
	buffer_load_dword v91, v86, s[0:3], 0 offen
	ds_read_b64 v[88:89], v85
	v_add_u32_e32 v84, 1, v84
	v_cmp_lt_u32_e32 vcc, 2, v84
	v_add_u32_e32 v85, 8, v85
	v_add_u32_e32 v86, 8, v86
	s_or_b64 s[8:9], vcc, s[8:9]
	s_waitcnt vmcnt(1) lgkmcnt(0)
	v_mul_f32_e32 v92, v89, v90
	v_mul_f32_e32 v90, v88, v90
	s_waitcnt vmcnt(0)
	v_fma_f32 v88, v88, v91, -v92
	v_fmac_f32_e32 v90, v89, v91
	v_add_f32_e32 v87, v87, v88
	v_add_f32_e32 v82, v82, v90
	s_andn2_b64 exec, exec, s[8:9]
	s_cbranch_execnz .LBB39_29
; %bb.30:
	s_or_b64 exec, exec, s[8:9]
	v_mov_b32_e32 v84, 0
	ds_read_b64 v[84:85], v84 offset:32
	s_waitcnt lgkmcnt(0)
	v_mul_f32_e32 v86, v82, v85
	v_mul_f32_e32 v85, v87, v85
	v_fma_f32 v86, v87, v84, -v86
	v_fmac_f32_e32 v85, v82, v84
	buffer_store_dword v86, off, s[0:3], 0 offset:32
	buffer_store_dword v85, off, s[0:3], 0 offset:36
.LBB39_31:
	s_or_b64 exec, exec, s[4:5]
	; wave barrier
	buffer_load_dword v84, off, s[0:3], 0 offset:40
	buffer_load_dword v85, off, s[0:3], 0 offset:44
	v_cmp_gt_u32_e32 vcc, 5, v0
	s_waitcnt vmcnt(0)
	ds_write_b64 v83, v[84:85]
	;; [unrolled: 49-line block ×19, first 2 shown]
	s_waitcnt lgkmcnt(0)
	; wave barrier
	s_and_saveexec_b64 s[4:5], vcc
	s_cbranch_execz .LBB39_103
; %bb.100:
	v_add_u32_e32 v84, -1, v0
	v_add_u32_e32 v85, 0x140, v123
	v_mov_b32_e32 v86, v123
	v_mov_b32_e32 v82, 0
	s_mov_b64 s[8:9], 0
	v_mov_b32_e32 v87, 0
.LBB39_101:                             ; =>This Inner Loop Header: Depth=1
	buffer_load_dword v90, v86, s[0:3], 0 offen offset:4
	buffer_load_dword v91, v86, s[0:3], 0 offen
	ds_read_b64 v[88:89], v85
	v_add_u32_e32 v84, 1, v84
	v_cmp_lt_u32_e32 vcc, 20, v84
	v_add_u32_e32 v85, 8, v85
	v_add_u32_e32 v86, 8, v86
	s_or_b64 s[8:9], vcc, s[8:9]
	s_waitcnt vmcnt(1) lgkmcnt(0)
	v_mul_f32_e32 v92, v89, v90
	v_mul_f32_e32 v90, v88, v90
	s_waitcnt vmcnt(0)
	v_fma_f32 v88, v88, v91, -v92
	v_fmac_f32_e32 v90, v89, v91
	v_add_f32_e32 v87, v87, v88
	v_add_f32_e32 v82, v82, v90
	s_andn2_b64 exec, exec, s[8:9]
	s_cbranch_execnz .LBB39_101
; %bb.102:
	s_or_b64 exec, exec, s[8:9]
	v_mov_b32_e32 v84, 0
	ds_read_b64 v[84:85], v84 offset:176
	s_waitcnt lgkmcnt(0)
	v_mul_f32_e32 v86, v82, v85
	v_mul_f32_e32 v85, v87, v85
	v_fma_f32 v86, v87, v84, -v86
	v_fmac_f32_e32 v85, v82, v84
	buffer_store_dword v86, off, s[0:3], 0 offset:176
	buffer_store_dword v85, off, s[0:3], 0 offset:180
.LBB39_103:
	s_or_b64 exec, exec, s[4:5]
	; wave barrier
	buffer_load_dword v84, off, s[0:3], 0 offset:184
	buffer_load_dword v85, off, s[0:3], 0 offset:188
	v_cmp_gt_u32_e32 vcc, 23, v0
	s_waitcnt vmcnt(0)
	ds_write_b64 v83, v[84:85]
	s_waitcnt lgkmcnt(0)
	; wave barrier
	s_and_saveexec_b64 s[4:5], vcc
	s_cbranch_execz .LBB39_107
; %bb.104:
	v_add_u32_e32 v84, -1, v0
	v_add_u32_e32 v85, 0x140, v123
	v_mov_b32_e32 v86, v123
	v_mov_b32_e32 v82, 0
	s_mov_b64 s[8:9], 0
	v_mov_b32_e32 v87, 0
.LBB39_105:                             ; =>This Inner Loop Header: Depth=1
	buffer_load_dword v90, v86, s[0:3], 0 offen offset:4
	buffer_load_dword v91, v86, s[0:3], 0 offen
	ds_read_b64 v[88:89], v85
	v_add_u32_e32 v84, 1, v84
	v_cmp_lt_u32_e32 vcc, 21, v84
	v_add_u32_e32 v85, 8, v85
	v_add_u32_e32 v86, 8, v86
	s_or_b64 s[8:9], vcc, s[8:9]
	s_waitcnt vmcnt(1) lgkmcnt(0)
	v_mul_f32_e32 v92, v89, v90
	v_mul_f32_e32 v90, v88, v90
	s_waitcnt vmcnt(0)
	v_fma_f32 v88, v88, v91, -v92
	v_fmac_f32_e32 v90, v89, v91
	v_add_f32_e32 v87, v87, v88
	v_add_f32_e32 v82, v82, v90
	s_andn2_b64 exec, exec, s[8:9]
	s_cbranch_execnz .LBB39_105
; %bb.106:
	s_or_b64 exec, exec, s[8:9]
	v_mov_b32_e32 v84, 0
	ds_read_b64 v[84:85], v84 offset:184
	s_waitcnt lgkmcnt(0)
	v_mul_f32_e32 v86, v82, v85
	v_mul_f32_e32 v85, v87, v85
	v_fma_f32 v86, v87, v84, -v86
	v_fmac_f32_e32 v85, v82, v84
	buffer_store_dword v86, off, s[0:3], 0 offset:184
	buffer_store_dword v85, off, s[0:3], 0 offset:188
.LBB39_107:
	s_or_b64 exec, exec, s[4:5]
	; wave barrier
	buffer_load_dword v84, off, s[0:3], 0 offset:192
	buffer_load_dword v85, off, s[0:3], 0 offset:196
	v_cmp_gt_u32_e32 vcc, 24, v0
	s_waitcnt vmcnt(0)
	ds_write_b64 v83, v[84:85]
	;; [unrolled: 49-line block ×16, first 2 shown]
	s_waitcnt lgkmcnt(0)
	; wave barrier
	s_and_saveexec_b64 s[4:5], vcc
	s_cbranch_execz .LBB39_167
; %bb.164:
	v_add_u32_e32 v84, -1, v0
	v_add_u32_e32 v85, 0x140, v123
	v_mov_b32_e32 v86, v123
	v_mov_b32_e32 v82, 0
	s_mov_b64 s[8:9], 0
	v_mov_b32_e32 v87, 0
.LBB39_165:                             ; =>This Inner Loop Header: Depth=1
	buffer_load_dword v90, v86, s[0:3], 0 offen offset:4
	buffer_load_dword v91, v86, s[0:3], 0 offen
	ds_read_b64 v[88:89], v85
	v_add_u32_e32 v84, 1, v84
	v_cmp_lt_u32_e32 vcc, 36, v84
	v_add_u32_e32 v85, 8, v85
	v_add_u32_e32 v86, 8, v86
	s_or_b64 s[8:9], vcc, s[8:9]
	s_waitcnt vmcnt(1) lgkmcnt(0)
	v_mul_f32_e32 v92, v89, v90
	v_mul_f32_e32 v90, v88, v90
	s_waitcnt vmcnt(0)
	v_fma_f32 v88, v88, v91, -v92
	v_fmac_f32_e32 v90, v89, v91
	v_add_f32_e32 v87, v87, v88
	v_add_f32_e32 v82, v82, v90
	s_andn2_b64 exec, exec, s[8:9]
	s_cbranch_execnz .LBB39_165
; %bb.166:
	s_or_b64 exec, exec, s[8:9]
	v_mov_b32_e32 v84, 0
	ds_read_b64 v[84:85], v84 offset:304
	s_waitcnt lgkmcnt(0)
	v_mul_f32_e32 v86, v82, v85
	v_mul_f32_e32 v85, v87, v85
	v_fma_f32 v86, v87, v84, -v86
	v_fmac_f32_e32 v85, v82, v84
	buffer_store_dword v86, off, s[0:3], 0 offset:304
	buffer_store_dword v85, off, s[0:3], 0 offset:308
.LBB39_167:
	s_or_b64 exec, exec, s[4:5]
	; wave barrier
	buffer_load_dword v84, off, s[0:3], 0 offset:312
	buffer_load_dword v85, off, s[0:3], 0 offset:316
	v_cmp_ne_u32_e32 vcc, 39, v0
	s_waitcnt vmcnt(0)
	ds_write_b64 v83, v[84:85]
	s_waitcnt lgkmcnt(0)
	; wave barrier
	s_and_saveexec_b64 s[4:5], vcc
	s_cbranch_execz .LBB39_171
; %bb.168:
	v_add_u32_e32 v83, 0x140, v123
	v_mov_b32_e32 v84, v123
	v_mov_b32_e32 v82, 0
	s_mov_b64 s[8:9], 0
	v_mov_b32_e32 v85, 0
.LBB39_169:                             ; =>This Inner Loop Header: Depth=1
	buffer_load_dword v88, v84, s[0:3], 0 offen offset:4
	buffer_load_dword v89, v84, s[0:3], 0 offen
	ds_read_b64 v[86:87], v83
	v_add_u32_e32 v81, 1, v81
	v_cmp_lt_u32_e32 vcc, 37, v81
	v_add_u32_e32 v83, 8, v83
	v_add_u32_e32 v84, 8, v84
	s_or_b64 s[8:9], vcc, s[8:9]
	s_waitcnt vmcnt(1) lgkmcnt(0)
	v_mul_f32_e32 v90, v87, v88
	v_mul_f32_e32 v88, v86, v88
	s_waitcnt vmcnt(0)
	v_fma_f32 v86, v86, v89, -v90
	v_fmac_f32_e32 v88, v87, v89
	v_add_f32_e32 v85, v85, v86
	v_add_f32_e32 v82, v82, v88
	s_andn2_b64 exec, exec, s[8:9]
	s_cbranch_execnz .LBB39_169
; %bb.170:
	s_or_b64 exec, exec, s[8:9]
	v_mov_b32_e32 v81, 0
	ds_read_b64 v[83:84], v81 offset:312
	s_waitcnt lgkmcnt(0)
	v_mul_f32_e32 v81, v82, v84
	v_mul_f32_e32 v84, v85, v84
	v_fma_f32 v81, v85, v83, -v81
	v_fmac_f32_e32 v84, v82, v83
	buffer_store_dword v81, off, s[0:3], 0 offset:312
	buffer_store_dword v84, off, s[0:3], 0 offset:316
.LBB39_171:
	s_or_b64 exec, exec, s[4:5]
	s_mov_b64 s[8:9], -1
	; wave barrier
.LBB39_172:
	s_and_b64 vcc, exec, s[8:9]
	s_cbranch_vccz .LBB39_174
; %bb.173:
	s_lshl_b64 s[4:5], s[6:7], 2
	s_add_u32 s4, s10, s4
	s_addc_u32 s5, s11, s5
	v_mov_b32_e32 v81, 0
	global_load_dword v81, v81, s[4:5]
	s_waitcnt vmcnt(0)
	v_cmp_ne_u32_e32 vcc, 0, v81
	s_cbranch_vccz .LBB39_175
.LBB39_174:
	s_endpgm
.LBB39_175:
	v_mov_b32_e32 v81, 0x140
	v_lshl_add_u32 v81, v0, 3, v81
	v_cmp_eq_u32_e32 vcc, 39, v0
	s_and_saveexec_b64 s[4:5], vcc
	s_cbranch_execz .LBB39_177
; %bb.176:
	buffer_load_dword v82, off, s[0:3], 0 offset:304
	buffer_load_dword v83, off, s[0:3], 0 offset:308
	v_mov_b32_e32 v84, 0
	buffer_store_dword v84, off, s[0:3], 0 offset:304
	buffer_store_dword v84, off, s[0:3], 0 offset:308
	s_waitcnt vmcnt(2)
	ds_write_b64 v81, v[82:83]
.LBB39_177:
	s_or_b64 exec, exec, s[4:5]
	s_waitcnt lgkmcnt(0)
	; wave barrier
	buffer_load_dword v85, off, s[0:3], 0 offset:316
	buffer_load_dword v86, off, s[0:3], 0 offset:312
	;; [unrolled: 1-line block ×4, first 2 shown]
	v_mov_b32_e32 v82, 0
	ds_read_b64 v[83:84], v82 offset:632
	v_cmp_lt_u32_e32 vcc, 37, v0
	s_waitcnt vmcnt(3) lgkmcnt(0)
	v_mul_f32_e32 v89, v83, v85
	v_mul_f32_e32 v85, v84, v85
	s_waitcnt vmcnt(2)
	v_fma_f32 v83, v83, v86, -v85
	v_fmac_f32_e32 v89, v84, v86
	v_add_f32_e32 v83, 0, v83
	v_add_f32_e32 v84, 0, v89
	s_waitcnt vmcnt(1)
	v_sub_f32_e32 v83, v87, v83
	s_waitcnt vmcnt(0)
	v_sub_f32_e32 v84, v88, v84
	buffer_store_dword v83, off, s[0:3], 0 offset:304
	buffer_store_dword v84, off, s[0:3], 0 offset:308
	s_and_saveexec_b64 s[4:5], vcc
	s_cbranch_execz .LBB39_179
; %bb.178:
	buffer_load_dword v83, off, s[0:3], 0 offset:296
	buffer_load_dword v84, off, s[0:3], 0 offset:300
	s_waitcnt vmcnt(0)
	ds_write_b64 v81, v[83:84]
	buffer_store_dword v82, off, s[0:3], 0 offset:296
	buffer_store_dword v82, off, s[0:3], 0 offset:300
.LBB39_179:
	s_or_b64 exec, exec, s[4:5]
	s_waitcnt lgkmcnt(0)
	; wave barrier
	buffer_load_dword v86, off, s[0:3], 0 offset:308
	buffer_load_dword v87, off, s[0:3], 0 offset:316
	;; [unrolled: 1-line block ×6, first 2 shown]
	ds_read_b128 v[82:85], v82 offset:624
	v_cmp_lt_u32_e32 vcc, 36, v0
	s_waitcnt vmcnt(5) lgkmcnt(0)
	v_mul_f32_e32 v92, v82, v86
	v_mul_f32_e32 v86, v83, v86
	s_waitcnt vmcnt(4)
	v_mul_f32_e32 v93, v84, v87
	v_mul_f32_e32 v87, v85, v87
	s_waitcnt vmcnt(3)
	v_fma_f32 v82, v82, v88, -v86
	v_fmac_f32_e32 v92, v83, v88
	s_waitcnt vmcnt(2)
	v_fma_f32 v83, v84, v89, -v87
	v_add_f32_e32 v82, 0, v82
	v_fmac_f32_e32 v93, v85, v89
	v_add_f32_e32 v84, 0, v92
	v_add_f32_e32 v82, v82, v83
	;; [unrolled: 1-line block ×3, first 2 shown]
	s_waitcnt vmcnt(1)
	v_sub_f32_e32 v82, v90, v82
	s_waitcnt vmcnt(0)
	v_sub_f32_e32 v83, v91, v84
	buffer_store_dword v82, off, s[0:3], 0 offset:296
	buffer_store_dword v83, off, s[0:3], 0 offset:300
	s_and_saveexec_b64 s[4:5], vcc
	s_cbranch_execz .LBB39_181
; %bb.180:
	buffer_load_dword v82, off, s[0:3], 0 offset:288
	buffer_load_dword v83, off, s[0:3], 0 offset:292
	v_mov_b32_e32 v84, 0
	buffer_store_dword v84, off, s[0:3], 0 offset:288
	buffer_store_dword v84, off, s[0:3], 0 offset:292
	s_waitcnt vmcnt(2)
	ds_write_b64 v81, v[82:83]
.LBB39_181:
	s_or_b64 exec, exec, s[4:5]
	s_waitcnt lgkmcnt(0)
	; wave barrier
	buffer_load_dword v89, off, s[0:3], 0 offset:300
	buffer_load_dword v90, off, s[0:3], 0 offset:308
	;; [unrolled: 1-line block ×8, first 2 shown]
	v_mov_b32_e32 v82, 0
	ds_read2_b64 v[83:86], v82 offset0:77 offset1:78
	ds_read_b64 v[87:88], v82 offset:632
	v_cmp_lt_u32_e32 vcc, 35, v0
	s_waitcnt vmcnt(7) lgkmcnt(1)
	v_mul_f32_e32 v97, v83, v89
	v_mul_f32_e32 v89, v84, v89
	s_waitcnt vmcnt(6)
	v_mul_f32_e32 v98, v85, v90
	v_mul_f32_e32 v90, v86, v90
	s_waitcnt vmcnt(4)
	v_fma_f32 v83, v83, v92, -v89
	s_waitcnt lgkmcnt(0)
	v_mul_f32_e32 v99, v87, v91
	v_mul_f32_e32 v91, v88, v91
	v_fmac_f32_e32 v97, v84, v92
	s_waitcnt vmcnt(3)
	v_fma_f32 v84, v85, v93, -v90
	v_add_f32_e32 v83, 0, v83
	v_fmac_f32_e32 v98, v86, v93
	s_waitcnt vmcnt(2)
	v_fma_f32 v85, v87, v94, -v91
	v_add_f32_e32 v86, 0, v97
	v_add_f32_e32 v83, v83, v84
	v_fmac_f32_e32 v99, v88, v94
	v_add_f32_e32 v86, v86, v98
	v_add_f32_e32 v83, v83, v85
	;; [unrolled: 1-line block ×3, first 2 shown]
	s_waitcnt vmcnt(1)
	v_sub_f32_e32 v83, v95, v83
	s_waitcnt vmcnt(0)
	v_sub_f32_e32 v84, v96, v84
	buffer_store_dword v83, off, s[0:3], 0 offset:288
	buffer_store_dword v84, off, s[0:3], 0 offset:292
	s_and_saveexec_b64 s[4:5], vcc
	s_cbranch_execz .LBB39_183
; %bb.182:
	buffer_load_dword v83, off, s[0:3], 0 offset:280
	buffer_load_dword v84, off, s[0:3], 0 offset:284
	s_waitcnt vmcnt(0)
	ds_write_b64 v81, v[83:84]
	buffer_store_dword v82, off, s[0:3], 0 offset:280
	buffer_store_dword v82, off, s[0:3], 0 offset:284
.LBB39_183:
	s_or_b64 exec, exec, s[4:5]
	s_waitcnt lgkmcnt(0)
	; wave barrier
	buffer_load_dword v91, off, s[0:3], 0 offset:292
	buffer_load_dword v92, off, s[0:3], 0 offset:300
	;; [unrolled: 1-line block ×10, first 2 shown]
	ds_read_b128 v[83:86], v82 offset:608
	ds_read_b128 v[87:90], v82 offset:624
	v_cmp_lt_u32_e32 vcc, 34, v0
	s_waitcnt vmcnt(9) lgkmcnt(1)
	v_mul_f32_e32 v82, v83, v91
	v_mul_f32_e32 v91, v84, v91
	s_waitcnt vmcnt(8)
	v_mul_f32_e32 v101, v85, v92
	v_mul_f32_e32 v92, v86, v92
	s_waitcnt vmcnt(5)
	v_fma_f32 v83, v83, v95, -v91
	s_waitcnt lgkmcnt(0)
	v_mul_f32_e32 v102, v87, v93
	v_mul_f32_e32 v93, v88, v93
	v_fmac_f32_e32 v82, v84, v95
	s_waitcnt vmcnt(4)
	v_fma_f32 v84, v85, v96, -v92
	v_add_f32_e32 v83, 0, v83
	v_mul_f32_e32 v103, v89, v94
	v_mul_f32_e32 v94, v90, v94
	v_fmac_f32_e32 v101, v86, v96
	s_waitcnt vmcnt(3)
	v_fma_f32 v85, v87, v97, -v93
	v_add_f32_e32 v82, 0, v82
	v_add_f32_e32 v83, v83, v84
	v_fmac_f32_e32 v102, v88, v97
	s_waitcnt vmcnt(2)
	v_fma_f32 v86, v89, v98, -v94
	v_add_f32_e32 v82, v82, v101
	v_add_f32_e32 v83, v83, v85
	v_fmac_f32_e32 v103, v90, v98
	v_add_f32_e32 v82, v82, v102
	v_add_f32_e32 v83, v83, v86
	;; [unrolled: 1-line block ×3, first 2 shown]
	s_waitcnt vmcnt(1)
	v_sub_f32_e32 v83, v99, v83
	s_waitcnt vmcnt(0)
	v_sub_f32_e32 v82, v100, v82
	buffer_store_dword v83, off, s[0:3], 0 offset:280
	buffer_store_dword v82, off, s[0:3], 0 offset:284
	s_and_saveexec_b64 s[4:5], vcc
	s_cbranch_execz .LBB39_185
; %bb.184:
	buffer_load_dword v82, off, s[0:3], 0 offset:272
	buffer_load_dword v83, off, s[0:3], 0 offset:276
	v_mov_b32_e32 v84, 0
	buffer_store_dword v84, off, s[0:3], 0 offset:272
	buffer_store_dword v84, off, s[0:3], 0 offset:276
	s_waitcnt vmcnt(2)
	ds_write_b64 v81, v[82:83]
.LBB39_185:
	s_or_b64 exec, exec, s[4:5]
	s_waitcnt lgkmcnt(0)
	; wave barrier
	buffer_load_dword v93, off, s[0:3], 0 offset:284
	buffer_load_dword v94, off, s[0:3], 0 offset:292
	;; [unrolled: 1-line block ×12, first 2 shown]
	v_mov_b32_e32 v82, 0
	ds_read2_b64 v[83:86], v82 offset0:75 offset1:76
	ds_read2_b64 v[87:90], v82 offset0:77 offset1:78
	ds_read_b64 v[91:92], v82 offset:632
	v_cmp_lt_u32_e32 vcc, 33, v0
	s_waitcnt vmcnt(11) lgkmcnt(2)
	v_mul_f32_e32 v105, v83, v93
	v_mul_f32_e32 v93, v84, v93
	s_waitcnt vmcnt(10)
	v_mul_f32_e32 v106, v85, v94
	v_mul_f32_e32 v94, v86, v94
	s_waitcnt vmcnt(9) lgkmcnt(1)
	v_mul_f32_e32 v107, v87, v95
	s_waitcnt vmcnt(6)
	v_fma_f32 v83, v83, v98, -v93
	v_mul_f32_e32 v95, v88, v95
	v_fmac_f32_e32 v105, v84, v98
	s_waitcnt vmcnt(5)
	v_fma_f32 v84, v85, v99, -v94
	v_add_f32_e32 v83, 0, v83
	v_mul_f32_e32 v108, v89, v96
	v_mul_f32_e32 v96, v90, v96
	v_fmac_f32_e32 v106, v86, v99
	s_waitcnt vmcnt(4)
	v_fmac_f32_e32 v107, v88, v100
	v_fma_f32 v85, v87, v100, -v95
	v_add_f32_e32 v88, 0, v105
	v_add_f32_e32 v83, v83, v84
	s_waitcnt lgkmcnt(0)
	v_mul_f32_e32 v109, v91, v97
	v_mul_f32_e32 v97, v92, v97
	s_waitcnt vmcnt(3)
	v_fma_f32 v86, v89, v101, -v96
	v_add_f32_e32 v88, v88, v106
	v_add_f32_e32 v83, v83, v85
	v_fmac_f32_e32 v108, v90, v101
	s_waitcnt vmcnt(2)
	v_fma_f32 v87, v91, v102, -v97
	v_add_f32_e32 v84, v88, v107
	v_add_f32_e32 v83, v83, v86
	v_fmac_f32_e32 v109, v92, v102
	v_add_f32_e32 v84, v84, v108
	v_add_f32_e32 v83, v83, v87
	;; [unrolled: 1-line block ×3, first 2 shown]
	s_waitcnt vmcnt(1)
	v_sub_f32_e32 v83, v103, v83
	s_waitcnt vmcnt(0)
	v_sub_f32_e32 v84, v104, v84
	buffer_store_dword v83, off, s[0:3], 0 offset:272
	buffer_store_dword v84, off, s[0:3], 0 offset:276
	s_and_saveexec_b64 s[4:5], vcc
	s_cbranch_execz .LBB39_187
; %bb.186:
	buffer_load_dword v83, off, s[0:3], 0 offset:264
	buffer_load_dword v84, off, s[0:3], 0 offset:268
	s_waitcnt vmcnt(0)
	ds_write_b64 v81, v[83:84]
	buffer_store_dword v82, off, s[0:3], 0 offset:264
	buffer_store_dword v82, off, s[0:3], 0 offset:268
.LBB39_187:
	s_or_b64 exec, exec, s[4:5]
	s_waitcnt lgkmcnt(0)
	; wave barrier
	buffer_load_dword v95, off, s[0:3], 0 offset:276
	buffer_load_dword v96, off, s[0:3], 0 offset:284
	buffer_load_dword v97, off, s[0:3], 0 offset:292
	buffer_load_dword v98, off, s[0:3], 0 offset:300
	buffer_load_dword v99, off, s[0:3], 0 offset:308
	buffer_load_dword v100, off, s[0:3], 0 offset:316
	buffer_load_dword v101, off, s[0:3], 0 offset:272
	buffer_load_dword v102, off, s[0:3], 0 offset:280
	buffer_load_dword v103, off, s[0:3], 0 offset:288
	buffer_load_dword v104, off, s[0:3], 0 offset:296
	buffer_load_dword v105, off, s[0:3], 0 offset:304
	buffer_load_dword v106, off, s[0:3], 0 offset:312
	buffer_load_dword v107, off, s[0:3], 0 offset:264
	buffer_load_dword v108, off, s[0:3], 0 offset:268
	ds_read_b128 v[83:86], v82 offset:592
	ds_read_b128 v[87:90], v82 offset:608
	;; [unrolled: 1-line block ×3, first 2 shown]
	v_cmp_lt_u32_e32 vcc, 32, v0
	s_waitcnt vmcnt(13) lgkmcnt(2)
	v_mul_f32_e32 v82, v83, v95
	v_mul_f32_e32 v95, v84, v95
	s_waitcnt vmcnt(12)
	v_mul_f32_e32 v109, v85, v96
	v_mul_f32_e32 v96, v86, v96
	s_waitcnt vmcnt(11) lgkmcnt(1)
	v_mul_f32_e32 v110, v87, v97
	v_mul_f32_e32 v97, v88, v97
	s_waitcnt vmcnt(7)
	v_fma_f32 v83, v83, v101, -v95
	v_fmac_f32_e32 v82, v84, v101
	s_waitcnt vmcnt(6)
	v_fma_f32 v84, v85, v102, -v96
	v_add_f32_e32 v83, 0, v83
	v_mul_f32_e32 v111, v89, v98
	v_mul_f32_e32 v98, v90, v98
	v_fmac_f32_e32 v109, v86, v102
	s_waitcnt vmcnt(5)
	v_fma_f32 v85, v87, v103, -v97
	v_add_f32_e32 v82, 0, v82
	v_add_f32_e32 v83, v83, v84
	s_waitcnt lgkmcnt(0)
	v_mul_f32_e32 v112, v91, v99
	v_mul_f32_e32 v99, v92, v99
	v_fmac_f32_e32 v110, v88, v103
	s_waitcnt vmcnt(4)
	v_fma_f32 v86, v89, v104, -v98
	v_add_f32_e32 v82, v82, v109
	v_add_f32_e32 v83, v83, v85
	v_mul_f32_e32 v113, v93, v100
	v_mul_f32_e32 v100, v94, v100
	v_fmac_f32_e32 v111, v90, v104
	s_waitcnt vmcnt(3)
	v_fma_f32 v87, v91, v105, -v99
	v_add_f32_e32 v82, v82, v110
	v_add_f32_e32 v83, v83, v86
	v_fmac_f32_e32 v112, v92, v105
	s_waitcnt vmcnt(2)
	v_fma_f32 v88, v93, v106, -v100
	v_add_f32_e32 v82, v82, v111
	v_add_f32_e32 v83, v83, v87
	v_fmac_f32_e32 v113, v94, v106
	v_add_f32_e32 v82, v82, v112
	v_add_f32_e32 v83, v83, v88
	;; [unrolled: 1-line block ×3, first 2 shown]
	s_waitcnt vmcnt(1)
	v_sub_f32_e32 v83, v107, v83
	s_waitcnt vmcnt(0)
	v_sub_f32_e32 v82, v108, v82
	buffer_store_dword v83, off, s[0:3], 0 offset:264
	buffer_store_dword v82, off, s[0:3], 0 offset:268
	s_and_saveexec_b64 s[4:5], vcc
	s_cbranch_execz .LBB39_189
; %bb.188:
	buffer_load_dword v82, off, s[0:3], 0 offset:256
	buffer_load_dword v83, off, s[0:3], 0 offset:260
	v_mov_b32_e32 v84, 0
	buffer_store_dword v84, off, s[0:3], 0 offset:256
	buffer_store_dword v84, off, s[0:3], 0 offset:260
	s_waitcnt vmcnt(2)
	ds_write_b64 v81, v[82:83]
.LBB39_189:
	s_or_b64 exec, exec, s[4:5]
	s_waitcnt lgkmcnt(0)
	; wave barrier
	buffer_load_dword v97, off, s[0:3], 0 offset:268
	buffer_load_dword v98, off, s[0:3], 0 offset:276
	;; [unrolled: 1-line block ×16, first 2 shown]
	v_mov_b32_e32 v82, 0
	ds_read2_b64 v[83:86], v82 offset0:73 offset1:74
	ds_read2_b64 v[87:90], v82 offset0:75 offset1:76
	;; [unrolled: 1-line block ×3, first 2 shown]
	ds_read_b64 v[95:96], v82 offset:632
	v_cmp_lt_u32_e32 vcc, 31, v0
	s_waitcnt vmcnt(15) lgkmcnt(3)
	v_mul_f32_e32 v113, v83, v97
	v_mul_f32_e32 v97, v84, v97
	s_waitcnt vmcnt(14)
	v_mul_f32_e32 v114, v85, v98
	v_mul_f32_e32 v98, v86, v98
	s_waitcnt vmcnt(13) lgkmcnt(2)
	v_mul_f32_e32 v115, v87, v99
	s_waitcnt vmcnt(12)
	v_mul_f32_e32 v116, v89, v100
	v_mul_f32_e32 v99, v88, v99
	s_waitcnt vmcnt(8)
	v_fma_f32 v83, v83, v104, -v97
	v_fmac_f32_e32 v113, v84, v104
	s_waitcnt vmcnt(7)
	v_fma_f32 v84, v85, v105, -v98
	v_add_f32_e32 v83, 0, v83
	v_mul_f32_e32 v100, v90, v100
	v_fmac_f32_e32 v114, v86, v105
	s_waitcnt vmcnt(5)
	v_fmac_f32_e32 v116, v90, v107
	v_fma_f32 v85, v87, v106, -v99
	v_add_f32_e32 v90, 0, v113
	v_add_f32_e32 v83, v83, v84
	s_waitcnt lgkmcnt(1)
	v_mul_f32_e32 v117, v91, v101
	v_mul_f32_e32 v101, v92, v101
	v_fmac_f32_e32 v115, v88, v106
	v_fma_f32 v86, v89, v107, -v100
	v_add_f32_e32 v90, v90, v114
	v_add_f32_e32 v83, v83, v85
	v_mul_f32_e32 v118, v93, v102
	v_mul_f32_e32 v102, v94, v102
	s_waitcnt vmcnt(4)
	v_fma_f32 v87, v91, v108, -v101
	v_add_f32_e32 v84, v90, v115
	v_add_f32_e32 v83, v83, v86
	s_waitcnt lgkmcnt(0)
	v_mul_f32_e32 v119, v95, v103
	v_mul_f32_e32 v103, v96, v103
	v_fmac_f32_e32 v117, v92, v108
	s_waitcnt vmcnt(3)
	v_fma_f32 v88, v93, v109, -v102
	v_add_f32_e32 v84, v84, v116
	v_add_f32_e32 v83, v83, v87
	v_fmac_f32_e32 v118, v94, v109
	s_waitcnt vmcnt(2)
	v_fma_f32 v89, v95, v110, -v103
	v_add_f32_e32 v84, v84, v117
	v_add_f32_e32 v83, v83, v88
	v_fmac_f32_e32 v119, v96, v110
	v_add_f32_e32 v84, v84, v118
	v_add_f32_e32 v83, v83, v89
	v_add_f32_e32 v84, v84, v119
	s_waitcnt vmcnt(1)
	v_sub_f32_e32 v83, v111, v83
	s_waitcnt vmcnt(0)
	v_sub_f32_e32 v84, v112, v84
	buffer_store_dword v83, off, s[0:3], 0 offset:256
	buffer_store_dword v84, off, s[0:3], 0 offset:260
	s_and_saveexec_b64 s[4:5], vcc
	s_cbranch_execz .LBB39_191
; %bb.190:
	buffer_load_dword v83, off, s[0:3], 0 offset:248
	buffer_load_dword v84, off, s[0:3], 0 offset:252
	s_waitcnt vmcnt(0)
	ds_write_b64 v81, v[83:84]
	buffer_store_dword v82, off, s[0:3], 0 offset:248
	buffer_store_dword v82, off, s[0:3], 0 offset:252
.LBB39_191:
	s_or_b64 exec, exec, s[4:5]
	s_waitcnt lgkmcnt(0)
	; wave barrier
	buffer_load_dword v99, off, s[0:3], 0 offset:260
	buffer_load_dword v100, off, s[0:3], 0 offset:268
	buffer_load_dword v101, off, s[0:3], 0 offset:276
	buffer_load_dword v102, off, s[0:3], 0 offset:284
	buffer_load_dword v103, off, s[0:3], 0 offset:292
	buffer_load_dword v104, off, s[0:3], 0 offset:300
	buffer_load_dword v105, off, s[0:3], 0 offset:308
	buffer_load_dword v106, off, s[0:3], 0 offset:316
	buffer_load_dword v107, off, s[0:3], 0 offset:256
	buffer_load_dword v108, off, s[0:3], 0 offset:264
	buffer_load_dword v109, off, s[0:3], 0 offset:272
	buffer_load_dword v110, off, s[0:3], 0 offset:280
	buffer_load_dword v111, off, s[0:3], 0 offset:288
	buffer_load_dword v112, off, s[0:3], 0 offset:296
	buffer_load_dword v113, off, s[0:3], 0 offset:304
	buffer_load_dword v114, off, s[0:3], 0 offset:312
	buffer_load_dword v115, off, s[0:3], 0 offset:248
	buffer_load_dword v116, off, s[0:3], 0 offset:252
	ds_read_b128 v[83:86], v82 offset:576
	ds_read_b128 v[87:90], v82 offset:592
	;; [unrolled: 1-line block ×4, first 2 shown]
	v_cmp_lt_u32_e32 vcc, 30, v0
	s_waitcnt vmcnt(17) lgkmcnt(3)
	v_mul_f32_e32 v82, v83, v99
	v_mul_f32_e32 v99, v84, v99
	s_waitcnt vmcnt(16)
	v_mul_f32_e32 v117, v85, v100
	v_mul_f32_e32 v100, v86, v100
	s_waitcnt vmcnt(15) lgkmcnt(2)
	v_mul_f32_e32 v118, v87, v101
	v_mul_f32_e32 v101, v88, v101
	s_waitcnt vmcnt(14)
	v_mul_f32_e32 v119, v89, v102
	v_mul_f32_e32 v102, v90, v102
	s_waitcnt vmcnt(9)
	v_fma_f32 v83, v83, v107, -v99
	v_fmac_f32_e32 v82, v84, v107
	s_waitcnt vmcnt(8)
	v_fma_f32 v84, v85, v108, -v100
	v_add_f32_e32 v83, 0, v83
	v_fmac_f32_e32 v117, v86, v108
	s_waitcnt vmcnt(7)
	v_fma_f32 v85, v87, v109, -v101
	v_add_f32_e32 v82, 0, v82
	v_add_f32_e32 v83, v83, v84
	s_waitcnt lgkmcnt(1)
	v_mul_f32_e32 v120, v91, v103
	v_mul_f32_e32 v103, v92, v103
	v_fmac_f32_e32 v118, v88, v109
	s_waitcnt vmcnt(6)
	v_fma_f32 v86, v89, v110, -v102
	v_add_f32_e32 v82, v82, v117
	v_add_f32_e32 v83, v83, v85
	v_mul_f32_e32 v121, v93, v104
	v_mul_f32_e32 v104, v94, v104
	v_fmac_f32_e32 v119, v90, v110
	s_waitcnt vmcnt(5)
	v_fma_f32 v87, v91, v111, -v103
	v_add_f32_e32 v82, v82, v118
	v_add_f32_e32 v83, v83, v86
	s_waitcnt lgkmcnt(0)
	v_mul_f32_e32 v122, v95, v105
	v_mul_f32_e32 v105, v96, v105
	v_fmac_f32_e32 v120, v92, v111
	s_waitcnt vmcnt(4)
	v_fma_f32 v88, v93, v112, -v104
	v_add_f32_e32 v82, v82, v119
	v_add_f32_e32 v83, v83, v87
	v_mul_f32_e32 v123, v97, v106
	v_mul_f32_e32 v106, v98, v106
	v_fmac_f32_e32 v121, v94, v112
	s_waitcnt vmcnt(3)
	v_fma_f32 v89, v95, v113, -v105
	v_add_f32_e32 v82, v82, v120
	v_add_f32_e32 v83, v83, v88
	v_fmac_f32_e32 v122, v96, v113
	s_waitcnt vmcnt(2)
	v_fma_f32 v90, v97, v114, -v106
	v_add_f32_e32 v82, v82, v121
	v_add_f32_e32 v83, v83, v89
	v_fmac_f32_e32 v123, v98, v114
	v_add_f32_e32 v82, v82, v122
	v_add_f32_e32 v83, v83, v90
	;; [unrolled: 1-line block ×3, first 2 shown]
	s_waitcnt vmcnt(1)
	v_sub_f32_e32 v83, v115, v83
	s_waitcnt vmcnt(0)
	v_sub_f32_e32 v82, v116, v82
	buffer_store_dword v83, off, s[0:3], 0 offset:248
	buffer_store_dword v82, off, s[0:3], 0 offset:252
	s_and_saveexec_b64 s[4:5], vcc
	s_cbranch_execz .LBB39_193
; %bb.192:
	buffer_load_dword v82, off, s[0:3], 0 offset:240
	buffer_load_dword v83, off, s[0:3], 0 offset:244
	v_mov_b32_e32 v84, 0
	buffer_store_dword v84, off, s[0:3], 0 offset:240
	buffer_store_dword v84, off, s[0:3], 0 offset:244
	s_waitcnt vmcnt(2)
	ds_write_b64 v81, v[82:83]
.LBB39_193:
	s_or_b64 exec, exec, s[4:5]
	v_mov_b32_e32 v82, 0
	s_waitcnt lgkmcnt(0)
	; wave barrier
	ds_read2_b64 v[83:86], v82 offset0:71 offset1:72
	buffer_load_dword v101, off, s[0:3], 0 offset:240
	buffer_load_dword v102, off, s[0:3], 0 offset:244
	;; [unrolled: 1-line block ×16, first 2 shown]
	v_cmp_lt_u32_e32 vcc, 29, v0
	s_waitcnt vmcnt(12) lgkmcnt(0)
	v_mul_f32_e32 v87, v83, v104
	v_fmac_f32_e32 v87, v84, v103
	s_waitcnt vmcnt(10)
	v_mul_f32_e32 v88, v85, v106
	v_add_f32_e32 v87, 0, v87
	v_fmac_f32_e32 v88, v86, v105
	v_add_f32_e32 v91, v87, v88
	ds_read2_b64 v[87:90], v82 offset0:73 offset1:74
	v_mul_f32_e32 v84, v84, v104
	v_fma_f32 v83, v83, v103, -v84
	v_mul_f32_e32 v84, v86, v106
	v_add_f32_e32 v83, 0, v83
	s_waitcnt vmcnt(8) lgkmcnt(0)
	v_mul_f32_e32 v92, v87, v108
	v_fmac_f32_e32 v92, v88, v107
	v_add_f32_e32 v91, v91, v92
	s_waitcnt vmcnt(6)
	v_mul_f32_e32 v92, v89, v110
	v_fmac_f32_e32 v92, v90, v109
	v_add_f32_e32 v95, v91, v92
	ds_read2_b64 v[91:94], v82 offset0:75 offset1:76
	v_fma_f32 v84, v85, v105, -v84
	v_add_f32_e32 v83, v83, v84
	v_mul_f32_e32 v84, v88, v108
	v_fma_f32 v84, v87, v107, -v84
	s_waitcnt vmcnt(4) lgkmcnt(0)
	v_mul_f32_e32 v96, v91, v112
	v_fmac_f32_e32 v96, v92, v111
	v_add_f32_e32 v95, v95, v96
	s_waitcnt vmcnt(2)
	v_mul_f32_e32 v96, v93, v114
	v_fmac_f32_e32 v96, v94, v113
	v_add_f32_e32 v99, v95, v96
	ds_read2_b64 v[95:98], v82 offset0:77 offset1:78
	buffer_load_dword v117, off, s[0:3], 0 offset:304
	buffer_load_dword v118, off, s[0:3], 0 offset:308
	v_add_f32_e32 v83, v83, v84
	v_mul_f32_e32 v84, v90, v110
	v_fma_f32 v84, v89, v109, -v84
	s_waitcnt vmcnt(2) lgkmcnt(0)
	v_mul_f32_e32 v100, v95, v116
	v_fmac_f32_e32 v100, v96, v115
	v_add_f32_e32 v99, v99, v100
	v_add_f32_e32 v83, v83, v84
	v_mul_f32_e32 v84, v92, v112
	v_fma_f32 v84, v91, v111, -v84
	v_add_f32_e32 v83, v83, v84
	v_mul_f32_e32 v84, v94, v114
	v_fma_f32 v84, v93, v113, -v84
	v_add_f32_e32 v83, v83, v84
	v_mul_f32_e32 v84, v96, v116
	v_fma_f32 v84, v95, v115, -v84
	v_add_f32_e32 v83, v83, v84
	s_waitcnt vmcnt(0)
	v_mul_f32_e32 v100, v97, v118
	v_fmac_f32_e32 v100, v98, v117
	v_add_f32_e32 v119, v99, v100
	ds_read_b64 v[99:100], v82 offset:632
	buffer_load_dword v120, off, s[0:3], 0 offset:312
	buffer_load_dword v121, off, s[0:3], 0 offset:316
	v_mul_f32_e32 v84, v98, v118
	v_fma_f32 v84, v97, v117, -v84
	v_add_f32_e32 v83, v83, v84
	s_waitcnt vmcnt(0) lgkmcnt(0)
	v_mul_f32_e32 v84, v100, v121
	v_mul_f32_e32 v122, v99, v121
	v_fma_f32 v84, v99, v120, -v84
	v_fmac_f32_e32 v122, v100, v120
	v_add_f32_e32 v83, v83, v84
	v_add_f32_e32 v119, v119, v122
	v_sub_f32_e32 v83, v101, v83
	v_sub_f32_e32 v84, v102, v119
	buffer_store_dword v83, off, s[0:3], 0 offset:240
	buffer_store_dword v84, off, s[0:3], 0 offset:244
	s_and_saveexec_b64 s[4:5], vcc
	s_cbranch_execz .LBB39_195
; %bb.194:
	buffer_load_dword v83, off, s[0:3], 0 offset:232
	buffer_load_dword v84, off, s[0:3], 0 offset:236
	s_waitcnt vmcnt(0)
	ds_write_b64 v81, v[83:84]
	buffer_store_dword v82, off, s[0:3], 0 offset:232
	buffer_store_dword v82, off, s[0:3], 0 offset:236
.LBB39_195:
	s_or_b64 exec, exec, s[4:5]
	s_waitcnt lgkmcnt(0)
	; wave barrier
	ds_read_b128 v[83:86], v82 offset:560
	ds_read_b128 v[87:90], v82 offset:576
	;; [unrolled: 1-line block ×4, first 2 shown]
	buffer_load_dword v103, off, s[0:3], 0 offset:232
	buffer_load_dword v104, off, s[0:3], 0 offset:236
	;; [unrolled: 1-line block ×18, first 2 shown]
	v_cmp_lt_u32_e32 vcc, 28, v0
	s_waitcnt vmcnt(14) lgkmcnt(3)
	v_mul_f32_e32 v99, v83, v106
	v_fmac_f32_e32 v99, v84, v105
	s_waitcnt vmcnt(12)
	v_mul_f32_e32 v100, v85, v108
	v_add_f32_e32 v99, 0, v99
	v_fmac_f32_e32 v100, v86, v107
	v_add_f32_e32 v99, v99, v100
	s_waitcnt vmcnt(10) lgkmcnt(2)
	v_mul_f32_e32 v100, v87, v110
	v_fmac_f32_e32 v100, v88, v109
	v_add_f32_e32 v99, v99, v100
	s_waitcnt vmcnt(8)
	v_mul_f32_e32 v100, v89, v112
	v_fmac_f32_e32 v100, v90, v111
	v_add_f32_e32 v99, v99, v100
	s_waitcnt vmcnt(6) lgkmcnt(1)
	v_mul_f32_e32 v100, v91, v114
	v_fmac_f32_e32 v100, v92, v113
	v_add_f32_e32 v99, v99, v100
	s_waitcnt vmcnt(4)
	v_mul_f32_e32 v100, v93, v116
	;; [unrolled: 8-line block ×3, first 2 shown]
	v_fmac_f32_e32 v100, v98, v119
	v_add_f32_e32 v121, v99, v100
	ds_read_b128 v[99:102], v82 offset:624
	buffer_load_dword v82, off, s[0:3], 0 offset:304
	buffer_load_dword v122, off, s[0:3], 0 offset:308
	v_mul_f32_e32 v84, v84, v106
	v_fma_f32 v83, v83, v105, -v84
	v_mul_f32_e32 v84, v86, v108
	v_add_f32_e32 v83, 0, v83
	v_fma_f32 v84, v85, v107, -v84
	v_add_f32_e32 v83, v83, v84
	v_mul_f32_e32 v84, v88, v110
	v_fma_f32 v84, v87, v109, -v84
	v_add_f32_e32 v83, v83, v84
	v_mul_f32_e32 v84, v90, v112
	;; [unrolled: 3-line block ×6, first 2 shown]
	v_fma_f32 v84, v97, v119, -v84
	v_add_f32_e32 v83, v83, v84
	s_waitcnt vmcnt(0) lgkmcnt(0)
	v_mul_f32_e32 v123, v99, v122
	v_fmac_f32_e32 v123, v100, v82
	v_add_f32_e32 v121, v121, v123
	buffer_load_dword v123, off, s[0:3], 0 offset:312
	buffer_load_dword v124, off, s[0:3], 0 offset:316
	v_mul_f32_e32 v84, v100, v122
	v_fma_f32 v82, v99, v82, -v84
	v_add_f32_e32 v82, v83, v82
	s_waitcnt vmcnt(0)
	v_mul_f32_e32 v83, v102, v124
	v_mul_f32_e32 v125, v101, v124
	v_fma_f32 v83, v101, v123, -v83
	v_fmac_f32_e32 v125, v102, v123
	v_add_f32_e32 v82, v82, v83
	v_add_f32_e32 v121, v121, v125
	v_sub_f32_e32 v82, v103, v82
	v_sub_f32_e32 v83, v104, v121
	buffer_store_dword v82, off, s[0:3], 0 offset:232
	buffer_store_dword v83, off, s[0:3], 0 offset:236
	s_and_saveexec_b64 s[4:5], vcc
	s_cbranch_execz .LBB39_197
; %bb.196:
	buffer_load_dword v82, off, s[0:3], 0 offset:224
	buffer_load_dword v83, off, s[0:3], 0 offset:228
	v_mov_b32_e32 v84, 0
	buffer_store_dword v84, off, s[0:3], 0 offset:224
	buffer_store_dword v84, off, s[0:3], 0 offset:228
	s_waitcnt vmcnt(2)
	ds_write_b64 v81, v[82:83]
.LBB39_197:
	s_or_b64 exec, exec, s[4:5]
	s_waitcnt lgkmcnt(0)
	; wave barrier
	buffer_load_dword v105, off, s[0:3], 0 offset:236
	buffer_load_dword v106, off, s[0:3], 0 offset:244
	;; [unrolled: 1-line block ×24, first 2 shown]
	v_mov_b32_e32 v82, 0
	ds_read2_b64 v[83:86], v82 offset0:69 offset1:70
	ds_read2_b64 v[87:90], v82 offset0:71 offset1:72
	;; [unrolled: 1-line block ×5, first 2 shown]
	ds_read_b64 v[103:104], v82 offset:632
	v_cmp_lt_u32_e32 vcc, 27, v0
	s_waitcnt vmcnt(23) lgkmcnt(5)
	v_mul_f32_e32 v129, v83, v105
	v_mul_f32_e32 v105, v84, v105
	s_waitcnt vmcnt(22)
	v_mul_f32_e32 v130, v85, v106
	v_mul_f32_e32 v106, v86, v106
	s_waitcnt vmcnt(21) lgkmcnt(4)
	v_mul_f32_e32 v131, v87, v107
	v_mul_f32_e32 v107, v88, v107
	s_waitcnt vmcnt(20)
	v_mul_f32_e32 v132, v89, v108
	s_waitcnt vmcnt(19) lgkmcnt(3)
	v_mul_f32_e32 v133, v91, v109
	v_mul_f32_e32 v108, v90, v108
	;; [unrolled: 1-line block ×3, first 2 shown]
	s_waitcnt vmcnt(18)
	v_mul_f32_e32 v134, v93, v110
	s_waitcnt vmcnt(12)
	v_fma_f32 v83, v83, v116, -v105
	v_fmac_f32_e32 v129, v84, v116
	s_waitcnt vmcnt(11)
	v_fma_f32 v84, v85, v117, -v106
	v_add_f32_e32 v83, 0, v83
	s_waitcnt vmcnt(10)
	v_fma_f32 v85, v87, v118, -v107
	v_add_f32_e32 v83, v83, v84
	v_fmac_f32_e32 v130, v86, v117
	s_waitcnt vmcnt(8)
	v_fmac_f32_e32 v133, v92, v120
	v_fma_f32 v86, v89, v119, -v108
	v_add_f32_e32 v92, 0, v129
	v_add_f32_e32 v83, v83, v85
	v_mul_f32_e32 v110, v94, v110
	v_fmac_f32_e32 v131, v88, v118
	v_fma_f32 v87, v91, v120, -v109
	v_add_f32_e32 v92, v92, v130
	v_add_f32_e32 v83, v83, v86
	s_waitcnt lgkmcnt(2)
	v_mul_f32_e32 v135, v95, v111
	v_mul_f32_e32 v111, v96, v111
	v_fmac_f32_e32 v132, v90, v119
	s_waitcnt vmcnt(7)
	v_fma_f32 v88, v93, v121, -v110
	v_add_f32_e32 v84, v92, v131
	v_add_f32_e32 v83, v83, v87
	v_mul_f32_e32 v136, v97, v112
	v_mul_f32_e32 v112, v98, v112
	s_waitcnt vmcnt(6)
	v_fma_f32 v89, v95, v122, -v111
	v_add_f32_e32 v84, v84, v132
	v_add_f32_e32 v83, v83, v88
	s_waitcnt lgkmcnt(1)
	v_mul_f32_e32 v137, v99, v113
	v_mul_f32_e32 v113, v100, v113
	v_fmac_f32_e32 v134, v94, v121
	s_waitcnt vmcnt(5)
	v_fma_f32 v90, v97, v123, -v112
	v_add_f32_e32 v84, v84, v133
	v_add_f32_e32 v83, v83, v89
	v_fmac_f32_e32 v135, v96, v122
	s_waitcnt vmcnt(4)
	v_fma_f32 v91, v99, v124, -v113
	v_add_f32_e32 v84, v84, v134
	v_add_f32_e32 v83, v83, v90
	v_mul_f32_e32 v85, v102, v114
	v_fmac_f32_e32 v136, v98, v123
	v_add_f32_e32 v84, v84, v135
	v_add_f32_e32 v83, v83, v91
	s_waitcnt vmcnt(3)
	v_fma_f32 v85, v101, v125, -v85
	v_mul_f32_e32 v138, v101, v114
	v_fmac_f32_e32 v137, v100, v124
	v_add_f32_e32 v84, v84, v136
	v_add_f32_e32 v83, v83, v85
	s_waitcnt lgkmcnt(0)
	v_mul_f32_e32 v85, v104, v115
	v_mul_f32_e32 v139, v103, v115
	v_fmac_f32_e32 v138, v102, v125
	v_add_f32_e32 v84, v84, v137
	s_waitcnt vmcnt(2)
	v_fma_f32 v85, v103, v126, -v85
	v_fmac_f32_e32 v139, v104, v126
	v_add_f32_e32 v84, v84, v138
	v_add_f32_e32 v83, v83, v85
	;; [unrolled: 1-line block ×3, first 2 shown]
	s_waitcnt vmcnt(1)
	v_sub_f32_e32 v83, v127, v83
	s_waitcnt vmcnt(0)
	v_sub_f32_e32 v84, v128, v84
	buffer_store_dword v83, off, s[0:3], 0 offset:224
	buffer_store_dword v84, off, s[0:3], 0 offset:228
	s_and_saveexec_b64 s[4:5], vcc
	s_cbranch_execz .LBB39_199
; %bb.198:
	buffer_load_dword v83, off, s[0:3], 0 offset:216
	buffer_load_dword v84, off, s[0:3], 0 offset:220
	s_waitcnt vmcnt(0)
	ds_write_b64 v81, v[83:84]
	buffer_store_dword v82, off, s[0:3], 0 offset:216
	buffer_store_dword v82, off, s[0:3], 0 offset:220
.LBB39_199:
	s_or_b64 exec, exec, s[4:5]
	s_waitcnt lgkmcnt(0)
	; wave barrier
	buffer_load_dword v107, off, s[0:3], 0 offset:228
	buffer_load_dword v108, off, s[0:3], 0 offset:236
	;; [unrolled: 1-line block ×26, first 2 shown]
	ds_read_b128 v[83:86], v82 offset:544
	ds_read_b128 v[87:90], v82 offset:560
	ds_read_b128 v[91:94], v82 offset:576
	ds_read_b128 v[95:98], v82 offset:592
	ds_read_b128 v[99:102], v82 offset:608
	ds_read_b128 v[103:106], v82 offset:624
	v_cmp_lt_u32_e32 vcc, 26, v0
	s_waitcnt vmcnt(25) lgkmcnt(5)
	v_mul_f32_e32 v82, v83, v107
	v_mul_f32_e32 v107, v84, v107
	s_waitcnt vmcnt(24)
	v_mul_f32_e32 v133, v85, v108
	v_mul_f32_e32 v108, v86, v108
	s_waitcnt vmcnt(23) lgkmcnt(4)
	v_mul_f32_e32 v134, v87, v109
	v_mul_f32_e32 v109, v88, v109
	s_waitcnt vmcnt(22)
	v_mul_f32_e32 v135, v89, v110
	v_mul_f32_e32 v110, v90, v110
	;; [unrolled: 6-line block ×3, first 2 shown]
	s_waitcnt vmcnt(13)
	v_fma_f32 v83, v83, v119, -v107
	v_fmac_f32_e32 v82, v84, v119
	s_waitcnt vmcnt(12)
	v_fma_f32 v84, v85, v120, -v108
	v_add_f32_e32 v83, 0, v83
	s_waitcnt vmcnt(11)
	v_fma_f32 v85, v87, v121, -v109
	v_add_f32_e32 v83, v83, v84
	v_fmac_f32_e32 v133, v86, v120
	s_waitcnt vmcnt(10)
	v_fma_f32 v86, v89, v122, -v110
	v_add_f32_e32 v83, v83, v85
	s_waitcnt vmcnt(9)
	v_fma_f32 v87, v91, v123, -v111
	v_add_f32_e32 v83, v83, v86
	s_waitcnt lgkmcnt(2)
	v_mul_f32_e32 v138, v95, v113
	v_mul_f32_e32 v113, v96, v113
	v_fmac_f32_e32 v134, v88, v121
	s_waitcnt vmcnt(8)
	v_fma_f32 v88, v93, v124, -v112
	v_add_f32_e32 v82, 0, v82
	v_add_f32_e32 v83, v83, v87
	v_mul_f32_e32 v139, v97, v114
	v_mul_f32_e32 v114, v98, v114
	s_waitcnt vmcnt(7)
	v_fma_f32 v89, v95, v125, -v113
	v_add_f32_e32 v82, v82, v133
	v_add_f32_e32 v83, v83, v88
	v_fmac_f32_e32 v135, v90, v122
	s_waitcnt vmcnt(6)
	v_fma_f32 v90, v97, v126, -v114
	v_add_f32_e32 v82, v82, v134
	v_add_f32_e32 v83, v83, v89
	s_waitcnt lgkmcnt(1)
	v_mul_f32_e32 v84, v100, v115
	v_fmac_f32_e32 v136, v92, v123
	v_add_f32_e32 v82, v82, v135
	v_add_f32_e32 v83, v83, v90
	s_waitcnt vmcnt(5)
	v_fma_f32 v84, v99, v127, -v84
	v_fmac_f32_e32 v137, v94, v124
	v_add_f32_e32 v82, v82, v136
	v_add_f32_e32 v83, v83, v84
	v_mul_f32_e32 v84, v102, v116
	v_fmac_f32_e32 v138, v96, v125
	v_add_f32_e32 v82, v82, v137
	s_waitcnt vmcnt(4)
	v_fma_f32 v84, v101, v128, -v84
	v_mul_f32_e32 v140, v99, v115
	v_fmac_f32_e32 v139, v98, v126
	v_add_f32_e32 v82, v82, v138
	v_add_f32_e32 v83, v83, v84
	s_waitcnt lgkmcnt(0)
	v_mul_f32_e32 v84, v104, v117
	v_mul_f32_e32 v141, v101, v116
	v_fmac_f32_e32 v140, v100, v127
	v_add_f32_e32 v82, v82, v139
	s_waitcnt vmcnt(3)
	v_fma_f32 v84, v103, v129, -v84
	v_mul_f32_e32 v142, v103, v117
	v_fmac_f32_e32 v141, v102, v128
	v_add_f32_e32 v82, v82, v140
	v_add_f32_e32 v83, v83, v84
	v_mul_f32_e32 v84, v106, v118
	v_mul_f32_e32 v143, v105, v118
	v_fmac_f32_e32 v142, v104, v129
	v_add_f32_e32 v82, v82, v141
	s_waitcnt vmcnt(2)
	v_fma_f32 v84, v105, v130, -v84
	v_fmac_f32_e32 v143, v106, v130
	v_add_f32_e32 v82, v82, v142
	v_add_f32_e32 v83, v83, v84
	;; [unrolled: 1-line block ×3, first 2 shown]
	s_waitcnt vmcnt(1)
	v_sub_f32_e32 v83, v131, v83
	s_waitcnt vmcnt(0)
	v_sub_f32_e32 v82, v132, v82
	buffer_store_dword v83, off, s[0:3], 0 offset:216
	buffer_store_dword v82, off, s[0:3], 0 offset:220
	s_and_saveexec_b64 s[4:5], vcc
	s_cbranch_execz .LBB39_201
; %bb.200:
	buffer_load_dword v82, off, s[0:3], 0 offset:208
	buffer_load_dword v83, off, s[0:3], 0 offset:212
	v_mov_b32_e32 v84, 0
	buffer_store_dword v84, off, s[0:3], 0 offset:208
	buffer_store_dword v84, off, s[0:3], 0 offset:212
	s_waitcnt vmcnt(2)
	ds_write_b64 v81, v[82:83]
.LBB39_201:
	s_or_b64 exec, exec, s[4:5]
	s_waitcnt lgkmcnt(0)
	; wave barrier
	buffer_load_dword v109, off, s[0:3], 0 offset:220
	buffer_load_dword v110, off, s[0:3], 0 offset:228
	;; [unrolled: 1-line block ×28, first 2 shown]
	v_mov_b32_e32 v82, 0
	ds_read2_b64 v[83:86], v82 offset0:67 offset1:68
	ds_read2_b64 v[87:90], v82 offset0:69 offset1:70
	;; [unrolled: 1-line block ×6, first 2 shown]
	ds_read_b64 v[107:108], v82 offset:632
	v_cmp_lt_u32_e32 vcc, 25, v0
	s_waitcnt vmcnt(27) lgkmcnt(6)
	v_mul_f32_e32 v137, v83, v109
	v_mul_f32_e32 v109, v84, v109
	s_waitcnt vmcnt(26)
	v_mul_f32_e32 v138, v85, v110
	v_mul_f32_e32 v110, v86, v110
	s_waitcnt vmcnt(25) lgkmcnt(5)
	v_mul_f32_e32 v139, v87, v111
	v_mul_f32_e32 v111, v88, v111
	s_waitcnt vmcnt(24)
	v_mul_f32_e32 v140, v89, v112
	v_mul_f32_e32 v112, v90, v112
	;; [unrolled: 6-line block ×3, first 2 shown]
	s_waitcnt vmcnt(21) lgkmcnt(3)
	v_mul_f32_e32 v143, v95, v115
	s_waitcnt vmcnt(14)
	v_fma_f32 v83, v83, v122, -v109
	v_fmac_f32_e32 v137, v84, v122
	s_waitcnt vmcnt(13)
	v_fma_f32 v84, v85, v123, -v110
	v_add_f32_e32 v83, 0, v83
	s_waitcnt vmcnt(12)
	v_fma_f32 v85, v87, v124, -v111
	v_add_f32_e32 v83, v83, v84
	v_fmac_f32_e32 v138, v86, v123
	s_waitcnt vmcnt(11)
	v_fma_f32 v86, v89, v125, -v112
	v_add_f32_e32 v83, v83, v85
	s_waitcnt vmcnt(10)
	v_fma_f32 v87, v91, v126, -v113
	v_add_f32_e32 v83, v83, v86
	v_fmac_f32_e32 v139, v88, v124
	s_waitcnt vmcnt(9)
	v_fma_f32 v88, v93, v127, -v114
	v_add_f32_e32 v83, v83, v87
	v_mul_f32_e32 v85, v96, v115
	v_add_f32_e32 v83, v83, v88
	s_waitcnt vmcnt(8)
	v_fma_f32 v85, v95, v128, -v85
	v_add_f32_e32 v83, v83, v85
	v_mul_f32_e32 v85, v98, v116
	v_add_f32_e32 v89, 0, v137
	s_waitcnt vmcnt(7)
	v_fma_f32 v85, v97, v129, -v85
	v_add_f32_e32 v89, v89, v138
	v_add_f32_e32 v83, v83, v85
	s_waitcnt lgkmcnt(2)
	v_mul_f32_e32 v85, v100, v117
	v_fmac_f32_e32 v140, v90, v125
	v_add_f32_e32 v84, v89, v139
	s_waitcnt vmcnt(6)
	v_fma_f32 v85, v99, v130, -v85
	v_fmac_f32_e32 v141, v92, v126
	v_add_f32_e32 v84, v84, v140
	v_add_f32_e32 v83, v83, v85
	v_mul_f32_e32 v85, v102, v118
	v_fmac_f32_e32 v142, v94, v127
	v_add_f32_e32 v84, v84, v141
	s_waitcnt vmcnt(5)
	v_fma_f32 v85, v101, v131, -v85
	v_mul_f32_e32 v144, v97, v116
	v_fmac_f32_e32 v143, v96, v128
	v_add_f32_e32 v84, v84, v142
	v_add_f32_e32 v83, v83, v85
	s_waitcnt lgkmcnt(1)
	v_mul_f32_e32 v85, v104, v119
	v_mul_f32_e32 v145, v99, v117
	v_fmac_f32_e32 v144, v98, v129
	v_add_f32_e32 v84, v84, v143
	s_waitcnt vmcnt(4)
	v_fma_f32 v85, v103, v132, -v85
	v_mul_f32_e32 v146, v101, v118
	v_fmac_f32_e32 v145, v100, v130
	v_add_f32_e32 v84, v84, v144
	v_add_f32_e32 v83, v83, v85
	v_mul_f32_e32 v85, v106, v120
	v_mul_f32_e32 v147, v103, v119
	v_fmac_f32_e32 v146, v102, v131
	v_add_f32_e32 v84, v84, v145
	s_waitcnt vmcnt(3)
	v_fma_f32 v85, v105, v133, -v85
	v_mul_f32_e32 v148, v105, v120
	v_fmac_f32_e32 v147, v104, v132
	v_add_f32_e32 v84, v84, v146
	v_add_f32_e32 v83, v83, v85
	s_waitcnt lgkmcnt(0)
	v_mul_f32_e32 v85, v108, v121
	v_mul_f32_e32 v149, v107, v121
	v_fmac_f32_e32 v148, v106, v133
	v_add_f32_e32 v84, v84, v147
	s_waitcnt vmcnt(2)
	v_fma_f32 v85, v107, v134, -v85
	v_fmac_f32_e32 v149, v108, v134
	v_add_f32_e32 v84, v84, v148
	v_add_f32_e32 v83, v83, v85
	;; [unrolled: 1-line block ×3, first 2 shown]
	s_waitcnt vmcnt(1)
	v_sub_f32_e32 v83, v135, v83
	s_waitcnt vmcnt(0)
	v_sub_f32_e32 v84, v136, v84
	buffer_store_dword v83, off, s[0:3], 0 offset:208
	buffer_store_dword v84, off, s[0:3], 0 offset:212
	s_and_saveexec_b64 s[4:5], vcc
	s_cbranch_execz .LBB39_203
; %bb.202:
	buffer_load_dword v83, off, s[0:3], 0 offset:200
	buffer_load_dword v84, off, s[0:3], 0 offset:204
	s_waitcnt vmcnt(0)
	ds_write_b64 v81, v[83:84]
	buffer_store_dword v82, off, s[0:3], 0 offset:200
	buffer_store_dword v82, off, s[0:3], 0 offset:204
.LBB39_203:
	s_or_b64 exec, exec, s[4:5]
	s_waitcnt lgkmcnt(0)
	; wave barrier
	buffer_load_dword v111, off, s[0:3], 0 offset:212
	buffer_load_dword v112, off, s[0:3], 0 offset:220
	;; [unrolled: 1-line block ×30, first 2 shown]
	ds_read_b128 v[83:86], v82 offset:528
	ds_read_b128 v[87:90], v82 offset:544
	;; [unrolled: 1-line block ×7, first 2 shown]
	v_cmp_lt_u32_e32 vcc, 24, v0
	s_waitcnt vmcnt(29) lgkmcnt(6)
	v_mul_f32_e32 v82, v83, v111
	v_mul_f32_e32 v111, v84, v111
	s_waitcnt vmcnt(28)
	v_mul_f32_e32 v141, v85, v112
	v_mul_f32_e32 v112, v86, v112
	s_waitcnt vmcnt(27) lgkmcnt(5)
	v_mul_f32_e32 v142, v87, v113
	v_mul_f32_e32 v113, v88, v113
	s_waitcnt vmcnt(26)
	v_mul_f32_e32 v143, v89, v114
	v_mul_f32_e32 v114, v90, v114
	s_waitcnt vmcnt(25) lgkmcnt(4)
	v_mul_f32_e32 v144, v91, v115
	v_mul_f32_e32 v115, v92, v115
	s_waitcnt vmcnt(24)
	v_mul_f32_e32 v145, v93, v116
	s_waitcnt vmcnt(23) lgkmcnt(3)
	v_mul_f32_e32 v146, v95, v117
	s_waitcnt vmcnt(22)
	v_mul_f32_e32 v147, v97, v118
	s_waitcnt vmcnt(21) lgkmcnt(2)
	v_mul_f32_e32 v148, v99, v119
	s_waitcnt vmcnt(15)
	v_fma_f32 v83, v83, v125, -v111
	v_fmac_f32_e32 v82, v84, v125
	s_waitcnt vmcnt(14)
	v_fma_f32 v84, v85, v126, -v112
	v_add_f32_e32 v83, 0, v83
	s_waitcnt vmcnt(13)
	v_fma_f32 v85, v87, v127, -v113
	v_add_f32_e32 v83, v83, v84
	v_fmac_f32_e32 v141, v86, v126
	s_waitcnt vmcnt(12)
	v_fma_f32 v86, v89, v128, -v114
	v_add_f32_e32 v83, v83, v85
	s_waitcnt vmcnt(11)
	v_fma_f32 v87, v91, v129, -v115
	v_add_f32_e32 v83, v83, v86
	v_mul_f32_e32 v84, v94, v116
	v_add_f32_e32 v83, v83, v87
	s_waitcnt vmcnt(10)
	v_fma_f32 v84, v93, v130, -v84
	v_add_f32_e32 v83, v83, v84
	v_mul_f32_e32 v84, v96, v117
	s_waitcnt vmcnt(9)
	v_fma_f32 v84, v95, v131, -v84
	v_add_f32_e32 v83, v83, v84
	v_mul_f32_e32 v84, v98, v118
	s_waitcnt vmcnt(8)
	v_fma_f32 v84, v97, v132, -v84
	v_add_f32_e32 v82, 0, v82
	v_add_f32_e32 v83, v83, v84
	v_mul_f32_e32 v84, v100, v119
	v_fmac_f32_e32 v142, v88, v127
	v_add_f32_e32 v82, v82, v141
	s_waitcnt vmcnt(7)
	v_fma_f32 v84, v99, v133, -v84
	v_fmac_f32_e32 v143, v90, v128
	v_add_f32_e32 v82, v82, v142
	v_add_f32_e32 v83, v83, v84
	v_mul_f32_e32 v84, v102, v120
	v_fmac_f32_e32 v144, v92, v129
	v_add_f32_e32 v82, v82, v143
	s_waitcnt vmcnt(6)
	v_fma_f32 v84, v101, v134, -v84
	v_fmac_f32_e32 v145, v94, v130
	v_add_f32_e32 v82, v82, v144
	v_add_f32_e32 v83, v83, v84
	s_waitcnt lgkmcnt(1)
	v_mul_f32_e32 v84, v104, v121
	v_fmac_f32_e32 v146, v96, v131
	v_add_f32_e32 v82, v82, v145
	s_waitcnt vmcnt(5)
	v_fma_f32 v84, v103, v135, -v84
	v_fmac_f32_e32 v147, v98, v132
	v_add_f32_e32 v82, v82, v146
	v_add_f32_e32 v83, v83, v84
	v_mul_f32_e32 v84, v106, v122
	v_mul_f32_e32 v149, v101, v120
	v_fmac_f32_e32 v148, v100, v133
	v_add_f32_e32 v82, v82, v147
	s_waitcnt vmcnt(4)
	v_fma_f32 v84, v105, v136, -v84
	v_mul_f32_e32 v150, v103, v121
	v_fmac_f32_e32 v149, v102, v134
	v_add_f32_e32 v82, v82, v148
	v_add_f32_e32 v83, v83, v84
	s_waitcnt lgkmcnt(0)
	v_mul_f32_e32 v84, v108, v123
	v_mul_f32_e32 v151, v105, v122
	v_fmac_f32_e32 v150, v104, v135
	v_add_f32_e32 v82, v82, v149
	s_waitcnt vmcnt(3)
	v_fma_f32 v84, v107, v137, -v84
	v_mul_f32_e32 v152, v107, v123
	v_fmac_f32_e32 v151, v106, v136
	v_add_f32_e32 v82, v82, v150
	v_add_f32_e32 v83, v83, v84
	v_mul_f32_e32 v84, v110, v124
	v_mul_f32_e32 v153, v109, v124
	v_fmac_f32_e32 v152, v108, v137
	v_add_f32_e32 v82, v82, v151
	s_waitcnt vmcnt(2)
	v_fma_f32 v84, v109, v138, -v84
	v_fmac_f32_e32 v153, v110, v138
	v_add_f32_e32 v82, v82, v152
	v_add_f32_e32 v83, v83, v84
	v_add_f32_e32 v82, v82, v153
	s_waitcnt vmcnt(1)
	v_sub_f32_e32 v83, v139, v83
	s_waitcnt vmcnt(0)
	v_sub_f32_e32 v82, v140, v82
	buffer_store_dword v83, off, s[0:3], 0 offset:200
	buffer_store_dword v82, off, s[0:3], 0 offset:204
	s_and_saveexec_b64 s[4:5], vcc
	s_cbranch_execz .LBB39_205
; %bb.204:
	buffer_load_dword v82, off, s[0:3], 0 offset:192
	buffer_load_dword v83, off, s[0:3], 0 offset:196
	v_mov_b32_e32 v84, 0
	buffer_store_dword v84, off, s[0:3], 0 offset:192
	buffer_store_dword v84, off, s[0:3], 0 offset:196
	s_waitcnt vmcnt(2)
	ds_write_b64 v81, v[82:83]
.LBB39_205:
	s_or_b64 exec, exec, s[4:5]
	s_waitcnt lgkmcnt(0)
	; wave barrier
	buffer_load_dword v113, off, s[0:3], 0 offset:204
	buffer_load_dword v114, off, s[0:3], 0 offset:212
	;; [unrolled: 1-line block ×32, first 2 shown]
	v_mov_b32_e32 v82, 0
	ds_read2_b64 v[83:86], v82 offset0:65 offset1:66
	ds_read2_b64 v[87:90], v82 offset0:67 offset1:68
	;; [unrolled: 1-line block ×7, first 2 shown]
	ds_read_b64 v[111:112], v82 offset:632
	v_cmp_lt_u32_e32 vcc, 23, v0
	s_waitcnt vmcnt(31) lgkmcnt(7)
	v_mul_f32_e32 v145, v83, v113
	v_mul_f32_e32 v113, v84, v113
	s_waitcnt vmcnt(30)
	v_mul_f32_e32 v146, v85, v114
	v_mul_f32_e32 v114, v86, v114
	s_waitcnt vmcnt(29) lgkmcnt(6)
	v_mul_f32_e32 v147, v87, v115
	v_mul_f32_e32 v115, v88, v115
	s_waitcnt vmcnt(28)
	v_mul_f32_e32 v148, v89, v116
	s_waitcnt vmcnt(27) lgkmcnt(5)
	v_mul_f32_e32 v149, v91, v117
	s_waitcnt vmcnt(26)
	v_mul_f32_e32 v150, v93, v118
	s_waitcnt vmcnt(25) lgkmcnt(4)
	;; [unrolled: 4-line block ×4, first 2 shown]
	v_mul_f32_e32 v155, v103, v123
	s_waitcnt vmcnt(20)
	v_mul_f32_e32 v156, v105, v124
	s_waitcnt vmcnt(16)
	v_fma_f32 v83, v83, v128, -v113
	v_fmac_f32_e32 v145, v84, v128
	s_waitcnt vmcnt(15)
	v_fma_f32 v84, v85, v129, -v114
	v_add_f32_e32 v83, 0, v83
	s_waitcnt vmcnt(14)
	v_fma_f32 v85, v87, v130, -v115
	v_add_f32_e32 v83, v83, v84
	v_add_f32_e32 v83, v83, v85
	v_mul_f32_e32 v85, v90, v116
	s_waitcnt vmcnt(13)
	v_fma_f32 v85, v89, v131, -v85
	v_add_f32_e32 v83, v83, v85
	v_mul_f32_e32 v85, v92, v117
	s_waitcnt vmcnt(12)
	v_fma_f32 v85, v91, v132, -v85
	;; [unrolled: 4-line block ×5, first 2 shown]
	v_add_f32_e32 v83, v83, v85
	v_mul_f32_e32 v85, v100, v121
	v_fmac_f32_e32 v146, v86, v129
	v_add_f32_e32 v86, 0, v145
	s_waitcnt vmcnt(8)
	v_fma_f32 v85, v99, v136, -v85
	v_fmac_f32_e32 v147, v88, v130
	v_add_f32_e32 v86, v86, v146
	v_add_f32_e32 v83, v83, v85
	v_mul_f32_e32 v85, v102, v122
	v_fmac_f32_e32 v148, v90, v131
	v_add_f32_e32 v84, v86, v147
	s_waitcnt vmcnt(7)
	v_fma_f32 v85, v101, v137, -v85
	v_fmac_f32_e32 v149, v92, v132
	v_add_f32_e32 v84, v84, v148
	;; [unrolled: 8-line block ×4, first 2 shown]
	v_add_f32_e32 v83, v83, v85
	s_waitcnt lgkmcnt(1)
	v_mul_f32_e32 v85, v108, v125
	v_fmac_f32_e32 v154, v102, v137
	v_add_f32_e32 v84, v84, v153
	s_waitcnt vmcnt(4)
	v_fma_f32 v85, v107, v140, -v85
	v_fmac_f32_e32 v155, v104, v138
	v_add_f32_e32 v84, v84, v154
	v_add_f32_e32 v83, v83, v85
	v_mul_f32_e32 v85, v110, v126
	v_mul_f32_e32 v157, v107, v125
	v_fmac_f32_e32 v156, v106, v139
	v_add_f32_e32 v84, v84, v155
	s_waitcnt vmcnt(3)
	v_fma_f32 v85, v109, v141, -v85
	v_mul_f32_e32 v158, v109, v126
	v_fmac_f32_e32 v157, v108, v140
	v_add_f32_e32 v84, v84, v156
	v_add_f32_e32 v83, v83, v85
	s_waitcnt lgkmcnt(0)
	v_mul_f32_e32 v85, v112, v127
	v_mul_f32_e32 v159, v111, v127
	v_fmac_f32_e32 v158, v110, v141
	v_add_f32_e32 v84, v84, v157
	s_waitcnt vmcnt(2)
	v_fma_f32 v85, v111, v142, -v85
	v_fmac_f32_e32 v159, v112, v142
	v_add_f32_e32 v84, v84, v158
	v_add_f32_e32 v83, v83, v85
	;; [unrolled: 1-line block ×3, first 2 shown]
	s_waitcnt vmcnt(1)
	v_sub_f32_e32 v83, v143, v83
	s_waitcnt vmcnt(0)
	v_sub_f32_e32 v84, v144, v84
	buffer_store_dword v83, off, s[0:3], 0 offset:192
	buffer_store_dword v84, off, s[0:3], 0 offset:196
	s_and_saveexec_b64 s[4:5], vcc
	s_cbranch_execz .LBB39_207
; %bb.206:
	buffer_load_dword v83, off, s[0:3], 0 offset:184
	buffer_load_dword v84, off, s[0:3], 0 offset:188
	s_waitcnt vmcnt(0)
	ds_write_b64 v81, v[83:84]
	buffer_store_dword v82, off, s[0:3], 0 offset:184
	buffer_store_dword v82, off, s[0:3], 0 offset:188
.LBB39_207:
	s_or_b64 exec, exec, s[4:5]
	s_waitcnt lgkmcnt(0)
	; wave barrier
	buffer_load_dword v115, off, s[0:3], 0 offset:196
	buffer_load_dword v116, off, s[0:3], 0 offset:204
	;; [unrolled: 1-line block ×34, first 2 shown]
	ds_read_b128 v[83:86], v82 offset:512
	ds_read_b128 v[87:90], v82 offset:528
	;; [unrolled: 1-line block ×8, first 2 shown]
	v_cmp_lt_u32_e32 vcc, 22, v0
	s_waitcnt vmcnt(33) lgkmcnt(7)
	v_mul_f32_e32 v82, v83, v115
	v_mul_f32_e32 v115, v84, v115
	s_waitcnt vmcnt(32)
	v_mul_f32_e32 v149, v85, v116
	v_mul_f32_e32 v116, v86, v116
	s_waitcnt vmcnt(31) lgkmcnt(6)
	v_mul_f32_e32 v150, v87, v117
	s_waitcnt vmcnt(30)
	v_mul_f32_e32 v151, v89, v118
	s_waitcnt vmcnt(29) lgkmcnt(5)
	v_mul_f32_e32 v152, v91, v119
	s_waitcnt vmcnt(28)
	;; [unrolled: 4-line block ×6, first 2 shown]
	v_mul_f32_e32 v161, v109, v128
	s_waitcnt vmcnt(17)
	v_fma_f32 v83, v83, v131, -v115
	v_fmac_f32_e32 v82, v84, v131
	s_waitcnt vmcnt(16)
	v_fma_f32 v84, v85, v132, -v116
	v_add_f32_e32 v83, 0, v83
	v_add_f32_e32 v83, v83, v84
	v_mul_f32_e32 v84, v88, v117
	s_waitcnt vmcnt(15)
	v_fma_f32 v84, v87, v133, -v84
	v_add_f32_e32 v83, v83, v84
	v_mul_f32_e32 v84, v90, v118
	s_waitcnt vmcnt(14)
	v_fma_f32 v84, v89, v134, -v84
	v_add_f32_e32 v83, v83, v84
	v_mul_f32_e32 v84, v92, v119
	s_waitcnt vmcnt(13)
	v_fma_f32 v84, v91, v135, -v84
	v_add_f32_e32 v83, v83, v84
	v_mul_f32_e32 v84, v94, v120
	s_waitcnt vmcnt(12)
	v_fma_f32 v84, v93, v136, -v84
	v_add_f32_e32 v83, v83, v84
	v_mul_f32_e32 v84, v96, v121
	s_waitcnt vmcnt(11)
	v_fma_f32 v84, v95, v137, -v84
	v_add_f32_e32 v83, v83, v84
	v_mul_f32_e32 v84, v98, v122
	s_waitcnt vmcnt(10)
	v_fma_f32 v84, v97, v138, -v84
	v_add_f32_e32 v83, v83, v84
	v_mul_f32_e32 v84, v100, v123
	s_waitcnt vmcnt(9)
	v_fma_f32 v84, v99, v139, -v84
	v_fmac_f32_e32 v149, v86, v132
	v_add_f32_e32 v82, 0, v82
	v_add_f32_e32 v83, v83, v84
	v_mul_f32_e32 v84, v102, v124
	v_fmac_f32_e32 v150, v88, v133
	v_add_f32_e32 v82, v82, v149
	s_waitcnt vmcnt(8)
	v_fma_f32 v84, v101, v140, -v84
	v_fmac_f32_e32 v151, v90, v134
	v_add_f32_e32 v82, v82, v150
	v_add_f32_e32 v83, v83, v84
	v_mul_f32_e32 v84, v104, v125
	v_fmac_f32_e32 v152, v92, v135
	v_add_f32_e32 v82, v82, v151
	s_waitcnt vmcnt(7)
	v_fma_f32 v84, v103, v141, -v84
	;; [unrolled: 8-line block ×5, first 2 shown]
	v_fmac_f32_e32 v159, v106, v142
	v_add_f32_e32 v82, v82, v158
	v_add_f32_e32 v83, v83, v84
	s_waitcnt lgkmcnt(0)
	v_mul_f32_e32 v84, v112, v129
	v_fmac_f32_e32 v160, v108, v143
	v_add_f32_e32 v82, v82, v159
	s_waitcnt vmcnt(3)
	v_fma_f32 v84, v111, v145, -v84
	v_mul_f32_e32 v162, v111, v129
	v_fmac_f32_e32 v161, v110, v144
	v_add_f32_e32 v82, v82, v160
	v_add_f32_e32 v83, v83, v84
	v_mul_f32_e32 v84, v114, v130
	v_mul_f32_e32 v163, v113, v130
	v_fmac_f32_e32 v162, v112, v145
	v_add_f32_e32 v82, v82, v161
	s_waitcnt vmcnt(2)
	v_fma_f32 v84, v113, v146, -v84
	v_fmac_f32_e32 v163, v114, v146
	v_add_f32_e32 v82, v82, v162
	v_add_f32_e32 v83, v83, v84
	;; [unrolled: 1-line block ×3, first 2 shown]
	s_waitcnt vmcnt(1)
	v_sub_f32_e32 v83, v147, v83
	s_waitcnt vmcnt(0)
	v_sub_f32_e32 v82, v148, v82
	buffer_store_dword v83, off, s[0:3], 0 offset:184
	buffer_store_dword v82, off, s[0:3], 0 offset:188
	s_and_saveexec_b64 s[4:5], vcc
	s_cbranch_execz .LBB39_209
; %bb.208:
	buffer_load_dword v82, off, s[0:3], 0 offset:176
	buffer_load_dword v83, off, s[0:3], 0 offset:180
	v_mov_b32_e32 v84, 0
	buffer_store_dword v84, off, s[0:3], 0 offset:176
	buffer_store_dword v84, off, s[0:3], 0 offset:180
	s_waitcnt vmcnt(2)
	ds_write_b64 v81, v[82:83]
.LBB39_209:
	s_or_b64 exec, exec, s[4:5]
	s_waitcnt lgkmcnt(0)
	; wave barrier
	buffer_load_dword v117, off, s[0:3], 0 offset:188
	buffer_load_dword v118, off, s[0:3], 0 offset:196
	;; [unrolled: 1-line block ×36, first 2 shown]
	v_mov_b32_e32 v82, 0
	ds_read2_b64 v[83:86], v82 offset0:63 offset1:64
	ds_read2_b64 v[87:90], v82 offset0:65 offset1:66
	ds_read2_b64 v[91:94], v82 offset0:67 offset1:68
	ds_read2_b64 v[95:98], v82 offset0:69 offset1:70
	ds_read2_b64 v[99:102], v82 offset0:71 offset1:72
	ds_read2_b64 v[103:106], v82 offset0:73 offset1:74
	ds_read2_b64 v[107:110], v82 offset0:75 offset1:76
	ds_read2_b64 v[111:114], v82 offset0:77 offset1:78
	ds_read_b64 v[115:116], v82 offset:632
	v_cmp_lt_u32_e32 vcc, 21, v0
	s_waitcnt vmcnt(35) lgkmcnt(8)
	v_mul_f32_e32 v153, v83, v117
	s_waitcnt vmcnt(34)
	v_mul_f32_e32 v154, v85, v118
	s_waitcnt vmcnt(33) lgkmcnt(7)
	v_mul_f32_e32 v155, v87, v119
	s_waitcnt vmcnt(32)
	v_mul_f32_e32 v156, v89, v120
	s_waitcnt vmcnt(31) lgkmcnt(6)
	v_mul_f32_e32 v157, v91, v121
	s_waitcnt vmcnt(30)
	v_mul_f32_e32 v158, v93, v122
	s_waitcnt vmcnt(29) lgkmcnt(5)
	v_mul_f32_e32 v159, v95, v123
	s_waitcnt vmcnt(28)
	v_mul_f32_e32 v160, v97, v124
	s_waitcnt vmcnt(27) lgkmcnt(4)
	v_mul_f32_e32 v161, v99, v125
	s_waitcnt vmcnt(26)
	v_mul_f32_e32 v162, v101, v126
	s_waitcnt vmcnt(25) lgkmcnt(3)
	v_mul_f32_e32 v163, v103, v127
	s_waitcnt vmcnt(24)
	v_mul_f32_e32 v164, v105, v128
	s_waitcnt vmcnt(23) lgkmcnt(2)
	v_mul_f32_e32 v165, v107, v129
	s_waitcnt vmcnt(22)
	v_mul_f32_e32 v166, v109, v130
	s_waitcnt vmcnt(21) lgkmcnt(1)
	v_mul_f32_e32 v167, v111, v131
	s_waitcnt vmcnt(20)
	v_mul_f32_e32 v168, v113, v132
	s_waitcnt vmcnt(19) lgkmcnt(0)
	v_mul_f32_e32 v169, v115, v133
	s_waitcnt vmcnt(18)
	v_fmac_f32_e32 v153, v84, v134
	v_mul_f32_e32 v84, v84, v117
	v_fma_f32 v83, v83, v134, -v84
	v_mul_f32_e32 v84, v86, v118
	v_add_f32_e32 v83, 0, v83
	s_waitcnt vmcnt(17)
	v_fma_f32 v84, v85, v135, -v84
	v_add_f32_e32 v83, v83, v84
	v_mul_f32_e32 v84, v88, v119
	s_waitcnt vmcnt(16)
	v_fma_f32 v84, v87, v136, -v84
	v_add_f32_e32 v83, v83, v84
	v_mul_f32_e32 v84, v90, v120
	;; [unrolled: 4-line block ×8, first 2 shown]
	v_fmac_f32_e32 v154, v86, v135
	v_add_f32_e32 v153, 0, v153
	s_waitcnt vmcnt(9)
	v_fma_f32 v84, v101, v143, -v84
	v_fmac_f32_e32 v155, v88, v136
	v_add_f32_e32 v153, v153, v154
	v_add_f32_e32 v83, v83, v84
	v_mul_f32_e32 v84, v104, v127
	v_fmac_f32_e32 v156, v90, v137
	v_add_f32_e32 v153, v153, v155
	s_waitcnt vmcnt(8)
	v_fma_f32 v84, v103, v144, -v84
	v_fmac_f32_e32 v157, v92, v138
	v_add_f32_e32 v153, v153, v156
	v_add_f32_e32 v83, v83, v84
	v_mul_f32_e32 v84, v106, v128
	;; [unrolled: 8-line block ×7, first 2 shown]
	v_fmac_f32_e32 v168, v114, v149
	v_add_f32_e32 v153, v153, v167
	s_waitcnt vmcnt(2)
	v_fma_f32 v84, v115, v150, -v84
	v_fmac_f32_e32 v169, v116, v150
	v_add_f32_e32 v153, v153, v168
	v_add_f32_e32 v83, v83, v84
	;; [unrolled: 1-line block ×3, first 2 shown]
	s_waitcnt vmcnt(1)
	v_sub_f32_e32 v83, v151, v83
	s_waitcnt vmcnt(0)
	v_sub_f32_e32 v84, v152, v153
	buffer_store_dword v83, off, s[0:3], 0 offset:176
	buffer_store_dword v84, off, s[0:3], 0 offset:180
	s_and_saveexec_b64 s[4:5], vcc
	s_cbranch_execz .LBB39_211
; %bb.210:
	buffer_load_dword v83, off, s[0:3], 0 offset:168
	buffer_load_dword v84, off, s[0:3], 0 offset:172
	s_waitcnt vmcnt(0)
	ds_write_b64 v81, v[83:84]
	buffer_store_dword v82, off, s[0:3], 0 offset:168
	buffer_store_dword v82, off, s[0:3], 0 offset:172
.LBB39_211:
	s_or_b64 exec, exec, s[4:5]
	s_waitcnt lgkmcnt(0)
	; wave barrier
	buffer_load_dword v119, off, s[0:3], 0 offset:180
	buffer_load_dword v120, off, s[0:3], 0 offset:188
	;; [unrolled: 1-line block ×38, first 2 shown]
	ds_read_b128 v[83:86], v82 offset:496
	ds_read_b128 v[87:90], v82 offset:512
	;; [unrolled: 1-line block ×9, first 2 shown]
	v_cmp_lt_u32_e32 vcc, 20, v0
	s_waitcnt vmcnt(37) lgkmcnt(8)
	v_mul_f32_e32 v82, v83, v119
	s_waitcnt vmcnt(36)
	v_mul_f32_e32 v157, v85, v120
	s_waitcnt vmcnt(35) lgkmcnt(7)
	v_mul_f32_e32 v158, v87, v121
	s_waitcnt vmcnt(34)
	v_mul_f32_e32 v159, v89, v122
	;; [unrolled: 4-line block ×8, first 2 shown]
	s_waitcnt vmcnt(21) lgkmcnt(0)
	v_mul_f32_e32 v172, v115, v135
	s_waitcnt vmcnt(20)
	v_fmac_f32_e32 v82, v84, v136
	v_mul_f32_e32 v84, v84, v119
	v_fma_f32 v83, v83, v136, -v84
	v_mul_f32_e32 v84, v86, v120
	v_add_f32_e32 v83, 0, v83
	s_waitcnt vmcnt(19)
	v_fma_f32 v84, v85, v137, -v84
	v_add_f32_e32 v83, v83, v84
	v_mul_f32_e32 v84, v88, v121
	s_waitcnt vmcnt(18)
	v_fma_f32 v84, v87, v138, -v84
	v_add_f32_e32 v83, v83, v84
	v_mul_f32_e32 v84, v90, v122
	;; [unrolled: 4-line block ×8, first 2 shown]
	s_waitcnt vmcnt(11)
	v_fma_f32 v84, v101, v145, -v84
	v_fmac_f32_e32 v157, v86, v137
	v_add_f32_e32 v82, 0, v82
	v_add_f32_e32 v83, v83, v84
	v_mul_f32_e32 v84, v104, v129
	v_fmac_f32_e32 v158, v88, v138
	v_add_f32_e32 v82, v82, v157
	s_waitcnt vmcnt(10)
	v_fma_f32 v84, v103, v146, -v84
	v_fmac_f32_e32 v159, v90, v139
	v_add_f32_e32 v82, v82, v158
	v_add_f32_e32 v83, v83, v84
	v_mul_f32_e32 v84, v106, v130
	v_fmac_f32_e32 v160, v92, v140
	v_add_f32_e32 v82, v82, v159
	;; [unrolled: 8-line block ×7, first 2 shown]
	s_waitcnt vmcnt(4)
	v_fma_f32 v84, v115, v152, -v84
	v_fmac_f32_e32 v171, v114, v151
	v_add_f32_e32 v82, v82, v170
	v_add_f32_e32 v83, v83, v84
	s_waitcnt vmcnt(3)
	v_mul_f32_e32 v84, v118, v153
	v_add_f32_e32 v82, v82, v171
	v_fmac_f32_e32 v172, v116, v152
	v_mul_f32_e32 v157, v117, v153
	s_waitcnt vmcnt(2)
	v_fma_f32 v84, v117, v154, -v84
	v_add_f32_e32 v82, v82, v172
	v_fmac_f32_e32 v157, v118, v154
	v_add_f32_e32 v83, v83, v84
	v_add_f32_e32 v82, v82, v157
	s_waitcnt vmcnt(1)
	v_sub_f32_e32 v83, v155, v83
	s_waitcnt vmcnt(0)
	v_sub_f32_e32 v82, v156, v82
	buffer_store_dword v83, off, s[0:3], 0 offset:168
	buffer_store_dword v82, off, s[0:3], 0 offset:172
	s_and_saveexec_b64 s[4:5], vcc
	s_cbranch_execz .LBB39_213
; %bb.212:
	buffer_load_dword v82, off, s[0:3], 0 offset:160
	buffer_load_dword v83, off, s[0:3], 0 offset:164
	v_mov_b32_e32 v84, 0
	buffer_store_dword v84, off, s[0:3], 0 offset:160
	buffer_store_dword v84, off, s[0:3], 0 offset:164
	s_waitcnt vmcnt(2)
	ds_write_b64 v81, v[82:83]
.LBB39_213:
	s_or_b64 exec, exec, s[4:5]
	s_waitcnt lgkmcnt(0)
	; wave barrier
	buffer_load_dword v121, off, s[0:3], 0 offset:172
	buffer_load_dword v122, off, s[0:3], 0 offset:180
	;; [unrolled: 1-line block ×40, first 2 shown]
	v_mov_b32_e32 v82, 0
	ds_read2_b64 v[83:86], v82 offset0:61 offset1:62
	ds_read2_b64 v[87:90], v82 offset0:63 offset1:64
	;; [unrolled: 1-line block ×9, first 2 shown]
	v_cmp_lt_u32_e32 vcc, 19, v0
	s_waitcnt vmcnt(39) lgkmcnt(8)
	v_mul_f32_e32 v119, v83, v121
	s_waitcnt vmcnt(38)
	v_mul_f32_e32 v120, v85, v122
	s_waitcnt vmcnt(37) lgkmcnt(7)
	v_mul_f32_e32 v161, v87, v123
	s_waitcnt vmcnt(36)
	v_mul_f32_e32 v162, v89, v124
	;; [unrolled: 4-line block ×7, first 2 shown]
	s_waitcnt vmcnt(25) lgkmcnt(1)
	v_mul_f32_e32 v173, v111, v135
	s_waitcnt vmcnt(24)
	v_fmac_f32_e32 v119, v84, v136
	v_mul_f32_e32 v84, v84, v121
	v_fma_f32 v83, v83, v136, -v84
	v_mul_f32_e32 v84, v86, v122
	v_add_f32_e32 v83, 0, v83
	s_waitcnt vmcnt(23)
	v_fma_f32 v84, v85, v137, -v84
	v_add_f32_e32 v83, v83, v84
	v_mul_f32_e32 v84, v88, v123
	s_waitcnt vmcnt(22)
	v_fma_f32 v84, v87, v138, -v84
	v_add_f32_e32 v83, v83, v84
	v_mul_f32_e32 v84, v90, v124
	;; [unrolled: 4-line block ×6, first 2 shown]
	s_waitcnt vmcnt(17)
	v_fma_f32 v84, v97, v143, -v84
	v_fmac_f32_e32 v120, v86, v137
	v_add_f32_e32 v119, 0, v119
	v_add_f32_e32 v83, v83, v84
	v_mul_f32_e32 v84, v100, v129
	v_fmac_f32_e32 v161, v88, v138
	v_add_f32_e32 v119, v119, v120
	s_waitcnt vmcnt(16)
	v_fma_f32 v84, v99, v144, -v84
	v_fmac_f32_e32 v162, v90, v139
	v_add_f32_e32 v119, v119, v161
	v_add_f32_e32 v83, v83, v84
	v_mul_f32_e32 v84, v102, v130
	v_fmac_f32_e32 v163, v92, v140
	v_add_f32_e32 v119, v119, v162
	;; [unrolled: 8-line block ×6, first 2 shown]
	s_waitcnt vmcnt(11)
	v_fma_f32 v84, v109, v149, -v84
	v_fmac_f32_e32 v172, v110, v149
	v_add_f32_e32 v119, v119, v171
	v_add_f32_e32 v83, v83, v84
	v_mul_f32_e32 v84, v112, v135
	s_waitcnt vmcnt(10)
	v_fmac_f32_e32 v173, v112, v150
	v_add_f32_e32 v119, v119, v172
	s_waitcnt vmcnt(9)
	v_mul_f32_e32 v120, v113, v151
	v_fma_f32 v84, v111, v150, -v84
	v_add_f32_e32 v119, v119, v173
	s_waitcnt vmcnt(8)
	v_fmac_f32_e32 v120, v114, v152
	v_add_f32_e32 v83, v83, v84
	v_mul_f32_e32 v84, v114, v151
	v_add_f32_e32 v161, v119, v120
	ds_read_b64 v[119:120], v82 offset:632
	v_fma_f32 v84, v113, v152, -v84
	v_add_f32_e32 v83, v83, v84
	s_waitcnt vmcnt(7) lgkmcnt(1)
	v_mul_f32_e32 v84, v116, v153
	v_mul_f32_e32 v162, v115, v153
	s_waitcnt vmcnt(6)
	v_fma_f32 v84, v115, v154, -v84
	v_fmac_f32_e32 v162, v116, v154
	v_add_f32_e32 v83, v83, v84
	s_waitcnt vmcnt(5)
	v_mul_f32_e32 v84, v118, v155
	v_add_f32_e32 v161, v161, v162
	v_mul_f32_e32 v162, v117, v155
	s_waitcnt vmcnt(4)
	v_fma_f32 v84, v117, v156, -v84
	v_fmac_f32_e32 v162, v118, v156
	v_add_f32_e32 v83, v83, v84
	s_waitcnt vmcnt(3) lgkmcnt(0)
	v_mul_f32_e32 v84, v120, v157
	v_add_f32_e32 v161, v161, v162
	v_mul_f32_e32 v162, v119, v157
	s_waitcnt vmcnt(2)
	v_fma_f32 v84, v119, v158, -v84
	v_fmac_f32_e32 v162, v120, v158
	v_add_f32_e32 v83, v83, v84
	v_add_f32_e32 v161, v161, v162
	s_waitcnt vmcnt(1)
	v_sub_f32_e32 v83, v159, v83
	s_waitcnt vmcnt(0)
	v_sub_f32_e32 v84, v160, v161
	buffer_store_dword v83, off, s[0:3], 0 offset:160
	buffer_store_dword v84, off, s[0:3], 0 offset:164
	s_and_saveexec_b64 s[4:5], vcc
	s_cbranch_execz .LBB39_215
; %bb.214:
	buffer_load_dword v83, off, s[0:3], 0 offset:152
	buffer_load_dword v84, off, s[0:3], 0 offset:156
	s_waitcnt vmcnt(0)
	ds_write_b64 v81, v[83:84]
	buffer_store_dword v82, off, s[0:3], 0 offset:152
	buffer_store_dword v82, off, s[0:3], 0 offset:156
.LBB39_215:
	s_or_b64 exec, exec, s[4:5]
	s_waitcnt lgkmcnt(0)
	; wave barrier
	buffer_load_dword v123, off, s[0:3], 0 offset:164
	buffer_load_dword v124, off, s[0:3], 0 offset:172
	;; [unrolled: 1-line block ×42, first 2 shown]
	ds_read_b128 v[83:86], v82 offset:480
	ds_read_b128 v[87:90], v82 offset:496
	;; [unrolled: 1-line block ×8, first 2 shown]
	v_cmp_lt_u32_e32 vcc, 18, v0
	s_waitcnt vmcnt(41) lgkmcnt(7)
	v_mul_f32_e32 v115, v83, v123
	s_waitcnt vmcnt(40)
	v_mul_f32_e32 v116, v85, v124
	s_waitcnt vmcnt(39) lgkmcnt(6)
	v_mul_f32_e32 v117, v87, v125
	s_waitcnt vmcnt(38)
	v_mul_f32_e32 v118, v89, v126
	s_waitcnt vmcnt(37) lgkmcnt(5)
	v_mul_f32_e32 v119, v91, v127
	s_waitcnt vmcnt(36)
	v_mul_f32_e32 v120, v93, v128
	s_waitcnt vmcnt(35) lgkmcnt(4)
	v_mul_f32_e32 v121, v95, v129
	s_waitcnt vmcnt(34)
	v_mul_f32_e32 v122, v97, v130
	s_waitcnt vmcnt(33) lgkmcnt(3)
	v_mul_f32_e32 v165, v99, v131
	s_waitcnt vmcnt(32)
	v_mul_f32_e32 v166, v101, v132
	s_waitcnt vmcnt(31) lgkmcnt(2)
	v_mul_f32_e32 v167, v103, v133
	s_waitcnt vmcnt(30)
	v_mul_f32_e32 v168, v105, v134
	s_waitcnt vmcnt(29) lgkmcnt(1)
	v_mul_f32_e32 v169, v107, v135
	s_waitcnt vmcnt(28)
	v_mul_f32_e32 v170, v109, v136
	s_waitcnt vmcnt(27) lgkmcnt(0)
	v_mul_f32_e32 v171, v111, v137
	s_waitcnt vmcnt(26)
	v_fmac_f32_e32 v115, v84, v138
	v_mul_f32_e32 v84, v84, v123
	v_fma_f32 v83, v83, v138, -v84
	v_mul_f32_e32 v84, v86, v124
	v_add_f32_e32 v83, 0, v83
	s_waitcnt vmcnt(25)
	v_fma_f32 v84, v85, v139, -v84
	v_add_f32_e32 v83, v83, v84
	v_mul_f32_e32 v84, v88, v125
	s_waitcnt vmcnt(24)
	v_fma_f32 v84, v87, v140, -v84
	v_add_f32_e32 v83, v83, v84
	v_mul_f32_e32 v84, v90, v126
	;; [unrolled: 4-line block ×5, first 2 shown]
	v_fmac_f32_e32 v116, v86, v139
	v_add_f32_e32 v115, 0, v115
	s_waitcnt vmcnt(20)
	v_fma_f32 v84, v95, v144, -v84
	v_fmac_f32_e32 v117, v88, v140
	v_add_f32_e32 v115, v115, v116
	v_add_f32_e32 v83, v83, v84
	v_mul_f32_e32 v84, v98, v130
	v_fmac_f32_e32 v118, v90, v141
	v_add_f32_e32 v115, v115, v117
	s_waitcnt vmcnt(19)
	v_fma_f32 v84, v97, v145, -v84
	v_fmac_f32_e32 v119, v92, v142
	v_add_f32_e32 v115, v115, v118
	v_add_f32_e32 v83, v83, v84
	v_mul_f32_e32 v84, v100, v131
	;; [unrolled: 8-line block ×5, first 2 shown]
	s_waitcnt vmcnt(15)
	v_fmac_f32_e32 v168, v106, v149
	v_add_f32_e32 v115, v115, v167
	v_fma_f32 v84, v105, v149, -v84
	s_waitcnt vmcnt(14)
	v_fmac_f32_e32 v169, v108, v150
	v_add_f32_e32 v115, v115, v168
	v_add_f32_e32 v83, v83, v84
	v_mul_f32_e32 v84, v108, v135
	s_waitcnt vmcnt(13)
	v_fmac_f32_e32 v170, v110, v151
	v_add_f32_e32 v115, v115, v169
	v_fma_f32 v84, v107, v150, -v84
	s_waitcnt vmcnt(12)
	v_fmac_f32_e32 v171, v112, v152
	v_add_f32_e32 v115, v115, v170
	v_add_f32_e32 v83, v83, v84
	v_mul_f32_e32 v84, v110, v136
	v_add_f32_e32 v119, v115, v171
	ds_read_b128 v[115:118], v82 offset:608
	v_fma_f32 v84, v109, v151, -v84
	v_add_f32_e32 v83, v83, v84
	v_mul_f32_e32 v84, v112, v137
	s_waitcnt vmcnt(11)
	v_mul_f32_e32 v120, v113, v153
	v_fma_f32 v84, v111, v152, -v84
	s_waitcnt vmcnt(10)
	v_fmac_f32_e32 v120, v114, v154
	v_add_f32_e32 v83, v83, v84
	v_mul_f32_e32 v84, v114, v153
	v_add_f32_e32 v165, v119, v120
	ds_read_b128 v[119:122], v82 offset:624
	v_fma_f32 v84, v113, v154, -v84
	v_add_f32_e32 v83, v83, v84
	s_waitcnt vmcnt(9) lgkmcnt(1)
	v_mul_f32_e32 v84, v116, v155
	v_mul_f32_e32 v82, v115, v155
	s_waitcnt vmcnt(8)
	v_fma_f32 v84, v115, v156, -v84
	v_fmac_f32_e32 v82, v116, v156
	v_add_f32_e32 v83, v83, v84
	s_waitcnt vmcnt(7)
	v_mul_f32_e32 v84, v118, v157
	v_add_f32_e32 v82, v165, v82
	v_mul_f32_e32 v165, v117, v157
	s_waitcnt vmcnt(6)
	v_fma_f32 v84, v117, v158, -v84
	v_fmac_f32_e32 v165, v118, v158
	v_add_f32_e32 v83, v83, v84
	s_waitcnt vmcnt(5) lgkmcnt(0)
	v_mul_f32_e32 v84, v120, v159
	v_add_f32_e32 v82, v82, v165
	v_mul_f32_e32 v165, v119, v159
	s_waitcnt vmcnt(4)
	v_fma_f32 v84, v119, v160, -v84
	v_fmac_f32_e32 v165, v120, v160
	v_add_f32_e32 v83, v83, v84
	s_waitcnt vmcnt(3)
	v_mul_f32_e32 v84, v122, v161
	v_add_f32_e32 v82, v82, v165
	v_mul_f32_e32 v165, v121, v161
	s_waitcnt vmcnt(2)
	v_fma_f32 v84, v121, v162, -v84
	v_fmac_f32_e32 v165, v122, v162
	v_add_f32_e32 v83, v83, v84
	v_add_f32_e32 v82, v82, v165
	s_waitcnt vmcnt(1)
	v_sub_f32_e32 v83, v163, v83
	s_waitcnt vmcnt(0)
	v_sub_f32_e32 v82, v164, v82
	buffer_store_dword v83, off, s[0:3], 0 offset:152
	buffer_store_dword v82, off, s[0:3], 0 offset:156
	s_and_saveexec_b64 s[4:5], vcc
	s_cbranch_execz .LBB39_217
; %bb.216:
	buffer_load_dword v82, off, s[0:3], 0 offset:144
	buffer_load_dword v83, off, s[0:3], 0 offset:148
	v_mov_b32_e32 v84, 0
	buffer_store_dword v84, off, s[0:3], 0 offset:144
	buffer_store_dword v84, off, s[0:3], 0 offset:148
	s_waitcnt vmcnt(2)
	ds_write_b64 v81, v[82:83]
.LBB39_217:
	s_or_b64 exec, exec, s[4:5]
	s_waitcnt lgkmcnt(0)
	; wave barrier
	buffer_load_dword v125, off, s[0:3], 0 offset:156
	buffer_load_dword v126, off, s[0:3], 0 offset:164
	;; [unrolled: 1-line block ×44, first 2 shown]
	v_mov_b32_e32 v82, 0
	ds_read2_b64 v[83:86], v82 offset0:59 offset1:60
	ds_read2_b64 v[87:90], v82 offset0:61 offset1:62
	;; [unrolled: 1-line block ×8, first 2 shown]
	v_cmp_lt_u32_e32 vcc, 17, v0
	s_waitcnt vmcnt(43) lgkmcnt(7)
	v_mul_f32_e32 v115, v83, v125
	s_waitcnt vmcnt(42)
	v_mul_f32_e32 v116, v85, v126
	s_waitcnt vmcnt(41) lgkmcnt(6)
	v_mul_f32_e32 v117, v87, v127
	s_waitcnt vmcnt(40)
	v_mul_f32_e32 v118, v89, v128
	;; [unrolled: 4-line block ×7, first 2 shown]
	s_waitcnt vmcnt(29)
	v_fmac_f32_e32 v115, v84, v139
	v_mul_f32_e32 v84, v84, v125
	v_fma_f32 v83, v83, v139, -v84
	v_mul_f32_e32 v84, v86, v126
	v_add_f32_e32 v83, 0, v83
	s_waitcnt vmcnt(28)
	v_fma_f32 v84, v85, v140, -v84
	v_add_f32_e32 v83, v83, v84
	v_mul_f32_e32 v84, v88, v127
	s_waitcnt vmcnt(27)
	v_fma_f32 v84, v87, v141, -v84
	v_add_f32_e32 v83, v83, v84
	v_mul_f32_e32 v84, v90, v128
	;; [unrolled: 4-line block ×4, first 2 shown]
	s_waitcnt vmcnt(24)
	v_fma_f32 v84, v93, v144, -v84
	v_fmac_f32_e32 v116, v86, v140
	v_add_f32_e32 v115, 0, v115
	v_add_f32_e32 v83, v83, v84
	v_mul_f32_e32 v84, v96, v131
	v_fmac_f32_e32 v117, v88, v141
	v_add_f32_e32 v115, v115, v116
	s_waitcnt vmcnt(23)
	v_fma_f32 v84, v95, v145, -v84
	v_fmac_f32_e32 v118, v90, v142
	v_add_f32_e32 v115, v115, v117
	v_add_f32_e32 v83, v83, v84
	v_mul_f32_e32 v84, v98, v132
	v_fmac_f32_e32 v119, v92, v143
	v_add_f32_e32 v115, v115, v118
	;; [unrolled: 8-line block ×4, first 2 shown]
	s_waitcnt vmcnt(20)
	v_fma_f32 v84, v101, v148, -v84
	v_fmac_f32_e32 v124, v102, v148
	v_add_f32_e32 v115, v115, v123
	v_add_f32_e32 v83, v83, v84
	v_mul_f32_e32 v84, v104, v135
	s_waitcnt vmcnt(19)
	v_fmac_f32_e32 v169, v104, v149
	v_add_f32_e32 v115, v115, v124
	v_fma_f32 v84, v103, v149, -v84
	s_waitcnt vmcnt(18)
	v_fmac_f32_e32 v170, v106, v150
	v_add_f32_e32 v115, v115, v169
	v_add_f32_e32 v83, v83, v84
	v_mul_f32_e32 v84, v106, v136
	s_waitcnt vmcnt(17)
	v_fmac_f32_e32 v171, v108, v151
	v_add_f32_e32 v115, v115, v170
	v_fma_f32 v84, v105, v150, -v84
	v_add_f32_e32 v115, v115, v171
	s_waitcnt vmcnt(16)
	v_fmac_f32_e32 v172, v110, v152
	s_waitcnt vmcnt(15) lgkmcnt(0)
	v_mul_f32_e32 v116, v111, v153
	v_add_f32_e32 v83, v83, v84
	v_mul_f32_e32 v84, v108, v137
	v_add_f32_e32 v115, v115, v172
	s_waitcnt vmcnt(14)
	v_fmac_f32_e32 v116, v112, v154
	v_fma_f32 v84, v107, v151, -v84
	v_add_f32_e32 v119, v115, v116
	ds_read2_b64 v[115:118], v82 offset0:75 offset1:76
	v_add_f32_e32 v83, v83, v84
	v_mul_f32_e32 v84, v110, v138
	v_fma_f32 v84, v109, v152, -v84
	v_add_f32_e32 v83, v83, v84
	v_mul_f32_e32 v84, v112, v153
	s_waitcnt vmcnt(13)
	v_mul_f32_e32 v120, v113, v155
	v_fma_f32 v84, v111, v154, -v84
	s_waitcnt vmcnt(12)
	v_fmac_f32_e32 v120, v114, v156
	v_add_f32_e32 v83, v83, v84
	v_mul_f32_e32 v84, v114, v155
	v_add_f32_e32 v123, v119, v120
	ds_read2_b64 v[119:122], v82 offset0:77 offset1:78
	s_waitcnt vmcnt(11) lgkmcnt(1)
	v_mul_f32_e32 v124, v115, v157
	v_fma_f32 v84, v113, v156, -v84
	s_waitcnt vmcnt(10)
	v_fmac_f32_e32 v124, v116, v158
	v_add_f32_e32 v83, v83, v84
	v_mul_f32_e32 v84, v116, v157
	v_add_f32_e32 v123, v123, v124
	s_waitcnt vmcnt(9)
	v_mul_f32_e32 v124, v117, v159
	v_fma_f32 v84, v115, v158, -v84
	s_waitcnt vmcnt(8)
	v_fmac_f32_e32 v124, v118, v160
	v_add_f32_e32 v83, v83, v84
	v_mul_f32_e32 v84, v118, v159
	v_add_f32_e32 v169, v123, v124
	ds_read_b64 v[123:124], v82 offset:632
	v_fma_f32 v84, v117, v160, -v84
	v_add_f32_e32 v83, v83, v84
	s_waitcnt vmcnt(7) lgkmcnt(1)
	v_mul_f32_e32 v84, v120, v161
	v_mul_f32_e32 v170, v119, v161
	s_waitcnt vmcnt(6)
	v_fma_f32 v84, v119, v162, -v84
	v_fmac_f32_e32 v170, v120, v162
	v_add_f32_e32 v83, v83, v84
	s_waitcnt vmcnt(5)
	v_mul_f32_e32 v84, v122, v163
	v_add_f32_e32 v169, v169, v170
	v_mul_f32_e32 v170, v121, v163
	s_waitcnt vmcnt(4)
	v_fma_f32 v84, v121, v164, -v84
	v_fmac_f32_e32 v170, v122, v164
	v_add_f32_e32 v83, v83, v84
	s_waitcnt vmcnt(3) lgkmcnt(0)
	v_mul_f32_e32 v84, v124, v165
	v_add_f32_e32 v169, v169, v170
	v_mul_f32_e32 v170, v123, v165
	s_waitcnt vmcnt(2)
	v_fma_f32 v84, v123, v166, -v84
	v_fmac_f32_e32 v170, v124, v166
	v_add_f32_e32 v83, v83, v84
	v_add_f32_e32 v169, v169, v170
	s_waitcnt vmcnt(1)
	v_sub_f32_e32 v83, v167, v83
	s_waitcnt vmcnt(0)
	v_sub_f32_e32 v84, v168, v169
	buffer_store_dword v83, off, s[0:3], 0 offset:144
	buffer_store_dword v84, off, s[0:3], 0 offset:148
	s_and_saveexec_b64 s[4:5], vcc
	s_cbranch_execz .LBB39_219
; %bb.218:
	buffer_load_dword v83, off, s[0:3], 0 offset:136
	buffer_load_dword v84, off, s[0:3], 0 offset:140
	s_waitcnt vmcnt(0)
	ds_write_b64 v81, v[83:84]
	buffer_store_dword v82, off, s[0:3], 0 offset:136
	buffer_store_dword v82, off, s[0:3], 0 offset:140
.LBB39_219:
	s_or_b64 exec, exec, s[4:5]
	s_waitcnt lgkmcnt(0)
	; wave barrier
	buffer_load_dword v127, off, s[0:3], 0 offset:148
	buffer_load_dword v128, off, s[0:3], 0 offset:156
	;; [unrolled: 1-line block ×46, first 2 shown]
	ds_read_b128 v[83:86], v82 offset:464
	ds_read_b128 v[87:90], v82 offset:480
	;; [unrolled: 1-line block ×8, first 2 shown]
	v_cmp_lt_u32_e32 vcc, 16, v0
	s_waitcnt vmcnt(45) lgkmcnt(7)
	v_mul_f32_e32 v115, v83, v127
	s_waitcnt vmcnt(44)
	v_mul_f32_e32 v116, v85, v128
	s_waitcnt vmcnt(43) lgkmcnt(6)
	v_mul_f32_e32 v117, v87, v129
	s_waitcnt vmcnt(42)
	v_mul_f32_e32 v118, v89, v130
	;; [unrolled: 4-line block ×6, first 2 shown]
	s_waitcnt vmcnt(33) lgkmcnt(1)
	v_mul_f32_e32 v173, v107, v139
	s_waitcnt vmcnt(32)
	v_fmac_f32_e32 v115, v84, v140
	v_mul_f32_e32 v84, v84, v127
	v_fma_f32 v83, v83, v140, -v84
	v_mul_f32_e32 v84, v86, v128
	v_add_f32_e32 v83, 0, v83
	s_waitcnt vmcnt(31)
	v_fma_f32 v84, v85, v141, -v84
	v_add_f32_e32 v83, v83, v84
	v_mul_f32_e32 v84, v88, v129
	s_waitcnt vmcnt(30)
	v_fma_f32 v84, v87, v142, -v84
	v_add_f32_e32 v83, v83, v84
	v_mul_f32_e32 v84, v90, v130
	;; [unrolled: 4-line block ×4, first 2 shown]
	v_fmac_f32_e32 v116, v86, v141
	v_add_f32_e32 v115, 0, v115
	s_waitcnt vmcnt(27)
	v_fma_f32 v84, v93, v145, -v84
	v_fmac_f32_e32 v117, v88, v142
	v_add_f32_e32 v115, v115, v116
	v_add_f32_e32 v83, v83, v84
	v_mul_f32_e32 v84, v96, v133
	v_fmac_f32_e32 v118, v90, v143
	v_add_f32_e32 v115, v115, v117
	s_waitcnt vmcnt(26)
	v_fma_f32 v84, v95, v146, -v84
	v_fmac_f32_e32 v119, v92, v144
	v_add_f32_e32 v115, v115, v118
	v_add_f32_e32 v83, v83, v84
	v_mul_f32_e32 v84, v98, v134
	v_fmac_f32_e32 v120, v94, v145
	v_add_f32_e32 v115, v115, v119
	s_waitcnt vmcnt(25)
	v_fma_f32 v84, v97, v147, -v84
	v_fmac_f32_e32 v121, v96, v146
	v_add_f32_e32 v115, v115, v120
	v_add_f32_e32 v83, v83, v84
	v_mul_f32_e32 v84, v100, v135
	v_fmac_f32_e32 v122, v98, v147
	v_add_f32_e32 v115, v115, v121
	s_waitcnt vmcnt(24)
	v_fma_f32 v84, v99, v148, -v84
	v_fmac_f32_e32 v123, v100, v148
	v_add_f32_e32 v115, v115, v122
	v_add_f32_e32 v83, v83, v84
	v_mul_f32_e32 v84, v102, v136
	s_waitcnt vmcnt(23)
	v_fmac_f32_e32 v124, v102, v149
	v_add_f32_e32 v115, v115, v123
	v_fma_f32 v84, v101, v149, -v84
	s_waitcnt vmcnt(22)
	v_fmac_f32_e32 v125, v104, v150
	v_add_f32_e32 v115, v115, v124
	v_add_f32_e32 v83, v83, v84
	v_mul_f32_e32 v84, v104, v137
	s_waitcnt vmcnt(21)
	v_fmac_f32_e32 v126, v106, v151
	v_add_f32_e32 v115, v115, v125
	v_fma_f32 v84, v103, v150, -v84
	s_waitcnt vmcnt(20)
	v_fmac_f32_e32 v173, v108, v152
	v_add_f32_e32 v115, v115, v126
	s_waitcnt vmcnt(19)
	v_mul_f32_e32 v116, v109, v153
	v_add_f32_e32 v83, v83, v84
	v_mul_f32_e32 v84, v106, v138
	v_add_f32_e32 v115, v115, v173
	s_waitcnt vmcnt(18)
	v_fmac_f32_e32 v116, v110, v154
	v_fma_f32 v84, v105, v151, -v84
	v_add_f32_e32 v115, v115, v116
	s_waitcnt vmcnt(17) lgkmcnt(0)
	v_mul_f32_e32 v116, v111, v155
	v_add_f32_e32 v83, v83, v84
	v_mul_f32_e32 v84, v108, v139
	s_waitcnt vmcnt(16)
	v_fmac_f32_e32 v116, v112, v156
	v_fma_f32 v84, v107, v152, -v84
	v_add_f32_e32 v119, v115, v116
	ds_read_b128 v[115:118], v82 offset:592
	v_add_f32_e32 v83, v83, v84
	v_mul_f32_e32 v84, v110, v153
	v_fma_f32 v84, v109, v154, -v84
	v_add_f32_e32 v83, v83, v84
	v_mul_f32_e32 v84, v112, v155
	s_waitcnt vmcnt(15)
	v_mul_f32_e32 v120, v113, v157
	v_fma_f32 v84, v111, v156, -v84
	s_waitcnt vmcnt(14)
	v_fmac_f32_e32 v120, v114, v158
	v_add_f32_e32 v83, v83, v84
	v_mul_f32_e32 v84, v114, v157
	v_add_f32_e32 v123, v119, v120
	ds_read_b128 v[119:122], v82 offset:608
	s_waitcnt vmcnt(13) lgkmcnt(1)
	v_mul_f32_e32 v124, v115, v159
	v_fma_f32 v84, v113, v158, -v84
	s_waitcnt vmcnt(12)
	v_fmac_f32_e32 v124, v116, v160
	v_add_f32_e32 v83, v83, v84
	v_mul_f32_e32 v84, v116, v159
	v_add_f32_e32 v123, v123, v124
	s_waitcnt vmcnt(11)
	v_mul_f32_e32 v124, v117, v161
	v_fma_f32 v84, v115, v160, -v84
	s_waitcnt vmcnt(10)
	v_fmac_f32_e32 v124, v118, v162
	v_add_f32_e32 v83, v83, v84
	v_mul_f32_e32 v84, v118, v161
	v_add_f32_e32 v173, v123, v124
	ds_read_b128 v[123:126], v82 offset:624
	v_fma_f32 v84, v117, v162, -v84
	v_add_f32_e32 v83, v83, v84
	s_waitcnt vmcnt(9) lgkmcnt(1)
	v_mul_f32_e32 v84, v120, v163
	v_mul_f32_e32 v174, v119, v163
	s_waitcnt vmcnt(8)
	v_fma_f32 v84, v119, v164, -v84
	v_fmac_f32_e32 v174, v120, v164
	v_add_f32_e32 v83, v83, v84
	s_waitcnt vmcnt(7)
	v_mul_f32_e32 v84, v122, v165
	v_add_f32_e32 v82, v173, v174
	v_mul_f32_e32 v173, v121, v165
	s_waitcnt vmcnt(6)
	v_fma_f32 v84, v121, v166, -v84
	v_fmac_f32_e32 v173, v122, v166
	v_add_f32_e32 v83, v83, v84
	s_waitcnt vmcnt(5) lgkmcnt(0)
	v_mul_f32_e32 v84, v124, v167
	v_add_f32_e32 v82, v82, v173
	v_mul_f32_e32 v173, v123, v167
	s_waitcnt vmcnt(4)
	v_fma_f32 v84, v123, v168, -v84
	v_fmac_f32_e32 v173, v124, v168
	v_add_f32_e32 v83, v83, v84
	s_waitcnt vmcnt(3)
	v_mul_f32_e32 v84, v126, v169
	v_add_f32_e32 v82, v82, v173
	v_mul_f32_e32 v173, v125, v169
	s_waitcnt vmcnt(2)
	v_fma_f32 v84, v125, v170, -v84
	v_fmac_f32_e32 v173, v126, v170
	v_add_f32_e32 v83, v83, v84
	v_add_f32_e32 v82, v82, v173
	s_waitcnt vmcnt(1)
	v_sub_f32_e32 v83, v171, v83
	s_waitcnt vmcnt(0)
	v_sub_f32_e32 v82, v172, v82
	buffer_store_dword v83, off, s[0:3], 0 offset:136
	buffer_store_dword v82, off, s[0:3], 0 offset:140
	s_and_saveexec_b64 s[4:5], vcc
	s_cbranch_execz .LBB39_221
; %bb.220:
	buffer_load_dword v82, off, s[0:3], 0 offset:128
	buffer_load_dword v83, off, s[0:3], 0 offset:132
	v_mov_b32_e32 v84, 0
	buffer_store_dword v84, off, s[0:3], 0 offset:128
	buffer_store_dword v84, off, s[0:3], 0 offset:132
	s_waitcnt vmcnt(2)
	ds_write_b64 v81, v[82:83]
.LBB39_221:
	s_or_b64 exec, exec, s[4:5]
	s_waitcnt lgkmcnt(0)
	; wave barrier
	buffer_load_dword v129, off, s[0:3], 0 offset:140
	buffer_load_dword v130, off, s[0:3], 0 offset:148
	;; [unrolled: 1-line block ×48, first 2 shown]
	v_mov_b32_e32 v82, 0
	ds_read2_b64 v[83:86], v82 offset0:57 offset1:58
	ds_read2_b64 v[87:90], v82 offset0:59 offset1:60
	;; [unrolled: 1-line block ×7, first 2 shown]
	v_cmp_lt_u32_e32 vcc, 15, v0
	s_waitcnt vmcnt(47) lgkmcnt(6)
	v_mul_f32_e32 v111, v83, v129
	s_waitcnt vmcnt(46)
	v_mul_f32_e32 v112, v85, v130
	s_waitcnt vmcnt(45) lgkmcnt(5)
	v_mul_f32_e32 v113, v87, v131
	s_waitcnt vmcnt(44)
	v_mul_f32_e32 v114, v89, v132
	;; [unrolled: 4-line block ×6, first 2 shown]
	s_waitcnt vmcnt(35)
	v_fmac_f32_e32 v111, v84, v141
	v_mul_f32_e32 v84, v84, v129
	v_fma_f32 v83, v83, v141, -v84
	v_mul_f32_e32 v84, v86, v130
	v_add_f32_e32 v83, 0, v83
	s_waitcnt vmcnt(34)
	v_fma_f32 v84, v85, v142, -v84
	v_add_f32_e32 v83, v83, v84
	v_mul_f32_e32 v84, v88, v131
	s_waitcnt vmcnt(33)
	v_fma_f32 v84, v87, v143, -v84
	v_fmac_f32_e32 v112, v86, v142
	v_add_f32_e32 v111, 0, v111
	v_add_f32_e32 v83, v83, v84
	v_mul_f32_e32 v84, v90, v132
	v_fmac_f32_e32 v113, v88, v143
	v_add_f32_e32 v111, v111, v112
	s_waitcnt vmcnt(32)
	v_fma_f32 v84, v89, v144, -v84
	v_fmac_f32_e32 v114, v90, v144
	v_add_f32_e32 v111, v111, v113
	v_add_f32_e32 v83, v83, v84
	v_mul_f32_e32 v84, v92, v133
	s_waitcnt vmcnt(31)
	v_fmac_f32_e32 v115, v92, v145
	v_add_f32_e32 v111, v111, v114
	v_fma_f32 v84, v91, v145, -v84
	s_waitcnt vmcnt(30)
	v_fmac_f32_e32 v116, v94, v146
	v_add_f32_e32 v111, v111, v115
	v_add_f32_e32 v83, v83, v84
	v_mul_f32_e32 v84, v94, v134
	s_waitcnt vmcnt(29)
	v_fmac_f32_e32 v117, v96, v147
	v_add_f32_e32 v111, v111, v116
	v_fma_f32 v84, v93, v146, -v84
	s_waitcnt vmcnt(28)
	;; [unrolled: 9-line block ×4, first 2 shown]
	v_fmac_f32_e32 v122, v106, v152
	v_add_f32_e32 v111, v111, v121
	v_add_f32_e32 v83, v83, v84
	v_mul_f32_e32 v84, v100, v137
	v_add_f32_e32 v115, v111, v122
	ds_read2_b64 v[111:114], v82 offset0:71 offset1:72
	v_fma_f32 v84, v99, v149, -v84
	s_waitcnt vmcnt(23) lgkmcnt(1)
	v_mul_f32_e32 v116, v107, v153
	v_add_f32_e32 v83, v83, v84
	v_mul_f32_e32 v84, v102, v138
	s_waitcnt vmcnt(22)
	v_fmac_f32_e32 v116, v108, v154
	v_fma_f32 v84, v101, v150, -v84
	v_add_f32_e32 v115, v115, v116
	s_waitcnt vmcnt(21)
	v_mul_f32_e32 v116, v109, v155
	v_add_f32_e32 v83, v83, v84
	v_mul_f32_e32 v84, v104, v139
	s_waitcnt vmcnt(20)
	v_fmac_f32_e32 v116, v110, v156
	v_fma_f32 v84, v103, v151, -v84
	v_add_f32_e32 v115, v115, v116
	s_waitcnt vmcnt(19) lgkmcnt(0)
	v_mul_f32_e32 v116, v111, v157
	v_add_f32_e32 v83, v83, v84
	v_mul_f32_e32 v84, v106, v140
	s_waitcnt vmcnt(18)
	v_fmac_f32_e32 v116, v112, v158
	v_fma_f32 v84, v105, v152, -v84
	v_add_f32_e32 v119, v115, v116
	ds_read2_b64 v[115:118], v82 offset0:73 offset1:74
	v_add_f32_e32 v83, v83, v84
	v_mul_f32_e32 v84, v108, v153
	v_fma_f32 v84, v107, v154, -v84
	s_waitcnt vmcnt(17)
	v_mul_f32_e32 v120, v113, v159
	v_add_f32_e32 v83, v83, v84
	v_mul_f32_e32 v84, v110, v155
	s_waitcnt vmcnt(16)
	v_fmac_f32_e32 v120, v114, v160
	v_fma_f32 v84, v109, v156, -v84
	v_add_f32_e32 v123, v119, v120
	ds_read2_b64 v[119:122], v82 offset0:75 offset1:76
	v_add_f32_e32 v83, v83, v84
	v_mul_f32_e32 v84, v112, v157
	s_waitcnt vmcnt(15) lgkmcnt(1)
	v_mul_f32_e32 v124, v115, v161
	v_fma_f32 v84, v111, v158, -v84
	s_waitcnt vmcnt(14)
	v_fmac_f32_e32 v124, v116, v162
	v_add_f32_e32 v83, v83, v84
	v_mul_f32_e32 v84, v114, v159
	v_add_f32_e32 v123, v123, v124
	s_waitcnt vmcnt(13)
	v_mul_f32_e32 v124, v117, v163
	v_fma_f32 v84, v113, v160, -v84
	s_waitcnt vmcnt(12)
	v_fmac_f32_e32 v124, v118, v164
	v_add_f32_e32 v83, v83, v84
	v_mul_f32_e32 v84, v116, v161
	v_add_f32_e32 v123, v123, v124
	s_waitcnt vmcnt(11) lgkmcnt(0)
	v_mul_f32_e32 v124, v119, v165
	v_fma_f32 v84, v115, v162, -v84
	s_waitcnt vmcnt(10)
	v_fmac_f32_e32 v124, v120, v166
	v_add_f32_e32 v83, v83, v84
	v_mul_f32_e32 v84, v118, v163
	v_add_f32_e32 v127, v123, v124
	ds_read2_b64 v[123:126], v82 offset0:77 offset1:78
	v_fma_f32 v84, v117, v164, -v84
	v_add_f32_e32 v83, v83, v84
	v_mul_f32_e32 v84, v120, v165
	s_waitcnt vmcnt(9)
	v_mul_f32_e32 v128, v121, v167
	v_fma_f32 v84, v119, v166, -v84
	s_waitcnt vmcnt(8)
	v_fmac_f32_e32 v128, v122, v168
	v_add_f32_e32 v83, v83, v84
	v_mul_f32_e32 v84, v122, v167
	v_add_f32_e32 v177, v127, v128
	ds_read_b64 v[127:128], v82 offset:632
	v_fma_f32 v84, v121, v168, -v84
	v_add_f32_e32 v83, v83, v84
	s_waitcnt vmcnt(6) lgkmcnt(1)
	v_mul_f32_e32 v84, v124, v170
	v_mul_f32_e32 v178, v123, v170
	v_fma_f32 v84, v123, v169, -v84
	v_fmac_f32_e32 v178, v124, v169
	v_add_f32_e32 v83, v83, v84
	s_waitcnt vmcnt(3)
	v_mul_f32_e32 v84, v126, v173
	v_add_f32_e32 v177, v177, v178
	v_mul_f32_e32 v178, v125, v173
	s_waitcnt vmcnt(2)
	v_fma_f32 v84, v125, v174, -v84
	v_fmac_f32_e32 v178, v126, v174
	v_add_f32_e32 v83, v83, v84
	s_waitcnt vmcnt(0) lgkmcnt(0)
	v_mul_f32_e32 v84, v128, v176
	v_add_f32_e32 v177, v177, v178
	v_mul_f32_e32 v178, v127, v176
	v_fma_f32 v84, v127, v175, -v84
	v_fmac_f32_e32 v178, v128, v175
	v_add_f32_e32 v83, v83, v84
	v_add_f32_e32 v177, v177, v178
	v_sub_f32_e32 v83, v171, v83
	v_sub_f32_e32 v84, v172, v177
	buffer_store_dword v83, off, s[0:3], 0 offset:128
	buffer_store_dword v84, off, s[0:3], 0 offset:132
	s_and_saveexec_b64 s[4:5], vcc
	s_cbranch_execz .LBB39_223
; %bb.222:
	buffer_load_dword v83, off, s[0:3], 0 offset:120
	buffer_load_dword v84, off, s[0:3], 0 offset:124
	s_waitcnt vmcnt(0)
	ds_write_b64 v81, v[83:84]
	buffer_store_dword v82, off, s[0:3], 0 offset:120
	buffer_store_dword v82, off, s[0:3], 0 offset:124
.LBB39_223:
	s_or_b64 exec, exec, s[4:5]
	s_waitcnt lgkmcnt(0)
	; wave barrier
	buffer_load_dword v131, off, s[0:3], 0 offset:132
	buffer_load_dword v132, off, s[0:3], 0 offset:140
	;; [unrolled: 1-line block ×48, first 2 shown]
	ds_read_b128 v[83:86], v82 offset:448
	ds_read_b128 v[87:90], v82 offset:464
	buffer_load_dword v179, off, s[0:3], 0 offset:312
	buffer_load_dword v180, off, s[0:3], 0 offset:316
	ds_read_b128 v[91:94], v82 offset:480
	ds_read_b128 v[95:98], v82 offset:496
	;; [unrolled: 1-line block ×5, first 2 shown]
	v_cmp_lt_u32_e32 vcc, 14, v0
	s_waitcnt vmcnt(49) lgkmcnt(6)
	v_mul_f32_e32 v111, v83, v131
	s_waitcnt vmcnt(48)
	v_mul_f32_e32 v112, v85, v132
	s_waitcnt vmcnt(47) lgkmcnt(5)
	v_mul_f32_e32 v113, v87, v133
	s_waitcnt vmcnt(46)
	v_mul_f32_e32 v114, v89, v134
	;; [unrolled: 4-line block ×6, first 2 shown]
	s_waitcnt vmcnt(37)
	v_fmac_f32_e32 v111, v84, v143
	v_mul_f32_e32 v84, v84, v131
	v_fma_f32 v83, v83, v143, -v84
	v_mul_f32_e32 v84, v86, v132
	v_add_f32_e32 v83, 0, v83
	s_waitcnt vmcnt(36)
	v_fma_f32 v84, v85, v144, -v84
	v_add_f32_e32 v83, v83, v84
	v_mul_f32_e32 v84, v88, v133
	s_waitcnt vmcnt(35)
	v_fma_f32 v84, v87, v145, -v84
	v_fmac_f32_e32 v112, v86, v144
	v_add_f32_e32 v111, 0, v111
	v_add_f32_e32 v83, v83, v84
	v_mul_f32_e32 v84, v90, v134
	v_fmac_f32_e32 v113, v88, v145
	v_add_f32_e32 v111, v111, v112
	s_waitcnt vmcnt(34)
	v_fma_f32 v84, v89, v146, -v84
	v_fmac_f32_e32 v114, v90, v146
	v_add_f32_e32 v111, v111, v113
	v_add_f32_e32 v83, v83, v84
	v_mul_f32_e32 v84, v92, v135
	s_waitcnt vmcnt(33)
	v_fmac_f32_e32 v115, v92, v147
	v_add_f32_e32 v111, v111, v114
	v_fma_f32 v84, v91, v147, -v84
	s_waitcnt vmcnt(32)
	v_fmac_f32_e32 v116, v94, v148
	v_add_f32_e32 v111, v111, v115
	v_add_f32_e32 v83, v83, v84
	v_mul_f32_e32 v84, v94, v136
	s_waitcnt vmcnt(31)
	v_fmac_f32_e32 v117, v96, v149
	v_add_f32_e32 v111, v111, v116
	v_fma_f32 v84, v93, v148, -v84
	s_waitcnt vmcnt(30)
	;; [unrolled: 9-line block ×3, first 2 shown]
	v_fmac_f32_e32 v120, v102, v152
	v_add_f32_e32 v111, v111, v119
	v_add_f32_e32 v83, v83, v84
	v_mul_f32_e32 v84, v98, v138
	s_waitcnt vmcnt(27)
	v_fmac_f32_e32 v121, v104, v153
	v_add_f32_e32 v111, v111, v120
	v_fma_f32 v84, v97, v150, -v84
	v_add_f32_e32 v111, v111, v121
	s_waitcnt vmcnt(26)
	v_fmac_f32_e32 v122, v106, v154
	v_add_f32_e32 v83, v83, v84
	v_mul_f32_e32 v84, v100, v139
	v_add_f32_e32 v115, v111, v122
	ds_read_b128 v[111:114], v82 offset:560
	v_fma_f32 v84, v99, v151, -v84
	s_waitcnt vmcnt(25) lgkmcnt(1)
	v_mul_f32_e32 v116, v107, v155
	v_add_f32_e32 v83, v83, v84
	v_mul_f32_e32 v84, v102, v140
	s_waitcnt vmcnt(24)
	v_fmac_f32_e32 v116, v108, v156
	v_fma_f32 v84, v101, v152, -v84
	v_add_f32_e32 v115, v115, v116
	s_waitcnt vmcnt(23)
	v_mul_f32_e32 v116, v109, v157
	v_add_f32_e32 v83, v83, v84
	v_mul_f32_e32 v84, v104, v141
	s_waitcnt vmcnt(22)
	v_fmac_f32_e32 v116, v110, v158
	v_fma_f32 v84, v103, v153, -v84
	v_add_f32_e32 v115, v115, v116
	s_waitcnt vmcnt(21) lgkmcnt(0)
	v_mul_f32_e32 v116, v111, v159
	v_add_f32_e32 v83, v83, v84
	v_mul_f32_e32 v84, v106, v142
	s_waitcnt vmcnt(20)
	v_fmac_f32_e32 v116, v112, v160
	v_fma_f32 v84, v105, v154, -v84
	v_add_f32_e32 v119, v115, v116
	ds_read_b128 v[115:118], v82 offset:576
	v_add_f32_e32 v83, v83, v84
	v_mul_f32_e32 v84, v108, v155
	v_fma_f32 v84, v107, v156, -v84
	s_waitcnt vmcnt(19)
	v_mul_f32_e32 v120, v113, v161
	v_add_f32_e32 v83, v83, v84
	v_mul_f32_e32 v84, v110, v157
	s_waitcnt vmcnt(18)
	v_fmac_f32_e32 v120, v114, v162
	v_fma_f32 v84, v109, v158, -v84
	v_add_f32_e32 v123, v119, v120
	ds_read_b128 v[119:122], v82 offset:592
	v_add_f32_e32 v83, v83, v84
	v_mul_f32_e32 v84, v112, v159
	s_waitcnt vmcnt(17) lgkmcnt(1)
	v_mul_f32_e32 v124, v115, v163
	v_fma_f32 v84, v111, v160, -v84
	s_waitcnt vmcnt(16)
	v_fmac_f32_e32 v124, v116, v164
	v_add_f32_e32 v83, v83, v84
	v_mul_f32_e32 v84, v114, v161
	v_add_f32_e32 v123, v123, v124
	s_waitcnt vmcnt(15)
	v_mul_f32_e32 v124, v117, v165
	v_fma_f32 v84, v113, v162, -v84
	s_waitcnt vmcnt(14)
	v_fmac_f32_e32 v124, v118, v166
	v_add_f32_e32 v83, v83, v84
	v_mul_f32_e32 v84, v116, v163
	v_add_f32_e32 v123, v123, v124
	s_waitcnt vmcnt(13) lgkmcnt(0)
	v_mul_f32_e32 v124, v119, v167
	v_fma_f32 v84, v115, v164, -v84
	s_waitcnt vmcnt(12)
	v_fmac_f32_e32 v124, v120, v168
	v_add_f32_e32 v83, v83, v84
	v_mul_f32_e32 v84, v118, v165
	v_add_f32_e32 v127, v123, v124
	ds_read_b128 v[123:126], v82 offset:608
	v_fma_f32 v84, v117, v166, -v84
	v_add_f32_e32 v83, v83, v84
	v_mul_f32_e32 v84, v120, v167
	s_waitcnt vmcnt(11)
	v_mul_f32_e32 v128, v121, v169
	v_fma_f32 v84, v119, v168, -v84
	s_waitcnt vmcnt(10)
	v_fmac_f32_e32 v128, v122, v170
	v_add_f32_e32 v83, v83, v84
	v_mul_f32_e32 v84, v122, v169
	v_add_f32_e32 v181, v127, v128
	ds_read_b128 v[127:130], v82 offset:624
	v_fma_f32 v84, v121, v170, -v84
	v_add_f32_e32 v83, v83, v84
	s_waitcnt vmcnt(7) lgkmcnt(1)
	v_mul_f32_e32 v84, v124, v173
	v_mul_f32_e32 v82, v123, v173
	s_waitcnt vmcnt(6)
	v_fma_f32 v84, v123, v174, -v84
	v_fmac_f32_e32 v82, v124, v174
	v_add_f32_e32 v83, v83, v84
	s_waitcnt vmcnt(4)
	v_mul_f32_e32 v84, v126, v176
	v_add_f32_e32 v82, v181, v82
	v_mul_f32_e32 v181, v125, v176
	v_fma_f32 v84, v125, v175, -v84
	v_fmac_f32_e32 v181, v126, v175
	v_add_f32_e32 v83, v83, v84
	s_waitcnt vmcnt(2) lgkmcnt(0)
	v_mul_f32_e32 v84, v128, v178
	v_add_f32_e32 v82, v82, v181
	v_mul_f32_e32 v181, v127, v178
	v_fma_f32 v84, v127, v177, -v84
	v_fmac_f32_e32 v181, v128, v177
	v_add_f32_e32 v83, v83, v84
	s_waitcnt vmcnt(0)
	v_mul_f32_e32 v84, v130, v180
	v_add_f32_e32 v82, v82, v181
	v_mul_f32_e32 v181, v129, v180
	v_fma_f32 v84, v129, v179, -v84
	v_fmac_f32_e32 v181, v130, v179
	v_add_f32_e32 v83, v83, v84
	v_add_f32_e32 v82, v82, v181
	v_sub_f32_e32 v83, v171, v83
	v_sub_f32_e32 v82, v172, v82
	buffer_store_dword v83, off, s[0:3], 0 offset:120
	buffer_store_dword v82, off, s[0:3], 0 offset:124
	s_and_saveexec_b64 s[4:5], vcc
	s_cbranch_execz .LBB39_225
; %bb.224:
	buffer_load_dword v82, off, s[0:3], 0 offset:112
	buffer_load_dword v83, off, s[0:3], 0 offset:116
	v_mov_b32_e32 v84, 0
	buffer_store_dword v84, off, s[0:3], 0 offset:112
	buffer_store_dword v84, off, s[0:3], 0 offset:116
	s_waitcnt vmcnt(2)
	ds_write_b64 v81, v[82:83]
.LBB39_225:
	s_or_b64 exec, exec, s[4:5]
	s_waitcnt lgkmcnt(0)
	; wave barrier
	buffer_load_dword v133, off, s[0:3], 0 offset:124
	buffer_load_dword v134, off, s[0:3], 0 offset:132
	;; [unrolled: 1-line block ×52, first 2 shown]
	v_mov_b32_e32 v82, 0
	ds_read2_b64 v[83:86], v82 offset0:55 offset1:56
	ds_read2_b64 v[87:90], v82 offset0:57 offset1:58
	;; [unrolled: 1-line block ×6, first 2 shown]
	v_cmp_lt_u32_e32 vcc, 13, v0
	s_waitcnt vmcnt(51) lgkmcnt(5)
	v_mul_f32_e32 v107, v83, v133
	s_waitcnt vmcnt(50)
	v_mul_f32_e32 v108, v85, v134
	s_waitcnt vmcnt(49) lgkmcnt(4)
	v_mul_f32_e32 v109, v87, v135
	s_waitcnt vmcnt(48)
	v_mul_f32_e32 v110, v89, v136
	s_waitcnt vmcnt(47) lgkmcnt(3)
	v_mul_f32_e32 v111, v91, v137
	s_waitcnt vmcnt(46)
	v_mul_f32_e32 v112, v93, v138
	s_waitcnt vmcnt(45) lgkmcnt(2)
	v_mul_f32_e32 v113, v95, v139
	s_waitcnt vmcnt(44)
	v_mul_f32_e32 v114, v97, v140
	s_waitcnt vmcnt(43) lgkmcnt(1)
	v_mul_f32_e32 v115, v99, v141
	s_waitcnt vmcnt(42)
	v_mul_f32_e32 v116, v101, v142
	s_waitcnt vmcnt(41) lgkmcnt(0)
	v_mul_f32_e32 v117, v103, v143
	s_waitcnt vmcnt(40)
	v_fmac_f32_e32 v107, v84, v144
	v_mul_f32_e32 v84, v84, v133
	s_waitcnt vmcnt(39)
	v_fmac_f32_e32 v108, v86, v145
	v_add_f32_e32 v107, 0, v107
	v_fma_f32 v83, v83, v144, -v84
	v_mul_f32_e32 v84, v86, v134
	s_waitcnt vmcnt(38)
	v_fmac_f32_e32 v109, v88, v146
	v_add_f32_e32 v107, v107, v108
	v_add_f32_e32 v83, 0, v83
	v_fma_f32 v84, v85, v145, -v84
	s_waitcnt vmcnt(37)
	v_fmac_f32_e32 v110, v90, v147
	v_add_f32_e32 v107, v107, v109
	v_add_f32_e32 v83, v83, v84
	v_mul_f32_e32 v84, v88, v135
	s_waitcnt vmcnt(36)
	v_fmac_f32_e32 v111, v92, v148
	v_add_f32_e32 v107, v107, v110
	v_fma_f32 v84, v87, v146, -v84
	s_waitcnt vmcnt(35)
	v_fmac_f32_e32 v112, v94, v149
	v_add_f32_e32 v107, v107, v111
	v_add_f32_e32 v83, v83, v84
	v_mul_f32_e32 v84, v90, v136
	s_waitcnt vmcnt(34)
	v_fmac_f32_e32 v113, v96, v150
	v_add_f32_e32 v107, v107, v112
	v_fma_f32 v84, v89, v147, -v84
	s_waitcnt vmcnt(33)
	v_fmac_f32_e32 v114, v98, v151
	v_add_f32_e32 v107, v107, v113
	v_add_f32_e32 v83, v83, v84
	v_mul_f32_e32 v84, v92, v137
	s_waitcnt vmcnt(32)
	v_fmac_f32_e32 v115, v100, v152
	v_add_f32_e32 v107, v107, v114
	v_fma_f32 v84, v91, v148, -v84
	s_waitcnt vmcnt(31)
	v_fmac_f32_e32 v116, v102, v153
	v_add_f32_e32 v107, v107, v115
	v_add_f32_e32 v83, v83, v84
	v_mul_f32_e32 v84, v94, v138
	v_add_f32_e32 v107, v107, v116
	s_waitcnt vmcnt(30)
	v_fmac_f32_e32 v117, v104, v154
	v_fma_f32 v84, v93, v149, -v84
	v_add_f32_e32 v111, v107, v117
	ds_read2_b64 v[107:110], v82 offset0:67 offset1:68
	v_add_f32_e32 v83, v83, v84
	v_mul_f32_e32 v84, v96, v139
	v_fma_f32 v84, v95, v150, -v84
	s_waitcnt vmcnt(29)
	v_mul_f32_e32 v112, v105, v155
	v_add_f32_e32 v83, v83, v84
	v_mul_f32_e32 v84, v98, v140
	s_waitcnt vmcnt(28)
	v_fmac_f32_e32 v112, v106, v156
	v_fma_f32 v84, v97, v151, -v84
	v_add_f32_e32 v115, v111, v112
	ds_read2_b64 v[111:114], v82 offset0:69 offset1:70
	v_add_f32_e32 v83, v83, v84
	v_mul_f32_e32 v84, v100, v141
	s_waitcnt vmcnt(27) lgkmcnt(1)
	v_mul_f32_e32 v116, v107, v157
	v_fma_f32 v84, v99, v152, -v84
	s_waitcnt vmcnt(26)
	v_fmac_f32_e32 v116, v108, v158
	v_add_f32_e32 v83, v83, v84
	v_mul_f32_e32 v84, v102, v142
	v_add_f32_e32 v115, v115, v116
	s_waitcnt vmcnt(25)
	v_mul_f32_e32 v116, v109, v159
	v_fma_f32 v84, v101, v153, -v84
	s_waitcnt vmcnt(24)
	v_fmac_f32_e32 v116, v110, v160
	v_add_f32_e32 v83, v83, v84
	v_mul_f32_e32 v84, v104, v143
	v_add_f32_e32 v115, v115, v116
	s_waitcnt vmcnt(23) lgkmcnt(0)
	v_mul_f32_e32 v116, v111, v161
	v_fma_f32 v84, v103, v154, -v84
	s_waitcnt vmcnt(22)
	v_fmac_f32_e32 v116, v112, v162
	v_add_f32_e32 v83, v83, v84
	v_mul_f32_e32 v84, v106, v155
	v_add_f32_e32 v119, v115, v116
	ds_read2_b64 v[115:118], v82 offset0:71 offset1:72
	v_fma_f32 v84, v105, v156, -v84
	v_add_f32_e32 v83, v83, v84
	v_mul_f32_e32 v84, v108, v157
	s_waitcnt vmcnt(21)
	v_mul_f32_e32 v120, v113, v163
	v_fma_f32 v84, v107, v158, -v84
	s_waitcnt vmcnt(20)
	v_fmac_f32_e32 v120, v114, v164
	v_add_f32_e32 v83, v83, v84
	v_mul_f32_e32 v84, v110, v159
	v_add_f32_e32 v123, v119, v120
	ds_read2_b64 v[119:122], v82 offset0:73 offset1:74
	v_fma_f32 v84, v109, v160, -v84
	s_waitcnt vmcnt(19) lgkmcnt(1)
	v_mul_f32_e32 v124, v115, v165
	v_add_f32_e32 v83, v83, v84
	v_mul_f32_e32 v84, v112, v161
	s_waitcnt vmcnt(18)
	v_fmac_f32_e32 v124, v116, v166
	v_fma_f32 v84, v111, v162, -v84
	v_add_f32_e32 v123, v123, v124
	s_waitcnt vmcnt(17)
	v_mul_f32_e32 v124, v117, v167
	v_add_f32_e32 v83, v83, v84
	v_mul_f32_e32 v84, v114, v163
	s_waitcnt vmcnt(16)
	v_fmac_f32_e32 v124, v118, v168
	v_fma_f32 v84, v113, v164, -v84
	v_add_f32_e32 v123, v123, v124
	s_waitcnt vmcnt(14) lgkmcnt(0)
	v_mul_f32_e32 v124, v119, v170
	v_add_f32_e32 v83, v83, v84
	v_mul_f32_e32 v84, v116, v165
	v_fmac_f32_e32 v124, v120, v169
	v_fma_f32 v84, v115, v166, -v84
	v_add_f32_e32 v127, v123, v124
	ds_read2_b64 v[123:126], v82 offset0:75 offset1:76
	v_add_f32_e32 v83, v83, v84
	v_mul_f32_e32 v84, v118, v167
	v_fma_f32 v84, v117, v168, -v84
	v_add_f32_e32 v83, v83, v84
	v_mul_f32_e32 v84, v120, v170
	s_waitcnt vmcnt(11)
	v_mul_f32_e32 v128, v121, v173
	v_fma_f32 v84, v119, v169, -v84
	s_waitcnt vmcnt(10)
	v_fmac_f32_e32 v128, v122, v174
	v_add_f32_e32 v83, v83, v84
	v_mul_f32_e32 v84, v122, v173
	v_add_f32_e32 v131, v127, v128
	ds_read2_b64 v[127:130], v82 offset0:77 offset1:78
	s_waitcnt vmcnt(8) lgkmcnt(1)
	v_mul_f32_e32 v132, v123, v176
	v_fma_f32 v84, v121, v174, -v84
	v_fmac_f32_e32 v132, v124, v175
	v_add_f32_e32 v83, v83, v84
	v_mul_f32_e32 v84, v124, v176
	v_add_f32_e32 v131, v131, v132
	s_waitcnt vmcnt(6)
	v_mul_f32_e32 v132, v125, v178
	v_fma_f32 v84, v123, v175, -v84
	v_fmac_f32_e32 v132, v126, v177
	v_add_f32_e32 v83, v83, v84
	v_mul_f32_e32 v84, v126, v178
	v_add_f32_e32 v185, v131, v132
	ds_read_b64 v[131:132], v82 offset:632
	v_fma_f32 v84, v125, v177, -v84
	v_add_f32_e32 v83, v83, v84
	s_waitcnt vmcnt(4) lgkmcnt(1)
	v_mul_f32_e32 v84, v128, v180
	v_mul_f32_e32 v186, v127, v180
	v_fma_f32 v84, v127, v179, -v84
	v_fmac_f32_e32 v186, v128, v179
	v_add_f32_e32 v83, v83, v84
	s_waitcnt vmcnt(2)
	v_mul_f32_e32 v84, v130, v182
	v_add_f32_e32 v185, v185, v186
	v_mul_f32_e32 v186, v129, v182
	v_fma_f32 v84, v129, v181, -v84
	v_fmac_f32_e32 v186, v130, v181
	v_add_f32_e32 v83, v83, v84
	s_waitcnt vmcnt(0) lgkmcnt(0)
	v_mul_f32_e32 v84, v132, v184
	v_add_f32_e32 v185, v185, v186
	v_mul_f32_e32 v186, v131, v184
	v_fma_f32 v84, v131, v183, -v84
	v_fmac_f32_e32 v186, v132, v183
	v_add_f32_e32 v83, v83, v84
	v_add_f32_e32 v185, v185, v186
	v_sub_f32_e32 v83, v171, v83
	v_sub_f32_e32 v84, v172, v185
	buffer_store_dword v83, off, s[0:3], 0 offset:112
	buffer_store_dword v84, off, s[0:3], 0 offset:116
	s_and_saveexec_b64 s[4:5], vcc
	s_cbranch_execz .LBB39_227
; %bb.226:
	buffer_load_dword v83, off, s[0:3], 0 offset:104
	buffer_load_dword v84, off, s[0:3], 0 offset:108
	s_waitcnt vmcnt(0)
	ds_write_b64 v81, v[83:84]
	buffer_store_dword v82, off, s[0:3], 0 offset:104
	buffer_store_dword v82, off, s[0:3], 0 offset:108
.LBB39_227:
	s_or_b64 exec, exec, s[4:5]
	s_waitcnt lgkmcnt(0)
	; wave barrier
	buffer_load_dword v135, off, s[0:3], 0 offset:116
	buffer_load_dword v136, off, s[0:3], 0 offset:124
	;; [unrolled: 1-line block ×42, first 2 shown]
	ds_read_b128 v[83:86], v82 offset:432
	ds_read_b128 v[87:90], v82 offset:448
	;; [unrolled: 1-line block ×4, first 2 shown]
	buffer_load_dword v177, off, s[0:3], 0 offset:276
	buffer_load_dword v178, off, s[0:3], 0 offset:272
	;; [unrolled: 1-line block ×6, first 2 shown]
	ds_read_b128 v[99:102], v82 offset:496
	ds_read_b128 v[103:106], v82 offset:512
	buffer_load_dword v183, off, s[0:3], 0 offset:296
	buffer_load_dword v184, off, s[0:3], 0 offset:300
	buffer_load_dword v185, off, s[0:3], 0 offset:304
	buffer_load_dword v186, off, s[0:3], 0 offset:308
	buffer_load_dword v187, off, s[0:3], 0 offset:312
	buffer_load_dword v188, off, s[0:3], 0 offset:316
	v_cmp_lt_u32_e32 vcc, 12, v0
	s_waitcnt vmcnt(53) lgkmcnt(5)
	v_mul_f32_e32 v107, v83, v135
	s_waitcnt vmcnt(52)
	v_mul_f32_e32 v108, v85, v136
	s_waitcnt vmcnt(51) lgkmcnt(4)
	v_mul_f32_e32 v109, v87, v137
	s_waitcnt vmcnt(50)
	v_mul_f32_e32 v110, v89, v138
	;; [unrolled: 4-line block ×5, first 2 shown]
	s_waitcnt vmcnt(43)
	v_fmac_f32_e32 v107, v84, v145
	v_mul_f32_e32 v84, v84, v135
	s_waitcnt vmcnt(42)
	v_fmac_f32_e32 v108, v86, v146
	v_add_f32_e32 v107, 0, v107
	v_fma_f32 v83, v83, v145, -v84
	v_mul_f32_e32 v84, v86, v136
	s_waitcnt vmcnt(41)
	v_fmac_f32_e32 v109, v88, v147
	v_add_f32_e32 v107, v107, v108
	v_add_f32_e32 v83, 0, v83
	v_fma_f32 v84, v85, v146, -v84
	s_waitcnt vmcnt(40)
	v_fmac_f32_e32 v110, v90, v148
	v_add_f32_e32 v107, v107, v109
	v_add_f32_e32 v83, v83, v84
	v_mul_f32_e32 v84, v88, v137
	s_waitcnt vmcnt(39)
	v_fmac_f32_e32 v111, v92, v149
	v_add_f32_e32 v107, v107, v110
	v_fma_f32 v84, v87, v147, -v84
	s_waitcnt vmcnt(38)
	v_fmac_f32_e32 v112, v94, v150
	v_add_f32_e32 v107, v107, v111
	v_add_f32_e32 v83, v83, v84
	v_mul_f32_e32 v84, v90, v138
	s_waitcnt vmcnt(37)
	v_fmac_f32_e32 v113, v96, v151
	;; [unrolled: 9-line block ×3, first 2 shown]
	v_add_f32_e32 v107, v107, v114
	v_fma_f32 v84, v91, v149, -v84
	s_waitcnt vmcnt(34)
	v_fmac_f32_e32 v116, v102, v154
	v_add_f32_e32 v107, v107, v115
	s_waitcnt vmcnt(33) lgkmcnt(0)
	v_mul_f32_e32 v108, v103, v155
	v_add_f32_e32 v83, v83, v84
	v_mul_f32_e32 v84, v94, v140
	v_add_f32_e32 v107, v107, v116
	s_waitcnt vmcnt(32)
	v_fmac_f32_e32 v108, v104, v156
	v_fma_f32 v84, v93, v150, -v84
	v_add_f32_e32 v111, v107, v108
	ds_read_b128 v[107:110], v82 offset:528
	v_add_f32_e32 v83, v83, v84
	v_mul_f32_e32 v84, v96, v141
	v_fma_f32 v84, v95, v151, -v84
	s_waitcnt vmcnt(31)
	v_mul_f32_e32 v112, v105, v157
	v_add_f32_e32 v83, v83, v84
	v_mul_f32_e32 v84, v98, v142
	s_waitcnt vmcnt(30)
	v_fmac_f32_e32 v112, v106, v158
	v_fma_f32 v84, v97, v152, -v84
	v_add_f32_e32 v115, v111, v112
	ds_read_b128 v[111:114], v82 offset:544
	v_add_f32_e32 v83, v83, v84
	v_mul_f32_e32 v84, v100, v143
	s_waitcnt vmcnt(29) lgkmcnt(1)
	v_mul_f32_e32 v116, v107, v159
	v_fma_f32 v84, v99, v153, -v84
	s_waitcnt vmcnt(28)
	v_fmac_f32_e32 v116, v108, v160
	v_add_f32_e32 v83, v83, v84
	v_mul_f32_e32 v84, v102, v144
	v_add_f32_e32 v115, v115, v116
	s_waitcnt vmcnt(27)
	v_mul_f32_e32 v116, v109, v161
	v_fma_f32 v84, v101, v154, -v84
	s_waitcnt vmcnt(26)
	v_fmac_f32_e32 v116, v110, v162
	v_add_f32_e32 v83, v83, v84
	v_mul_f32_e32 v84, v104, v155
	v_add_f32_e32 v115, v115, v116
	s_waitcnt vmcnt(25) lgkmcnt(0)
	v_mul_f32_e32 v116, v111, v163
	v_fma_f32 v84, v103, v156, -v84
	s_waitcnt vmcnt(24)
	v_fmac_f32_e32 v116, v112, v164
	v_add_f32_e32 v83, v83, v84
	v_mul_f32_e32 v84, v106, v157
	v_add_f32_e32 v119, v115, v116
	ds_read_b128 v[115:118], v82 offset:560
	v_fma_f32 v84, v105, v158, -v84
	v_add_f32_e32 v83, v83, v84
	v_mul_f32_e32 v84, v108, v159
	s_waitcnt vmcnt(23)
	v_mul_f32_e32 v120, v113, v165
	v_fma_f32 v84, v107, v160, -v84
	s_waitcnt vmcnt(22)
	v_fmac_f32_e32 v120, v114, v166
	v_add_f32_e32 v83, v83, v84
	v_mul_f32_e32 v84, v110, v161
	v_add_f32_e32 v123, v119, v120
	ds_read_b128 v[119:122], v82 offset:576
	v_fma_f32 v84, v109, v162, -v84
	s_waitcnt vmcnt(21) lgkmcnt(1)
	v_mul_f32_e32 v124, v115, v167
	v_add_f32_e32 v83, v83, v84
	v_mul_f32_e32 v84, v112, v163
	s_waitcnt vmcnt(20)
	v_fmac_f32_e32 v124, v116, v168
	v_fma_f32 v84, v111, v164, -v84
	v_add_f32_e32 v123, v123, v124
	s_waitcnt vmcnt(18)
	v_mul_f32_e32 v124, v117, v170
	v_add_f32_e32 v83, v83, v84
	v_mul_f32_e32 v84, v114, v165
	v_fmac_f32_e32 v124, v118, v169
	v_fma_f32 v84, v113, v166, -v84
	v_add_f32_e32 v123, v123, v124
	s_waitcnt vmcnt(15) lgkmcnt(0)
	v_mul_f32_e32 v124, v119, v173
	v_add_f32_e32 v83, v83, v84
	v_mul_f32_e32 v84, v116, v167
	s_waitcnt vmcnt(14)
	v_fmac_f32_e32 v124, v120, v174
	v_fma_f32 v84, v115, v168, -v84
	v_add_f32_e32 v127, v123, v124
	ds_read_b128 v[123:126], v82 offset:592
	v_add_f32_e32 v83, v83, v84
	v_mul_f32_e32 v84, v118, v170
	v_fma_f32 v84, v117, v169, -v84
	v_add_f32_e32 v83, v83, v84
	v_mul_f32_e32 v84, v120, v173
	s_waitcnt vmcnt(12)
	v_mul_f32_e32 v128, v121, v176
	v_fma_f32 v84, v119, v174, -v84
	v_fmac_f32_e32 v128, v122, v175
	v_add_f32_e32 v83, v83, v84
	v_mul_f32_e32 v84, v122, v176
	v_add_f32_e32 v131, v127, v128
	ds_read_b128 v[127:130], v82 offset:608
	s_waitcnt vmcnt(11) lgkmcnt(1)
	v_mul_f32_e32 v132, v123, v177
	v_fma_f32 v84, v121, v175, -v84
	s_waitcnt vmcnt(10)
	v_fmac_f32_e32 v132, v124, v178
	v_add_f32_e32 v83, v83, v84
	v_mul_f32_e32 v84, v124, v177
	v_add_f32_e32 v131, v131, v132
	s_waitcnt vmcnt(8)
	v_mul_f32_e32 v132, v125, v180
	v_fma_f32 v84, v123, v178, -v84
	v_fmac_f32_e32 v132, v126, v179
	v_add_f32_e32 v83, v83, v84
	v_mul_f32_e32 v84, v126, v180
	v_add_f32_e32 v189, v131, v132
	ds_read_b128 v[131:134], v82 offset:624
	v_fma_f32 v84, v125, v179, -v84
	v_add_f32_e32 v83, v83, v84
	s_waitcnt vmcnt(6) lgkmcnt(1)
	v_mul_f32_e32 v84, v128, v182
	v_mul_f32_e32 v190, v127, v182
	v_fma_f32 v84, v127, v181, -v84
	v_fmac_f32_e32 v190, v128, v181
	v_add_f32_e32 v83, v83, v84
	s_waitcnt vmcnt(4)
	v_mul_f32_e32 v84, v130, v184
	v_add_f32_e32 v82, v189, v190
	v_mul_f32_e32 v189, v129, v184
	v_fma_f32 v84, v129, v183, -v84
	v_fmac_f32_e32 v189, v130, v183
	v_add_f32_e32 v83, v83, v84
	s_waitcnt vmcnt(2) lgkmcnt(0)
	v_mul_f32_e32 v84, v132, v186
	v_add_f32_e32 v82, v82, v189
	v_mul_f32_e32 v189, v131, v186
	v_fma_f32 v84, v131, v185, -v84
	v_fmac_f32_e32 v189, v132, v185
	v_add_f32_e32 v83, v83, v84
	s_waitcnt vmcnt(0)
	v_mul_f32_e32 v84, v134, v188
	v_add_f32_e32 v82, v82, v189
	v_mul_f32_e32 v189, v133, v188
	v_fma_f32 v84, v133, v187, -v84
	v_fmac_f32_e32 v189, v134, v187
	v_add_f32_e32 v83, v83, v84
	v_add_f32_e32 v82, v82, v189
	v_sub_f32_e32 v83, v171, v83
	v_sub_f32_e32 v82, v172, v82
	buffer_store_dword v83, off, s[0:3], 0 offset:104
	buffer_store_dword v82, off, s[0:3], 0 offset:108
	s_and_saveexec_b64 s[4:5], vcc
	s_cbranch_execz .LBB39_229
; %bb.228:
	buffer_load_dword v82, off, s[0:3], 0 offset:96
	buffer_load_dword v83, off, s[0:3], 0 offset:100
	v_mov_b32_e32 v84, 0
	buffer_store_dword v84, off, s[0:3], 0 offset:96
	buffer_store_dword v84, off, s[0:3], 0 offset:100
	s_waitcnt vmcnt(2)
	ds_write_b64 v81, v[82:83]
.LBB39_229:
	s_or_b64 exec, exec, s[4:5]
	s_waitcnt lgkmcnt(0)
	; wave barrier
	buffer_load_dword v137, off, s[0:3], 0 offset:108
	buffer_load_dword v138, off, s[0:3], 0 offset:116
	;; [unrolled: 1-line block ×56, first 2 shown]
	v_mov_b32_e32 v82, 0
	ds_read2_b64 v[83:86], v82 offset0:53 offset1:54
	ds_read2_b64 v[87:90], v82 offset0:55 offset1:56
	ds_read2_b64 v[91:94], v82 offset0:57 offset1:58
	ds_read2_b64 v[95:98], v82 offset0:59 offset1:60
	ds_read2_b64 v[99:102], v82 offset0:61 offset1:62
	ds_read2_b64 v[103:106], v82 offset0:63 offset1:64
	v_cmp_lt_u32_e32 vcc, 11, v0
	s_waitcnt vmcnt(55) lgkmcnt(5)
	v_mul_f32_e32 v107, v83, v137
	s_waitcnt vmcnt(54)
	v_mul_f32_e32 v108, v85, v138
	s_waitcnt vmcnt(53) lgkmcnt(4)
	v_mul_f32_e32 v109, v87, v139
	s_waitcnt vmcnt(52)
	v_mul_f32_e32 v110, v89, v140
	;; [unrolled: 4-line block ×4, first 2 shown]
	s_waitcnt vmcnt(47) lgkmcnt(1)
	v_mul_f32_e32 v115, v99, v145
	s_waitcnt vmcnt(46)
	v_fmac_f32_e32 v107, v84, v146
	s_waitcnt vmcnt(45)
	v_fmac_f32_e32 v108, v86, v147
	v_add_f32_e32 v107, 0, v107
	s_waitcnt vmcnt(44)
	v_fmac_f32_e32 v109, v88, v148
	v_add_f32_e32 v107, v107, v108
	;; [unrolled: 3-line block ×3, first 2 shown]
	v_mul_f32_e32 v84, v84, v137
	s_waitcnt vmcnt(42)
	v_fmac_f32_e32 v111, v92, v150
	v_add_f32_e32 v107, v107, v110
	v_fma_f32 v83, v83, v146, -v84
	v_mul_f32_e32 v84, v86, v138
	s_waitcnt vmcnt(41)
	v_fmac_f32_e32 v112, v94, v151
	v_add_f32_e32 v107, v107, v111
	v_add_f32_e32 v83, 0, v83
	v_fma_f32 v84, v85, v147, -v84
	s_waitcnt vmcnt(40)
	v_fmac_f32_e32 v113, v96, v152
	v_add_f32_e32 v107, v107, v112
	v_add_f32_e32 v83, v83, v84
	v_mul_f32_e32 v84, v88, v139
	s_waitcnt vmcnt(39)
	v_fmac_f32_e32 v114, v98, v153
	v_add_f32_e32 v107, v107, v113
	v_fma_f32 v84, v87, v148, -v84
	v_add_f32_e32 v107, v107, v114
	s_waitcnt vmcnt(38)
	v_fmac_f32_e32 v115, v100, v154
	s_waitcnt vmcnt(37)
	v_mul_f32_e32 v108, v101, v155
	v_add_f32_e32 v83, v83, v84
	v_mul_f32_e32 v84, v90, v140
	v_add_f32_e32 v107, v107, v115
	s_waitcnt vmcnt(36)
	v_fmac_f32_e32 v108, v102, v156
	v_fma_f32 v84, v89, v149, -v84
	v_add_f32_e32 v107, v107, v108
	s_waitcnt vmcnt(35) lgkmcnt(0)
	v_mul_f32_e32 v108, v103, v157
	v_add_f32_e32 v83, v83, v84
	v_mul_f32_e32 v84, v92, v141
	s_waitcnt vmcnt(34)
	v_fmac_f32_e32 v108, v104, v158
	v_fma_f32 v84, v91, v150, -v84
	v_add_f32_e32 v111, v107, v108
	ds_read2_b64 v[107:110], v82 offset0:65 offset1:66
	v_add_f32_e32 v83, v83, v84
	v_mul_f32_e32 v84, v94, v142
	v_fma_f32 v84, v93, v151, -v84
	s_waitcnt vmcnt(33)
	v_mul_f32_e32 v112, v105, v159
	v_add_f32_e32 v83, v83, v84
	v_mul_f32_e32 v84, v96, v143
	s_waitcnt vmcnt(32)
	v_fmac_f32_e32 v112, v106, v160
	v_fma_f32 v84, v95, v152, -v84
	v_add_f32_e32 v115, v111, v112
	ds_read2_b64 v[111:114], v82 offset0:67 offset1:68
	v_add_f32_e32 v83, v83, v84
	v_mul_f32_e32 v84, v98, v144
	s_waitcnt vmcnt(31) lgkmcnt(1)
	v_mul_f32_e32 v116, v107, v161
	v_fma_f32 v84, v97, v153, -v84
	s_waitcnt vmcnt(30)
	v_fmac_f32_e32 v116, v108, v162
	v_add_f32_e32 v83, v83, v84
	v_mul_f32_e32 v84, v100, v145
	v_add_f32_e32 v115, v115, v116
	s_waitcnt vmcnt(29)
	v_mul_f32_e32 v116, v109, v163
	v_fma_f32 v84, v99, v154, -v84
	s_waitcnt vmcnt(28)
	v_fmac_f32_e32 v116, v110, v164
	v_add_f32_e32 v83, v83, v84
	v_mul_f32_e32 v84, v102, v155
	v_add_f32_e32 v115, v115, v116
	s_waitcnt vmcnt(27) lgkmcnt(0)
	v_mul_f32_e32 v116, v111, v165
	v_fma_f32 v84, v101, v156, -v84
	s_waitcnt vmcnt(26)
	v_fmac_f32_e32 v116, v112, v166
	v_add_f32_e32 v83, v83, v84
	v_mul_f32_e32 v84, v104, v157
	v_add_f32_e32 v119, v115, v116
	ds_read2_b64 v[115:118], v82 offset0:69 offset1:70
	v_fma_f32 v84, v103, v158, -v84
	v_add_f32_e32 v83, v83, v84
	v_mul_f32_e32 v84, v106, v159
	s_waitcnt vmcnt(24)
	v_mul_f32_e32 v120, v113, v168
	v_fma_f32 v84, v105, v160, -v84
	v_fmac_f32_e32 v120, v114, v167
	v_add_f32_e32 v83, v83, v84
	v_mul_f32_e32 v84, v108, v161
	v_add_f32_e32 v123, v119, v120
	ds_read2_b64 v[119:122], v82 offset0:71 offset1:72
	v_fma_f32 v84, v107, v162, -v84
	s_waitcnt vmcnt(21) lgkmcnt(1)
	v_mul_f32_e32 v124, v115, v171
	v_add_f32_e32 v83, v83, v84
	v_mul_f32_e32 v84, v110, v163
	s_waitcnt vmcnt(20)
	v_fmac_f32_e32 v124, v116, v172
	v_fma_f32 v84, v109, v164, -v84
	v_add_f32_e32 v123, v123, v124
	s_waitcnt vmcnt(18)
	v_mul_f32_e32 v124, v117, v174
	v_add_f32_e32 v83, v83, v84
	v_mul_f32_e32 v84, v112, v165
	v_fmac_f32_e32 v124, v118, v173
	v_fma_f32 v84, v111, v166, -v84
	v_add_f32_e32 v123, v123, v124
	s_waitcnt vmcnt(16) lgkmcnt(0)
	v_mul_f32_e32 v124, v119, v176
	v_add_f32_e32 v83, v83, v84
	v_mul_f32_e32 v84, v114, v168
	v_fmac_f32_e32 v124, v120, v175
	v_fma_f32 v84, v113, v167, -v84
	v_add_f32_e32 v127, v123, v124
	ds_read2_b64 v[123:126], v82 offset0:73 offset1:74
	v_add_f32_e32 v83, v83, v84
	v_mul_f32_e32 v84, v116, v171
	v_fma_f32 v84, v115, v172, -v84
	s_waitcnt vmcnt(14)
	v_mul_f32_e32 v128, v121, v178
	v_add_f32_e32 v83, v83, v84
	v_mul_f32_e32 v84, v118, v174
	v_fmac_f32_e32 v128, v122, v177
	v_fma_f32 v84, v117, v173, -v84
	v_add_f32_e32 v131, v127, v128
	ds_read2_b64 v[127:130], v82 offset0:75 offset1:76
	v_add_f32_e32 v83, v83, v84
	v_mul_f32_e32 v84, v120, v176
	s_waitcnt vmcnt(12) lgkmcnt(1)
	v_mul_f32_e32 v132, v123, v180
	v_fma_f32 v84, v119, v175, -v84
	v_fmac_f32_e32 v132, v124, v179
	v_add_f32_e32 v83, v83, v84
	v_mul_f32_e32 v84, v122, v178
	v_add_f32_e32 v131, v131, v132
	s_waitcnt vmcnt(10)
	v_mul_f32_e32 v132, v125, v182
	v_fma_f32 v84, v121, v177, -v84
	v_fmac_f32_e32 v132, v126, v181
	v_add_f32_e32 v83, v83, v84
	v_mul_f32_e32 v84, v124, v180
	v_add_f32_e32 v131, v131, v132
	s_waitcnt vmcnt(8) lgkmcnt(0)
	v_mul_f32_e32 v132, v127, v184
	v_fma_f32 v84, v123, v179, -v84
	v_fmac_f32_e32 v132, v128, v183
	v_add_f32_e32 v83, v83, v84
	v_mul_f32_e32 v84, v126, v182
	v_add_f32_e32 v135, v131, v132
	ds_read2_b64 v[131:134], v82 offset0:77 offset1:78
	v_fma_f32 v84, v125, v181, -v84
	v_add_f32_e32 v83, v83, v84
	v_mul_f32_e32 v84, v128, v184
	s_waitcnt vmcnt(6)
	v_mul_f32_e32 v136, v129, v186
	v_fma_f32 v84, v127, v183, -v84
	v_fmac_f32_e32 v136, v130, v185
	v_add_f32_e32 v83, v83, v84
	v_mul_f32_e32 v84, v130, v186
	v_add_f32_e32 v193, v135, v136
	ds_read_b64 v[135:136], v82 offset:632
	v_fma_f32 v84, v129, v185, -v84
	v_add_f32_e32 v83, v83, v84
	s_waitcnt vmcnt(4) lgkmcnt(1)
	v_mul_f32_e32 v84, v132, v188
	v_mul_f32_e32 v194, v131, v188
	v_fma_f32 v84, v131, v187, -v84
	v_fmac_f32_e32 v194, v132, v187
	v_add_f32_e32 v83, v83, v84
	s_waitcnt vmcnt(2)
	v_mul_f32_e32 v84, v134, v190
	v_add_f32_e32 v193, v193, v194
	v_mul_f32_e32 v194, v133, v190
	v_fma_f32 v84, v133, v189, -v84
	v_fmac_f32_e32 v194, v134, v189
	v_add_f32_e32 v83, v83, v84
	s_waitcnt vmcnt(0) lgkmcnt(0)
	v_mul_f32_e32 v84, v136, v192
	v_add_f32_e32 v193, v193, v194
	v_mul_f32_e32 v194, v135, v192
	v_fma_f32 v84, v135, v191, -v84
	v_fmac_f32_e32 v194, v136, v191
	v_add_f32_e32 v83, v83, v84
	v_add_f32_e32 v193, v193, v194
	v_sub_f32_e32 v83, v169, v83
	v_sub_f32_e32 v84, v170, v193
	buffer_store_dword v83, off, s[0:3], 0 offset:96
	buffer_store_dword v84, off, s[0:3], 0 offset:100
	s_and_saveexec_b64 s[4:5], vcc
	s_cbranch_execz .LBB39_231
; %bb.230:
	buffer_load_dword v83, off, s[0:3], 0 offset:88
	buffer_load_dword v84, off, s[0:3], 0 offset:92
	s_waitcnt vmcnt(0)
	ds_write_b64 v81, v[83:84]
	buffer_store_dword v82, off, s[0:3], 0 offset:88
	buffer_store_dword v82, off, s[0:3], 0 offset:92
.LBB39_231:
	s_or_b64 exec, exec, s[4:5]
	s_waitcnt lgkmcnt(0)
	; wave barrier
	buffer_load_dword v139, off, s[0:3], 0 offset:100
	buffer_load_dword v140, off, s[0:3], 0 offset:108
	;; [unrolled: 1-line block ×34, first 2 shown]
	ds_read_b128 v[83:86], v82 offset:416
	ds_read_b128 v[87:90], v82 offset:432
	buffer_load_dword v173, off, s[0:3], 0 offset:228
	buffer_load_dword v174, off, s[0:3], 0 offset:224
	;; [unrolled: 1-line block ×6, first 2 shown]
	ds_read_b128 v[91:94], v82 offset:448
	ds_read_b128 v[95:98], v82 offset:464
	;; [unrolled: 1-line block ×4, first 2 shown]
	buffer_load_dword v179, off, s[0:3], 0 offset:252
	buffer_load_dword v180, off, s[0:3], 0 offset:248
	;; [unrolled: 1-line block ×18, first 2 shown]
	v_cmp_lt_u32_e32 vcc, 10, v0
	s_waitcnt vmcnt(57) lgkmcnt(5)
	v_mul_f32_e32 v107, v83, v139
	s_waitcnt vmcnt(56)
	v_mul_f32_e32 v108, v85, v140
	s_waitcnt vmcnt(55) lgkmcnt(4)
	v_mul_f32_e32 v109, v87, v141
	s_waitcnt vmcnt(54)
	v_mul_f32_e32 v110, v89, v142
	;; [unrolled: 4-line block ×4, first 2 shown]
	s_waitcnt vmcnt(49)
	v_fmac_f32_e32 v107, v84, v147
	s_waitcnt vmcnt(48)
	v_fmac_f32_e32 v108, v86, v148
	v_add_f32_e32 v107, 0, v107
	s_waitcnt vmcnt(47)
	v_fmac_f32_e32 v109, v88, v149
	v_add_f32_e32 v107, v107, v108
	;; [unrolled: 3-line block ×4, first 2 shown]
	v_mul_f32_e32 v84, v84, v139
	s_waitcnt vmcnt(44)
	v_fmac_f32_e32 v112, v94, v152
	v_add_f32_e32 v107, v107, v111
	v_fma_f32 v83, v83, v147, -v84
	v_mul_f32_e32 v84, v86, v140
	s_waitcnt vmcnt(43)
	v_fmac_f32_e32 v113, v96, v153
	v_add_f32_e32 v107, v107, v112
	v_add_f32_e32 v83, 0, v83
	v_fma_f32 v84, v85, v148, -v84
	s_waitcnt vmcnt(42)
	v_fmac_f32_e32 v114, v98, v154
	v_add_f32_e32 v107, v107, v113
	s_waitcnt vmcnt(41) lgkmcnt(1)
	v_mul_f32_e32 v108, v99, v155
	v_add_f32_e32 v83, v83, v84
	v_mul_f32_e32 v84, v88, v141
	v_add_f32_e32 v107, v107, v114
	s_waitcnt vmcnt(40)
	v_fmac_f32_e32 v108, v100, v156
	v_fma_f32 v84, v87, v149, -v84
	v_add_f32_e32 v107, v107, v108
	s_waitcnt vmcnt(39)
	v_mul_f32_e32 v108, v101, v157
	v_add_f32_e32 v83, v83, v84
	v_mul_f32_e32 v84, v90, v142
	s_waitcnt vmcnt(38)
	v_fmac_f32_e32 v108, v102, v158
	v_fma_f32 v84, v89, v150, -v84
	v_add_f32_e32 v107, v107, v108
	s_waitcnt vmcnt(37) lgkmcnt(0)
	v_mul_f32_e32 v108, v103, v159
	v_add_f32_e32 v83, v83, v84
	v_mul_f32_e32 v84, v92, v143
	s_waitcnt vmcnt(36)
	v_fmac_f32_e32 v108, v104, v160
	v_fma_f32 v84, v91, v151, -v84
	v_add_f32_e32 v111, v107, v108
	ds_read_b128 v[107:110], v82 offset:512
	v_add_f32_e32 v83, v83, v84
	v_mul_f32_e32 v84, v94, v144
	v_fma_f32 v84, v93, v152, -v84
	s_waitcnt vmcnt(35)
	v_mul_f32_e32 v112, v105, v161
	v_add_f32_e32 v83, v83, v84
	v_mul_f32_e32 v84, v96, v145
	s_waitcnt vmcnt(34)
	v_fmac_f32_e32 v112, v106, v162
	v_fma_f32 v84, v95, v153, -v84
	v_add_f32_e32 v115, v111, v112
	ds_read_b128 v[111:114], v82 offset:528
	v_add_f32_e32 v83, v83, v84
	v_mul_f32_e32 v84, v98, v146
	s_waitcnt vmcnt(33) lgkmcnt(1)
	v_mul_f32_e32 v116, v107, v163
	v_fma_f32 v84, v97, v154, -v84
	s_waitcnt vmcnt(32)
	v_fmac_f32_e32 v116, v108, v164
	v_add_f32_e32 v83, v83, v84
	v_mul_f32_e32 v84, v100, v155
	v_add_f32_e32 v115, v115, v116
	s_waitcnt vmcnt(31)
	v_mul_f32_e32 v116, v109, v165
	v_fma_f32 v84, v99, v156, -v84
	s_waitcnt vmcnt(30)
	v_fmac_f32_e32 v116, v110, v166
	v_add_f32_e32 v83, v83, v84
	v_mul_f32_e32 v84, v102, v157
	v_add_f32_e32 v115, v115, v116
	s_waitcnt vmcnt(29) lgkmcnt(0)
	v_mul_f32_e32 v116, v111, v167
	v_fma_f32 v84, v101, v158, -v84
	s_waitcnt vmcnt(28)
	v_fmac_f32_e32 v116, v112, v168
	v_add_f32_e32 v83, v83, v84
	v_mul_f32_e32 v84, v104, v159
	v_add_f32_e32 v119, v115, v116
	ds_read_b128 v[115:118], v82 offset:544
	v_fma_f32 v84, v103, v160, -v84
	v_add_f32_e32 v83, v83, v84
	v_mul_f32_e32 v84, v106, v161
	s_waitcnt vmcnt(25)
	v_mul_f32_e32 v120, v113, v171
	v_fma_f32 v84, v105, v162, -v84
	s_waitcnt vmcnt(24)
	v_fmac_f32_e32 v120, v114, v172
	v_add_f32_e32 v83, v83, v84
	v_mul_f32_e32 v84, v108, v163
	v_add_f32_e32 v123, v119, v120
	ds_read_b128 v[119:122], v82 offset:560
	v_fma_f32 v84, v107, v164, -v84
	s_waitcnt vmcnt(23) lgkmcnt(1)
	v_mul_f32_e32 v124, v115, v173
	v_add_f32_e32 v83, v83, v84
	v_mul_f32_e32 v84, v110, v165
	s_waitcnt vmcnt(22)
	v_fmac_f32_e32 v124, v116, v174
	v_fma_f32 v84, v109, v166, -v84
	v_add_f32_e32 v123, v123, v124
	s_waitcnt vmcnt(20)
	v_mul_f32_e32 v124, v117, v176
	v_add_f32_e32 v83, v83, v84
	v_mul_f32_e32 v84, v112, v167
	v_fmac_f32_e32 v124, v118, v175
	v_fma_f32 v84, v111, v168, -v84
	v_add_f32_e32 v123, v123, v124
	s_waitcnt vmcnt(18) lgkmcnt(0)
	v_mul_f32_e32 v124, v119, v178
	v_add_f32_e32 v83, v83, v84
	v_mul_f32_e32 v84, v114, v171
	v_fmac_f32_e32 v124, v120, v177
	v_fma_f32 v84, v113, v172, -v84
	v_add_f32_e32 v127, v123, v124
	ds_read_b128 v[123:126], v82 offset:576
	v_add_f32_e32 v83, v83, v84
	v_mul_f32_e32 v84, v116, v173
	v_fma_f32 v84, v115, v174, -v84
	s_waitcnt vmcnt(17)
	v_mul_f32_e32 v128, v121, v179
	v_add_f32_e32 v83, v83, v84
	v_mul_f32_e32 v84, v118, v176
	s_waitcnt vmcnt(16)
	v_fmac_f32_e32 v128, v122, v180
	v_fma_f32 v84, v117, v175, -v84
	v_add_f32_e32 v131, v127, v128
	ds_read_b128 v[127:130], v82 offset:592
	v_add_f32_e32 v83, v83, v84
	v_mul_f32_e32 v84, v120, v178
	s_waitcnt vmcnt(14) lgkmcnt(1)
	v_mul_f32_e32 v132, v123, v182
	v_fma_f32 v84, v119, v177, -v84
	v_fmac_f32_e32 v132, v124, v181
	v_add_f32_e32 v83, v83, v84
	v_mul_f32_e32 v84, v122, v179
	v_add_f32_e32 v131, v131, v132
	s_waitcnt vmcnt(12)
	v_mul_f32_e32 v132, v125, v184
	v_fma_f32 v84, v121, v180, -v84
	v_fmac_f32_e32 v132, v126, v183
	v_add_f32_e32 v83, v83, v84
	v_mul_f32_e32 v84, v124, v182
	v_add_f32_e32 v131, v131, v132
	s_waitcnt vmcnt(10) lgkmcnt(0)
	v_mul_f32_e32 v132, v127, v186
	v_fma_f32 v84, v123, v181, -v84
	v_fmac_f32_e32 v132, v128, v185
	v_add_f32_e32 v83, v83, v84
	v_mul_f32_e32 v84, v126, v184
	v_add_f32_e32 v135, v131, v132
	ds_read_b128 v[131:134], v82 offset:608
	v_fma_f32 v84, v125, v183, -v84
	v_add_f32_e32 v83, v83, v84
	v_mul_f32_e32 v84, v128, v186
	s_waitcnt vmcnt(8)
	v_mul_f32_e32 v136, v129, v188
	v_fma_f32 v84, v127, v185, -v84
	v_fmac_f32_e32 v136, v130, v187
	v_add_f32_e32 v83, v83, v84
	v_mul_f32_e32 v84, v130, v188
	v_add_f32_e32 v197, v135, v136
	ds_read_b128 v[135:138], v82 offset:624
	v_fma_f32 v84, v129, v187, -v84
	v_add_f32_e32 v83, v83, v84
	s_waitcnt vmcnt(6) lgkmcnt(1)
	v_mul_f32_e32 v84, v132, v190
	v_mul_f32_e32 v82, v131, v190
	v_fma_f32 v84, v131, v189, -v84
	v_fmac_f32_e32 v82, v132, v189
	v_add_f32_e32 v83, v83, v84
	s_waitcnt vmcnt(4)
	v_mul_f32_e32 v84, v134, v192
	v_add_f32_e32 v82, v197, v82
	v_mul_f32_e32 v197, v133, v192
	v_fma_f32 v84, v133, v191, -v84
	v_fmac_f32_e32 v197, v134, v191
	v_add_f32_e32 v83, v83, v84
	s_waitcnt vmcnt(2) lgkmcnt(0)
	v_mul_f32_e32 v84, v136, v194
	v_add_f32_e32 v82, v82, v197
	v_mul_f32_e32 v197, v135, v194
	v_fma_f32 v84, v135, v193, -v84
	v_fmac_f32_e32 v197, v136, v193
	v_add_f32_e32 v83, v83, v84
	s_waitcnt vmcnt(0)
	v_mul_f32_e32 v84, v138, v196
	v_add_f32_e32 v82, v82, v197
	v_mul_f32_e32 v197, v137, v196
	v_fma_f32 v84, v137, v195, -v84
	v_fmac_f32_e32 v197, v138, v195
	v_add_f32_e32 v83, v83, v84
	v_add_f32_e32 v82, v82, v197
	v_sub_f32_e32 v83, v169, v83
	v_sub_f32_e32 v82, v170, v82
	buffer_store_dword v83, off, s[0:3], 0 offset:88
	buffer_store_dword v82, off, s[0:3], 0 offset:92
	s_and_saveexec_b64 s[4:5], vcc
	s_cbranch_execz .LBB39_233
; %bb.232:
	buffer_load_dword v82, off, s[0:3], 0 offset:80
	buffer_load_dword v83, off, s[0:3], 0 offset:84
	v_mov_b32_e32 v84, 0
	buffer_store_dword v84, off, s[0:3], 0 offset:80
	buffer_store_dword v84, off, s[0:3], 0 offset:84
	s_waitcnt vmcnt(2)
	ds_write_b64 v81, v[82:83]
.LBB39_233:
	s_or_b64 exec, exec, s[4:5]
	s_waitcnt lgkmcnt(0)
	; wave barrier
	buffer_load_dword v141, off, s[0:3], 0 offset:92
	buffer_load_dword v142, off, s[0:3], 0 offset:100
	;; [unrolled: 1-line block ×60, first 2 shown]
	v_mov_b32_e32 v82, 0
	ds_read2_b64 v[83:86], v82 offset0:51 offset1:52
	ds_read2_b64 v[87:90], v82 offset0:53 offset1:54
	;; [unrolled: 1-line block ×5, first 2 shown]
	v_cmp_lt_u32_e32 vcc, 9, v0
	s_waitcnt vmcnt(59) lgkmcnt(4)
	v_mul_f32_e32 v103, v83, v141
	s_waitcnt vmcnt(58)
	v_mul_f32_e32 v104, v85, v142
	s_waitcnt vmcnt(57) lgkmcnt(3)
	v_mul_f32_e32 v105, v87, v143
	s_waitcnt vmcnt(56)
	v_mul_f32_e32 v106, v89, v144
	;; [unrolled: 4-line block ×3, first 2 shown]
	s_waitcnt vmcnt(53) lgkmcnt(1)
	v_mul_f32_e32 v109, v95, v147
	s_waitcnt vmcnt(52)
	v_fmac_f32_e32 v103, v84, v148
	s_waitcnt vmcnt(51)
	v_fmac_f32_e32 v104, v86, v149
	v_add_f32_e32 v103, 0, v103
	s_waitcnt vmcnt(50)
	v_fmac_f32_e32 v105, v88, v150
	v_add_f32_e32 v103, v103, v104
	;; [unrolled: 3-line block ×6, first 2 shown]
	s_waitcnt vmcnt(45)
	v_mul_f32_e32 v104, v97, v155
	v_add_f32_e32 v103, v103, v109
	s_waitcnt vmcnt(44)
	v_fmac_f32_e32 v104, v98, v156
	v_mul_f32_e32 v84, v84, v141
	v_add_f32_e32 v107, v103, v104
	ds_read2_b64 v[103:106], v82 offset0:61 offset1:62
	v_fma_f32 v83, v83, v148, -v84
	v_mul_f32_e32 v84, v86, v142
	s_waitcnt vmcnt(43) lgkmcnt(1)
	v_mul_f32_e32 v108, v99, v157
	v_add_f32_e32 v83, 0, v83
	v_fma_f32 v84, v85, v149, -v84
	s_waitcnt vmcnt(42)
	v_fmac_f32_e32 v108, v100, v158
	v_add_f32_e32 v83, v83, v84
	v_mul_f32_e32 v84, v88, v143
	v_add_f32_e32 v107, v107, v108
	s_waitcnt vmcnt(41)
	v_mul_f32_e32 v108, v101, v159
	v_fma_f32 v84, v87, v150, -v84
	s_waitcnt vmcnt(40)
	v_fmac_f32_e32 v108, v102, v160
	v_add_f32_e32 v83, v83, v84
	v_mul_f32_e32 v84, v90, v144
	v_add_f32_e32 v107, v107, v108
	s_waitcnt vmcnt(39) lgkmcnt(0)
	v_mul_f32_e32 v108, v103, v161
	v_fma_f32 v84, v89, v151, -v84
	s_waitcnt vmcnt(38)
	v_fmac_f32_e32 v108, v104, v162
	v_add_f32_e32 v83, v83, v84
	v_mul_f32_e32 v84, v92, v145
	v_add_f32_e32 v111, v107, v108
	ds_read2_b64 v[107:110], v82 offset0:63 offset1:64
	v_fma_f32 v84, v91, v152, -v84
	v_add_f32_e32 v83, v83, v84
	v_mul_f32_e32 v84, v94, v146
	s_waitcnt vmcnt(37)
	v_mul_f32_e32 v112, v105, v163
	v_fma_f32 v84, v93, v153, -v84
	s_waitcnt vmcnt(36)
	v_fmac_f32_e32 v112, v106, v164
	v_add_f32_e32 v83, v83, v84
	v_mul_f32_e32 v84, v96, v147
	v_add_f32_e32 v115, v111, v112
	ds_read2_b64 v[111:114], v82 offset0:65 offset1:66
	v_fma_f32 v84, v95, v154, -v84
	s_waitcnt vmcnt(34) lgkmcnt(1)
	v_mul_f32_e32 v116, v107, v166
	v_add_f32_e32 v83, v83, v84
	v_mul_f32_e32 v84, v98, v155
	v_fmac_f32_e32 v116, v108, v165
	v_fma_f32 v84, v97, v156, -v84
	v_add_f32_e32 v115, v115, v116
	s_waitcnt vmcnt(31)
	v_mul_f32_e32 v116, v109, v169
	v_add_f32_e32 v83, v83, v84
	v_mul_f32_e32 v84, v100, v157
	s_waitcnt vmcnt(30)
	v_fmac_f32_e32 v116, v110, v170
	v_fma_f32 v84, v99, v158, -v84
	v_add_f32_e32 v115, v115, v116
	s_waitcnt vmcnt(28) lgkmcnt(0)
	v_mul_f32_e32 v116, v111, v172
	v_add_f32_e32 v83, v83, v84
	v_mul_f32_e32 v84, v102, v159
	v_fmac_f32_e32 v116, v112, v171
	v_fma_f32 v84, v101, v160, -v84
	v_add_f32_e32 v119, v115, v116
	ds_read2_b64 v[115:118], v82 offset0:67 offset1:68
	v_add_f32_e32 v83, v83, v84
	v_mul_f32_e32 v84, v104, v161
	v_fma_f32 v84, v103, v162, -v84
	s_waitcnt vmcnt(26)
	v_mul_f32_e32 v120, v113, v174
	v_add_f32_e32 v83, v83, v84
	v_mul_f32_e32 v84, v106, v163
	v_fmac_f32_e32 v120, v114, v173
	v_fma_f32 v84, v105, v164, -v84
	v_add_f32_e32 v123, v119, v120
	ds_read2_b64 v[119:122], v82 offset0:69 offset1:70
	v_add_f32_e32 v83, v83, v84
	v_mul_f32_e32 v84, v108, v166
	s_waitcnt vmcnt(24) lgkmcnt(1)
	v_mul_f32_e32 v124, v115, v176
	v_fma_f32 v84, v107, v165, -v84
	v_fmac_f32_e32 v124, v116, v175
	v_add_f32_e32 v83, v83, v84
	v_mul_f32_e32 v84, v110, v169
	v_add_f32_e32 v123, v123, v124
	s_waitcnt vmcnt(22)
	v_mul_f32_e32 v124, v117, v178
	v_fma_f32 v84, v109, v170, -v84
	v_fmac_f32_e32 v124, v118, v177
	v_add_f32_e32 v83, v83, v84
	v_mul_f32_e32 v84, v112, v172
	v_add_f32_e32 v123, v123, v124
	s_waitcnt vmcnt(20) lgkmcnt(0)
	v_mul_f32_e32 v124, v119, v180
	v_fma_f32 v84, v111, v171, -v84
	v_fmac_f32_e32 v124, v120, v179
	v_add_f32_e32 v83, v83, v84
	v_mul_f32_e32 v84, v114, v174
	v_add_f32_e32 v127, v123, v124
	ds_read2_b64 v[123:126], v82 offset0:71 offset1:72
	v_fma_f32 v84, v113, v173, -v84
	v_add_f32_e32 v83, v83, v84
	v_mul_f32_e32 v84, v116, v176
	s_waitcnt vmcnt(18)
	v_mul_f32_e32 v128, v121, v182
	v_fma_f32 v84, v115, v175, -v84
	v_fmac_f32_e32 v128, v122, v181
	v_add_f32_e32 v83, v83, v84
	v_mul_f32_e32 v84, v118, v178
	v_add_f32_e32 v131, v127, v128
	ds_read2_b64 v[127:130], v82 offset0:73 offset1:74
	v_fma_f32 v84, v117, v177, -v84
	s_waitcnt vmcnt(16) lgkmcnt(1)
	v_mul_f32_e32 v132, v123, v184
	v_add_f32_e32 v83, v83, v84
	v_mul_f32_e32 v84, v120, v180
	v_fmac_f32_e32 v132, v124, v183
	v_fma_f32 v84, v119, v179, -v84
	v_add_f32_e32 v131, v131, v132
	s_waitcnt vmcnt(14)
	v_mul_f32_e32 v132, v125, v186
	v_add_f32_e32 v83, v83, v84
	v_mul_f32_e32 v84, v122, v182
	v_fmac_f32_e32 v132, v126, v185
	v_fma_f32 v84, v121, v181, -v84
	v_add_f32_e32 v131, v131, v132
	s_waitcnt vmcnt(12) lgkmcnt(0)
	v_mul_f32_e32 v132, v127, v188
	v_add_f32_e32 v83, v83, v84
	v_mul_f32_e32 v84, v124, v184
	v_fmac_f32_e32 v132, v128, v187
	v_fma_f32 v84, v123, v183, -v84
	v_add_f32_e32 v135, v131, v132
	ds_read2_b64 v[131:134], v82 offset0:75 offset1:76
	v_add_f32_e32 v83, v83, v84
	v_mul_f32_e32 v84, v126, v186
	v_fma_f32 v84, v125, v185, -v84
	v_add_f32_e32 v83, v83, v84
	v_mul_f32_e32 v84, v128, v188
	s_waitcnt vmcnt(10)
	v_mul_f32_e32 v136, v129, v190
	v_fma_f32 v84, v127, v187, -v84
	v_fmac_f32_e32 v136, v130, v189
	v_add_f32_e32 v83, v83, v84
	v_mul_f32_e32 v84, v130, v190
	v_add_f32_e32 v139, v135, v136
	ds_read2_b64 v[135:138], v82 offset0:77 offset1:78
	s_waitcnt vmcnt(8) lgkmcnt(1)
	v_mul_f32_e32 v140, v131, v192
	v_fma_f32 v84, v129, v189, -v84
	v_fmac_f32_e32 v140, v132, v191
	v_add_f32_e32 v83, v83, v84
	v_mul_f32_e32 v84, v132, v192
	v_add_f32_e32 v139, v139, v140
	s_waitcnt vmcnt(6)
	v_mul_f32_e32 v140, v133, v194
	v_fma_f32 v84, v131, v191, -v84
	v_fmac_f32_e32 v140, v134, v193
	v_add_f32_e32 v83, v83, v84
	v_mul_f32_e32 v84, v134, v194
	v_add_f32_e32 v201, v139, v140
	ds_read_b64 v[139:140], v82 offset:632
	v_fma_f32 v84, v133, v193, -v84
	v_add_f32_e32 v83, v83, v84
	s_waitcnt vmcnt(4) lgkmcnt(1)
	v_mul_f32_e32 v84, v136, v196
	v_mul_f32_e32 v202, v135, v196
	v_fma_f32 v84, v135, v195, -v84
	v_fmac_f32_e32 v202, v136, v195
	v_add_f32_e32 v83, v83, v84
	s_waitcnt vmcnt(2)
	v_mul_f32_e32 v84, v138, v198
	v_add_f32_e32 v201, v201, v202
	v_mul_f32_e32 v202, v137, v198
	v_fma_f32 v84, v137, v197, -v84
	v_fmac_f32_e32 v202, v138, v197
	v_add_f32_e32 v83, v83, v84
	s_waitcnt vmcnt(0) lgkmcnt(0)
	v_mul_f32_e32 v84, v140, v200
	v_add_f32_e32 v201, v201, v202
	v_mul_f32_e32 v202, v139, v200
	v_fma_f32 v84, v139, v199, -v84
	v_fmac_f32_e32 v202, v140, v199
	v_add_f32_e32 v83, v83, v84
	v_add_f32_e32 v201, v201, v202
	v_sub_f32_e32 v83, v167, v83
	v_sub_f32_e32 v84, v168, v201
	buffer_store_dword v83, off, s[0:3], 0 offset:80
	buffer_store_dword v84, off, s[0:3], 0 offset:84
	s_and_saveexec_b64 s[4:5], vcc
	s_cbranch_execz .LBB39_235
; %bb.234:
	buffer_load_dword v83, off, s[0:3], 0 offset:72
	buffer_load_dword v84, off, s[0:3], 0 offset:76
	s_waitcnt vmcnt(0)
	ds_write_b64 v81, v[83:84]
	buffer_store_dword v82, off, s[0:3], 0 offset:72
	buffer_store_dword v82, off, s[0:3], 0 offset:76
.LBB39_235:
	s_or_b64 exec, exec, s[4:5]
	s_waitcnt lgkmcnt(0)
	; wave barrier
	buffer_load_dword v143, off, s[0:3], 0 offset:84
	buffer_load_dword v144, off, s[0:3], 0 offset:92
	;; [unrolled: 1-line block ×32, first 2 shown]
	ds_read_b128 v[83:86], v82 offset:400
	ds_read_b128 v[87:90], v82 offset:416
	;; [unrolled: 1-line block ×4, first 2 shown]
	buffer_load_dword v175, off, s[0:3], 0 offset:204
	buffer_load_dword v176, off, s[0:3], 0 offset:200
	;; [unrolled: 1-line block ×30, first 2 shown]
	v_cmp_lt_u32_e32 vcc, 8, v0
	s_waitcnt vmcnt(61) lgkmcnt(3)
	v_mul_f32_e32 v99, v83, v143
	s_waitcnt vmcnt(60)
	v_mul_f32_e32 v100, v85, v144
	s_waitcnt vmcnt(59) lgkmcnt(2)
	v_mul_f32_e32 v101, v87, v145
	s_waitcnt vmcnt(58)
	v_mul_f32_e32 v102, v89, v146
	;; [unrolled: 4-line block ×3, first 2 shown]
	s_waitcnt vmcnt(55) lgkmcnt(0)
	v_mul_f32_e32 v105, v95, v149
	s_waitcnt vmcnt(54)
	v_fmac_f32_e32 v99, v84, v150
	s_waitcnt vmcnt(53)
	v_fmac_f32_e32 v100, v86, v151
	v_add_f32_e32 v99, 0, v99
	s_waitcnt vmcnt(52)
	v_fmac_f32_e32 v101, v88, v152
	v_add_f32_e32 v99, v99, v100
	;; [unrolled: 3-line block ×6, first 2 shown]
	v_add_f32_e32 v103, v99, v105
	ds_read_b128 v[99:102], v82 offset:464
	s_waitcnt vmcnt(47)
	v_mul_f32_e32 v104, v97, v157
	s_waitcnt vmcnt(46)
	v_fmac_f32_e32 v104, v98, v158
	v_mul_f32_e32 v84, v84, v143
	v_add_f32_e32 v107, v103, v104
	ds_read_b128 v[103:106], v82 offset:480
	v_fma_f32 v83, v83, v150, -v84
	v_mul_f32_e32 v84, v86, v144
	s_waitcnt vmcnt(45) lgkmcnt(1)
	v_mul_f32_e32 v108, v99, v159
	v_add_f32_e32 v83, 0, v83
	v_fma_f32 v84, v85, v151, -v84
	s_waitcnt vmcnt(44)
	v_fmac_f32_e32 v108, v100, v160
	v_add_f32_e32 v83, v83, v84
	v_mul_f32_e32 v84, v88, v145
	v_add_f32_e32 v107, v107, v108
	s_waitcnt vmcnt(43)
	v_mul_f32_e32 v108, v101, v161
	v_fma_f32 v84, v87, v152, -v84
	s_waitcnt vmcnt(42)
	v_fmac_f32_e32 v108, v102, v162
	v_add_f32_e32 v83, v83, v84
	v_mul_f32_e32 v84, v90, v146
	v_add_f32_e32 v107, v107, v108
	s_waitcnt vmcnt(41) lgkmcnt(0)
	v_mul_f32_e32 v108, v103, v163
	v_fma_f32 v84, v89, v153, -v84
	s_waitcnt vmcnt(40)
	v_fmac_f32_e32 v108, v104, v164
	v_add_f32_e32 v83, v83, v84
	v_mul_f32_e32 v84, v92, v147
	v_add_f32_e32 v111, v107, v108
	ds_read_b128 v[107:110], v82 offset:496
	v_fma_f32 v84, v91, v154, -v84
	v_add_f32_e32 v83, v83, v84
	v_mul_f32_e32 v84, v94, v148
	s_waitcnt vmcnt(39)
	v_mul_f32_e32 v112, v105, v165
	v_fma_f32 v84, v93, v155, -v84
	s_waitcnt vmcnt(38)
	v_fmac_f32_e32 v112, v106, v166
	v_add_f32_e32 v83, v83, v84
	v_mul_f32_e32 v84, v96, v149
	v_add_f32_e32 v115, v111, v112
	ds_read_b128 v[111:114], v82 offset:512
	v_fma_f32 v84, v95, v156, -v84
	s_waitcnt vmcnt(35) lgkmcnt(1)
	v_mul_f32_e32 v116, v107, v169
	v_add_f32_e32 v83, v83, v84
	v_mul_f32_e32 v84, v98, v157
	s_waitcnt vmcnt(34)
	v_fmac_f32_e32 v116, v108, v170
	v_fma_f32 v84, v97, v158, -v84
	v_add_f32_e32 v115, v115, v116
	s_waitcnt vmcnt(32)
	v_mul_f32_e32 v116, v109, v172
	v_add_f32_e32 v83, v83, v84
	v_mul_f32_e32 v84, v100, v159
	v_fmac_f32_e32 v116, v110, v171
	v_fma_f32 v84, v99, v160, -v84
	v_add_f32_e32 v115, v115, v116
	s_waitcnt vmcnt(30) lgkmcnt(0)
	v_mul_f32_e32 v116, v111, v174
	v_add_f32_e32 v83, v83, v84
	v_mul_f32_e32 v84, v102, v161
	v_fmac_f32_e32 v116, v112, v173
	v_fma_f32 v84, v101, v162, -v84
	v_add_f32_e32 v119, v115, v116
	ds_read_b128 v[115:118], v82 offset:528
	v_add_f32_e32 v83, v83, v84
	v_mul_f32_e32 v84, v104, v163
	v_fma_f32 v84, v103, v164, -v84
	s_waitcnt vmcnt(29)
	v_mul_f32_e32 v120, v113, v175
	v_add_f32_e32 v83, v83, v84
	v_mul_f32_e32 v84, v106, v165
	s_waitcnt vmcnt(28)
	v_fmac_f32_e32 v120, v114, v176
	v_fma_f32 v84, v105, v166, -v84
	v_add_f32_e32 v123, v119, v120
	ds_read_b128 v[119:122], v82 offset:544
	v_add_f32_e32 v83, v83, v84
	v_mul_f32_e32 v84, v108, v169
	s_waitcnt vmcnt(26) lgkmcnt(1)
	v_mul_f32_e32 v124, v115, v178
	v_fma_f32 v84, v107, v170, -v84
	v_fmac_f32_e32 v124, v116, v177
	v_add_f32_e32 v83, v83, v84
	v_mul_f32_e32 v84, v110, v172
	v_add_f32_e32 v123, v123, v124
	s_waitcnt vmcnt(24)
	v_mul_f32_e32 v124, v117, v180
	v_fma_f32 v84, v109, v171, -v84
	v_fmac_f32_e32 v124, v118, v179
	v_add_f32_e32 v83, v83, v84
	v_mul_f32_e32 v84, v112, v174
	v_add_f32_e32 v123, v123, v124
	s_waitcnt vmcnt(22) lgkmcnt(0)
	v_mul_f32_e32 v124, v119, v182
	v_fma_f32 v84, v111, v173, -v84
	v_fmac_f32_e32 v124, v120, v181
	v_add_f32_e32 v83, v83, v84
	v_mul_f32_e32 v84, v114, v175
	v_add_f32_e32 v127, v123, v124
	ds_read_b128 v[123:126], v82 offset:560
	v_fma_f32 v84, v113, v176, -v84
	v_add_f32_e32 v83, v83, v84
	v_mul_f32_e32 v84, v116, v178
	s_waitcnt vmcnt(20)
	v_mul_f32_e32 v128, v121, v184
	v_fma_f32 v84, v115, v177, -v84
	v_fmac_f32_e32 v128, v122, v183
	v_add_f32_e32 v83, v83, v84
	v_mul_f32_e32 v84, v118, v180
	v_add_f32_e32 v131, v127, v128
	ds_read_b128 v[127:130], v82 offset:576
	v_fma_f32 v84, v117, v179, -v84
	s_waitcnt vmcnt(18) lgkmcnt(1)
	v_mul_f32_e32 v132, v123, v186
	v_add_f32_e32 v83, v83, v84
	v_mul_f32_e32 v84, v120, v182
	v_fmac_f32_e32 v132, v124, v185
	v_fma_f32 v84, v119, v181, -v84
	v_add_f32_e32 v131, v131, v132
	s_waitcnt vmcnt(16)
	v_mul_f32_e32 v132, v125, v188
	v_add_f32_e32 v83, v83, v84
	v_mul_f32_e32 v84, v122, v184
	v_fmac_f32_e32 v132, v126, v187
	v_fma_f32 v84, v121, v183, -v84
	v_add_f32_e32 v131, v131, v132
	s_waitcnt vmcnt(14) lgkmcnt(0)
	v_mul_f32_e32 v132, v127, v190
	v_add_f32_e32 v83, v83, v84
	v_mul_f32_e32 v84, v124, v186
	v_fmac_f32_e32 v132, v128, v189
	v_fma_f32 v84, v123, v185, -v84
	v_add_f32_e32 v135, v131, v132
	ds_read_b128 v[131:134], v82 offset:592
	v_add_f32_e32 v83, v83, v84
	v_mul_f32_e32 v84, v126, v188
	v_fma_f32 v84, v125, v187, -v84
	v_add_f32_e32 v83, v83, v84
	v_mul_f32_e32 v84, v128, v190
	s_waitcnt vmcnt(12)
	v_mul_f32_e32 v136, v129, v192
	v_fma_f32 v84, v127, v189, -v84
	v_fmac_f32_e32 v136, v130, v191
	v_add_f32_e32 v83, v83, v84
	v_mul_f32_e32 v84, v130, v192
	v_add_f32_e32 v139, v135, v136
	ds_read_b128 v[135:138], v82 offset:608
	s_waitcnt vmcnt(10) lgkmcnt(1)
	v_mul_f32_e32 v140, v131, v194
	v_fma_f32 v84, v129, v191, -v84
	v_fmac_f32_e32 v140, v132, v193
	v_add_f32_e32 v83, v83, v84
	v_mul_f32_e32 v84, v132, v194
	v_add_f32_e32 v139, v139, v140
	s_waitcnt vmcnt(8)
	v_mul_f32_e32 v140, v133, v196
	v_fma_f32 v84, v131, v193, -v84
	v_fmac_f32_e32 v140, v134, v195
	v_add_f32_e32 v83, v83, v84
	v_mul_f32_e32 v84, v134, v196
	v_add_f32_e32 v205, v139, v140
	ds_read_b128 v[139:142], v82 offset:624
	v_fma_f32 v84, v133, v195, -v84
	v_add_f32_e32 v83, v83, v84
	s_waitcnt vmcnt(6) lgkmcnt(1)
	v_mul_f32_e32 v84, v136, v198
	v_mul_f32_e32 v206, v135, v198
	v_fma_f32 v84, v135, v197, -v84
	v_fmac_f32_e32 v206, v136, v197
	v_add_f32_e32 v83, v83, v84
	s_waitcnt vmcnt(4)
	v_mul_f32_e32 v84, v138, v200
	v_add_f32_e32 v82, v205, v206
	v_mul_f32_e32 v205, v137, v200
	v_fma_f32 v84, v137, v199, -v84
	v_fmac_f32_e32 v205, v138, v199
	v_add_f32_e32 v83, v83, v84
	s_waitcnt vmcnt(2) lgkmcnt(0)
	v_mul_f32_e32 v84, v140, v202
	v_add_f32_e32 v82, v82, v205
	v_mul_f32_e32 v205, v139, v202
	v_fma_f32 v84, v139, v201, -v84
	v_fmac_f32_e32 v205, v140, v201
	v_add_f32_e32 v83, v83, v84
	s_waitcnt vmcnt(0)
	v_mul_f32_e32 v84, v142, v204
	v_add_f32_e32 v82, v82, v205
	v_mul_f32_e32 v205, v141, v204
	v_fma_f32 v84, v141, v203, -v84
	v_fmac_f32_e32 v205, v142, v203
	v_add_f32_e32 v83, v83, v84
	v_add_f32_e32 v82, v82, v205
	v_sub_f32_e32 v83, v167, v83
	v_sub_f32_e32 v82, v168, v82
	buffer_store_dword v83, off, s[0:3], 0 offset:72
	buffer_store_dword v82, off, s[0:3], 0 offset:76
	s_and_saveexec_b64 s[4:5], vcc
	s_cbranch_execz .LBB39_237
; %bb.236:
	buffer_load_dword v82, off, s[0:3], 0 offset:64
	buffer_load_dword v83, off, s[0:3], 0 offset:68
	v_mov_b32_e32 v84, 0
	buffer_store_dword v84, off, s[0:3], 0 offset:64
	buffer_store_dword v84, off, s[0:3], 0 offset:68
	s_waitcnt vmcnt(2)
	ds_write_b64 v81, v[82:83]
.LBB39_237:
	s_or_b64 exec, exec, s[4:5]
	s_waitcnt lgkmcnt(0)
	; wave barrier
	buffer_load_dword v145, off, s[0:3], 0 offset:76
	buffer_load_dword v146, off, s[0:3], 0 offset:84
	;; [unrolled: 1-line block ×56, first 2 shown]
	v_mov_b32_e32 v82, 0
	ds_read2_b64 v[83:86], v82 offset0:49 offset1:50
	buffer_load_dword v201, off, s[0:3], 0 offset:288
	buffer_load_dword v202, off, s[0:3], 0 offset:292
	;; [unrolled: 1-line block ×4, first 2 shown]
	ds_read2_b64 v[87:90], v82 offset0:51 offset1:52
	ds_read2_b64 v[91:94], v82 offset0:53 offset1:54
	;; [unrolled: 1-line block ×3, first 2 shown]
	v_cmp_lt_u32_e32 vcc, 7, v0
	s_waitcnt vmcnt(59) lgkmcnt(3)
	v_mul_f32_e32 v99, v83, v145
	s_waitcnt vmcnt(58)
	v_mul_f32_e32 v100, v85, v146
	s_waitcnt vmcnt(57) lgkmcnt(2)
	v_mul_f32_e32 v101, v87, v147
	s_waitcnt vmcnt(56)
	v_mul_f32_e32 v102, v89, v148
	;; [unrolled: 4-line block ×4, first 2 shown]
	s_waitcnt vmcnt(51)
	v_fmac_f32_e32 v99, v84, v153
	s_waitcnt vmcnt(50)
	v_fmac_f32_e32 v100, v86, v154
	v_add_f32_e32 v99, 0, v99
	s_waitcnt vmcnt(49)
	v_fmac_f32_e32 v101, v88, v155
	v_add_f32_e32 v99, v99, v100
	;; [unrolled: 3-line block ×6, first 2 shown]
	v_add_f32_e32 v103, v99, v105
	ds_read2_b64 v[99:102], v82 offset0:57 offset1:58
	buffer_load_dword v205, off, s[0:3], 0 offset:308
	buffer_load_dword v206, off, s[0:3], 0 offset:304
	;; [unrolled: 1-line block ×4, first 2 shown]
	s_waitcnt vmcnt(48)
	v_fmac_f32_e32 v106, v98, v160
	v_add_f32_e32 v107, v103, v106
	ds_read2_b64 v[103:106], v82 offset0:59 offset1:60
	s_waitcnt vmcnt(47) lgkmcnt(1)
	v_mul_f32_e32 v108, v99, v161
	v_mul_f32_e32 v84, v84, v145
	s_waitcnt vmcnt(46)
	v_fmac_f32_e32 v108, v100, v162
	v_fma_f32 v83, v83, v153, -v84
	v_mul_f32_e32 v84, v86, v146
	v_add_f32_e32 v107, v107, v108
	s_waitcnt vmcnt(45)
	v_mul_f32_e32 v108, v101, v163
	v_add_f32_e32 v83, 0, v83
	v_fma_f32 v84, v85, v154, -v84
	s_waitcnt vmcnt(44)
	v_fmac_f32_e32 v108, v102, v164
	v_add_f32_e32 v83, v83, v84
	v_mul_f32_e32 v84, v88, v147
	v_add_f32_e32 v107, v107, v108
	s_waitcnt vmcnt(42) lgkmcnt(0)
	v_mul_f32_e32 v108, v103, v166
	v_fma_f32 v84, v87, v155, -v84
	v_fmac_f32_e32 v108, v104, v165
	v_add_f32_e32 v83, v83, v84
	v_mul_f32_e32 v84, v90, v148
	v_add_f32_e32 v111, v107, v108
	ds_read2_b64 v[107:110], v82 offset0:61 offset1:62
	v_fma_f32 v84, v89, v156, -v84
	v_add_f32_e32 v83, v83, v84
	v_mul_f32_e32 v84, v92, v149
	s_waitcnt vmcnt(39)
	v_mul_f32_e32 v112, v105, v169
	v_fma_f32 v84, v91, v157, -v84
	s_waitcnt vmcnt(38)
	v_fmac_f32_e32 v112, v106, v170
	v_add_f32_e32 v83, v83, v84
	v_mul_f32_e32 v84, v94, v150
	v_add_f32_e32 v115, v111, v112
	ds_read2_b64 v[111:114], v82 offset0:63 offset1:64
	v_fma_f32 v84, v93, v158, -v84
	s_waitcnt vmcnt(36) lgkmcnt(1)
	v_mul_f32_e32 v116, v107, v172
	v_add_f32_e32 v83, v83, v84
	v_mul_f32_e32 v84, v96, v151
	v_fmac_f32_e32 v116, v108, v171
	v_fma_f32 v84, v95, v159, -v84
	v_add_f32_e32 v115, v115, v116
	s_waitcnt vmcnt(34)
	v_mul_f32_e32 v116, v109, v174
	v_add_f32_e32 v83, v83, v84
	v_mul_f32_e32 v84, v98, v152
	v_fmac_f32_e32 v116, v110, v173
	v_fma_f32 v84, v97, v160, -v84
	v_add_f32_e32 v115, v115, v116
	s_waitcnt vmcnt(32) lgkmcnt(0)
	v_mul_f32_e32 v116, v111, v176
	v_add_f32_e32 v83, v83, v84
	v_mul_f32_e32 v84, v100, v161
	v_fmac_f32_e32 v116, v112, v175
	v_fma_f32 v84, v99, v162, -v84
	v_add_f32_e32 v119, v115, v116
	ds_read2_b64 v[115:118], v82 offset0:65 offset1:66
	v_add_f32_e32 v83, v83, v84
	v_mul_f32_e32 v84, v102, v163
	v_fma_f32 v84, v101, v164, -v84
	s_waitcnt vmcnt(30)
	v_mul_f32_e32 v120, v113, v178
	v_add_f32_e32 v83, v83, v84
	v_mul_f32_e32 v84, v104, v166
	v_fmac_f32_e32 v120, v114, v177
	v_fma_f32 v84, v103, v165, -v84
	v_add_f32_e32 v123, v119, v120
	ds_read2_b64 v[119:122], v82 offset0:67 offset1:68
	v_add_f32_e32 v83, v83, v84
	v_mul_f32_e32 v84, v106, v169
	s_waitcnt vmcnt(28) lgkmcnt(1)
	v_mul_f32_e32 v124, v115, v180
	v_fma_f32 v84, v105, v170, -v84
	v_fmac_f32_e32 v124, v116, v179
	v_add_f32_e32 v83, v83, v84
	v_mul_f32_e32 v84, v108, v172
	v_add_f32_e32 v123, v123, v124
	s_waitcnt vmcnt(26)
	v_mul_f32_e32 v124, v117, v182
	v_fma_f32 v84, v107, v171, -v84
	v_fmac_f32_e32 v124, v118, v181
	v_add_f32_e32 v83, v83, v84
	v_mul_f32_e32 v84, v110, v174
	v_add_f32_e32 v123, v123, v124
	s_waitcnt vmcnt(24) lgkmcnt(0)
	v_mul_f32_e32 v124, v119, v184
	v_fma_f32 v84, v109, v173, -v84
	v_fmac_f32_e32 v124, v120, v183
	v_add_f32_e32 v83, v83, v84
	v_mul_f32_e32 v84, v112, v176
	v_add_f32_e32 v127, v123, v124
	ds_read2_b64 v[123:126], v82 offset0:69 offset1:70
	v_fma_f32 v84, v111, v175, -v84
	v_add_f32_e32 v83, v83, v84
	v_mul_f32_e32 v84, v114, v178
	s_waitcnt vmcnt(22)
	v_mul_f32_e32 v128, v121, v186
	v_fma_f32 v84, v113, v177, -v84
	v_fmac_f32_e32 v128, v122, v185
	v_add_f32_e32 v83, v83, v84
	v_mul_f32_e32 v84, v116, v180
	v_add_f32_e32 v131, v127, v128
	ds_read2_b64 v[127:130], v82 offset0:71 offset1:72
	v_fma_f32 v84, v115, v179, -v84
	s_waitcnt vmcnt(20) lgkmcnt(1)
	v_mul_f32_e32 v132, v123, v188
	v_add_f32_e32 v83, v83, v84
	v_mul_f32_e32 v84, v118, v182
	v_fmac_f32_e32 v132, v124, v187
	v_fma_f32 v84, v117, v181, -v84
	v_add_f32_e32 v131, v131, v132
	s_waitcnt vmcnt(18)
	v_mul_f32_e32 v132, v125, v190
	v_add_f32_e32 v83, v83, v84
	v_mul_f32_e32 v84, v120, v184
	v_fmac_f32_e32 v132, v126, v189
	v_fma_f32 v84, v119, v183, -v84
	v_add_f32_e32 v131, v131, v132
	s_waitcnt vmcnt(16) lgkmcnt(0)
	v_mul_f32_e32 v132, v127, v192
	v_add_f32_e32 v83, v83, v84
	v_mul_f32_e32 v84, v122, v186
	v_fmac_f32_e32 v132, v128, v191
	v_fma_f32 v84, v121, v185, -v84
	v_add_f32_e32 v135, v131, v132
	ds_read2_b64 v[131:134], v82 offset0:73 offset1:74
	v_add_f32_e32 v83, v83, v84
	v_mul_f32_e32 v84, v124, v188
	v_fma_f32 v84, v123, v187, -v84
	s_waitcnt vmcnt(14)
	v_mul_f32_e32 v136, v129, v194
	v_add_f32_e32 v83, v83, v84
	v_mul_f32_e32 v84, v126, v190
	v_fmac_f32_e32 v136, v130, v193
	v_fma_f32 v84, v125, v189, -v84
	v_add_f32_e32 v139, v135, v136
	ds_read2_b64 v[135:138], v82 offset0:75 offset1:76
	v_add_f32_e32 v83, v83, v84
	v_mul_f32_e32 v84, v128, v192
	s_waitcnt vmcnt(12) lgkmcnt(1)
	v_mul_f32_e32 v140, v131, v196
	v_fma_f32 v84, v127, v191, -v84
	v_fmac_f32_e32 v140, v132, v195
	v_add_f32_e32 v83, v83, v84
	v_mul_f32_e32 v84, v130, v194
	v_add_f32_e32 v139, v139, v140
	s_waitcnt vmcnt(10)
	v_mul_f32_e32 v140, v133, v198
	v_fma_f32 v84, v129, v193, -v84
	v_fmac_f32_e32 v140, v134, v197
	v_add_f32_e32 v83, v83, v84
	v_mul_f32_e32 v84, v132, v196
	v_add_f32_e32 v139, v139, v140
	s_waitcnt vmcnt(8) lgkmcnt(0)
	v_mul_f32_e32 v140, v135, v200
	v_fma_f32 v84, v131, v195, -v84
	v_fmac_f32_e32 v140, v136, v199
	v_add_f32_e32 v83, v83, v84
	v_mul_f32_e32 v84, v134, v198
	v_add_f32_e32 v143, v139, v140
	ds_read2_b64 v[139:142], v82 offset0:77 offset1:78
	v_fma_f32 v84, v133, v197, -v84
	v_add_f32_e32 v83, v83, v84
	v_mul_f32_e32 v84, v136, v200
	s_waitcnt vmcnt(6)
	v_mul_f32_e32 v144, v137, v202
	v_fma_f32 v84, v135, v199, -v84
	v_fmac_f32_e32 v144, v138, v201
	v_add_f32_e32 v83, v83, v84
	v_mul_f32_e32 v84, v138, v202
	v_add_f32_e32 v209, v143, v144
	ds_read_b64 v[143:144], v82 offset:632
	v_fma_f32 v84, v137, v201, -v84
	v_add_f32_e32 v83, v83, v84
	s_waitcnt vmcnt(4) lgkmcnt(1)
	v_mul_f32_e32 v84, v140, v204
	v_mul_f32_e32 v210, v139, v204
	v_fma_f32 v84, v139, v203, -v84
	v_fmac_f32_e32 v210, v140, v203
	v_add_f32_e32 v83, v83, v84
	s_waitcnt vmcnt(3)
	v_mul_f32_e32 v84, v142, v205
	v_add_f32_e32 v209, v209, v210
	v_mul_f32_e32 v210, v141, v205
	s_waitcnt vmcnt(2)
	v_fma_f32 v84, v141, v206, -v84
	v_fmac_f32_e32 v210, v142, v206
	v_add_f32_e32 v83, v83, v84
	s_waitcnt vmcnt(0) lgkmcnt(0)
	v_mul_f32_e32 v84, v144, v208
	v_add_f32_e32 v209, v209, v210
	v_mul_f32_e32 v210, v143, v208
	v_fma_f32 v84, v143, v207, -v84
	v_fmac_f32_e32 v210, v144, v207
	v_add_f32_e32 v83, v83, v84
	v_add_f32_e32 v209, v209, v210
	v_sub_f32_e32 v83, v167, v83
	v_sub_f32_e32 v84, v168, v209
	buffer_store_dword v83, off, s[0:3], 0 offset:64
	buffer_store_dword v84, off, s[0:3], 0 offset:68
	s_and_saveexec_b64 s[4:5], vcc
	s_cbranch_execz .LBB39_239
; %bb.238:
	buffer_load_dword v83, off, s[0:3], 0 offset:56
	buffer_load_dword v84, off, s[0:3], 0 offset:60
	s_waitcnt vmcnt(0)
	ds_write_b64 v81, v[83:84]
	buffer_store_dword v82, off, s[0:3], 0 offset:56
	buffer_store_dword v82, off, s[0:3], 0 offset:60
.LBB39_239:
	s_or_b64 exec, exec, s[4:5]
	s_waitcnt lgkmcnt(0)
	; wave barrier
	buffer_load_dword v147, off, s[0:3], 0 offset:68
	buffer_load_dword v148, off, s[0:3], 0 offset:76
	;; [unrolled: 1-line block ×26, first 2 shown]
	ds_read_b128 v[83:86], v82 offset:384
	ds_read_b128 v[87:90], v82 offset:400
	;; [unrolled: 1-line block ×4, first 2 shown]
	buffer_load_dword v173, off, s[0:3], 0 offset:164
	buffer_load_dword v174, off, s[0:3], 0 offset:160
	;; [unrolled: 1-line block ×34, first 2 shown]
	v_cmp_lt_u32_e32 vcc, 6, v0
	s_waitcnt vmcnt(59) lgkmcnt(3)
	v_mul_f32_e32 v99, v83, v147
	s_waitcnt vmcnt(58)
	v_mul_f32_e32 v100, v85, v148
	s_waitcnt vmcnt(57) lgkmcnt(2)
	v_mul_f32_e32 v101, v87, v149
	s_waitcnt vmcnt(56)
	v_mul_f32_e32 v102, v89, v150
	;; [unrolled: 4-line block ×4, first 2 shown]
	s_waitcnt vmcnt(51)
	v_fmac_f32_e32 v99, v84, v155
	s_waitcnt vmcnt(50)
	v_fmac_f32_e32 v100, v86, v156
	v_add_f32_e32 v99, 0, v99
	s_waitcnt vmcnt(49)
	v_fmac_f32_e32 v101, v88, v157
	v_add_f32_e32 v99, v99, v100
	;; [unrolled: 3-line block ×7, first 2 shown]
	v_add_f32_e32 v107, v99, v106
	ds_read_b128 v[99:102], v82 offset:448
	buffer_load_dword v207, off, s[0:3], 0 offset:300
	buffer_load_dword v208, off, s[0:3], 0 offset:296
	;; [unrolled: 1-line block ×4, first 2 shown]
	ds_read_b128 v[103:106], v82 offset:464
	buffer_load_dword v211, off, s[0:3], 0 offset:312
	buffer_load_dword v212, off, s[0:3], 0 offset:316
	v_mul_f32_e32 v84, v84, v147
	s_waitcnt vmcnt(49) lgkmcnt(1)
	v_mul_f32_e32 v108, v99, v163
	s_waitcnt vmcnt(48)
	v_fmac_f32_e32 v108, v100, v164
	v_fma_f32 v83, v83, v155, -v84
	v_mul_f32_e32 v84, v86, v148
	v_add_f32_e32 v107, v107, v108
	s_waitcnt vmcnt(46)
	v_mul_f32_e32 v108, v101, v166
	v_add_f32_e32 v83, 0, v83
	v_fma_f32 v84, v85, v156, -v84
	v_fmac_f32_e32 v108, v102, v165
	v_add_f32_e32 v83, v83, v84
	v_mul_f32_e32 v84, v88, v149
	v_add_f32_e32 v107, v107, v108
	s_waitcnt vmcnt(43) lgkmcnt(0)
	v_mul_f32_e32 v108, v103, v169
	v_fma_f32 v84, v87, v157, -v84
	s_waitcnt vmcnt(42)
	v_fmac_f32_e32 v108, v104, v170
	v_add_f32_e32 v83, v83, v84
	v_mul_f32_e32 v84, v90, v150
	v_add_f32_e32 v111, v107, v108
	ds_read_b128 v[107:110], v82 offset:480
	v_fma_f32 v84, v89, v158, -v84
	v_add_f32_e32 v83, v83, v84
	v_mul_f32_e32 v84, v92, v151
	s_waitcnt vmcnt(40)
	v_mul_f32_e32 v112, v105, v172
	v_fma_f32 v84, v91, v159, -v84
	v_fmac_f32_e32 v112, v106, v171
	v_add_f32_e32 v83, v83, v84
	v_mul_f32_e32 v84, v94, v152
	v_add_f32_e32 v115, v111, v112
	ds_read_b128 v[111:114], v82 offset:496
	v_fma_f32 v84, v93, v160, -v84
	s_waitcnt vmcnt(39) lgkmcnt(1)
	v_mul_f32_e32 v116, v107, v173
	v_add_f32_e32 v83, v83, v84
	v_mul_f32_e32 v84, v96, v153
	s_waitcnt vmcnt(38)
	v_fmac_f32_e32 v116, v108, v174
	v_fma_f32 v84, v95, v161, -v84
	v_add_f32_e32 v115, v115, v116
	s_waitcnt vmcnt(36)
	v_mul_f32_e32 v116, v109, v176
	v_add_f32_e32 v83, v83, v84
	v_mul_f32_e32 v84, v98, v154
	v_fmac_f32_e32 v116, v110, v175
	v_fma_f32 v84, v97, v162, -v84
	v_add_f32_e32 v115, v115, v116
	s_waitcnt vmcnt(34) lgkmcnt(0)
	v_mul_f32_e32 v116, v111, v178
	v_add_f32_e32 v83, v83, v84
	v_mul_f32_e32 v84, v100, v163
	v_fmac_f32_e32 v116, v112, v177
	v_fma_f32 v84, v99, v164, -v84
	v_add_f32_e32 v119, v115, v116
	ds_read_b128 v[115:118], v82 offset:512
	v_add_f32_e32 v83, v83, v84
	v_mul_f32_e32 v84, v102, v166
	v_fma_f32 v84, v101, v165, -v84
	s_waitcnt vmcnt(32)
	v_mul_f32_e32 v120, v113, v180
	v_add_f32_e32 v83, v83, v84
	v_mul_f32_e32 v84, v104, v169
	v_fmac_f32_e32 v120, v114, v179
	v_fma_f32 v84, v103, v170, -v84
	v_add_f32_e32 v123, v119, v120
	ds_read_b128 v[119:122], v82 offset:528
	v_add_f32_e32 v83, v83, v84
	v_mul_f32_e32 v84, v106, v172
	s_waitcnt vmcnt(30) lgkmcnt(1)
	v_mul_f32_e32 v124, v115, v182
	v_fma_f32 v84, v105, v171, -v84
	v_fmac_f32_e32 v124, v116, v181
	v_add_f32_e32 v83, v83, v84
	v_mul_f32_e32 v84, v108, v173
	v_add_f32_e32 v123, v123, v124
	s_waitcnt vmcnt(28)
	v_mul_f32_e32 v124, v117, v184
	v_fma_f32 v84, v107, v174, -v84
	v_fmac_f32_e32 v124, v118, v183
	v_add_f32_e32 v83, v83, v84
	v_mul_f32_e32 v84, v110, v176
	v_add_f32_e32 v123, v123, v124
	s_waitcnt vmcnt(26) lgkmcnt(0)
	v_mul_f32_e32 v124, v119, v186
	v_fma_f32 v84, v109, v175, -v84
	v_fmac_f32_e32 v124, v120, v185
	v_add_f32_e32 v83, v83, v84
	v_mul_f32_e32 v84, v112, v178
	v_add_f32_e32 v127, v123, v124
	ds_read_b128 v[123:126], v82 offset:544
	v_fma_f32 v84, v111, v177, -v84
	v_add_f32_e32 v83, v83, v84
	v_mul_f32_e32 v84, v114, v180
	s_waitcnt vmcnt(24)
	v_mul_f32_e32 v128, v121, v188
	v_fma_f32 v84, v113, v179, -v84
	v_fmac_f32_e32 v128, v122, v187
	v_add_f32_e32 v83, v83, v84
	v_mul_f32_e32 v84, v116, v182
	v_add_f32_e32 v131, v127, v128
	ds_read_b128 v[127:130], v82 offset:560
	v_fma_f32 v84, v115, v181, -v84
	s_waitcnt vmcnt(22) lgkmcnt(1)
	v_mul_f32_e32 v132, v123, v190
	v_add_f32_e32 v83, v83, v84
	v_mul_f32_e32 v84, v118, v184
	v_fmac_f32_e32 v132, v124, v189
	v_fma_f32 v84, v117, v183, -v84
	v_add_f32_e32 v131, v131, v132
	s_waitcnt vmcnt(20)
	v_mul_f32_e32 v132, v125, v192
	v_add_f32_e32 v83, v83, v84
	v_mul_f32_e32 v84, v120, v186
	v_fmac_f32_e32 v132, v126, v191
	v_fma_f32 v84, v119, v185, -v84
	v_add_f32_e32 v131, v131, v132
	s_waitcnt vmcnt(18) lgkmcnt(0)
	v_mul_f32_e32 v132, v127, v194
	v_add_f32_e32 v83, v83, v84
	v_mul_f32_e32 v84, v122, v188
	v_fmac_f32_e32 v132, v128, v193
	v_fma_f32 v84, v121, v187, -v84
	v_add_f32_e32 v135, v131, v132
	ds_read_b128 v[131:134], v82 offset:576
	v_add_f32_e32 v83, v83, v84
	v_mul_f32_e32 v84, v124, v190
	v_fma_f32 v84, v123, v189, -v84
	s_waitcnt vmcnt(16)
	v_mul_f32_e32 v136, v129, v196
	v_add_f32_e32 v83, v83, v84
	v_mul_f32_e32 v84, v126, v192
	v_fmac_f32_e32 v136, v130, v195
	v_fma_f32 v84, v125, v191, -v84
	v_add_f32_e32 v139, v135, v136
	ds_read_b128 v[135:138], v82 offset:592
	v_add_f32_e32 v83, v83, v84
	v_mul_f32_e32 v84, v128, v194
	s_waitcnt vmcnt(14) lgkmcnt(1)
	v_mul_f32_e32 v140, v131, v198
	v_fma_f32 v84, v127, v193, -v84
	v_fmac_f32_e32 v140, v132, v197
	v_add_f32_e32 v83, v83, v84
	v_mul_f32_e32 v84, v130, v196
	v_add_f32_e32 v139, v139, v140
	s_waitcnt vmcnt(12)
	v_mul_f32_e32 v140, v133, v200
	v_fma_f32 v84, v129, v195, -v84
	v_fmac_f32_e32 v140, v134, v199
	v_add_f32_e32 v83, v83, v84
	v_mul_f32_e32 v84, v132, v198
	v_add_f32_e32 v139, v139, v140
	s_waitcnt vmcnt(10) lgkmcnt(0)
	v_mul_f32_e32 v140, v135, v202
	v_fma_f32 v84, v131, v197, -v84
	v_fmac_f32_e32 v140, v136, v201
	v_add_f32_e32 v83, v83, v84
	v_mul_f32_e32 v84, v134, v200
	v_add_f32_e32 v143, v139, v140
	ds_read_b128 v[139:142], v82 offset:608
	v_fma_f32 v84, v133, v199, -v84
	v_add_f32_e32 v83, v83, v84
	v_mul_f32_e32 v84, v136, v202
	s_waitcnt vmcnt(8)
	v_mul_f32_e32 v144, v137, v204
	v_fma_f32 v84, v135, v201, -v84
	v_fmac_f32_e32 v144, v138, v203
	v_add_f32_e32 v83, v83, v84
	v_mul_f32_e32 v84, v138, v204
	v_add_f32_e32 v213, v143, v144
	ds_read_b128 v[143:146], v82 offset:624
	v_fma_f32 v84, v137, v203, -v84
	v_add_f32_e32 v83, v83, v84
	s_waitcnt vmcnt(6) lgkmcnt(1)
	v_mul_f32_e32 v84, v140, v206
	v_mul_f32_e32 v82, v139, v206
	v_fma_f32 v84, v139, v205, -v84
	v_fmac_f32_e32 v82, v140, v205
	v_add_f32_e32 v83, v83, v84
	s_waitcnt vmcnt(5)
	v_mul_f32_e32 v84, v142, v207
	v_add_f32_e32 v82, v213, v82
	v_mul_f32_e32 v213, v141, v207
	s_waitcnt vmcnt(4)
	v_fma_f32 v84, v141, v208, -v84
	v_fmac_f32_e32 v213, v142, v208
	v_add_f32_e32 v83, v83, v84
	s_waitcnt vmcnt(2) lgkmcnt(0)
	v_mul_f32_e32 v84, v144, v210
	v_add_f32_e32 v82, v82, v213
	v_mul_f32_e32 v213, v143, v210
	v_fma_f32 v84, v143, v209, -v84
	v_fmac_f32_e32 v213, v144, v209
	v_add_f32_e32 v83, v83, v84
	s_waitcnt vmcnt(0)
	v_mul_f32_e32 v84, v146, v212
	v_add_f32_e32 v82, v82, v213
	v_mul_f32_e32 v213, v145, v212
	v_fma_f32 v84, v145, v211, -v84
	v_fmac_f32_e32 v213, v146, v211
	v_add_f32_e32 v83, v83, v84
	v_add_f32_e32 v82, v82, v213
	v_sub_f32_e32 v83, v167, v83
	v_sub_f32_e32 v82, v168, v82
	buffer_store_dword v83, off, s[0:3], 0 offset:56
	buffer_store_dword v82, off, s[0:3], 0 offset:60
	s_and_saveexec_b64 s[4:5], vcc
	s_cbranch_execz .LBB39_241
; %bb.240:
	buffer_load_dword v82, off, s[0:3], 0 offset:48
	buffer_load_dword v83, off, s[0:3], 0 offset:52
	v_mov_b32_e32 v84, 0
	buffer_store_dword v84, off, s[0:3], 0 offset:48
	buffer_store_dword v84, off, s[0:3], 0 offset:52
	s_waitcnt vmcnt(2)
	ds_write_b64 v81, v[82:83]
.LBB39_241:
	s_or_b64 exec, exec, s[4:5]
	s_waitcnt lgkmcnt(0)
	; wave barrier
	buffer_load_dword v149, off, s[0:3], 0 offset:60
	buffer_load_dword v150, off, s[0:3], 0 offset:68
	;; [unrolled: 1-line block ×58, first 2 shown]
	v_mov_b32_e32 v82, 0
	ds_read2_b64 v[83:86], v82 offset0:47 offset1:48
	ds_read2_b64 v[87:90], v82 offset0:49 offset1:50
	ds_read2_b64 v[91:94], v82 offset0:51 offset1:52
	ds_read2_b64 v[95:98], v82 offset0:53 offset1:54
	ds_read2_b64 v[99:102], v82 offset0:55 offset1:56
	buffer_load_dword v207, off, s[0:3], 0 offset:280
	buffer_load_dword v208, off, s[0:3], 0 offset:284
	v_cmp_lt_u32_e32 vcc, 5, v0
	s_waitcnt vmcnt(59) lgkmcnt(4)
	v_mul_f32_e32 v103, v83, v149
	s_waitcnt vmcnt(58)
	v_mul_f32_e32 v104, v85, v150
	s_waitcnt vmcnt(57) lgkmcnt(3)
	v_mul_f32_e32 v105, v87, v151
	s_waitcnt vmcnt(56)
	v_mul_f32_e32 v106, v89, v152
	s_waitcnt vmcnt(55) lgkmcnt(2)
	v_mul_f32_e32 v107, v91, v153
	s_waitcnt vmcnt(54)
	v_mul_f32_e32 v108, v93, v154
	s_waitcnt vmcnt(53) lgkmcnt(1)
	v_mul_f32_e32 v109, v95, v155
	s_waitcnt vmcnt(52)
	v_mul_f32_e32 v110, v97, v156
	s_waitcnt vmcnt(51)
	v_fmac_f32_e32 v103, v84, v157
	s_waitcnt vmcnt(50)
	v_fmac_f32_e32 v104, v86, v158
	v_add_f32_e32 v103, 0, v103
	s_waitcnt vmcnt(49)
	v_fmac_f32_e32 v105, v88, v159
	v_add_f32_e32 v103, v103, v104
	;; [unrolled: 3-line block ×7, first 2 shown]
	v_add_f32_e32 v107, v103, v110
	ds_read2_b64 v[103:106], v82 offset0:57 offset1:58
	buffer_load_dword v209, off, s[0:3], 0 offset:292
	buffer_load_dword v210, off, s[0:3], 0 offset:288
	;; [unrolled: 1-line block ×8, first 2 shown]
	s_waitcnt vmcnt(51) lgkmcnt(1)
	v_mul_f32_e32 v108, v99, v165
	s_waitcnt vmcnt(50)
	v_fmac_f32_e32 v108, v100, v166
	v_mul_f32_e32 v84, v84, v149
	v_add_f32_e32 v107, v107, v108
	s_waitcnt vmcnt(49)
	v_mul_f32_e32 v108, v101, v167
	v_fma_f32 v83, v83, v157, -v84
	v_mul_f32_e32 v84, v86, v150
	s_waitcnt vmcnt(46)
	v_fmac_f32_e32 v108, v102, v170
	v_add_f32_e32 v83, 0, v83
	v_fma_f32 v84, v85, v158, -v84
	v_add_f32_e32 v107, v107, v108
	s_waitcnt vmcnt(44) lgkmcnt(0)
	v_mul_f32_e32 v108, v103, v172
	v_add_f32_e32 v83, v83, v84
	v_mul_f32_e32 v84, v88, v151
	v_fmac_f32_e32 v108, v104, v171
	v_fma_f32 v84, v87, v159, -v84
	v_add_f32_e32 v111, v107, v108
	ds_read2_b64 v[107:110], v82 offset0:59 offset1:60
	v_add_f32_e32 v83, v83, v84
	v_mul_f32_e32 v84, v90, v152
	v_fma_f32 v84, v89, v160, -v84
	s_waitcnt vmcnt(42)
	v_mul_f32_e32 v112, v105, v174
	v_add_f32_e32 v83, v83, v84
	v_mul_f32_e32 v84, v92, v153
	v_fmac_f32_e32 v112, v106, v173
	v_fma_f32 v84, v91, v161, -v84
	v_add_f32_e32 v115, v111, v112
	ds_read2_b64 v[111:114], v82 offset0:61 offset1:62
	v_add_f32_e32 v83, v83, v84
	v_mul_f32_e32 v84, v94, v154
	s_waitcnt vmcnt(40) lgkmcnt(1)
	v_mul_f32_e32 v116, v107, v176
	v_fma_f32 v84, v93, v162, -v84
	v_fmac_f32_e32 v116, v108, v175
	v_add_f32_e32 v83, v83, v84
	v_mul_f32_e32 v84, v96, v155
	v_add_f32_e32 v115, v115, v116
	s_waitcnt vmcnt(38)
	v_mul_f32_e32 v116, v109, v178
	v_fma_f32 v84, v95, v163, -v84
	v_fmac_f32_e32 v116, v110, v177
	v_add_f32_e32 v83, v83, v84
	v_mul_f32_e32 v84, v98, v156
	v_add_f32_e32 v115, v115, v116
	s_waitcnt vmcnt(36) lgkmcnt(0)
	v_mul_f32_e32 v116, v111, v180
	v_fma_f32 v84, v97, v164, -v84
	v_fmac_f32_e32 v116, v112, v179
	v_add_f32_e32 v83, v83, v84
	v_mul_f32_e32 v84, v100, v165
	v_add_f32_e32 v119, v115, v116
	ds_read2_b64 v[115:118], v82 offset0:63 offset1:64
	v_fma_f32 v84, v99, v166, -v84
	v_add_f32_e32 v83, v83, v84
	v_mul_f32_e32 v84, v102, v167
	s_waitcnt vmcnt(34)
	v_mul_f32_e32 v120, v113, v182
	v_fma_f32 v84, v101, v170, -v84
	v_fmac_f32_e32 v120, v114, v181
	v_add_f32_e32 v83, v83, v84
	v_mul_f32_e32 v84, v104, v172
	v_add_f32_e32 v123, v119, v120
	ds_read2_b64 v[119:122], v82 offset0:65 offset1:66
	v_fma_f32 v84, v103, v171, -v84
	s_waitcnt vmcnt(32) lgkmcnt(1)
	v_mul_f32_e32 v124, v115, v184
	v_add_f32_e32 v83, v83, v84
	v_mul_f32_e32 v84, v106, v174
	v_fmac_f32_e32 v124, v116, v183
	v_fma_f32 v84, v105, v173, -v84
	v_add_f32_e32 v123, v123, v124
	s_waitcnt vmcnt(30)
	v_mul_f32_e32 v124, v117, v186
	v_add_f32_e32 v83, v83, v84
	v_mul_f32_e32 v84, v108, v176
	v_fmac_f32_e32 v124, v118, v185
	v_fma_f32 v84, v107, v175, -v84
	v_add_f32_e32 v123, v123, v124
	s_waitcnt vmcnt(28) lgkmcnt(0)
	v_mul_f32_e32 v124, v119, v188
	v_add_f32_e32 v83, v83, v84
	v_mul_f32_e32 v84, v110, v178
	v_fmac_f32_e32 v124, v120, v187
	v_fma_f32 v84, v109, v177, -v84
	v_add_f32_e32 v127, v123, v124
	ds_read2_b64 v[123:126], v82 offset0:67 offset1:68
	v_add_f32_e32 v83, v83, v84
	v_mul_f32_e32 v84, v112, v180
	v_fma_f32 v84, v111, v179, -v84
	s_waitcnt vmcnt(26)
	v_mul_f32_e32 v128, v121, v190
	v_add_f32_e32 v83, v83, v84
	v_mul_f32_e32 v84, v114, v182
	v_fmac_f32_e32 v128, v122, v189
	v_fma_f32 v84, v113, v181, -v84
	v_add_f32_e32 v131, v127, v128
	ds_read2_b64 v[127:130], v82 offset0:69 offset1:70
	v_add_f32_e32 v83, v83, v84
	v_mul_f32_e32 v84, v116, v184
	s_waitcnt vmcnt(24) lgkmcnt(1)
	v_mul_f32_e32 v132, v123, v192
	v_fma_f32 v84, v115, v183, -v84
	v_fmac_f32_e32 v132, v124, v191
	v_add_f32_e32 v83, v83, v84
	v_mul_f32_e32 v84, v118, v186
	v_add_f32_e32 v131, v131, v132
	s_waitcnt vmcnt(22)
	v_mul_f32_e32 v132, v125, v194
	v_fma_f32 v84, v117, v185, -v84
	v_fmac_f32_e32 v132, v126, v193
	v_add_f32_e32 v83, v83, v84
	v_mul_f32_e32 v84, v120, v188
	v_add_f32_e32 v131, v131, v132
	s_waitcnt vmcnt(20) lgkmcnt(0)
	v_mul_f32_e32 v132, v127, v196
	v_fma_f32 v84, v119, v187, -v84
	v_fmac_f32_e32 v132, v128, v195
	v_add_f32_e32 v83, v83, v84
	v_mul_f32_e32 v84, v122, v190
	v_add_f32_e32 v135, v131, v132
	ds_read2_b64 v[131:134], v82 offset0:71 offset1:72
	v_fma_f32 v84, v121, v189, -v84
	v_add_f32_e32 v83, v83, v84
	v_mul_f32_e32 v84, v124, v192
	s_waitcnt vmcnt(18)
	v_mul_f32_e32 v136, v129, v198
	v_fma_f32 v84, v123, v191, -v84
	v_fmac_f32_e32 v136, v130, v197
	v_add_f32_e32 v83, v83, v84
	v_mul_f32_e32 v84, v126, v194
	v_add_f32_e32 v139, v135, v136
	ds_read2_b64 v[135:138], v82 offset0:73 offset1:74
	v_fma_f32 v84, v125, v193, -v84
	s_waitcnt vmcnt(16) lgkmcnt(1)
	v_mul_f32_e32 v140, v131, v200
	v_add_f32_e32 v83, v83, v84
	v_mul_f32_e32 v84, v128, v196
	v_fmac_f32_e32 v140, v132, v199
	v_fma_f32 v84, v127, v195, -v84
	v_add_f32_e32 v139, v139, v140
	s_waitcnt vmcnt(14)
	v_mul_f32_e32 v140, v133, v202
	v_add_f32_e32 v83, v83, v84
	v_mul_f32_e32 v84, v130, v198
	v_fmac_f32_e32 v140, v134, v201
	v_fma_f32 v84, v129, v197, -v84
	v_add_f32_e32 v139, v139, v140
	s_waitcnt vmcnt(12) lgkmcnt(0)
	v_mul_f32_e32 v140, v135, v204
	v_add_f32_e32 v83, v83, v84
	v_mul_f32_e32 v84, v132, v200
	v_fmac_f32_e32 v140, v136, v203
	v_fma_f32 v84, v131, v199, -v84
	v_add_f32_e32 v143, v139, v140
	ds_read2_b64 v[139:142], v82 offset0:75 offset1:76
	v_add_f32_e32 v83, v83, v84
	v_mul_f32_e32 v84, v134, v202
	v_fma_f32 v84, v133, v201, -v84
	v_add_f32_e32 v83, v83, v84
	v_mul_f32_e32 v84, v136, v204
	s_waitcnt vmcnt(10)
	v_mul_f32_e32 v144, v137, v206
	v_fma_f32 v84, v135, v203, -v84
	v_fmac_f32_e32 v144, v138, v205
	v_add_f32_e32 v83, v83, v84
	v_mul_f32_e32 v84, v138, v206
	v_add_f32_e32 v147, v143, v144
	ds_read2_b64 v[143:146], v82 offset0:77 offset1:78
	s_waitcnt vmcnt(8) lgkmcnt(1)
	v_mul_f32_e32 v148, v139, v208
	v_fma_f32 v84, v137, v205, -v84
	v_fmac_f32_e32 v148, v140, v207
	v_add_f32_e32 v83, v83, v84
	v_mul_f32_e32 v84, v140, v208
	v_add_f32_e32 v147, v147, v148
	s_waitcnt vmcnt(7)
	v_mul_f32_e32 v148, v141, v209
	v_fma_f32 v84, v139, v207, -v84
	s_waitcnt vmcnt(6)
	v_fmac_f32_e32 v148, v142, v210
	v_add_f32_e32 v83, v83, v84
	v_mul_f32_e32 v84, v142, v209
	v_add_f32_e32 v217, v147, v148
	ds_read_b64 v[147:148], v82 offset:632
	v_fma_f32 v84, v141, v210, -v84
	v_add_f32_e32 v83, v83, v84
	s_waitcnt vmcnt(4) lgkmcnt(1)
	v_mul_f32_e32 v84, v144, v212
	v_mul_f32_e32 v218, v143, v212
	v_fma_f32 v84, v143, v211, -v84
	v_fmac_f32_e32 v218, v144, v211
	v_add_f32_e32 v83, v83, v84
	s_waitcnt vmcnt(3)
	v_mul_f32_e32 v84, v146, v213
	v_add_f32_e32 v217, v217, v218
	v_mul_f32_e32 v218, v145, v213
	s_waitcnt vmcnt(2)
	v_fma_f32 v84, v145, v214, -v84
	v_fmac_f32_e32 v218, v146, v214
	v_add_f32_e32 v83, v83, v84
	s_waitcnt vmcnt(0) lgkmcnt(0)
	v_mul_f32_e32 v84, v148, v216
	v_add_f32_e32 v217, v217, v218
	v_mul_f32_e32 v218, v147, v216
	v_fma_f32 v84, v147, v215, -v84
	v_fmac_f32_e32 v218, v148, v215
	v_add_f32_e32 v83, v83, v84
	v_add_f32_e32 v217, v217, v218
	v_sub_f32_e32 v83, v168, v83
	v_sub_f32_e32 v84, v169, v217
	buffer_store_dword v83, off, s[0:3], 0 offset:48
	buffer_store_dword v84, off, s[0:3], 0 offset:52
	s_and_saveexec_b64 s[4:5], vcc
	s_cbranch_execz .LBB39_243
; %bb.242:
	buffer_load_dword v83, off, s[0:3], 0 offset:40
	buffer_load_dword v84, off, s[0:3], 0 offset:44
	s_waitcnt vmcnt(0)
	ds_write_b64 v81, v[83:84]
	buffer_store_dword v82, off, s[0:3], 0 offset:40
	buffer_store_dword v82, off, s[0:3], 0 offset:44
.LBB39_243:
	s_or_b64 exec, exec, s[4:5]
	s_waitcnt lgkmcnt(0)
	; wave barrier
	buffer_load_dword v151, off, s[0:3], 0 offset:52
	buffer_load_dword v152, off, s[0:3], 0 offset:60
	;; [unrolled: 1-line block ×24, first 2 shown]
	ds_read_b128 v[83:86], v82 offset:368
	ds_read_b128 v[87:90], v82 offset:384
	ds_read_b128 v[91:94], v82 offset:400
	ds_read_b128 v[95:98], v82 offset:416
	ds_read_b128 v[99:102], v82 offset:432
	ds_read_b128 v[103:106], v82 offset:448
	buffer_load_dword v175, off, s[0:3], 0 offset:140
	buffer_load_dword v176, off, s[0:3], 0 offset:136
	;; [unrolled: 1-line block ×46, first 2 shown]
	v_cmp_lt_u32_e32 vcc, 4, v0
	s_waitcnt vmcnt(62) lgkmcnt(5)
	v_mul_f32_e32 v107, v83, v151
	v_mul_f32_e32 v108, v85, v152
	s_waitcnt lgkmcnt(4)
	v_mul_f32_e32 v109, v87, v153
	v_mul_f32_e32 v110, v89, v154
	s_waitcnt lgkmcnt(3)
	v_mul_f32_e32 v111, v91, v155
	v_mul_f32_e32 v112, v93, v156
	s_waitcnt lgkmcnt(2)
	v_mul_f32_e32 v113, v95, v157
	v_mul_f32_e32 v114, v97, v158
	s_waitcnt vmcnt(61)
	v_fmac_f32_e32 v107, v84, v159
	s_waitcnt vmcnt(60)
	v_fmac_f32_e32 v108, v86, v160
	v_add_f32_e32 v107, 0, v107
	s_waitcnt vmcnt(59)
	v_fmac_f32_e32 v109, v88, v161
	v_add_f32_e32 v107, v107, v108
	;; [unrolled: 3-line block ×7, first 2 shown]
	s_waitcnt vmcnt(53) lgkmcnt(1)
	v_mul_f32_e32 v108, v99, v167
	v_add_f32_e32 v107, v107, v114
	s_waitcnt vmcnt(52)
	v_fmac_f32_e32 v108, v100, v168
	v_mul_f32_e32 v84, v84, v151
	v_add_f32_e32 v107, v107, v108
	s_waitcnt vmcnt(51)
	v_mul_f32_e32 v108, v101, v169
	v_fma_f32 v83, v83, v159, -v84
	v_mul_f32_e32 v84, v86, v152
	s_waitcnt vmcnt(50)
	v_fmac_f32_e32 v108, v102, v170
	v_add_f32_e32 v83, 0, v83
	v_fma_f32 v84, v85, v160, -v84
	v_add_f32_e32 v107, v107, v108
	s_waitcnt vmcnt(47) lgkmcnt(0)
	v_mul_f32_e32 v108, v103, v173
	v_add_f32_e32 v83, v83, v84
	v_mul_f32_e32 v84, v88, v153
	s_waitcnt vmcnt(46)
	v_fmac_f32_e32 v108, v104, v174
	v_fma_f32 v84, v87, v161, -v84
	v_add_f32_e32 v111, v107, v108
	ds_read_b128 v[107:110], v82 offset:464
	v_add_f32_e32 v83, v83, v84
	v_mul_f32_e32 v84, v90, v154
	v_fma_f32 v84, v89, v162, -v84
	s_waitcnt vmcnt(45)
	v_mul_f32_e32 v112, v105, v175
	v_add_f32_e32 v83, v83, v84
	v_mul_f32_e32 v84, v92, v155
	s_waitcnt vmcnt(44)
	v_fmac_f32_e32 v112, v106, v176
	v_fma_f32 v84, v91, v163, -v84
	v_add_f32_e32 v115, v111, v112
	ds_read_b128 v[111:114], v82 offset:480
	v_add_f32_e32 v83, v83, v84
	v_mul_f32_e32 v84, v94, v156
	s_waitcnt vmcnt(42) lgkmcnt(1)
	v_mul_f32_e32 v116, v107, v178
	v_fma_f32 v84, v93, v164, -v84
	v_fmac_f32_e32 v116, v108, v177
	v_add_f32_e32 v83, v83, v84
	v_mul_f32_e32 v84, v96, v157
	v_add_f32_e32 v115, v115, v116
	s_waitcnt vmcnt(40)
	v_mul_f32_e32 v116, v109, v180
	v_fma_f32 v84, v95, v165, -v84
	v_fmac_f32_e32 v116, v110, v179
	v_add_f32_e32 v83, v83, v84
	v_mul_f32_e32 v84, v98, v158
	v_add_f32_e32 v115, v115, v116
	s_waitcnt vmcnt(38) lgkmcnt(0)
	v_mul_f32_e32 v116, v111, v182
	v_fma_f32 v84, v97, v166, -v84
	v_fmac_f32_e32 v116, v112, v181
	v_add_f32_e32 v83, v83, v84
	v_mul_f32_e32 v84, v100, v167
	v_add_f32_e32 v119, v115, v116
	ds_read_b128 v[115:118], v82 offset:496
	v_fma_f32 v84, v99, v168, -v84
	v_add_f32_e32 v83, v83, v84
	v_mul_f32_e32 v84, v102, v169
	s_waitcnt vmcnt(36)
	v_mul_f32_e32 v120, v113, v184
	v_fma_f32 v84, v101, v170, -v84
	v_fmac_f32_e32 v120, v114, v183
	v_add_f32_e32 v83, v83, v84
	v_mul_f32_e32 v84, v104, v173
	v_add_f32_e32 v123, v119, v120
	ds_read_b128 v[119:122], v82 offset:512
	v_fma_f32 v84, v103, v174, -v84
	s_waitcnt vmcnt(34) lgkmcnt(1)
	v_mul_f32_e32 v124, v115, v186
	v_add_f32_e32 v83, v83, v84
	v_mul_f32_e32 v84, v106, v175
	v_fmac_f32_e32 v124, v116, v185
	v_fma_f32 v84, v105, v176, -v84
	v_add_f32_e32 v123, v123, v124
	s_waitcnt vmcnt(32)
	v_mul_f32_e32 v124, v117, v188
	v_add_f32_e32 v83, v83, v84
	v_mul_f32_e32 v84, v108, v178
	v_fmac_f32_e32 v124, v118, v187
	v_fma_f32 v84, v107, v177, -v84
	v_add_f32_e32 v123, v123, v124
	s_waitcnt vmcnt(30) lgkmcnt(0)
	v_mul_f32_e32 v124, v119, v190
	v_add_f32_e32 v83, v83, v84
	v_mul_f32_e32 v84, v110, v180
	v_fmac_f32_e32 v124, v120, v189
	v_fma_f32 v84, v109, v179, -v84
	v_add_f32_e32 v127, v123, v124
	ds_read_b128 v[123:126], v82 offset:528
	v_add_f32_e32 v83, v83, v84
	v_mul_f32_e32 v84, v112, v182
	v_fma_f32 v84, v111, v181, -v84
	s_waitcnt vmcnt(28)
	v_mul_f32_e32 v128, v121, v192
	v_add_f32_e32 v83, v83, v84
	v_mul_f32_e32 v84, v114, v184
	v_fmac_f32_e32 v128, v122, v191
	v_fma_f32 v84, v113, v183, -v84
	v_add_f32_e32 v131, v127, v128
	ds_read_b128 v[127:130], v82 offset:544
	v_add_f32_e32 v83, v83, v84
	v_mul_f32_e32 v84, v116, v186
	s_waitcnt vmcnt(26) lgkmcnt(1)
	v_mul_f32_e32 v132, v123, v194
	v_fma_f32 v84, v115, v185, -v84
	v_fmac_f32_e32 v132, v124, v193
	v_add_f32_e32 v83, v83, v84
	v_mul_f32_e32 v84, v118, v188
	v_add_f32_e32 v131, v131, v132
	s_waitcnt vmcnt(24)
	v_mul_f32_e32 v132, v125, v196
	v_fma_f32 v84, v117, v187, -v84
	v_fmac_f32_e32 v132, v126, v195
	v_add_f32_e32 v83, v83, v84
	v_mul_f32_e32 v84, v120, v190
	v_add_f32_e32 v131, v131, v132
	s_waitcnt vmcnt(22) lgkmcnt(0)
	v_mul_f32_e32 v132, v127, v198
	v_fma_f32 v84, v119, v189, -v84
	v_fmac_f32_e32 v132, v128, v197
	v_add_f32_e32 v83, v83, v84
	v_mul_f32_e32 v84, v122, v192
	v_add_f32_e32 v135, v131, v132
	ds_read_b128 v[131:134], v82 offset:560
	v_fma_f32 v84, v121, v191, -v84
	v_add_f32_e32 v83, v83, v84
	v_mul_f32_e32 v84, v124, v194
	s_waitcnt vmcnt(20)
	v_mul_f32_e32 v136, v129, v200
	v_fma_f32 v84, v123, v193, -v84
	v_fmac_f32_e32 v136, v130, v199
	v_add_f32_e32 v83, v83, v84
	v_mul_f32_e32 v84, v126, v196
	v_add_f32_e32 v139, v135, v136
	ds_read_b128 v[135:138], v82 offset:576
	v_fma_f32 v84, v125, v195, -v84
	s_waitcnt vmcnt(18) lgkmcnt(1)
	v_mul_f32_e32 v140, v131, v202
	v_add_f32_e32 v83, v83, v84
	v_mul_f32_e32 v84, v128, v198
	v_fmac_f32_e32 v140, v132, v201
	v_fma_f32 v84, v127, v197, -v84
	v_add_f32_e32 v139, v139, v140
	s_waitcnt vmcnt(16)
	v_mul_f32_e32 v140, v133, v204
	v_add_f32_e32 v83, v83, v84
	v_mul_f32_e32 v84, v130, v200
	v_fmac_f32_e32 v140, v134, v203
	v_fma_f32 v84, v129, v199, -v84
	v_add_f32_e32 v139, v139, v140
	s_waitcnt vmcnt(14) lgkmcnt(0)
	v_mul_f32_e32 v140, v135, v206
	v_add_f32_e32 v83, v83, v84
	v_mul_f32_e32 v84, v132, v202
	v_fmac_f32_e32 v140, v136, v205
	v_fma_f32 v84, v131, v201, -v84
	v_add_f32_e32 v143, v139, v140
	ds_read_b128 v[139:142], v82 offset:592
	v_add_f32_e32 v83, v83, v84
	v_mul_f32_e32 v84, v134, v204
	v_fma_f32 v84, v133, v203, -v84
	v_add_f32_e32 v83, v83, v84
	v_mul_f32_e32 v84, v136, v206
	s_waitcnt vmcnt(12)
	v_mul_f32_e32 v144, v137, v208
	v_fma_f32 v84, v135, v205, -v84
	v_fmac_f32_e32 v144, v138, v207
	v_add_f32_e32 v83, v83, v84
	v_mul_f32_e32 v84, v138, v208
	v_add_f32_e32 v147, v143, v144
	ds_read_b128 v[143:146], v82 offset:608
	s_waitcnt vmcnt(10) lgkmcnt(1)
	v_mul_f32_e32 v148, v139, v210
	v_fma_f32 v84, v137, v207, -v84
	v_fmac_f32_e32 v148, v140, v209
	v_add_f32_e32 v83, v83, v84
	v_mul_f32_e32 v84, v140, v210
	v_add_f32_e32 v147, v147, v148
	s_waitcnt vmcnt(9)
	v_mul_f32_e32 v148, v141, v211
	v_fma_f32 v84, v139, v209, -v84
	s_waitcnt vmcnt(8)
	v_fmac_f32_e32 v148, v142, v212
	v_add_f32_e32 v83, v83, v84
	v_mul_f32_e32 v84, v142, v211
	v_add_f32_e32 v221, v147, v148
	ds_read_b128 v[147:150], v82 offset:624
	v_fma_f32 v84, v141, v212, -v84
	v_add_f32_e32 v83, v83, v84
	s_waitcnt vmcnt(6) lgkmcnt(1)
	v_mul_f32_e32 v84, v144, v214
	v_mul_f32_e32 v222, v143, v214
	v_fma_f32 v84, v143, v213, -v84
	v_fmac_f32_e32 v222, v144, v213
	v_add_f32_e32 v83, v83, v84
	s_waitcnt vmcnt(4)
	v_mul_f32_e32 v84, v146, v216
	v_add_f32_e32 v82, v221, v222
	v_mul_f32_e32 v221, v145, v216
	v_fma_f32 v84, v145, v215, -v84
	v_fmac_f32_e32 v221, v146, v215
	v_add_f32_e32 v83, v83, v84
	s_waitcnt vmcnt(3) lgkmcnt(0)
	v_mul_f32_e32 v84, v148, v217
	v_add_f32_e32 v82, v82, v221
	v_mul_f32_e32 v221, v147, v217
	s_waitcnt vmcnt(2)
	v_fma_f32 v84, v147, v218, -v84
	v_fmac_f32_e32 v221, v148, v218
	v_add_f32_e32 v83, v83, v84
	s_waitcnt vmcnt(0)
	v_mul_f32_e32 v84, v150, v220
	v_add_f32_e32 v82, v82, v221
	v_mul_f32_e32 v221, v149, v220
	v_fma_f32 v84, v149, v219, -v84
	v_fmac_f32_e32 v221, v150, v219
	v_add_f32_e32 v83, v83, v84
	v_add_f32_e32 v82, v82, v221
	v_sub_f32_e32 v83, v171, v83
	v_sub_f32_e32 v82, v172, v82
	buffer_store_dword v83, off, s[0:3], 0 offset:40
	buffer_store_dword v82, off, s[0:3], 0 offset:44
	s_and_saveexec_b64 s[4:5], vcc
	s_cbranch_execz .LBB39_245
; %bb.244:
	buffer_load_dword v82, off, s[0:3], 0 offset:32
	buffer_load_dword v83, off, s[0:3], 0 offset:36
	v_mov_b32_e32 v84, 0
	buffer_store_dword v84, off, s[0:3], 0 offset:32
	buffer_store_dword v84, off, s[0:3], 0 offset:36
	s_waitcnt vmcnt(2)
	ds_write_b64 v81, v[82:83]
.LBB39_245:
	s_or_b64 exec, exec, s[4:5]
	s_waitcnt lgkmcnt(0)
	; wave barrier
	buffer_load_dword v153, off, s[0:3], 0 offset:44
	buffer_load_dword v154, off, s[0:3], 0 offset:52
	buffer_load_dword v155, off, s[0:3], 0 offset:60
	buffer_load_dword v156, off, s[0:3], 0 offset:68
	buffer_load_dword v157, off, s[0:3], 0 offset:76
	buffer_load_dword v158, off, s[0:3], 0 offset:84
	buffer_load_dword v159, off, s[0:3], 0 offset:92
	buffer_load_dword v160, off, s[0:3], 0 offset:100
	buffer_load_dword v161, off, s[0:3], 0 offset:108
	buffer_load_dword v162, off, s[0:3], 0 offset:40
	buffer_load_dword v163, off, s[0:3], 0 offset:48
	buffer_load_dword v164, off, s[0:3], 0 offset:56
	buffer_load_dword v165, off, s[0:3], 0 offset:64
	buffer_load_dword v166, off, s[0:3], 0 offset:72
	buffer_load_dword v167, off, s[0:3], 0 offset:80
	buffer_load_dword v168, off, s[0:3], 0 offset:88
	buffer_load_dword v169, off, s[0:3], 0 offset:96
	buffer_load_dword v170, off, s[0:3], 0 offset:104
	buffer_load_dword v171, off, s[0:3], 0 offset:116
	buffer_load_dword v172, off, s[0:3], 0 offset:112
	buffer_load_dword v173, off, s[0:3], 0 offset:124
	buffer_load_dword v174, off, s[0:3], 0 offset:32
	buffer_load_dword v175, off, s[0:3], 0 offset:36
	buffer_load_dword v176, off, s[0:3], 0 offset:120
	buffer_load_dword v177, off, s[0:3], 0 offset:128
	buffer_load_dword v178, off, s[0:3], 0 offset:132
	buffer_load_dword v179, off, s[0:3], 0 offset:136
	buffer_load_dword v180, off, s[0:3], 0 offset:140
	buffer_load_dword v181, off, s[0:3], 0 offset:144
	buffer_load_dword v182, off, s[0:3], 0 offset:148
	buffer_load_dword v183, off, s[0:3], 0 offset:152
	buffer_load_dword v184, off, s[0:3], 0 offset:156
	buffer_load_dword v185, off, s[0:3], 0 offset:160
	buffer_load_dword v186, off, s[0:3], 0 offset:164
	buffer_load_dword v187, off, s[0:3], 0 offset:168
	buffer_load_dword v188, off, s[0:3], 0 offset:172
	buffer_load_dword v189, off, s[0:3], 0 offset:176
	buffer_load_dword v190, off, s[0:3], 0 offset:180
	buffer_load_dword v191, off, s[0:3], 0 offset:184
	buffer_load_dword v192, off, s[0:3], 0 offset:188
	buffer_load_dword v193, off, s[0:3], 0 offset:192
	buffer_load_dword v194, off, s[0:3], 0 offset:196
	buffer_load_dword v195, off, s[0:3], 0 offset:200
	buffer_load_dword v196, off, s[0:3], 0 offset:204
	buffer_load_dword v197, off, s[0:3], 0 offset:208
	buffer_load_dword v198, off, s[0:3], 0 offset:212
	buffer_load_dword v199, off, s[0:3], 0 offset:216
	buffer_load_dword v200, off, s[0:3], 0 offset:220
	buffer_load_dword v201, off, s[0:3], 0 offset:224
	buffer_load_dword v202, off, s[0:3], 0 offset:228
	buffer_load_dword v203, off, s[0:3], 0 offset:232
	buffer_load_dword v204, off, s[0:3], 0 offset:236
	buffer_load_dword v205, off, s[0:3], 0 offset:240
	buffer_load_dword v206, off, s[0:3], 0 offset:244
	buffer_load_dword v207, off, s[0:3], 0 offset:248
	buffer_load_dword v208, off, s[0:3], 0 offset:252
	v_mov_b32_e32 v82, 0
	ds_read2_b64 v[83:86], v82 offset0:45 offset1:46
	ds_read2_b64 v[87:90], v82 offset0:47 offset1:48
	;; [unrolled: 1-line block ×6, first 2 shown]
	buffer_load_dword v209, off, s[0:3], 0 offset:256
	buffer_load_dword v210, off, s[0:3], 0 offset:260
	;; [unrolled: 1-line block ×12, first 2 shown]
	v_cmp_lt_u32_e32 vcc, 3, v0
	s_waitcnt vmcnt(62) lgkmcnt(5)
	v_mul_f32_e32 v107, v83, v153
	v_mul_f32_e32 v108, v85, v154
	s_waitcnt lgkmcnt(4)
	v_mul_f32_e32 v109, v87, v155
	v_mul_f32_e32 v110, v89, v156
	s_waitcnt lgkmcnt(3)
	v_mul_f32_e32 v111, v91, v157
	v_mul_f32_e32 v112, v93, v158
	s_waitcnt vmcnt(61) lgkmcnt(2)
	v_mul_f32_e32 v113, v95, v159
	s_waitcnt vmcnt(60)
	v_mul_f32_e32 v114, v97, v160
	s_waitcnt vmcnt(59) lgkmcnt(1)
	v_mul_f32_e32 v115, v99, v161
	s_waitcnt vmcnt(58)
	v_fmac_f32_e32 v107, v84, v162
	s_waitcnt vmcnt(57)
	v_fmac_f32_e32 v108, v86, v163
	v_add_f32_e32 v107, 0, v107
	s_waitcnt vmcnt(56)
	v_fmac_f32_e32 v109, v88, v164
	v_add_f32_e32 v107, v107, v108
	s_waitcnt vmcnt(55)
	v_fmac_f32_e32 v110, v90, v165
	v_add_f32_e32 v107, v107, v109
	s_waitcnt vmcnt(54)
	v_fmac_f32_e32 v111, v92, v166
	v_add_f32_e32 v107, v107, v110
	s_waitcnt vmcnt(53)
	v_fmac_f32_e32 v112, v94, v167
	v_add_f32_e32 v107, v107, v111
	s_waitcnt vmcnt(52)
	v_fmac_f32_e32 v113, v96, v168
	v_add_f32_e32 v107, v107, v112
	s_waitcnt vmcnt(51)
	v_fmac_f32_e32 v114, v98, v169
	v_add_f32_e32 v107, v107, v113
	v_add_f32_e32 v107, v107, v114
	s_waitcnt vmcnt(50)
	v_fmac_f32_e32 v115, v100, v170
	s_waitcnt vmcnt(49)
	v_mul_f32_e32 v108, v101, v171
	v_add_f32_e32 v107, v107, v115
	s_waitcnt vmcnt(48)
	v_fmac_f32_e32 v108, v102, v172
	v_add_f32_e32 v107, v107, v108
	s_waitcnt vmcnt(47) lgkmcnt(0)
	v_mul_f32_e32 v108, v103, v173
	s_waitcnt vmcnt(44)
	v_fmac_f32_e32 v108, v104, v176
	v_add_f32_e32 v111, v107, v108
	ds_read2_b64 v[107:110], v82 offset0:57 offset1:58
	buffer_load_dword v221, off, s[0:3], 0 offset:308
	buffer_load_dword v222, off, s[0:3], 0 offset:304
	;; [unrolled: 1-line block ×4, first 2 shown]
	v_mul_f32_e32 v84, v84, v153
	v_fma_f32 v83, v83, v162, -v84
	v_mul_f32_e32 v84, v86, v154
	v_add_f32_e32 v83, 0, v83
	v_fma_f32 v84, v85, v163, -v84
	v_add_f32_e32 v83, v83, v84
	v_mul_f32_e32 v84, v88, v155
	v_fma_f32 v84, v87, v164, -v84
	s_waitcnt vmcnt(46)
	v_mul_f32_e32 v112, v105, v178
	v_add_f32_e32 v83, v83, v84
	v_mul_f32_e32 v84, v90, v156
	v_fmac_f32_e32 v112, v106, v177
	v_fma_f32 v84, v89, v165, -v84
	v_add_f32_e32 v115, v111, v112
	ds_read2_b64 v[111:114], v82 offset0:59 offset1:60
	v_add_f32_e32 v83, v83, v84
	v_mul_f32_e32 v84, v92, v157
	s_waitcnt vmcnt(44) lgkmcnt(1)
	v_mul_f32_e32 v116, v107, v180
	v_fma_f32 v84, v91, v166, -v84
	v_fmac_f32_e32 v116, v108, v179
	v_add_f32_e32 v83, v83, v84
	v_mul_f32_e32 v84, v94, v158
	v_add_f32_e32 v115, v115, v116
	s_waitcnt vmcnt(42)
	v_mul_f32_e32 v116, v109, v182
	v_fma_f32 v84, v93, v167, -v84
	v_fmac_f32_e32 v116, v110, v181
	v_add_f32_e32 v83, v83, v84
	v_mul_f32_e32 v84, v96, v159
	v_add_f32_e32 v115, v115, v116
	s_waitcnt vmcnt(40) lgkmcnt(0)
	v_mul_f32_e32 v116, v111, v184
	v_fma_f32 v84, v95, v168, -v84
	v_fmac_f32_e32 v116, v112, v183
	v_add_f32_e32 v83, v83, v84
	v_mul_f32_e32 v84, v98, v160
	v_add_f32_e32 v119, v115, v116
	ds_read2_b64 v[115:118], v82 offset0:61 offset1:62
	v_fma_f32 v84, v97, v169, -v84
	v_add_f32_e32 v83, v83, v84
	v_mul_f32_e32 v84, v100, v161
	s_waitcnt vmcnt(38)
	v_mul_f32_e32 v120, v113, v186
	v_fma_f32 v84, v99, v170, -v84
	v_fmac_f32_e32 v120, v114, v185
	v_add_f32_e32 v83, v83, v84
	v_mul_f32_e32 v84, v102, v171
	v_add_f32_e32 v123, v119, v120
	ds_read2_b64 v[119:122], v82 offset0:63 offset1:64
	v_fma_f32 v84, v101, v172, -v84
	s_waitcnt vmcnt(36) lgkmcnt(1)
	v_mul_f32_e32 v124, v115, v188
	v_add_f32_e32 v83, v83, v84
	v_mul_f32_e32 v84, v104, v173
	v_fmac_f32_e32 v124, v116, v187
	v_fma_f32 v84, v103, v176, -v84
	v_add_f32_e32 v123, v123, v124
	s_waitcnt vmcnt(34)
	v_mul_f32_e32 v124, v117, v190
	v_add_f32_e32 v83, v83, v84
	v_mul_f32_e32 v84, v106, v178
	v_fmac_f32_e32 v124, v118, v189
	v_fma_f32 v84, v105, v177, -v84
	v_add_f32_e32 v123, v123, v124
	s_waitcnt vmcnt(32) lgkmcnt(0)
	v_mul_f32_e32 v124, v119, v192
	v_add_f32_e32 v83, v83, v84
	v_mul_f32_e32 v84, v108, v180
	v_fmac_f32_e32 v124, v120, v191
	v_fma_f32 v84, v107, v179, -v84
	v_add_f32_e32 v127, v123, v124
	ds_read2_b64 v[123:126], v82 offset0:65 offset1:66
	v_add_f32_e32 v83, v83, v84
	v_mul_f32_e32 v84, v110, v182
	v_fma_f32 v84, v109, v181, -v84
	s_waitcnt vmcnt(30)
	v_mul_f32_e32 v128, v121, v194
	v_add_f32_e32 v83, v83, v84
	v_mul_f32_e32 v84, v112, v184
	v_fmac_f32_e32 v128, v122, v193
	v_fma_f32 v84, v111, v183, -v84
	v_add_f32_e32 v131, v127, v128
	ds_read2_b64 v[127:130], v82 offset0:67 offset1:68
	v_add_f32_e32 v83, v83, v84
	v_mul_f32_e32 v84, v114, v186
	s_waitcnt vmcnt(28) lgkmcnt(1)
	v_mul_f32_e32 v132, v123, v196
	v_fma_f32 v84, v113, v185, -v84
	v_fmac_f32_e32 v132, v124, v195
	v_add_f32_e32 v83, v83, v84
	v_mul_f32_e32 v84, v116, v188
	v_add_f32_e32 v131, v131, v132
	s_waitcnt vmcnt(26)
	v_mul_f32_e32 v132, v125, v198
	v_fma_f32 v84, v115, v187, -v84
	v_fmac_f32_e32 v132, v126, v197
	v_add_f32_e32 v83, v83, v84
	v_mul_f32_e32 v84, v118, v190
	v_add_f32_e32 v131, v131, v132
	s_waitcnt vmcnt(24) lgkmcnt(0)
	v_mul_f32_e32 v132, v127, v200
	v_fma_f32 v84, v117, v189, -v84
	v_fmac_f32_e32 v132, v128, v199
	v_add_f32_e32 v83, v83, v84
	v_mul_f32_e32 v84, v120, v192
	v_add_f32_e32 v135, v131, v132
	ds_read2_b64 v[131:134], v82 offset0:69 offset1:70
	v_fma_f32 v84, v119, v191, -v84
	v_add_f32_e32 v83, v83, v84
	v_mul_f32_e32 v84, v122, v194
	s_waitcnt vmcnt(22)
	v_mul_f32_e32 v136, v129, v202
	v_fma_f32 v84, v121, v193, -v84
	v_fmac_f32_e32 v136, v130, v201
	v_add_f32_e32 v83, v83, v84
	v_mul_f32_e32 v84, v124, v196
	v_add_f32_e32 v139, v135, v136
	ds_read2_b64 v[135:138], v82 offset0:71 offset1:72
	v_fma_f32 v84, v123, v195, -v84
	s_waitcnt vmcnt(20) lgkmcnt(1)
	v_mul_f32_e32 v140, v131, v204
	v_add_f32_e32 v83, v83, v84
	v_mul_f32_e32 v84, v126, v198
	v_fmac_f32_e32 v140, v132, v203
	v_fma_f32 v84, v125, v197, -v84
	v_add_f32_e32 v139, v139, v140
	s_waitcnt vmcnt(18)
	v_mul_f32_e32 v140, v133, v206
	v_add_f32_e32 v83, v83, v84
	v_mul_f32_e32 v84, v128, v200
	v_fmac_f32_e32 v140, v134, v205
	v_fma_f32 v84, v127, v199, -v84
	v_add_f32_e32 v139, v139, v140
	s_waitcnt vmcnt(16) lgkmcnt(0)
	v_mul_f32_e32 v140, v135, v208
	v_add_f32_e32 v83, v83, v84
	v_mul_f32_e32 v84, v130, v202
	v_fmac_f32_e32 v140, v136, v207
	v_fma_f32 v84, v129, v201, -v84
	v_add_f32_e32 v143, v139, v140
	ds_read2_b64 v[139:142], v82 offset0:73 offset1:74
	v_add_f32_e32 v83, v83, v84
	v_mul_f32_e32 v84, v132, v204
	v_fma_f32 v84, v131, v203, -v84
	s_waitcnt vmcnt(14)
	v_mul_f32_e32 v144, v137, v210
	v_add_f32_e32 v83, v83, v84
	v_mul_f32_e32 v84, v134, v206
	v_fmac_f32_e32 v144, v138, v209
	v_fma_f32 v84, v133, v205, -v84
	v_add_f32_e32 v147, v143, v144
	ds_read2_b64 v[143:146], v82 offset0:75 offset1:76
	v_add_f32_e32 v83, v83, v84
	v_mul_f32_e32 v84, v136, v208
	s_waitcnt vmcnt(12) lgkmcnt(1)
	v_mul_f32_e32 v148, v139, v212
	v_fma_f32 v84, v135, v207, -v84
	v_fmac_f32_e32 v148, v140, v211
	v_add_f32_e32 v83, v83, v84
	v_mul_f32_e32 v84, v138, v210
	v_add_f32_e32 v147, v147, v148
	s_waitcnt vmcnt(11)
	v_mul_f32_e32 v148, v141, v213
	v_fma_f32 v84, v137, v209, -v84
	s_waitcnt vmcnt(10)
	v_fmac_f32_e32 v148, v142, v214
	v_add_f32_e32 v83, v83, v84
	v_mul_f32_e32 v84, v140, v212
	v_add_f32_e32 v147, v147, v148
	s_waitcnt vmcnt(8) lgkmcnt(0)
	v_mul_f32_e32 v148, v143, v216
	v_fma_f32 v84, v139, v211, -v84
	v_fmac_f32_e32 v148, v144, v215
	v_add_f32_e32 v83, v83, v84
	v_mul_f32_e32 v84, v142, v213
	v_add_f32_e32 v151, v147, v148
	ds_read2_b64 v[147:150], v82 offset0:77 offset1:78
	v_fma_f32 v84, v141, v214, -v84
	v_add_f32_e32 v83, v83, v84
	v_mul_f32_e32 v84, v144, v216
	s_waitcnt vmcnt(6)
	v_mul_f32_e32 v152, v145, v218
	v_fma_f32 v84, v143, v215, -v84
	v_fmac_f32_e32 v152, v146, v217
	v_add_f32_e32 v83, v83, v84
	v_mul_f32_e32 v84, v146, v218
	v_add_f32_e32 v225, v151, v152
	ds_read_b64 v[151:152], v82 offset:632
	v_fma_f32 v84, v145, v217, -v84
	v_add_f32_e32 v83, v83, v84
	s_waitcnt vmcnt(4) lgkmcnt(1)
	v_mul_f32_e32 v84, v148, v220
	v_mul_f32_e32 v226, v147, v220
	v_fma_f32 v84, v147, v219, -v84
	v_fmac_f32_e32 v226, v148, v219
	v_add_f32_e32 v83, v83, v84
	s_waitcnt vmcnt(3)
	v_mul_f32_e32 v84, v150, v221
	v_add_f32_e32 v225, v225, v226
	v_mul_f32_e32 v226, v149, v221
	s_waitcnt vmcnt(2)
	v_fma_f32 v84, v149, v222, -v84
	v_fmac_f32_e32 v226, v150, v222
	v_add_f32_e32 v83, v83, v84
	s_waitcnt vmcnt(0) lgkmcnt(0)
	v_mul_f32_e32 v84, v152, v224
	v_add_f32_e32 v225, v225, v226
	v_mul_f32_e32 v226, v151, v224
	v_fma_f32 v84, v151, v223, -v84
	v_fmac_f32_e32 v226, v152, v223
	v_add_f32_e32 v83, v83, v84
	v_add_f32_e32 v225, v225, v226
	v_sub_f32_e32 v83, v174, v83
	v_sub_f32_e32 v84, v175, v225
	buffer_store_dword v83, off, s[0:3], 0 offset:32
	buffer_store_dword v84, off, s[0:3], 0 offset:36
	s_and_saveexec_b64 s[4:5], vcc
	s_cbranch_execz .LBB39_247
; %bb.246:
	buffer_load_dword v83, off, s[0:3], 0 offset:24
	buffer_load_dword v84, off, s[0:3], 0 offset:28
	s_waitcnt vmcnt(0)
	ds_write_b64 v81, v[83:84]
	buffer_store_dword v82, off, s[0:3], 0 offset:24
	buffer_store_dword v82, off, s[0:3], 0 offset:28
.LBB39_247:
	s_or_b64 exec, exec, s[4:5]
	s_waitcnt lgkmcnt(0)
	; wave barrier
	buffer_load_dword v155, off, s[0:3], 0 offset:36
	buffer_load_dword v156, off, s[0:3], 0 offset:44
	;; [unrolled: 1-line block ×26, first 2 shown]
	ds_read_b128 v[83:86], v82 offset:352
	ds_read_b128 v[87:90], v82 offset:368
	;; [unrolled: 1-line block ×6, first 2 shown]
	buffer_load_dword v181, off, s[0:3], 0 offset:128
	buffer_load_dword v182, off, s[0:3], 0 offset:132
	;; [unrolled: 1-line block ×42, first 2 shown]
	v_cmp_lt_u32_e32 vcc, 2, v0
	s_waitcnt vmcnt(62) lgkmcnt(5)
	v_mul_f32_e32 v107, v83, v155
	v_mul_f32_e32 v108, v85, v156
	s_waitcnt lgkmcnt(4)
	v_mul_f32_e32 v109, v87, v157
	v_mul_f32_e32 v110, v89, v158
	s_waitcnt lgkmcnt(3)
	v_mul_f32_e32 v111, v91, v159
	v_mul_f32_e32 v112, v93, v160
	s_waitcnt vmcnt(61) lgkmcnt(2)
	v_mul_f32_e32 v113, v95, v161
	s_waitcnt vmcnt(60)
	v_mul_f32_e32 v114, v97, v162
	s_waitcnt vmcnt(59) lgkmcnt(1)
	v_mul_f32_e32 v115, v99, v163
	s_waitcnt vmcnt(58)
	v_fmac_f32_e32 v107, v84, v164
	s_waitcnt vmcnt(57)
	v_fmac_f32_e32 v108, v86, v165
	v_add_f32_e32 v107, 0, v107
	s_waitcnt vmcnt(56)
	v_fmac_f32_e32 v109, v88, v166
	v_add_f32_e32 v107, v107, v108
	;; [unrolled: 3-line block ×8, first 2 shown]
	s_waitcnt vmcnt(49)
	v_mul_f32_e32 v108, v101, v173
	v_add_f32_e32 v107, v107, v115
	s_waitcnt vmcnt(48)
	v_fmac_f32_e32 v108, v102, v174
	v_add_f32_e32 v107, v107, v108
	s_waitcnt vmcnt(47) lgkmcnt(0)
	v_mul_f32_e32 v108, v103, v175
	s_waitcnt vmcnt(46)
	v_fmac_f32_e32 v108, v104, v176
	v_add_f32_e32 v107, v107, v108
	s_waitcnt vmcnt(42)
	v_mul_f32_e32 v108, v105, v180
	v_fmac_f32_e32 v108, v106, v179
	v_add_f32_e32 v115, v107, v108
	ds_read_b128 v[107:110], v82 offset:448
	buffer_load_dword v223, off, s[0:3], 0 offset:300
	buffer_load_dword v224, off, s[0:3], 0 offset:296
	;; [unrolled: 1-line block ×4, first 2 shown]
	ds_read_b128 v[111:114], v82 offset:464
	buffer_load_dword v227, off, s[0:3], 0 offset:312
	buffer_load_dword v228, off, s[0:3], 0 offset:316
	v_mul_f32_e32 v84, v84, v155
	v_fma_f32 v83, v83, v164, -v84
	v_mul_f32_e32 v84, v86, v156
	v_add_f32_e32 v83, 0, v83
	v_fma_f32 v84, v85, v165, -v84
	v_add_f32_e32 v83, v83, v84
	v_mul_f32_e32 v84, v88, v157
	v_fma_f32 v84, v87, v166, -v84
	v_add_f32_e32 v83, v83, v84
	v_mul_f32_e32 v84, v90, v158
	;; [unrolled: 3-line block ×3, first 2 shown]
	s_waitcnt vmcnt(46) lgkmcnt(1)
	v_mul_f32_e32 v116, v107, v182
	v_fma_f32 v84, v91, v168, -v84
	v_fmac_f32_e32 v116, v108, v181
	v_add_f32_e32 v83, v83, v84
	v_mul_f32_e32 v84, v94, v160
	v_add_f32_e32 v115, v115, v116
	s_waitcnt vmcnt(44)
	v_mul_f32_e32 v116, v109, v184
	v_fma_f32 v84, v93, v169, -v84
	v_fmac_f32_e32 v116, v110, v183
	v_add_f32_e32 v83, v83, v84
	v_mul_f32_e32 v84, v96, v161
	v_add_f32_e32 v115, v115, v116
	s_waitcnt vmcnt(42) lgkmcnt(0)
	v_mul_f32_e32 v116, v111, v186
	v_fma_f32 v84, v95, v170, -v84
	v_fmac_f32_e32 v116, v112, v185
	v_add_f32_e32 v83, v83, v84
	v_mul_f32_e32 v84, v98, v162
	v_add_f32_e32 v119, v115, v116
	ds_read_b128 v[115:118], v82 offset:480
	v_fma_f32 v84, v97, v171, -v84
	v_add_f32_e32 v83, v83, v84
	v_mul_f32_e32 v84, v100, v163
	s_waitcnt vmcnt(40)
	v_mul_f32_e32 v120, v113, v188
	v_fma_f32 v84, v99, v172, -v84
	v_fmac_f32_e32 v120, v114, v187
	v_add_f32_e32 v83, v83, v84
	v_mul_f32_e32 v84, v102, v173
	v_add_f32_e32 v123, v119, v120
	ds_read_b128 v[119:122], v82 offset:496
	v_fma_f32 v84, v101, v174, -v84
	s_waitcnt vmcnt(38) lgkmcnt(1)
	v_mul_f32_e32 v124, v115, v190
	v_add_f32_e32 v83, v83, v84
	v_mul_f32_e32 v84, v104, v175
	v_fmac_f32_e32 v124, v116, v189
	v_fma_f32 v84, v103, v176, -v84
	v_add_f32_e32 v123, v123, v124
	s_waitcnt vmcnt(36)
	v_mul_f32_e32 v124, v117, v192
	v_add_f32_e32 v83, v83, v84
	v_mul_f32_e32 v84, v106, v180
	v_fmac_f32_e32 v124, v118, v191
	v_fma_f32 v84, v105, v179, -v84
	v_add_f32_e32 v123, v123, v124
	s_waitcnt vmcnt(34) lgkmcnt(0)
	v_mul_f32_e32 v124, v119, v194
	v_add_f32_e32 v83, v83, v84
	v_mul_f32_e32 v84, v108, v182
	v_fmac_f32_e32 v124, v120, v193
	v_fma_f32 v84, v107, v181, -v84
	v_add_f32_e32 v127, v123, v124
	ds_read_b128 v[123:126], v82 offset:512
	v_add_f32_e32 v83, v83, v84
	v_mul_f32_e32 v84, v110, v184
	v_fma_f32 v84, v109, v183, -v84
	s_waitcnt vmcnt(32)
	v_mul_f32_e32 v128, v121, v196
	v_add_f32_e32 v83, v83, v84
	v_mul_f32_e32 v84, v112, v186
	v_fmac_f32_e32 v128, v122, v195
	v_fma_f32 v84, v111, v185, -v84
	v_add_f32_e32 v131, v127, v128
	ds_read_b128 v[127:130], v82 offset:528
	v_add_f32_e32 v83, v83, v84
	v_mul_f32_e32 v84, v114, v188
	s_waitcnt vmcnt(30) lgkmcnt(1)
	v_mul_f32_e32 v132, v123, v198
	v_fma_f32 v84, v113, v187, -v84
	v_fmac_f32_e32 v132, v124, v197
	v_add_f32_e32 v83, v83, v84
	v_mul_f32_e32 v84, v116, v190
	v_add_f32_e32 v131, v131, v132
	s_waitcnt vmcnt(28)
	v_mul_f32_e32 v132, v125, v200
	v_fma_f32 v84, v115, v189, -v84
	v_fmac_f32_e32 v132, v126, v199
	v_add_f32_e32 v83, v83, v84
	v_mul_f32_e32 v84, v118, v192
	v_add_f32_e32 v131, v131, v132
	s_waitcnt vmcnt(26) lgkmcnt(0)
	v_mul_f32_e32 v132, v127, v202
	v_fma_f32 v84, v117, v191, -v84
	v_fmac_f32_e32 v132, v128, v201
	v_add_f32_e32 v83, v83, v84
	v_mul_f32_e32 v84, v120, v194
	v_add_f32_e32 v135, v131, v132
	ds_read_b128 v[131:134], v82 offset:544
	v_fma_f32 v84, v119, v193, -v84
	v_add_f32_e32 v83, v83, v84
	v_mul_f32_e32 v84, v122, v196
	s_waitcnt vmcnt(24)
	v_mul_f32_e32 v136, v129, v204
	v_fma_f32 v84, v121, v195, -v84
	v_fmac_f32_e32 v136, v130, v203
	v_add_f32_e32 v83, v83, v84
	v_mul_f32_e32 v84, v124, v198
	v_add_f32_e32 v139, v135, v136
	ds_read_b128 v[135:138], v82 offset:560
	v_fma_f32 v84, v123, v197, -v84
	s_waitcnt vmcnt(22) lgkmcnt(1)
	v_mul_f32_e32 v140, v131, v206
	v_add_f32_e32 v83, v83, v84
	v_mul_f32_e32 v84, v126, v200
	v_fmac_f32_e32 v140, v132, v205
	v_fma_f32 v84, v125, v199, -v84
	v_add_f32_e32 v139, v139, v140
	s_waitcnt vmcnt(20)
	v_mul_f32_e32 v140, v133, v208
	v_add_f32_e32 v83, v83, v84
	v_mul_f32_e32 v84, v128, v202
	v_fmac_f32_e32 v140, v134, v207
	v_fma_f32 v84, v127, v201, -v84
	v_add_f32_e32 v139, v139, v140
	s_waitcnt vmcnt(18) lgkmcnt(0)
	v_mul_f32_e32 v140, v135, v210
	v_add_f32_e32 v83, v83, v84
	v_mul_f32_e32 v84, v130, v204
	v_fmac_f32_e32 v140, v136, v209
	v_fma_f32 v84, v129, v203, -v84
	v_add_f32_e32 v143, v139, v140
	ds_read_b128 v[139:142], v82 offset:576
	v_add_f32_e32 v83, v83, v84
	v_mul_f32_e32 v84, v132, v206
	v_fma_f32 v84, v131, v205, -v84
	s_waitcnt vmcnt(16)
	v_mul_f32_e32 v144, v137, v212
	v_add_f32_e32 v83, v83, v84
	v_mul_f32_e32 v84, v134, v208
	v_fmac_f32_e32 v144, v138, v211
	v_fma_f32 v84, v133, v207, -v84
	v_add_f32_e32 v147, v143, v144
	ds_read_b128 v[143:146], v82 offset:592
	v_add_f32_e32 v83, v83, v84
	v_mul_f32_e32 v84, v136, v210
	s_waitcnt vmcnt(14) lgkmcnt(1)
	v_mul_f32_e32 v148, v139, v214
	v_fma_f32 v84, v135, v209, -v84
	v_fmac_f32_e32 v148, v140, v213
	v_add_f32_e32 v83, v83, v84
	v_mul_f32_e32 v84, v138, v212
	v_add_f32_e32 v147, v147, v148
	s_waitcnt vmcnt(13)
	v_mul_f32_e32 v148, v141, v215
	v_fma_f32 v84, v137, v211, -v84
	s_waitcnt vmcnt(12)
	v_fmac_f32_e32 v148, v142, v216
	v_add_f32_e32 v83, v83, v84
	v_mul_f32_e32 v84, v140, v214
	v_add_f32_e32 v147, v147, v148
	s_waitcnt vmcnt(10) lgkmcnt(0)
	v_mul_f32_e32 v148, v143, v218
	v_fma_f32 v84, v139, v213, -v84
	v_fmac_f32_e32 v148, v144, v217
	v_add_f32_e32 v83, v83, v84
	v_mul_f32_e32 v84, v142, v215
	v_add_f32_e32 v151, v147, v148
	ds_read_b128 v[147:150], v82 offset:608
	v_fma_f32 v84, v141, v216, -v84
	v_add_f32_e32 v83, v83, v84
	v_mul_f32_e32 v84, v144, v218
	s_waitcnt vmcnt(8)
	v_mul_f32_e32 v152, v145, v220
	v_fma_f32 v84, v143, v217, -v84
	v_fmac_f32_e32 v152, v146, v219
	v_add_f32_e32 v83, v83, v84
	v_mul_f32_e32 v84, v146, v220
	v_add_f32_e32 v229, v151, v152
	ds_read_b128 v[151:154], v82 offset:624
	v_fma_f32 v84, v145, v219, -v84
	v_add_f32_e32 v83, v83, v84
	s_waitcnt vmcnt(6) lgkmcnt(1)
	v_mul_f32_e32 v84, v148, v222
	v_mul_f32_e32 v82, v147, v222
	v_fma_f32 v84, v147, v221, -v84
	v_fmac_f32_e32 v82, v148, v221
	v_add_f32_e32 v83, v83, v84
	s_waitcnt vmcnt(5)
	v_mul_f32_e32 v84, v150, v223
	v_add_f32_e32 v82, v229, v82
	v_mul_f32_e32 v229, v149, v223
	s_waitcnt vmcnt(4)
	v_fma_f32 v84, v149, v224, -v84
	v_fmac_f32_e32 v229, v150, v224
	v_add_f32_e32 v83, v83, v84
	s_waitcnt vmcnt(2) lgkmcnt(0)
	v_mul_f32_e32 v84, v152, v226
	v_add_f32_e32 v82, v82, v229
	v_mul_f32_e32 v229, v151, v226
	v_fma_f32 v84, v151, v225, -v84
	v_fmac_f32_e32 v229, v152, v225
	v_add_f32_e32 v83, v83, v84
	s_waitcnt vmcnt(0)
	v_mul_f32_e32 v84, v154, v228
	v_add_f32_e32 v82, v82, v229
	v_mul_f32_e32 v229, v153, v228
	v_fma_f32 v84, v153, v227, -v84
	v_fmac_f32_e32 v229, v154, v227
	v_add_f32_e32 v83, v83, v84
	v_add_f32_e32 v82, v82, v229
	v_sub_f32_e32 v83, v177, v83
	v_sub_f32_e32 v82, v178, v82
	buffer_store_dword v83, off, s[0:3], 0 offset:24
	buffer_store_dword v82, off, s[0:3], 0 offset:28
	s_and_saveexec_b64 s[4:5], vcc
	s_cbranch_execz .LBB39_249
; %bb.248:
	buffer_load_dword v82, off, s[0:3], 0 offset:16
	buffer_load_dword v83, off, s[0:3], 0 offset:20
	v_mov_b32_e32 v84, 0
	buffer_store_dword v84, off, s[0:3], 0 offset:16
	buffer_store_dword v84, off, s[0:3], 0 offset:20
	s_waitcnt vmcnt(2)
	ds_write_b64 v81, v[82:83]
.LBB39_249:
	s_or_b64 exec, exec, s[4:5]
	s_waitcnt lgkmcnt(0)
	; wave barrier
	buffer_load_dword v157, off, s[0:3], 0 offset:28
	buffer_load_dword v158, off, s[0:3], 0 offset:36
	;; [unrolled: 1-line block ×52, first 2 shown]
	v_mov_b32_e32 v82, 0
	ds_read2_b64 v[83:86], v82 offset0:43 offset1:44
	ds_read2_b64 v[87:90], v82 offset0:45 offset1:46
	;; [unrolled: 1-line block ×6, first 2 shown]
	buffer_load_dword v209, off, s[0:3], 0 offset:228
	buffer_load_dword v210, off, s[0:3], 0 offset:224
	;; [unrolled: 1-line block ×14, first 2 shown]
	v_cmp_lt_u32_e32 vcc, 1, v0
	s_waitcnt vmcnt(62) lgkmcnt(5)
	v_mul_f32_e32 v107, v83, v157
	v_mul_f32_e32 v108, v85, v158
	s_waitcnt lgkmcnt(4)
	v_mul_f32_e32 v109, v87, v159
	v_mul_f32_e32 v110, v89, v160
	s_waitcnt vmcnt(61) lgkmcnt(3)
	v_mul_f32_e32 v111, v91, v161
	s_waitcnt vmcnt(60)
	v_mul_f32_e32 v112, v93, v162
	s_waitcnt vmcnt(59) lgkmcnt(2)
	v_mul_f32_e32 v113, v95, v163
	s_waitcnt vmcnt(58)
	;; [unrolled: 4-line block ×3, first 2 shown]
	v_fmac_f32_e32 v107, v84, v166
	s_waitcnt vmcnt(55)
	v_fmac_f32_e32 v108, v86, v167
	v_add_f32_e32 v107, 0, v107
	s_waitcnt vmcnt(54)
	v_fmac_f32_e32 v109, v88, v168
	v_add_f32_e32 v107, v107, v108
	;; [unrolled: 3-line block ×8, first 2 shown]
	s_waitcnt vmcnt(47)
	v_mul_f32_e32 v108, v101, v175
	v_add_f32_e32 v107, v107, v115
	s_waitcnt vmcnt(46)
	v_fmac_f32_e32 v108, v102, v176
	v_add_f32_e32 v107, v107, v108
	s_waitcnt vmcnt(45) lgkmcnt(0)
	v_mul_f32_e32 v108, v103, v177
	s_waitcnt vmcnt(44)
	v_fmac_f32_e32 v108, v104, v178
	v_add_f32_e32 v111, v107, v108
	ds_read2_b64 v[107:110], v82 offset0:55 offset1:56
	buffer_load_dword v223, off, s[0:3], 0 offset:280
	buffer_load_dword v224, off, s[0:3], 0 offset:284
	s_waitcnt vmcnt(43)
	v_mul_f32_e32 v112, v105, v181
	s_waitcnt vmcnt(42)
	v_fmac_f32_e32 v112, v106, v182
	v_add_f32_e32 v115, v111, v112
	ds_read2_b64 v[111:114], v82 offset0:57 offset1:58
	buffer_load_dword v225, off, s[0:3], 0 offset:292
	buffer_load_dword v226, off, s[0:3], 0 offset:288
	;; [unrolled: 1-line block ×8, first 2 shown]
	v_mul_f32_e32 v84, v84, v157
	v_fma_f32 v83, v83, v166, -v84
	v_mul_f32_e32 v84, v86, v158
	v_add_f32_e32 v83, 0, v83
	v_fma_f32 v84, v85, v167, -v84
	v_add_f32_e32 v83, v83, v84
	v_mul_f32_e32 v84, v88, v159
	v_fma_f32 v84, v87, v168, -v84
	v_add_f32_e32 v83, v83, v84
	v_mul_f32_e32 v84, v90, v160
	v_fma_f32 v84, v89, v169, -v84
	s_waitcnt vmcnt(48) lgkmcnt(1)
	v_mul_f32_e32 v116, v107, v184
	v_add_f32_e32 v83, v83, v84
	v_mul_f32_e32 v84, v92, v161
	v_fmac_f32_e32 v116, v108, v183
	v_fma_f32 v84, v91, v170, -v84
	v_add_f32_e32 v115, v115, v116
	s_waitcnt vmcnt(46)
	v_mul_f32_e32 v116, v109, v186
	v_add_f32_e32 v83, v83, v84
	v_mul_f32_e32 v84, v94, v162
	v_fmac_f32_e32 v116, v110, v185
	v_fma_f32 v84, v93, v171, -v84
	v_add_f32_e32 v115, v115, v116
	s_waitcnt vmcnt(44) lgkmcnt(0)
	v_mul_f32_e32 v116, v111, v188
	v_add_f32_e32 v83, v83, v84
	v_mul_f32_e32 v84, v96, v163
	v_fmac_f32_e32 v116, v112, v187
	v_fma_f32 v84, v95, v172, -v84
	v_add_f32_e32 v119, v115, v116
	ds_read2_b64 v[115:118], v82 offset0:59 offset1:60
	v_add_f32_e32 v83, v83, v84
	v_mul_f32_e32 v84, v98, v164
	v_fma_f32 v84, v97, v173, -v84
	s_waitcnt vmcnt(42)
	v_mul_f32_e32 v120, v113, v190
	v_add_f32_e32 v83, v83, v84
	v_mul_f32_e32 v84, v100, v165
	v_fmac_f32_e32 v120, v114, v189
	v_fma_f32 v84, v99, v174, -v84
	v_add_f32_e32 v123, v119, v120
	ds_read2_b64 v[119:122], v82 offset0:61 offset1:62
	v_add_f32_e32 v83, v83, v84
	v_mul_f32_e32 v84, v102, v175
	s_waitcnt vmcnt(40) lgkmcnt(1)
	v_mul_f32_e32 v124, v115, v192
	v_fma_f32 v84, v101, v176, -v84
	v_fmac_f32_e32 v124, v116, v191
	v_add_f32_e32 v83, v83, v84
	v_mul_f32_e32 v84, v104, v177
	v_add_f32_e32 v123, v123, v124
	s_waitcnt vmcnt(38)
	v_mul_f32_e32 v124, v117, v194
	v_fma_f32 v84, v103, v178, -v84
	v_fmac_f32_e32 v124, v118, v193
	v_add_f32_e32 v83, v83, v84
	v_mul_f32_e32 v84, v106, v181
	v_add_f32_e32 v123, v123, v124
	s_waitcnt vmcnt(36) lgkmcnt(0)
	v_mul_f32_e32 v124, v119, v196
	v_fma_f32 v84, v105, v182, -v84
	v_fmac_f32_e32 v124, v120, v195
	v_add_f32_e32 v83, v83, v84
	v_mul_f32_e32 v84, v108, v184
	v_add_f32_e32 v127, v123, v124
	ds_read2_b64 v[123:126], v82 offset0:63 offset1:64
	v_fma_f32 v84, v107, v183, -v84
	v_add_f32_e32 v83, v83, v84
	v_mul_f32_e32 v84, v110, v186
	s_waitcnt vmcnt(34)
	v_mul_f32_e32 v128, v121, v198
	v_fma_f32 v84, v109, v185, -v84
	v_fmac_f32_e32 v128, v122, v197
	v_add_f32_e32 v83, v83, v84
	v_mul_f32_e32 v84, v112, v188
	v_add_f32_e32 v131, v127, v128
	ds_read2_b64 v[127:130], v82 offset0:65 offset1:66
	v_fma_f32 v84, v111, v187, -v84
	s_waitcnt vmcnt(32) lgkmcnt(1)
	v_mul_f32_e32 v132, v123, v200
	v_add_f32_e32 v83, v83, v84
	v_mul_f32_e32 v84, v114, v190
	v_fmac_f32_e32 v132, v124, v199
	v_fma_f32 v84, v113, v189, -v84
	v_add_f32_e32 v131, v131, v132
	s_waitcnt vmcnt(30)
	v_mul_f32_e32 v132, v125, v202
	v_add_f32_e32 v83, v83, v84
	v_mul_f32_e32 v84, v116, v192
	v_fmac_f32_e32 v132, v126, v201
	v_fma_f32 v84, v115, v191, -v84
	v_add_f32_e32 v131, v131, v132
	s_waitcnt vmcnt(28) lgkmcnt(0)
	v_mul_f32_e32 v132, v127, v204
	v_add_f32_e32 v83, v83, v84
	v_mul_f32_e32 v84, v118, v194
	v_fmac_f32_e32 v132, v128, v203
	v_fma_f32 v84, v117, v193, -v84
	v_add_f32_e32 v135, v131, v132
	ds_read2_b64 v[131:134], v82 offset0:67 offset1:68
	v_add_f32_e32 v83, v83, v84
	v_mul_f32_e32 v84, v120, v196
	v_fma_f32 v84, v119, v195, -v84
	s_waitcnt vmcnt(26)
	v_mul_f32_e32 v136, v129, v206
	v_add_f32_e32 v83, v83, v84
	v_mul_f32_e32 v84, v122, v198
	v_fmac_f32_e32 v136, v130, v205
	v_fma_f32 v84, v121, v197, -v84
	v_add_f32_e32 v139, v135, v136
	ds_read2_b64 v[135:138], v82 offset0:69 offset1:70
	v_add_f32_e32 v83, v83, v84
	v_mul_f32_e32 v84, v124, v200
	s_waitcnt vmcnt(24) lgkmcnt(1)
	v_mul_f32_e32 v140, v131, v208
	v_fma_f32 v84, v123, v199, -v84
	v_fmac_f32_e32 v140, v132, v207
	v_add_f32_e32 v83, v83, v84
	v_mul_f32_e32 v84, v126, v202
	v_add_f32_e32 v139, v139, v140
	s_waitcnt vmcnt(23)
	v_mul_f32_e32 v140, v133, v209
	v_fma_f32 v84, v125, v201, -v84
	s_waitcnt vmcnt(22)
	v_fmac_f32_e32 v140, v134, v210
	v_add_f32_e32 v83, v83, v84
	v_mul_f32_e32 v84, v128, v204
	v_add_f32_e32 v139, v139, v140
	s_waitcnt vmcnt(20) lgkmcnt(0)
	v_mul_f32_e32 v140, v135, v212
	v_fma_f32 v84, v127, v203, -v84
	v_fmac_f32_e32 v140, v136, v211
	v_add_f32_e32 v83, v83, v84
	v_mul_f32_e32 v84, v130, v206
	v_add_f32_e32 v143, v139, v140
	ds_read2_b64 v[139:142], v82 offset0:71 offset1:72
	v_fma_f32 v84, v129, v205, -v84
	v_add_f32_e32 v83, v83, v84
	v_mul_f32_e32 v84, v132, v208
	s_waitcnt vmcnt(18)
	v_mul_f32_e32 v144, v137, v214
	v_fma_f32 v84, v131, v207, -v84
	v_fmac_f32_e32 v144, v138, v213
	v_add_f32_e32 v83, v83, v84
	v_mul_f32_e32 v84, v134, v209
	v_add_f32_e32 v147, v143, v144
	ds_read2_b64 v[143:146], v82 offset0:73 offset1:74
	v_fma_f32 v84, v133, v210, -v84
	s_waitcnt vmcnt(16) lgkmcnt(1)
	v_mul_f32_e32 v148, v139, v216
	v_add_f32_e32 v83, v83, v84
	v_mul_f32_e32 v84, v136, v212
	v_fmac_f32_e32 v148, v140, v215
	v_fma_f32 v84, v135, v211, -v84
	v_add_f32_e32 v147, v147, v148
	s_waitcnt vmcnt(15)
	v_mul_f32_e32 v148, v141, v217
	v_add_f32_e32 v83, v83, v84
	v_mul_f32_e32 v84, v138, v214
	s_waitcnt vmcnt(14)
	v_fmac_f32_e32 v148, v142, v218
	v_fma_f32 v84, v137, v213, -v84
	v_add_f32_e32 v147, v147, v148
	s_waitcnt vmcnt(12) lgkmcnt(0)
	v_mul_f32_e32 v148, v143, v220
	v_add_f32_e32 v83, v83, v84
	v_mul_f32_e32 v84, v140, v216
	v_fmac_f32_e32 v148, v144, v219
	v_fma_f32 v84, v139, v215, -v84
	v_add_f32_e32 v151, v147, v148
	ds_read2_b64 v[147:150], v82 offset0:75 offset1:76
	v_add_f32_e32 v83, v83, v84
	v_mul_f32_e32 v84, v142, v217
	v_fma_f32 v84, v141, v218, -v84
	v_add_f32_e32 v83, v83, v84
	v_mul_f32_e32 v84, v144, v220
	s_waitcnt vmcnt(10)
	v_mul_f32_e32 v152, v145, v222
	v_fma_f32 v84, v143, v219, -v84
	v_fmac_f32_e32 v152, v146, v221
	v_add_f32_e32 v83, v83, v84
	v_mul_f32_e32 v84, v146, v222
	v_add_f32_e32 v155, v151, v152
	ds_read2_b64 v[151:154], v82 offset0:77 offset1:78
	s_waitcnt vmcnt(8) lgkmcnt(1)
	v_mul_f32_e32 v156, v147, v224
	v_fma_f32 v84, v145, v221, -v84
	v_fmac_f32_e32 v156, v148, v223
	v_add_f32_e32 v83, v83, v84
	v_mul_f32_e32 v84, v148, v224
	v_add_f32_e32 v155, v155, v156
	s_waitcnt vmcnt(7)
	v_mul_f32_e32 v156, v149, v225
	v_fma_f32 v84, v147, v223, -v84
	s_waitcnt vmcnt(6)
	v_fmac_f32_e32 v156, v150, v226
	v_add_f32_e32 v83, v83, v84
	v_mul_f32_e32 v84, v150, v225
	v_add_f32_e32 v233, v155, v156
	ds_read_b64 v[155:156], v82 offset:632
	v_fma_f32 v84, v149, v226, -v84
	v_add_f32_e32 v83, v83, v84
	s_waitcnt vmcnt(4) lgkmcnt(1)
	v_mul_f32_e32 v84, v152, v228
	v_mul_f32_e32 v234, v151, v228
	v_fma_f32 v84, v151, v227, -v84
	v_fmac_f32_e32 v234, v152, v227
	v_add_f32_e32 v83, v83, v84
	s_waitcnt vmcnt(3)
	v_mul_f32_e32 v84, v154, v229
	v_add_f32_e32 v233, v233, v234
	v_mul_f32_e32 v234, v153, v229
	s_waitcnt vmcnt(2)
	v_fma_f32 v84, v153, v230, -v84
	v_fmac_f32_e32 v234, v154, v230
	v_add_f32_e32 v83, v83, v84
	s_waitcnt vmcnt(0) lgkmcnt(0)
	v_mul_f32_e32 v84, v156, v232
	v_add_f32_e32 v233, v233, v234
	v_mul_f32_e32 v234, v155, v232
	v_fma_f32 v84, v155, v231, -v84
	v_fmac_f32_e32 v234, v156, v231
	v_add_f32_e32 v83, v83, v84
	v_add_f32_e32 v233, v233, v234
	v_sub_f32_e32 v83, v179, v83
	v_sub_f32_e32 v84, v180, v233
	buffer_store_dword v83, off, s[0:3], 0 offset:16
	buffer_store_dword v84, off, s[0:3], 0 offset:20
	s_and_saveexec_b64 s[4:5], vcc
	s_cbranch_execz .LBB39_251
; %bb.250:
	buffer_load_dword v83, off, s[0:3], 0 offset:8
	buffer_load_dword v84, off, s[0:3], 0 offset:12
	s_waitcnt vmcnt(0)
	ds_write_b64 v81, v[83:84]
	buffer_store_dword v82, off, s[0:3], 0 offset:8
	buffer_store_dword v82, off, s[0:3], 0 offset:12
.LBB39_251:
	s_or_b64 exec, exec, s[4:5]
	s_waitcnt lgkmcnt(0)
	; wave barrier
	buffer_load_dword v159, off, s[0:3], 0 offset:20
	buffer_load_dword v160, off, s[0:3], 0 offset:28
	;; [unrolled: 1-line block ×26, first 2 shown]
	ds_read_b128 v[83:86], v82 offset:336
	ds_read_b128 v[87:90], v82 offset:352
	;; [unrolled: 1-line block ×4, first 2 shown]
	buffer_load_dword v185, off, s[0:3], 0 offset:116
	ds_read_b128 v[99:102], v82 offset:400
	ds_read_b128 v[103:106], v82 offset:416
	buffer_load_dword v186, off, s[0:3], 0 offset:112
	buffer_load_dword v187, off, s[0:3], 0 offset:120
	;; [unrolled: 1-line block ×37, first 2 shown]
	v_cmp_ne_u32_e32 vcc, 0, v0
	s_waitcnt vmcnt(62) lgkmcnt(5)
	v_mul_f32_e32 v107, v83, v159
	v_mul_f32_e32 v108, v85, v160
	s_waitcnt vmcnt(61) lgkmcnt(4)
	v_mul_f32_e32 v109, v87, v161
	s_waitcnt vmcnt(60)
	v_mul_f32_e32 v110, v89, v162
	s_waitcnt vmcnt(59) lgkmcnt(3)
	v_mul_f32_e32 v111, v91, v163
	s_waitcnt vmcnt(58)
	;; [unrolled: 4-line block ×4, first 2 shown]
	v_mul_f32_e32 v116, v101, v168
	s_waitcnt vmcnt(53)
	v_fmac_f32_e32 v107, v84, v169
	s_waitcnt vmcnt(52)
	v_fmac_f32_e32 v108, v86, v170
	v_add_f32_e32 v107, 0, v107
	s_waitcnt vmcnt(51)
	v_fmac_f32_e32 v109, v88, v171
	v_add_f32_e32 v107, v107, v108
	;; [unrolled: 3-line block ×9, first 2 shown]
	s_waitcnt vmcnt(43) lgkmcnt(0)
	v_mul_f32_e32 v108, v103, v179
	v_add_f32_e32 v107, v107, v116
	s_waitcnt vmcnt(42)
	v_fmac_f32_e32 v108, v104, v180
	v_add_f32_e32 v111, v107, v108
	s_waitcnt vmcnt(41)
	v_mul_f32_e32 v112, v105, v181
	ds_read_b128 v[107:110], v82 offset:432
	buffer_load_dword v223, off, s[0:3], 0 offset:264
	buffer_load_dword v224, off, s[0:3], 0 offset:268
	s_waitcnt vmcnt(42)
	v_fmac_f32_e32 v112, v106, v182
	v_add_f32_e32 v115, v111, v112
	ds_read_b128 v[111:114], v82 offset:448
	buffer_load_dword v225, off, s[0:3], 0 offset:272
	buffer_load_dword v226, off, s[0:3], 0 offset:276
	buffer_load_dword v227, off, s[0:3], 0 offset:284
	buffer_load_dword v228, off, s[0:3], 0 offset:280
	buffer_load_dword v229, off, s[0:3], 0 offset:288
	buffer_load_dword v230, off, s[0:3], 0 offset:292
	buffer_load_dword v231, off, s[0:3], 0 offset:296
	buffer_load_dword v232, off, s[0:3], 0 offset:300
	buffer_load_dword v233, off, s[0:3], 0 offset:308
	buffer_load_dword v234, off, s[0:3], 0 offset:304
	buffer_load_dword v235, off, s[0:3], 0 offset:312
	buffer_load_dword v236, off, s[0:3], 0 offset:316
	v_mul_f32_e32 v84, v84, v159
	v_fma_f32 v83, v83, v169, -v84
	v_mul_f32_e32 v84, v86, v160
	v_add_f32_e32 v83, 0, v83
	v_fma_f32 v84, v85, v170, -v84
	v_add_f32_e32 v83, v83, v84
	v_mul_f32_e32 v84, v88, v161
	v_fma_f32 v84, v87, v171, -v84
	v_add_f32_e32 v83, v83, v84
	v_mul_f32_e32 v84, v90, v162
	v_fma_f32 v84, v89, v172, -v84
	s_waitcnt vmcnt(51) lgkmcnt(1)
	v_mul_f32_e32 v116, v107, v185
	v_add_f32_e32 v83, v83, v84
	v_mul_f32_e32 v84, v92, v163
	s_waitcnt vmcnt(50)
	v_fmac_f32_e32 v116, v108, v186
	v_fma_f32 v84, v91, v173, -v84
	v_add_f32_e32 v115, v115, v116
	s_waitcnt vmcnt(48)
	v_mul_f32_e32 v116, v109, v188
	v_add_f32_e32 v83, v83, v84
	v_mul_f32_e32 v84, v94, v164
	v_fmac_f32_e32 v116, v110, v187
	v_fma_f32 v84, v93, v174, -v84
	v_add_f32_e32 v115, v115, v116
	s_waitcnt vmcnt(46) lgkmcnt(0)
	v_mul_f32_e32 v116, v111, v190
	v_add_f32_e32 v83, v83, v84
	v_mul_f32_e32 v84, v96, v165
	v_fmac_f32_e32 v116, v112, v189
	v_fma_f32 v84, v95, v175, -v84
	v_add_f32_e32 v119, v115, v116
	ds_read_b128 v[115:118], v82 offset:464
	v_add_f32_e32 v83, v83, v84
	v_mul_f32_e32 v84, v98, v166
	v_fma_f32 v84, v97, v176, -v84
	s_waitcnt vmcnt(44)
	v_mul_f32_e32 v120, v113, v192
	v_add_f32_e32 v83, v83, v84
	v_mul_f32_e32 v84, v100, v167
	v_fmac_f32_e32 v120, v114, v191
	v_fma_f32 v84, v99, v177, -v84
	v_add_f32_e32 v123, v119, v120
	ds_read_b128 v[119:122], v82 offset:480
	v_add_f32_e32 v83, v83, v84
	v_mul_f32_e32 v84, v102, v168
	s_waitcnt vmcnt(42) lgkmcnt(1)
	v_mul_f32_e32 v124, v115, v194
	v_fma_f32 v84, v101, v178, -v84
	v_fmac_f32_e32 v124, v116, v193
	v_add_f32_e32 v83, v83, v84
	v_mul_f32_e32 v84, v104, v179
	v_add_f32_e32 v123, v123, v124
	s_waitcnt vmcnt(40)
	v_mul_f32_e32 v124, v117, v196
	v_fma_f32 v84, v103, v180, -v84
	v_fmac_f32_e32 v124, v118, v195
	v_add_f32_e32 v83, v83, v84
	v_mul_f32_e32 v84, v106, v181
	v_add_f32_e32 v123, v123, v124
	s_waitcnt vmcnt(38) lgkmcnt(0)
	v_mul_f32_e32 v124, v119, v198
	v_fma_f32 v84, v105, v182, -v84
	v_fmac_f32_e32 v124, v120, v197
	v_add_f32_e32 v83, v83, v84
	v_mul_f32_e32 v84, v108, v185
	v_add_f32_e32 v127, v123, v124
	ds_read_b128 v[123:126], v82 offset:496
	v_fma_f32 v84, v107, v186, -v84
	v_add_f32_e32 v83, v83, v84
	v_mul_f32_e32 v84, v110, v188
	s_waitcnt vmcnt(36)
	v_mul_f32_e32 v128, v121, v200
	v_fma_f32 v84, v109, v187, -v84
	v_fmac_f32_e32 v128, v122, v199
	v_add_f32_e32 v83, v83, v84
	v_mul_f32_e32 v84, v112, v190
	v_add_f32_e32 v131, v127, v128
	ds_read_b128 v[127:130], v82 offset:512
	v_fma_f32 v84, v111, v189, -v84
	s_waitcnt vmcnt(34) lgkmcnt(1)
	v_mul_f32_e32 v132, v123, v202
	v_add_f32_e32 v83, v83, v84
	v_mul_f32_e32 v84, v114, v192
	v_fmac_f32_e32 v132, v124, v201
	v_fma_f32 v84, v113, v191, -v84
	v_add_f32_e32 v131, v131, v132
	s_waitcnt vmcnt(32)
	v_mul_f32_e32 v132, v125, v204
	v_add_f32_e32 v83, v83, v84
	v_mul_f32_e32 v84, v116, v194
	v_fmac_f32_e32 v132, v126, v203
	v_fma_f32 v84, v115, v193, -v84
	v_add_f32_e32 v131, v131, v132
	s_waitcnt vmcnt(30) lgkmcnt(0)
	v_mul_f32_e32 v132, v127, v206
	v_add_f32_e32 v83, v83, v84
	v_mul_f32_e32 v84, v118, v196
	v_fmac_f32_e32 v132, v128, v205
	v_fma_f32 v84, v117, v195, -v84
	v_add_f32_e32 v135, v131, v132
	ds_read_b128 v[131:134], v82 offset:528
	v_add_f32_e32 v83, v83, v84
	v_mul_f32_e32 v84, v120, v198
	v_fma_f32 v84, v119, v197, -v84
	s_waitcnt vmcnt(28)
	v_mul_f32_e32 v136, v129, v208
	v_add_f32_e32 v83, v83, v84
	v_mul_f32_e32 v84, v122, v200
	v_fmac_f32_e32 v136, v130, v207
	v_fma_f32 v84, v121, v199, -v84
	v_add_f32_e32 v139, v135, v136
	ds_read_b128 v[135:138], v82 offset:544
	v_add_f32_e32 v83, v83, v84
	v_mul_f32_e32 v84, v124, v202
	s_waitcnt vmcnt(26) lgkmcnt(1)
	v_mul_f32_e32 v140, v131, v210
	v_fma_f32 v84, v123, v201, -v84
	v_fmac_f32_e32 v140, v132, v209
	v_add_f32_e32 v83, v83, v84
	v_mul_f32_e32 v84, v126, v204
	v_add_f32_e32 v139, v139, v140
	s_waitcnt vmcnt(25)
	v_mul_f32_e32 v140, v133, v211
	v_fma_f32 v84, v125, v203, -v84
	s_waitcnt vmcnt(24)
	v_fmac_f32_e32 v140, v134, v212
	v_add_f32_e32 v83, v83, v84
	v_mul_f32_e32 v84, v128, v206
	v_add_f32_e32 v139, v139, v140
	s_waitcnt vmcnt(22) lgkmcnt(0)
	v_mul_f32_e32 v140, v135, v214
	v_fma_f32 v84, v127, v205, -v84
	v_fmac_f32_e32 v140, v136, v213
	v_add_f32_e32 v83, v83, v84
	v_mul_f32_e32 v84, v130, v208
	v_add_f32_e32 v143, v139, v140
	ds_read_b128 v[139:142], v82 offset:560
	v_fma_f32 v84, v129, v207, -v84
	v_add_f32_e32 v83, v83, v84
	v_mul_f32_e32 v84, v132, v210
	s_waitcnt vmcnt(20)
	v_mul_f32_e32 v144, v137, v216
	v_fma_f32 v84, v131, v209, -v84
	v_fmac_f32_e32 v144, v138, v215
	v_add_f32_e32 v83, v83, v84
	v_mul_f32_e32 v84, v134, v211
	v_add_f32_e32 v147, v143, v144
	ds_read_b128 v[143:146], v82 offset:576
	v_fma_f32 v84, v133, v212, -v84
	s_waitcnt vmcnt(18) lgkmcnt(1)
	v_mul_f32_e32 v148, v139, v218
	v_add_f32_e32 v83, v83, v84
	v_mul_f32_e32 v84, v136, v214
	v_fmac_f32_e32 v148, v140, v217
	v_fma_f32 v84, v135, v213, -v84
	v_add_f32_e32 v147, v147, v148
	s_waitcnt vmcnt(17)
	v_mul_f32_e32 v148, v141, v219
	v_add_f32_e32 v83, v83, v84
	v_mul_f32_e32 v84, v138, v216
	s_waitcnt vmcnt(16)
	v_fmac_f32_e32 v148, v142, v220
	v_fma_f32 v84, v137, v215, -v84
	v_add_f32_e32 v147, v147, v148
	s_waitcnt vmcnt(14) lgkmcnt(0)
	v_mul_f32_e32 v148, v143, v222
	v_add_f32_e32 v83, v83, v84
	v_mul_f32_e32 v84, v140, v218
	v_fmac_f32_e32 v148, v144, v221
	v_fma_f32 v84, v139, v217, -v84
	v_add_f32_e32 v151, v147, v148
	ds_read_b128 v[147:150], v82 offset:592
	v_add_f32_e32 v83, v83, v84
	v_mul_f32_e32 v84, v142, v219
	v_fma_f32 v84, v141, v220, -v84
	v_add_f32_e32 v83, v83, v84
	v_mul_f32_e32 v84, v144, v222
	s_waitcnt vmcnt(12)
	v_mul_f32_e32 v152, v145, v224
	v_fma_f32 v84, v143, v221, -v84
	v_fmac_f32_e32 v152, v146, v223
	v_add_f32_e32 v83, v83, v84
	v_mul_f32_e32 v84, v146, v224
	v_add_f32_e32 v155, v151, v152
	ds_read_b128 v[151:154], v82 offset:608
	s_waitcnt vmcnt(10) lgkmcnt(1)
	v_mul_f32_e32 v156, v147, v226
	v_fma_f32 v84, v145, v223, -v84
	v_fmac_f32_e32 v156, v148, v225
	v_add_f32_e32 v83, v83, v84
	v_mul_f32_e32 v84, v148, v226
	v_add_f32_e32 v155, v155, v156
	s_waitcnt vmcnt(9)
	v_mul_f32_e32 v156, v149, v227
	v_fma_f32 v84, v147, v225, -v84
	s_waitcnt vmcnt(8)
	v_fmac_f32_e32 v156, v150, v228
	v_add_f32_e32 v83, v83, v84
	v_mul_f32_e32 v84, v150, v227
	v_add_f32_e32 v237, v155, v156
	ds_read_b128 v[155:158], v82 offset:624
	v_fma_f32 v84, v149, v228, -v84
	v_add_f32_e32 v83, v83, v84
	s_waitcnt vmcnt(6) lgkmcnt(1)
	v_mul_f32_e32 v84, v152, v230
	v_mul_f32_e32 v238, v151, v230
	v_fma_f32 v84, v151, v229, -v84
	v_fmac_f32_e32 v238, v152, v229
	v_add_f32_e32 v83, v83, v84
	s_waitcnt vmcnt(4)
	v_mul_f32_e32 v84, v154, v232
	v_add_f32_e32 v82, v237, v238
	v_mul_f32_e32 v237, v153, v232
	v_fma_f32 v84, v153, v231, -v84
	v_fmac_f32_e32 v237, v154, v231
	v_add_f32_e32 v83, v83, v84
	s_waitcnt vmcnt(3) lgkmcnt(0)
	v_mul_f32_e32 v84, v156, v233
	v_add_f32_e32 v82, v82, v237
	v_mul_f32_e32 v237, v155, v233
	s_waitcnt vmcnt(2)
	v_fma_f32 v84, v155, v234, -v84
	v_fmac_f32_e32 v237, v156, v234
	v_add_f32_e32 v83, v83, v84
	s_waitcnt vmcnt(0)
	v_mul_f32_e32 v84, v158, v236
	v_add_f32_e32 v82, v82, v237
	v_mul_f32_e32 v237, v157, v236
	v_fma_f32 v84, v157, v235, -v84
	v_fmac_f32_e32 v237, v158, v235
	v_add_f32_e32 v83, v83, v84
	v_add_f32_e32 v82, v82, v237
	v_sub_f32_e32 v83, v183, v83
	v_sub_f32_e32 v82, v184, v82
	buffer_store_dword v83, off, s[0:3], 0 offset:8
	buffer_store_dword v82, off, s[0:3], 0 offset:12
	s_and_saveexec_b64 s[4:5], vcc
	s_cbranch_execz .LBB39_253
; %bb.252:
	buffer_load_dword v82, off, s[0:3], 0
	buffer_load_dword v83, off, s[0:3], 0 offset:4
	v_mov_b32_e32 v0, 0
	buffer_store_dword v0, off, s[0:3], 0
	buffer_store_dword v0, off, s[0:3], 0 offset:4
	s_waitcnt vmcnt(2)
	ds_write_b64 v81, v[82:83]
.LBB39_253:
	s_or_b64 exec, exec, s[4:5]
	s_waitcnt lgkmcnt(0)
	; wave barrier
	buffer_load_dword v159, off, s[0:3], 0 offset:12
	buffer_load_dword v160, off, s[0:3], 0 offset:20
	;; [unrolled: 1-line block ×24, first 2 shown]
	buffer_load_dword v183, off, s[0:3], 0
	buffer_load_dword v184, off, s[0:3], 0 offset:4
	buffer_load_dword v185, off, s[0:3], 0 offset:104
	;; [unrolled: 1-line block ×27, first 2 shown]
	v_mov_b32_e32 v0, 0
	ds_read2_b64 v[81:84], v0 offset0:41 offset1:42
	ds_read2_b64 v[85:88], v0 offset0:43 offset1:44
	;; [unrolled: 1-line block ×6, first 2 shown]
	buffer_load_dword v211, off, s[0:3], 0 offset:212
	buffer_load_dword v212, off, s[0:3], 0 offset:208
	;; [unrolled: 1-line block ×8, first 2 shown]
	s_and_b64 vcc, exec, s[22:23]
	s_waitcnt vmcnt(59) lgkmcnt(5)
	v_mul_f32_e32 v105, v81, v159
	s_waitcnt vmcnt(58)
	v_mul_f32_e32 v106, v83, v160
	s_waitcnt vmcnt(57) lgkmcnt(4)
	v_mul_f32_e32 v107, v85, v161
	s_waitcnt vmcnt(56)
	v_mul_f32_e32 v108, v87, v162
	;; [unrolled: 4-line block ×5, first 2 shown]
	s_waitcnt vmcnt(49) lgkmcnt(0)
	v_mul_f32_e32 v115, v101, v169
	s_waitcnt vmcnt(48)
	v_fmac_f32_e32 v105, v82, v170
	s_waitcnt vmcnt(47)
	v_fmac_f32_e32 v106, v84, v171
	v_add_f32_e32 v105, 0, v105
	s_waitcnt vmcnt(46)
	v_fmac_f32_e32 v107, v86, v172
	v_add_f32_e32 v105, v105, v106
	;; [unrolled: 3-line block ×9, first 2 shown]
	v_add_f32_e32 v105, v105, v114
	s_waitcnt vmcnt(38)
	v_fmac_f32_e32 v115, v102, v180
	s_waitcnt vmcnt(37)
	v_mul_f32_e32 v106, v103, v181
	v_add_f32_e32 v105, v105, v115
	s_waitcnt vmcnt(36)
	v_fmac_f32_e32 v106, v104, v182
	v_add_f32_e32 v113, v105, v106
	ds_read2_b64 v[105:108], v0 offset0:53 offset1:54
	buffer_load_dword v219, off, s[0:3], 0 offset:244
	buffer_load_dword v220, off, s[0:3], 0 offset:240
	;; [unrolled: 1-line block ×4, first 2 shown]
	ds_read2_b64 v[109:112], v0 offset0:55 offset1:56
	buffer_load_dword v223, off, s[0:3], 0 offset:256
	buffer_load_dword v224, off, s[0:3], 0 offset:260
	;; [unrolled: 1-line block ×10, first 2 shown]
	s_waitcnt vmcnt(46) lgkmcnt(1)
	v_mul_f32_e32 v114, v105, v186
	v_fmac_f32_e32 v114, v106, v185
	v_add_f32_e32 v113, v113, v114
	s_waitcnt vmcnt(44)
	v_mul_f32_e32 v114, v107, v188
	buffer_load_dword v233, off, s[0:3], 0 offset:296
	buffer_load_dword v234, off, s[0:3], 0 offset:300
	v_fmac_f32_e32 v114, v108, v187
	v_add_f32_e32 v113, v113, v114
	s_waitcnt vmcnt(44) lgkmcnt(0)
	v_mul_f32_e32 v114, v109, v190
	v_fmac_f32_e32 v114, v110, v189
	v_add_f32_e32 v117, v113, v114
	ds_read2_b64 v[113:116], v0 offset0:57 offset1:58
	buffer_load_dword v235, off, s[0:3], 0 offset:308
	buffer_load_dword v236, off, s[0:3], 0 offset:304
	;; [unrolled: 1-line block ×4, first 2 shown]
	v_mul_f32_e32 v82, v82, v159
	v_fma_f32 v81, v81, v170, -v82
	v_mul_f32_e32 v82, v84, v160
	v_add_f32_e32 v81, 0, v81
	v_fma_f32 v82, v83, v171, -v82
	v_add_f32_e32 v81, v81, v82
	v_mul_f32_e32 v82, v86, v161
	v_fma_f32 v82, v85, v172, -v82
	v_add_f32_e32 v81, v81, v82
	v_mul_f32_e32 v82, v88, v162
	;; [unrolled: 3-line block ×5, first 2 shown]
	v_fma_f32 v82, v93, v176, -v82
	s_waitcnt vmcnt(46)
	v_mul_f32_e32 v118, v111, v192
	v_add_f32_e32 v81, v81, v82
	v_mul_f32_e32 v82, v96, v166
	v_fmac_f32_e32 v118, v112, v191
	v_fma_f32 v82, v95, v177, -v82
	v_add_f32_e32 v121, v117, v118
	ds_read2_b64 v[117:120], v0 offset0:59 offset1:60
	v_add_f32_e32 v81, v81, v82
	v_mul_f32_e32 v82, v98, v167
	s_waitcnt vmcnt(44) lgkmcnt(1)
	v_mul_f32_e32 v122, v113, v194
	v_fma_f32 v82, v97, v178, -v82
	v_fmac_f32_e32 v122, v114, v193
	v_add_f32_e32 v81, v81, v82
	v_mul_f32_e32 v82, v100, v168
	v_add_f32_e32 v121, v121, v122
	s_waitcnt vmcnt(42)
	v_mul_f32_e32 v122, v115, v196
	v_fma_f32 v82, v99, v179, -v82
	v_fmac_f32_e32 v122, v116, v195
	v_add_f32_e32 v81, v81, v82
	v_mul_f32_e32 v82, v102, v169
	v_add_f32_e32 v121, v121, v122
	s_waitcnt vmcnt(40) lgkmcnt(0)
	v_mul_f32_e32 v122, v117, v198
	v_fma_f32 v82, v101, v180, -v82
	v_fmac_f32_e32 v122, v118, v197
	v_add_f32_e32 v81, v81, v82
	v_mul_f32_e32 v82, v104, v181
	v_add_f32_e32 v125, v121, v122
	ds_read2_b64 v[121:124], v0 offset0:61 offset1:62
	v_fma_f32 v82, v103, v182, -v82
	v_add_f32_e32 v81, v81, v82
	v_mul_f32_e32 v82, v106, v186
	s_waitcnt vmcnt(38)
	v_mul_f32_e32 v126, v119, v200
	v_fma_f32 v82, v105, v185, -v82
	v_fmac_f32_e32 v126, v120, v199
	v_add_f32_e32 v81, v81, v82
	v_mul_f32_e32 v82, v108, v188
	v_add_f32_e32 v129, v125, v126
	ds_read2_b64 v[125:128], v0 offset0:63 offset1:64
	v_fma_f32 v82, v107, v187, -v82
	s_waitcnt vmcnt(36) lgkmcnt(1)
	v_mul_f32_e32 v130, v121, v202
	v_add_f32_e32 v81, v81, v82
	v_mul_f32_e32 v82, v110, v190
	v_fmac_f32_e32 v130, v122, v201
	v_fma_f32 v82, v109, v189, -v82
	v_add_f32_e32 v129, v129, v130
	s_waitcnt vmcnt(34)
	v_mul_f32_e32 v130, v123, v204
	v_add_f32_e32 v81, v81, v82
	v_mul_f32_e32 v82, v112, v192
	v_fmac_f32_e32 v130, v124, v203
	v_fma_f32 v82, v111, v191, -v82
	v_add_f32_e32 v129, v129, v130
	s_waitcnt vmcnt(32) lgkmcnt(0)
	v_mul_f32_e32 v130, v125, v206
	v_add_f32_e32 v81, v81, v82
	v_mul_f32_e32 v82, v114, v194
	v_fmac_f32_e32 v130, v126, v205
	v_fma_f32 v82, v113, v193, -v82
	v_add_f32_e32 v133, v129, v130
	ds_read2_b64 v[129:132], v0 offset0:65 offset1:66
	v_add_f32_e32 v81, v81, v82
	v_mul_f32_e32 v82, v116, v196
	v_fma_f32 v82, v115, v195, -v82
	s_waitcnt vmcnt(30)
	v_mul_f32_e32 v134, v127, v208
	v_add_f32_e32 v81, v81, v82
	v_mul_f32_e32 v82, v118, v198
	v_fmac_f32_e32 v134, v128, v207
	v_fma_f32 v82, v117, v197, -v82
	v_add_f32_e32 v137, v133, v134
	ds_read2_b64 v[133:136], v0 offset0:67 offset1:68
	v_add_f32_e32 v81, v81, v82
	v_mul_f32_e32 v82, v120, v200
	s_waitcnt vmcnt(28) lgkmcnt(1)
	v_mul_f32_e32 v138, v129, v210
	v_fma_f32 v82, v119, v199, -v82
	v_fmac_f32_e32 v138, v130, v209
	v_add_f32_e32 v81, v81, v82
	v_mul_f32_e32 v82, v122, v202
	v_add_f32_e32 v137, v137, v138
	s_waitcnt vmcnt(27)
	v_mul_f32_e32 v138, v131, v211
	v_fma_f32 v82, v121, v201, -v82
	s_waitcnt vmcnt(26)
	v_fmac_f32_e32 v138, v132, v212
	v_add_f32_e32 v81, v81, v82
	v_mul_f32_e32 v82, v124, v204
	v_add_f32_e32 v137, v137, v138
	s_waitcnt vmcnt(24) lgkmcnt(0)
	v_mul_f32_e32 v138, v133, v214
	v_fma_f32 v82, v123, v203, -v82
	v_fmac_f32_e32 v138, v134, v213
	v_add_f32_e32 v81, v81, v82
	v_mul_f32_e32 v82, v126, v206
	v_add_f32_e32 v141, v137, v138
	ds_read2_b64 v[137:140], v0 offset0:69 offset1:70
	v_fma_f32 v82, v125, v205, -v82
	v_add_f32_e32 v81, v81, v82
	v_mul_f32_e32 v82, v128, v208
	s_waitcnt vmcnt(22)
	v_mul_f32_e32 v142, v135, v216
	v_fma_f32 v82, v127, v207, -v82
	v_fmac_f32_e32 v142, v136, v215
	v_add_f32_e32 v81, v81, v82
	v_mul_f32_e32 v82, v130, v210
	v_add_f32_e32 v145, v141, v142
	ds_read2_b64 v[141:144], v0 offset0:71 offset1:72
	v_fma_f32 v82, v129, v209, -v82
	s_waitcnt vmcnt(20) lgkmcnt(1)
	v_mul_f32_e32 v146, v137, v218
	v_add_f32_e32 v81, v81, v82
	v_mul_f32_e32 v82, v132, v211
	v_fmac_f32_e32 v146, v138, v217
	v_fma_f32 v82, v131, v212, -v82
	v_add_f32_e32 v145, v145, v146
	s_waitcnt vmcnt(19)
	v_mul_f32_e32 v146, v139, v219
	v_add_f32_e32 v81, v81, v82
	v_mul_f32_e32 v82, v134, v214
	s_waitcnt vmcnt(18)
	v_fmac_f32_e32 v146, v140, v220
	v_fma_f32 v82, v133, v213, -v82
	v_add_f32_e32 v145, v145, v146
	s_waitcnt vmcnt(16) lgkmcnt(0)
	v_mul_f32_e32 v146, v141, v222
	v_add_f32_e32 v81, v81, v82
	v_mul_f32_e32 v82, v136, v216
	v_fmac_f32_e32 v146, v142, v221
	v_fma_f32 v82, v135, v215, -v82
	v_add_f32_e32 v149, v145, v146
	ds_read2_b64 v[145:148], v0 offset0:73 offset1:74
	v_add_f32_e32 v81, v81, v82
	v_mul_f32_e32 v82, v138, v218
	v_fma_f32 v82, v137, v217, -v82
	s_waitcnt vmcnt(14)
	v_mul_f32_e32 v150, v143, v224
	v_add_f32_e32 v81, v81, v82
	v_mul_f32_e32 v82, v140, v219
	v_fmac_f32_e32 v150, v144, v223
	v_fma_f32 v82, v139, v220, -v82
	v_add_f32_e32 v153, v149, v150
	ds_read2_b64 v[149:152], v0 offset0:75 offset1:76
	v_add_f32_e32 v81, v81, v82
	v_mul_f32_e32 v82, v142, v222
	s_waitcnt vmcnt(12) lgkmcnt(1)
	v_mul_f32_e32 v154, v145, v226
	v_fma_f32 v82, v141, v221, -v82
	v_fmac_f32_e32 v154, v146, v225
	v_add_f32_e32 v81, v81, v82
	v_mul_f32_e32 v82, v144, v224
	v_add_f32_e32 v153, v153, v154
	s_waitcnt vmcnt(11)
	v_mul_f32_e32 v154, v147, v227
	v_fma_f32 v82, v143, v223, -v82
	s_waitcnt vmcnt(10)
	v_fmac_f32_e32 v154, v148, v228
	v_add_f32_e32 v81, v81, v82
	v_mul_f32_e32 v82, v146, v226
	v_add_f32_e32 v153, v153, v154
	s_waitcnt vmcnt(8) lgkmcnt(0)
	v_mul_f32_e32 v154, v149, v230
	v_fma_f32 v82, v145, v225, -v82
	v_fmac_f32_e32 v154, v150, v229
	v_add_f32_e32 v81, v81, v82
	v_mul_f32_e32 v82, v148, v227
	v_add_f32_e32 v157, v153, v154
	ds_read2_b64 v[153:156], v0 offset0:77 offset1:78
	v_fma_f32 v82, v147, v228, -v82
	v_add_f32_e32 v81, v81, v82
	v_mul_f32_e32 v82, v150, v230
	s_waitcnt vmcnt(6)
	v_mul_f32_e32 v158, v151, v232
	v_fma_f32 v82, v149, v229, -v82
	v_fmac_f32_e32 v158, v152, v231
	v_add_f32_e32 v81, v81, v82
	v_mul_f32_e32 v82, v152, v232
	v_add_f32_e32 v239, v157, v158
	ds_read_b64 v[157:158], v0 offset:632
	v_fma_f32 v82, v151, v231, -v82
	v_add_f32_e32 v81, v81, v82
	s_waitcnt vmcnt(4) lgkmcnt(1)
	v_mul_f32_e32 v82, v154, v234
	v_mul_f32_e32 v240, v153, v234
	v_fma_f32 v82, v153, v233, -v82
	v_fmac_f32_e32 v240, v154, v233
	v_add_f32_e32 v81, v81, v82
	s_waitcnt vmcnt(3)
	v_mul_f32_e32 v82, v156, v235
	v_add_f32_e32 v239, v239, v240
	v_mul_f32_e32 v240, v155, v235
	s_waitcnt vmcnt(2)
	v_fma_f32 v82, v155, v236, -v82
	v_fmac_f32_e32 v240, v156, v236
	v_add_f32_e32 v81, v81, v82
	s_waitcnt vmcnt(0) lgkmcnt(0)
	v_mul_f32_e32 v82, v158, v238
	v_add_f32_e32 v239, v239, v240
	v_mul_f32_e32 v240, v157, v238
	v_fma_f32 v82, v157, v237, -v82
	v_fmac_f32_e32 v240, v158, v237
	v_add_f32_e32 v81, v81, v82
	v_add_f32_e32 v239, v239, v240
	v_sub_f32_e32 v81, v183, v81
	v_sub_f32_e32 v82, v184, v239
	buffer_store_dword v81, off, s[0:3], 0
	buffer_store_dword v82, off, s[0:3], 0 offset:4
	s_cbranch_vccz .LBB39_332
; %bb.254:
	global_load_dword v0, v0, s[20:21] offset:152
	s_waitcnt vmcnt(0)
	v_add_u32_e32 v0, -1, v0
	v_cmp_ne_u32_e32 vcc, 38, v0
	s_cbranch_vccz .LBB39_256
; %bb.255:
	v_lshlrev_b32_e32 v0, 3, v0
	buffer_load_dword v81, v0, s[0:3], 0 offen
	buffer_load_dword v82, v0, s[0:3], 0 offen offset:4
	buffer_load_dword v83, off, s[0:3], 0 offset:308
	buffer_load_dword v84, off, s[0:3], 0 offset:304
	s_waitcnt vmcnt(3)
	buffer_store_dword v81, off, s[0:3], 0 offset:304
	s_waitcnt vmcnt(3)
	buffer_store_dword v82, off, s[0:3], 0 offset:308
	s_waitcnt vmcnt(3)
	buffer_store_dword v83, v0, s[0:3], 0 offen offset:4
	s_waitcnt vmcnt(3)
	buffer_store_dword v84, v0, s[0:3], 0 offen
.LBB39_256:
	v_mov_b32_e32 v0, 0
	global_load_dword v81, v0, s[20:21] offset:148
	s_waitcnt vmcnt(0)
	v_add_u32_e32 v81, -1, v81
	v_cmp_eq_u32_e32 vcc, 37, v81
	s_cbranch_vccnz .LBB39_258
; %bb.257:
	v_lshlrev_b32_e32 v81, 3, v81
	buffer_load_dword v82, v81, s[0:3], 0 offen
	buffer_load_dword v83, v81, s[0:3], 0 offen offset:4
	buffer_load_dword v84, off, s[0:3], 0 offset:296
	buffer_load_dword v85, off, s[0:3], 0 offset:300
	s_waitcnt vmcnt(3)
	buffer_store_dword v82, off, s[0:3], 0 offset:296
	s_waitcnt vmcnt(3)
	buffer_store_dword v83, off, s[0:3], 0 offset:300
	s_waitcnt vmcnt(3)
	buffer_store_dword v84, v81, s[0:3], 0 offen
	s_waitcnt vmcnt(3)
	buffer_store_dword v85, v81, s[0:3], 0 offen offset:4
.LBB39_258:
	global_load_dword v0, v0, s[20:21] offset:144
	s_waitcnt vmcnt(0)
	v_add_u32_e32 v0, -1, v0
	v_cmp_eq_u32_e32 vcc, 36, v0
	s_cbranch_vccnz .LBB39_260
; %bb.259:
	v_lshlrev_b32_e32 v0, 3, v0
	buffer_load_dword v81, v0, s[0:3], 0 offen
	buffer_load_dword v82, v0, s[0:3], 0 offen offset:4
	buffer_load_dword v83, off, s[0:3], 0 offset:292
	buffer_load_dword v84, off, s[0:3], 0 offset:288
	s_waitcnt vmcnt(3)
	buffer_store_dword v81, off, s[0:3], 0 offset:288
	s_waitcnt vmcnt(3)
	buffer_store_dword v82, off, s[0:3], 0 offset:292
	s_waitcnt vmcnt(3)
	buffer_store_dword v83, v0, s[0:3], 0 offen offset:4
	s_waitcnt vmcnt(3)
	buffer_store_dword v84, v0, s[0:3], 0 offen
.LBB39_260:
	v_mov_b32_e32 v0, 0
	global_load_dword v81, v0, s[20:21] offset:140
	s_waitcnt vmcnt(0)
	v_add_u32_e32 v81, -1, v81
	v_cmp_eq_u32_e32 vcc, 35, v81
	s_cbranch_vccnz .LBB39_262
; %bb.261:
	v_lshlrev_b32_e32 v81, 3, v81
	buffer_load_dword v82, v81, s[0:3], 0 offen
	buffer_load_dword v83, v81, s[0:3], 0 offen offset:4
	buffer_load_dword v84, off, s[0:3], 0 offset:280
	buffer_load_dword v85, off, s[0:3], 0 offset:284
	s_waitcnt vmcnt(3)
	buffer_store_dword v82, off, s[0:3], 0 offset:280
	s_waitcnt vmcnt(3)
	buffer_store_dword v83, off, s[0:3], 0 offset:284
	s_waitcnt vmcnt(3)
	buffer_store_dword v84, v81, s[0:3], 0 offen
	s_waitcnt vmcnt(3)
	buffer_store_dword v85, v81, s[0:3], 0 offen offset:4
.LBB39_262:
	global_load_dword v0, v0, s[20:21] offset:136
	s_waitcnt vmcnt(0)
	v_add_u32_e32 v0, -1, v0
	v_cmp_eq_u32_e32 vcc, 34, v0
	s_cbranch_vccnz .LBB39_264
; %bb.263:
	v_lshlrev_b32_e32 v0, 3, v0
	buffer_load_dword v81, v0, s[0:3], 0 offen
	buffer_load_dword v82, v0, s[0:3], 0 offen offset:4
	buffer_load_dword v83, off, s[0:3], 0 offset:276
	buffer_load_dword v84, off, s[0:3], 0 offset:272
	s_waitcnt vmcnt(3)
	buffer_store_dword v81, off, s[0:3], 0 offset:272
	s_waitcnt vmcnt(3)
	buffer_store_dword v82, off, s[0:3], 0 offset:276
	s_waitcnt vmcnt(3)
	buffer_store_dword v83, v0, s[0:3], 0 offen offset:4
	s_waitcnt vmcnt(3)
	buffer_store_dword v84, v0, s[0:3], 0 offen
.LBB39_264:
	;; [unrolled: 41-line block ×18, first 2 shown]
	v_mov_b32_e32 v0, 0
	global_load_dword v81, v0, s[20:21] offset:4
	s_waitcnt vmcnt(0)
	v_add_u32_e32 v81, -1, v81
	v_cmp_eq_u32_e32 vcc, 1, v81
	s_cbranch_vccnz .LBB39_330
; %bb.329:
	v_lshlrev_b32_e32 v81, 3, v81
	buffer_load_dword v82, v81, s[0:3], 0 offen
	buffer_load_dword v83, v81, s[0:3], 0 offen offset:4
	buffer_load_dword v84, off, s[0:3], 0 offset:8
	buffer_load_dword v85, off, s[0:3], 0 offset:12
	s_waitcnt vmcnt(3)
	buffer_store_dword v82, off, s[0:3], 0 offset:8
	s_waitcnt vmcnt(3)
	buffer_store_dword v83, off, s[0:3], 0 offset:12
	s_waitcnt vmcnt(3)
	buffer_store_dword v84, v81, s[0:3], 0 offen
	s_waitcnt vmcnt(3)
	buffer_store_dword v85, v81, s[0:3], 0 offen offset:4
.LBB39_330:
	global_load_dword v0, v0, s[20:21]
	s_waitcnt vmcnt(0)
	v_add_u32_e32 v0, -1, v0
	v_cmp_eq_u32_e32 vcc, 0, v0
	s_cbranch_vccnz .LBB39_332
; %bb.331:
	v_lshlrev_b32_e32 v0, 3, v0
	buffer_load_dword v81, v0, s[0:3], 0 offen
	buffer_load_dword v82, v0, s[0:3], 0 offen offset:4
	buffer_load_dword v83, off, s[0:3], 0 offset:4
	buffer_load_dword v84, off, s[0:3], 0
	s_waitcnt vmcnt(3)
	buffer_store_dword v81, off, s[0:3], 0
	s_waitcnt vmcnt(3)
	buffer_store_dword v82, off, s[0:3], 0 offset:4
	s_waitcnt vmcnt(3)
	buffer_store_dword v83, v0, s[0:3], 0 offen offset:4
	s_waitcnt vmcnt(3)
	buffer_store_dword v84, v0, s[0:3], 0 offen
.LBB39_332:
	buffer_load_dword v81, off, s[0:3], 0
	buffer_load_dword v82, off, s[0:3], 0 offset:4
	buffer_load_dword v83, off, s[0:3], 0 offset:8
	s_nop 0
	buffer_load_dword v84, off, s[0:3], 0 offset:12
	buffer_load_dword v85, off, s[0:3], 0 offset:16
	;; [unrolled: 1-line block ×77, first 2 shown]
	s_waitcnt vmcnt(62)
	global_store_dwordx2 v[1:2], v[81:82], off
	global_store_dwordx2 v[3:4], v[83:84], off
	;; [unrolled: 1-line block ×8, first 2 shown]
	s_waitcnt vmcnt(62)
	global_store_dwordx2 v[17:18], v[97:98], off
	global_store_dwordx2 v[19:20], v[99:100], off
	;; [unrolled: 1-line block ×5, first 2 shown]
	s_waitcnt vmcnt(62)
	global_store_dwordx2 v[27:28], v[107:108], off
	global_store_dwordx2 v[29:30], v[109:110], off
	s_waitcnt vmcnt(62)
	global_store_dwordx2 v[31:32], v[111:112], off
	s_waitcnt vmcnt(62)
	;; [unrolled: 2-line block ×25, first 2 shown]
	global_store_dwordx2 v[79:80], v[159:160], off
	s_endpgm
	.section	.rodata,"a",@progbits
	.p2align	6, 0x0
	.amdhsa_kernel _ZN9rocsolver6v33100L18getri_kernel_smallILi40E19rocblas_complex_numIfEPS3_EEvT1_iilPiilS6_bb
		.amdhsa_group_segment_fixed_size 644
		.amdhsa_private_segment_fixed_size 336
		.amdhsa_kernarg_size 60
		.amdhsa_user_sgpr_count 6
		.amdhsa_user_sgpr_private_segment_buffer 1
		.amdhsa_user_sgpr_dispatch_ptr 0
		.amdhsa_user_sgpr_queue_ptr 0
		.amdhsa_user_sgpr_kernarg_segment_ptr 1
		.amdhsa_user_sgpr_dispatch_id 0
		.amdhsa_user_sgpr_flat_scratch_init 0
		.amdhsa_user_sgpr_private_segment_size 0
		.amdhsa_uses_dynamic_stack 0
		.amdhsa_system_sgpr_private_segment_wavefront_offset 1
		.amdhsa_system_sgpr_workgroup_id_x 1
		.amdhsa_system_sgpr_workgroup_id_y 0
		.amdhsa_system_sgpr_workgroup_id_z 0
		.amdhsa_system_sgpr_workgroup_info 0
		.amdhsa_system_vgpr_workitem_id 0
		.amdhsa_next_free_vgpr 241
		.amdhsa_next_free_sgpr 24
		.amdhsa_reserve_vcc 1
		.amdhsa_reserve_flat_scratch 0
		.amdhsa_float_round_mode_32 0
		.amdhsa_float_round_mode_16_64 0
		.amdhsa_float_denorm_mode_32 3
		.amdhsa_float_denorm_mode_16_64 3
		.amdhsa_dx10_clamp 1
		.amdhsa_ieee_mode 1
		.amdhsa_fp16_overflow 0
		.amdhsa_exception_fp_ieee_invalid_op 0
		.amdhsa_exception_fp_denorm_src 0
		.amdhsa_exception_fp_ieee_div_zero 0
		.amdhsa_exception_fp_ieee_overflow 0
		.amdhsa_exception_fp_ieee_underflow 0
		.amdhsa_exception_fp_ieee_inexact 0
		.amdhsa_exception_int_div_zero 0
	.end_amdhsa_kernel
	.section	.text._ZN9rocsolver6v33100L18getri_kernel_smallILi40E19rocblas_complex_numIfEPS3_EEvT1_iilPiilS6_bb,"axG",@progbits,_ZN9rocsolver6v33100L18getri_kernel_smallILi40E19rocblas_complex_numIfEPS3_EEvT1_iilPiilS6_bb,comdat
.Lfunc_end39:
	.size	_ZN9rocsolver6v33100L18getri_kernel_smallILi40E19rocblas_complex_numIfEPS3_EEvT1_iilPiilS6_bb, .Lfunc_end39-_ZN9rocsolver6v33100L18getri_kernel_smallILi40E19rocblas_complex_numIfEPS3_EEvT1_iilPiilS6_bb
                                        ; -- End function
	.set _ZN9rocsolver6v33100L18getri_kernel_smallILi40E19rocblas_complex_numIfEPS3_EEvT1_iilPiilS6_bb.num_vgpr, 241
	.set _ZN9rocsolver6v33100L18getri_kernel_smallILi40E19rocblas_complex_numIfEPS3_EEvT1_iilPiilS6_bb.num_agpr, 0
	.set _ZN9rocsolver6v33100L18getri_kernel_smallILi40E19rocblas_complex_numIfEPS3_EEvT1_iilPiilS6_bb.numbered_sgpr, 24
	.set _ZN9rocsolver6v33100L18getri_kernel_smallILi40E19rocblas_complex_numIfEPS3_EEvT1_iilPiilS6_bb.num_named_barrier, 0
	.set _ZN9rocsolver6v33100L18getri_kernel_smallILi40E19rocblas_complex_numIfEPS3_EEvT1_iilPiilS6_bb.private_seg_size, 336
	.set _ZN9rocsolver6v33100L18getri_kernel_smallILi40E19rocblas_complex_numIfEPS3_EEvT1_iilPiilS6_bb.uses_vcc, 1
	.set _ZN9rocsolver6v33100L18getri_kernel_smallILi40E19rocblas_complex_numIfEPS3_EEvT1_iilPiilS6_bb.uses_flat_scratch, 0
	.set _ZN9rocsolver6v33100L18getri_kernel_smallILi40E19rocblas_complex_numIfEPS3_EEvT1_iilPiilS6_bb.has_dyn_sized_stack, 0
	.set _ZN9rocsolver6v33100L18getri_kernel_smallILi40E19rocblas_complex_numIfEPS3_EEvT1_iilPiilS6_bb.has_recursion, 0
	.set _ZN9rocsolver6v33100L18getri_kernel_smallILi40E19rocblas_complex_numIfEPS3_EEvT1_iilPiilS6_bb.has_indirect_call, 0
	.section	.AMDGPU.csdata,"",@progbits
; Kernel info:
; codeLenInByte = 63940
; TotalNumSgprs: 28
; NumVgprs: 241
; ScratchSize: 336
; MemoryBound: 0
; FloatMode: 240
; IeeeMode: 1
; LDSByteSize: 644 bytes/workgroup (compile time only)
; SGPRBlocks: 3
; VGPRBlocks: 60
; NumSGPRsForWavesPerEU: 28
; NumVGPRsForWavesPerEU: 241
; Occupancy: 1
; WaveLimiterHint : 1
; COMPUTE_PGM_RSRC2:SCRATCH_EN: 1
; COMPUTE_PGM_RSRC2:USER_SGPR: 6
; COMPUTE_PGM_RSRC2:TRAP_HANDLER: 0
; COMPUTE_PGM_RSRC2:TGID_X_EN: 1
; COMPUTE_PGM_RSRC2:TGID_Y_EN: 0
; COMPUTE_PGM_RSRC2:TGID_Z_EN: 0
; COMPUTE_PGM_RSRC2:TIDIG_COMP_CNT: 0
	.section	.text._ZN9rocsolver6v33100L18getri_kernel_smallILi41E19rocblas_complex_numIfEPS3_EEvT1_iilPiilS6_bb,"axG",@progbits,_ZN9rocsolver6v33100L18getri_kernel_smallILi41E19rocblas_complex_numIfEPS3_EEvT1_iilPiilS6_bb,comdat
	.globl	_ZN9rocsolver6v33100L18getri_kernel_smallILi41E19rocblas_complex_numIfEPS3_EEvT1_iilPiilS6_bb ; -- Begin function _ZN9rocsolver6v33100L18getri_kernel_smallILi41E19rocblas_complex_numIfEPS3_EEvT1_iilPiilS6_bb
	.p2align	8
	.type	_ZN9rocsolver6v33100L18getri_kernel_smallILi41E19rocblas_complex_numIfEPS3_EEvT1_iilPiilS6_bb,@function
_ZN9rocsolver6v33100L18getri_kernel_smallILi41E19rocblas_complex_numIfEPS3_EEvT1_iilPiilS6_bb: ; @_ZN9rocsolver6v33100L18getri_kernel_smallILi41E19rocblas_complex_numIfEPS3_EEvT1_iilPiilS6_bb
; %bb.0:
	s_add_u32 s0, s0, s7
	s_addc_u32 s1, s1, 0
	v_cmp_gt_u32_e32 vcc, 41, v0
	s_and_saveexec_b64 s[8:9], vcc
	s_cbranch_execz .LBB40_178
; %bb.1:
	s_load_dword s12, s[4:5], 0x38
	s_load_dwordx4 s[16:19], s[4:5], 0x10
	s_load_dwordx4 s[8:11], s[4:5], 0x28
                                        ; implicit-def: $sgpr20_sgpr21
	s_waitcnt lgkmcnt(0)
	s_bitcmp1_b32 s12, 8
	s_cselect_b64 s[22:23], -1, 0
	s_ashr_i32 s7, s6, 31
	s_bfe_u32 s12, s12, 0x10008
	s_cmp_eq_u32 s12, 0
	s_cbranch_scc1 .LBB40_3
; %bb.2:
	s_load_dword s12, s[4:5], 0x20
	s_mul_i32 s13, s8, s7
	s_mul_hi_u32 s14, s8, s6
	s_mul_i32 s9, s9, s6
	s_add_i32 s14, s14, s13
	s_add_i32 s9, s14, s9
	s_mul_i32 s8, s8, s6
	s_waitcnt lgkmcnt(0)
	s_ashr_i32 s13, s12, 31
	s_lshl_b64 s[8:9], s[8:9], 2
	s_add_u32 s14, s18, s8
	s_addc_u32 s15, s19, s9
	s_lshl_b64 s[8:9], s[12:13], 2
	s_add_u32 s20, s14, s8
	s_addc_u32 s21, s15, s9
.LBB40_3:
	s_load_dwordx4 s[12:15], s[4:5], 0x0
	s_load_dword s8, s[4:5], 0x38
	s_mul_i32 s9, s16, s7
	s_mul_hi_u32 s18, s16, s6
	s_add_i32 s9, s18, s9
	s_waitcnt lgkmcnt(0)
	s_ashr_i32 s5, s14, 31
	s_mov_b32 s4, s14
	s_mul_i32 s14, s17, s6
	s_add_i32 s17, s9, s14
	s_mul_i32 s16, s16, s6
	s_lshl_b64 s[16:17], s[16:17], 3
	s_add_u32 s9, s12, s16
	s_addc_u32 s12, s13, s17
	s_lshl_b64 s[4:5], s[4:5], 3
	s_add_u32 s4, s9, s4
	s_addc_u32 s5, s12, s5
	s_add_i32 s9, s15, s15
	v_add_u32_e32 v3, s9, v0
	v_ashrrev_i32_e32 v4, 31, v3
	v_lshlrev_b64 v[1:2], 3, v[3:4]
	v_add_u32_e32 v5, s15, v3
	v_mov_b32_e32 v4, s5
	v_add_co_u32_e32 v1, vcc, s4, v1
	v_ashrrev_i32_e32 v6, 31, v5
	v_addc_co_u32_e32 v2, vcc, v4, v2, vcc
	v_lshlrev_b64 v[3:4], 3, v[5:6]
	v_add_u32_e32 v7, s15, v5
	v_mov_b32_e32 v6, s5
	v_add_co_u32_e32 v3, vcc, s4, v3
	v_ashrrev_i32_e32 v8, 31, v7
	v_addc_co_u32_e32 v4, vcc, v6, v4, vcc
	;; [unrolled: 6-line block ×8, first 2 shown]
	v_lshlrev_b64 v[17:18], 3, v[19:20]
	v_mov_b32_e32 v21, s5
	v_add_co_u32_e32 v17, vcc, s4, v17
	v_addc_co_u32_e32 v18, vcc, v21, v18, vcc
	v_add_u32_e32 v21, s15, v19
	v_ashrrev_i32_e32 v22, 31, v21
	v_lshlrev_b64 v[19:20], 3, v[21:22]
	v_mov_b32_e32 v23, s5
	v_add_co_u32_e32 v19, vcc, s4, v19
	v_addc_co_u32_e32 v20, vcc, v23, v20, vcc
	v_add_u32_e32 v23, s15, v21
	v_ashrrev_i32_e32 v24, 31, v23
	;; [unrolled: 6-line block ×25, first 2 shown]
	v_lshlrev_b64 v[67:68], 3, v[69:70]
	v_mov_b32_e32 v71, s5
	v_add_co_u32_e32 v67, vcc, s4, v67
	v_addc_co_u32_e32 v68, vcc, v71, v68, vcc
	v_lshlrev_b32_e32 v85, 3, v0
	v_add_u32_e32 v75, s15, v69
	v_mov_b32_e32 v69, s5
	v_add_co_u32_e32 v71, vcc, s4, v85
	s_ashr_i32 s13, s15, 31
	s_mov_b32 s12, s15
	v_addc_co_u32_e32 v72, vcc, 0, v69, vcc
	s_lshl_b64 s[12:13], s[12:13], 3
	v_ashrrev_i32_e32 v76, 31, v75
	v_mov_b32_e32 v69, s13
	v_add_co_u32_e32 v73, vcc, s12, v71
	v_addc_co_u32_e32 v74, vcc, v72, v69, vcc
	v_lshlrev_b64 v[69:70], 3, v[75:76]
	v_mov_b32_e32 v77, s5
	v_add_co_u32_e32 v69, vcc, s4, v69
	v_addc_co_u32_e32 v70, vcc, v77, v70, vcc
	v_add_u32_e32 v77, s15, v75
	v_ashrrev_i32_e32 v78, 31, v77
	v_lshlrev_b64 v[75:76], 3, v[77:78]
	v_mov_b32_e32 v79, s5
	v_add_co_u32_e32 v75, vcc, s4, v75
	v_addc_co_u32_e32 v76, vcc, v79, v76, vcc
	v_add_u32_e32 v79, s15, v77
	v_ashrrev_i32_e32 v80, 31, v79
	v_lshlrev_b64 v[77:78], 3, v[79:80]
	v_mov_b32_e32 v81, s5
	v_add_co_u32_e32 v77, vcc, s4, v77
	v_addc_co_u32_e32 v78, vcc, v81, v78, vcc
	v_add_u32_e32 v81, s15, v79
	v_ashrrev_i32_e32 v82, 31, v81
	v_lshlrev_b64 v[79:80], 3, v[81:82]
	v_mov_b32_e32 v146, s5
	v_add_co_u32_e32 v79, vcc, s4, v79
	global_load_dwordx2 v[83:84], v85, s[4:5]
	global_load_dwordx2 v[86:87], v[73:74], off
	global_load_dwordx2 v[88:89], v[1:2], off
	;; [unrolled: 1-line block ×30, first 2 shown]
	v_addc_co_u32_e32 v80, vcc, v146, v80, vcc
	global_load_dwordx2 v[146:147], v[59:60], off
	global_load_dwordx2 v[148:149], v[61:62], off
	;; [unrolled: 1-line block ×8, first 2 shown]
	v_add_u32_e32 v81, s15, v81
	v_ashrrev_i32_e32 v82, 31, v81
	v_lshlrev_b64 v[81:82], 3, v[81:82]
	v_mov_b32_e32 v162, s5
	v_add_co_u32_e32 v81, vcc, s4, v81
	v_addc_co_u32_e32 v82, vcc, v162, v82, vcc
	global_load_dwordx2 v[162:163], v[79:80], off
	global_load_dwordx2 v[164:165], v[81:82], off
	s_bitcmp0_b32 s8, 0
	s_mov_b64 s[8:9], -1
	s_waitcnt vmcnt(40)
	buffer_store_dword v84, off, s[0:3], 0 offset:4
	buffer_store_dword v83, off, s[0:3], 0
	s_waitcnt vmcnt(41)
	buffer_store_dword v87, off, s[0:3], 0 offset:12
	buffer_store_dword v86, off, s[0:3], 0 offset:8
	s_waitcnt vmcnt(42)
	buffer_store_dword v89, off, s[0:3], 0 offset:20
	buffer_store_dword v88, off, s[0:3], 0 offset:16
	;; [unrolled: 3-line block ×23, first 2 shown]
	buffer_store_dword v132, off, s[0:3], 0 offset:192
	buffer_store_dword v133, off, s[0:3], 0 offset:196
	s_waitcnt vmcnt(62)
	buffer_store_dword v135, off, s[0:3], 0 offset:204
	buffer_store_dword v134, off, s[0:3], 0 offset:200
	;; [unrolled: 1-line block ×8, first 2 shown]
	s_waitcnt vmcnt(62)
	buffer_store_dword v142, off, s[0:3], 0 offset:232
	buffer_store_dword v143, off, s[0:3], 0 offset:236
	;; [unrolled: 1-line block ×16, first 2 shown]
	s_waitcnt vmcnt(62)
	buffer_store_dword v159, off, s[0:3], 0 offset:300
	buffer_store_dword v158, off, s[0:3], 0 offset:296
	;; [unrolled: 1-line block ×8, first 2 shown]
	s_cbranch_scc1 .LBB40_176
; %bb.4:
	v_cmp_eq_u32_e64 s[4:5], 0, v0
	s_and_saveexec_b64 s[8:9], s[4:5]
; %bb.5:
	v_mov_b32_e32 v83, 0
	ds_write_b32 v83, v83 offset:328
; %bb.6:
	s_or_b64 exec, exec, s[8:9]
	v_mov_b32_e32 v83, 0
	v_lshl_add_u32 v87, v0, 3, v83
	s_waitcnt lgkmcnt(0)
	; wave barrier
	buffer_load_dword v83, v87, s[0:3], 0 offen
	buffer_load_dword v84, v87, s[0:3], 0 offen offset:4
	s_waitcnt vmcnt(1)
	v_cmp_eq_f32_e32 vcc, 0, v83
	s_waitcnt vmcnt(0)
	v_cmp_eq_f32_e64 s[8:9], 0, v84
	s_and_b64 s[8:9], vcc, s[8:9]
	s_and_saveexec_b64 s[12:13], s[8:9]
	s_cbranch_execz .LBB40_10
; %bb.7:
	v_mov_b32_e32 v83, 0
	ds_read_b32 v86, v83 offset:328
	v_add_u32_e32 v84, 1, v0
	s_waitcnt lgkmcnt(0)
	v_readfirstlane_b32 s8, v86
	s_cmp_eq_u32 s8, 0
	s_cselect_b64 s[14:15], -1, 0
	v_cmp_gt_i32_e32 vcc, s8, v84
	s_or_b64 s[14:15], s[14:15], vcc
	s_and_b64 exec, exec, s[14:15]
	s_cbranch_execz .LBB40_10
; %bb.8:
	s_mov_b64 s[14:15], 0
	v_mov_b32_e32 v86, s8
.LBB40_9:                               ; =>This Inner Loop Header: Depth=1
	ds_cmpst_rtn_b32 v86, v83, v86, v84 offset:328
	s_waitcnt lgkmcnt(0)
	v_cmp_ne_u32_e32 vcc, 0, v86
	v_cmp_le_i32_e64 s[8:9], v86, v84
	s_and_b64 s[8:9], vcc, s[8:9]
	s_and_b64 s[8:9], exec, s[8:9]
	s_or_b64 s[14:15], s[8:9], s[14:15]
	s_andn2_b64 exec, exec, s[14:15]
	s_cbranch_execnz .LBB40_9
.LBB40_10:
	s_or_b64 exec, exec, s[12:13]
	v_mov_b32_e32 v84, 0
	; wave barrier
	ds_read_b32 v83, v84 offset:328
	s_and_saveexec_b64 s[8:9], s[4:5]
	s_cbranch_execz .LBB40_12
; %bb.11:
	s_lshl_b64 s[12:13], s[6:7], 2
	s_add_u32 s12, s10, s12
	s_addc_u32 s13, s11, s13
	s_waitcnt lgkmcnt(0)
	global_store_dword v84, v83, s[12:13]
.LBB40_12:
	s_or_b64 exec, exec, s[8:9]
	s_waitcnt lgkmcnt(0)
	v_cmp_ne_u32_e32 vcc, 0, v83
	s_mov_b64 s[8:9], 0
	s_cbranch_vccnz .LBB40_176
; %bb.13:
	buffer_load_dword v84, v87, s[0:3], 0 offen
	buffer_load_dword v86, v87, s[0:3], 0 offen offset:4
                                        ; implicit-def: $vgpr89
                                        ; implicit-def: $vgpr88
                                        ; implicit-def: $vgpr83
	s_waitcnt vmcnt(0)
	v_cmp_ngt_f32_e64 s[8:9], |v84|, |v86|
	s_and_saveexec_b64 s[12:13], s[8:9]
	s_xor_b64 s[8:9], exec, s[12:13]
	s_cbranch_execz .LBB40_15
; %bb.14:
	v_div_scale_f32 v83, s[12:13], v86, v86, v84
	v_div_scale_f32 v88, vcc, v84, v86, v84
	v_rcp_f32_e32 v89, v83
	v_fma_f32 v90, -v83, v89, 1.0
	v_fmac_f32_e32 v89, v90, v89
	v_mul_f32_e32 v90, v88, v89
	v_fma_f32 v91, -v83, v90, v88
	v_fmac_f32_e32 v90, v91, v89
	v_fma_f32 v83, -v83, v90, v88
	v_div_fmas_f32 v83, v83, v89, v90
	v_div_fixup_f32 v83, v83, v86, v84
	v_fmac_f32_e32 v86, v84, v83
	v_div_scale_f32 v84, s[12:13], v86, v86, 1.0
	v_div_scale_f32 v88, vcc, 1.0, v86, 1.0
	v_rcp_f32_e32 v89, v84
	v_fma_f32 v90, -v84, v89, 1.0
	v_fmac_f32_e32 v89, v90, v89
	v_mul_f32_e32 v90, v88, v89
	v_fma_f32 v91, -v84, v90, v88
	v_fmac_f32_e32 v90, v91, v89
	v_fma_f32 v84, -v84, v90, v88
	v_div_fmas_f32 v84, v84, v89, v90
	v_div_fixup_f32 v84, v84, v86, 1.0
	v_mul_f32_e32 v89, v83, v84
	v_xor_b32_e32 v88, 0x80000000, v84
	v_xor_b32_e32 v83, 0x80000000, v89
                                        ; implicit-def: $vgpr84
                                        ; implicit-def: $vgpr86
.LBB40_15:
	s_andn2_saveexec_b64 s[8:9], s[8:9]
	s_cbranch_execz .LBB40_17
; %bb.16:
	v_div_scale_f32 v83, s[12:13], v84, v84, v86
	v_div_scale_f32 v88, vcc, v86, v84, v86
	v_rcp_f32_e32 v89, v83
	v_fma_f32 v90, -v83, v89, 1.0
	v_fmac_f32_e32 v89, v90, v89
	v_mul_f32_e32 v90, v88, v89
	v_fma_f32 v91, -v83, v90, v88
	v_fmac_f32_e32 v90, v91, v89
	v_fma_f32 v83, -v83, v90, v88
	v_div_fmas_f32 v83, v83, v89, v90
	v_div_fixup_f32 v88, v83, v84, v86
	v_fmac_f32_e32 v84, v86, v88
	v_div_scale_f32 v83, s[12:13], v84, v84, 1.0
	v_div_scale_f32 v86, vcc, 1.0, v84, 1.0
	v_rcp_f32_e32 v89, v83
	v_fma_f32 v90, -v83, v89, 1.0
	v_fmac_f32_e32 v89, v90, v89
	v_mul_f32_e32 v90, v86, v89
	v_fma_f32 v91, -v83, v90, v86
	v_fmac_f32_e32 v90, v91, v89
	v_fma_f32 v83, -v83, v90, v86
	v_div_fmas_f32 v83, v83, v89, v90
	v_div_fixup_f32 v89, v83, v84, 1.0
	v_xor_b32_e32 v83, 0x80000000, v89
	v_mul_f32_e64 v88, v88, -v89
.LBB40_17:
	s_or_b64 exec, exec, s[8:9]
	buffer_store_dword v89, v87, s[0:3], 0 offen
	buffer_store_dword v88, v87, s[0:3], 0 offen offset:4
	buffer_load_dword v90, off, s[0:3], 0 offset:12
	s_nop 0
	buffer_load_dword v89, off, s[0:3], 0 offset:8
	v_xor_b32_e32 v84, 0x80000000, v88
	v_add_u32_e32 v86, 0x150, v85
	s_waitcnt vmcnt(0)
	ds_write2_b64 v85, v[83:84], v[89:90] offset1:42
	s_waitcnt lgkmcnt(0)
	; wave barrier
	s_and_saveexec_b64 s[8:9], s[4:5]
	s_cbranch_execz .LBB40_19
; %bb.18:
	buffer_load_dword v90, v87, s[0:3], 0 offen offset:4
	buffer_load_dword v91, v87, s[0:3], 0 offen
	ds_read_b64 v[83:84], v86
	v_mov_b32_e32 v88, 0
	ds_read_b64 v[88:89], v88 offset:8
	s_waitcnt vmcnt(1) lgkmcnt(1)
	v_mul_f32_e32 v92, v84, v90
	v_mul_f32_e32 v90, v83, v90
	s_waitcnt vmcnt(0)
	v_fmac_f32_e32 v90, v84, v91
	v_fma_f32 v83, v83, v91, -v92
	v_add_f32_e32 v84, 0, v90
	v_add_f32_e32 v83, 0, v83
	s_waitcnt lgkmcnt(0)
	v_mul_f32_e32 v90, v84, v89
	v_mul_f32_e32 v89, v83, v89
	v_fma_f32 v83, v83, v88, -v90
	v_fmac_f32_e32 v89, v84, v88
	buffer_store_dword v83, off, s[0:3], 0 offset:8
	buffer_store_dword v89, off, s[0:3], 0 offset:12
.LBB40_19:
	s_or_b64 exec, exec, s[8:9]
	; wave barrier
	buffer_load_dword v83, off, s[0:3], 0 offset:16
	buffer_load_dword v84, off, s[0:3], 0 offset:20
	v_cmp_gt_u32_e32 vcc, 2, v0
	s_waitcnt vmcnt(0)
	ds_write_b64 v86, v[83:84]
	s_waitcnt lgkmcnt(0)
	; wave barrier
	s_and_saveexec_b64 s[8:9], vcc
	s_cbranch_execz .LBB40_23
; %bb.20:
	buffer_load_dword v88, v87, s[0:3], 0 offen offset:4
	buffer_load_dword v89, v87, s[0:3], 0 offen
	ds_read_b64 v[83:84], v86
	s_waitcnt vmcnt(1) lgkmcnt(0)
	v_mul_f32_e32 v87, v84, v88
	v_mul_f32_e32 v88, v83, v88
	s_waitcnt vmcnt(0)
	v_fma_f32 v83, v83, v89, -v87
	v_fmac_f32_e32 v88, v84, v89
	v_add_f32_e32 v84, 0, v83
	v_add_f32_e32 v83, 0, v88
	s_and_saveexec_b64 s[12:13], s[4:5]
	s_cbranch_execz .LBB40_22
; %bb.21:
	buffer_load_dword v89, off, s[0:3], 0 offset:12
	buffer_load_dword v90, off, s[0:3], 0 offset:8
	v_mov_b32_e32 v87, 0
	ds_read_b64 v[87:88], v87 offset:344
	s_waitcnt vmcnt(1) lgkmcnt(0)
	v_mul_f32_e32 v91, v87, v89
	v_mul_f32_e32 v89, v88, v89
	s_waitcnt vmcnt(0)
	v_fmac_f32_e32 v91, v88, v90
	v_fma_f32 v87, v87, v90, -v89
	v_add_f32_e32 v83, v83, v91
	v_add_f32_e32 v84, v84, v87
.LBB40_22:
	s_or_b64 exec, exec, s[12:13]
	v_mov_b32_e32 v87, 0
	ds_read_b64 v[87:88], v87 offset:16
	s_waitcnt lgkmcnt(0)
	v_mul_f32_e32 v89, v83, v88
	v_mul_f32_e32 v88, v84, v88
	v_fma_f32 v84, v84, v87, -v89
	v_fmac_f32_e32 v88, v83, v87
	buffer_store_dword v84, off, s[0:3], 0 offset:16
	buffer_store_dword v88, off, s[0:3], 0 offset:20
.LBB40_23:
	s_or_b64 exec, exec, s[8:9]
	; wave barrier
	buffer_load_dword v83, off, s[0:3], 0 offset:24
	buffer_load_dword v84, off, s[0:3], 0 offset:28
	v_cmp_gt_u32_e32 vcc, 3, v0
	s_waitcnt vmcnt(0)
	ds_write_b64 v86, v[83:84]
	v_add_u32_e32 v83, -1, v0
	s_waitcnt lgkmcnt(0)
	; wave barrier
	s_and_saveexec_b64 s[4:5], vcc
	s_cbranch_execz .LBB40_27
; %bb.24:
	v_add_u32_e32 v87, -1, v0
	v_add_u32_e32 v88, 0x150, v85
	v_mov_b32_e32 v89, v85
	v_mov_b32_e32 v84, 0
	s_mov_b64 s[8:9], 0
	v_mov_b32_e32 v90, 0
.LBB40_25:                              ; =>This Inner Loop Header: Depth=1
	buffer_load_dword v93, v89, s[0:3], 0 offen offset:4
	buffer_load_dword v94, v89, s[0:3], 0 offen
	ds_read_b64 v[91:92], v88
	v_add_u32_e32 v87, 1, v87
	v_cmp_lt_u32_e32 vcc, 1, v87
	v_add_u32_e32 v88, 8, v88
	v_add_u32_e32 v89, 8, v89
	s_or_b64 s[8:9], vcc, s[8:9]
	s_waitcnt vmcnt(1) lgkmcnt(0)
	v_mul_f32_e32 v95, v92, v93
	v_mul_f32_e32 v93, v91, v93
	s_waitcnt vmcnt(0)
	v_fma_f32 v91, v91, v94, -v95
	v_fmac_f32_e32 v93, v92, v94
	v_add_f32_e32 v90, v90, v91
	v_add_f32_e32 v84, v84, v93
	s_andn2_b64 exec, exec, s[8:9]
	s_cbranch_execnz .LBB40_25
; %bb.26:
	s_or_b64 exec, exec, s[8:9]
	v_mov_b32_e32 v87, 0
	ds_read_b64 v[87:88], v87 offset:24
	s_waitcnt lgkmcnt(0)
	v_mul_f32_e32 v89, v84, v88
	v_mul_f32_e32 v88, v90, v88
	v_fma_f32 v89, v90, v87, -v89
	v_fmac_f32_e32 v88, v84, v87
	buffer_store_dword v89, off, s[0:3], 0 offset:24
	buffer_store_dword v88, off, s[0:3], 0 offset:28
.LBB40_27:
	s_or_b64 exec, exec, s[4:5]
	; wave barrier
	buffer_load_dword v87, off, s[0:3], 0 offset:32
	buffer_load_dword v88, off, s[0:3], 0 offset:36
	v_cmp_gt_u32_e32 vcc, 4, v0
	s_waitcnt vmcnt(0)
	ds_write_b64 v86, v[87:88]
	s_waitcnt lgkmcnt(0)
	; wave barrier
	s_and_saveexec_b64 s[4:5], vcc
	s_cbranch_execz .LBB40_31
; %bb.28:
	v_add_u32_e32 v87, -1, v0
	v_add_u32_e32 v88, 0x150, v85
	v_mov_b32_e32 v89, v85
	v_mov_b32_e32 v84, 0
	s_mov_b64 s[8:9], 0
	v_mov_b32_e32 v90, 0
.LBB40_29:                              ; =>This Inner Loop Header: Depth=1
	buffer_load_dword v93, v89, s[0:3], 0 offen offset:4
	buffer_load_dword v94, v89, s[0:3], 0 offen
	ds_read_b64 v[91:92], v88
	v_add_u32_e32 v87, 1, v87
	v_cmp_lt_u32_e32 vcc, 2, v87
	v_add_u32_e32 v88, 8, v88
	v_add_u32_e32 v89, 8, v89
	s_or_b64 s[8:9], vcc, s[8:9]
	s_waitcnt vmcnt(1) lgkmcnt(0)
	v_mul_f32_e32 v95, v92, v93
	v_mul_f32_e32 v93, v91, v93
	s_waitcnt vmcnt(0)
	v_fma_f32 v91, v91, v94, -v95
	v_fmac_f32_e32 v93, v92, v94
	v_add_f32_e32 v90, v90, v91
	v_add_f32_e32 v84, v84, v93
	s_andn2_b64 exec, exec, s[8:9]
	s_cbranch_execnz .LBB40_29
; %bb.30:
	s_or_b64 exec, exec, s[8:9]
	v_mov_b32_e32 v87, 0
	ds_read_b64 v[87:88], v87 offset:32
	s_waitcnt lgkmcnt(0)
	v_mul_f32_e32 v89, v84, v88
	v_mul_f32_e32 v88, v90, v88
	v_fma_f32 v89, v90, v87, -v89
	v_fmac_f32_e32 v88, v84, v87
	buffer_store_dword v89, off, s[0:3], 0 offset:32
	buffer_store_dword v88, off, s[0:3], 0 offset:36
.LBB40_31:
	s_or_b64 exec, exec, s[4:5]
	; wave barrier
	buffer_load_dword v87, off, s[0:3], 0 offset:40
	buffer_load_dword v88, off, s[0:3], 0 offset:44
	v_cmp_gt_u32_e32 vcc, 5, v0
	s_waitcnt vmcnt(0)
	ds_write_b64 v86, v[87:88]
	;; [unrolled: 49-line block ×19, first 2 shown]
	s_waitcnt lgkmcnt(0)
	; wave barrier
	s_and_saveexec_b64 s[4:5], vcc
	s_cbranch_execz .LBB40_103
; %bb.100:
	v_add_u32_e32 v87, -1, v0
	v_add_u32_e32 v88, 0x150, v85
	v_mov_b32_e32 v89, v85
	v_mov_b32_e32 v84, 0
	s_mov_b64 s[8:9], 0
	v_mov_b32_e32 v90, 0
.LBB40_101:                             ; =>This Inner Loop Header: Depth=1
	buffer_load_dword v93, v89, s[0:3], 0 offen offset:4
	buffer_load_dword v94, v89, s[0:3], 0 offen
	ds_read_b64 v[91:92], v88
	v_add_u32_e32 v87, 1, v87
	v_cmp_lt_u32_e32 vcc, 20, v87
	v_add_u32_e32 v88, 8, v88
	v_add_u32_e32 v89, 8, v89
	s_or_b64 s[8:9], vcc, s[8:9]
	s_waitcnt vmcnt(1) lgkmcnt(0)
	v_mul_f32_e32 v95, v92, v93
	v_mul_f32_e32 v93, v91, v93
	s_waitcnt vmcnt(0)
	v_fma_f32 v91, v91, v94, -v95
	v_fmac_f32_e32 v93, v92, v94
	v_add_f32_e32 v90, v90, v91
	v_add_f32_e32 v84, v84, v93
	s_andn2_b64 exec, exec, s[8:9]
	s_cbranch_execnz .LBB40_101
; %bb.102:
	s_or_b64 exec, exec, s[8:9]
	v_mov_b32_e32 v87, 0
	ds_read_b64 v[87:88], v87 offset:176
	s_waitcnt lgkmcnt(0)
	v_mul_f32_e32 v89, v84, v88
	v_mul_f32_e32 v88, v90, v88
	v_fma_f32 v89, v90, v87, -v89
	v_fmac_f32_e32 v88, v84, v87
	buffer_store_dword v89, off, s[0:3], 0 offset:176
	buffer_store_dword v88, off, s[0:3], 0 offset:180
.LBB40_103:
	s_or_b64 exec, exec, s[4:5]
	; wave barrier
	buffer_load_dword v87, off, s[0:3], 0 offset:184
	buffer_load_dword v88, off, s[0:3], 0 offset:188
	v_cmp_gt_u32_e32 vcc, 23, v0
	s_waitcnt vmcnt(0)
	ds_write_b64 v86, v[87:88]
	s_waitcnt lgkmcnt(0)
	; wave barrier
	s_and_saveexec_b64 s[4:5], vcc
	s_cbranch_execz .LBB40_107
; %bb.104:
	v_add_u32_e32 v87, -1, v0
	v_add_u32_e32 v88, 0x150, v85
	v_mov_b32_e32 v89, v85
	v_mov_b32_e32 v84, 0
	s_mov_b64 s[8:9], 0
	v_mov_b32_e32 v90, 0
.LBB40_105:                             ; =>This Inner Loop Header: Depth=1
	buffer_load_dword v93, v89, s[0:3], 0 offen offset:4
	buffer_load_dword v94, v89, s[0:3], 0 offen
	ds_read_b64 v[91:92], v88
	v_add_u32_e32 v87, 1, v87
	v_cmp_lt_u32_e32 vcc, 21, v87
	v_add_u32_e32 v88, 8, v88
	v_add_u32_e32 v89, 8, v89
	s_or_b64 s[8:9], vcc, s[8:9]
	s_waitcnt vmcnt(1) lgkmcnt(0)
	v_mul_f32_e32 v95, v92, v93
	v_mul_f32_e32 v93, v91, v93
	s_waitcnt vmcnt(0)
	v_fma_f32 v91, v91, v94, -v95
	v_fmac_f32_e32 v93, v92, v94
	v_add_f32_e32 v90, v90, v91
	v_add_f32_e32 v84, v84, v93
	s_andn2_b64 exec, exec, s[8:9]
	s_cbranch_execnz .LBB40_105
; %bb.106:
	s_or_b64 exec, exec, s[8:9]
	v_mov_b32_e32 v87, 0
	ds_read_b64 v[87:88], v87 offset:184
	s_waitcnt lgkmcnt(0)
	v_mul_f32_e32 v89, v84, v88
	v_mul_f32_e32 v88, v90, v88
	v_fma_f32 v89, v90, v87, -v89
	v_fmac_f32_e32 v88, v84, v87
	buffer_store_dword v89, off, s[0:3], 0 offset:184
	buffer_store_dword v88, off, s[0:3], 0 offset:188
.LBB40_107:
	s_or_b64 exec, exec, s[4:5]
	; wave barrier
	buffer_load_dword v87, off, s[0:3], 0 offset:192
	buffer_load_dword v88, off, s[0:3], 0 offset:196
	v_cmp_gt_u32_e32 vcc, 24, v0
	s_waitcnt vmcnt(0)
	ds_write_b64 v86, v[87:88]
	;; [unrolled: 49-line block ×17, first 2 shown]
	s_waitcnt lgkmcnt(0)
	; wave barrier
	s_and_saveexec_b64 s[4:5], vcc
	s_cbranch_execz .LBB40_171
; %bb.168:
	v_add_u32_e32 v87, -1, v0
	v_add_u32_e32 v88, 0x150, v85
	v_mov_b32_e32 v89, v85
	v_mov_b32_e32 v84, 0
	s_mov_b64 s[8:9], 0
	v_mov_b32_e32 v90, 0
.LBB40_169:                             ; =>This Inner Loop Header: Depth=1
	buffer_load_dword v93, v89, s[0:3], 0 offen offset:4
	buffer_load_dword v94, v89, s[0:3], 0 offen
	ds_read_b64 v[91:92], v88
	v_add_u32_e32 v87, 1, v87
	v_cmp_lt_u32_e32 vcc, 37, v87
	v_add_u32_e32 v88, 8, v88
	v_add_u32_e32 v89, 8, v89
	s_or_b64 s[8:9], vcc, s[8:9]
	s_waitcnt vmcnt(1) lgkmcnt(0)
	v_mul_f32_e32 v95, v92, v93
	v_mul_f32_e32 v93, v91, v93
	s_waitcnt vmcnt(0)
	v_fma_f32 v91, v91, v94, -v95
	v_fmac_f32_e32 v93, v92, v94
	v_add_f32_e32 v90, v90, v91
	v_add_f32_e32 v84, v84, v93
	s_andn2_b64 exec, exec, s[8:9]
	s_cbranch_execnz .LBB40_169
; %bb.170:
	s_or_b64 exec, exec, s[8:9]
	v_mov_b32_e32 v87, 0
	ds_read_b64 v[87:88], v87 offset:312
	s_waitcnt lgkmcnt(0)
	v_mul_f32_e32 v89, v84, v88
	v_mul_f32_e32 v88, v90, v88
	v_fma_f32 v89, v90, v87, -v89
	v_fmac_f32_e32 v88, v84, v87
	buffer_store_dword v89, off, s[0:3], 0 offset:312
	buffer_store_dword v88, off, s[0:3], 0 offset:316
.LBB40_171:
	s_or_b64 exec, exec, s[4:5]
	; wave barrier
	buffer_load_dword v87, off, s[0:3], 0 offset:320
	buffer_load_dword v88, off, s[0:3], 0 offset:324
	v_cmp_ne_u32_e32 vcc, 40, v0
	s_waitcnt vmcnt(0)
	ds_write_b64 v86, v[87:88]
	s_waitcnt lgkmcnt(0)
	; wave barrier
	s_and_saveexec_b64 s[4:5], vcc
	s_cbranch_execz .LBB40_175
; %bb.172:
	v_add_u32_e32 v86, 0x150, v85
	v_mov_b32_e32 v84, 0
	s_mov_b64 s[8:9], 0
	v_mov_b32_e32 v87, 0
.LBB40_173:                             ; =>This Inner Loop Header: Depth=1
	buffer_load_dword v90, v85, s[0:3], 0 offen offset:4
	buffer_load_dword v91, v85, s[0:3], 0 offen
	ds_read_b64 v[88:89], v86
	v_add_u32_e32 v83, 1, v83
	v_cmp_lt_u32_e32 vcc, 38, v83
	v_add_u32_e32 v86, 8, v86
	v_add_u32_e32 v85, 8, v85
	s_or_b64 s[8:9], vcc, s[8:9]
	s_waitcnt vmcnt(1) lgkmcnt(0)
	v_mul_f32_e32 v92, v89, v90
	v_mul_f32_e32 v90, v88, v90
	s_waitcnt vmcnt(0)
	v_fma_f32 v88, v88, v91, -v92
	v_fmac_f32_e32 v90, v89, v91
	v_add_f32_e32 v87, v87, v88
	v_add_f32_e32 v84, v84, v90
	s_andn2_b64 exec, exec, s[8:9]
	s_cbranch_execnz .LBB40_173
; %bb.174:
	s_or_b64 exec, exec, s[8:9]
	v_mov_b32_e32 v83, 0
	ds_read_b64 v[85:86], v83 offset:320
	s_waitcnt lgkmcnt(0)
	v_mul_f32_e32 v83, v84, v86
	v_mul_f32_e32 v86, v87, v86
	v_fma_f32 v83, v87, v85, -v83
	v_fmac_f32_e32 v86, v84, v85
	buffer_store_dword v83, off, s[0:3], 0 offset:320
	buffer_store_dword v86, off, s[0:3], 0 offset:324
.LBB40_175:
	s_or_b64 exec, exec, s[4:5]
	s_mov_b64 s[8:9], -1
	; wave barrier
.LBB40_176:
	s_and_b64 vcc, exec, s[8:9]
	s_cbranch_vccz .LBB40_178
; %bb.177:
	s_lshl_b64 s[4:5], s[6:7], 2
	s_add_u32 s4, s10, s4
	s_addc_u32 s5, s11, s5
	v_mov_b32_e32 v83, 0
	global_load_dword v83, v83, s[4:5]
	s_waitcnt vmcnt(0)
	v_cmp_ne_u32_e32 vcc, 0, v83
	s_cbranch_vccz .LBB40_179
.LBB40_178:
	s_endpgm
.LBB40_179:
	v_mov_b32_e32 v83, 0x150
	v_lshl_add_u32 v83, v0, 3, v83
	v_cmp_eq_u32_e32 vcc, 40, v0
	s_and_saveexec_b64 s[4:5], vcc
	s_cbranch_execz .LBB40_181
; %bb.180:
	buffer_load_dword v84, off, s[0:3], 0 offset:312
	buffer_load_dword v85, off, s[0:3], 0 offset:316
	v_mov_b32_e32 v86, 0
	buffer_store_dword v86, off, s[0:3], 0 offset:312
	buffer_store_dword v86, off, s[0:3], 0 offset:316
	s_waitcnt vmcnt(2)
	ds_write_b64 v83, v[84:85]
.LBB40_181:
	s_or_b64 exec, exec, s[4:5]
	s_waitcnt lgkmcnt(0)
	; wave barrier
	buffer_load_dword v87, off, s[0:3], 0 offset:324
	buffer_load_dword v88, off, s[0:3], 0 offset:320
	;; [unrolled: 1-line block ×4, first 2 shown]
	v_mov_b32_e32 v84, 0
	ds_read_b64 v[85:86], v84 offset:656
	v_cmp_lt_u32_e32 vcc, 38, v0
	s_waitcnt vmcnt(3) lgkmcnt(0)
	v_mul_f32_e32 v91, v85, v87
	v_mul_f32_e32 v87, v86, v87
	s_waitcnt vmcnt(2)
	v_fma_f32 v85, v85, v88, -v87
	v_fmac_f32_e32 v91, v86, v88
	v_add_f32_e32 v85, 0, v85
	v_add_f32_e32 v86, 0, v91
	s_waitcnt vmcnt(1)
	v_sub_f32_e32 v85, v89, v85
	s_waitcnt vmcnt(0)
	v_sub_f32_e32 v86, v90, v86
	buffer_store_dword v85, off, s[0:3], 0 offset:312
	buffer_store_dword v86, off, s[0:3], 0 offset:316
	s_and_saveexec_b64 s[4:5], vcc
	s_cbranch_execz .LBB40_183
; %bb.182:
	buffer_load_dword v85, off, s[0:3], 0 offset:304
	buffer_load_dword v86, off, s[0:3], 0 offset:308
	s_waitcnt vmcnt(0)
	ds_write_b64 v83, v[85:86]
	buffer_store_dword v84, off, s[0:3], 0 offset:304
	buffer_store_dword v84, off, s[0:3], 0 offset:308
.LBB40_183:
	s_or_b64 exec, exec, s[4:5]
	s_waitcnt lgkmcnt(0)
	; wave barrier
	buffer_load_dword v88, off, s[0:3], 0 offset:316
	buffer_load_dword v89, off, s[0:3], 0 offset:324
	;; [unrolled: 1-line block ×6, first 2 shown]
	ds_read2_b64 v[84:87], v84 offset0:81 offset1:82
	v_cmp_lt_u32_e32 vcc, 37, v0
	s_waitcnt vmcnt(5) lgkmcnt(0)
	v_mul_f32_e32 v94, v84, v88
	v_mul_f32_e32 v88, v85, v88
	s_waitcnt vmcnt(4)
	v_mul_f32_e32 v95, v86, v89
	v_mul_f32_e32 v89, v87, v89
	s_waitcnt vmcnt(3)
	v_fma_f32 v84, v84, v90, -v88
	v_fmac_f32_e32 v94, v85, v90
	s_waitcnt vmcnt(2)
	v_fma_f32 v85, v86, v91, -v89
	v_add_f32_e32 v84, 0, v84
	v_fmac_f32_e32 v95, v87, v91
	v_add_f32_e32 v86, 0, v94
	v_add_f32_e32 v84, v84, v85
	;; [unrolled: 1-line block ×3, first 2 shown]
	s_waitcnt vmcnt(1)
	v_sub_f32_e32 v84, v92, v84
	s_waitcnt vmcnt(0)
	v_sub_f32_e32 v85, v93, v86
	buffer_store_dword v84, off, s[0:3], 0 offset:304
	buffer_store_dword v85, off, s[0:3], 0 offset:308
	s_and_saveexec_b64 s[4:5], vcc
	s_cbranch_execz .LBB40_185
; %bb.184:
	buffer_load_dword v84, off, s[0:3], 0 offset:296
	buffer_load_dword v85, off, s[0:3], 0 offset:300
	v_mov_b32_e32 v86, 0
	buffer_store_dword v86, off, s[0:3], 0 offset:296
	buffer_store_dword v86, off, s[0:3], 0 offset:300
	s_waitcnt vmcnt(2)
	ds_write_b64 v83, v[84:85]
.LBB40_185:
	s_or_b64 exec, exec, s[4:5]
	s_waitcnt lgkmcnt(0)
	; wave barrier
	buffer_load_dword v91, off, s[0:3], 0 offset:308
	buffer_load_dword v92, off, s[0:3], 0 offset:316
	buffer_load_dword v93, off, s[0:3], 0 offset:324
	buffer_load_dword v94, off, s[0:3], 0 offset:304
	buffer_load_dword v95, off, s[0:3], 0 offset:312
	buffer_load_dword v96, off, s[0:3], 0 offset:320
	buffer_load_dword v97, off, s[0:3], 0 offset:296
	buffer_load_dword v98, off, s[0:3], 0 offset:300
	v_mov_b32_e32 v84, 0
	ds_read_b128 v[85:88], v84 offset:640
	ds_read_b64 v[89:90], v84 offset:656
	v_cmp_lt_u32_e32 vcc, 36, v0
	s_waitcnt vmcnt(7) lgkmcnt(1)
	v_mul_f32_e32 v99, v85, v91
	v_mul_f32_e32 v91, v86, v91
	s_waitcnt vmcnt(6)
	v_mul_f32_e32 v100, v87, v92
	v_mul_f32_e32 v92, v88, v92
	s_waitcnt vmcnt(4)
	v_fma_f32 v85, v85, v94, -v91
	s_waitcnt lgkmcnt(0)
	v_mul_f32_e32 v101, v89, v93
	v_mul_f32_e32 v93, v90, v93
	v_fmac_f32_e32 v99, v86, v94
	s_waitcnt vmcnt(3)
	v_fma_f32 v86, v87, v95, -v92
	v_add_f32_e32 v85, 0, v85
	v_fmac_f32_e32 v100, v88, v95
	s_waitcnt vmcnt(2)
	v_fma_f32 v87, v89, v96, -v93
	v_add_f32_e32 v88, 0, v99
	v_add_f32_e32 v85, v85, v86
	v_fmac_f32_e32 v101, v90, v96
	v_add_f32_e32 v88, v88, v100
	v_add_f32_e32 v85, v85, v87
	;; [unrolled: 1-line block ×3, first 2 shown]
	s_waitcnt vmcnt(1)
	v_sub_f32_e32 v85, v97, v85
	s_waitcnt vmcnt(0)
	v_sub_f32_e32 v86, v98, v86
	buffer_store_dword v85, off, s[0:3], 0 offset:296
	buffer_store_dword v86, off, s[0:3], 0 offset:300
	s_and_saveexec_b64 s[4:5], vcc
	s_cbranch_execz .LBB40_187
; %bb.186:
	buffer_load_dword v85, off, s[0:3], 0 offset:288
	buffer_load_dword v86, off, s[0:3], 0 offset:292
	s_waitcnt vmcnt(0)
	ds_write_b64 v83, v[85:86]
	buffer_store_dword v84, off, s[0:3], 0 offset:288
	buffer_store_dword v84, off, s[0:3], 0 offset:292
.LBB40_187:
	s_or_b64 exec, exec, s[4:5]
	s_waitcnt lgkmcnt(0)
	; wave barrier
	buffer_load_dword v93, off, s[0:3], 0 offset:300
	buffer_load_dword v94, off, s[0:3], 0 offset:308
	;; [unrolled: 1-line block ×10, first 2 shown]
	ds_read2_b64 v[85:88], v84 offset0:79 offset1:80
	ds_read2_b64 v[89:92], v84 offset0:81 offset1:82
	v_cmp_lt_u32_e32 vcc, 35, v0
	s_waitcnt vmcnt(9) lgkmcnt(1)
	v_mul_f32_e32 v84, v85, v93
	v_mul_f32_e32 v93, v86, v93
	s_waitcnt vmcnt(8)
	v_mul_f32_e32 v103, v87, v94
	v_mul_f32_e32 v94, v88, v94
	s_waitcnt vmcnt(5)
	v_fma_f32 v85, v85, v97, -v93
	s_waitcnt lgkmcnt(0)
	v_mul_f32_e32 v104, v89, v95
	v_mul_f32_e32 v95, v90, v95
	v_fmac_f32_e32 v84, v86, v97
	s_waitcnt vmcnt(4)
	v_fma_f32 v86, v87, v98, -v94
	v_add_f32_e32 v85, 0, v85
	v_mul_f32_e32 v105, v91, v96
	v_mul_f32_e32 v96, v92, v96
	v_fmac_f32_e32 v103, v88, v98
	s_waitcnt vmcnt(3)
	v_fma_f32 v87, v89, v99, -v95
	v_add_f32_e32 v84, 0, v84
	v_add_f32_e32 v85, v85, v86
	v_fmac_f32_e32 v104, v90, v99
	s_waitcnt vmcnt(2)
	v_fma_f32 v88, v91, v100, -v96
	v_add_f32_e32 v84, v84, v103
	v_add_f32_e32 v85, v85, v87
	v_fmac_f32_e32 v105, v92, v100
	v_add_f32_e32 v84, v84, v104
	v_add_f32_e32 v85, v85, v88
	;; [unrolled: 1-line block ×3, first 2 shown]
	s_waitcnt vmcnt(1)
	v_sub_f32_e32 v85, v101, v85
	s_waitcnt vmcnt(0)
	v_sub_f32_e32 v84, v102, v84
	buffer_store_dword v85, off, s[0:3], 0 offset:288
	buffer_store_dword v84, off, s[0:3], 0 offset:292
	s_and_saveexec_b64 s[4:5], vcc
	s_cbranch_execz .LBB40_189
; %bb.188:
	buffer_load_dword v84, off, s[0:3], 0 offset:280
	buffer_load_dword v85, off, s[0:3], 0 offset:284
	v_mov_b32_e32 v86, 0
	buffer_store_dword v86, off, s[0:3], 0 offset:280
	buffer_store_dword v86, off, s[0:3], 0 offset:284
	s_waitcnt vmcnt(2)
	ds_write_b64 v83, v[84:85]
.LBB40_189:
	s_or_b64 exec, exec, s[4:5]
	s_waitcnt lgkmcnt(0)
	; wave barrier
	buffer_load_dword v95, off, s[0:3], 0 offset:292
	buffer_load_dword v96, off, s[0:3], 0 offset:300
	;; [unrolled: 1-line block ×12, first 2 shown]
	v_mov_b32_e32 v84, 0
	ds_read_b128 v[85:88], v84 offset:624
	ds_read_b128 v[89:92], v84 offset:640
	ds_read_b64 v[93:94], v84 offset:656
	v_cmp_lt_u32_e32 vcc, 34, v0
	s_waitcnt vmcnt(11) lgkmcnt(2)
	v_mul_f32_e32 v107, v85, v95
	v_mul_f32_e32 v95, v86, v95
	s_waitcnt vmcnt(10)
	v_mul_f32_e32 v108, v87, v96
	v_mul_f32_e32 v96, v88, v96
	s_waitcnt vmcnt(9) lgkmcnt(1)
	v_mul_f32_e32 v109, v89, v97
	s_waitcnt vmcnt(6)
	v_fma_f32 v85, v85, v100, -v95
	v_mul_f32_e32 v97, v90, v97
	v_fmac_f32_e32 v107, v86, v100
	s_waitcnt vmcnt(5)
	v_fma_f32 v86, v87, v101, -v96
	v_add_f32_e32 v85, 0, v85
	v_mul_f32_e32 v110, v91, v98
	v_mul_f32_e32 v98, v92, v98
	v_fmac_f32_e32 v108, v88, v101
	s_waitcnt vmcnt(4)
	v_fmac_f32_e32 v109, v90, v102
	v_fma_f32 v87, v89, v102, -v97
	v_add_f32_e32 v90, 0, v107
	v_add_f32_e32 v85, v85, v86
	s_waitcnt lgkmcnt(0)
	v_mul_f32_e32 v111, v93, v99
	v_mul_f32_e32 v99, v94, v99
	s_waitcnt vmcnt(3)
	v_fma_f32 v88, v91, v103, -v98
	v_add_f32_e32 v90, v90, v108
	v_add_f32_e32 v85, v85, v87
	v_fmac_f32_e32 v110, v92, v103
	s_waitcnt vmcnt(2)
	v_fma_f32 v89, v93, v104, -v99
	v_add_f32_e32 v86, v90, v109
	v_add_f32_e32 v85, v85, v88
	v_fmac_f32_e32 v111, v94, v104
	v_add_f32_e32 v86, v86, v110
	v_add_f32_e32 v85, v85, v89
	;; [unrolled: 1-line block ×3, first 2 shown]
	s_waitcnt vmcnt(1)
	v_sub_f32_e32 v85, v105, v85
	s_waitcnt vmcnt(0)
	v_sub_f32_e32 v86, v106, v86
	buffer_store_dword v85, off, s[0:3], 0 offset:280
	buffer_store_dword v86, off, s[0:3], 0 offset:284
	s_and_saveexec_b64 s[4:5], vcc
	s_cbranch_execz .LBB40_191
; %bb.190:
	buffer_load_dword v85, off, s[0:3], 0 offset:272
	buffer_load_dword v86, off, s[0:3], 0 offset:276
	s_waitcnt vmcnt(0)
	ds_write_b64 v83, v[85:86]
	buffer_store_dword v84, off, s[0:3], 0 offset:272
	buffer_store_dword v84, off, s[0:3], 0 offset:276
.LBB40_191:
	s_or_b64 exec, exec, s[4:5]
	s_waitcnt lgkmcnt(0)
	; wave barrier
	buffer_load_dword v97, off, s[0:3], 0 offset:284
	buffer_load_dword v98, off, s[0:3], 0 offset:292
	;; [unrolled: 1-line block ×14, first 2 shown]
	ds_read2_b64 v[85:88], v84 offset0:77 offset1:78
	ds_read2_b64 v[89:92], v84 offset0:79 offset1:80
	;; [unrolled: 1-line block ×3, first 2 shown]
	v_cmp_lt_u32_e32 vcc, 33, v0
	s_waitcnt vmcnt(13) lgkmcnt(2)
	v_mul_f32_e32 v84, v85, v97
	v_mul_f32_e32 v97, v86, v97
	s_waitcnt vmcnt(12)
	v_mul_f32_e32 v111, v87, v98
	v_mul_f32_e32 v98, v88, v98
	s_waitcnt vmcnt(11) lgkmcnt(1)
	v_mul_f32_e32 v112, v89, v99
	v_mul_f32_e32 v99, v90, v99
	s_waitcnt vmcnt(7)
	v_fma_f32 v85, v85, v103, -v97
	v_fmac_f32_e32 v84, v86, v103
	s_waitcnt vmcnt(6)
	v_fma_f32 v86, v87, v104, -v98
	v_add_f32_e32 v85, 0, v85
	v_mul_f32_e32 v113, v91, v100
	v_mul_f32_e32 v100, v92, v100
	v_fmac_f32_e32 v111, v88, v104
	s_waitcnt vmcnt(5)
	v_fma_f32 v87, v89, v105, -v99
	v_add_f32_e32 v84, 0, v84
	v_add_f32_e32 v85, v85, v86
	s_waitcnt lgkmcnt(0)
	v_mul_f32_e32 v114, v93, v101
	v_mul_f32_e32 v101, v94, v101
	v_fmac_f32_e32 v112, v90, v105
	s_waitcnt vmcnt(4)
	v_fma_f32 v88, v91, v106, -v100
	v_add_f32_e32 v84, v84, v111
	v_add_f32_e32 v85, v85, v87
	v_mul_f32_e32 v115, v95, v102
	v_mul_f32_e32 v102, v96, v102
	v_fmac_f32_e32 v113, v92, v106
	s_waitcnt vmcnt(3)
	v_fma_f32 v89, v93, v107, -v101
	v_add_f32_e32 v84, v84, v112
	v_add_f32_e32 v85, v85, v88
	v_fmac_f32_e32 v114, v94, v107
	s_waitcnt vmcnt(2)
	v_fma_f32 v90, v95, v108, -v102
	v_add_f32_e32 v84, v84, v113
	v_add_f32_e32 v85, v85, v89
	v_fmac_f32_e32 v115, v96, v108
	v_add_f32_e32 v84, v84, v114
	v_add_f32_e32 v85, v85, v90
	;; [unrolled: 1-line block ×3, first 2 shown]
	s_waitcnt vmcnt(1)
	v_sub_f32_e32 v85, v109, v85
	s_waitcnt vmcnt(0)
	v_sub_f32_e32 v84, v110, v84
	buffer_store_dword v85, off, s[0:3], 0 offset:272
	buffer_store_dword v84, off, s[0:3], 0 offset:276
	s_and_saveexec_b64 s[4:5], vcc
	s_cbranch_execz .LBB40_193
; %bb.192:
	buffer_load_dword v84, off, s[0:3], 0 offset:264
	buffer_load_dword v85, off, s[0:3], 0 offset:268
	v_mov_b32_e32 v86, 0
	buffer_store_dword v86, off, s[0:3], 0 offset:264
	buffer_store_dword v86, off, s[0:3], 0 offset:268
	s_waitcnt vmcnt(2)
	ds_write_b64 v83, v[84:85]
.LBB40_193:
	s_or_b64 exec, exec, s[4:5]
	s_waitcnt lgkmcnt(0)
	; wave barrier
	buffer_load_dword v99, off, s[0:3], 0 offset:276
	buffer_load_dword v100, off, s[0:3], 0 offset:284
	;; [unrolled: 1-line block ×16, first 2 shown]
	v_mov_b32_e32 v84, 0
	ds_read_b128 v[85:88], v84 offset:608
	ds_read_b128 v[89:92], v84 offset:624
	;; [unrolled: 1-line block ×3, first 2 shown]
	ds_read_b64 v[97:98], v84 offset:656
	v_cmp_lt_u32_e32 vcc, 32, v0
	s_waitcnt vmcnt(15) lgkmcnt(3)
	v_mul_f32_e32 v115, v85, v99
	v_mul_f32_e32 v99, v86, v99
	s_waitcnt vmcnt(14)
	v_mul_f32_e32 v116, v87, v100
	v_mul_f32_e32 v100, v88, v100
	s_waitcnt vmcnt(13) lgkmcnt(2)
	v_mul_f32_e32 v117, v89, v101
	s_waitcnt vmcnt(12)
	v_mul_f32_e32 v118, v91, v102
	v_mul_f32_e32 v101, v90, v101
	s_waitcnt vmcnt(8)
	v_fma_f32 v85, v85, v106, -v99
	v_fmac_f32_e32 v115, v86, v106
	s_waitcnt vmcnt(7)
	v_fma_f32 v86, v87, v107, -v100
	v_add_f32_e32 v85, 0, v85
	v_mul_f32_e32 v102, v92, v102
	v_fmac_f32_e32 v116, v88, v107
	s_waitcnt vmcnt(5)
	v_fmac_f32_e32 v118, v92, v109
	v_fma_f32 v87, v89, v108, -v101
	v_add_f32_e32 v92, 0, v115
	v_add_f32_e32 v85, v85, v86
	s_waitcnt lgkmcnt(1)
	v_mul_f32_e32 v119, v93, v103
	v_mul_f32_e32 v103, v94, v103
	v_fmac_f32_e32 v117, v90, v108
	v_fma_f32 v88, v91, v109, -v102
	v_add_f32_e32 v92, v92, v116
	v_add_f32_e32 v85, v85, v87
	v_mul_f32_e32 v120, v95, v104
	v_mul_f32_e32 v104, v96, v104
	s_waitcnt vmcnt(4)
	v_fma_f32 v89, v93, v110, -v103
	v_add_f32_e32 v86, v92, v117
	v_add_f32_e32 v85, v85, v88
	s_waitcnt lgkmcnt(0)
	v_mul_f32_e32 v121, v97, v105
	v_mul_f32_e32 v105, v98, v105
	v_fmac_f32_e32 v119, v94, v110
	s_waitcnt vmcnt(3)
	v_fma_f32 v90, v95, v111, -v104
	v_add_f32_e32 v86, v86, v118
	v_add_f32_e32 v85, v85, v89
	v_fmac_f32_e32 v120, v96, v111
	s_waitcnt vmcnt(2)
	v_fma_f32 v91, v97, v112, -v105
	v_add_f32_e32 v86, v86, v119
	v_add_f32_e32 v85, v85, v90
	v_fmac_f32_e32 v121, v98, v112
	v_add_f32_e32 v86, v86, v120
	v_add_f32_e32 v85, v85, v91
	;; [unrolled: 1-line block ×3, first 2 shown]
	s_waitcnt vmcnt(1)
	v_sub_f32_e32 v85, v113, v85
	s_waitcnt vmcnt(0)
	v_sub_f32_e32 v86, v114, v86
	buffer_store_dword v85, off, s[0:3], 0 offset:264
	buffer_store_dword v86, off, s[0:3], 0 offset:268
	s_and_saveexec_b64 s[4:5], vcc
	s_cbranch_execz .LBB40_195
; %bb.194:
	buffer_load_dword v85, off, s[0:3], 0 offset:256
	buffer_load_dword v86, off, s[0:3], 0 offset:260
	s_waitcnt vmcnt(0)
	ds_write_b64 v83, v[85:86]
	buffer_store_dword v84, off, s[0:3], 0 offset:256
	buffer_store_dword v84, off, s[0:3], 0 offset:260
.LBB40_195:
	s_or_b64 exec, exec, s[4:5]
	s_waitcnt lgkmcnt(0)
	; wave barrier
	buffer_load_dword v101, off, s[0:3], 0 offset:268
	buffer_load_dword v102, off, s[0:3], 0 offset:276
	;; [unrolled: 1-line block ×18, first 2 shown]
	ds_read2_b64 v[85:88], v84 offset0:75 offset1:76
	ds_read2_b64 v[89:92], v84 offset0:77 offset1:78
	;; [unrolled: 1-line block ×4, first 2 shown]
	v_cmp_lt_u32_e32 vcc, 31, v0
	s_waitcnt vmcnt(17) lgkmcnt(3)
	v_mul_f32_e32 v84, v85, v101
	v_mul_f32_e32 v101, v86, v101
	s_waitcnt vmcnt(16)
	v_mul_f32_e32 v119, v87, v102
	v_mul_f32_e32 v102, v88, v102
	s_waitcnt vmcnt(15) lgkmcnt(2)
	v_mul_f32_e32 v120, v89, v103
	v_mul_f32_e32 v103, v90, v103
	s_waitcnt vmcnt(14)
	v_mul_f32_e32 v121, v91, v104
	v_mul_f32_e32 v104, v92, v104
	s_waitcnt vmcnt(9)
	v_fma_f32 v85, v85, v109, -v101
	v_fmac_f32_e32 v84, v86, v109
	s_waitcnt vmcnt(8)
	v_fma_f32 v86, v87, v110, -v102
	v_add_f32_e32 v85, 0, v85
	v_fmac_f32_e32 v119, v88, v110
	s_waitcnt vmcnt(7)
	v_fma_f32 v87, v89, v111, -v103
	v_add_f32_e32 v84, 0, v84
	v_add_f32_e32 v85, v85, v86
	s_waitcnt lgkmcnt(1)
	v_mul_f32_e32 v122, v93, v105
	v_mul_f32_e32 v105, v94, v105
	v_fmac_f32_e32 v120, v90, v111
	s_waitcnt vmcnt(6)
	v_fma_f32 v88, v91, v112, -v104
	v_add_f32_e32 v84, v84, v119
	v_add_f32_e32 v85, v85, v87
	v_mul_f32_e32 v123, v95, v106
	v_mul_f32_e32 v106, v96, v106
	v_fmac_f32_e32 v121, v92, v112
	s_waitcnt vmcnt(5)
	v_fma_f32 v89, v93, v113, -v105
	v_add_f32_e32 v84, v84, v120
	v_add_f32_e32 v85, v85, v88
	s_waitcnt lgkmcnt(0)
	v_mul_f32_e32 v124, v97, v107
	v_mul_f32_e32 v107, v98, v107
	v_fmac_f32_e32 v122, v94, v113
	s_waitcnt vmcnt(4)
	v_fma_f32 v90, v95, v114, -v106
	v_add_f32_e32 v84, v84, v121
	v_add_f32_e32 v85, v85, v89
	v_mul_f32_e32 v125, v99, v108
	v_mul_f32_e32 v108, v100, v108
	v_fmac_f32_e32 v123, v96, v114
	s_waitcnt vmcnt(3)
	v_fma_f32 v91, v97, v115, -v107
	v_add_f32_e32 v84, v84, v122
	v_add_f32_e32 v85, v85, v90
	v_fmac_f32_e32 v124, v98, v115
	s_waitcnt vmcnt(2)
	v_fma_f32 v92, v99, v116, -v108
	v_add_f32_e32 v84, v84, v123
	v_add_f32_e32 v85, v85, v91
	v_fmac_f32_e32 v125, v100, v116
	v_add_f32_e32 v84, v84, v124
	v_add_f32_e32 v85, v85, v92
	v_add_f32_e32 v84, v84, v125
	s_waitcnt vmcnt(1)
	v_sub_f32_e32 v85, v117, v85
	s_waitcnt vmcnt(0)
	v_sub_f32_e32 v84, v118, v84
	buffer_store_dword v85, off, s[0:3], 0 offset:256
	buffer_store_dword v84, off, s[0:3], 0 offset:260
	s_and_saveexec_b64 s[4:5], vcc
	s_cbranch_execz .LBB40_197
; %bb.196:
	buffer_load_dword v84, off, s[0:3], 0 offset:248
	buffer_load_dword v85, off, s[0:3], 0 offset:252
	v_mov_b32_e32 v86, 0
	buffer_store_dword v86, off, s[0:3], 0 offset:248
	buffer_store_dword v86, off, s[0:3], 0 offset:252
	s_waitcnt vmcnt(2)
	ds_write_b64 v83, v[84:85]
.LBB40_197:
	s_or_b64 exec, exec, s[4:5]
	v_mov_b32_e32 v84, 0
	s_waitcnt lgkmcnt(0)
	; wave barrier
	ds_read_b128 v[85:88], v84 offset:592
	ds_read_b128 v[89:92], v84 offset:608
	;; [unrolled: 1-line block ×4, first 2 shown]
	buffer_load_dword v103, off, s[0:3], 0 offset:248
	buffer_load_dword v104, off, s[0:3], 0 offset:252
	;; [unrolled: 1-line block ×18, first 2 shown]
	v_cmp_lt_u32_e32 vcc, 30, v0
	s_waitcnt vmcnt(14) lgkmcnt(3)
	v_mul_f32_e32 v101, v85, v106
	v_fmac_f32_e32 v101, v86, v105
	s_waitcnt vmcnt(12)
	v_mul_f32_e32 v102, v87, v108
	v_add_f32_e32 v101, 0, v101
	v_fmac_f32_e32 v102, v88, v107
	v_add_f32_e32 v101, v101, v102
	s_waitcnt vmcnt(10) lgkmcnt(2)
	v_mul_f32_e32 v102, v89, v110
	v_fmac_f32_e32 v102, v90, v109
	v_add_f32_e32 v101, v101, v102
	s_waitcnt vmcnt(8)
	v_mul_f32_e32 v102, v91, v112
	v_fmac_f32_e32 v102, v92, v111
	v_add_f32_e32 v101, v101, v102
	s_waitcnt vmcnt(6) lgkmcnt(1)
	v_mul_f32_e32 v102, v93, v114
	v_fmac_f32_e32 v102, v94, v113
	v_add_f32_e32 v101, v101, v102
	s_waitcnt vmcnt(4)
	v_mul_f32_e32 v102, v95, v116
	;; [unrolled: 8-line block ×3, first 2 shown]
	v_fmac_f32_e32 v102, v100, v119
	v_add_f32_e32 v121, v101, v102
	ds_read_b64 v[101:102], v84 offset:656
	buffer_load_dword v122, off, s[0:3], 0 offset:320
	buffer_load_dword v123, off, s[0:3], 0 offset:324
	v_mul_f32_e32 v86, v86, v106
	v_fma_f32 v85, v85, v105, -v86
	v_mul_f32_e32 v86, v88, v108
	v_add_f32_e32 v85, 0, v85
	v_fma_f32 v86, v87, v107, -v86
	v_add_f32_e32 v85, v85, v86
	v_mul_f32_e32 v86, v90, v110
	v_fma_f32 v86, v89, v109, -v86
	v_add_f32_e32 v85, v85, v86
	v_mul_f32_e32 v86, v92, v112
	;; [unrolled: 3-line block ×6, first 2 shown]
	v_fma_f32 v86, v99, v119, -v86
	v_add_f32_e32 v85, v85, v86
	s_waitcnt vmcnt(0) lgkmcnt(0)
	v_mul_f32_e32 v86, v102, v123
	v_mul_f32_e32 v124, v101, v123
	v_fma_f32 v86, v101, v122, -v86
	v_fmac_f32_e32 v124, v102, v122
	v_add_f32_e32 v85, v85, v86
	v_add_f32_e32 v121, v121, v124
	v_sub_f32_e32 v85, v103, v85
	v_sub_f32_e32 v86, v104, v121
	buffer_store_dword v85, off, s[0:3], 0 offset:248
	buffer_store_dword v86, off, s[0:3], 0 offset:252
	s_and_saveexec_b64 s[4:5], vcc
	s_cbranch_execz .LBB40_199
; %bb.198:
	buffer_load_dword v85, off, s[0:3], 0 offset:240
	buffer_load_dword v86, off, s[0:3], 0 offset:244
	s_waitcnt vmcnt(0)
	ds_write_b64 v83, v[85:86]
	buffer_store_dword v84, off, s[0:3], 0 offset:240
	buffer_store_dword v84, off, s[0:3], 0 offset:244
.LBB40_199:
	s_or_b64 exec, exec, s[4:5]
	s_waitcnt lgkmcnt(0)
	; wave barrier
	buffer_load_dword v105, off, s[0:3], 0 offset:252
	buffer_load_dword v106, off, s[0:3], 0 offset:260
	;; [unrolled: 1-line block ×22, first 2 shown]
	ds_read2_b64 v[85:88], v84 offset0:73 offset1:74
	ds_read2_b64 v[89:92], v84 offset0:75 offset1:76
	;; [unrolled: 1-line block ×5, first 2 shown]
	v_cmp_lt_u32_e32 vcc, 29, v0
	s_waitcnt vmcnt(21) lgkmcnt(4)
	v_mul_f32_e32 v84, v85, v105
	v_mul_f32_e32 v105, v86, v105
	s_waitcnt vmcnt(20)
	v_mul_f32_e32 v127, v87, v106
	v_mul_f32_e32 v106, v88, v106
	s_waitcnt vmcnt(19) lgkmcnt(3)
	v_mul_f32_e32 v128, v89, v107
	v_mul_f32_e32 v107, v90, v107
	s_waitcnt vmcnt(18)
	v_mul_f32_e32 v129, v91, v108
	v_mul_f32_e32 v108, v92, v108
	s_waitcnt vmcnt(17) lgkmcnt(2)
	v_mul_f32_e32 v130, v93, v109
	v_mul_f32_e32 v109, v94, v109
	s_waitcnt vmcnt(11)
	v_fma_f32 v85, v85, v115, -v105
	v_fmac_f32_e32 v84, v86, v115
	s_waitcnt vmcnt(10)
	v_fma_f32 v86, v87, v116, -v106
	v_add_f32_e32 v85, 0, v85
	v_fmac_f32_e32 v127, v88, v116
	s_waitcnt vmcnt(9)
	v_fma_f32 v87, v89, v117, -v107
	v_add_f32_e32 v84, 0, v84
	v_add_f32_e32 v85, v85, v86
	v_fmac_f32_e32 v128, v90, v117
	s_waitcnt vmcnt(8)
	v_fma_f32 v88, v91, v118, -v108
	v_add_f32_e32 v84, v84, v127
	v_add_f32_e32 v85, v85, v87
	v_mul_f32_e32 v131, v95, v110
	v_mul_f32_e32 v110, v96, v110
	v_fmac_f32_e32 v129, v92, v118
	s_waitcnt vmcnt(7)
	v_fma_f32 v89, v93, v119, -v109
	v_add_f32_e32 v84, v84, v128
	v_add_f32_e32 v85, v85, v88
	s_waitcnt lgkmcnt(1)
	v_mul_f32_e32 v132, v97, v111
	v_mul_f32_e32 v111, v98, v111
	v_fmac_f32_e32 v130, v94, v119
	s_waitcnt vmcnt(6)
	v_fma_f32 v90, v95, v120, -v110
	v_add_f32_e32 v84, v84, v129
	v_add_f32_e32 v85, v85, v89
	v_mul_f32_e32 v133, v99, v112
	v_mul_f32_e32 v112, v100, v112
	v_fmac_f32_e32 v131, v96, v120
	s_waitcnt vmcnt(5)
	v_fma_f32 v91, v97, v121, -v111
	v_add_f32_e32 v84, v84, v130
	v_add_f32_e32 v85, v85, v90
	s_waitcnt lgkmcnt(0)
	v_mul_f32_e32 v134, v101, v113
	v_mul_f32_e32 v113, v102, v113
	v_fmac_f32_e32 v132, v98, v121
	s_waitcnt vmcnt(4)
	v_fma_f32 v92, v99, v122, -v112
	v_add_f32_e32 v84, v84, v131
	v_add_f32_e32 v85, v85, v91
	v_mul_f32_e32 v135, v103, v114
	v_mul_f32_e32 v114, v104, v114
	v_fmac_f32_e32 v133, v100, v122
	s_waitcnt vmcnt(3)
	v_fma_f32 v93, v101, v123, -v113
	v_add_f32_e32 v84, v84, v132
	v_add_f32_e32 v85, v85, v92
	v_fmac_f32_e32 v134, v102, v123
	s_waitcnt vmcnt(2)
	v_fma_f32 v94, v103, v124, -v114
	v_add_f32_e32 v84, v84, v133
	v_add_f32_e32 v85, v85, v93
	v_fmac_f32_e32 v135, v104, v124
	v_add_f32_e32 v84, v84, v134
	v_add_f32_e32 v85, v85, v94
	;; [unrolled: 1-line block ×3, first 2 shown]
	s_waitcnt vmcnt(1)
	v_sub_f32_e32 v85, v125, v85
	s_waitcnt vmcnt(0)
	v_sub_f32_e32 v84, v126, v84
	buffer_store_dword v85, off, s[0:3], 0 offset:240
	buffer_store_dword v84, off, s[0:3], 0 offset:244
	s_and_saveexec_b64 s[4:5], vcc
	s_cbranch_execz .LBB40_201
; %bb.200:
	buffer_load_dword v84, off, s[0:3], 0 offset:232
	buffer_load_dword v85, off, s[0:3], 0 offset:236
	v_mov_b32_e32 v86, 0
	buffer_store_dword v86, off, s[0:3], 0 offset:232
	buffer_store_dword v86, off, s[0:3], 0 offset:236
	s_waitcnt vmcnt(2)
	ds_write_b64 v83, v[84:85]
.LBB40_201:
	s_or_b64 exec, exec, s[4:5]
	s_waitcnt lgkmcnt(0)
	; wave barrier
	buffer_load_dword v107, off, s[0:3], 0 offset:244
	buffer_load_dword v108, off, s[0:3], 0 offset:252
	buffer_load_dword v109, off, s[0:3], 0 offset:260
	buffer_load_dword v110, off, s[0:3], 0 offset:268
	buffer_load_dword v111, off, s[0:3], 0 offset:276
	buffer_load_dword v112, off, s[0:3], 0 offset:284
	buffer_load_dword v113, off, s[0:3], 0 offset:292
	buffer_load_dword v114, off, s[0:3], 0 offset:300
	buffer_load_dword v115, off, s[0:3], 0 offset:308
	buffer_load_dword v116, off, s[0:3], 0 offset:316
	buffer_load_dword v117, off, s[0:3], 0 offset:324
	buffer_load_dword v118, off, s[0:3], 0 offset:240
	buffer_load_dword v119, off, s[0:3], 0 offset:248
	buffer_load_dword v120, off, s[0:3], 0 offset:256
	buffer_load_dword v121, off, s[0:3], 0 offset:264
	buffer_load_dword v122, off, s[0:3], 0 offset:272
	buffer_load_dword v123, off, s[0:3], 0 offset:280
	buffer_load_dword v124, off, s[0:3], 0 offset:288
	buffer_load_dword v125, off, s[0:3], 0 offset:296
	buffer_load_dword v126, off, s[0:3], 0 offset:304
	buffer_load_dword v127, off, s[0:3], 0 offset:312
	buffer_load_dword v128, off, s[0:3], 0 offset:320
	buffer_load_dword v129, off, s[0:3], 0 offset:232
	buffer_load_dword v130, off, s[0:3], 0 offset:236
	v_mov_b32_e32 v84, 0
	ds_read_b128 v[85:88], v84 offset:576
	ds_read_b128 v[89:92], v84 offset:592
	;; [unrolled: 1-line block ×5, first 2 shown]
	ds_read_b64 v[105:106], v84 offset:656
	v_cmp_lt_u32_e32 vcc, 28, v0
	s_waitcnt vmcnt(23) lgkmcnt(5)
	v_mul_f32_e32 v131, v85, v107
	v_mul_f32_e32 v107, v86, v107
	s_waitcnt vmcnt(22)
	v_mul_f32_e32 v132, v87, v108
	v_mul_f32_e32 v108, v88, v108
	s_waitcnt vmcnt(21) lgkmcnt(4)
	v_mul_f32_e32 v133, v89, v109
	v_mul_f32_e32 v109, v90, v109
	s_waitcnt vmcnt(20)
	v_mul_f32_e32 v134, v91, v110
	s_waitcnt vmcnt(19) lgkmcnt(3)
	v_mul_f32_e32 v135, v93, v111
	v_mul_f32_e32 v110, v92, v110
	;; [unrolled: 1-line block ×3, first 2 shown]
	s_waitcnt vmcnt(18)
	v_mul_f32_e32 v136, v95, v112
	s_waitcnt vmcnt(12)
	v_fma_f32 v85, v85, v118, -v107
	v_fmac_f32_e32 v131, v86, v118
	s_waitcnt vmcnt(11)
	v_fma_f32 v86, v87, v119, -v108
	v_add_f32_e32 v85, 0, v85
	s_waitcnt vmcnt(10)
	v_fma_f32 v87, v89, v120, -v109
	v_add_f32_e32 v85, v85, v86
	v_fmac_f32_e32 v132, v88, v119
	s_waitcnt vmcnt(8)
	v_fmac_f32_e32 v135, v94, v122
	v_fma_f32 v88, v91, v121, -v110
	v_add_f32_e32 v94, 0, v131
	v_add_f32_e32 v85, v85, v87
	v_mul_f32_e32 v112, v96, v112
	v_fmac_f32_e32 v133, v90, v120
	v_fma_f32 v89, v93, v122, -v111
	v_add_f32_e32 v94, v94, v132
	v_add_f32_e32 v85, v85, v88
	s_waitcnt lgkmcnt(2)
	v_mul_f32_e32 v137, v97, v113
	v_mul_f32_e32 v113, v98, v113
	v_fmac_f32_e32 v134, v92, v121
	s_waitcnt vmcnt(7)
	v_fma_f32 v90, v95, v123, -v112
	v_add_f32_e32 v86, v94, v133
	v_add_f32_e32 v85, v85, v89
	v_mul_f32_e32 v138, v99, v114
	v_mul_f32_e32 v114, v100, v114
	s_waitcnt vmcnt(6)
	v_fma_f32 v91, v97, v124, -v113
	v_add_f32_e32 v86, v86, v134
	v_add_f32_e32 v85, v85, v90
	s_waitcnt lgkmcnt(1)
	v_mul_f32_e32 v139, v101, v115
	v_mul_f32_e32 v115, v102, v115
	v_fmac_f32_e32 v136, v96, v123
	s_waitcnt vmcnt(5)
	v_fma_f32 v92, v99, v125, -v114
	v_add_f32_e32 v86, v86, v135
	v_add_f32_e32 v85, v85, v91
	v_fmac_f32_e32 v137, v98, v124
	s_waitcnt vmcnt(4)
	v_fma_f32 v93, v101, v126, -v115
	v_add_f32_e32 v86, v86, v136
	v_add_f32_e32 v85, v85, v92
	v_mul_f32_e32 v87, v104, v116
	v_fmac_f32_e32 v138, v100, v125
	v_add_f32_e32 v86, v86, v137
	v_add_f32_e32 v85, v85, v93
	s_waitcnt vmcnt(3)
	v_fma_f32 v87, v103, v127, -v87
	v_mul_f32_e32 v140, v103, v116
	v_fmac_f32_e32 v139, v102, v126
	v_add_f32_e32 v86, v86, v138
	v_add_f32_e32 v85, v85, v87
	s_waitcnt lgkmcnt(0)
	v_mul_f32_e32 v87, v106, v117
	v_mul_f32_e32 v141, v105, v117
	v_fmac_f32_e32 v140, v104, v127
	v_add_f32_e32 v86, v86, v139
	s_waitcnt vmcnt(2)
	v_fma_f32 v87, v105, v128, -v87
	v_fmac_f32_e32 v141, v106, v128
	v_add_f32_e32 v86, v86, v140
	v_add_f32_e32 v85, v85, v87
	v_add_f32_e32 v86, v86, v141
	s_waitcnt vmcnt(1)
	v_sub_f32_e32 v85, v129, v85
	s_waitcnt vmcnt(0)
	v_sub_f32_e32 v86, v130, v86
	buffer_store_dword v85, off, s[0:3], 0 offset:232
	buffer_store_dword v86, off, s[0:3], 0 offset:236
	s_and_saveexec_b64 s[4:5], vcc
	s_cbranch_execz .LBB40_203
; %bb.202:
	buffer_load_dword v85, off, s[0:3], 0 offset:224
	buffer_load_dword v86, off, s[0:3], 0 offset:228
	s_waitcnt vmcnt(0)
	ds_write_b64 v83, v[85:86]
	buffer_store_dword v84, off, s[0:3], 0 offset:224
	buffer_store_dword v84, off, s[0:3], 0 offset:228
.LBB40_203:
	s_or_b64 exec, exec, s[4:5]
	s_waitcnt lgkmcnt(0)
	; wave barrier
	buffer_load_dword v109, off, s[0:3], 0 offset:236
	buffer_load_dword v110, off, s[0:3], 0 offset:244
	;; [unrolled: 1-line block ×26, first 2 shown]
	ds_read2_b64 v[85:88], v84 offset0:71 offset1:72
	ds_read2_b64 v[89:92], v84 offset0:73 offset1:74
	;; [unrolled: 1-line block ×6, first 2 shown]
	v_cmp_lt_u32_e32 vcc, 27, v0
	s_waitcnt vmcnt(25) lgkmcnt(5)
	v_mul_f32_e32 v84, v85, v109
	v_mul_f32_e32 v109, v86, v109
	s_waitcnt vmcnt(24)
	v_mul_f32_e32 v135, v87, v110
	v_mul_f32_e32 v110, v88, v110
	s_waitcnt vmcnt(23) lgkmcnt(4)
	v_mul_f32_e32 v136, v89, v111
	v_mul_f32_e32 v111, v90, v111
	s_waitcnt vmcnt(22)
	v_mul_f32_e32 v137, v91, v112
	v_mul_f32_e32 v112, v92, v112
	;; [unrolled: 6-line block ×3, first 2 shown]
	s_waitcnt vmcnt(13)
	v_fma_f32 v85, v85, v121, -v109
	v_fmac_f32_e32 v84, v86, v121
	s_waitcnt vmcnt(12)
	v_fma_f32 v86, v87, v122, -v110
	v_add_f32_e32 v85, 0, v85
	s_waitcnt vmcnt(11)
	v_fma_f32 v87, v89, v123, -v111
	v_add_f32_e32 v85, v85, v86
	v_fmac_f32_e32 v135, v88, v122
	s_waitcnt vmcnt(10)
	v_fma_f32 v88, v91, v124, -v112
	v_add_f32_e32 v85, v85, v87
	s_waitcnt vmcnt(9)
	v_fma_f32 v89, v93, v125, -v113
	v_add_f32_e32 v85, v85, v88
	s_waitcnt lgkmcnt(2)
	v_mul_f32_e32 v140, v97, v115
	v_mul_f32_e32 v115, v98, v115
	v_fmac_f32_e32 v136, v90, v123
	s_waitcnt vmcnt(8)
	v_fma_f32 v90, v95, v126, -v114
	v_add_f32_e32 v84, 0, v84
	v_add_f32_e32 v85, v85, v89
	v_mul_f32_e32 v141, v99, v116
	v_mul_f32_e32 v116, v100, v116
	s_waitcnt vmcnt(7)
	v_fma_f32 v91, v97, v127, -v115
	v_add_f32_e32 v84, v84, v135
	v_add_f32_e32 v85, v85, v90
	v_fmac_f32_e32 v137, v92, v124
	s_waitcnt vmcnt(6)
	v_fma_f32 v92, v99, v128, -v116
	v_add_f32_e32 v84, v84, v136
	v_add_f32_e32 v85, v85, v91
	s_waitcnt lgkmcnt(1)
	v_mul_f32_e32 v86, v102, v117
	v_fmac_f32_e32 v138, v94, v125
	v_add_f32_e32 v84, v84, v137
	v_add_f32_e32 v85, v85, v92
	s_waitcnt vmcnt(5)
	v_fma_f32 v86, v101, v129, -v86
	v_fmac_f32_e32 v139, v96, v126
	v_add_f32_e32 v84, v84, v138
	v_add_f32_e32 v85, v85, v86
	v_mul_f32_e32 v86, v104, v118
	v_fmac_f32_e32 v140, v98, v127
	v_add_f32_e32 v84, v84, v139
	s_waitcnt vmcnt(4)
	v_fma_f32 v86, v103, v130, -v86
	v_mul_f32_e32 v142, v101, v117
	v_fmac_f32_e32 v141, v100, v128
	v_add_f32_e32 v84, v84, v140
	v_add_f32_e32 v85, v85, v86
	s_waitcnt lgkmcnt(0)
	v_mul_f32_e32 v86, v106, v119
	v_mul_f32_e32 v143, v103, v118
	v_fmac_f32_e32 v142, v102, v129
	v_add_f32_e32 v84, v84, v141
	s_waitcnt vmcnt(3)
	v_fma_f32 v86, v105, v131, -v86
	v_mul_f32_e32 v144, v105, v119
	v_fmac_f32_e32 v143, v104, v130
	v_add_f32_e32 v84, v84, v142
	v_add_f32_e32 v85, v85, v86
	v_mul_f32_e32 v86, v108, v120
	v_mul_f32_e32 v145, v107, v120
	v_fmac_f32_e32 v144, v106, v131
	v_add_f32_e32 v84, v84, v143
	s_waitcnt vmcnt(2)
	v_fma_f32 v86, v107, v132, -v86
	v_fmac_f32_e32 v145, v108, v132
	v_add_f32_e32 v84, v84, v144
	v_add_f32_e32 v85, v85, v86
	;; [unrolled: 1-line block ×3, first 2 shown]
	s_waitcnt vmcnt(1)
	v_sub_f32_e32 v85, v133, v85
	s_waitcnt vmcnt(0)
	v_sub_f32_e32 v84, v134, v84
	buffer_store_dword v85, off, s[0:3], 0 offset:224
	buffer_store_dword v84, off, s[0:3], 0 offset:228
	s_and_saveexec_b64 s[4:5], vcc
	s_cbranch_execz .LBB40_205
; %bb.204:
	buffer_load_dword v84, off, s[0:3], 0 offset:216
	buffer_load_dword v85, off, s[0:3], 0 offset:220
	v_mov_b32_e32 v86, 0
	buffer_store_dword v86, off, s[0:3], 0 offset:216
	buffer_store_dword v86, off, s[0:3], 0 offset:220
	s_waitcnt vmcnt(2)
	ds_write_b64 v83, v[84:85]
.LBB40_205:
	s_or_b64 exec, exec, s[4:5]
	s_waitcnt lgkmcnt(0)
	; wave barrier
	buffer_load_dword v111, off, s[0:3], 0 offset:228
	buffer_load_dword v112, off, s[0:3], 0 offset:236
	;; [unrolled: 1-line block ×28, first 2 shown]
	v_mov_b32_e32 v84, 0
	ds_read_b128 v[85:88], v84 offset:560
	ds_read_b128 v[89:92], v84 offset:576
	;; [unrolled: 1-line block ×6, first 2 shown]
	ds_read_b64 v[109:110], v84 offset:656
	v_cmp_lt_u32_e32 vcc, 26, v0
	s_waitcnt vmcnt(27) lgkmcnt(6)
	v_mul_f32_e32 v139, v85, v111
	v_mul_f32_e32 v111, v86, v111
	s_waitcnt vmcnt(26)
	v_mul_f32_e32 v140, v87, v112
	v_mul_f32_e32 v112, v88, v112
	s_waitcnt vmcnt(25) lgkmcnt(5)
	v_mul_f32_e32 v141, v89, v113
	v_mul_f32_e32 v113, v90, v113
	s_waitcnt vmcnt(24)
	v_mul_f32_e32 v142, v91, v114
	v_mul_f32_e32 v114, v92, v114
	;; [unrolled: 6-line block ×3, first 2 shown]
	s_waitcnt vmcnt(21) lgkmcnt(3)
	v_mul_f32_e32 v145, v97, v117
	s_waitcnt vmcnt(14)
	v_fma_f32 v85, v85, v124, -v111
	v_fmac_f32_e32 v139, v86, v124
	s_waitcnt vmcnt(13)
	v_fma_f32 v86, v87, v125, -v112
	v_add_f32_e32 v85, 0, v85
	s_waitcnt vmcnt(12)
	v_fma_f32 v87, v89, v126, -v113
	v_add_f32_e32 v85, v85, v86
	v_fmac_f32_e32 v140, v88, v125
	s_waitcnt vmcnt(11)
	v_fma_f32 v88, v91, v127, -v114
	v_add_f32_e32 v85, v85, v87
	s_waitcnt vmcnt(10)
	v_fma_f32 v89, v93, v128, -v115
	v_add_f32_e32 v85, v85, v88
	v_fmac_f32_e32 v141, v90, v126
	s_waitcnt vmcnt(9)
	v_fma_f32 v90, v95, v129, -v116
	v_add_f32_e32 v85, v85, v89
	v_mul_f32_e32 v87, v98, v117
	v_add_f32_e32 v85, v85, v90
	s_waitcnt vmcnt(8)
	v_fma_f32 v87, v97, v130, -v87
	v_add_f32_e32 v85, v85, v87
	v_mul_f32_e32 v87, v100, v118
	v_add_f32_e32 v91, 0, v139
	s_waitcnt vmcnt(7)
	v_fma_f32 v87, v99, v131, -v87
	v_add_f32_e32 v91, v91, v140
	v_add_f32_e32 v85, v85, v87
	s_waitcnt lgkmcnt(2)
	v_mul_f32_e32 v87, v102, v119
	v_fmac_f32_e32 v142, v92, v127
	v_add_f32_e32 v86, v91, v141
	s_waitcnt vmcnt(6)
	v_fma_f32 v87, v101, v132, -v87
	v_fmac_f32_e32 v143, v94, v128
	v_add_f32_e32 v86, v86, v142
	v_add_f32_e32 v85, v85, v87
	v_mul_f32_e32 v87, v104, v120
	v_fmac_f32_e32 v144, v96, v129
	v_add_f32_e32 v86, v86, v143
	s_waitcnt vmcnt(5)
	v_fma_f32 v87, v103, v133, -v87
	v_mul_f32_e32 v146, v99, v118
	v_fmac_f32_e32 v145, v98, v130
	v_add_f32_e32 v86, v86, v144
	v_add_f32_e32 v85, v85, v87
	s_waitcnt lgkmcnt(1)
	v_mul_f32_e32 v87, v106, v121
	v_mul_f32_e32 v147, v101, v119
	v_fmac_f32_e32 v146, v100, v131
	v_add_f32_e32 v86, v86, v145
	s_waitcnt vmcnt(4)
	v_fma_f32 v87, v105, v134, -v87
	v_mul_f32_e32 v148, v103, v120
	v_fmac_f32_e32 v147, v102, v132
	v_add_f32_e32 v86, v86, v146
	v_add_f32_e32 v85, v85, v87
	v_mul_f32_e32 v87, v108, v122
	v_mul_f32_e32 v149, v105, v121
	v_fmac_f32_e32 v148, v104, v133
	v_add_f32_e32 v86, v86, v147
	s_waitcnt vmcnt(3)
	v_fma_f32 v87, v107, v135, -v87
	v_mul_f32_e32 v150, v107, v122
	v_fmac_f32_e32 v149, v106, v134
	v_add_f32_e32 v86, v86, v148
	v_add_f32_e32 v85, v85, v87
	s_waitcnt lgkmcnt(0)
	v_mul_f32_e32 v87, v110, v123
	v_mul_f32_e32 v151, v109, v123
	v_fmac_f32_e32 v150, v108, v135
	v_add_f32_e32 v86, v86, v149
	s_waitcnt vmcnt(2)
	v_fma_f32 v87, v109, v136, -v87
	v_fmac_f32_e32 v151, v110, v136
	v_add_f32_e32 v86, v86, v150
	v_add_f32_e32 v85, v85, v87
	;; [unrolled: 1-line block ×3, first 2 shown]
	s_waitcnt vmcnt(1)
	v_sub_f32_e32 v85, v137, v85
	s_waitcnt vmcnt(0)
	v_sub_f32_e32 v86, v138, v86
	buffer_store_dword v85, off, s[0:3], 0 offset:216
	buffer_store_dword v86, off, s[0:3], 0 offset:220
	s_and_saveexec_b64 s[4:5], vcc
	s_cbranch_execz .LBB40_207
; %bb.206:
	buffer_load_dword v85, off, s[0:3], 0 offset:208
	buffer_load_dword v86, off, s[0:3], 0 offset:212
	s_waitcnt vmcnt(0)
	ds_write_b64 v83, v[85:86]
	buffer_store_dword v84, off, s[0:3], 0 offset:208
	buffer_store_dword v84, off, s[0:3], 0 offset:212
.LBB40_207:
	s_or_b64 exec, exec, s[4:5]
	s_waitcnt lgkmcnt(0)
	; wave barrier
	buffer_load_dword v113, off, s[0:3], 0 offset:220
	buffer_load_dword v114, off, s[0:3], 0 offset:228
	;; [unrolled: 1-line block ×30, first 2 shown]
	ds_read2_b64 v[85:88], v84 offset0:69 offset1:70
	ds_read2_b64 v[89:92], v84 offset0:71 offset1:72
	;; [unrolled: 1-line block ×7, first 2 shown]
	v_cmp_lt_u32_e32 vcc, 25, v0
	s_waitcnt vmcnt(29) lgkmcnt(6)
	v_mul_f32_e32 v84, v85, v113
	v_mul_f32_e32 v113, v86, v113
	s_waitcnt vmcnt(28)
	v_mul_f32_e32 v143, v87, v114
	v_mul_f32_e32 v114, v88, v114
	s_waitcnt vmcnt(27) lgkmcnt(5)
	v_mul_f32_e32 v144, v89, v115
	v_mul_f32_e32 v115, v90, v115
	s_waitcnt vmcnt(26)
	v_mul_f32_e32 v145, v91, v116
	v_mul_f32_e32 v116, v92, v116
	s_waitcnt vmcnt(25) lgkmcnt(4)
	v_mul_f32_e32 v146, v93, v117
	v_mul_f32_e32 v117, v94, v117
	s_waitcnt vmcnt(24)
	v_mul_f32_e32 v147, v95, v118
	s_waitcnt vmcnt(23) lgkmcnt(3)
	v_mul_f32_e32 v148, v97, v119
	s_waitcnt vmcnt(22)
	v_mul_f32_e32 v149, v99, v120
	s_waitcnt vmcnt(21) lgkmcnt(2)
	v_mul_f32_e32 v150, v101, v121
	s_waitcnt vmcnt(15)
	v_fma_f32 v85, v85, v127, -v113
	v_fmac_f32_e32 v84, v86, v127
	s_waitcnt vmcnt(14)
	v_fma_f32 v86, v87, v128, -v114
	v_add_f32_e32 v85, 0, v85
	s_waitcnt vmcnt(13)
	v_fma_f32 v87, v89, v129, -v115
	v_add_f32_e32 v85, v85, v86
	v_fmac_f32_e32 v143, v88, v128
	s_waitcnt vmcnt(12)
	v_fma_f32 v88, v91, v130, -v116
	v_add_f32_e32 v85, v85, v87
	s_waitcnt vmcnt(11)
	v_fma_f32 v89, v93, v131, -v117
	v_add_f32_e32 v85, v85, v88
	v_mul_f32_e32 v86, v96, v118
	v_add_f32_e32 v85, v85, v89
	s_waitcnt vmcnt(10)
	v_fma_f32 v86, v95, v132, -v86
	v_add_f32_e32 v85, v85, v86
	v_mul_f32_e32 v86, v98, v119
	s_waitcnt vmcnt(9)
	v_fma_f32 v86, v97, v133, -v86
	v_add_f32_e32 v85, v85, v86
	v_mul_f32_e32 v86, v100, v120
	s_waitcnt vmcnt(8)
	v_fma_f32 v86, v99, v134, -v86
	v_add_f32_e32 v84, 0, v84
	v_add_f32_e32 v85, v85, v86
	v_mul_f32_e32 v86, v102, v121
	v_fmac_f32_e32 v144, v90, v129
	v_add_f32_e32 v84, v84, v143
	s_waitcnt vmcnt(7)
	v_fma_f32 v86, v101, v135, -v86
	v_fmac_f32_e32 v145, v92, v130
	v_add_f32_e32 v84, v84, v144
	v_add_f32_e32 v85, v85, v86
	v_mul_f32_e32 v86, v104, v122
	v_fmac_f32_e32 v146, v94, v131
	v_add_f32_e32 v84, v84, v145
	s_waitcnt vmcnt(6)
	v_fma_f32 v86, v103, v136, -v86
	v_fmac_f32_e32 v147, v96, v132
	v_add_f32_e32 v84, v84, v146
	v_add_f32_e32 v85, v85, v86
	s_waitcnt lgkmcnt(1)
	v_mul_f32_e32 v86, v106, v123
	v_fmac_f32_e32 v148, v98, v133
	v_add_f32_e32 v84, v84, v147
	s_waitcnt vmcnt(5)
	v_fma_f32 v86, v105, v137, -v86
	v_fmac_f32_e32 v149, v100, v134
	v_add_f32_e32 v84, v84, v148
	v_add_f32_e32 v85, v85, v86
	v_mul_f32_e32 v86, v108, v124
	v_mul_f32_e32 v151, v103, v122
	v_fmac_f32_e32 v150, v102, v135
	v_add_f32_e32 v84, v84, v149
	s_waitcnt vmcnt(4)
	v_fma_f32 v86, v107, v138, -v86
	v_mul_f32_e32 v152, v105, v123
	v_fmac_f32_e32 v151, v104, v136
	v_add_f32_e32 v84, v84, v150
	v_add_f32_e32 v85, v85, v86
	s_waitcnt lgkmcnt(0)
	v_mul_f32_e32 v86, v110, v125
	v_mul_f32_e32 v153, v107, v124
	v_fmac_f32_e32 v152, v106, v137
	v_add_f32_e32 v84, v84, v151
	s_waitcnt vmcnt(3)
	v_fma_f32 v86, v109, v139, -v86
	v_mul_f32_e32 v154, v109, v125
	v_fmac_f32_e32 v153, v108, v138
	v_add_f32_e32 v84, v84, v152
	v_add_f32_e32 v85, v85, v86
	v_mul_f32_e32 v86, v112, v126
	v_mul_f32_e32 v155, v111, v126
	v_fmac_f32_e32 v154, v110, v139
	v_add_f32_e32 v84, v84, v153
	s_waitcnt vmcnt(2)
	v_fma_f32 v86, v111, v140, -v86
	v_fmac_f32_e32 v155, v112, v140
	v_add_f32_e32 v84, v84, v154
	v_add_f32_e32 v85, v85, v86
	;; [unrolled: 1-line block ×3, first 2 shown]
	s_waitcnt vmcnt(1)
	v_sub_f32_e32 v85, v141, v85
	s_waitcnt vmcnt(0)
	v_sub_f32_e32 v84, v142, v84
	buffer_store_dword v85, off, s[0:3], 0 offset:208
	buffer_store_dword v84, off, s[0:3], 0 offset:212
	s_and_saveexec_b64 s[4:5], vcc
	s_cbranch_execz .LBB40_209
; %bb.208:
	buffer_load_dword v84, off, s[0:3], 0 offset:200
	buffer_load_dword v85, off, s[0:3], 0 offset:204
	v_mov_b32_e32 v86, 0
	buffer_store_dword v86, off, s[0:3], 0 offset:200
	buffer_store_dword v86, off, s[0:3], 0 offset:204
	s_waitcnt vmcnt(2)
	ds_write_b64 v83, v[84:85]
.LBB40_209:
	s_or_b64 exec, exec, s[4:5]
	s_waitcnt lgkmcnt(0)
	; wave barrier
	buffer_load_dword v115, off, s[0:3], 0 offset:212
	buffer_load_dword v116, off, s[0:3], 0 offset:220
	;; [unrolled: 1-line block ×32, first 2 shown]
	v_mov_b32_e32 v84, 0
	ds_read_b128 v[85:88], v84 offset:544
	ds_read_b128 v[89:92], v84 offset:560
	;; [unrolled: 1-line block ×7, first 2 shown]
	ds_read_b64 v[113:114], v84 offset:656
	v_cmp_lt_u32_e32 vcc, 24, v0
	s_waitcnt vmcnt(31) lgkmcnt(7)
	v_mul_f32_e32 v147, v85, v115
	v_mul_f32_e32 v115, v86, v115
	s_waitcnt vmcnt(30)
	v_mul_f32_e32 v148, v87, v116
	v_mul_f32_e32 v116, v88, v116
	s_waitcnt vmcnt(29) lgkmcnt(6)
	v_mul_f32_e32 v149, v89, v117
	v_mul_f32_e32 v117, v90, v117
	s_waitcnt vmcnt(28)
	v_mul_f32_e32 v150, v91, v118
	s_waitcnt vmcnt(27) lgkmcnt(5)
	v_mul_f32_e32 v151, v93, v119
	s_waitcnt vmcnt(26)
	v_mul_f32_e32 v152, v95, v120
	s_waitcnt vmcnt(25) lgkmcnt(4)
	;; [unrolled: 4-line block ×4, first 2 shown]
	v_mul_f32_e32 v157, v105, v125
	s_waitcnt vmcnt(20)
	v_mul_f32_e32 v158, v107, v126
	s_waitcnt vmcnt(16)
	v_fma_f32 v85, v85, v130, -v115
	v_fmac_f32_e32 v147, v86, v130
	s_waitcnt vmcnt(15)
	v_fma_f32 v86, v87, v131, -v116
	v_add_f32_e32 v85, 0, v85
	s_waitcnt vmcnt(14)
	v_fma_f32 v87, v89, v132, -v117
	v_add_f32_e32 v85, v85, v86
	v_add_f32_e32 v85, v85, v87
	v_mul_f32_e32 v87, v92, v118
	s_waitcnt vmcnt(13)
	v_fma_f32 v87, v91, v133, -v87
	v_add_f32_e32 v85, v85, v87
	v_mul_f32_e32 v87, v94, v119
	s_waitcnt vmcnt(12)
	v_fma_f32 v87, v93, v134, -v87
	;; [unrolled: 4-line block ×5, first 2 shown]
	v_add_f32_e32 v85, v85, v87
	v_mul_f32_e32 v87, v102, v123
	v_fmac_f32_e32 v148, v88, v131
	v_add_f32_e32 v88, 0, v147
	s_waitcnt vmcnt(8)
	v_fma_f32 v87, v101, v138, -v87
	v_fmac_f32_e32 v149, v90, v132
	v_add_f32_e32 v88, v88, v148
	v_add_f32_e32 v85, v85, v87
	v_mul_f32_e32 v87, v104, v124
	v_fmac_f32_e32 v150, v92, v133
	v_add_f32_e32 v86, v88, v149
	s_waitcnt vmcnt(7)
	v_fma_f32 v87, v103, v139, -v87
	v_fmac_f32_e32 v151, v94, v134
	v_add_f32_e32 v86, v86, v150
	;; [unrolled: 8-line block ×4, first 2 shown]
	v_add_f32_e32 v85, v85, v87
	s_waitcnt lgkmcnt(1)
	v_mul_f32_e32 v87, v110, v127
	v_fmac_f32_e32 v156, v104, v139
	v_add_f32_e32 v86, v86, v155
	s_waitcnt vmcnt(4)
	v_fma_f32 v87, v109, v142, -v87
	v_fmac_f32_e32 v157, v106, v140
	v_add_f32_e32 v86, v86, v156
	v_add_f32_e32 v85, v85, v87
	v_mul_f32_e32 v87, v112, v128
	v_mul_f32_e32 v159, v109, v127
	v_fmac_f32_e32 v158, v108, v141
	v_add_f32_e32 v86, v86, v157
	s_waitcnt vmcnt(3)
	v_fma_f32 v87, v111, v143, -v87
	v_mul_f32_e32 v160, v111, v128
	v_fmac_f32_e32 v159, v110, v142
	v_add_f32_e32 v86, v86, v158
	v_add_f32_e32 v85, v85, v87
	s_waitcnt lgkmcnt(0)
	v_mul_f32_e32 v87, v114, v129
	v_mul_f32_e32 v161, v113, v129
	v_fmac_f32_e32 v160, v112, v143
	v_add_f32_e32 v86, v86, v159
	s_waitcnt vmcnt(2)
	v_fma_f32 v87, v113, v144, -v87
	v_fmac_f32_e32 v161, v114, v144
	v_add_f32_e32 v86, v86, v160
	v_add_f32_e32 v85, v85, v87
	;; [unrolled: 1-line block ×3, first 2 shown]
	s_waitcnt vmcnt(1)
	v_sub_f32_e32 v85, v145, v85
	s_waitcnt vmcnt(0)
	v_sub_f32_e32 v86, v146, v86
	buffer_store_dword v85, off, s[0:3], 0 offset:200
	buffer_store_dword v86, off, s[0:3], 0 offset:204
	s_and_saveexec_b64 s[4:5], vcc
	s_cbranch_execz .LBB40_211
; %bb.210:
	buffer_load_dword v85, off, s[0:3], 0 offset:192
	buffer_load_dword v86, off, s[0:3], 0 offset:196
	s_waitcnt vmcnt(0)
	ds_write_b64 v83, v[85:86]
	buffer_store_dword v84, off, s[0:3], 0 offset:192
	buffer_store_dword v84, off, s[0:3], 0 offset:196
.LBB40_211:
	s_or_b64 exec, exec, s[4:5]
	s_waitcnt lgkmcnt(0)
	; wave barrier
	buffer_load_dword v117, off, s[0:3], 0 offset:204
	buffer_load_dword v118, off, s[0:3], 0 offset:212
	;; [unrolled: 1-line block ×34, first 2 shown]
	ds_read2_b64 v[85:88], v84 offset0:67 offset1:68
	ds_read2_b64 v[89:92], v84 offset0:69 offset1:70
	;; [unrolled: 1-line block ×8, first 2 shown]
	v_cmp_lt_u32_e32 vcc, 23, v0
	s_waitcnt vmcnt(33) lgkmcnt(7)
	v_mul_f32_e32 v84, v85, v117
	v_mul_f32_e32 v117, v86, v117
	s_waitcnt vmcnt(32)
	v_mul_f32_e32 v151, v87, v118
	v_mul_f32_e32 v118, v88, v118
	s_waitcnt vmcnt(31) lgkmcnt(6)
	v_mul_f32_e32 v152, v89, v119
	s_waitcnt vmcnt(30)
	v_mul_f32_e32 v153, v91, v120
	s_waitcnt vmcnt(29) lgkmcnt(5)
	v_mul_f32_e32 v154, v93, v121
	s_waitcnt vmcnt(28)
	;; [unrolled: 4-line block ×6, first 2 shown]
	v_mul_f32_e32 v163, v111, v130
	s_waitcnt vmcnt(17)
	v_fma_f32 v85, v85, v133, -v117
	v_fmac_f32_e32 v84, v86, v133
	s_waitcnt vmcnt(16)
	v_fma_f32 v86, v87, v134, -v118
	v_add_f32_e32 v85, 0, v85
	v_add_f32_e32 v85, v85, v86
	v_mul_f32_e32 v86, v90, v119
	s_waitcnt vmcnt(15)
	v_fma_f32 v86, v89, v135, -v86
	v_add_f32_e32 v85, v85, v86
	v_mul_f32_e32 v86, v92, v120
	s_waitcnt vmcnt(14)
	v_fma_f32 v86, v91, v136, -v86
	;; [unrolled: 4-line block ×7, first 2 shown]
	v_fmac_f32_e32 v151, v88, v134
	v_add_f32_e32 v84, 0, v84
	v_add_f32_e32 v85, v85, v86
	v_mul_f32_e32 v86, v104, v126
	v_fmac_f32_e32 v152, v90, v135
	v_add_f32_e32 v84, v84, v151
	s_waitcnt vmcnt(8)
	v_fma_f32 v86, v103, v142, -v86
	v_fmac_f32_e32 v153, v92, v136
	v_add_f32_e32 v84, v84, v152
	v_add_f32_e32 v85, v85, v86
	v_mul_f32_e32 v86, v106, v127
	v_fmac_f32_e32 v154, v94, v137
	v_add_f32_e32 v84, v84, v153
	s_waitcnt vmcnt(7)
	v_fma_f32 v86, v105, v143, -v86
	;; [unrolled: 8-line block ×5, first 2 shown]
	v_fmac_f32_e32 v161, v108, v144
	v_add_f32_e32 v84, v84, v160
	v_add_f32_e32 v85, v85, v86
	s_waitcnt lgkmcnt(0)
	v_mul_f32_e32 v86, v114, v131
	v_fmac_f32_e32 v162, v110, v145
	v_add_f32_e32 v84, v84, v161
	s_waitcnt vmcnt(3)
	v_fma_f32 v86, v113, v147, -v86
	v_mul_f32_e32 v164, v113, v131
	v_fmac_f32_e32 v163, v112, v146
	v_add_f32_e32 v84, v84, v162
	v_add_f32_e32 v85, v85, v86
	v_mul_f32_e32 v86, v116, v132
	v_mul_f32_e32 v165, v115, v132
	v_fmac_f32_e32 v164, v114, v147
	v_add_f32_e32 v84, v84, v163
	s_waitcnt vmcnt(2)
	v_fma_f32 v86, v115, v148, -v86
	v_fmac_f32_e32 v165, v116, v148
	v_add_f32_e32 v84, v84, v164
	v_add_f32_e32 v85, v85, v86
	;; [unrolled: 1-line block ×3, first 2 shown]
	s_waitcnt vmcnt(1)
	v_sub_f32_e32 v85, v149, v85
	s_waitcnt vmcnt(0)
	v_sub_f32_e32 v84, v150, v84
	buffer_store_dword v85, off, s[0:3], 0 offset:192
	buffer_store_dword v84, off, s[0:3], 0 offset:196
	s_and_saveexec_b64 s[4:5], vcc
	s_cbranch_execz .LBB40_213
; %bb.212:
	buffer_load_dword v84, off, s[0:3], 0 offset:184
	buffer_load_dword v85, off, s[0:3], 0 offset:188
	v_mov_b32_e32 v86, 0
	buffer_store_dword v86, off, s[0:3], 0 offset:184
	buffer_store_dword v86, off, s[0:3], 0 offset:188
	s_waitcnt vmcnt(2)
	ds_write_b64 v83, v[84:85]
.LBB40_213:
	s_or_b64 exec, exec, s[4:5]
	s_waitcnt lgkmcnt(0)
	; wave barrier
	buffer_load_dword v119, off, s[0:3], 0 offset:196
	buffer_load_dword v120, off, s[0:3], 0 offset:204
	;; [unrolled: 1-line block ×36, first 2 shown]
	v_mov_b32_e32 v84, 0
	ds_read_b128 v[85:88], v84 offset:528
	ds_read_b128 v[89:92], v84 offset:544
	;; [unrolled: 1-line block ×8, first 2 shown]
	ds_read_b64 v[117:118], v84 offset:656
	v_cmp_lt_u32_e32 vcc, 22, v0
	s_waitcnt vmcnt(35) lgkmcnt(8)
	v_mul_f32_e32 v155, v85, v119
	s_waitcnt vmcnt(34)
	v_mul_f32_e32 v156, v87, v120
	s_waitcnt vmcnt(33) lgkmcnt(7)
	v_mul_f32_e32 v157, v89, v121
	s_waitcnt vmcnt(32)
	v_mul_f32_e32 v158, v91, v122
	;; [unrolled: 4-line block ×8, first 2 shown]
	s_waitcnt vmcnt(19) lgkmcnt(0)
	v_mul_f32_e32 v171, v117, v135
	s_waitcnt vmcnt(18)
	v_fmac_f32_e32 v155, v86, v136
	v_mul_f32_e32 v86, v86, v119
	v_fma_f32 v85, v85, v136, -v86
	v_mul_f32_e32 v86, v88, v120
	v_add_f32_e32 v85, 0, v85
	s_waitcnt vmcnt(17)
	v_fma_f32 v86, v87, v137, -v86
	v_add_f32_e32 v85, v85, v86
	v_mul_f32_e32 v86, v90, v121
	s_waitcnt vmcnt(16)
	v_fma_f32 v86, v89, v138, -v86
	v_add_f32_e32 v85, v85, v86
	v_mul_f32_e32 v86, v92, v122
	;; [unrolled: 4-line block ×8, first 2 shown]
	v_fmac_f32_e32 v156, v88, v137
	v_add_f32_e32 v155, 0, v155
	s_waitcnt vmcnt(9)
	v_fma_f32 v86, v103, v145, -v86
	v_fmac_f32_e32 v157, v90, v138
	v_add_f32_e32 v155, v155, v156
	v_add_f32_e32 v85, v85, v86
	v_mul_f32_e32 v86, v106, v129
	v_fmac_f32_e32 v158, v92, v139
	v_add_f32_e32 v155, v155, v157
	s_waitcnt vmcnt(8)
	v_fma_f32 v86, v105, v146, -v86
	v_fmac_f32_e32 v159, v94, v140
	v_add_f32_e32 v155, v155, v158
	v_add_f32_e32 v85, v85, v86
	v_mul_f32_e32 v86, v108, v130
	;; [unrolled: 8-line block ×7, first 2 shown]
	v_fmac_f32_e32 v170, v116, v151
	v_add_f32_e32 v155, v155, v169
	s_waitcnt vmcnt(2)
	v_fma_f32 v86, v117, v152, -v86
	v_fmac_f32_e32 v171, v118, v152
	v_add_f32_e32 v155, v155, v170
	v_add_f32_e32 v85, v85, v86
	;; [unrolled: 1-line block ×3, first 2 shown]
	s_waitcnt vmcnt(1)
	v_sub_f32_e32 v85, v153, v85
	s_waitcnt vmcnt(0)
	v_sub_f32_e32 v86, v154, v155
	buffer_store_dword v85, off, s[0:3], 0 offset:184
	buffer_store_dword v86, off, s[0:3], 0 offset:188
	s_and_saveexec_b64 s[4:5], vcc
	s_cbranch_execz .LBB40_215
; %bb.214:
	buffer_load_dword v85, off, s[0:3], 0 offset:176
	buffer_load_dword v86, off, s[0:3], 0 offset:180
	s_waitcnt vmcnt(0)
	ds_write_b64 v83, v[85:86]
	buffer_store_dword v84, off, s[0:3], 0 offset:176
	buffer_store_dword v84, off, s[0:3], 0 offset:180
.LBB40_215:
	s_or_b64 exec, exec, s[4:5]
	s_waitcnt lgkmcnt(0)
	; wave barrier
	buffer_load_dword v121, off, s[0:3], 0 offset:188
	buffer_load_dword v122, off, s[0:3], 0 offset:196
	;; [unrolled: 1-line block ×38, first 2 shown]
	ds_read2_b64 v[85:88], v84 offset0:65 offset1:66
	ds_read2_b64 v[89:92], v84 offset0:67 offset1:68
	;; [unrolled: 1-line block ×9, first 2 shown]
	v_cmp_lt_u32_e32 vcc, 21, v0
	s_waitcnt vmcnt(37) lgkmcnt(8)
	v_mul_f32_e32 v84, v85, v121
	s_waitcnt vmcnt(36)
	v_mul_f32_e32 v159, v87, v122
	s_waitcnt vmcnt(35) lgkmcnt(7)
	v_mul_f32_e32 v160, v89, v123
	s_waitcnt vmcnt(34)
	v_mul_f32_e32 v161, v91, v124
	;; [unrolled: 4-line block ×8, first 2 shown]
	s_waitcnt vmcnt(21) lgkmcnt(0)
	v_mul_f32_e32 v174, v117, v137
	s_waitcnt vmcnt(20)
	v_fmac_f32_e32 v84, v86, v138
	v_mul_f32_e32 v86, v86, v121
	v_fma_f32 v85, v85, v138, -v86
	v_mul_f32_e32 v86, v88, v122
	v_add_f32_e32 v85, 0, v85
	s_waitcnt vmcnt(19)
	v_fma_f32 v86, v87, v139, -v86
	v_add_f32_e32 v85, v85, v86
	v_mul_f32_e32 v86, v90, v123
	s_waitcnt vmcnt(18)
	v_fma_f32 v86, v89, v140, -v86
	v_add_f32_e32 v85, v85, v86
	v_mul_f32_e32 v86, v92, v124
	;; [unrolled: 4-line block ×8, first 2 shown]
	s_waitcnt vmcnt(11)
	v_fma_f32 v86, v103, v147, -v86
	v_fmac_f32_e32 v159, v88, v139
	v_add_f32_e32 v84, 0, v84
	v_add_f32_e32 v85, v85, v86
	v_mul_f32_e32 v86, v106, v131
	v_fmac_f32_e32 v160, v90, v140
	v_add_f32_e32 v84, v84, v159
	s_waitcnt vmcnt(10)
	v_fma_f32 v86, v105, v148, -v86
	v_fmac_f32_e32 v161, v92, v141
	v_add_f32_e32 v84, v84, v160
	v_add_f32_e32 v85, v85, v86
	v_mul_f32_e32 v86, v108, v132
	v_fmac_f32_e32 v162, v94, v142
	v_add_f32_e32 v84, v84, v161
	;; [unrolled: 8-line block ×7, first 2 shown]
	s_waitcnt vmcnt(4)
	v_fma_f32 v86, v117, v154, -v86
	v_fmac_f32_e32 v173, v116, v153
	v_add_f32_e32 v84, v84, v172
	v_add_f32_e32 v85, v85, v86
	s_waitcnt vmcnt(3)
	v_mul_f32_e32 v86, v120, v155
	v_add_f32_e32 v84, v84, v173
	v_fmac_f32_e32 v174, v118, v154
	v_mul_f32_e32 v159, v119, v155
	s_waitcnt vmcnt(2)
	v_fma_f32 v86, v119, v156, -v86
	v_add_f32_e32 v84, v84, v174
	v_fmac_f32_e32 v159, v120, v156
	v_add_f32_e32 v85, v85, v86
	v_add_f32_e32 v84, v84, v159
	s_waitcnt vmcnt(1)
	v_sub_f32_e32 v85, v157, v85
	s_waitcnt vmcnt(0)
	v_sub_f32_e32 v84, v158, v84
	buffer_store_dword v85, off, s[0:3], 0 offset:176
	buffer_store_dword v84, off, s[0:3], 0 offset:180
	s_and_saveexec_b64 s[4:5], vcc
	s_cbranch_execz .LBB40_217
; %bb.216:
	buffer_load_dword v84, off, s[0:3], 0 offset:168
	buffer_load_dword v85, off, s[0:3], 0 offset:172
	v_mov_b32_e32 v86, 0
	buffer_store_dword v86, off, s[0:3], 0 offset:168
	buffer_store_dword v86, off, s[0:3], 0 offset:172
	s_waitcnt vmcnt(2)
	ds_write_b64 v83, v[84:85]
.LBB40_217:
	s_or_b64 exec, exec, s[4:5]
	s_waitcnt lgkmcnt(0)
	; wave barrier
	buffer_load_dword v123, off, s[0:3], 0 offset:180
	buffer_load_dword v124, off, s[0:3], 0 offset:188
	;; [unrolled: 1-line block ×40, first 2 shown]
	v_mov_b32_e32 v84, 0
	ds_read_b128 v[85:88], v84 offset:512
	ds_read_b128 v[89:92], v84 offset:528
	;; [unrolled: 1-line block ×9, first 2 shown]
	v_cmp_lt_u32_e32 vcc, 20, v0
	s_waitcnt vmcnt(39) lgkmcnt(8)
	v_mul_f32_e32 v121, v85, v123
	s_waitcnt vmcnt(38)
	v_mul_f32_e32 v122, v87, v124
	s_waitcnt vmcnt(37) lgkmcnt(7)
	v_mul_f32_e32 v163, v89, v125
	s_waitcnt vmcnt(36)
	v_mul_f32_e32 v164, v91, v126
	;; [unrolled: 4-line block ×7, first 2 shown]
	s_waitcnt vmcnt(25) lgkmcnt(1)
	v_mul_f32_e32 v175, v113, v137
	s_waitcnt vmcnt(24)
	v_fmac_f32_e32 v121, v86, v138
	v_mul_f32_e32 v86, v86, v123
	v_fma_f32 v85, v85, v138, -v86
	v_mul_f32_e32 v86, v88, v124
	v_add_f32_e32 v85, 0, v85
	s_waitcnt vmcnt(23)
	v_fma_f32 v86, v87, v139, -v86
	v_add_f32_e32 v85, v85, v86
	v_mul_f32_e32 v86, v90, v125
	s_waitcnt vmcnt(22)
	v_fma_f32 v86, v89, v140, -v86
	v_add_f32_e32 v85, v85, v86
	v_mul_f32_e32 v86, v92, v126
	;; [unrolled: 4-line block ×6, first 2 shown]
	s_waitcnt vmcnt(17)
	v_fma_f32 v86, v99, v145, -v86
	v_fmac_f32_e32 v122, v88, v139
	v_add_f32_e32 v121, 0, v121
	v_add_f32_e32 v85, v85, v86
	v_mul_f32_e32 v86, v102, v131
	v_fmac_f32_e32 v163, v90, v140
	v_add_f32_e32 v121, v121, v122
	s_waitcnt vmcnt(16)
	v_fma_f32 v86, v101, v146, -v86
	v_fmac_f32_e32 v164, v92, v141
	v_add_f32_e32 v121, v121, v163
	v_add_f32_e32 v85, v85, v86
	v_mul_f32_e32 v86, v104, v132
	v_fmac_f32_e32 v165, v94, v142
	v_add_f32_e32 v121, v121, v164
	;; [unrolled: 8-line block ×6, first 2 shown]
	s_waitcnt vmcnt(11)
	v_fma_f32 v86, v111, v151, -v86
	v_fmac_f32_e32 v174, v112, v151
	v_add_f32_e32 v121, v121, v173
	v_add_f32_e32 v85, v85, v86
	v_mul_f32_e32 v86, v114, v137
	s_waitcnt vmcnt(10)
	v_fmac_f32_e32 v175, v114, v152
	v_add_f32_e32 v121, v121, v174
	s_waitcnt vmcnt(9)
	v_mul_f32_e32 v122, v115, v153
	v_fma_f32 v86, v113, v152, -v86
	v_add_f32_e32 v121, v121, v175
	s_waitcnt vmcnt(8)
	v_fmac_f32_e32 v122, v116, v154
	v_add_f32_e32 v85, v85, v86
	v_mul_f32_e32 v86, v116, v153
	v_add_f32_e32 v163, v121, v122
	ds_read_b64 v[121:122], v84 offset:656
	v_fma_f32 v86, v115, v154, -v86
	v_add_f32_e32 v85, v85, v86
	s_waitcnt vmcnt(7) lgkmcnt(1)
	v_mul_f32_e32 v86, v118, v155
	v_mul_f32_e32 v164, v117, v155
	s_waitcnt vmcnt(6)
	v_fma_f32 v86, v117, v156, -v86
	v_fmac_f32_e32 v164, v118, v156
	v_add_f32_e32 v85, v85, v86
	s_waitcnt vmcnt(5)
	v_mul_f32_e32 v86, v120, v157
	v_add_f32_e32 v163, v163, v164
	v_mul_f32_e32 v164, v119, v157
	s_waitcnt vmcnt(4)
	v_fma_f32 v86, v119, v158, -v86
	v_fmac_f32_e32 v164, v120, v158
	v_add_f32_e32 v85, v85, v86
	s_waitcnt vmcnt(3) lgkmcnt(0)
	v_mul_f32_e32 v86, v122, v159
	v_add_f32_e32 v163, v163, v164
	v_mul_f32_e32 v164, v121, v159
	s_waitcnt vmcnt(2)
	v_fma_f32 v86, v121, v160, -v86
	v_fmac_f32_e32 v164, v122, v160
	v_add_f32_e32 v85, v85, v86
	v_add_f32_e32 v163, v163, v164
	s_waitcnt vmcnt(1)
	v_sub_f32_e32 v85, v161, v85
	s_waitcnt vmcnt(0)
	v_sub_f32_e32 v86, v162, v163
	buffer_store_dword v85, off, s[0:3], 0 offset:168
	buffer_store_dword v86, off, s[0:3], 0 offset:172
	s_and_saveexec_b64 s[4:5], vcc
	s_cbranch_execz .LBB40_219
; %bb.218:
	buffer_load_dword v85, off, s[0:3], 0 offset:160
	buffer_load_dword v86, off, s[0:3], 0 offset:164
	s_waitcnt vmcnt(0)
	ds_write_b64 v83, v[85:86]
	buffer_store_dword v84, off, s[0:3], 0 offset:160
	buffer_store_dword v84, off, s[0:3], 0 offset:164
.LBB40_219:
	s_or_b64 exec, exec, s[4:5]
	s_waitcnt lgkmcnt(0)
	; wave barrier
	buffer_load_dword v125, off, s[0:3], 0 offset:172
	buffer_load_dword v126, off, s[0:3], 0 offset:180
	;; [unrolled: 1-line block ×42, first 2 shown]
	ds_read2_b64 v[85:88], v84 offset0:63 offset1:64
	ds_read2_b64 v[89:92], v84 offset0:65 offset1:66
	;; [unrolled: 1-line block ×8, first 2 shown]
	v_cmp_lt_u32_e32 vcc, 19, v0
	s_waitcnt vmcnt(41) lgkmcnt(7)
	v_mul_f32_e32 v117, v85, v125
	s_waitcnt vmcnt(40)
	v_mul_f32_e32 v118, v87, v126
	s_waitcnt vmcnt(39) lgkmcnt(6)
	v_mul_f32_e32 v119, v89, v127
	s_waitcnt vmcnt(38)
	v_mul_f32_e32 v120, v91, v128
	;; [unrolled: 4-line block ×7, first 2 shown]
	s_waitcnt vmcnt(27) lgkmcnt(0)
	v_mul_f32_e32 v173, v113, v139
	s_waitcnt vmcnt(26)
	v_fmac_f32_e32 v117, v86, v140
	v_mul_f32_e32 v86, v86, v125
	v_fma_f32 v85, v85, v140, -v86
	v_mul_f32_e32 v86, v88, v126
	v_add_f32_e32 v85, 0, v85
	s_waitcnt vmcnt(25)
	v_fma_f32 v86, v87, v141, -v86
	v_add_f32_e32 v85, v85, v86
	v_mul_f32_e32 v86, v90, v127
	s_waitcnt vmcnt(24)
	v_fma_f32 v86, v89, v142, -v86
	v_add_f32_e32 v85, v85, v86
	v_mul_f32_e32 v86, v92, v128
	;; [unrolled: 4-line block ×5, first 2 shown]
	v_fmac_f32_e32 v118, v88, v141
	v_add_f32_e32 v117, 0, v117
	s_waitcnt vmcnt(20)
	v_fma_f32 v86, v97, v146, -v86
	v_fmac_f32_e32 v119, v90, v142
	v_add_f32_e32 v117, v117, v118
	v_add_f32_e32 v85, v85, v86
	v_mul_f32_e32 v86, v100, v132
	v_fmac_f32_e32 v120, v92, v143
	v_add_f32_e32 v117, v117, v119
	s_waitcnt vmcnt(19)
	v_fma_f32 v86, v99, v147, -v86
	v_fmac_f32_e32 v121, v94, v144
	v_add_f32_e32 v117, v117, v120
	v_add_f32_e32 v85, v85, v86
	v_mul_f32_e32 v86, v102, v133
	;; [unrolled: 8-line block ×5, first 2 shown]
	s_waitcnt vmcnt(15)
	v_fmac_f32_e32 v170, v108, v151
	v_add_f32_e32 v117, v117, v169
	v_fma_f32 v86, v107, v151, -v86
	s_waitcnt vmcnt(14)
	v_fmac_f32_e32 v171, v110, v152
	v_add_f32_e32 v117, v117, v170
	v_add_f32_e32 v85, v85, v86
	v_mul_f32_e32 v86, v110, v137
	s_waitcnt vmcnt(13)
	v_fmac_f32_e32 v172, v112, v153
	v_add_f32_e32 v117, v117, v171
	v_fma_f32 v86, v109, v152, -v86
	s_waitcnt vmcnt(12)
	v_fmac_f32_e32 v173, v114, v154
	v_add_f32_e32 v117, v117, v172
	v_add_f32_e32 v85, v85, v86
	v_mul_f32_e32 v86, v112, v138
	v_add_f32_e32 v121, v117, v173
	ds_read2_b64 v[117:120], v84 offset0:79 offset1:80
	v_fma_f32 v86, v111, v153, -v86
	v_add_f32_e32 v85, v85, v86
	v_mul_f32_e32 v86, v114, v139
	s_waitcnt vmcnt(11)
	v_mul_f32_e32 v122, v115, v155
	v_fma_f32 v86, v113, v154, -v86
	s_waitcnt vmcnt(10)
	v_fmac_f32_e32 v122, v116, v156
	v_add_f32_e32 v85, v85, v86
	v_mul_f32_e32 v86, v116, v155
	v_add_f32_e32 v167, v121, v122
	ds_read2_b64 v[121:124], v84 offset0:81 offset1:82
	v_fma_f32 v86, v115, v156, -v86
	v_add_f32_e32 v85, v85, v86
	s_waitcnt vmcnt(9) lgkmcnt(1)
	v_mul_f32_e32 v86, v118, v157
	v_mul_f32_e32 v84, v117, v157
	s_waitcnt vmcnt(8)
	v_fma_f32 v86, v117, v158, -v86
	v_fmac_f32_e32 v84, v118, v158
	v_add_f32_e32 v85, v85, v86
	s_waitcnt vmcnt(7)
	v_mul_f32_e32 v86, v120, v159
	v_add_f32_e32 v84, v167, v84
	v_mul_f32_e32 v167, v119, v159
	s_waitcnt vmcnt(6)
	v_fma_f32 v86, v119, v160, -v86
	v_fmac_f32_e32 v167, v120, v160
	v_add_f32_e32 v85, v85, v86
	s_waitcnt vmcnt(5) lgkmcnt(0)
	v_mul_f32_e32 v86, v122, v161
	v_add_f32_e32 v84, v84, v167
	v_mul_f32_e32 v167, v121, v161
	s_waitcnt vmcnt(4)
	v_fma_f32 v86, v121, v162, -v86
	v_fmac_f32_e32 v167, v122, v162
	v_add_f32_e32 v85, v85, v86
	s_waitcnt vmcnt(3)
	v_mul_f32_e32 v86, v124, v163
	v_add_f32_e32 v84, v84, v167
	v_mul_f32_e32 v167, v123, v163
	s_waitcnt vmcnt(2)
	v_fma_f32 v86, v123, v164, -v86
	v_fmac_f32_e32 v167, v124, v164
	v_add_f32_e32 v85, v85, v86
	v_add_f32_e32 v84, v84, v167
	s_waitcnt vmcnt(1)
	v_sub_f32_e32 v85, v165, v85
	s_waitcnt vmcnt(0)
	v_sub_f32_e32 v84, v166, v84
	buffer_store_dword v85, off, s[0:3], 0 offset:160
	buffer_store_dword v84, off, s[0:3], 0 offset:164
	s_and_saveexec_b64 s[4:5], vcc
	s_cbranch_execz .LBB40_221
; %bb.220:
	buffer_load_dword v84, off, s[0:3], 0 offset:152
	buffer_load_dword v85, off, s[0:3], 0 offset:156
	v_mov_b32_e32 v86, 0
	buffer_store_dword v86, off, s[0:3], 0 offset:152
	buffer_store_dword v86, off, s[0:3], 0 offset:156
	s_waitcnt vmcnt(2)
	ds_write_b64 v83, v[84:85]
.LBB40_221:
	s_or_b64 exec, exec, s[4:5]
	s_waitcnt lgkmcnt(0)
	; wave barrier
	buffer_load_dword v127, off, s[0:3], 0 offset:164
	buffer_load_dword v128, off, s[0:3], 0 offset:172
	;; [unrolled: 1-line block ×44, first 2 shown]
	v_mov_b32_e32 v84, 0
	ds_read_b128 v[85:88], v84 offset:496
	ds_read_b128 v[89:92], v84 offset:512
	ds_read_b128 v[93:96], v84 offset:528
	ds_read_b128 v[97:100], v84 offset:544
	ds_read_b128 v[101:104], v84 offset:560
	ds_read_b128 v[105:108], v84 offset:576
	ds_read_b128 v[109:112], v84 offset:592
	ds_read_b128 v[113:116], v84 offset:608
	v_cmp_lt_u32_e32 vcc, 18, v0
	s_waitcnt vmcnt(43) lgkmcnt(7)
	v_mul_f32_e32 v117, v85, v127
	s_waitcnt vmcnt(42)
	v_mul_f32_e32 v118, v87, v128
	s_waitcnt vmcnt(41) lgkmcnt(6)
	v_mul_f32_e32 v119, v89, v129
	s_waitcnt vmcnt(40)
	v_mul_f32_e32 v120, v91, v130
	;; [unrolled: 4-line block ×7, first 2 shown]
	s_waitcnt vmcnt(29)
	v_fmac_f32_e32 v117, v86, v141
	v_mul_f32_e32 v86, v86, v127
	v_fma_f32 v85, v85, v141, -v86
	v_mul_f32_e32 v86, v88, v128
	v_add_f32_e32 v85, 0, v85
	s_waitcnt vmcnt(28)
	v_fma_f32 v86, v87, v142, -v86
	v_add_f32_e32 v85, v85, v86
	v_mul_f32_e32 v86, v90, v129
	s_waitcnt vmcnt(27)
	v_fma_f32 v86, v89, v143, -v86
	v_add_f32_e32 v85, v85, v86
	v_mul_f32_e32 v86, v92, v130
	;; [unrolled: 4-line block ×4, first 2 shown]
	s_waitcnt vmcnt(24)
	v_fma_f32 v86, v95, v146, -v86
	v_fmac_f32_e32 v118, v88, v142
	v_add_f32_e32 v117, 0, v117
	v_add_f32_e32 v85, v85, v86
	v_mul_f32_e32 v86, v98, v133
	v_fmac_f32_e32 v119, v90, v143
	v_add_f32_e32 v117, v117, v118
	s_waitcnt vmcnt(23)
	v_fma_f32 v86, v97, v147, -v86
	v_fmac_f32_e32 v120, v92, v144
	v_add_f32_e32 v117, v117, v119
	v_add_f32_e32 v85, v85, v86
	v_mul_f32_e32 v86, v100, v134
	v_fmac_f32_e32 v121, v94, v145
	v_add_f32_e32 v117, v117, v120
	;; [unrolled: 8-line block ×4, first 2 shown]
	s_waitcnt vmcnt(20)
	v_fma_f32 v86, v103, v150, -v86
	v_fmac_f32_e32 v126, v104, v150
	v_add_f32_e32 v117, v117, v125
	v_add_f32_e32 v85, v85, v86
	v_mul_f32_e32 v86, v106, v137
	s_waitcnt vmcnt(19)
	v_fmac_f32_e32 v171, v106, v151
	v_add_f32_e32 v117, v117, v126
	v_fma_f32 v86, v105, v151, -v86
	s_waitcnt vmcnt(18)
	v_fmac_f32_e32 v172, v108, v152
	v_add_f32_e32 v117, v117, v171
	v_add_f32_e32 v85, v85, v86
	v_mul_f32_e32 v86, v108, v138
	s_waitcnt vmcnt(17)
	v_fmac_f32_e32 v173, v110, v153
	v_add_f32_e32 v117, v117, v172
	v_fma_f32 v86, v107, v152, -v86
	v_add_f32_e32 v117, v117, v173
	s_waitcnt vmcnt(16)
	v_fmac_f32_e32 v174, v112, v154
	s_waitcnt vmcnt(15) lgkmcnt(0)
	v_mul_f32_e32 v118, v113, v155
	v_add_f32_e32 v85, v85, v86
	v_mul_f32_e32 v86, v110, v139
	v_add_f32_e32 v117, v117, v174
	s_waitcnt vmcnt(14)
	v_fmac_f32_e32 v118, v114, v156
	v_fma_f32 v86, v109, v153, -v86
	v_add_f32_e32 v121, v117, v118
	ds_read_b128 v[117:120], v84 offset:624
	v_add_f32_e32 v85, v85, v86
	v_mul_f32_e32 v86, v112, v140
	v_fma_f32 v86, v111, v154, -v86
	v_add_f32_e32 v85, v85, v86
	v_mul_f32_e32 v86, v114, v155
	s_waitcnt vmcnt(13)
	v_mul_f32_e32 v122, v115, v157
	v_fma_f32 v86, v113, v156, -v86
	s_waitcnt vmcnt(12)
	v_fmac_f32_e32 v122, v116, v158
	v_add_f32_e32 v85, v85, v86
	v_mul_f32_e32 v86, v116, v157
	v_add_f32_e32 v125, v121, v122
	ds_read_b128 v[121:124], v84 offset:640
	s_waitcnt vmcnt(11) lgkmcnt(1)
	v_mul_f32_e32 v126, v117, v159
	v_fma_f32 v86, v115, v158, -v86
	s_waitcnt vmcnt(10)
	v_fmac_f32_e32 v126, v118, v160
	v_add_f32_e32 v85, v85, v86
	v_mul_f32_e32 v86, v118, v159
	v_add_f32_e32 v125, v125, v126
	s_waitcnt vmcnt(9)
	v_mul_f32_e32 v126, v119, v161
	v_fma_f32 v86, v117, v160, -v86
	s_waitcnt vmcnt(8)
	v_fmac_f32_e32 v126, v120, v162
	v_add_f32_e32 v85, v85, v86
	v_mul_f32_e32 v86, v120, v161
	v_add_f32_e32 v171, v125, v126
	ds_read_b64 v[125:126], v84 offset:656
	v_fma_f32 v86, v119, v162, -v86
	v_add_f32_e32 v85, v85, v86
	s_waitcnt vmcnt(7) lgkmcnt(1)
	v_mul_f32_e32 v86, v122, v163
	v_mul_f32_e32 v172, v121, v163
	s_waitcnt vmcnt(6)
	v_fma_f32 v86, v121, v164, -v86
	v_fmac_f32_e32 v172, v122, v164
	v_add_f32_e32 v85, v85, v86
	s_waitcnt vmcnt(5)
	v_mul_f32_e32 v86, v124, v165
	v_add_f32_e32 v171, v171, v172
	v_mul_f32_e32 v172, v123, v165
	s_waitcnt vmcnt(4)
	v_fma_f32 v86, v123, v166, -v86
	v_fmac_f32_e32 v172, v124, v166
	v_add_f32_e32 v85, v85, v86
	s_waitcnt vmcnt(3) lgkmcnt(0)
	v_mul_f32_e32 v86, v126, v167
	v_add_f32_e32 v171, v171, v172
	v_mul_f32_e32 v172, v125, v167
	s_waitcnt vmcnt(2)
	v_fma_f32 v86, v125, v168, -v86
	v_fmac_f32_e32 v172, v126, v168
	v_add_f32_e32 v85, v85, v86
	v_add_f32_e32 v171, v171, v172
	s_waitcnt vmcnt(1)
	v_sub_f32_e32 v85, v169, v85
	s_waitcnt vmcnt(0)
	v_sub_f32_e32 v86, v170, v171
	buffer_store_dword v85, off, s[0:3], 0 offset:152
	buffer_store_dword v86, off, s[0:3], 0 offset:156
	s_and_saveexec_b64 s[4:5], vcc
	s_cbranch_execz .LBB40_223
; %bb.222:
	buffer_load_dword v85, off, s[0:3], 0 offset:144
	buffer_load_dword v86, off, s[0:3], 0 offset:148
	s_waitcnt vmcnt(0)
	ds_write_b64 v83, v[85:86]
	buffer_store_dword v84, off, s[0:3], 0 offset:144
	buffer_store_dword v84, off, s[0:3], 0 offset:148
.LBB40_223:
	s_or_b64 exec, exec, s[4:5]
	s_waitcnt lgkmcnt(0)
	; wave barrier
	buffer_load_dword v129, off, s[0:3], 0 offset:156
	buffer_load_dword v130, off, s[0:3], 0 offset:164
	;; [unrolled: 1-line block ×46, first 2 shown]
	ds_read2_b64 v[85:88], v84 offset0:61 offset1:62
	ds_read2_b64 v[89:92], v84 offset0:63 offset1:64
	;; [unrolled: 1-line block ×8, first 2 shown]
	v_cmp_lt_u32_e32 vcc, 17, v0
	s_waitcnt vmcnt(45) lgkmcnt(7)
	v_mul_f32_e32 v117, v85, v129
	s_waitcnt vmcnt(44)
	v_mul_f32_e32 v118, v87, v130
	s_waitcnt vmcnt(43) lgkmcnt(6)
	v_mul_f32_e32 v119, v89, v131
	s_waitcnt vmcnt(42)
	v_mul_f32_e32 v120, v91, v132
	;; [unrolled: 4-line block ×6, first 2 shown]
	s_waitcnt vmcnt(33) lgkmcnt(1)
	v_mul_f32_e32 v175, v109, v141
	s_waitcnt vmcnt(32)
	v_fmac_f32_e32 v117, v86, v142
	v_mul_f32_e32 v86, v86, v129
	v_fma_f32 v85, v85, v142, -v86
	v_mul_f32_e32 v86, v88, v130
	v_add_f32_e32 v85, 0, v85
	s_waitcnt vmcnt(31)
	v_fma_f32 v86, v87, v143, -v86
	v_add_f32_e32 v85, v85, v86
	v_mul_f32_e32 v86, v90, v131
	s_waitcnt vmcnt(30)
	v_fma_f32 v86, v89, v144, -v86
	v_add_f32_e32 v85, v85, v86
	v_mul_f32_e32 v86, v92, v132
	;; [unrolled: 4-line block ×4, first 2 shown]
	v_fmac_f32_e32 v118, v88, v143
	v_add_f32_e32 v117, 0, v117
	s_waitcnt vmcnt(27)
	v_fma_f32 v86, v95, v147, -v86
	v_fmac_f32_e32 v119, v90, v144
	v_add_f32_e32 v117, v117, v118
	v_add_f32_e32 v85, v85, v86
	v_mul_f32_e32 v86, v98, v135
	v_fmac_f32_e32 v120, v92, v145
	v_add_f32_e32 v117, v117, v119
	s_waitcnt vmcnt(26)
	v_fma_f32 v86, v97, v148, -v86
	v_fmac_f32_e32 v121, v94, v146
	v_add_f32_e32 v117, v117, v120
	v_add_f32_e32 v85, v85, v86
	v_mul_f32_e32 v86, v100, v136
	;; [unrolled: 8-line block ×4, first 2 shown]
	s_waitcnt vmcnt(23)
	v_fmac_f32_e32 v126, v104, v151
	v_add_f32_e32 v117, v117, v125
	v_fma_f32 v86, v103, v151, -v86
	s_waitcnt vmcnt(22)
	v_fmac_f32_e32 v127, v106, v152
	v_add_f32_e32 v117, v117, v126
	v_add_f32_e32 v85, v85, v86
	v_mul_f32_e32 v86, v106, v139
	s_waitcnt vmcnt(21)
	v_fmac_f32_e32 v128, v108, v153
	v_add_f32_e32 v117, v117, v127
	v_fma_f32 v86, v105, v152, -v86
	s_waitcnt vmcnt(20)
	v_fmac_f32_e32 v175, v110, v154
	v_add_f32_e32 v117, v117, v128
	s_waitcnt vmcnt(19)
	v_mul_f32_e32 v118, v111, v155
	v_add_f32_e32 v85, v85, v86
	v_mul_f32_e32 v86, v108, v140
	v_add_f32_e32 v117, v117, v175
	s_waitcnt vmcnt(18)
	v_fmac_f32_e32 v118, v112, v156
	v_fma_f32 v86, v107, v153, -v86
	v_add_f32_e32 v117, v117, v118
	s_waitcnt vmcnt(17) lgkmcnt(0)
	v_mul_f32_e32 v118, v113, v157
	v_add_f32_e32 v85, v85, v86
	v_mul_f32_e32 v86, v110, v141
	s_waitcnt vmcnt(16)
	v_fmac_f32_e32 v118, v114, v158
	v_fma_f32 v86, v109, v154, -v86
	v_add_f32_e32 v121, v117, v118
	ds_read2_b64 v[117:120], v84 offset0:77 offset1:78
	v_add_f32_e32 v85, v85, v86
	v_mul_f32_e32 v86, v112, v155
	v_fma_f32 v86, v111, v156, -v86
	v_add_f32_e32 v85, v85, v86
	v_mul_f32_e32 v86, v114, v157
	s_waitcnt vmcnt(15)
	v_mul_f32_e32 v122, v115, v159
	v_fma_f32 v86, v113, v158, -v86
	s_waitcnt vmcnt(14)
	v_fmac_f32_e32 v122, v116, v160
	v_add_f32_e32 v85, v85, v86
	v_mul_f32_e32 v86, v116, v159
	v_add_f32_e32 v125, v121, v122
	ds_read2_b64 v[121:124], v84 offset0:79 offset1:80
	s_waitcnt vmcnt(13) lgkmcnt(1)
	v_mul_f32_e32 v126, v117, v161
	v_fma_f32 v86, v115, v160, -v86
	s_waitcnt vmcnt(12)
	v_fmac_f32_e32 v126, v118, v162
	v_add_f32_e32 v85, v85, v86
	v_mul_f32_e32 v86, v118, v161
	v_add_f32_e32 v125, v125, v126
	s_waitcnt vmcnt(11)
	v_mul_f32_e32 v126, v119, v163
	v_fma_f32 v86, v117, v162, -v86
	s_waitcnt vmcnt(10)
	v_fmac_f32_e32 v126, v120, v164
	v_add_f32_e32 v85, v85, v86
	v_mul_f32_e32 v86, v120, v163
	v_add_f32_e32 v175, v125, v126
	ds_read2_b64 v[125:128], v84 offset0:81 offset1:82
	v_fma_f32 v86, v119, v164, -v86
	v_add_f32_e32 v85, v85, v86
	s_waitcnt vmcnt(9) lgkmcnt(1)
	v_mul_f32_e32 v86, v122, v165
	v_mul_f32_e32 v176, v121, v165
	s_waitcnt vmcnt(8)
	v_fma_f32 v86, v121, v166, -v86
	v_fmac_f32_e32 v176, v122, v166
	v_add_f32_e32 v85, v85, v86
	s_waitcnt vmcnt(7)
	v_mul_f32_e32 v86, v124, v167
	v_add_f32_e32 v84, v175, v176
	v_mul_f32_e32 v175, v123, v167
	s_waitcnt vmcnt(6)
	v_fma_f32 v86, v123, v168, -v86
	v_fmac_f32_e32 v175, v124, v168
	v_add_f32_e32 v85, v85, v86
	s_waitcnt vmcnt(5) lgkmcnt(0)
	v_mul_f32_e32 v86, v126, v169
	v_add_f32_e32 v84, v84, v175
	v_mul_f32_e32 v175, v125, v169
	s_waitcnt vmcnt(4)
	v_fma_f32 v86, v125, v170, -v86
	v_fmac_f32_e32 v175, v126, v170
	v_add_f32_e32 v85, v85, v86
	s_waitcnt vmcnt(3)
	v_mul_f32_e32 v86, v128, v171
	v_add_f32_e32 v84, v84, v175
	v_mul_f32_e32 v175, v127, v171
	s_waitcnt vmcnt(2)
	v_fma_f32 v86, v127, v172, -v86
	v_fmac_f32_e32 v175, v128, v172
	v_add_f32_e32 v85, v85, v86
	v_add_f32_e32 v84, v84, v175
	s_waitcnt vmcnt(1)
	v_sub_f32_e32 v85, v173, v85
	s_waitcnt vmcnt(0)
	v_sub_f32_e32 v84, v174, v84
	buffer_store_dword v85, off, s[0:3], 0 offset:144
	buffer_store_dword v84, off, s[0:3], 0 offset:148
	s_and_saveexec_b64 s[4:5], vcc
	s_cbranch_execz .LBB40_225
; %bb.224:
	buffer_load_dword v84, off, s[0:3], 0 offset:136
	buffer_load_dword v85, off, s[0:3], 0 offset:140
	v_mov_b32_e32 v86, 0
	buffer_store_dword v86, off, s[0:3], 0 offset:136
	buffer_store_dword v86, off, s[0:3], 0 offset:140
	s_waitcnt vmcnt(2)
	ds_write_b64 v83, v[84:85]
.LBB40_225:
	s_or_b64 exec, exec, s[4:5]
	s_waitcnt lgkmcnt(0)
	; wave barrier
	buffer_load_dword v131, off, s[0:3], 0 offset:148
	buffer_load_dword v132, off, s[0:3], 0 offset:156
	buffer_load_dword v133, off, s[0:3], 0 offset:164
	buffer_load_dword v134, off, s[0:3], 0 offset:172
	buffer_load_dword v135, off, s[0:3], 0 offset:180
	buffer_load_dword v136, off, s[0:3], 0 offset:188
	buffer_load_dword v137, off, s[0:3], 0 offset:196
	buffer_load_dword v138, off, s[0:3], 0 offset:204
	buffer_load_dword v139, off, s[0:3], 0 offset:212
	buffer_load_dword v140, off, s[0:3], 0 offset:220
	buffer_load_dword v141, off, s[0:3], 0 offset:228
	buffer_load_dword v142, off, s[0:3], 0 offset:236
	buffer_load_dword v143, off, s[0:3], 0 offset:144
	buffer_load_dword v144, off, s[0:3], 0 offset:152
	buffer_load_dword v145, off, s[0:3], 0 offset:160
	buffer_load_dword v146, off, s[0:3], 0 offset:168
	buffer_load_dword v147, off, s[0:3], 0 offset:176
	buffer_load_dword v148, off, s[0:3], 0 offset:184
	buffer_load_dword v149, off, s[0:3], 0 offset:192
	buffer_load_dword v150, off, s[0:3], 0 offset:200
	buffer_load_dword v151, off, s[0:3], 0 offset:208
	buffer_load_dword v152, off, s[0:3], 0 offset:216
	buffer_load_dword v153, off, s[0:3], 0 offset:224
	buffer_load_dword v154, off, s[0:3], 0 offset:232
	buffer_load_dword v155, off, s[0:3], 0 offset:244
	buffer_load_dword v156, off, s[0:3], 0 offset:240
	buffer_load_dword v157, off, s[0:3], 0 offset:252
	buffer_load_dword v158, off, s[0:3], 0 offset:248
	buffer_load_dword v159, off, s[0:3], 0 offset:260
	buffer_load_dword v160, off, s[0:3], 0 offset:256
	buffer_load_dword v161, off, s[0:3], 0 offset:268
	buffer_load_dword v162, off, s[0:3], 0 offset:264
	buffer_load_dword v163, off, s[0:3], 0 offset:276
	buffer_load_dword v164, off, s[0:3], 0 offset:272
	buffer_load_dword v165, off, s[0:3], 0 offset:284
	buffer_load_dword v166, off, s[0:3], 0 offset:280
	buffer_load_dword v167, off, s[0:3], 0 offset:292
	buffer_load_dword v168, off, s[0:3], 0 offset:288
	buffer_load_dword v169, off, s[0:3], 0 offset:300
	buffer_load_dword v170, off, s[0:3], 0 offset:296
	buffer_load_dword v171, off, s[0:3], 0 offset:304
	buffer_load_dword v172, off, s[0:3], 0 offset:308
	buffer_load_dword v173, off, s[0:3], 0 offset:136
	buffer_load_dword v174, off, s[0:3], 0 offset:140
	buffer_load_dword v175, off, s[0:3], 0 offset:316
	buffer_load_dword v176, off, s[0:3], 0 offset:312
	buffer_load_dword v177, off, s[0:3], 0 offset:320
	buffer_load_dword v178, off, s[0:3], 0 offset:324
	v_mov_b32_e32 v84, 0
	ds_read_b128 v[85:88], v84 offset:480
	ds_read_b128 v[89:92], v84 offset:496
	;; [unrolled: 1-line block ×7, first 2 shown]
	v_cmp_lt_u32_e32 vcc, 16, v0
	s_waitcnt vmcnt(47) lgkmcnt(6)
	v_mul_f32_e32 v113, v85, v131
	s_waitcnt vmcnt(46)
	v_mul_f32_e32 v114, v87, v132
	s_waitcnt vmcnt(45) lgkmcnt(5)
	v_mul_f32_e32 v115, v89, v133
	s_waitcnt vmcnt(44)
	v_mul_f32_e32 v116, v91, v134
	;; [unrolled: 4-line block ×6, first 2 shown]
	s_waitcnt vmcnt(35)
	v_fmac_f32_e32 v113, v86, v143
	v_mul_f32_e32 v86, v86, v131
	v_fma_f32 v85, v85, v143, -v86
	v_mul_f32_e32 v86, v88, v132
	v_add_f32_e32 v85, 0, v85
	s_waitcnt vmcnt(34)
	v_fma_f32 v86, v87, v144, -v86
	v_add_f32_e32 v85, v85, v86
	v_mul_f32_e32 v86, v90, v133
	s_waitcnt vmcnt(33)
	v_fma_f32 v86, v89, v145, -v86
	v_fmac_f32_e32 v114, v88, v144
	v_add_f32_e32 v113, 0, v113
	v_add_f32_e32 v85, v85, v86
	v_mul_f32_e32 v86, v92, v134
	v_fmac_f32_e32 v115, v90, v145
	v_add_f32_e32 v113, v113, v114
	s_waitcnt vmcnt(32)
	v_fma_f32 v86, v91, v146, -v86
	v_fmac_f32_e32 v116, v92, v146
	v_add_f32_e32 v113, v113, v115
	v_add_f32_e32 v85, v85, v86
	v_mul_f32_e32 v86, v94, v135
	s_waitcnt vmcnt(31)
	v_fmac_f32_e32 v117, v94, v147
	v_add_f32_e32 v113, v113, v116
	v_fma_f32 v86, v93, v147, -v86
	s_waitcnt vmcnt(30)
	v_fmac_f32_e32 v118, v96, v148
	v_add_f32_e32 v113, v113, v117
	v_add_f32_e32 v85, v85, v86
	v_mul_f32_e32 v86, v96, v136
	s_waitcnt vmcnt(29)
	v_fmac_f32_e32 v119, v98, v149
	v_add_f32_e32 v113, v113, v118
	v_fma_f32 v86, v95, v148, -v86
	s_waitcnt vmcnt(28)
	;; [unrolled: 9-line block ×4, first 2 shown]
	v_fmac_f32_e32 v124, v108, v154
	v_add_f32_e32 v113, v113, v123
	v_add_f32_e32 v85, v85, v86
	v_mul_f32_e32 v86, v102, v139
	v_add_f32_e32 v117, v113, v124
	ds_read_b128 v[113:116], v84 offset:592
	v_fma_f32 v86, v101, v151, -v86
	s_waitcnt vmcnt(23) lgkmcnt(1)
	v_mul_f32_e32 v118, v109, v155
	v_add_f32_e32 v85, v85, v86
	v_mul_f32_e32 v86, v104, v140
	s_waitcnt vmcnt(22)
	v_fmac_f32_e32 v118, v110, v156
	v_fma_f32 v86, v103, v152, -v86
	v_add_f32_e32 v117, v117, v118
	s_waitcnt vmcnt(21)
	v_mul_f32_e32 v118, v111, v157
	v_add_f32_e32 v85, v85, v86
	v_mul_f32_e32 v86, v106, v141
	s_waitcnt vmcnt(20)
	v_fmac_f32_e32 v118, v112, v158
	v_fma_f32 v86, v105, v153, -v86
	v_add_f32_e32 v117, v117, v118
	s_waitcnt vmcnt(19) lgkmcnt(0)
	v_mul_f32_e32 v118, v113, v159
	v_add_f32_e32 v85, v85, v86
	v_mul_f32_e32 v86, v108, v142
	s_waitcnt vmcnt(18)
	v_fmac_f32_e32 v118, v114, v160
	v_fma_f32 v86, v107, v154, -v86
	v_add_f32_e32 v121, v117, v118
	ds_read_b128 v[117:120], v84 offset:608
	v_add_f32_e32 v85, v85, v86
	v_mul_f32_e32 v86, v110, v155
	v_fma_f32 v86, v109, v156, -v86
	s_waitcnt vmcnt(17)
	v_mul_f32_e32 v122, v115, v161
	v_add_f32_e32 v85, v85, v86
	v_mul_f32_e32 v86, v112, v157
	s_waitcnt vmcnt(16)
	v_fmac_f32_e32 v122, v116, v162
	v_fma_f32 v86, v111, v158, -v86
	v_add_f32_e32 v125, v121, v122
	ds_read_b128 v[121:124], v84 offset:624
	v_add_f32_e32 v85, v85, v86
	v_mul_f32_e32 v86, v114, v159
	s_waitcnt vmcnt(15) lgkmcnt(1)
	v_mul_f32_e32 v126, v117, v163
	v_fma_f32 v86, v113, v160, -v86
	s_waitcnt vmcnt(14)
	v_fmac_f32_e32 v126, v118, v164
	v_add_f32_e32 v85, v85, v86
	v_mul_f32_e32 v86, v116, v161
	v_add_f32_e32 v125, v125, v126
	s_waitcnt vmcnt(13)
	v_mul_f32_e32 v126, v119, v165
	v_fma_f32 v86, v115, v162, -v86
	s_waitcnt vmcnt(12)
	v_fmac_f32_e32 v126, v120, v166
	v_add_f32_e32 v85, v85, v86
	v_mul_f32_e32 v86, v118, v163
	v_add_f32_e32 v125, v125, v126
	s_waitcnt vmcnt(11) lgkmcnt(0)
	v_mul_f32_e32 v126, v121, v167
	v_fma_f32 v86, v117, v164, -v86
	s_waitcnt vmcnt(10)
	v_fmac_f32_e32 v126, v122, v168
	v_add_f32_e32 v85, v85, v86
	v_mul_f32_e32 v86, v120, v165
	v_add_f32_e32 v129, v125, v126
	ds_read_b128 v[125:128], v84 offset:640
	v_fma_f32 v86, v119, v166, -v86
	v_add_f32_e32 v85, v85, v86
	v_mul_f32_e32 v86, v122, v167
	s_waitcnt vmcnt(9)
	v_mul_f32_e32 v130, v123, v169
	v_fma_f32 v86, v121, v168, -v86
	s_waitcnt vmcnt(8)
	v_fmac_f32_e32 v130, v124, v170
	v_add_f32_e32 v85, v85, v86
	v_mul_f32_e32 v86, v124, v169
	v_add_f32_e32 v179, v129, v130
	ds_read_b64 v[129:130], v84 offset:656
	v_fma_f32 v86, v123, v170, -v86
	v_add_f32_e32 v85, v85, v86
	s_waitcnt vmcnt(6) lgkmcnt(1)
	v_mul_f32_e32 v86, v126, v172
	v_mul_f32_e32 v180, v125, v172
	v_fma_f32 v86, v125, v171, -v86
	v_fmac_f32_e32 v180, v126, v171
	v_add_f32_e32 v85, v85, v86
	s_waitcnt vmcnt(3)
	v_mul_f32_e32 v86, v128, v175
	v_add_f32_e32 v179, v179, v180
	v_mul_f32_e32 v180, v127, v175
	s_waitcnt vmcnt(2)
	v_fma_f32 v86, v127, v176, -v86
	v_fmac_f32_e32 v180, v128, v176
	v_add_f32_e32 v85, v85, v86
	s_waitcnt vmcnt(0) lgkmcnt(0)
	v_mul_f32_e32 v86, v130, v178
	v_add_f32_e32 v179, v179, v180
	v_mul_f32_e32 v180, v129, v178
	v_fma_f32 v86, v129, v177, -v86
	v_fmac_f32_e32 v180, v130, v177
	v_add_f32_e32 v85, v85, v86
	v_add_f32_e32 v179, v179, v180
	v_sub_f32_e32 v85, v173, v85
	v_sub_f32_e32 v86, v174, v179
	buffer_store_dword v85, off, s[0:3], 0 offset:136
	buffer_store_dword v86, off, s[0:3], 0 offset:140
	s_and_saveexec_b64 s[4:5], vcc
	s_cbranch_execz .LBB40_227
; %bb.226:
	buffer_load_dword v85, off, s[0:3], 0 offset:128
	buffer_load_dword v86, off, s[0:3], 0 offset:132
	s_waitcnt vmcnt(0)
	ds_write_b64 v83, v[85:86]
	buffer_store_dword v84, off, s[0:3], 0 offset:128
	buffer_store_dword v84, off, s[0:3], 0 offset:132
.LBB40_227:
	s_or_b64 exec, exec, s[4:5]
	s_waitcnt lgkmcnt(0)
	; wave barrier
	buffer_load_dword v133, off, s[0:3], 0 offset:140
	buffer_load_dword v134, off, s[0:3], 0 offset:148
	;; [unrolled: 1-line block ×48, first 2 shown]
	ds_read2_b64 v[85:88], v84 offset0:59 offset1:60
	ds_read2_b64 v[89:92], v84 offset0:61 offset1:62
	buffer_load_dword v181, off, s[0:3], 0 offset:320
	buffer_load_dword v182, off, s[0:3], 0 offset:324
	ds_read2_b64 v[93:96], v84 offset0:63 offset1:64
	ds_read2_b64 v[97:100], v84 offset0:65 offset1:66
	;; [unrolled: 1-line block ×5, first 2 shown]
	v_cmp_lt_u32_e32 vcc, 15, v0
	s_waitcnt vmcnt(49) lgkmcnt(6)
	v_mul_f32_e32 v113, v85, v133
	s_waitcnt vmcnt(48)
	v_mul_f32_e32 v114, v87, v134
	s_waitcnt vmcnt(47) lgkmcnt(5)
	v_mul_f32_e32 v115, v89, v135
	s_waitcnt vmcnt(46)
	v_mul_f32_e32 v116, v91, v136
	;; [unrolled: 4-line block ×6, first 2 shown]
	s_waitcnt vmcnt(37)
	v_fmac_f32_e32 v113, v86, v145
	v_mul_f32_e32 v86, v86, v133
	v_fma_f32 v85, v85, v145, -v86
	v_mul_f32_e32 v86, v88, v134
	v_add_f32_e32 v85, 0, v85
	s_waitcnt vmcnt(36)
	v_fma_f32 v86, v87, v146, -v86
	v_add_f32_e32 v85, v85, v86
	v_mul_f32_e32 v86, v90, v135
	s_waitcnt vmcnt(35)
	v_fma_f32 v86, v89, v147, -v86
	v_fmac_f32_e32 v114, v88, v146
	v_add_f32_e32 v113, 0, v113
	v_add_f32_e32 v85, v85, v86
	v_mul_f32_e32 v86, v92, v136
	v_fmac_f32_e32 v115, v90, v147
	v_add_f32_e32 v113, v113, v114
	s_waitcnt vmcnt(34)
	v_fma_f32 v86, v91, v148, -v86
	v_fmac_f32_e32 v116, v92, v148
	v_add_f32_e32 v113, v113, v115
	v_add_f32_e32 v85, v85, v86
	v_mul_f32_e32 v86, v94, v137
	s_waitcnt vmcnt(33)
	v_fmac_f32_e32 v117, v94, v149
	v_add_f32_e32 v113, v113, v116
	v_fma_f32 v86, v93, v149, -v86
	s_waitcnt vmcnt(32)
	v_fmac_f32_e32 v118, v96, v150
	v_add_f32_e32 v113, v113, v117
	v_add_f32_e32 v85, v85, v86
	v_mul_f32_e32 v86, v96, v138
	s_waitcnt vmcnt(31)
	v_fmac_f32_e32 v119, v98, v151
	v_add_f32_e32 v113, v113, v118
	v_fma_f32 v86, v95, v150, -v86
	s_waitcnt vmcnt(30)
	;; [unrolled: 9-line block ×3, first 2 shown]
	v_fmac_f32_e32 v122, v104, v154
	v_add_f32_e32 v113, v113, v121
	v_add_f32_e32 v85, v85, v86
	v_mul_f32_e32 v86, v100, v140
	s_waitcnt vmcnt(27)
	v_fmac_f32_e32 v123, v106, v155
	v_add_f32_e32 v113, v113, v122
	v_fma_f32 v86, v99, v152, -v86
	v_add_f32_e32 v113, v113, v123
	s_waitcnt vmcnt(26)
	v_fmac_f32_e32 v124, v108, v156
	v_add_f32_e32 v85, v85, v86
	v_mul_f32_e32 v86, v102, v141
	v_add_f32_e32 v117, v113, v124
	ds_read2_b64 v[113:116], v84 offset0:73 offset1:74
	v_fma_f32 v86, v101, v153, -v86
	s_waitcnt vmcnt(25) lgkmcnt(1)
	v_mul_f32_e32 v118, v109, v157
	v_add_f32_e32 v85, v85, v86
	v_mul_f32_e32 v86, v104, v142
	s_waitcnt vmcnt(24)
	v_fmac_f32_e32 v118, v110, v158
	v_fma_f32 v86, v103, v154, -v86
	v_add_f32_e32 v117, v117, v118
	s_waitcnt vmcnt(23)
	v_mul_f32_e32 v118, v111, v159
	v_add_f32_e32 v85, v85, v86
	v_mul_f32_e32 v86, v106, v143
	s_waitcnt vmcnt(22)
	v_fmac_f32_e32 v118, v112, v160
	v_fma_f32 v86, v105, v155, -v86
	v_add_f32_e32 v117, v117, v118
	s_waitcnt vmcnt(21) lgkmcnt(0)
	v_mul_f32_e32 v118, v113, v161
	v_add_f32_e32 v85, v85, v86
	v_mul_f32_e32 v86, v108, v144
	s_waitcnt vmcnt(20)
	v_fmac_f32_e32 v118, v114, v162
	v_fma_f32 v86, v107, v156, -v86
	v_add_f32_e32 v121, v117, v118
	ds_read2_b64 v[117:120], v84 offset0:75 offset1:76
	v_add_f32_e32 v85, v85, v86
	v_mul_f32_e32 v86, v110, v157
	v_fma_f32 v86, v109, v158, -v86
	s_waitcnt vmcnt(19)
	v_mul_f32_e32 v122, v115, v163
	v_add_f32_e32 v85, v85, v86
	v_mul_f32_e32 v86, v112, v159
	s_waitcnt vmcnt(18)
	v_fmac_f32_e32 v122, v116, v164
	v_fma_f32 v86, v111, v160, -v86
	v_add_f32_e32 v125, v121, v122
	ds_read2_b64 v[121:124], v84 offset0:77 offset1:78
	v_add_f32_e32 v85, v85, v86
	v_mul_f32_e32 v86, v114, v161
	s_waitcnt vmcnt(17) lgkmcnt(1)
	v_mul_f32_e32 v126, v117, v165
	v_fma_f32 v86, v113, v162, -v86
	s_waitcnt vmcnt(16)
	v_fmac_f32_e32 v126, v118, v166
	v_add_f32_e32 v85, v85, v86
	v_mul_f32_e32 v86, v116, v163
	v_add_f32_e32 v125, v125, v126
	s_waitcnt vmcnt(15)
	v_mul_f32_e32 v126, v119, v167
	v_fma_f32 v86, v115, v164, -v86
	s_waitcnt vmcnt(14)
	v_fmac_f32_e32 v126, v120, v168
	v_add_f32_e32 v85, v85, v86
	v_mul_f32_e32 v86, v118, v165
	v_add_f32_e32 v125, v125, v126
	s_waitcnt vmcnt(13) lgkmcnt(0)
	v_mul_f32_e32 v126, v121, v169
	v_fma_f32 v86, v117, v166, -v86
	s_waitcnt vmcnt(12)
	v_fmac_f32_e32 v126, v122, v170
	v_add_f32_e32 v85, v85, v86
	v_mul_f32_e32 v86, v120, v167
	v_add_f32_e32 v129, v125, v126
	ds_read2_b64 v[125:128], v84 offset0:79 offset1:80
	v_fma_f32 v86, v119, v168, -v86
	v_add_f32_e32 v85, v85, v86
	v_mul_f32_e32 v86, v122, v169
	s_waitcnt vmcnt(11)
	v_mul_f32_e32 v130, v123, v171
	v_fma_f32 v86, v121, v170, -v86
	s_waitcnt vmcnt(10)
	v_fmac_f32_e32 v130, v124, v172
	v_add_f32_e32 v85, v85, v86
	v_mul_f32_e32 v86, v124, v171
	v_add_f32_e32 v183, v129, v130
	ds_read2_b64 v[129:132], v84 offset0:81 offset1:82
	v_fma_f32 v86, v123, v172, -v86
	v_add_f32_e32 v85, v85, v86
	s_waitcnt vmcnt(7) lgkmcnt(1)
	v_mul_f32_e32 v86, v126, v175
	v_mul_f32_e32 v84, v125, v175
	s_waitcnt vmcnt(6)
	v_fma_f32 v86, v125, v176, -v86
	v_fmac_f32_e32 v84, v126, v176
	v_add_f32_e32 v85, v85, v86
	s_waitcnt vmcnt(4)
	v_mul_f32_e32 v86, v128, v178
	v_add_f32_e32 v84, v183, v84
	v_mul_f32_e32 v183, v127, v178
	v_fma_f32 v86, v127, v177, -v86
	v_fmac_f32_e32 v183, v128, v177
	v_add_f32_e32 v85, v85, v86
	s_waitcnt vmcnt(2) lgkmcnt(0)
	v_mul_f32_e32 v86, v130, v180
	v_add_f32_e32 v84, v84, v183
	v_mul_f32_e32 v183, v129, v180
	v_fma_f32 v86, v129, v179, -v86
	v_fmac_f32_e32 v183, v130, v179
	v_add_f32_e32 v85, v85, v86
	s_waitcnt vmcnt(0)
	v_mul_f32_e32 v86, v132, v182
	v_add_f32_e32 v84, v84, v183
	v_mul_f32_e32 v183, v131, v182
	v_fma_f32 v86, v131, v181, -v86
	v_fmac_f32_e32 v183, v132, v181
	v_add_f32_e32 v85, v85, v86
	v_add_f32_e32 v84, v84, v183
	v_sub_f32_e32 v85, v173, v85
	v_sub_f32_e32 v84, v174, v84
	buffer_store_dword v85, off, s[0:3], 0 offset:128
	buffer_store_dword v84, off, s[0:3], 0 offset:132
	s_and_saveexec_b64 s[4:5], vcc
	s_cbranch_execz .LBB40_229
; %bb.228:
	buffer_load_dword v84, off, s[0:3], 0 offset:120
	buffer_load_dword v85, off, s[0:3], 0 offset:124
	v_mov_b32_e32 v86, 0
	buffer_store_dword v86, off, s[0:3], 0 offset:120
	buffer_store_dword v86, off, s[0:3], 0 offset:124
	s_waitcnt vmcnt(2)
	ds_write_b64 v83, v[84:85]
.LBB40_229:
	s_or_b64 exec, exec, s[4:5]
	s_waitcnt lgkmcnt(0)
	; wave barrier
	buffer_load_dword v135, off, s[0:3], 0 offset:132
	buffer_load_dword v136, off, s[0:3], 0 offset:140
	;; [unrolled: 1-line block ×52, first 2 shown]
	v_mov_b32_e32 v84, 0
	ds_read_b128 v[85:88], v84 offset:464
	ds_read_b128 v[89:92], v84 offset:480
	;; [unrolled: 1-line block ×6, first 2 shown]
	v_cmp_lt_u32_e32 vcc, 14, v0
	s_waitcnt vmcnt(51) lgkmcnt(5)
	v_mul_f32_e32 v109, v85, v135
	s_waitcnt vmcnt(50)
	v_mul_f32_e32 v110, v87, v136
	s_waitcnt vmcnt(49) lgkmcnt(4)
	v_mul_f32_e32 v111, v89, v137
	s_waitcnt vmcnt(48)
	v_mul_f32_e32 v112, v91, v138
	;; [unrolled: 4-line block ×5, first 2 shown]
	s_waitcnt vmcnt(41) lgkmcnt(0)
	v_mul_f32_e32 v119, v105, v145
	s_waitcnt vmcnt(40)
	v_fmac_f32_e32 v109, v86, v146
	v_mul_f32_e32 v86, v86, v135
	s_waitcnt vmcnt(39)
	v_fmac_f32_e32 v110, v88, v147
	v_add_f32_e32 v109, 0, v109
	v_fma_f32 v85, v85, v146, -v86
	v_mul_f32_e32 v86, v88, v136
	s_waitcnt vmcnt(38)
	v_fmac_f32_e32 v111, v90, v148
	v_add_f32_e32 v109, v109, v110
	v_add_f32_e32 v85, 0, v85
	v_fma_f32 v86, v87, v147, -v86
	s_waitcnt vmcnt(37)
	v_fmac_f32_e32 v112, v92, v149
	v_add_f32_e32 v109, v109, v111
	v_add_f32_e32 v85, v85, v86
	v_mul_f32_e32 v86, v90, v137
	s_waitcnt vmcnt(36)
	v_fmac_f32_e32 v113, v94, v150
	v_add_f32_e32 v109, v109, v112
	v_fma_f32 v86, v89, v148, -v86
	s_waitcnt vmcnt(35)
	v_fmac_f32_e32 v114, v96, v151
	v_add_f32_e32 v109, v109, v113
	v_add_f32_e32 v85, v85, v86
	v_mul_f32_e32 v86, v92, v138
	s_waitcnt vmcnt(34)
	v_fmac_f32_e32 v115, v98, v152
	;; [unrolled: 9-line block ×3, first 2 shown]
	v_add_f32_e32 v109, v109, v116
	v_fma_f32 v86, v93, v150, -v86
	s_waitcnt vmcnt(31)
	v_fmac_f32_e32 v118, v104, v155
	v_add_f32_e32 v109, v109, v117
	v_add_f32_e32 v85, v85, v86
	v_mul_f32_e32 v86, v96, v140
	v_add_f32_e32 v109, v109, v118
	s_waitcnt vmcnt(30)
	v_fmac_f32_e32 v119, v106, v156
	v_fma_f32 v86, v95, v151, -v86
	v_add_f32_e32 v113, v109, v119
	ds_read_b128 v[109:112], v84 offset:560
	v_add_f32_e32 v85, v85, v86
	v_mul_f32_e32 v86, v98, v141
	v_fma_f32 v86, v97, v152, -v86
	s_waitcnt vmcnt(29)
	v_mul_f32_e32 v114, v107, v157
	v_add_f32_e32 v85, v85, v86
	v_mul_f32_e32 v86, v100, v142
	s_waitcnt vmcnt(28)
	v_fmac_f32_e32 v114, v108, v158
	v_fma_f32 v86, v99, v153, -v86
	v_add_f32_e32 v117, v113, v114
	ds_read_b128 v[113:116], v84 offset:576
	v_add_f32_e32 v85, v85, v86
	v_mul_f32_e32 v86, v102, v143
	s_waitcnt vmcnt(27) lgkmcnt(1)
	v_mul_f32_e32 v118, v109, v159
	v_fma_f32 v86, v101, v154, -v86
	s_waitcnt vmcnt(26)
	v_fmac_f32_e32 v118, v110, v160
	v_add_f32_e32 v85, v85, v86
	v_mul_f32_e32 v86, v104, v144
	v_add_f32_e32 v117, v117, v118
	s_waitcnt vmcnt(25)
	v_mul_f32_e32 v118, v111, v161
	v_fma_f32 v86, v103, v155, -v86
	s_waitcnt vmcnt(24)
	v_fmac_f32_e32 v118, v112, v162
	v_add_f32_e32 v85, v85, v86
	v_mul_f32_e32 v86, v106, v145
	v_add_f32_e32 v117, v117, v118
	s_waitcnt vmcnt(23) lgkmcnt(0)
	v_mul_f32_e32 v118, v113, v163
	v_fma_f32 v86, v105, v156, -v86
	s_waitcnt vmcnt(22)
	v_fmac_f32_e32 v118, v114, v164
	v_add_f32_e32 v85, v85, v86
	v_mul_f32_e32 v86, v108, v157
	v_add_f32_e32 v121, v117, v118
	ds_read_b128 v[117:120], v84 offset:592
	v_fma_f32 v86, v107, v158, -v86
	v_add_f32_e32 v85, v85, v86
	v_mul_f32_e32 v86, v110, v159
	s_waitcnt vmcnt(21)
	v_mul_f32_e32 v122, v115, v165
	v_fma_f32 v86, v109, v160, -v86
	s_waitcnt vmcnt(20)
	v_fmac_f32_e32 v122, v116, v166
	v_add_f32_e32 v85, v85, v86
	v_mul_f32_e32 v86, v112, v161
	v_add_f32_e32 v125, v121, v122
	ds_read_b128 v[121:124], v84 offset:608
	v_fma_f32 v86, v111, v162, -v86
	s_waitcnt vmcnt(19) lgkmcnt(1)
	v_mul_f32_e32 v126, v117, v167
	v_add_f32_e32 v85, v85, v86
	v_mul_f32_e32 v86, v114, v163
	s_waitcnt vmcnt(18)
	v_fmac_f32_e32 v126, v118, v168
	v_fma_f32 v86, v113, v164, -v86
	v_add_f32_e32 v125, v125, v126
	s_waitcnt vmcnt(17)
	v_mul_f32_e32 v126, v119, v169
	v_add_f32_e32 v85, v85, v86
	v_mul_f32_e32 v86, v116, v165
	s_waitcnt vmcnt(16)
	v_fmac_f32_e32 v126, v120, v170
	v_fma_f32 v86, v115, v166, -v86
	v_add_f32_e32 v125, v125, v126
	s_waitcnt vmcnt(14) lgkmcnt(0)
	v_mul_f32_e32 v126, v121, v172
	v_add_f32_e32 v85, v85, v86
	v_mul_f32_e32 v86, v118, v167
	v_fmac_f32_e32 v126, v122, v171
	v_fma_f32 v86, v117, v168, -v86
	v_add_f32_e32 v129, v125, v126
	ds_read_b128 v[125:128], v84 offset:624
	v_add_f32_e32 v85, v85, v86
	v_mul_f32_e32 v86, v120, v169
	v_fma_f32 v86, v119, v170, -v86
	v_add_f32_e32 v85, v85, v86
	v_mul_f32_e32 v86, v122, v172
	s_waitcnt vmcnt(11)
	v_mul_f32_e32 v130, v123, v175
	v_fma_f32 v86, v121, v171, -v86
	s_waitcnt vmcnt(10)
	v_fmac_f32_e32 v130, v124, v176
	v_add_f32_e32 v85, v85, v86
	v_mul_f32_e32 v86, v124, v175
	v_add_f32_e32 v133, v129, v130
	ds_read_b128 v[129:132], v84 offset:640
	s_waitcnt vmcnt(8) lgkmcnt(1)
	v_mul_f32_e32 v134, v125, v178
	v_fma_f32 v86, v123, v176, -v86
	v_fmac_f32_e32 v134, v126, v177
	v_add_f32_e32 v85, v85, v86
	v_mul_f32_e32 v86, v126, v178
	v_add_f32_e32 v133, v133, v134
	s_waitcnt vmcnt(6)
	v_mul_f32_e32 v134, v127, v180
	v_fma_f32 v86, v125, v177, -v86
	v_fmac_f32_e32 v134, v128, v179
	v_add_f32_e32 v85, v85, v86
	v_mul_f32_e32 v86, v128, v180
	v_add_f32_e32 v187, v133, v134
	ds_read_b64 v[133:134], v84 offset:656
	v_fma_f32 v86, v127, v179, -v86
	v_add_f32_e32 v85, v85, v86
	s_waitcnt vmcnt(4) lgkmcnt(1)
	v_mul_f32_e32 v86, v130, v182
	v_mul_f32_e32 v188, v129, v182
	v_fma_f32 v86, v129, v181, -v86
	v_fmac_f32_e32 v188, v130, v181
	v_add_f32_e32 v85, v85, v86
	s_waitcnt vmcnt(2)
	v_mul_f32_e32 v86, v132, v184
	v_add_f32_e32 v187, v187, v188
	v_mul_f32_e32 v188, v131, v184
	v_fma_f32 v86, v131, v183, -v86
	v_fmac_f32_e32 v188, v132, v183
	v_add_f32_e32 v85, v85, v86
	s_waitcnt vmcnt(0) lgkmcnt(0)
	v_mul_f32_e32 v86, v134, v186
	v_add_f32_e32 v187, v187, v188
	v_mul_f32_e32 v188, v133, v186
	v_fma_f32 v86, v133, v185, -v86
	v_fmac_f32_e32 v188, v134, v185
	v_add_f32_e32 v85, v85, v86
	v_add_f32_e32 v187, v187, v188
	v_sub_f32_e32 v85, v173, v85
	v_sub_f32_e32 v86, v174, v187
	buffer_store_dword v85, off, s[0:3], 0 offset:120
	buffer_store_dword v86, off, s[0:3], 0 offset:124
	s_and_saveexec_b64 s[4:5], vcc
	s_cbranch_execz .LBB40_231
; %bb.230:
	buffer_load_dword v85, off, s[0:3], 0 offset:112
	buffer_load_dword v86, off, s[0:3], 0 offset:116
	s_waitcnt vmcnt(0)
	ds_write_b64 v83, v[85:86]
	buffer_store_dword v84, off, s[0:3], 0 offset:112
	buffer_store_dword v84, off, s[0:3], 0 offset:116
.LBB40_231:
	s_or_b64 exec, exec, s[4:5]
	s_waitcnt lgkmcnt(0)
	; wave barrier
	buffer_load_dword v137, off, s[0:3], 0 offset:124
	buffer_load_dword v138, off, s[0:3], 0 offset:132
	;; [unrolled: 1-line block ×42, first 2 shown]
	ds_read2_b64 v[85:88], v84 offset0:57 offset1:58
	ds_read2_b64 v[89:92], v84 offset0:59 offset1:60
	;; [unrolled: 1-line block ×4, first 2 shown]
	buffer_load_dword v179, off, s[0:3], 0 offset:284
	buffer_load_dword v180, off, s[0:3], 0 offset:280
	;; [unrolled: 1-line block ×6, first 2 shown]
	ds_read2_b64 v[101:104], v84 offset0:65 offset1:66
	ds_read2_b64 v[105:108], v84 offset0:67 offset1:68
	buffer_load_dword v185, off, s[0:3], 0 offset:304
	buffer_load_dword v186, off, s[0:3], 0 offset:308
	;; [unrolled: 1-line block ×6, first 2 shown]
	v_cmp_lt_u32_e32 vcc, 13, v0
	s_waitcnt vmcnt(53) lgkmcnt(5)
	v_mul_f32_e32 v109, v85, v137
	s_waitcnt vmcnt(52)
	v_mul_f32_e32 v110, v87, v138
	s_waitcnt vmcnt(51) lgkmcnt(4)
	v_mul_f32_e32 v111, v89, v139
	s_waitcnt vmcnt(50)
	v_mul_f32_e32 v112, v91, v140
	;; [unrolled: 4-line block ×5, first 2 shown]
	s_waitcnt vmcnt(43)
	v_fmac_f32_e32 v109, v86, v147
	v_mul_f32_e32 v86, v86, v137
	s_waitcnt vmcnt(42)
	v_fmac_f32_e32 v110, v88, v148
	v_add_f32_e32 v109, 0, v109
	v_fma_f32 v85, v85, v147, -v86
	v_mul_f32_e32 v86, v88, v138
	s_waitcnt vmcnt(41)
	v_fmac_f32_e32 v111, v90, v149
	v_add_f32_e32 v109, v109, v110
	v_add_f32_e32 v85, 0, v85
	v_fma_f32 v86, v87, v148, -v86
	s_waitcnt vmcnt(40)
	v_fmac_f32_e32 v112, v92, v150
	v_add_f32_e32 v109, v109, v111
	v_add_f32_e32 v85, v85, v86
	v_mul_f32_e32 v86, v90, v139
	s_waitcnt vmcnt(39)
	v_fmac_f32_e32 v113, v94, v151
	v_add_f32_e32 v109, v109, v112
	v_fma_f32 v86, v89, v149, -v86
	s_waitcnt vmcnt(38)
	v_fmac_f32_e32 v114, v96, v152
	v_add_f32_e32 v109, v109, v113
	v_add_f32_e32 v85, v85, v86
	v_mul_f32_e32 v86, v92, v140
	s_waitcnt vmcnt(37)
	v_fmac_f32_e32 v115, v98, v153
	;; [unrolled: 9-line block ×3, first 2 shown]
	v_add_f32_e32 v109, v109, v116
	v_fma_f32 v86, v93, v151, -v86
	s_waitcnt vmcnt(34)
	v_fmac_f32_e32 v118, v104, v156
	v_add_f32_e32 v109, v109, v117
	s_waitcnt vmcnt(33) lgkmcnt(0)
	v_mul_f32_e32 v110, v105, v157
	v_add_f32_e32 v85, v85, v86
	v_mul_f32_e32 v86, v96, v142
	v_add_f32_e32 v109, v109, v118
	s_waitcnt vmcnt(32)
	v_fmac_f32_e32 v110, v106, v158
	v_fma_f32 v86, v95, v152, -v86
	v_add_f32_e32 v113, v109, v110
	ds_read2_b64 v[109:112], v84 offset0:69 offset1:70
	v_add_f32_e32 v85, v85, v86
	v_mul_f32_e32 v86, v98, v143
	v_fma_f32 v86, v97, v153, -v86
	s_waitcnt vmcnt(31)
	v_mul_f32_e32 v114, v107, v159
	v_add_f32_e32 v85, v85, v86
	v_mul_f32_e32 v86, v100, v144
	s_waitcnt vmcnt(30)
	v_fmac_f32_e32 v114, v108, v160
	v_fma_f32 v86, v99, v154, -v86
	v_add_f32_e32 v117, v113, v114
	ds_read2_b64 v[113:116], v84 offset0:71 offset1:72
	v_add_f32_e32 v85, v85, v86
	v_mul_f32_e32 v86, v102, v145
	s_waitcnt vmcnt(29) lgkmcnt(1)
	v_mul_f32_e32 v118, v109, v161
	v_fma_f32 v86, v101, v155, -v86
	s_waitcnt vmcnt(28)
	v_fmac_f32_e32 v118, v110, v162
	v_add_f32_e32 v85, v85, v86
	v_mul_f32_e32 v86, v104, v146
	v_add_f32_e32 v117, v117, v118
	s_waitcnt vmcnt(27)
	v_mul_f32_e32 v118, v111, v163
	v_fma_f32 v86, v103, v156, -v86
	s_waitcnt vmcnt(26)
	v_fmac_f32_e32 v118, v112, v164
	v_add_f32_e32 v85, v85, v86
	v_mul_f32_e32 v86, v106, v157
	v_add_f32_e32 v117, v117, v118
	s_waitcnt vmcnt(25) lgkmcnt(0)
	v_mul_f32_e32 v118, v113, v165
	v_fma_f32 v86, v105, v158, -v86
	s_waitcnt vmcnt(24)
	v_fmac_f32_e32 v118, v114, v166
	v_add_f32_e32 v85, v85, v86
	v_mul_f32_e32 v86, v108, v159
	v_add_f32_e32 v121, v117, v118
	ds_read2_b64 v[117:120], v84 offset0:73 offset1:74
	v_fma_f32 v86, v107, v160, -v86
	v_add_f32_e32 v85, v85, v86
	v_mul_f32_e32 v86, v110, v161
	s_waitcnt vmcnt(23)
	v_mul_f32_e32 v122, v115, v167
	v_fma_f32 v86, v109, v162, -v86
	s_waitcnt vmcnt(22)
	v_fmac_f32_e32 v122, v116, v168
	v_add_f32_e32 v85, v85, v86
	v_mul_f32_e32 v86, v112, v163
	v_add_f32_e32 v125, v121, v122
	ds_read2_b64 v[121:124], v84 offset0:75 offset1:76
	v_fma_f32 v86, v111, v164, -v86
	s_waitcnt vmcnt(21) lgkmcnt(1)
	v_mul_f32_e32 v126, v117, v169
	v_add_f32_e32 v85, v85, v86
	v_mul_f32_e32 v86, v114, v165
	s_waitcnt vmcnt(20)
	v_fmac_f32_e32 v126, v118, v170
	v_fma_f32 v86, v113, v166, -v86
	v_add_f32_e32 v125, v125, v126
	s_waitcnt vmcnt(18)
	v_mul_f32_e32 v126, v119, v172
	v_add_f32_e32 v85, v85, v86
	v_mul_f32_e32 v86, v116, v167
	v_fmac_f32_e32 v126, v120, v171
	v_fma_f32 v86, v115, v168, -v86
	v_add_f32_e32 v125, v125, v126
	s_waitcnt vmcnt(15) lgkmcnt(0)
	v_mul_f32_e32 v126, v121, v175
	v_add_f32_e32 v85, v85, v86
	v_mul_f32_e32 v86, v118, v169
	s_waitcnt vmcnt(14)
	v_fmac_f32_e32 v126, v122, v176
	v_fma_f32 v86, v117, v170, -v86
	v_add_f32_e32 v129, v125, v126
	ds_read2_b64 v[125:128], v84 offset0:77 offset1:78
	v_add_f32_e32 v85, v85, v86
	v_mul_f32_e32 v86, v120, v172
	v_fma_f32 v86, v119, v171, -v86
	v_add_f32_e32 v85, v85, v86
	v_mul_f32_e32 v86, v122, v175
	s_waitcnt vmcnt(12)
	v_mul_f32_e32 v130, v123, v178
	v_fma_f32 v86, v121, v176, -v86
	v_fmac_f32_e32 v130, v124, v177
	v_add_f32_e32 v85, v85, v86
	v_mul_f32_e32 v86, v124, v178
	v_add_f32_e32 v133, v129, v130
	ds_read2_b64 v[129:132], v84 offset0:79 offset1:80
	s_waitcnt vmcnt(11) lgkmcnt(1)
	v_mul_f32_e32 v134, v125, v179
	v_fma_f32 v86, v123, v177, -v86
	s_waitcnt vmcnt(10)
	v_fmac_f32_e32 v134, v126, v180
	v_add_f32_e32 v85, v85, v86
	v_mul_f32_e32 v86, v126, v179
	v_add_f32_e32 v133, v133, v134
	s_waitcnt vmcnt(8)
	v_mul_f32_e32 v134, v127, v182
	v_fma_f32 v86, v125, v180, -v86
	v_fmac_f32_e32 v134, v128, v181
	v_add_f32_e32 v85, v85, v86
	v_mul_f32_e32 v86, v128, v182
	v_add_f32_e32 v191, v133, v134
	ds_read2_b64 v[133:136], v84 offset0:81 offset1:82
	v_fma_f32 v86, v127, v181, -v86
	v_add_f32_e32 v85, v85, v86
	s_waitcnt vmcnt(6) lgkmcnt(1)
	v_mul_f32_e32 v86, v130, v184
	v_mul_f32_e32 v192, v129, v184
	v_fma_f32 v86, v129, v183, -v86
	v_fmac_f32_e32 v192, v130, v183
	v_add_f32_e32 v85, v85, v86
	s_waitcnt vmcnt(4)
	v_mul_f32_e32 v86, v132, v186
	v_add_f32_e32 v84, v191, v192
	v_mul_f32_e32 v191, v131, v186
	v_fma_f32 v86, v131, v185, -v86
	v_fmac_f32_e32 v191, v132, v185
	v_add_f32_e32 v85, v85, v86
	s_waitcnt vmcnt(2) lgkmcnt(0)
	v_mul_f32_e32 v86, v134, v188
	v_add_f32_e32 v84, v84, v191
	v_mul_f32_e32 v191, v133, v188
	v_fma_f32 v86, v133, v187, -v86
	v_fmac_f32_e32 v191, v134, v187
	v_add_f32_e32 v85, v85, v86
	s_waitcnt vmcnt(0)
	v_mul_f32_e32 v86, v136, v190
	v_add_f32_e32 v84, v84, v191
	v_mul_f32_e32 v191, v135, v190
	v_fma_f32 v86, v135, v189, -v86
	v_fmac_f32_e32 v191, v136, v189
	v_add_f32_e32 v85, v85, v86
	v_add_f32_e32 v84, v84, v191
	v_sub_f32_e32 v85, v173, v85
	v_sub_f32_e32 v84, v174, v84
	buffer_store_dword v85, off, s[0:3], 0 offset:112
	buffer_store_dword v84, off, s[0:3], 0 offset:116
	s_and_saveexec_b64 s[4:5], vcc
	s_cbranch_execz .LBB40_233
; %bb.232:
	buffer_load_dword v84, off, s[0:3], 0 offset:104
	buffer_load_dword v85, off, s[0:3], 0 offset:108
	v_mov_b32_e32 v86, 0
	buffer_store_dword v86, off, s[0:3], 0 offset:104
	buffer_store_dword v86, off, s[0:3], 0 offset:108
	s_waitcnt vmcnt(2)
	ds_write_b64 v83, v[84:85]
.LBB40_233:
	s_or_b64 exec, exec, s[4:5]
	s_waitcnt lgkmcnt(0)
	; wave barrier
	buffer_load_dword v139, off, s[0:3], 0 offset:116
	buffer_load_dword v140, off, s[0:3], 0 offset:124
	;; [unrolled: 1-line block ×56, first 2 shown]
	v_mov_b32_e32 v84, 0
	ds_read_b128 v[85:88], v84 offset:448
	ds_read_b128 v[89:92], v84 offset:464
	;; [unrolled: 1-line block ×6, first 2 shown]
	v_cmp_lt_u32_e32 vcc, 12, v0
	s_waitcnt vmcnt(55) lgkmcnt(5)
	v_mul_f32_e32 v109, v85, v139
	s_waitcnt vmcnt(54)
	v_mul_f32_e32 v110, v87, v140
	s_waitcnt vmcnt(53) lgkmcnt(4)
	v_mul_f32_e32 v111, v89, v141
	s_waitcnt vmcnt(52)
	v_mul_f32_e32 v112, v91, v142
	;; [unrolled: 4-line block ×4, first 2 shown]
	s_waitcnt vmcnt(47) lgkmcnt(1)
	v_mul_f32_e32 v117, v101, v147
	s_waitcnt vmcnt(46)
	v_fmac_f32_e32 v109, v86, v148
	s_waitcnt vmcnt(45)
	v_fmac_f32_e32 v110, v88, v149
	v_add_f32_e32 v109, 0, v109
	s_waitcnt vmcnt(44)
	v_fmac_f32_e32 v111, v90, v150
	v_add_f32_e32 v109, v109, v110
	;; [unrolled: 3-line block ×3, first 2 shown]
	v_mul_f32_e32 v86, v86, v139
	s_waitcnt vmcnt(42)
	v_fmac_f32_e32 v113, v94, v152
	v_add_f32_e32 v109, v109, v112
	v_fma_f32 v85, v85, v148, -v86
	v_mul_f32_e32 v86, v88, v140
	s_waitcnt vmcnt(41)
	v_fmac_f32_e32 v114, v96, v153
	v_add_f32_e32 v109, v109, v113
	v_add_f32_e32 v85, 0, v85
	v_fma_f32 v86, v87, v149, -v86
	s_waitcnt vmcnt(40)
	v_fmac_f32_e32 v115, v98, v154
	v_add_f32_e32 v109, v109, v114
	v_add_f32_e32 v85, v85, v86
	v_mul_f32_e32 v86, v90, v141
	s_waitcnt vmcnt(39)
	v_fmac_f32_e32 v116, v100, v155
	v_add_f32_e32 v109, v109, v115
	v_fma_f32 v86, v89, v150, -v86
	v_add_f32_e32 v109, v109, v116
	s_waitcnt vmcnt(38)
	v_fmac_f32_e32 v117, v102, v156
	s_waitcnt vmcnt(37)
	v_mul_f32_e32 v110, v103, v157
	v_add_f32_e32 v85, v85, v86
	v_mul_f32_e32 v86, v92, v142
	v_add_f32_e32 v109, v109, v117
	s_waitcnt vmcnt(36)
	v_fmac_f32_e32 v110, v104, v158
	v_fma_f32 v86, v91, v151, -v86
	v_add_f32_e32 v109, v109, v110
	s_waitcnt vmcnt(35) lgkmcnt(0)
	v_mul_f32_e32 v110, v105, v159
	v_add_f32_e32 v85, v85, v86
	v_mul_f32_e32 v86, v94, v143
	s_waitcnt vmcnt(34)
	v_fmac_f32_e32 v110, v106, v160
	v_fma_f32 v86, v93, v152, -v86
	v_add_f32_e32 v113, v109, v110
	ds_read_b128 v[109:112], v84 offset:544
	v_add_f32_e32 v85, v85, v86
	v_mul_f32_e32 v86, v96, v144
	v_fma_f32 v86, v95, v153, -v86
	s_waitcnt vmcnt(33)
	v_mul_f32_e32 v114, v107, v161
	v_add_f32_e32 v85, v85, v86
	v_mul_f32_e32 v86, v98, v145
	s_waitcnt vmcnt(32)
	v_fmac_f32_e32 v114, v108, v162
	v_fma_f32 v86, v97, v154, -v86
	v_add_f32_e32 v117, v113, v114
	ds_read_b128 v[113:116], v84 offset:560
	v_add_f32_e32 v85, v85, v86
	v_mul_f32_e32 v86, v100, v146
	s_waitcnt vmcnt(31) lgkmcnt(1)
	v_mul_f32_e32 v118, v109, v163
	v_fma_f32 v86, v99, v155, -v86
	s_waitcnt vmcnt(30)
	v_fmac_f32_e32 v118, v110, v164
	v_add_f32_e32 v85, v85, v86
	v_mul_f32_e32 v86, v102, v147
	v_add_f32_e32 v117, v117, v118
	s_waitcnt vmcnt(29)
	v_mul_f32_e32 v118, v111, v165
	v_fma_f32 v86, v101, v156, -v86
	s_waitcnt vmcnt(28)
	v_fmac_f32_e32 v118, v112, v166
	v_add_f32_e32 v85, v85, v86
	v_mul_f32_e32 v86, v104, v157
	v_add_f32_e32 v117, v117, v118
	s_waitcnt vmcnt(27) lgkmcnt(0)
	v_mul_f32_e32 v118, v113, v167
	v_fma_f32 v86, v103, v158, -v86
	s_waitcnt vmcnt(26)
	v_fmac_f32_e32 v118, v114, v168
	v_add_f32_e32 v85, v85, v86
	v_mul_f32_e32 v86, v106, v159
	v_add_f32_e32 v121, v117, v118
	ds_read_b128 v[117:120], v84 offset:576
	v_fma_f32 v86, v105, v160, -v86
	v_add_f32_e32 v85, v85, v86
	v_mul_f32_e32 v86, v108, v161
	s_waitcnt vmcnt(24)
	v_mul_f32_e32 v122, v115, v170
	v_fma_f32 v86, v107, v162, -v86
	v_fmac_f32_e32 v122, v116, v169
	v_add_f32_e32 v85, v85, v86
	v_mul_f32_e32 v86, v110, v163
	v_add_f32_e32 v125, v121, v122
	ds_read_b128 v[121:124], v84 offset:592
	v_fma_f32 v86, v109, v164, -v86
	s_waitcnt vmcnt(21) lgkmcnt(1)
	v_mul_f32_e32 v126, v117, v173
	v_add_f32_e32 v85, v85, v86
	v_mul_f32_e32 v86, v112, v165
	s_waitcnt vmcnt(20)
	v_fmac_f32_e32 v126, v118, v174
	v_fma_f32 v86, v111, v166, -v86
	v_add_f32_e32 v125, v125, v126
	s_waitcnt vmcnt(18)
	v_mul_f32_e32 v126, v119, v176
	v_add_f32_e32 v85, v85, v86
	v_mul_f32_e32 v86, v114, v167
	v_fmac_f32_e32 v126, v120, v175
	v_fma_f32 v86, v113, v168, -v86
	v_add_f32_e32 v125, v125, v126
	s_waitcnt vmcnt(16) lgkmcnt(0)
	v_mul_f32_e32 v126, v121, v178
	v_add_f32_e32 v85, v85, v86
	v_mul_f32_e32 v86, v116, v170
	v_fmac_f32_e32 v126, v122, v177
	v_fma_f32 v86, v115, v169, -v86
	v_add_f32_e32 v129, v125, v126
	ds_read_b128 v[125:128], v84 offset:608
	v_add_f32_e32 v85, v85, v86
	v_mul_f32_e32 v86, v118, v173
	v_fma_f32 v86, v117, v174, -v86
	s_waitcnt vmcnt(14)
	v_mul_f32_e32 v130, v123, v180
	v_add_f32_e32 v85, v85, v86
	v_mul_f32_e32 v86, v120, v176
	v_fmac_f32_e32 v130, v124, v179
	v_fma_f32 v86, v119, v175, -v86
	v_add_f32_e32 v133, v129, v130
	ds_read_b128 v[129:132], v84 offset:624
	v_add_f32_e32 v85, v85, v86
	v_mul_f32_e32 v86, v122, v178
	s_waitcnt vmcnt(12) lgkmcnt(1)
	v_mul_f32_e32 v134, v125, v182
	v_fma_f32 v86, v121, v177, -v86
	v_fmac_f32_e32 v134, v126, v181
	v_add_f32_e32 v85, v85, v86
	v_mul_f32_e32 v86, v124, v180
	v_add_f32_e32 v133, v133, v134
	s_waitcnt vmcnt(10)
	v_mul_f32_e32 v134, v127, v184
	v_fma_f32 v86, v123, v179, -v86
	v_fmac_f32_e32 v134, v128, v183
	v_add_f32_e32 v85, v85, v86
	v_mul_f32_e32 v86, v126, v182
	v_add_f32_e32 v133, v133, v134
	s_waitcnt vmcnt(8) lgkmcnt(0)
	v_mul_f32_e32 v134, v129, v186
	v_fma_f32 v86, v125, v181, -v86
	v_fmac_f32_e32 v134, v130, v185
	v_add_f32_e32 v85, v85, v86
	v_mul_f32_e32 v86, v128, v184
	v_add_f32_e32 v137, v133, v134
	ds_read_b128 v[133:136], v84 offset:640
	v_fma_f32 v86, v127, v183, -v86
	v_add_f32_e32 v85, v85, v86
	v_mul_f32_e32 v86, v130, v186
	s_waitcnt vmcnt(6)
	v_mul_f32_e32 v138, v131, v188
	v_fma_f32 v86, v129, v185, -v86
	v_fmac_f32_e32 v138, v132, v187
	v_add_f32_e32 v85, v85, v86
	v_mul_f32_e32 v86, v132, v188
	v_add_f32_e32 v195, v137, v138
	ds_read_b64 v[137:138], v84 offset:656
	v_fma_f32 v86, v131, v187, -v86
	v_add_f32_e32 v85, v85, v86
	s_waitcnt vmcnt(4) lgkmcnt(1)
	v_mul_f32_e32 v86, v134, v190
	v_mul_f32_e32 v196, v133, v190
	v_fma_f32 v86, v133, v189, -v86
	v_fmac_f32_e32 v196, v134, v189
	v_add_f32_e32 v85, v85, v86
	s_waitcnt vmcnt(2)
	v_mul_f32_e32 v86, v136, v192
	v_add_f32_e32 v195, v195, v196
	v_mul_f32_e32 v196, v135, v192
	v_fma_f32 v86, v135, v191, -v86
	v_fmac_f32_e32 v196, v136, v191
	v_add_f32_e32 v85, v85, v86
	s_waitcnt vmcnt(0) lgkmcnt(0)
	v_mul_f32_e32 v86, v138, v194
	v_add_f32_e32 v195, v195, v196
	v_mul_f32_e32 v196, v137, v194
	v_fma_f32 v86, v137, v193, -v86
	v_fmac_f32_e32 v196, v138, v193
	v_add_f32_e32 v85, v85, v86
	v_add_f32_e32 v195, v195, v196
	v_sub_f32_e32 v85, v171, v85
	v_sub_f32_e32 v86, v172, v195
	buffer_store_dword v85, off, s[0:3], 0 offset:104
	buffer_store_dword v86, off, s[0:3], 0 offset:108
	s_and_saveexec_b64 s[4:5], vcc
	s_cbranch_execz .LBB40_235
; %bb.234:
	buffer_load_dword v85, off, s[0:3], 0 offset:96
	buffer_load_dword v86, off, s[0:3], 0 offset:100
	s_waitcnt vmcnt(0)
	ds_write_b64 v83, v[85:86]
	buffer_store_dword v84, off, s[0:3], 0 offset:96
	buffer_store_dword v84, off, s[0:3], 0 offset:100
.LBB40_235:
	s_or_b64 exec, exec, s[4:5]
	s_waitcnt lgkmcnt(0)
	; wave barrier
	buffer_load_dword v141, off, s[0:3], 0 offset:108
	buffer_load_dword v142, off, s[0:3], 0 offset:116
	;; [unrolled: 1-line block ×34, first 2 shown]
	ds_read2_b64 v[85:88], v84 offset0:55 offset1:56
	ds_read2_b64 v[89:92], v84 offset0:57 offset1:58
	buffer_load_dword v175, off, s[0:3], 0 offset:236
	buffer_load_dword v176, off, s[0:3], 0 offset:232
	;; [unrolled: 1-line block ×6, first 2 shown]
	ds_read2_b64 v[93:96], v84 offset0:59 offset1:60
	ds_read2_b64 v[97:100], v84 offset0:61 offset1:62
	;; [unrolled: 1-line block ×4, first 2 shown]
	buffer_load_dword v181, off, s[0:3], 0 offset:260
	buffer_load_dword v182, off, s[0:3], 0 offset:256
	;; [unrolled: 1-line block ×18, first 2 shown]
	v_cmp_lt_u32_e32 vcc, 11, v0
	s_waitcnt vmcnt(57) lgkmcnt(5)
	v_mul_f32_e32 v109, v85, v141
	s_waitcnt vmcnt(56)
	v_mul_f32_e32 v110, v87, v142
	s_waitcnt vmcnt(55) lgkmcnt(4)
	v_mul_f32_e32 v111, v89, v143
	s_waitcnt vmcnt(54)
	v_mul_f32_e32 v112, v91, v144
	;; [unrolled: 4-line block ×4, first 2 shown]
	s_waitcnt vmcnt(49)
	v_fmac_f32_e32 v109, v86, v149
	s_waitcnt vmcnt(48)
	v_fmac_f32_e32 v110, v88, v150
	v_add_f32_e32 v109, 0, v109
	s_waitcnt vmcnt(47)
	v_fmac_f32_e32 v111, v90, v151
	v_add_f32_e32 v109, v109, v110
	;; [unrolled: 3-line block ×4, first 2 shown]
	v_mul_f32_e32 v86, v86, v141
	s_waitcnt vmcnt(44)
	v_fmac_f32_e32 v114, v96, v154
	v_add_f32_e32 v109, v109, v113
	v_fma_f32 v85, v85, v149, -v86
	v_mul_f32_e32 v86, v88, v142
	s_waitcnt vmcnt(43)
	v_fmac_f32_e32 v115, v98, v155
	v_add_f32_e32 v109, v109, v114
	v_add_f32_e32 v85, 0, v85
	v_fma_f32 v86, v87, v150, -v86
	s_waitcnt vmcnt(42)
	v_fmac_f32_e32 v116, v100, v156
	v_add_f32_e32 v109, v109, v115
	s_waitcnt vmcnt(41) lgkmcnt(1)
	v_mul_f32_e32 v110, v101, v157
	v_add_f32_e32 v85, v85, v86
	v_mul_f32_e32 v86, v90, v143
	v_add_f32_e32 v109, v109, v116
	s_waitcnt vmcnt(40)
	v_fmac_f32_e32 v110, v102, v158
	v_fma_f32 v86, v89, v151, -v86
	v_add_f32_e32 v109, v109, v110
	s_waitcnt vmcnt(39)
	v_mul_f32_e32 v110, v103, v159
	v_add_f32_e32 v85, v85, v86
	v_mul_f32_e32 v86, v92, v144
	s_waitcnt vmcnt(38)
	v_fmac_f32_e32 v110, v104, v160
	v_fma_f32 v86, v91, v152, -v86
	v_add_f32_e32 v109, v109, v110
	s_waitcnt vmcnt(37) lgkmcnt(0)
	v_mul_f32_e32 v110, v105, v161
	v_add_f32_e32 v85, v85, v86
	v_mul_f32_e32 v86, v94, v145
	s_waitcnt vmcnt(36)
	v_fmac_f32_e32 v110, v106, v162
	v_fma_f32 v86, v93, v153, -v86
	v_add_f32_e32 v113, v109, v110
	ds_read2_b64 v[109:112], v84 offset0:67 offset1:68
	v_add_f32_e32 v85, v85, v86
	v_mul_f32_e32 v86, v96, v146
	v_fma_f32 v86, v95, v154, -v86
	s_waitcnt vmcnt(35)
	v_mul_f32_e32 v114, v107, v163
	v_add_f32_e32 v85, v85, v86
	v_mul_f32_e32 v86, v98, v147
	s_waitcnt vmcnt(34)
	v_fmac_f32_e32 v114, v108, v164
	v_fma_f32 v86, v97, v155, -v86
	v_add_f32_e32 v117, v113, v114
	ds_read2_b64 v[113:116], v84 offset0:69 offset1:70
	v_add_f32_e32 v85, v85, v86
	v_mul_f32_e32 v86, v100, v148
	s_waitcnt vmcnt(33) lgkmcnt(1)
	v_mul_f32_e32 v118, v109, v165
	v_fma_f32 v86, v99, v156, -v86
	s_waitcnt vmcnt(32)
	v_fmac_f32_e32 v118, v110, v166
	v_add_f32_e32 v85, v85, v86
	v_mul_f32_e32 v86, v102, v157
	v_add_f32_e32 v117, v117, v118
	s_waitcnt vmcnt(31)
	v_mul_f32_e32 v118, v111, v167
	v_fma_f32 v86, v101, v158, -v86
	s_waitcnt vmcnt(30)
	v_fmac_f32_e32 v118, v112, v168
	v_add_f32_e32 v85, v85, v86
	v_mul_f32_e32 v86, v104, v159
	v_add_f32_e32 v117, v117, v118
	s_waitcnt vmcnt(29) lgkmcnt(0)
	v_mul_f32_e32 v118, v113, v169
	v_fma_f32 v86, v103, v160, -v86
	s_waitcnt vmcnt(28)
	v_fmac_f32_e32 v118, v114, v170
	v_add_f32_e32 v85, v85, v86
	v_mul_f32_e32 v86, v106, v161
	v_add_f32_e32 v121, v117, v118
	ds_read2_b64 v[117:120], v84 offset0:71 offset1:72
	v_fma_f32 v86, v105, v162, -v86
	v_add_f32_e32 v85, v85, v86
	v_mul_f32_e32 v86, v108, v163
	s_waitcnt vmcnt(25)
	v_mul_f32_e32 v122, v115, v173
	v_fma_f32 v86, v107, v164, -v86
	s_waitcnt vmcnt(24)
	v_fmac_f32_e32 v122, v116, v174
	v_add_f32_e32 v85, v85, v86
	v_mul_f32_e32 v86, v110, v165
	v_add_f32_e32 v125, v121, v122
	ds_read2_b64 v[121:124], v84 offset0:73 offset1:74
	v_fma_f32 v86, v109, v166, -v86
	s_waitcnt vmcnt(23) lgkmcnt(1)
	v_mul_f32_e32 v126, v117, v175
	v_add_f32_e32 v85, v85, v86
	v_mul_f32_e32 v86, v112, v167
	s_waitcnt vmcnt(22)
	v_fmac_f32_e32 v126, v118, v176
	v_fma_f32 v86, v111, v168, -v86
	v_add_f32_e32 v125, v125, v126
	s_waitcnt vmcnt(20)
	v_mul_f32_e32 v126, v119, v178
	v_add_f32_e32 v85, v85, v86
	v_mul_f32_e32 v86, v114, v169
	v_fmac_f32_e32 v126, v120, v177
	v_fma_f32 v86, v113, v170, -v86
	v_add_f32_e32 v125, v125, v126
	s_waitcnt vmcnt(18) lgkmcnt(0)
	v_mul_f32_e32 v126, v121, v180
	v_add_f32_e32 v85, v85, v86
	v_mul_f32_e32 v86, v116, v173
	v_fmac_f32_e32 v126, v122, v179
	v_fma_f32 v86, v115, v174, -v86
	v_add_f32_e32 v129, v125, v126
	ds_read2_b64 v[125:128], v84 offset0:75 offset1:76
	v_add_f32_e32 v85, v85, v86
	v_mul_f32_e32 v86, v118, v175
	v_fma_f32 v86, v117, v176, -v86
	s_waitcnt vmcnt(17)
	v_mul_f32_e32 v130, v123, v181
	v_add_f32_e32 v85, v85, v86
	v_mul_f32_e32 v86, v120, v178
	s_waitcnt vmcnt(16)
	v_fmac_f32_e32 v130, v124, v182
	v_fma_f32 v86, v119, v177, -v86
	v_add_f32_e32 v133, v129, v130
	ds_read2_b64 v[129:132], v84 offset0:77 offset1:78
	v_add_f32_e32 v85, v85, v86
	v_mul_f32_e32 v86, v122, v180
	s_waitcnt vmcnt(14) lgkmcnt(1)
	v_mul_f32_e32 v134, v125, v184
	v_fma_f32 v86, v121, v179, -v86
	v_fmac_f32_e32 v134, v126, v183
	v_add_f32_e32 v85, v85, v86
	v_mul_f32_e32 v86, v124, v181
	v_add_f32_e32 v133, v133, v134
	s_waitcnt vmcnt(12)
	v_mul_f32_e32 v134, v127, v186
	v_fma_f32 v86, v123, v182, -v86
	v_fmac_f32_e32 v134, v128, v185
	v_add_f32_e32 v85, v85, v86
	v_mul_f32_e32 v86, v126, v184
	v_add_f32_e32 v133, v133, v134
	s_waitcnt vmcnt(10) lgkmcnt(0)
	v_mul_f32_e32 v134, v129, v188
	v_fma_f32 v86, v125, v183, -v86
	v_fmac_f32_e32 v134, v130, v187
	v_add_f32_e32 v85, v85, v86
	v_mul_f32_e32 v86, v128, v186
	v_add_f32_e32 v137, v133, v134
	ds_read2_b64 v[133:136], v84 offset0:79 offset1:80
	v_fma_f32 v86, v127, v185, -v86
	v_add_f32_e32 v85, v85, v86
	v_mul_f32_e32 v86, v130, v188
	s_waitcnt vmcnt(8)
	v_mul_f32_e32 v138, v131, v190
	v_fma_f32 v86, v129, v187, -v86
	v_fmac_f32_e32 v138, v132, v189
	v_add_f32_e32 v85, v85, v86
	v_mul_f32_e32 v86, v132, v190
	v_add_f32_e32 v199, v137, v138
	ds_read2_b64 v[137:140], v84 offset0:81 offset1:82
	v_fma_f32 v86, v131, v189, -v86
	v_add_f32_e32 v85, v85, v86
	s_waitcnt vmcnt(6) lgkmcnt(1)
	v_mul_f32_e32 v86, v134, v192
	v_mul_f32_e32 v84, v133, v192
	v_fma_f32 v86, v133, v191, -v86
	v_fmac_f32_e32 v84, v134, v191
	v_add_f32_e32 v85, v85, v86
	s_waitcnt vmcnt(4)
	v_mul_f32_e32 v86, v136, v194
	v_add_f32_e32 v84, v199, v84
	v_mul_f32_e32 v199, v135, v194
	v_fma_f32 v86, v135, v193, -v86
	v_fmac_f32_e32 v199, v136, v193
	v_add_f32_e32 v85, v85, v86
	s_waitcnt vmcnt(2) lgkmcnt(0)
	v_mul_f32_e32 v86, v138, v196
	v_add_f32_e32 v84, v84, v199
	v_mul_f32_e32 v199, v137, v196
	v_fma_f32 v86, v137, v195, -v86
	v_fmac_f32_e32 v199, v138, v195
	v_add_f32_e32 v85, v85, v86
	s_waitcnt vmcnt(0)
	v_mul_f32_e32 v86, v140, v198
	v_add_f32_e32 v84, v84, v199
	v_mul_f32_e32 v199, v139, v198
	v_fma_f32 v86, v139, v197, -v86
	v_fmac_f32_e32 v199, v140, v197
	v_add_f32_e32 v85, v85, v86
	v_add_f32_e32 v84, v84, v199
	v_sub_f32_e32 v85, v171, v85
	v_sub_f32_e32 v84, v172, v84
	buffer_store_dword v85, off, s[0:3], 0 offset:96
	buffer_store_dword v84, off, s[0:3], 0 offset:100
	s_and_saveexec_b64 s[4:5], vcc
	s_cbranch_execz .LBB40_237
; %bb.236:
	buffer_load_dword v84, off, s[0:3], 0 offset:88
	buffer_load_dword v85, off, s[0:3], 0 offset:92
	v_mov_b32_e32 v86, 0
	buffer_store_dword v86, off, s[0:3], 0 offset:88
	buffer_store_dword v86, off, s[0:3], 0 offset:92
	s_waitcnt vmcnt(2)
	ds_write_b64 v83, v[84:85]
.LBB40_237:
	s_or_b64 exec, exec, s[4:5]
	s_waitcnt lgkmcnt(0)
	; wave barrier
	buffer_load_dword v143, off, s[0:3], 0 offset:100
	buffer_load_dword v144, off, s[0:3], 0 offset:108
	;; [unrolled: 1-line block ×60, first 2 shown]
	v_mov_b32_e32 v84, 0
	ds_read_b128 v[85:88], v84 offset:432
	ds_read_b128 v[89:92], v84 offset:448
	;; [unrolled: 1-line block ×5, first 2 shown]
	v_cmp_lt_u32_e32 vcc, 10, v0
	s_waitcnt vmcnt(59) lgkmcnt(4)
	v_mul_f32_e32 v105, v85, v143
	s_waitcnt vmcnt(58)
	v_mul_f32_e32 v106, v87, v144
	s_waitcnt vmcnt(57) lgkmcnt(3)
	v_mul_f32_e32 v107, v89, v145
	s_waitcnt vmcnt(56)
	v_mul_f32_e32 v108, v91, v146
	;; [unrolled: 4-line block ×3, first 2 shown]
	s_waitcnt vmcnt(53) lgkmcnt(1)
	v_mul_f32_e32 v111, v97, v149
	s_waitcnt vmcnt(52)
	v_fmac_f32_e32 v105, v86, v150
	s_waitcnt vmcnt(51)
	v_fmac_f32_e32 v106, v88, v151
	v_add_f32_e32 v105, 0, v105
	s_waitcnt vmcnt(50)
	v_fmac_f32_e32 v107, v90, v152
	v_add_f32_e32 v105, v105, v106
	;; [unrolled: 3-line block ×6, first 2 shown]
	s_waitcnt vmcnt(45)
	v_mul_f32_e32 v106, v99, v157
	v_add_f32_e32 v105, v105, v111
	s_waitcnt vmcnt(44)
	v_fmac_f32_e32 v106, v100, v158
	v_mul_f32_e32 v86, v86, v143
	v_add_f32_e32 v109, v105, v106
	ds_read_b128 v[105:108], v84 offset:512
	v_fma_f32 v85, v85, v150, -v86
	v_mul_f32_e32 v86, v88, v144
	s_waitcnt vmcnt(43) lgkmcnt(1)
	v_mul_f32_e32 v110, v101, v159
	v_add_f32_e32 v85, 0, v85
	v_fma_f32 v86, v87, v151, -v86
	s_waitcnt vmcnt(42)
	v_fmac_f32_e32 v110, v102, v160
	v_add_f32_e32 v85, v85, v86
	v_mul_f32_e32 v86, v90, v145
	v_add_f32_e32 v109, v109, v110
	s_waitcnt vmcnt(41)
	v_mul_f32_e32 v110, v103, v161
	v_fma_f32 v86, v89, v152, -v86
	s_waitcnt vmcnt(40)
	v_fmac_f32_e32 v110, v104, v162
	v_add_f32_e32 v85, v85, v86
	v_mul_f32_e32 v86, v92, v146
	v_add_f32_e32 v109, v109, v110
	s_waitcnt vmcnt(39) lgkmcnt(0)
	v_mul_f32_e32 v110, v105, v163
	v_fma_f32 v86, v91, v153, -v86
	s_waitcnt vmcnt(38)
	v_fmac_f32_e32 v110, v106, v164
	v_add_f32_e32 v85, v85, v86
	v_mul_f32_e32 v86, v94, v147
	v_add_f32_e32 v113, v109, v110
	ds_read_b128 v[109:112], v84 offset:528
	v_fma_f32 v86, v93, v154, -v86
	v_add_f32_e32 v85, v85, v86
	v_mul_f32_e32 v86, v96, v148
	s_waitcnt vmcnt(37)
	v_mul_f32_e32 v114, v107, v165
	v_fma_f32 v86, v95, v155, -v86
	s_waitcnt vmcnt(36)
	v_fmac_f32_e32 v114, v108, v166
	v_add_f32_e32 v85, v85, v86
	v_mul_f32_e32 v86, v98, v149
	v_add_f32_e32 v117, v113, v114
	ds_read_b128 v[113:116], v84 offset:544
	v_fma_f32 v86, v97, v156, -v86
	s_waitcnt vmcnt(34) lgkmcnt(1)
	v_mul_f32_e32 v118, v109, v168
	v_add_f32_e32 v85, v85, v86
	v_mul_f32_e32 v86, v100, v157
	v_fmac_f32_e32 v118, v110, v167
	v_fma_f32 v86, v99, v158, -v86
	v_add_f32_e32 v117, v117, v118
	s_waitcnt vmcnt(31)
	v_mul_f32_e32 v118, v111, v171
	v_add_f32_e32 v85, v85, v86
	v_mul_f32_e32 v86, v102, v159
	s_waitcnt vmcnt(30)
	v_fmac_f32_e32 v118, v112, v172
	v_fma_f32 v86, v101, v160, -v86
	v_add_f32_e32 v117, v117, v118
	s_waitcnt vmcnt(28) lgkmcnt(0)
	v_mul_f32_e32 v118, v113, v174
	v_add_f32_e32 v85, v85, v86
	v_mul_f32_e32 v86, v104, v161
	v_fmac_f32_e32 v118, v114, v173
	v_fma_f32 v86, v103, v162, -v86
	v_add_f32_e32 v121, v117, v118
	ds_read_b128 v[117:120], v84 offset:560
	v_add_f32_e32 v85, v85, v86
	v_mul_f32_e32 v86, v106, v163
	v_fma_f32 v86, v105, v164, -v86
	s_waitcnt vmcnt(26)
	v_mul_f32_e32 v122, v115, v176
	v_add_f32_e32 v85, v85, v86
	v_mul_f32_e32 v86, v108, v165
	v_fmac_f32_e32 v122, v116, v175
	v_fma_f32 v86, v107, v166, -v86
	v_add_f32_e32 v125, v121, v122
	ds_read_b128 v[121:124], v84 offset:576
	v_add_f32_e32 v85, v85, v86
	v_mul_f32_e32 v86, v110, v168
	s_waitcnt vmcnt(24) lgkmcnt(1)
	v_mul_f32_e32 v126, v117, v178
	v_fma_f32 v86, v109, v167, -v86
	v_fmac_f32_e32 v126, v118, v177
	v_add_f32_e32 v85, v85, v86
	v_mul_f32_e32 v86, v112, v171
	v_add_f32_e32 v125, v125, v126
	s_waitcnt vmcnt(22)
	v_mul_f32_e32 v126, v119, v180
	v_fma_f32 v86, v111, v172, -v86
	v_fmac_f32_e32 v126, v120, v179
	v_add_f32_e32 v85, v85, v86
	v_mul_f32_e32 v86, v114, v174
	v_add_f32_e32 v125, v125, v126
	s_waitcnt vmcnt(20) lgkmcnt(0)
	v_mul_f32_e32 v126, v121, v182
	v_fma_f32 v86, v113, v173, -v86
	v_fmac_f32_e32 v126, v122, v181
	v_add_f32_e32 v85, v85, v86
	v_mul_f32_e32 v86, v116, v176
	v_add_f32_e32 v129, v125, v126
	ds_read_b128 v[125:128], v84 offset:592
	v_fma_f32 v86, v115, v175, -v86
	v_add_f32_e32 v85, v85, v86
	v_mul_f32_e32 v86, v118, v178
	s_waitcnt vmcnt(18)
	v_mul_f32_e32 v130, v123, v184
	v_fma_f32 v86, v117, v177, -v86
	v_fmac_f32_e32 v130, v124, v183
	v_add_f32_e32 v85, v85, v86
	v_mul_f32_e32 v86, v120, v180
	v_add_f32_e32 v133, v129, v130
	ds_read_b128 v[129:132], v84 offset:608
	v_fma_f32 v86, v119, v179, -v86
	s_waitcnt vmcnt(16) lgkmcnt(1)
	v_mul_f32_e32 v134, v125, v186
	v_add_f32_e32 v85, v85, v86
	v_mul_f32_e32 v86, v122, v182
	v_fmac_f32_e32 v134, v126, v185
	v_fma_f32 v86, v121, v181, -v86
	v_add_f32_e32 v133, v133, v134
	s_waitcnt vmcnt(14)
	v_mul_f32_e32 v134, v127, v188
	v_add_f32_e32 v85, v85, v86
	v_mul_f32_e32 v86, v124, v184
	v_fmac_f32_e32 v134, v128, v187
	v_fma_f32 v86, v123, v183, -v86
	v_add_f32_e32 v133, v133, v134
	s_waitcnt vmcnt(12) lgkmcnt(0)
	v_mul_f32_e32 v134, v129, v190
	v_add_f32_e32 v85, v85, v86
	v_mul_f32_e32 v86, v126, v186
	v_fmac_f32_e32 v134, v130, v189
	v_fma_f32 v86, v125, v185, -v86
	v_add_f32_e32 v137, v133, v134
	ds_read_b128 v[133:136], v84 offset:624
	v_add_f32_e32 v85, v85, v86
	v_mul_f32_e32 v86, v128, v188
	v_fma_f32 v86, v127, v187, -v86
	v_add_f32_e32 v85, v85, v86
	v_mul_f32_e32 v86, v130, v190
	s_waitcnt vmcnt(10)
	v_mul_f32_e32 v138, v131, v192
	v_fma_f32 v86, v129, v189, -v86
	v_fmac_f32_e32 v138, v132, v191
	v_add_f32_e32 v85, v85, v86
	v_mul_f32_e32 v86, v132, v192
	v_add_f32_e32 v141, v137, v138
	ds_read_b128 v[137:140], v84 offset:640
	s_waitcnt vmcnt(8) lgkmcnt(1)
	v_mul_f32_e32 v142, v133, v194
	v_fma_f32 v86, v131, v191, -v86
	v_fmac_f32_e32 v142, v134, v193
	v_add_f32_e32 v85, v85, v86
	v_mul_f32_e32 v86, v134, v194
	v_add_f32_e32 v141, v141, v142
	s_waitcnt vmcnt(6)
	v_mul_f32_e32 v142, v135, v196
	v_fma_f32 v86, v133, v193, -v86
	v_fmac_f32_e32 v142, v136, v195
	v_add_f32_e32 v85, v85, v86
	v_mul_f32_e32 v86, v136, v196
	v_add_f32_e32 v203, v141, v142
	ds_read_b64 v[141:142], v84 offset:656
	v_fma_f32 v86, v135, v195, -v86
	v_add_f32_e32 v85, v85, v86
	s_waitcnt vmcnt(4) lgkmcnt(1)
	v_mul_f32_e32 v86, v138, v198
	v_mul_f32_e32 v204, v137, v198
	v_fma_f32 v86, v137, v197, -v86
	v_fmac_f32_e32 v204, v138, v197
	v_add_f32_e32 v85, v85, v86
	s_waitcnt vmcnt(2)
	v_mul_f32_e32 v86, v140, v200
	v_add_f32_e32 v203, v203, v204
	v_mul_f32_e32 v204, v139, v200
	v_fma_f32 v86, v139, v199, -v86
	v_fmac_f32_e32 v204, v140, v199
	v_add_f32_e32 v85, v85, v86
	s_waitcnt vmcnt(0) lgkmcnt(0)
	v_mul_f32_e32 v86, v142, v202
	v_add_f32_e32 v203, v203, v204
	v_mul_f32_e32 v204, v141, v202
	v_fma_f32 v86, v141, v201, -v86
	v_fmac_f32_e32 v204, v142, v201
	v_add_f32_e32 v85, v85, v86
	v_add_f32_e32 v203, v203, v204
	v_sub_f32_e32 v85, v169, v85
	v_sub_f32_e32 v86, v170, v203
	buffer_store_dword v85, off, s[0:3], 0 offset:88
	buffer_store_dword v86, off, s[0:3], 0 offset:92
	s_and_saveexec_b64 s[4:5], vcc
	s_cbranch_execz .LBB40_239
; %bb.238:
	buffer_load_dword v85, off, s[0:3], 0 offset:80
	buffer_load_dword v86, off, s[0:3], 0 offset:84
	s_waitcnt vmcnt(0)
	ds_write_b64 v83, v[85:86]
	buffer_store_dword v84, off, s[0:3], 0 offset:80
	buffer_store_dword v84, off, s[0:3], 0 offset:84
.LBB40_239:
	s_or_b64 exec, exec, s[4:5]
	s_waitcnt lgkmcnt(0)
	; wave barrier
	buffer_load_dword v145, off, s[0:3], 0 offset:92
	buffer_load_dword v146, off, s[0:3], 0 offset:100
	;; [unrolled: 1-line block ×32, first 2 shown]
	ds_read2_b64 v[85:88], v84 offset0:53 offset1:54
	ds_read2_b64 v[89:92], v84 offset0:55 offset1:56
	ds_read2_b64 v[93:96], v84 offset0:57 offset1:58
	ds_read2_b64 v[97:100], v84 offset0:59 offset1:60
	buffer_load_dword v177, off, s[0:3], 0 offset:212
	buffer_load_dword v178, off, s[0:3], 0 offset:208
	;; [unrolled: 1-line block ×30, first 2 shown]
	v_cmp_lt_u32_e32 vcc, 9, v0
	s_waitcnt vmcnt(61) lgkmcnt(3)
	v_mul_f32_e32 v101, v85, v145
	s_waitcnt vmcnt(60)
	v_mul_f32_e32 v102, v87, v146
	s_waitcnt vmcnt(59) lgkmcnt(2)
	v_mul_f32_e32 v103, v89, v147
	s_waitcnt vmcnt(58)
	v_mul_f32_e32 v104, v91, v148
	;; [unrolled: 4-line block ×3, first 2 shown]
	s_waitcnt vmcnt(55) lgkmcnt(0)
	v_mul_f32_e32 v107, v97, v151
	s_waitcnt vmcnt(54)
	v_fmac_f32_e32 v101, v86, v152
	s_waitcnt vmcnt(53)
	v_fmac_f32_e32 v102, v88, v153
	v_add_f32_e32 v101, 0, v101
	s_waitcnt vmcnt(52)
	v_fmac_f32_e32 v103, v90, v154
	v_add_f32_e32 v101, v101, v102
	s_waitcnt vmcnt(51)
	v_fmac_f32_e32 v104, v92, v155
	v_add_f32_e32 v101, v101, v103
	s_waitcnt vmcnt(50)
	v_fmac_f32_e32 v105, v94, v156
	v_add_f32_e32 v101, v101, v104
	s_waitcnt vmcnt(49)
	v_fmac_f32_e32 v106, v96, v157
	v_add_f32_e32 v101, v101, v105
	s_waitcnt vmcnt(48)
	v_fmac_f32_e32 v107, v98, v158
	v_add_f32_e32 v101, v101, v106
	v_add_f32_e32 v105, v101, v107
	ds_read2_b64 v[101:104], v84 offset0:61 offset1:62
	s_waitcnt vmcnt(47)
	v_mul_f32_e32 v106, v99, v159
	s_waitcnt vmcnt(46)
	v_fmac_f32_e32 v106, v100, v160
	v_mul_f32_e32 v86, v86, v145
	v_add_f32_e32 v109, v105, v106
	ds_read2_b64 v[105:108], v84 offset0:63 offset1:64
	v_fma_f32 v85, v85, v152, -v86
	v_mul_f32_e32 v86, v88, v146
	s_waitcnt vmcnt(45) lgkmcnt(1)
	v_mul_f32_e32 v110, v101, v161
	v_add_f32_e32 v85, 0, v85
	v_fma_f32 v86, v87, v153, -v86
	s_waitcnt vmcnt(44)
	v_fmac_f32_e32 v110, v102, v162
	v_add_f32_e32 v85, v85, v86
	v_mul_f32_e32 v86, v90, v147
	v_add_f32_e32 v109, v109, v110
	s_waitcnt vmcnt(43)
	v_mul_f32_e32 v110, v103, v163
	v_fma_f32 v86, v89, v154, -v86
	s_waitcnt vmcnt(42)
	v_fmac_f32_e32 v110, v104, v164
	v_add_f32_e32 v85, v85, v86
	v_mul_f32_e32 v86, v92, v148
	v_add_f32_e32 v109, v109, v110
	s_waitcnt vmcnt(41) lgkmcnt(0)
	v_mul_f32_e32 v110, v105, v165
	v_fma_f32 v86, v91, v155, -v86
	s_waitcnt vmcnt(40)
	v_fmac_f32_e32 v110, v106, v166
	v_add_f32_e32 v85, v85, v86
	v_mul_f32_e32 v86, v94, v149
	v_add_f32_e32 v113, v109, v110
	ds_read2_b64 v[109:112], v84 offset0:65 offset1:66
	v_fma_f32 v86, v93, v156, -v86
	v_add_f32_e32 v85, v85, v86
	v_mul_f32_e32 v86, v96, v150
	s_waitcnt vmcnt(39)
	v_mul_f32_e32 v114, v107, v167
	v_fma_f32 v86, v95, v157, -v86
	s_waitcnt vmcnt(38)
	v_fmac_f32_e32 v114, v108, v168
	v_add_f32_e32 v85, v85, v86
	v_mul_f32_e32 v86, v98, v151
	v_add_f32_e32 v117, v113, v114
	ds_read2_b64 v[113:116], v84 offset0:67 offset1:68
	v_fma_f32 v86, v97, v158, -v86
	s_waitcnt vmcnt(35) lgkmcnt(1)
	v_mul_f32_e32 v118, v109, v171
	v_add_f32_e32 v85, v85, v86
	v_mul_f32_e32 v86, v100, v159
	s_waitcnt vmcnt(34)
	v_fmac_f32_e32 v118, v110, v172
	v_fma_f32 v86, v99, v160, -v86
	v_add_f32_e32 v117, v117, v118
	s_waitcnt vmcnt(32)
	v_mul_f32_e32 v118, v111, v174
	v_add_f32_e32 v85, v85, v86
	v_mul_f32_e32 v86, v102, v161
	v_fmac_f32_e32 v118, v112, v173
	v_fma_f32 v86, v101, v162, -v86
	v_add_f32_e32 v117, v117, v118
	s_waitcnt vmcnt(30) lgkmcnt(0)
	v_mul_f32_e32 v118, v113, v176
	v_add_f32_e32 v85, v85, v86
	v_mul_f32_e32 v86, v104, v163
	v_fmac_f32_e32 v118, v114, v175
	v_fma_f32 v86, v103, v164, -v86
	v_add_f32_e32 v121, v117, v118
	ds_read2_b64 v[117:120], v84 offset0:69 offset1:70
	v_add_f32_e32 v85, v85, v86
	v_mul_f32_e32 v86, v106, v165
	v_fma_f32 v86, v105, v166, -v86
	s_waitcnt vmcnt(29)
	v_mul_f32_e32 v122, v115, v177
	v_add_f32_e32 v85, v85, v86
	v_mul_f32_e32 v86, v108, v167
	s_waitcnt vmcnt(28)
	v_fmac_f32_e32 v122, v116, v178
	v_fma_f32 v86, v107, v168, -v86
	v_add_f32_e32 v125, v121, v122
	ds_read2_b64 v[121:124], v84 offset0:71 offset1:72
	v_add_f32_e32 v85, v85, v86
	v_mul_f32_e32 v86, v110, v171
	s_waitcnt vmcnt(26) lgkmcnt(1)
	v_mul_f32_e32 v126, v117, v180
	v_fma_f32 v86, v109, v172, -v86
	v_fmac_f32_e32 v126, v118, v179
	v_add_f32_e32 v85, v85, v86
	v_mul_f32_e32 v86, v112, v174
	v_add_f32_e32 v125, v125, v126
	s_waitcnt vmcnt(24)
	v_mul_f32_e32 v126, v119, v182
	v_fma_f32 v86, v111, v173, -v86
	v_fmac_f32_e32 v126, v120, v181
	v_add_f32_e32 v85, v85, v86
	v_mul_f32_e32 v86, v114, v176
	v_add_f32_e32 v125, v125, v126
	s_waitcnt vmcnt(22) lgkmcnt(0)
	v_mul_f32_e32 v126, v121, v184
	v_fma_f32 v86, v113, v175, -v86
	v_fmac_f32_e32 v126, v122, v183
	v_add_f32_e32 v85, v85, v86
	v_mul_f32_e32 v86, v116, v177
	v_add_f32_e32 v129, v125, v126
	ds_read2_b64 v[125:128], v84 offset0:73 offset1:74
	v_fma_f32 v86, v115, v178, -v86
	v_add_f32_e32 v85, v85, v86
	v_mul_f32_e32 v86, v118, v180
	s_waitcnt vmcnt(20)
	v_mul_f32_e32 v130, v123, v186
	v_fma_f32 v86, v117, v179, -v86
	v_fmac_f32_e32 v130, v124, v185
	v_add_f32_e32 v85, v85, v86
	v_mul_f32_e32 v86, v120, v182
	v_add_f32_e32 v133, v129, v130
	ds_read2_b64 v[129:132], v84 offset0:75 offset1:76
	v_fma_f32 v86, v119, v181, -v86
	s_waitcnt vmcnt(18) lgkmcnt(1)
	v_mul_f32_e32 v134, v125, v188
	v_add_f32_e32 v85, v85, v86
	v_mul_f32_e32 v86, v122, v184
	v_fmac_f32_e32 v134, v126, v187
	v_fma_f32 v86, v121, v183, -v86
	v_add_f32_e32 v133, v133, v134
	s_waitcnt vmcnt(16)
	v_mul_f32_e32 v134, v127, v190
	v_add_f32_e32 v85, v85, v86
	v_mul_f32_e32 v86, v124, v186
	v_fmac_f32_e32 v134, v128, v189
	v_fma_f32 v86, v123, v185, -v86
	v_add_f32_e32 v133, v133, v134
	s_waitcnt vmcnt(14) lgkmcnt(0)
	v_mul_f32_e32 v134, v129, v192
	v_add_f32_e32 v85, v85, v86
	v_mul_f32_e32 v86, v126, v188
	v_fmac_f32_e32 v134, v130, v191
	v_fma_f32 v86, v125, v187, -v86
	v_add_f32_e32 v137, v133, v134
	ds_read2_b64 v[133:136], v84 offset0:77 offset1:78
	v_add_f32_e32 v85, v85, v86
	v_mul_f32_e32 v86, v128, v190
	v_fma_f32 v86, v127, v189, -v86
	v_add_f32_e32 v85, v85, v86
	v_mul_f32_e32 v86, v130, v192
	s_waitcnt vmcnt(12)
	v_mul_f32_e32 v138, v131, v194
	v_fma_f32 v86, v129, v191, -v86
	v_fmac_f32_e32 v138, v132, v193
	v_add_f32_e32 v85, v85, v86
	v_mul_f32_e32 v86, v132, v194
	v_add_f32_e32 v141, v137, v138
	ds_read2_b64 v[137:140], v84 offset0:79 offset1:80
	s_waitcnt vmcnt(10) lgkmcnt(1)
	v_mul_f32_e32 v142, v133, v196
	v_fma_f32 v86, v131, v193, -v86
	v_fmac_f32_e32 v142, v134, v195
	v_add_f32_e32 v85, v85, v86
	v_mul_f32_e32 v86, v134, v196
	v_add_f32_e32 v141, v141, v142
	s_waitcnt vmcnt(8)
	v_mul_f32_e32 v142, v135, v198
	v_fma_f32 v86, v133, v195, -v86
	v_fmac_f32_e32 v142, v136, v197
	v_add_f32_e32 v85, v85, v86
	v_mul_f32_e32 v86, v136, v198
	v_add_f32_e32 v207, v141, v142
	ds_read2_b64 v[141:144], v84 offset0:81 offset1:82
	v_fma_f32 v86, v135, v197, -v86
	v_add_f32_e32 v85, v85, v86
	s_waitcnt vmcnt(6) lgkmcnt(1)
	v_mul_f32_e32 v86, v138, v200
	v_mul_f32_e32 v208, v137, v200
	v_fma_f32 v86, v137, v199, -v86
	v_fmac_f32_e32 v208, v138, v199
	v_add_f32_e32 v85, v85, v86
	s_waitcnt vmcnt(4)
	v_mul_f32_e32 v86, v140, v202
	v_add_f32_e32 v84, v207, v208
	v_mul_f32_e32 v207, v139, v202
	v_fma_f32 v86, v139, v201, -v86
	v_fmac_f32_e32 v207, v140, v201
	v_add_f32_e32 v85, v85, v86
	s_waitcnt vmcnt(2) lgkmcnt(0)
	v_mul_f32_e32 v86, v142, v204
	v_add_f32_e32 v84, v84, v207
	v_mul_f32_e32 v207, v141, v204
	v_fma_f32 v86, v141, v203, -v86
	v_fmac_f32_e32 v207, v142, v203
	v_add_f32_e32 v85, v85, v86
	s_waitcnt vmcnt(0)
	v_mul_f32_e32 v86, v144, v206
	v_add_f32_e32 v84, v84, v207
	v_mul_f32_e32 v207, v143, v206
	v_fma_f32 v86, v143, v205, -v86
	v_fmac_f32_e32 v207, v144, v205
	v_add_f32_e32 v85, v85, v86
	v_add_f32_e32 v84, v84, v207
	v_sub_f32_e32 v85, v169, v85
	v_sub_f32_e32 v84, v170, v84
	buffer_store_dword v85, off, s[0:3], 0 offset:80
	buffer_store_dword v84, off, s[0:3], 0 offset:84
	s_and_saveexec_b64 s[4:5], vcc
	s_cbranch_execz .LBB40_241
; %bb.240:
	buffer_load_dword v84, off, s[0:3], 0 offset:72
	buffer_load_dword v85, off, s[0:3], 0 offset:76
	v_mov_b32_e32 v86, 0
	buffer_store_dword v86, off, s[0:3], 0 offset:72
	buffer_store_dword v86, off, s[0:3], 0 offset:76
	s_waitcnt vmcnt(2)
	ds_write_b64 v83, v[84:85]
.LBB40_241:
	s_or_b64 exec, exec, s[4:5]
	s_waitcnt lgkmcnt(0)
	; wave barrier
	buffer_load_dword v147, off, s[0:3], 0 offset:84
	buffer_load_dword v148, off, s[0:3], 0 offset:92
	buffer_load_dword v149, off, s[0:3], 0 offset:100
	buffer_load_dword v150, off, s[0:3], 0 offset:108
	buffer_load_dword v151, off, s[0:3], 0 offset:116
	buffer_load_dword v152, off, s[0:3], 0 offset:124
	buffer_load_dword v153, off, s[0:3], 0 offset:132
	buffer_load_dword v154, off, s[0:3], 0 offset:140
	buffer_load_dword v155, off, s[0:3], 0 offset:80
	buffer_load_dword v156, off, s[0:3], 0 offset:88
	buffer_load_dword v157, off, s[0:3], 0 offset:96
	buffer_load_dword v158, off, s[0:3], 0 offset:104
	buffer_load_dword v159, off, s[0:3], 0 offset:112
	buffer_load_dword v160, off, s[0:3], 0 offset:120
	buffer_load_dword v161, off, s[0:3], 0 offset:128
	buffer_load_dword v162, off, s[0:3], 0 offset:136
	buffer_load_dword v163, off, s[0:3], 0 offset:148
	buffer_load_dword v164, off, s[0:3], 0 offset:144
	buffer_load_dword v165, off, s[0:3], 0 offset:156
	buffer_load_dword v166, off, s[0:3], 0 offset:152
	buffer_load_dword v167, off, s[0:3], 0 offset:160
	buffer_load_dword v168, off, s[0:3], 0 offset:164
	buffer_load_dword v169, off, s[0:3], 0 offset:72
	buffer_load_dword v170, off, s[0:3], 0 offset:76
	buffer_load_dword v171, off, s[0:3], 0 offset:172
	buffer_load_dword v172, off, s[0:3], 0 offset:168
	buffer_load_dword v173, off, s[0:3], 0 offset:176
	buffer_load_dword v174, off, s[0:3], 0 offset:180
	buffer_load_dword v175, off, s[0:3], 0 offset:184
	buffer_load_dword v176, off, s[0:3], 0 offset:188
	buffer_load_dword v177, off, s[0:3], 0 offset:192
	buffer_load_dword v178, off, s[0:3], 0 offset:196
	buffer_load_dword v179, off, s[0:3], 0 offset:200
	buffer_load_dword v180, off, s[0:3], 0 offset:204
	buffer_load_dword v181, off, s[0:3], 0 offset:208
	buffer_load_dword v182, off, s[0:3], 0 offset:212
	buffer_load_dword v183, off, s[0:3], 0 offset:216
	buffer_load_dword v184, off, s[0:3], 0 offset:220
	buffer_load_dword v185, off, s[0:3], 0 offset:224
	buffer_load_dword v186, off, s[0:3], 0 offset:228
	buffer_load_dword v187, off, s[0:3], 0 offset:232
	buffer_load_dword v188, off, s[0:3], 0 offset:236
	buffer_load_dword v189, off, s[0:3], 0 offset:240
	buffer_load_dword v190, off, s[0:3], 0 offset:244
	buffer_load_dword v191, off, s[0:3], 0 offset:248
	buffer_load_dword v192, off, s[0:3], 0 offset:252
	buffer_load_dword v193, off, s[0:3], 0 offset:256
	buffer_load_dword v194, off, s[0:3], 0 offset:260
	buffer_load_dword v195, off, s[0:3], 0 offset:264
	buffer_load_dword v196, off, s[0:3], 0 offset:268
	buffer_load_dword v197, off, s[0:3], 0 offset:272
	buffer_load_dword v198, off, s[0:3], 0 offset:276
	buffer_load_dword v199, off, s[0:3], 0 offset:280
	buffer_load_dword v200, off, s[0:3], 0 offset:284
	buffer_load_dword v201, off, s[0:3], 0 offset:288
	buffer_load_dword v202, off, s[0:3], 0 offset:292
	v_mov_b32_e32 v84, 0
	ds_read_b128 v[85:88], v84 offset:416
	buffer_load_dword v203, off, s[0:3], 0 offset:296
	buffer_load_dword v204, off, s[0:3], 0 offset:300
	;; [unrolled: 1-line block ×4, first 2 shown]
	ds_read_b128 v[89:92], v84 offset:432
	ds_read_b128 v[93:96], v84 offset:448
	;; [unrolled: 1-line block ×3, first 2 shown]
	v_cmp_lt_u32_e32 vcc, 8, v0
	s_waitcnt vmcnt(59) lgkmcnt(3)
	v_mul_f32_e32 v101, v85, v147
	s_waitcnt vmcnt(58)
	v_mul_f32_e32 v102, v87, v148
	s_waitcnt vmcnt(57) lgkmcnt(2)
	v_mul_f32_e32 v103, v89, v149
	s_waitcnt vmcnt(56)
	v_mul_f32_e32 v104, v91, v150
	;; [unrolled: 4-line block ×4, first 2 shown]
	s_waitcnt vmcnt(51)
	v_fmac_f32_e32 v101, v86, v155
	s_waitcnt vmcnt(50)
	v_fmac_f32_e32 v102, v88, v156
	v_add_f32_e32 v101, 0, v101
	s_waitcnt vmcnt(49)
	v_fmac_f32_e32 v103, v90, v157
	v_add_f32_e32 v101, v101, v102
	;; [unrolled: 3-line block ×6, first 2 shown]
	v_add_f32_e32 v105, v101, v107
	ds_read_b128 v[101:104], v84 offset:480
	buffer_load_dword v207, off, s[0:3], 0 offset:316
	buffer_load_dword v208, off, s[0:3], 0 offset:312
	;; [unrolled: 1-line block ×4, first 2 shown]
	s_waitcnt vmcnt(48)
	v_fmac_f32_e32 v108, v100, v162
	v_add_f32_e32 v109, v105, v108
	ds_read_b128 v[105:108], v84 offset:496
	s_waitcnt vmcnt(47) lgkmcnt(1)
	v_mul_f32_e32 v110, v101, v163
	v_mul_f32_e32 v86, v86, v147
	s_waitcnt vmcnt(46)
	v_fmac_f32_e32 v110, v102, v164
	v_fma_f32 v85, v85, v155, -v86
	v_mul_f32_e32 v86, v88, v148
	v_add_f32_e32 v109, v109, v110
	s_waitcnt vmcnt(45)
	v_mul_f32_e32 v110, v103, v165
	v_add_f32_e32 v85, 0, v85
	v_fma_f32 v86, v87, v156, -v86
	s_waitcnt vmcnt(44)
	v_fmac_f32_e32 v110, v104, v166
	v_add_f32_e32 v85, v85, v86
	v_mul_f32_e32 v86, v90, v149
	v_add_f32_e32 v109, v109, v110
	s_waitcnt vmcnt(42) lgkmcnt(0)
	v_mul_f32_e32 v110, v105, v168
	v_fma_f32 v86, v89, v157, -v86
	v_fmac_f32_e32 v110, v106, v167
	v_add_f32_e32 v85, v85, v86
	v_mul_f32_e32 v86, v92, v150
	v_add_f32_e32 v113, v109, v110
	ds_read_b128 v[109:112], v84 offset:512
	v_fma_f32 v86, v91, v158, -v86
	v_add_f32_e32 v85, v85, v86
	v_mul_f32_e32 v86, v94, v151
	s_waitcnt vmcnt(39)
	v_mul_f32_e32 v114, v107, v171
	v_fma_f32 v86, v93, v159, -v86
	s_waitcnt vmcnt(38)
	v_fmac_f32_e32 v114, v108, v172
	v_add_f32_e32 v85, v85, v86
	v_mul_f32_e32 v86, v96, v152
	v_add_f32_e32 v117, v113, v114
	ds_read_b128 v[113:116], v84 offset:528
	v_fma_f32 v86, v95, v160, -v86
	s_waitcnt vmcnt(36) lgkmcnt(1)
	v_mul_f32_e32 v118, v109, v174
	v_add_f32_e32 v85, v85, v86
	v_mul_f32_e32 v86, v98, v153
	v_fmac_f32_e32 v118, v110, v173
	v_fma_f32 v86, v97, v161, -v86
	v_add_f32_e32 v117, v117, v118
	s_waitcnt vmcnt(34)
	v_mul_f32_e32 v118, v111, v176
	v_add_f32_e32 v85, v85, v86
	v_mul_f32_e32 v86, v100, v154
	v_fmac_f32_e32 v118, v112, v175
	v_fma_f32 v86, v99, v162, -v86
	v_add_f32_e32 v117, v117, v118
	s_waitcnt vmcnt(32) lgkmcnt(0)
	v_mul_f32_e32 v118, v113, v178
	v_add_f32_e32 v85, v85, v86
	v_mul_f32_e32 v86, v102, v163
	v_fmac_f32_e32 v118, v114, v177
	v_fma_f32 v86, v101, v164, -v86
	v_add_f32_e32 v121, v117, v118
	ds_read_b128 v[117:120], v84 offset:544
	v_add_f32_e32 v85, v85, v86
	v_mul_f32_e32 v86, v104, v165
	v_fma_f32 v86, v103, v166, -v86
	s_waitcnt vmcnt(30)
	v_mul_f32_e32 v122, v115, v180
	v_add_f32_e32 v85, v85, v86
	v_mul_f32_e32 v86, v106, v168
	v_fmac_f32_e32 v122, v116, v179
	v_fma_f32 v86, v105, v167, -v86
	v_add_f32_e32 v125, v121, v122
	ds_read_b128 v[121:124], v84 offset:560
	v_add_f32_e32 v85, v85, v86
	v_mul_f32_e32 v86, v108, v171
	s_waitcnt vmcnt(28) lgkmcnt(1)
	v_mul_f32_e32 v126, v117, v182
	v_fma_f32 v86, v107, v172, -v86
	v_fmac_f32_e32 v126, v118, v181
	v_add_f32_e32 v85, v85, v86
	v_mul_f32_e32 v86, v110, v174
	v_add_f32_e32 v125, v125, v126
	s_waitcnt vmcnt(26)
	v_mul_f32_e32 v126, v119, v184
	v_fma_f32 v86, v109, v173, -v86
	v_fmac_f32_e32 v126, v120, v183
	v_add_f32_e32 v85, v85, v86
	v_mul_f32_e32 v86, v112, v176
	v_add_f32_e32 v125, v125, v126
	s_waitcnt vmcnt(24) lgkmcnt(0)
	v_mul_f32_e32 v126, v121, v186
	v_fma_f32 v86, v111, v175, -v86
	v_fmac_f32_e32 v126, v122, v185
	v_add_f32_e32 v85, v85, v86
	v_mul_f32_e32 v86, v114, v178
	v_add_f32_e32 v129, v125, v126
	ds_read_b128 v[125:128], v84 offset:576
	v_fma_f32 v86, v113, v177, -v86
	v_add_f32_e32 v85, v85, v86
	v_mul_f32_e32 v86, v116, v180
	s_waitcnt vmcnt(22)
	v_mul_f32_e32 v130, v123, v188
	v_fma_f32 v86, v115, v179, -v86
	v_fmac_f32_e32 v130, v124, v187
	v_add_f32_e32 v85, v85, v86
	v_mul_f32_e32 v86, v118, v182
	v_add_f32_e32 v133, v129, v130
	ds_read_b128 v[129:132], v84 offset:592
	v_fma_f32 v86, v117, v181, -v86
	s_waitcnt vmcnt(20) lgkmcnt(1)
	v_mul_f32_e32 v134, v125, v190
	v_add_f32_e32 v85, v85, v86
	v_mul_f32_e32 v86, v120, v184
	v_fmac_f32_e32 v134, v126, v189
	v_fma_f32 v86, v119, v183, -v86
	v_add_f32_e32 v133, v133, v134
	s_waitcnt vmcnt(18)
	v_mul_f32_e32 v134, v127, v192
	v_add_f32_e32 v85, v85, v86
	v_mul_f32_e32 v86, v122, v186
	v_fmac_f32_e32 v134, v128, v191
	v_fma_f32 v86, v121, v185, -v86
	v_add_f32_e32 v133, v133, v134
	s_waitcnt vmcnt(16) lgkmcnt(0)
	v_mul_f32_e32 v134, v129, v194
	v_add_f32_e32 v85, v85, v86
	v_mul_f32_e32 v86, v124, v188
	v_fmac_f32_e32 v134, v130, v193
	v_fma_f32 v86, v123, v187, -v86
	v_add_f32_e32 v137, v133, v134
	ds_read_b128 v[133:136], v84 offset:608
	v_add_f32_e32 v85, v85, v86
	v_mul_f32_e32 v86, v126, v190
	v_fma_f32 v86, v125, v189, -v86
	s_waitcnt vmcnt(14)
	v_mul_f32_e32 v138, v131, v196
	v_add_f32_e32 v85, v85, v86
	v_mul_f32_e32 v86, v128, v192
	v_fmac_f32_e32 v138, v132, v195
	v_fma_f32 v86, v127, v191, -v86
	v_add_f32_e32 v141, v137, v138
	ds_read_b128 v[137:140], v84 offset:624
	v_add_f32_e32 v85, v85, v86
	v_mul_f32_e32 v86, v130, v194
	s_waitcnt vmcnt(12) lgkmcnt(1)
	v_mul_f32_e32 v142, v133, v198
	v_fma_f32 v86, v129, v193, -v86
	v_fmac_f32_e32 v142, v134, v197
	v_add_f32_e32 v85, v85, v86
	v_mul_f32_e32 v86, v132, v196
	v_add_f32_e32 v141, v141, v142
	s_waitcnt vmcnt(10)
	v_mul_f32_e32 v142, v135, v200
	v_fma_f32 v86, v131, v195, -v86
	v_fmac_f32_e32 v142, v136, v199
	v_add_f32_e32 v85, v85, v86
	v_mul_f32_e32 v86, v134, v198
	v_add_f32_e32 v141, v141, v142
	s_waitcnt vmcnt(8) lgkmcnt(0)
	v_mul_f32_e32 v142, v137, v202
	v_fma_f32 v86, v133, v197, -v86
	v_fmac_f32_e32 v142, v138, v201
	v_add_f32_e32 v85, v85, v86
	v_mul_f32_e32 v86, v136, v200
	v_add_f32_e32 v145, v141, v142
	ds_read_b128 v[141:144], v84 offset:640
	v_fma_f32 v86, v135, v199, -v86
	v_add_f32_e32 v85, v85, v86
	v_mul_f32_e32 v86, v138, v202
	s_waitcnt vmcnt(6)
	v_mul_f32_e32 v146, v139, v204
	v_fma_f32 v86, v137, v201, -v86
	v_fmac_f32_e32 v146, v140, v203
	v_add_f32_e32 v85, v85, v86
	v_mul_f32_e32 v86, v140, v204
	v_add_f32_e32 v211, v145, v146
	ds_read_b64 v[145:146], v84 offset:656
	v_fma_f32 v86, v139, v203, -v86
	v_add_f32_e32 v85, v85, v86
	s_waitcnt vmcnt(4) lgkmcnt(1)
	v_mul_f32_e32 v86, v142, v206
	v_mul_f32_e32 v212, v141, v206
	v_fma_f32 v86, v141, v205, -v86
	v_fmac_f32_e32 v212, v142, v205
	v_add_f32_e32 v85, v85, v86
	s_waitcnt vmcnt(3)
	v_mul_f32_e32 v86, v144, v207
	v_add_f32_e32 v211, v211, v212
	v_mul_f32_e32 v212, v143, v207
	s_waitcnt vmcnt(2)
	v_fma_f32 v86, v143, v208, -v86
	v_fmac_f32_e32 v212, v144, v208
	v_add_f32_e32 v85, v85, v86
	s_waitcnt vmcnt(0) lgkmcnt(0)
	v_mul_f32_e32 v86, v146, v210
	v_add_f32_e32 v211, v211, v212
	v_mul_f32_e32 v212, v145, v210
	v_fma_f32 v86, v145, v209, -v86
	v_fmac_f32_e32 v212, v146, v209
	v_add_f32_e32 v85, v85, v86
	v_add_f32_e32 v211, v211, v212
	v_sub_f32_e32 v85, v169, v85
	v_sub_f32_e32 v86, v170, v211
	buffer_store_dword v85, off, s[0:3], 0 offset:72
	buffer_store_dword v86, off, s[0:3], 0 offset:76
	s_and_saveexec_b64 s[4:5], vcc
	s_cbranch_execz .LBB40_243
; %bb.242:
	buffer_load_dword v85, off, s[0:3], 0 offset:64
	buffer_load_dword v86, off, s[0:3], 0 offset:68
	s_waitcnt vmcnt(0)
	ds_write_b64 v83, v[85:86]
	buffer_store_dword v84, off, s[0:3], 0 offset:64
	buffer_store_dword v84, off, s[0:3], 0 offset:68
.LBB40_243:
	s_or_b64 exec, exec, s[4:5]
	s_waitcnt lgkmcnt(0)
	; wave barrier
	buffer_load_dword v149, off, s[0:3], 0 offset:76
	buffer_load_dword v150, off, s[0:3], 0 offset:84
	;; [unrolled: 1-line block ×26, first 2 shown]
	ds_read2_b64 v[85:88], v84 offset0:51 offset1:52
	ds_read2_b64 v[89:92], v84 offset0:53 offset1:54
	;; [unrolled: 1-line block ×4, first 2 shown]
	buffer_load_dword v175, off, s[0:3], 0 offset:172
	buffer_load_dword v176, off, s[0:3], 0 offset:168
	;; [unrolled: 1-line block ×34, first 2 shown]
	v_cmp_lt_u32_e32 vcc, 7, v0
	s_waitcnt vmcnt(59) lgkmcnt(3)
	v_mul_f32_e32 v101, v85, v149
	s_waitcnt vmcnt(58)
	v_mul_f32_e32 v102, v87, v150
	s_waitcnt vmcnt(57) lgkmcnt(2)
	v_mul_f32_e32 v103, v89, v151
	s_waitcnt vmcnt(56)
	v_mul_f32_e32 v104, v91, v152
	;; [unrolled: 4-line block ×4, first 2 shown]
	s_waitcnt vmcnt(51)
	v_fmac_f32_e32 v101, v86, v157
	s_waitcnt vmcnt(50)
	v_fmac_f32_e32 v102, v88, v158
	v_add_f32_e32 v101, 0, v101
	s_waitcnt vmcnt(49)
	v_fmac_f32_e32 v103, v90, v159
	v_add_f32_e32 v101, v101, v102
	;; [unrolled: 3-line block ×7, first 2 shown]
	v_add_f32_e32 v109, v101, v108
	ds_read2_b64 v[101:104], v84 offset0:59 offset1:60
	buffer_load_dword v209, off, s[0:3], 0 offset:308
	buffer_load_dword v210, off, s[0:3], 0 offset:304
	buffer_load_dword v211, off, s[0:3], 0 offset:312
	buffer_load_dword v212, off, s[0:3], 0 offset:316
	ds_read2_b64 v[105:108], v84 offset0:61 offset1:62
	buffer_load_dword v213, off, s[0:3], 0 offset:320
	buffer_load_dword v214, off, s[0:3], 0 offset:324
	v_mul_f32_e32 v86, v86, v149
	s_waitcnt vmcnt(49) lgkmcnt(1)
	v_mul_f32_e32 v110, v101, v165
	s_waitcnt vmcnt(48)
	v_fmac_f32_e32 v110, v102, v166
	v_fma_f32 v85, v85, v157, -v86
	v_mul_f32_e32 v86, v88, v150
	v_add_f32_e32 v109, v109, v110
	s_waitcnt vmcnt(46)
	v_mul_f32_e32 v110, v103, v168
	v_add_f32_e32 v85, 0, v85
	v_fma_f32 v86, v87, v158, -v86
	v_fmac_f32_e32 v110, v104, v167
	v_add_f32_e32 v85, v85, v86
	v_mul_f32_e32 v86, v90, v151
	v_add_f32_e32 v109, v109, v110
	s_waitcnt vmcnt(43) lgkmcnt(0)
	v_mul_f32_e32 v110, v105, v171
	v_fma_f32 v86, v89, v159, -v86
	s_waitcnt vmcnt(42)
	v_fmac_f32_e32 v110, v106, v172
	v_add_f32_e32 v85, v85, v86
	v_mul_f32_e32 v86, v92, v152
	v_add_f32_e32 v113, v109, v110
	ds_read2_b64 v[109:112], v84 offset0:63 offset1:64
	v_fma_f32 v86, v91, v160, -v86
	v_add_f32_e32 v85, v85, v86
	v_mul_f32_e32 v86, v94, v153
	s_waitcnt vmcnt(40)
	v_mul_f32_e32 v114, v107, v174
	v_fma_f32 v86, v93, v161, -v86
	v_fmac_f32_e32 v114, v108, v173
	v_add_f32_e32 v85, v85, v86
	v_mul_f32_e32 v86, v96, v154
	v_add_f32_e32 v117, v113, v114
	ds_read2_b64 v[113:116], v84 offset0:65 offset1:66
	v_fma_f32 v86, v95, v162, -v86
	s_waitcnt vmcnt(39) lgkmcnt(1)
	v_mul_f32_e32 v118, v109, v175
	v_add_f32_e32 v85, v85, v86
	v_mul_f32_e32 v86, v98, v155
	s_waitcnt vmcnt(38)
	v_fmac_f32_e32 v118, v110, v176
	v_fma_f32 v86, v97, v163, -v86
	v_add_f32_e32 v117, v117, v118
	s_waitcnt vmcnt(36)
	v_mul_f32_e32 v118, v111, v178
	v_add_f32_e32 v85, v85, v86
	v_mul_f32_e32 v86, v100, v156
	v_fmac_f32_e32 v118, v112, v177
	v_fma_f32 v86, v99, v164, -v86
	v_add_f32_e32 v117, v117, v118
	s_waitcnt vmcnt(34) lgkmcnt(0)
	v_mul_f32_e32 v118, v113, v180
	v_add_f32_e32 v85, v85, v86
	v_mul_f32_e32 v86, v102, v165
	v_fmac_f32_e32 v118, v114, v179
	v_fma_f32 v86, v101, v166, -v86
	v_add_f32_e32 v121, v117, v118
	ds_read2_b64 v[117:120], v84 offset0:67 offset1:68
	v_add_f32_e32 v85, v85, v86
	v_mul_f32_e32 v86, v104, v168
	v_fma_f32 v86, v103, v167, -v86
	s_waitcnt vmcnt(32)
	v_mul_f32_e32 v122, v115, v182
	v_add_f32_e32 v85, v85, v86
	v_mul_f32_e32 v86, v106, v171
	v_fmac_f32_e32 v122, v116, v181
	v_fma_f32 v86, v105, v172, -v86
	v_add_f32_e32 v125, v121, v122
	ds_read2_b64 v[121:124], v84 offset0:69 offset1:70
	v_add_f32_e32 v85, v85, v86
	v_mul_f32_e32 v86, v108, v174
	s_waitcnt vmcnt(30) lgkmcnt(1)
	v_mul_f32_e32 v126, v117, v184
	v_fma_f32 v86, v107, v173, -v86
	v_fmac_f32_e32 v126, v118, v183
	v_add_f32_e32 v85, v85, v86
	v_mul_f32_e32 v86, v110, v175
	v_add_f32_e32 v125, v125, v126
	s_waitcnt vmcnt(28)
	v_mul_f32_e32 v126, v119, v186
	v_fma_f32 v86, v109, v176, -v86
	v_fmac_f32_e32 v126, v120, v185
	v_add_f32_e32 v85, v85, v86
	v_mul_f32_e32 v86, v112, v178
	v_add_f32_e32 v125, v125, v126
	s_waitcnt vmcnt(26) lgkmcnt(0)
	v_mul_f32_e32 v126, v121, v188
	v_fma_f32 v86, v111, v177, -v86
	v_fmac_f32_e32 v126, v122, v187
	v_add_f32_e32 v85, v85, v86
	v_mul_f32_e32 v86, v114, v180
	v_add_f32_e32 v129, v125, v126
	ds_read2_b64 v[125:128], v84 offset0:71 offset1:72
	v_fma_f32 v86, v113, v179, -v86
	v_add_f32_e32 v85, v85, v86
	v_mul_f32_e32 v86, v116, v182
	s_waitcnt vmcnt(24)
	v_mul_f32_e32 v130, v123, v190
	v_fma_f32 v86, v115, v181, -v86
	v_fmac_f32_e32 v130, v124, v189
	v_add_f32_e32 v85, v85, v86
	v_mul_f32_e32 v86, v118, v184
	v_add_f32_e32 v133, v129, v130
	ds_read2_b64 v[129:132], v84 offset0:73 offset1:74
	v_fma_f32 v86, v117, v183, -v86
	s_waitcnt vmcnt(22) lgkmcnt(1)
	v_mul_f32_e32 v134, v125, v192
	v_add_f32_e32 v85, v85, v86
	v_mul_f32_e32 v86, v120, v186
	v_fmac_f32_e32 v134, v126, v191
	v_fma_f32 v86, v119, v185, -v86
	v_add_f32_e32 v133, v133, v134
	s_waitcnt vmcnt(20)
	v_mul_f32_e32 v134, v127, v194
	v_add_f32_e32 v85, v85, v86
	v_mul_f32_e32 v86, v122, v188
	v_fmac_f32_e32 v134, v128, v193
	v_fma_f32 v86, v121, v187, -v86
	v_add_f32_e32 v133, v133, v134
	s_waitcnt vmcnt(18) lgkmcnt(0)
	v_mul_f32_e32 v134, v129, v196
	v_add_f32_e32 v85, v85, v86
	v_mul_f32_e32 v86, v124, v190
	v_fmac_f32_e32 v134, v130, v195
	v_fma_f32 v86, v123, v189, -v86
	v_add_f32_e32 v137, v133, v134
	ds_read2_b64 v[133:136], v84 offset0:75 offset1:76
	v_add_f32_e32 v85, v85, v86
	v_mul_f32_e32 v86, v126, v192
	v_fma_f32 v86, v125, v191, -v86
	s_waitcnt vmcnt(16)
	v_mul_f32_e32 v138, v131, v198
	v_add_f32_e32 v85, v85, v86
	v_mul_f32_e32 v86, v128, v194
	v_fmac_f32_e32 v138, v132, v197
	v_fma_f32 v86, v127, v193, -v86
	v_add_f32_e32 v141, v137, v138
	ds_read2_b64 v[137:140], v84 offset0:77 offset1:78
	v_add_f32_e32 v85, v85, v86
	v_mul_f32_e32 v86, v130, v196
	s_waitcnt vmcnt(14) lgkmcnt(1)
	v_mul_f32_e32 v142, v133, v200
	v_fma_f32 v86, v129, v195, -v86
	v_fmac_f32_e32 v142, v134, v199
	v_add_f32_e32 v85, v85, v86
	v_mul_f32_e32 v86, v132, v198
	v_add_f32_e32 v141, v141, v142
	s_waitcnt vmcnt(12)
	v_mul_f32_e32 v142, v135, v202
	v_fma_f32 v86, v131, v197, -v86
	v_fmac_f32_e32 v142, v136, v201
	v_add_f32_e32 v85, v85, v86
	v_mul_f32_e32 v86, v134, v200
	v_add_f32_e32 v141, v141, v142
	s_waitcnt vmcnt(10) lgkmcnt(0)
	v_mul_f32_e32 v142, v137, v204
	v_fma_f32 v86, v133, v199, -v86
	v_fmac_f32_e32 v142, v138, v203
	v_add_f32_e32 v85, v85, v86
	v_mul_f32_e32 v86, v136, v202
	v_add_f32_e32 v145, v141, v142
	ds_read2_b64 v[141:144], v84 offset0:79 offset1:80
	v_fma_f32 v86, v135, v201, -v86
	v_add_f32_e32 v85, v85, v86
	v_mul_f32_e32 v86, v138, v204
	s_waitcnt vmcnt(8)
	v_mul_f32_e32 v146, v139, v206
	v_fma_f32 v86, v137, v203, -v86
	v_fmac_f32_e32 v146, v140, v205
	v_add_f32_e32 v85, v85, v86
	v_mul_f32_e32 v86, v140, v206
	v_add_f32_e32 v215, v145, v146
	ds_read2_b64 v[145:148], v84 offset0:81 offset1:82
	v_fma_f32 v86, v139, v205, -v86
	v_add_f32_e32 v85, v85, v86
	s_waitcnt vmcnt(6) lgkmcnt(1)
	v_mul_f32_e32 v86, v142, v208
	v_mul_f32_e32 v84, v141, v208
	v_fma_f32 v86, v141, v207, -v86
	v_fmac_f32_e32 v84, v142, v207
	v_add_f32_e32 v85, v85, v86
	s_waitcnt vmcnt(5)
	v_mul_f32_e32 v86, v144, v209
	v_add_f32_e32 v84, v215, v84
	v_mul_f32_e32 v215, v143, v209
	s_waitcnt vmcnt(4)
	v_fma_f32 v86, v143, v210, -v86
	v_fmac_f32_e32 v215, v144, v210
	v_add_f32_e32 v85, v85, v86
	s_waitcnt vmcnt(2) lgkmcnt(0)
	v_mul_f32_e32 v86, v146, v212
	v_add_f32_e32 v84, v84, v215
	v_mul_f32_e32 v215, v145, v212
	v_fma_f32 v86, v145, v211, -v86
	v_fmac_f32_e32 v215, v146, v211
	v_add_f32_e32 v85, v85, v86
	s_waitcnt vmcnt(0)
	v_mul_f32_e32 v86, v148, v214
	v_add_f32_e32 v84, v84, v215
	v_mul_f32_e32 v215, v147, v214
	v_fma_f32 v86, v147, v213, -v86
	v_fmac_f32_e32 v215, v148, v213
	v_add_f32_e32 v85, v85, v86
	v_add_f32_e32 v84, v84, v215
	v_sub_f32_e32 v85, v169, v85
	v_sub_f32_e32 v84, v170, v84
	buffer_store_dword v85, off, s[0:3], 0 offset:64
	buffer_store_dword v84, off, s[0:3], 0 offset:68
	s_and_saveexec_b64 s[4:5], vcc
	s_cbranch_execz .LBB40_245
; %bb.244:
	buffer_load_dword v84, off, s[0:3], 0 offset:56
	buffer_load_dword v85, off, s[0:3], 0 offset:60
	v_mov_b32_e32 v86, 0
	buffer_store_dword v86, off, s[0:3], 0 offset:56
	buffer_store_dword v86, off, s[0:3], 0 offset:60
	s_waitcnt vmcnt(2)
	ds_write_b64 v83, v[84:85]
.LBB40_245:
	s_or_b64 exec, exec, s[4:5]
	s_waitcnt lgkmcnt(0)
	; wave barrier
	buffer_load_dword v151, off, s[0:3], 0 offset:68
	buffer_load_dword v152, off, s[0:3], 0 offset:76
	;; [unrolled: 1-line block ×58, first 2 shown]
	v_mov_b32_e32 v84, 0
	ds_read_b128 v[85:88], v84 offset:400
	ds_read_b128 v[89:92], v84 offset:416
	;; [unrolled: 1-line block ×5, first 2 shown]
	buffer_load_dword v209, off, s[0:3], 0 offset:288
	buffer_load_dword v210, off, s[0:3], 0 offset:292
	v_cmp_lt_u32_e32 vcc, 6, v0
	s_waitcnt vmcnt(59) lgkmcnt(4)
	v_mul_f32_e32 v105, v85, v151
	s_waitcnt vmcnt(58)
	v_mul_f32_e32 v106, v87, v152
	s_waitcnt vmcnt(57) lgkmcnt(3)
	v_mul_f32_e32 v107, v89, v153
	s_waitcnt vmcnt(56)
	v_mul_f32_e32 v108, v91, v154
	;; [unrolled: 4-line block ×4, first 2 shown]
	s_waitcnt vmcnt(51)
	v_fmac_f32_e32 v105, v86, v159
	s_waitcnt vmcnt(50)
	v_fmac_f32_e32 v106, v88, v160
	v_add_f32_e32 v105, 0, v105
	s_waitcnt vmcnt(49)
	v_fmac_f32_e32 v107, v90, v161
	v_add_f32_e32 v105, v105, v106
	;; [unrolled: 3-line block ×7, first 2 shown]
	v_add_f32_e32 v109, v105, v112
	ds_read_b128 v[105:108], v84 offset:480
	buffer_load_dword v211, off, s[0:3], 0 offset:300
	buffer_load_dword v212, off, s[0:3], 0 offset:296
	;; [unrolled: 1-line block ×8, first 2 shown]
	s_waitcnt vmcnt(51) lgkmcnt(1)
	v_mul_f32_e32 v110, v101, v167
	s_waitcnt vmcnt(50)
	v_fmac_f32_e32 v110, v102, v168
	v_mul_f32_e32 v86, v86, v151
	v_add_f32_e32 v109, v109, v110
	s_waitcnt vmcnt(49)
	v_mul_f32_e32 v110, v103, v169
	v_fma_f32 v85, v85, v159, -v86
	v_mul_f32_e32 v86, v88, v152
	s_waitcnt vmcnt(46)
	v_fmac_f32_e32 v110, v104, v172
	v_add_f32_e32 v85, 0, v85
	v_fma_f32 v86, v87, v160, -v86
	v_add_f32_e32 v109, v109, v110
	s_waitcnt vmcnt(44) lgkmcnt(0)
	v_mul_f32_e32 v110, v105, v174
	v_add_f32_e32 v85, v85, v86
	v_mul_f32_e32 v86, v90, v153
	v_fmac_f32_e32 v110, v106, v173
	v_fma_f32 v86, v89, v161, -v86
	v_add_f32_e32 v113, v109, v110
	ds_read_b128 v[109:112], v84 offset:496
	v_add_f32_e32 v85, v85, v86
	v_mul_f32_e32 v86, v92, v154
	v_fma_f32 v86, v91, v162, -v86
	s_waitcnt vmcnt(42)
	v_mul_f32_e32 v114, v107, v176
	v_add_f32_e32 v85, v85, v86
	v_mul_f32_e32 v86, v94, v155
	v_fmac_f32_e32 v114, v108, v175
	v_fma_f32 v86, v93, v163, -v86
	v_add_f32_e32 v117, v113, v114
	ds_read_b128 v[113:116], v84 offset:512
	v_add_f32_e32 v85, v85, v86
	v_mul_f32_e32 v86, v96, v156
	s_waitcnt vmcnt(40) lgkmcnt(1)
	v_mul_f32_e32 v118, v109, v178
	v_fma_f32 v86, v95, v164, -v86
	v_fmac_f32_e32 v118, v110, v177
	v_add_f32_e32 v85, v85, v86
	v_mul_f32_e32 v86, v98, v157
	v_add_f32_e32 v117, v117, v118
	s_waitcnt vmcnt(38)
	v_mul_f32_e32 v118, v111, v180
	v_fma_f32 v86, v97, v165, -v86
	v_fmac_f32_e32 v118, v112, v179
	v_add_f32_e32 v85, v85, v86
	v_mul_f32_e32 v86, v100, v158
	v_add_f32_e32 v117, v117, v118
	s_waitcnt vmcnt(36) lgkmcnt(0)
	v_mul_f32_e32 v118, v113, v182
	v_fma_f32 v86, v99, v166, -v86
	v_fmac_f32_e32 v118, v114, v181
	v_add_f32_e32 v85, v85, v86
	v_mul_f32_e32 v86, v102, v167
	v_add_f32_e32 v121, v117, v118
	ds_read_b128 v[117:120], v84 offset:528
	v_fma_f32 v86, v101, v168, -v86
	v_add_f32_e32 v85, v85, v86
	v_mul_f32_e32 v86, v104, v169
	s_waitcnt vmcnt(34)
	v_mul_f32_e32 v122, v115, v184
	v_fma_f32 v86, v103, v172, -v86
	v_fmac_f32_e32 v122, v116, v183
	v_add_f32_e32 v85, v85, v86
	v_mul_f32_e32 v86, v106, v174
	v_add_f32_e32 v125, v121, v122
	ds_read_b128 v[121:124], v84 offset:544
	v_fma_f32 v86, v105, v173, -v86
	s_waitcnt vmcnt(32) lgkmcnt(1)
	v_mul_f32_e32 v126, v117, v186
	v_add_f32_e32 v85, v85, v86
	v_mul_f32_e32 v86, v108, v176
	v_fmac_f32_e32 v126, v118, v185
	v_fma_f32 v86, v107, v175, -v86
	v_add_f32_e32 v125, v125, v126
	s_waitcnt vmcnt(30)
	v_mul_f32_e32 v126, v119, v188
	v_add_f32_e32 v85, v85, v86
	v_mul_f32_e32 v86, v110, v178
	v_fmac_f32_e32 v126, v120, v187
	v_fma_f32 v86, v109, v177, -v86
	v_add_f32_e32 v125, v125, v126
	s_waitcnt vmcnt(28) lgkmcnt(0)
	v_mul_f32_e32 v126, v121, v190
	v_add_f32_e32 v85, v85, v86
	v_mul_f32_e32 v86, v112, v180
	v_fmac_f32_e32 v126, v122, v189
	v_fma_f32 v86, v111, v179, -v86
	v_add_f32_e32 v129, v125, v126
	ds_read_b128 v[125:128], v84 offset:560
	v_add_f32_e32 v85, v85, v86
	v_mul_f32_e32 v86, v114, v182
	v_fma_f32 v86, v113, v181, -v86
	s_waitcnt vmcnt(26)
	v_mul_f32_e32 v130, v123, v192
	v_add_f32_e32 v85, v85, v86
	v_mul_f32_e32 v86, v116, v184
	v_fmac_f32_e32 v130, v124, v191
	v_fma_f32 v86, v115, v183, -v86
	v_add_f32_e32 v133, v129, v130
	ds_read_b128 v[129:132], v84 offset:576
	v_add_f32_e32 v85, v85, v86
	v_mul_f32_e32 v86, v118, v186
	s_waitcnt vmcnt(24) lgkmcnt(1)
	v_mul_f32_e32 v134, v125, v194
	v_fma_f32 v86, v117, v185, -v86
	v_fmac_f32_e32 v134, v126, v193
	v_add_f32_e32 v85, v85, v86
	v_mul_f32_e32 v86, v120, v188
	v_add_f32_e32 v133, v133, v134
	s_waitcnt vmcnt(22)
	v_mul_f32_e32 v134, v127, v196
	v_fma_f32 v86, v119, v187, -v86
	v_fmac_f32_e32 v134, v128, v195
	v_add_f32_e32 v85, v85, v86
	v_mul_f32_e32 v86, v122, v190
	v_add_f32_e32 v133, v133, v134
	s_waitcnt vmcnt(20) lgkmcnt(0)
	v_mul_f32_e32 v134, v129, v198
	v_fma_f32 v86, v121, v189, -v86
	v_fmac_f32_e32 v134, v130, v197
	v_add_f32_e32 v85, v85, v86
	v_mul_f32_e32 v86, v124, v192
	v_add_f32_e32 v137, v133, v134
	ds_read_b128 v[133:136], v84 offset:592
	v_fma_f32 v86, v123, v191, -v86
	v_add_f32_e32 v85, v85, v86
	v_mul_f32_e32 v86, v126, v194
	s_waitcnt vmcnt(18)
	v_mul_f32_e32 v138, v131, v200
	v_fma_f32 v86, v125, v193, -v86
	v_fmac_f32_e32 v138, v132, v199
	v_add_f32_e32 v85, v85, v86
	v_mul_f32_e32 v86, v128, v196
	v_add_f32_e32 v141, v137, v138
	ds_read_b128 v[137:140], v84 offset:608
	v_fma_f32 v86, v127, v195, -v86
	s_waitcnt vmcnt(16) lgkmcnt(1)
	v_mul_f32_e32 v142, v133, v202
	v_add_f32_e32 v85, v85, v86
	v_mul_f32_e32 v86, v130, v198
	v_fmac_f32_e32 v142, v134, v201
	v_fma_f32 v86, v129, v197, -v86
	v_add_f32_e32 v141, v141, v142
	s_waitcnt vmcnt(14)
	v_mul_f32_e32 v142, v135, v204
	v_add_f32_e32 v85, v85, v86
	v_mul_f32_e32 v86, v132, v200
	v_fmac_f32_e32 v142, v136, v203
	v_fma_f32 v86, v131, v199, -v86
	v_add_f32_e32 v141, v141, v142
	s_waitcnt vmcnt(12) lgkmcnt(0)
	v_mul_f32_e32 v142, v137, v206
	v_add_f32_e32 v85, v85, v86
	v_mul_f32_e32 v86, v134, v202
	v_fmac_f32_e32 v142, v138, v205
	v_fma_f32 v86, v133, v201, -v86
	v_add_f32_e32 v145, v141, v142
	ds_read_b128 v[141:144], v84 offset:624
	v_add_f32_e32 v85, v85, v86
	v_mul_f32_e32 v86, v136, v204
	v_fma_f32 v86, v135, v203, -v86
	v_add_f32_e32 v85, v85, v86
	v_mul_f32_e32 v86, v138, v206
	s_waitcnt vmcnt(10)
	v_mul_f32_e32 v146, v139, v208
	v_fma_f32 v86, v137, v205, -v86
	v_fmac_f32_e32 v146, v140, v207
	v_add_f32_e32 v85, v85, v86
	v_mul_f32_e32 v86, v140, v208
	v_add_f32_e32 v149, v145, v146
	ds_read_b128 v[145:148], v84 offset:640
	s_waitcnt vmcnt(8) lgkmcnt(1)
	v_mul_f32_e32 v150, v141, v210
	v_fma_f32 v86, v139, v207, -v86
	v_fmac_f32_e32 v150, v142, v209
	v_add_f32_e32 v85, v85, v86
	v_mul_f32_e32 v86, v142, v210
	v_add_f32_e32 v149, v149, v150
	s_waitcnt vmcnt(7)
	v_mul_f32_e32 v150, v143, v211
	v_fma_f32 v86, v141, v209, -v86
	s_waitcnt vmcnt(6)
	v_fmac_f32_e32 v150, v144, v212
	v_add_f32_e32 v85, v85, v86
	v_mul_f32_e32 v86, v144, v211
	v_add_f32_e32 v219, v149, v150
	ds_read_b64 v[149:150], v84 offset:656
	v_fma_f32 v86, v143, v212, -v86
	v_add_f32_e32 v85, v85, v86
	s_waitcnt vmcnt(4) lgkmcnt(1)
	v_mul_f32_e32 v86, v146, v214
	v_mul_f32_e32 v220, v145, v214
	v_fma_f32 v86, v145, v213, -v86
	v_fmac_f32_e32 v220, v146, v213
	v_add_f32_e32 v85, v85, v86
	s_waitcnt vmcnt(3)
	v_mul_f32_e32 v86, v148, v215
	v_add_f32_e32 v219, v219, v220
	v_mul_f32_e32 v220, v147, v215
	s_waitcnt vmcnt(2)
	v_fma_f32 v86, v147, v216, -v86
	v_fmac_f32_e32 v220, v148, v216
	v_add_f32_e32 v85, v85, v86
	s_waitcnt vmcnt(0) lgkmcnt(0)
	v_mul_f32_e32 v86, v150, v218
	v_add_f32_e32 v219, v219, v220
	v_mul_f32_e32 v220, v149, v218
	v_fma_f32 v86, v149, v217, -v86
	v_fmac_f32_e32 v220, v150, v217
	v_add_f32_e32 v85, v85, v86
	v_add_f32_e32 v219, v219, v220
	v_sub_f32_e32 v85, v170, v85
	v_sub_f32_e32 v86, v171, v219
	buffer_store_dword v85, off, s[0:3], 0 offset:56
	buffer_store_dword v86, off, s[0:3], 0 offset:60
	s_and_saveexec_b64 s[4:5], vcc
	s_cbranch_execz .LBB40_247
; %bb.246:
	buffer_load_dword v85, off, s[0:3], 0 offset:48
	buffer_load_dword v86, off, s[0:3], 0 offset:52
	s_waitcnt vmcnt(0)
	ds_write_b64 v83, v[85:86]
	buffer_store_dword v84, off, s[0:3], 0 offset:48
	buffer_store_dword v84, off, s[0:3], 0 offset:52
.LBB40_247:
	s_or_b64 exec, exec, s[4:5]
	s_waitcnt lgkmcnt(0)
	; wave barrier
	buffer_load_dword v153, off, s[0:3], 0 offset:60
	buffer_load_dword v154, off, s[0:3], 0 offset:68
	;; [unrolled: 1-line block ×24, first 2 shown]
	ds_read2_b64 v[85:88], v84 offset0:49 offset1:50
	ds_read2_b64 v[89:92], v84 offset0:51 offset1:52
	ds_read2_b64 v[93:96], v84 offset0:53 offset1:54
	ds_read2_b64 v[97:100], v84 offset0:55 offset1:56
	ds_read2_b64 v[101:104], v84 offset0:57 offset1:58
	ds_read2_b64 v[105:108], v84 offset0:59 offset1:60
	buffer_load_dword v177, off, s[0:3], 0 offset:148
	buffer_load_dword v178, off, s[0:3], 0 offset:144
	;; [unrolled: 1-line block ×46, first 2 shown]
	v_cmp_lt_u32_e32 vcc, 5, v0
	s_waitcnt vmcnt(62) lgkmcnt(5)
	v_mul_f32_e32 v109, v85, v153
	v_mul_f32_e32 v110, v87, v154
	s_waitcnt lgkmcnt(4)
	v_mul_f32_e32 v111, v89, v155
	v_mul_f32_e32 v112, v91, v156
	s_waitcnt lgkmcnt(3)
	;; [unrolled: 3-line block ×3, first 2 shown]
	v_mul_f32_e32 v115, v97, v159
	v_mul_f32_e32 v116, v99, v160
	s_waitcnt vmcnt(61)
	v_fmac_f32_e32 v109, v86, v161
	s_waitcnt vmcnt(60)
	v_fmac_f32_e32 v110, v88, v162
	v_add_f32_e32 v109, 0, v109
	s_waitcnt vmcnt(59)
	v_fmac_f32_e32 v111, v90, v163
	v_add_f32_e32 v109, v109, v110
	;; [unrolled: 3-line block ×7, first 2 shown]
	s_waitcnt vmcnt(53) lgkmcnt(1)
	v_mul_f32_e32 v110, v101, v169
	v_add_f32_e32 v109, v109, v116
	s_waitcnt vmcnt(52)
	v_fmac_f32_e32 v110, v102, v170
	v_mul_f32_e32 v86, v86, v153
	v_add_f32_e32 v109, v109, v110
	s_waitcnt vmcnt(51)
	v_mul_f32_e32 v110, v103, v171
	v_fma_f32 v85, v85, v161, -v86
	v_mul_f32_e32 v86, v88, v154
	s_waitcnt vmcnt(50)
	v_fmac_f32_e32 v110, v104, v172
	v_add_f32_e32 v85, 0, v85
	v_fma_f32 v86, v87, v162, -v86
	v_add_f32_e32 v109, v109, v110
	s_waitcnt vmcnt(47) lgkmcnt(0)
	v_mul_f32_e32 v110, v105, v175
	v_add_f32_e32 v85, v85, v86
	v_mul_f32_e32 v86, v90, v155
	s_waitcnt vmcnt(46)
	v_fmac_f32_e32 v110, v106, v176
	v_fma_f32 v86, v89, v163, -v86
	v_add_f32_e32 v113, v109, v110
	ds_read2_b64 v[109:112], v84 offset0:61 offset1:62
	v_add_f32_e32 v85, v85, v86
	v_mul_f32_e32 v86, v92, v156
	v_fma_f32 v86, v91, v164, -v86
	s_waitcnt vmcnt(45)
	v_mul_f32_e32 v114, v107, v177
	v_add_f32_e32 v85, v85, v86
	v_mul_f32_e32 v86, v94, v157
	s_waitcnt vmcnt(44)
	v_fmac_f32_e32 v114, v108, v178
	v_fma_f32 v86, v93, v165, -v86
	v_add_f32_e32 v117, v113, v114
	ds_read2_b64 v[113:116], v84 offset0:63 offset1:64
	v_add_f32_e32 v85, v85, v86
	v_mul_f32_e32 v86, v96, v158
	s_waitcnt vmcnt(42) lgkmcnt(1)
	v_mul_f32_e32 v118, v109, v180
	v_fma_f32 v86, v95, v166, -v86
	v_fmac_f32_e32 v118, v110, v179
	v_add_f32_e32 v85, v85, v86
	v_mul_f32_e32 v86, v98, v159
	v_add_f32_e32 v117, v117, v118
	s_waitcnt vmcnt(40)
	v_mul_f32_e32 v118, v111, v182
	v_fma_f32 v86, v97, v167, -v86
	v_fmac_f32_e32 v118, v112, v181
	v_add_f32_e32 v85, v85, v86
	v_mul_f32_e32 v86, v100, v160
	v_add_f32_e32 v117, v117, v118
	s_waitcnt vmcnt(38) lgkmcnt(0)
	v_mul_f32_e32 v118, v113, v184
	v_fma_f32 v86, v99, v168, -v86
	v_fmac_f32_e32 v118, v114, v183
	v_add_f32_e32 v85, v85, v86
	v_mul_f32_e32 v86, v102, v169
	v_add_f32_e32 v121, v117, v118
	ds_read2_b64 v[117:120], v84 offset0:65 offset1:66
	v_fma_f32 v86, v101, v170, -v86
	v_add_f32_e32 v85, v85, v86
	v_mul_f32_e32 v86, v104, v171
	s_waitcnt vmcnt(36)
	v_mul_f32_e32 v122, v115, v186
	v_fma_f32 v86, v103, v172, -v86
	v_fmac_f32_e32 v122, v116, v185
	v_add_f32_e32 v85, v85, v86
	v_mul_f32_e32 v86, v106, v175
	v_add_f32_e32 v125, v121, v122
	ds_read2_b64 v[121:124], v84 offset0:67 offset1:68
	v_fma_f32 v86, v105, v176, -v86
	s_waitcnt vmcnt(34) lgkmcnt(1)
	v_mul_f32_e32 v126, v117, v188
	v_add_f32_e32 v85, v85, v86
	v_mul_f32_e32 v86, v108, v177
	v_fmac_f32_e32 v126, v118, v187
	v_fma_f32 v86, v107, v178, -v86
	v_add_f32_e32 v125, v125, v126
	s_waitcnt vmcnt(32)
	v_mul_f32_e32 v126, v119, v190
	v_add_f32_e32 v85, v85, v86
	v_mul_f32_e32 v86, v110, v180
	v_fmac_f32_e32 v126, v120, v189
	v_fma_f32 v86, v109, v179, -v86
	v_add_f32_e32 v125, v125, v126
	s_waitcnt vmcnt(30) lgkmcnt(0)
	v_mul_f32_e32 v126, v121, v192
	v_add_f32_e32 v85, v85, v86
	v_mul_f32_e32 v86, v112, v182
	v_fmac_f32_e32 v126, v122, v191
	v_fma_f32 v86, v111, v181, -v86
	v_add_f32_e32 v129, v125, v126
	ds_read2_b64 v[125:128], v84 offset0:69 offset1:70
	v_add_f32_e32 v85, v85, v86
	v_mul_f32_e32 v86, v114, v184
	v_fma_f32 v86, v113, v183, -v86
	s_waitcnt vmcnt(28)
	v_mul_f32_e32 v130, v123, v194
	v_add_f32_e32 v85, v85, v86
	v_mul_f32_e32 v86, v116, v186
	v_fmac_f32_e32 v130, v124, v193
	v_fma_f32 v86, v115, v185, -v86
	v_add_f32_e32 v133, v129, v130
	ds_read2_b64 v[129:132], v84 offset0:71 offset1:72
	v_add_f32_e32 v85, v85, v86
	v_mul_f32_e32 v86, v118, v188
	s_waitcnt vmcnt(26) lgkmcnt(1)
	v_mul_f32_e32 v134, v125, v196
	v_fma_f32 v86, v117, v187, -v86
	v_fmac_f32_e32 v134, v126, v195
	v_add_f32_e32 v85, v85, v86
	v_mul_f32_e32 v86, v120, v190
	v_add_f32_e32 v133, v133, v134
	s_waitcnt vmcnt(24)
	v_mul_f32_e32 v134, v127, v198
	v_fma_f32 v86, v119, v189, -v86
	v_fmac_f32_e32 v134, v128, v197
	v_add_f32_e32 v85, v85, v86
	v_mul_f32_e32 v86, v122, v192
	v_add_f32_e32 v133, v133, v134
	s_waitcnt vmcnt(22) lgkmcnt(0)
	v_mul_f32_e32 v134, v129, v200
	v_fma_f32 v86, v121, v191, -v86
	v_fmac_f32_e32 v134, v130, v199
	v_add_f32_e32 v85, v85, v86
	v_mul_f32_e32 v86, v124, v194
	v_add_f32_e32 v137, v133, v134
	ds_read2_b64 v[133:136], v84 offset0:73 offset1:74
	v_fma_f32 v86, v123, v193, -v86
	v_add_f32_e32 v85, v85, v86
	v_mul_f32_e32 v86, v126, v196
	s_waitcnt vmcnt(20)
	v_mul_f32_e32 v138, v131, v202
	v_fma_f32 v86, v125, v195, -v86
	v_fmac_f32_e32 v138, v132, v201
	v_add_f32_e32 v85, v85, v86
	v_mul_f32_e32 v86, v128, v198
	v_add_f32_e32 v141, v137, v138
	ds_read2_b64 v[137:140], v84 offset0:75 offset1:76
	v_fma_f32 v86, v127, v197, -v86
	s_waitcnt vmcnt(18) lgkmcnt(1)
	v_mul_f32_e32 v142, v133, v204
	v_add_f32_e32 v85, v85, v86
	v_mul_f32_e32 v86, v130, v200
	v_fmac_f32_e32 v142, v134, v203
	v_fma_f32 v86, v129, v199, -v86
	v_add_f32_e32 v141, v141, v142
	s_waitcnt vmcnt(16)
	v_mul_f32_e32 v142, v135, v206
	v_add_f32_e32 v85, v85, v86
	v_mul_f32_e32 v86, v132, v202
	v_fmac_f32_e32 v142, v136, v205
	v_fma_f32 v86, v131, v201, -v86
	v_add_f32_e32 v141, v141, v142
	s_waitcnt vmcnt(14) lgkmcnt(0)
	v_mul_f32_e32 v142, v137, v208
	v_add_f32_e32 v85, v85, v86
	v_mul_f32_e32 v86, v134, v204
	v_fmac_f32_e32 v142, v138, v207
	v_fma_f32 v86, v133, v203, -v86
	v_add_f32_e32 v145, v141, v142
	ds_read2_b64 v[141:144], v84 offset0:77 offset1:78
	v_add_f32_e32 v85, v85, v86
	v_mul_f32_e32 v86, v136, v206
	v_fma_f32 v86, v135, v205, -v86
	v_add_f32_e32 v85, v85, v86
	v_mul_f32_e32 v86, v138, v208
	s_waitcnt vmcnt(12)
	v_mul_f32_e32 v146, v139, v210
	v_fma_f32 v86, v137, v207, -v86
	v_fmac_f32_e32 v146, v140, v209
	v_add_f32_e32 v85, v85, v86
	v_mul_f32_e32 v86, v140, v210
	v_add_f32_e32 v149, v145, v146
	ds_read2_b64 v[145:148], v84 offset0:79 offset1:80
	s_waitcnt vmcnt(10) lgkmcnt(1)
	v_mul_f32_e32 v150, v141, v212
	v_fma_f32 v86, v139, v209, -v86
	v_fmac_f32_e32 v150, v142, v211
	v_add_f32_e32 v85, v85, v86
	v_mul_f32_e32 v86, v142, v212
	v_add_f32_e32 v149, v149, v150
	s_waitcnt vmcnt(9)
	v_mul_f32_e32 v150, v143, v213
	v_fma_f32 v86, v141, v211, -v86
	s_waitcnt vmcnt(8)
	v_fmac_f32_e32 v150, v144, v214
	v_add_f32_e32 v85, v85, v86
	v_mul_f32_e32 v86, v144, v213
	v_add_f32_e32 v223, v149, v150
	ds_read2_b64 v[149:152], v84 offset0:81 offset1:82
	v_fma_f32 v86, v143, v214, -v86
	v_add_f32_e32 v85, v85, v86
	s_waitcnt vmcnt(6) lgkmcnt(1)
	v_mul_f32_e32 v86, v146, v216
	v_mul_f32_e32 v224, v145, v216
	v_fma_f32 v86, v145, v215, -v86
	v_fmac_f32_e32 v224, v146, v215
	v_add_f32_e32 v85, v85, v86
	s_waitcnt vmcnt(4)
	v_mul_f32_e32 v86, v148, v218
	v_add_f32_e32 v84, v223, v224
	v_mul_f32_e32 v223, v147, v218
	v_fma_f32 v86, v147, v217, -v86
	v_fmac_f32_e32 v223, v148, v217
	v_add_f32_e32 v85, v85, v86
	s_waitcnt vmcnt(3) lgkmcnt(0)
	v_mul_f32_e32 v86, v150, v219
	v_add_f32_e32 v84, v84, v223
	v_mul_f32_e32 v223, v149, v219
	s_waitcnt vmcnt(2)
	v_fma_f32 v86, v149, v220, -v86
	v_fmac_f32_e32 v223, v150, v220
	v_add_f32_e32 v85, v85, v86
	s_waitcnt vmcnt(0)
	v_mul_f32_e32 v86, v152, v222
	v_add_f32_e32 v84, v84, v223
	v_mul_f32_e32 v223, v151, v222
	v_fma_f32 v86, v151, v221, -v86
	v_fmac_f32_e32 v223, v152, v221
	v_add_f32_e32 v85, v85, v86
	v_add_f32_e32 v84, v84, v223
	v_sub_f32_e32 v85, v173, v85
	v_sub_f32_e32 v84, v174, v84
	buffer_store_dword v85, off, s[0:3], 0 offset:48
	buffer_store_dword v84, off, s[0:3], 0 offset:52
	s_and_saveexec_b64 s[4:5], vcc
	s_cbranch_execz .LBB40_249
; %bb.248:
	buffer_load_dword v84, off, s[0:3], 0 offset:40
	buffer_load_dword v85, off, s[0:3], 0 offset:44
	v_mov_b32_e32 v86, 0
	buffer_store_dword v86, off, s[0:3], 0 offset:40
	buffer_store_dword v86, off, s[0:3], 0 offset:44
	s_waitcnt vmcnt(2)
	ds_write_b64 v83, v[84:85]
.LBB40_249:
	s_or_b64 exec, exec, s[4:5]
	s_waitcnt lgkmcnt(0)
	; wave barrier
	buffer_load_dword v155, off, s[0:3], 0 offset:52
	buffer_load_dword v156, off, s[0:3], 0 offset:60
	;; [unrolled: 1-line block ×56, first 2 shown]
	v_mov_b32_e32 v84, 0
	ds_read_b128 v[85:88], v84 offset:384
	ds_read_b128 v[89:92], v84 offset:400
	;; [unrolled: 1-line block ×6, first 2 shown]
	buffer_load_dword v211, off, s[0:3], 0 offset:264
	buffer_load_dword v212, off, s[0:3], 0 offset:268
	;; [unrolled: 1-line block ×12, first 2 shown]
	v_cmp_lt_u32_e32 vcc, 4, v0
	s_waitcnt vmcnt(62) lgkmcnt(5)
	v_mul_f32_e32 v109, v85, v155
	v_mul_f32_e32 v110, v87, v156
	s_waitcnt lgkmcnt(4)
	v_mul_f32_e32 v111, v89, v157
	v_mul_f32_e32 v112, v91, v158
	s_waitcnt lgkmcnt(3)
	v_mul_f32_e32 v113, v93, v159
	v_mul_f32_e32 v114, v95, v160
	s_waitcnt vmcnt(61) lgkmcnt(2)
	v_mul_f32_e32 v115, v97, v161
	s_waitcnt vmcnt(60)
	v_mul_f32_e32 v116, v99, v162
	s_waitcnt vmcnt(59) lgkmcnt(1)
	v_mul_f32_e32 v117, v101, v163
	s_waitcnt vmcnt(58)
	v_fmac_f32_e32 v109, v86, v164
	s_waitcnt vmcnt(57)
	v_fmac_f32_e32 v110, v88, v165
	v_add_f32_e32 v109, 0, v109
	s_waitcnt vmcnt(56)
	v_fmac_f32_e32 v111, v90, v166
	v_add_f32_e32 v109, v109, v110
	;; [unrolled: 3-line block ×7, first 2 shown]
	v_add_f32_e32 v109, v109, v116
	s_waitcnt vmcnt(50)
	v_fmac_f32_e32 v117, v102, v172
	s_waitcnt vmcnt(49)
	v_mul_f32_e32 v110, v103, v173
	v_add_f32_e32 v109, v109, v117
	s_waitcnt vmcnt(48)
	v_fmac_f32_e32 v110, v104, v174
	v_add_f32_e32 v109, v109, v110
	s_waitcnt vmcnt(47) lgkmcnt(0)
	v_mul_f32_e32 v110, v105, v175
	s_waitcnt vmcnt(44)
	v_fmac_f32_e32 v110, v106, v178
	v_add_f32_e32 v113, v109, v110
	ds_read_b128 v[109:112], v84 offset:480
	buffer_load_dword v223, off, s[0:3], 0 offset:316
	buffer_load_dword v224, off, s[0:3], 0 offset:312
	;; [unrolled: 1-line block ×4, first 2 shown]
	v_mul_f32_e32 v86, v86, v155
	v_fma_f32 v85, v85, v164, -v86
	v_mul_f32_e32 v86, v88, v156
	v_add_f32_e32 v85, 0, v85
	v_fma_f32 v86, v87, v165, -v86
	v_add_f32_e32 v85, v85, v86
	v_mul_f32_e32 v86, v90, v157
	v_fma_f32 v86, v89, v166, -v86
	s_waitcnt vmcnt(46)
	v_mul_f32_e32 v114, v107, v180
	v_add_f32_e32 v85, v85, v86
	v_mul_f32_e32 v86, v92, v158
	v_fmac_f32_e32 v114, v108, v179
	v_fma_f32 v86, v91, v167, -v86
	v_add_f32_e32 v117, v113, v114
	ds_read_b128 v[113:116], v84 offset:496
	v_add_f32_e32 v85, v85, v86
	v_mul_f32_e32 v86, v94, v159
	s_waitcnt vmcnt(44) lgkmcnt(1)
	v_mul_f32_e32 v118, v109, v182
	v_fma_f32 v86, v93, v168, -v86
	v_fmac_f32_e32 v118, v110, v181
	v_add_f32_e32 v85, v85, v86
	v_mul_f32_e32 v86, v96, v160
	v_add_f32_e32 v117, v117, v118
	s_waitcnt vmcnt(42)
	v_mul_f32_e32 v118, v111, v184
	v_fma_f32 v86, v95, v169, -v86
	v_fmac_f32_e32 v118, v112, v183
	v_add_f32_e32 v85, v85, v86
	v_mul_f32_e32 v86, v98, v161
	v_add_f32_e32 v117, v117, v118
	s_waitcnt vmcnt(40) lgkmcnt(0)
	v_mul_f32_e32 v118, v113, v186
	v_fma_f32 v86, v97, v170, -v86
	v_fmac_f32_e32 v118, v114, v185
	v_add_f32_e32 v85, v85, v86
	v_mul_f32_e32 v86, v100, v162
	v_add_f32_e32 v121, v117, v118
	ds_read_b128 v[117:120], v84 offset:512
	v_fma_f32 v86, v99, v171, -v86
	v_add_f32_e32 v85, v85, v86
	v_mul_f32_e32 v86, v102, v163
	s_waitcnt vmcnt(38)
	v_mul_f32_e32 v122, v115, v188
	v_fma_f32 v86, v101, v172, -v86
	v_fmac_f32_e32 v122, v116, v187
	v_add_f32_e32 v85, v85, v86
	v_mul_f32_e32 v86, v104, v173
	v_add_f32_e32 v125, v121, v122
	ds_read_b128 v[121:124], v84 offset:528
	v_fma_f32 v86, v103, v174, -v86
	s_waitcnt vmcnt(36) lgkmcnt(1)
	v_mul_f32_e32 v126, v117, v190
	v_add_f32_e32 v85, v85, v86
	v_mul_f32_e32 v86, v106, v175
	v_fmac_f32_e32 v126, v118, v189
	v_fma_f32 v86, v105, v178, -v86
	v_add_f32_e32 v125, v125, v126
	s_waitcnt vmcnt(34)
	v_mul_f32_e32 v126, v119, v192
	v_add_f32_e32 v85, v85, v86
	v_mul_f32_e32 v86, v108, v180
	v_fmac_f32_e32 v126, v120, v191
	v_fma_f32 v86, v107, v179, -v86
	v_add_f32_e32 v125, v125, v126
	s_waitcnt vmcnt(32) lgkmcnt(0)
	v_mul_f32_e32 v126, v121, v194
	v_add_f32_e32 v85, v85, v86
	v_mul_f32_e32 v86, v110, v182
	v_fmac_f32_e32 v126, v122, v193
	v_fma_f32 v86, v109, v181, -v86
	v_add_f32_e32 v129, v125, v126
	ds_read_b128 v[125:128], v84 offset:544
	v_add_f32_e32 v85, v85, v86
	v_mul_f32_e32 v86, v112, v184
	v_fma_f32 v86, v111, v183, -v86
	s_waitcnt vmcnt(30)
	v_mul_f32_e32 v130, v123, v196
	v_add_f32_e32 v85, v85, v86
	v_mul_f32_e32 v86, v114, v186
	v_fmac_f32_e32 v130, v124, v195
	v_fma_f32 v86, v113, v185, -v86
	v_add_f32_e32 v133, v129, v130
	ds_read_b128 v[129:132], v84 offset:560
	v_add_f32_e32 v85, v85, v86
	v_mul_f32_e32 v86, v116, v188
	s_waitcnt vmcnt(28) lgkmcnt(1)
	v_mul_f32_e32 v134, v125, v198
	v_fma_f32 v86, v115, v187, -v86
	v_fmac_f32_e32 v134, v126, v197
	v_add_f32_e32 v85, v85, v86
	v_mul_f32_e32 v86, v118, v190
	v_add_f32_e32 v133, v133, v134
	s_waitcnt vmcnt(26)
	v_mul_f32_e32 v134, v127, v200
	v_fma_f32 v86, v117, v189, -v86
	v_fmac_f32_e32 v134, v128, v199
	v_add_f32_e32 v85, v85, v86
	v_mul_f32_e32 v86, v120, v192
	v_add_f32_e32 v133, v133, v134
	s_waitcnt vmcnt(24) lgkmcnt(0)
	v_mul_f32_e32 v134, v129, v202
	v_fma_f32 v86, v119, v191, -v86
	v_fmac_f32_e32 v134, v130, v201
	v_add_f32_e32 v85, v85, v86
	v_mul_f32_e32 v86, v122, v194
	v_add_f32_e32 v137, v133, v134
	ds_read_b128 v[133:136], v84 offset:576
	v_fma_f32 v86, v121, v193, -v86
	v_add_f32_e32 v85, v85, v86
	v_mul_f32_e32 v86, v124, v196
	s_waitcnt vmcnt(22)
	v_mul_f32_e32 v138, v131, v204
	v_fma_f32 v86, v123, v195, -v86
	v_fmac_f32_e32 v138, v132, v203
	v_add_f32_e32 v85, v85, v86
	v_mul_f32_e32 v86, v126, v198
	v_add_f32_e32 v141, v137, v138
	ds_read_b128 v[137:140], v84 offset:592
	v_fma_f32 v86, v125, v197, -v86
	s_waitcnt vmcnt(20) lgkmcnt(1)
	v_mul_f32_e32 v142, v133, v206
	v_add_f32_e32 v85, v85, v86
	v_mul_f32_e32 v86, v128, v200
	v_fmac_f32_e32 v142, v134, v205
	v_fma_f32 v86, v127, v199, -v86
	v_add_f32_e32 v141, v141, v142
	s_waitcnt vmcnt(18)
	v_mul_f32_e32 v142, v135, v208
	v_add_f32_e32 v85, v85, v86
	v_mul_f32_e32 v86, v130, v202
	v_fmac_f32_e32 v142, v136, v207
	v_fma_f32 v86, v129, v201, -v86
	v_add_f32_e32 v141, v141, v142
	s_waitcnt vmcnt(16) lgkmcnt(0)
	v_mul_f32_e32 v142, v137, v210
	v_add_f32_e32 v85, v85, v86
	v_mul_f32_e32 v86, v132, v204
	v_fmac_f32_e32 v142, v138, v209
	v_fma_f32 v86, v131, v203, -v86
	v_add_f32_e32 v145, v141, v142
	ds_read_b128 v[141:144], v84 offset:608
	v_add_f32_e32 v85, v85, v86
	v_mul_f32_e32 v86, v134, v206
	v_fma_f32 v86, v133, v205, -v86
	s_waitcnt vmcnt(14)
	v_mul_f32_e32 v146, v139, v212
	v_add_f32_e32 v85, v85, v86
	v_mul_f32_e32 v86, v136, v208
	v_fmac_f32_e32 v146, v140, v211
	v_fma_f32 v86, v135, v207, -v86
	v_add_f32_e32 v149, v145, v146
	ds_read_b128 v[145:148], v84 offset:624
	v_add_f32_e32 v85, v85, v86
	v_mul_f32_e32 v86, v138, v210
	s_waitcnt vmcnt(12) lgkmcnt(1)
	v_mul_f32_e32 v150, v141, v214
	v_fma_f32 v86, v137, v209, -v86
	v_fmac_f32_e32 v150, v142, v213
	v_add_f32_e32 v85, v85, v86
	v_mul_f32_e32 v86, v140, v212
	v_add_f32_e32 v149, v149, v150
	s_waitcnt vmcnt(11)
	v_mul_f32_e32 v150, v143, v215
	v_fma_f32 v86, v139, v211, -v86
	s_waitcnt vmcnt(10)
	v_fmac_f32_e32 v150, v144, v216
	v_add_f32_e32 v85, v85, v86
	v_mul_f32_e32 v86, v142, v214
	v_add_f32_e32 v149, v149, v150
	s_waitcnt vmcnt(8) lgkmcnt(0)
	v_mul_f32_e32 v150, v145, v218
	v_fma_f32 v86, v141, v213, -v86
	v_fmac_f32_e32 v150, v146, v217
	v_add_f32_e32 v85, v85, v86
	v_mul_f32_e32 v86, v144, v215
	v_add_f32_e32 v153, v149, v150
	ds_read_b128 v[149:152], v84 offset:640
	v_fma_f32 v86, v143, v216, -v86
	v_add_f32_e32 v85, v85, v86
	v_mul_f32_e32 v86, v146, v218
	s_waitcnt vmcnt(6)
	v_mul_f32_e32 v154, v147, v220
	v_fma_f32 v86, v145, v217, -v86
	v_fmac_f32_e32 v154, v148, v219
	v_add_f32_e32 v85, v85, v86
	v_mul_f32_e32 v86, v148, v220
	v_add_f32_e32 v227, v153, v154
	ds_read_b64 v[153:154], v84 offset:656
	v_fma_f32 v86, v147, v219, -v86
	v_add_f32_e32 v85, v85, v86
	s_waitcnt vmcnt(4) lgkmcnt(1)
	v_mul_f32_e32 v86, v150, v222
	v_mul_f32_e32 v228, v149, v222
	v_fma_f32 v86, v149, v221, -v86
	v_fmac_f32_e32 v228, v150, v221
	v_add_f32_e32 v85, v85, v86
	s_waitcnt vmcnt(3)
	v_mul_f32_e32 v86, v152, v223
	v_add_f32_e32 v227, v227, v228
	v_mul_f32_e32 v228, v151, v223
	s_waitcnt vmcnt(2)
	v_fma_f32 v86, v151, v224, -v86
	v_fmac_f32_e32 v228, v152, v224
	v_add_f32_e32 v85, v85, v86
	s_waitcnt vmcnt(0) lgkmcnt(0)
	v_mul_f32_e32 v86, v154, v226
	v_add_f32_e32 v227, v227, v228
	v_mul_f32_e32 v228, v153, v226
	v_fma_f32 v86, v153, v225, -v86
	v_fmac_f32_e32 v228, v154, v225
	v_add_f32_e32 v85, v85, v86
	v_add_f32_e32 v227, v227, v228
	v_sub_f32_e32 v85, v176, v85
	v_sub_f32_e32 v86, v177, v227
	buffer_store_dword v85, off, s[0:3], 0 offset:40
	buffer_store_dword v86, off, s[0:3], 0 offset:44
	s_and_saveexec_b64 s[4:5], vcc
	s_cbranch_execz .LBB40_251
; %bb.250:
	buffer_load_dword v85, off, s[0:3], 0 offset:32
	buffer_load_dword v86, off, s[0:3], 0 offset:36
	s_waitcnt vmcnt(0)
	ds_write_b64 v83, v[85:86]
	buffer_store_dword v84, off, s[0:3], 0 offset:32
	buffer_store_dword v84, off, s[0:3], 0 offset:36
.LBB40_251:
	s_or_b64 exec, exec, s[4:5]
	s_waitcnt lgkmcnt(0)
	; wave barrier
	buffer_load_dword v157, off, s[0:3], 0 offset:44
	buffer_load_dword v158, off, s[0:3], 0 offset:52
	;; [unrolled: 1-line block ×26, first 2 shown]
	ds_read2_b64 v[85:88], v84 offset0:47 offset1:48
	ds_read2_b64 v[89:92], v84 offset0:49 offset1:50
	;; [unrolled: 1-line block ×6, first 2 shown]
	buffer_load_dword v183, off, s[0:3], 0 offset:136
	buffer_load_dword v184, off, s[0:3], 0 offset:140
	;; [unrolled: 1-line block ×42, first 2 shown]
	v_cmp_lt_u32_e32 vcc, 3, v0
	s_waitcnt vmcnt(62) lgkmcnt(5)
	v_mul_f32_e32 v109, v85, v157
	v_mul_f32_e32 v110, v87, v158
	s_waitcnt lgkmcnt(4)
	v_mul_f32_e32 v111, v89, v159
	v_mul_f32_e32 v112, v91, v160
	s_waitcnt lgkmcnt(3)
	v_mul_f32_e32 v113, v93, v161
	v_mul_f32_e32 v114, v95, v162
	s_waitcnt vmcnt(61) lgkmcnt(2)
	v_mul_f32_e32 v115, v97, v163
	s_waitcnt vmcnt(60)
	v_mul_f32_e32 v116, v99, v164
	s_waitcnt vmcnt(59) lgkmcnt(1)
	v_mul_f32_e32 v117, v101, v165
	s_waitcnt vmcnt(58)
	v_fmac_f32_e32 v109, v86, v166
	s_waitcnt vmcnt(57)
	v_fmac_f32_e32 v110, v88, v167
	v_add_f32_e32 v109, 0, v109
	s_waitcnt vmcnt(56)
	v_fmac_f32_e32 v111, v90, v168
	v_add_f32_e32 v109, v109, v110
	;; [unrolled: 3-line block ×8, first 2 shown]
	s_waitcnt vmcnt(49)
	v_mul_f32_e32 v110, v103, v175
	v_add_f32_e32 v109, v109, v117
	s_waitcnt vmcnt(48)
	v_fmac_f32_e32 v110, v104, v176
	v_add_f32_e32 v109, v109, v110
	s_waitcnt vmcnt(47) lgkmcnt(0)
	v_mul_f32_e32 v110, v105, v177
	s_waitcnt vmcnt(46)
	v_fmac_f32_e32 v110, v106, v178
	v_add_f32_e32 v109, v109, v110
	s_waitcnt vmcnt(42)
	v_mul_f32_e32 v110, v107, v182
	v_fmac_f32_e32 v110, v108, v181
	v_add_f32_e32 v117, v109, v110
	ds_read2_b64 v[109:112], v84 offset0:59 offset1:60
	buffer_load_dword v225, off, s[0:3], 0 offset:308
	buffer_load_dword v226, off, s[0:3], 0 offset:304
	;; [unrolled: 1-line block ×4, first 2 shown]
	ds_read2_b64 v[113:116], v84 offset0:61 offset1:62
	buffer_load_dword v229, off, s[0:3], 0 offset:320
	buffer_load_dword v230, off, s[0:3], 0 offset:324
	v_mul_f32_e32 v86, v86, v157
	v_fma_f32 v85, v85, v166, -v86
	v_mul_f32_e32 v86, v88, v158
	v_add_f32_e32 v85, 0, v85
	v_fma_f32 v86, v87, v167, -v86
	v_add_f32_e32 v85, v85, v86
	v_mul_f32_e32 v86, v90, v159
	v_fma_f32 v86, v89, v168, -v86
	v_add_f32_e32 v85, v85, v86
	v_mul_f32_e32 v86, v92, v160
	;; [unrolled: 3-line block ×3, first 2 shown]
	s_waitcnt vmcnt(46) lgkmcnt(1)
	v_mul_f32_e32 v118, v109, v184
	v_fma_f32 v86, v93, v170, -v86
	v_fmac_f32_e32 v118, v110, v183
	v_add_f32_e32 v85, v85, v86
	v_mul_f32_e32 v86, v96, v162
	v_add_f32_e32 v117, v117, v118
	s_waitcnt vmcnt(44)
	v_mul_f32_e32 v118, v111, v186
	v_fma_f32 v86, v95, v171, -v86
	v_fmac_f32_e32 v118, v112, v185
	v_add_f32_e32 v85, v85, v86
	v_mul_f32_e32 v86, v98, v163
	v_add_f32_e32 v117, v117, v118
	s_waitcnt vmcnt(42) lgkmcnt(0)
	v_mul_f32_e32 v118, v113, v188
	v_fma_f32 v86, v97, v172, -v86
	v_fmac_f32_e32 v118, v114, v187
	v_add_f32_e32 v85, v85, v86
	v_mul_f32_e32 v86, v100, v164
	v_add_f32_e32 v121, v117, v118
	ds_read2_b64 v[117:120], v84 offset0:63 offset1:64
	v_fma_f32 v86, v99, v173, -v86
	v_add_f32_e32 v85, v85, v86
	v_mul_f32_e32 v86, v102, v165
	s_waitcnt vmcnt(40)
	v_mul_f32_e32 v122, v115, v190
	v_fma_f32 v86, v101, v174, -v86
	v_fmac_f32_e32 v122, v116, v189
	v_add_f32_e32 v85, v85, v86
	v_mul_f32_e32 v86, v104, v175
	v_add_f32_e32 v125, v121, v122
	ds_read2_b64 v[121:124], v84 offset0:65 offset1:66
	v_fma_f32 v86, v103, v176, -v86
	s_waitcnt vmcnt(38) lgkmcnt(1)
	v_mul_f32_e32 v126, v117, v192
	v_add_f32_e32 v85, v85, v86
	v_mul_f32_e32 v86, v106, v177
	v_fmac_f32_e32 v126, v118, v191
	v_fma_f32 v86, v105, v178, -v86
	v_add_f32_e32 v125, v125, v126
	s_waitcnt vmcnt(36)
	v_mul_f32_e32 v126, v119, v194
	v_add_f32_e32 v85, v85, v86
	v_mul_f32_e32 v86, v108, v182
	v_fmac_f32_e32 v126, v120, v193
	v_fma_f32 v86, v107, v181, -v86
	v_add_f32_e32 v125, v125, v126
	s_waitcnt vmcnt(34) lgkmcnt(0)
	v_mul_f32_e32 v126, v121, v196
	v_add_f32_e32 v85, v85, v86
	v_mul_f32_e32 v86, v110, v184
	v_fmac_f32_e32 v126, v122, v195
	v_fma_f32 v86, v109, v183, -v86
	v_add_f32_e32 v129, v125, v126
	ds_read2_b64 v[125:128], v84 offset0:67 offset1:68
	v_add_f32_e32 v85, v85, v86
	v_mul_f32_e32 v86, v112, v186
	v_fma_f32 v86, v111, v185, -v86
	s_waitcnt vmcnt(32)
	v_mul_f32_e32 v130, v123, v198
	v_add_f32_e32 v85, v85, v86
	v_mul_f32_e32 v86, v114, v188
	v_fmac_f32_e32 v130, v124, v197
	v_fma_f32 v86, v113, v187, -v86
	v_add_f32_e32 v133, v129, v130
	ds_read2_b64 v[129:132], v84 offset0:69 offset1:70
	v_add_f32_e32 v85, v85, v86
	v_mul_f32_e32 v86, v116, v190
	s_waitcnt vmcnt(30) lgkmcnt(1)
	v_mul_f32_e32 v134, v125, v200
	v_fma_f32 v86, v115, v189, -v86
	v_fmac_f32_e32 v134, v126, v199
	v_add_f32_e32 v85, v85, v86
	v_mul_f32_e32 v86, v118, v192
	v_add_f32_e32 v133, v133, v134
	s_waitcnt vmcnt(28)
	v_mul_f32_e32 v134, v127, v202
	v_fma_f32 v86, v117, v191, -v86
	v_fmac_f32_e32 v134, v128, v201
	v_add_f32_e32 v85, v85, v86
	v_mul_f32_e32 v86, v120, v194
	v_add_f32_e32 v133, v133, v134
	s_waitcnt vmcnt(26) lgkmcnt(0)
	v_mul_f32_e32 v134, v129, v204
	v_fma_f32 v86, v119, v193, -v86
	v_fmac_f32_e32 v134, v130, v203
	v_add_f32_e32 v85, v85, v86
	v_mul_f32_e32 v86, v122, v196
	v_add_f32_e32 v137, v133, v134
	ds_read2_b64 v[133:136], v84 offset0:71 offset1:72
	v_fma_f32 v86, v121, v195, -v86
	v_add_f32_e32 v85, v85, v86
	v_mul_f32_e32 v86, v124, v198
	s_waitcnt vmcnt(24)
	v_mul_f32_e32 v138, v131, v206
	v_fma_f32 v86, v123, v197, -v86
	v_fmac_f32_e32 v138, v132, v205
	v_add_f32_e32 v85, v85, v86
	v_mul_f32_e32 v86, v126, v200
	v_add_f32_e32 v141, v137, v138
	ds_read2_b64 v[137:140], v84 offset0:73 offset1:74
	v_fma_f32 v86, v125, v199, -v86
	s_waitcnt vmcnt(22) lgkmcnt(1)
	v_mul_f32_e32 v142, v133, v208
	v_add_f32_e32 v85, v85, v86
	v_mul_f32_e32 v86, v128, v202
	v_fmac_f32_e32 v142, v134, v207
	v_fma_f32 v86, v127, v201, -v86
	v_add_f32_e32 v141, v141, v142
	s_waitcnt vmcnt(20)
	v_mul_f32_e32 v142, v135, v210
	v_add_f32_e32 v85, v85, v86
	v_mul_f32_e32 v86, v130, v204
	v_fmac_f32_e32 v142, v136, v209
	v_fma_f32 v86, v129, v203, -v86
	v_add_f32_e32 v141, v141, v142
	s_waitcnt vmcnt(18) lgkmcnt(0)
	v_mul_f32_e32 v142, v137, v212
	v_add_f32_e32 v85, v85, v86
	v_mul_f32_e32 v86, v132, v206
	v_fmac_f32_e32 v142, v138, v211
	v_fma_f32 v86, v131, v205, -v86
	v_add_f32_e32 v145, v141, v142
	ds_read2_b64 v[141:144], v84 offset0:75 offset1:76
	v_add_f32_e32 v85, v85, v86
	v_mul_f32_e32 v86, v134, v208
	v_fma_f32 v86, v133, v207, -v86
	s_waitcnt vmcnt(16)
	v_mul_f32_e32 v146, v139, v214
	v_add_f32_e32 v85, v85, v86
	v_mul_f32_e32 v86, v136, v210
	v_fmac_f32_e32 v146, v140, v213
	v_fma_f32 v86, v135, v209, -v86
	v_add_f32_e32 v149, v145, v146
	ds_read2_b64 v[145:148], v84 offset0:77 offset1:78
	v_add_f32_e32 v85, v85, v86
	v_mul_f32_e32 v86, v138, v212
	s_waitcnt vmcnt(14) lgkmcnt(1)
	v_mul_f32_e32 v150, v141, v216
	v_fma_f32 v86, v137, v211, -v86
	v_fmac_f32_e32 v150, v142, v215
	v_add_f32_e32 v85, v85, v86
	v_mul_f32_e32 v86, v140, v214
	v_add_f32_e32 v149, v149, v150
	s_waitcnt vmcnt(13)
	v_mul_f32_e32 v150, v143, v217
	v_fma_f32 v86, v139, v213, -v86
	s_waitcnt vmcnt(12)
	v_fmac_f32_e32 v150, v144, v218
	v_add_f32_e32 v85, v85, v86
	v_mul_f32_e32 v86, v142, v216
	v_add_f32_e32 v149, v149, v150
	s_waitcnt vmcnt(10) lgkmcnt(0)
	v_mul_f32_e32 v150, v145, v220
	v_fma_f32 v86, v141, v215, -v86
	v_fmac_f32_e32 v150, v146, v219
	v_add_f32_e32 v85, v85, v86
	v_mul_f32_e32 v86, v144, v217
	v_add_f32_e32 v153, v149, v150
	ds_read2_b64 v[149:152], v84 offset0:79 offset1:80
	v_fma_f32 v86, v143, v218, -v86
	v_add_f32_e32 v85, v85, v86
	v_mul_f32_e32 v86, v146, v220
	s_waitcnt vmcnt(8)
	v_mul_f32_e32 v154, v147, v222
	v_fma_f32 v86, v145, v219, -v86
	v_fmac_f32_e32 v154, v148, v221
	v_add_f32_e32 v85, v85, v86
	v_mul_f32_e32 v86, v148, v222
	v_add_f32_e32 v231, v153, v154
	ds_read2_b64 v[153:156], v84 offset0:81 offset1:82
	v_fma_f32 v86, v147, v221, -v86
	v_add_f32_e32 v85, v85, v86
	s_waitcnt vmcnt(6) lgkmcnt(1)
	v_mul_f32_e32 v86, v150, v224
	v_mul_f32_e32 v84, v149, v224
	v_fma_f32 v86, v149, v223, -v86
	v_fmac_f32_e32 v84, v150, v223
	v_add_f32_e32 v85, v85, v86
	s_waitcnt vmcnt(5)
	v_mul_f32_e32 v86, v152, v225
	v_add_f32_e32 v84, v231, v84
	v_mul_f32_e32 v231, v151, v225
	s_waitcnt vmcnt(4)
	v_fma_f32 v86, v151, v226, -v86
	v_fmac_f32_e32 v231, v152, v226
	v_add_f32_e32 v85, v85, v86
	s_waitcnt vmcnt(2) lgkmcnt(0)
	v_mul_f32_e32 v86, v154, v228
	v_add_f32_e32 v84, v84, v231
	v_mul_f32_e32 v231, v153, v228
	v_fma_f32 v86, v153, v227, -v86
	v_fmac_f32_e32 v231, v154, v227
	v_add_f32_e32 v85, v85, v86
	s_waitcnt vmcnt(0)
	v_mul_f32_e32 v86, v156, v230
	v_add_f32_e32 v84, v84, v231
	v_mul_f32_e32 v231, v155, v230
	v_fma_f32 v86, v155, v229, -v86
	v_fmac_f32_e32 v231, v156, v229
	v_add_f32_e32 v85, v85, v86
	v_add_f32_e32 v84, v84, v231
	v_sub_f32_e32 v85, v179, v85
	v_sub_f32_e32 v84, v180, v84
	buffer_store_dword v85, off, s[0:3], 0 offset:32
	buffer_store_dword v84, off, s[0:3], 0 offset:36
	s_and_saveexec_b64 s[4:5], vcc
	s_cbranch_execz .LBB40_253
; %bb.252:
	buffer_load_dword v84, off, s[0:3], 0 offset:24
	buffer_load_dword v85, off, s[0:3], 0 offset:28
	v_mov_b32_e32 v86, 0
	buffer_store_dword v86, off, s[0:3], 0 offset:24
	buffer_store_dword v86, off, s[0:3], 0 offset:28
	s_waitcnt vmcnt(2)
	ds_write_b64 v83, v[84:85]
.LBB40_253:
	s_or_b64 exec, exec, s[4:5]
	s_waitcnt lgkmcnt(0)
	; wave barrier
	buffer_load_dword v159, off, s[0:3], 0 offset:36
	buffer_load_dword v160, off, s[0:3], 0 offset:44
	;; [unrolled: 1-line block ×52, first 2 shown]
	v_mov_b32_e32 v84, 0
	ds_read_b128 v[85:88], v84 offset:368
	ds_read_b128 v[89:92], v84 offset:384
	;; [unrolled: 1-line block ×6, first 2 shown]
	buffer_load_dword v211, off, s[0:3], 0 offset:236
	buffer_load_dword v212, off, s[0:3], 0 offset:232
	;; [unrolled: 1-line block ×14, first 2 shown]
	v_cmp_lt_u32_e32 vcc, 2, v0
	s_waitcnt vmcnt(62) lgkmcnt(5)
	v_mul_f32_e32 v109, v85, v159
	v_mul_f32_e32 v110, v87, v160
	s_waitcnt lgkmcnt(4)
	v_mul_f32_e32 v111, v89, v161
	v_mul_f32_e32 v112, v91, v162
	s_waitcnt vmcnt(61) lgkmcnt(3)
	v_mul_f32_e32 v113, v93, v163
	s_waitcnt vmcnt(60)
	v_mul_f32_e32 v114, v95, v164
	s_waitcnt vmcnt(59) lgkmcnt(2)
	v_mul_f32_e32 v115, v97, v165
	s_waitcnt vmcnt(58)
	;; [unrolled: 4-line block ×3, first 2 shown]
	v_fmac_f32_e32 v109, v86, v168
	s_waitcnt vmcnt(55)
	v_fmac_f32_e32 v110, v88, v169
	v_add_f32_e32 v109, 0, v109
	s_waitcnt vmcnt(54)
	v_fmac_f32_e32 v111, v90, v170
	v_add_f32_e32 v109, v109, v110
	;; [unrolled: 3-line block ×8, first 2 shown]
	s_waitcnt vmcnt(47)
	v_mul_f32_e32 v110, v103, v177
	v_add_f32_e32 v109, v109, v117
	s_waitcnt vmcnt(46)
	v_fmac_f32_e32 v110, v104, v178
	v_add_f32_e32 v109, v109, v110
	s_waitcnt vmcnt(45) lgkmcnt(0)
	v_mul_f32_e32 v110, v105, v179
	s_waitcnt vmcnt(44)
	v_fmac_f32_e32 v110, v106, v180
	v_add_f32_e32 v113, v109, v110
	ds_read_b128 v[109:112], v84 offset:464
	buffer_load_dword v225, off, s[0:3], 0 offset:288
	buffer_load_dword v226, off, s[0:3], 0 offset:292
	s_waitcnt vmcnt(43)
	v_mul_f32_e32 v114, v107, v183
	s_waitcnt vmcnt(42)
	v_fmac_f32_e32 v114, v108, v184
	v_add_f32_e32 v117, v113, v114
	ds_read_b128 v[113:116], v84 offset:480
	buffer_load_dword v227, off, s[0:3], 0 offset:300
	buffer_load_dword v228, off, s[0:3], 0 offset:296
	;; [unrolled: 1-line block ×8, first 2 shown]
	v_mul_f32_e32 v86, v86, v159
	v_fma_f32 v85, v85, v168, -v86
	v_mul_f32_e32 v86, v88, v160
	v_add_f32_e32 v85, 0, v85
	v_fma_f32 v86, v87, v169, -v86
	v_add_f32_e32 v85, v85, v86
	v_mul_f32_e32 v86, v90, v161
	v_fma_f32 v86, v89, v170, -v86
	v_add_f32_e32 v85, v85, v86
	v_mul_f32_e32 v86, v92, v162
	v_fma_f32 v86, v91, v171, -v86
	s_waitcnt vmcnt(48) lgkmcnt(1)
	v_mul_f32_e32 v118, v109, v186
	v_add_f32_e32 v85, v85, v86
	v_mul_f32_e32 v86, v94, v163
	v_fmac_f32_e32 v118, v110, v185
	v_fma_f32 v86, v93, v172, -v86
	v_add_f32_e32 v117, v117, v118
	s_waitcnt vmcnt(46)
	v_mul_f32_e32 v118, v111, v188
	v_add_f32_e32 v85, v85, v86
	v_mul_f32_e32 v86, v96, v164
	v_fmac_f32_e32 v118, v112, v187
	v_fma_f32 v86, v95, v173, -v86
	v_add_f32_e32 v117, v117, v118
	s_waitcnt vmcnt(44) lgkmcnt(0)
	v_mul_f32_e32 v118, v113, v190
	v_add_f32_e32 v85, v85, v86
	v_mul_f32_e32 v86, v98, v165
	v_fmac_f32_e32 v118, v114, v189
	v_fma_f32 v86, v97, v174, -v86
	v_add_f32_e32 v121, v117, v118
	ds_read_b128 v[117:120], v84 offset:496
	v_add_f32_e32 v85, v85, v86
	v_mul_f32_e32 v86, v100, v166
	v_fma_f32 v86, v99, v175, -v86
	s_waitcnt vmcnt(42)
	v_mul_f32_e32 v122, v115, v192
	v_add_f32_e32 v85, v85, v86
	v_mul_f32_e32 v86, v102, v167
	v_fmac_f32_e32 v122, v116, v191
	v_fma_f32 v86, v101, v176, -v86
	v_add_f32_e32 v125, v121, v122
	ds_read_b128 v[121:124], v84 offset:512
	v_add_f32_e32 v85, v85, v86
	v_mul_f32_e32 v86, v104, v177
	s_waitcnt vmcnt(40) lgkmcnt(1)
	v_mul_f32_e32 v126, v117, v194
	v_fma_f32 v86, v103, v178, -v86
	v_fmac_f32_e32 v126, v118, v193
	v_add_f32_e32 v85, v85, v86
	v_mul_f32_e32 v86, v106, v179
	v_add_f32_e32 v125, v125, v126
	s_waitcnt vmcnt(38)
	v_mul_f32_e32 v126, v119, v196
	v_fma_f32 v86, v105, v180, -v86
	v_fmac_f32_e32 v126, v120, v195
	v_add_f32_e32 v85, v85, v86
	v_mul_f32_e32 v86, v108, v183
	v_add_f32_e32 v125, v125, v126
	s_waitcnt vmcnt(36) lgkmcnt(0)
	v_mul_f32_e32 v126, v121, v198
	v_fma_f32 v86, v107, v184, -v86
	v_fmac_f32_e32 v126, v122, v197
	v_add_f32_e32 v85, v85, v86
	v_mul_f32_e32 v86, v110, v186
	v_add_f32_e32 v129, v125, v126
	ds_read_b128 v[125:128], v84 offset:528
	v_fma_f32 v86, v109, v185, -v86
	v_add_f32_e32 v85, v85, v86
	v_mul_f32_e32 v86, v112, v188
	s_waitcnt vmcnt(34)
	v_mul_f32_e32 v130, v123, v200
	v_fma_f32 v86, v111, v187, -v86
	v_fmac_f32_e32 v130, v124, v199
	v_add_f32_e32 v85, v85, v86
	v_mul_f32_e32 v86, v114, v190
	v_add_f32_e32 v133, v129, v130
	ds_read_b128 v[129:132], v84 offset:544
	v_fma_f32 v86, v113, v189, -v86
	s_waitcnt vmcnt(32) lgkmcnt(1)
	v_mul_f32_e32 v134, v125, v202
	v_add_f32_e32 v85, v85, v86
	v_mul_f32_e32 v86, v116, v192
	v_fmac_f32_e32 v134, v126, v201
	v_fma_f32 v86, v115, v191, -v86
	v_add_f32_e32 v133, v133, v134
	s_waitcnt vmcnt(30)
	v_mul_f32_e32 v134, v127, v204
	v_add_f32_e32 v85, v85, v86
	v_mul_f32_e32 v86, v118, v194
	v_fmac_f32_e32 v134, v128, v203
	v_fma_f32 v86, v117, v193, -v86
	v_add_f32_e32 v133, v133, v134
	s_waitcnt vmcnt(28) lgkmcnt(0)
	v_mul_f32_e32 v134, v129, v206
	v_add_f32_e32 v85, v85, v86
	v_mul_f32_e32 v86, v120, v196
	v_fmac_f32_e32 v134, v130, v205
	v_fma_f32 v86, v119, v195, -v86
	v_add_f32_e32 v137, v133, v134
	ds_read_b128 v[133:136], v84 offset:560
	v_add_f32_e32 v85, v85, v86
	v_mul_f32_e32 v86, v122, v198
	v_fma_f32 v86, v121, v197, -v86
	s_waitcnt vmcnt(26)
	v_mul_f32_e32 v138, v131, v208
	v_add_f32_e32 v85, v85, v86
	v_mul_f32_e32 v86, v124, v200
	v_fmac_f32_e32 v138, v132, v207
	v_fma_f32 v86, v123, v199, -v86
	v_add_f32_e32 v141, v137, v138
	ds_read_b128 v[137:140], v84 offset:576
	v_add_f32_e32 v85, v85, v86
	v_mul_f32_e32 v86, v126, v202
	s_waitcnt vmcnt(24) lgkmcnt(1)
	v_mul_f32_e32 v142, v133, v210
	v_fma_f32 v86, v125, v201, -v86
	v_fmac_f32_e32 v142, v134, v209
	v_add_f32_e32 v85, v85, v86
	v_mul_f32_e32 v86, v128, v204
	v_add_f32_e32 v141, v141, v142
	s_waitcnt vmcnt(23)
	v_mul_f32_e32 v142, v135, v211
	v_fma_f32 v86, v127, v203, -v86
	s_waitcnt vmcnt(22)
	v_fmac_f32_e32 v142, v136, v212
	v_add_f32_e32 v85, v85, v86
	v_mul_f32_e32 v86, v130, v206
	v_add_f32_e32 v141, v141, v142
	s_waitcnt vmcnt(20) lgkmcnt(0)
	v_mul_f32_e32 v142, v137, v214
	v_fma_f32 v86, v129, v205, -v86
	v_fmac_f32_e32 v142, v138, v213
	v_add_f32_e32 v85, v85, v86
	v_mul_f32_e32 v86, v132, v208
	v_add_f32_e32 v145, v141, v142
	ds_read_b128 v[141:144], v84 offset:592
	v_fma_f32 v86, v131, v207, -v86
	v_add_f32_e32 v85, v85, v86
	v_mul_f32_e32 v86, v134, v210
	s_waitcnt vmcnt(18)
	v_mul_f32_e32 v146, v139, v216
	v_fma_f32 v86, v133, v209, -v86
	v_fmac_f32_e32 v146, v140, v215
	v_add_f32_e32 v85, v85, v86
	v_mul_f32_e32 v86, v136, v211
	v_add_f32_e32 v149, v145, v146
	ds_read_b128 v[145:148], v84 offset:608
	v_fma_f32 v86, v135, v212, -v86
	s_waitcnt vmcnt(16) lgkmcnt(1)
	v_mul_f32_e32 v150, v141, v218
	v_add_f32_e32 v85, v85, v86
	v_mul_f32_e32 v86, v138, v214
	v_fmac_f32_e32 v150, v142, v217
	v_fma_f32 v86, v137, v213, -v86
	v_add_f32_e32 v149, v149, v150
	s_waitcnt vmcnt(15)
	v_mul_f32_e32 v150, v143, v219
	v_add_f32_e32 v85, v85, v86
	v_mul_f32_e32 v86, v140, v216
	s_waitcnt vmcnt(14)
	v_fmac_f32_e32 v150, v144, v220
	v_fma_f32 v86, v139, v215, -v86
	v_add_f32_e32 v149, v149, v150
	s_waitcnt vmcnt(12) lgkmcnt(0)
	v_mul_f32_e32 v150, v145, v222
	v_add_f32_e32 v85, v85, v86
	v_mul_f32_e32 v86, v142, v218
	v_fmac_f32_e32 v150, v146, v221
	v_fma_f32 v86, v141, v217, -v86
	v_add_f32_e32 v153, v149, v150
	ds_read_b128 v[149:152], v84 offset:624
	v_add_f32_e32 v85, v85, v86
	v_mul_f32_e32 v86, v144, v219
	v_fma_f32 v86, v143, v220, -v86
	v_add_f32_e32 v85, v85, v86
	v_mul_f32_e32 v86, v146, v222
	s_waitcnt vmcnt(10)
	v_mul_f32_e32 v154, v147, v224
	v_fma_f32 v86, v145, v221, -v86
	v_fmac_f32_e32 v154, v148, v223
	v_add_f32_e32 v85, v85, v86
	v_mul_f32_e32 v86, v148, v224
	v_add_f32_e32 v157, v153, v154
	ds_read_b128 v[153:156], v84 offset:640
	s_waitcnt vmcnt(8) lgkmcnt(1)
	v_mul_f32_e32 v158, v149, v226
	v_fma_f32 v86, v147, v223, -v86
	v_fmac_f32_e32 v158, v150, v225
	v_add_f32_e32 v85, v85, v86
	v_mul_f32_e32 v86, v150, v226
	v_add_f32_e32 v157, v157, v158
	s_waitcnt vmcnt(7)
	v_mul_f32_e32 v158, v151, v227
	v_fma_f32 v86, v149, v225, -v86
	s_waitcnt vmcnt(6)
	v_fmac_f32_e32 v158, v152, v228
	v_add_f32_e32 v85, v85, v86
	v_mul_f32_e32 v86, v152, v227
	v_add_f32_e32 v235, v157, v158
	ds_read_b64 v[157:158], v84 offset:656
	v_fma_f32 v86, v151, v228, -v86
	v_add_f32_e32 v85, v85, v86
	s_waitcnt vmcnt(4) lgkmcnt(1)
	v_mul_f32_e32 v86, v154, v230
	v_mul_f32_e32 v236, v153, v230
	v_fma_f32 v86, v153, v229, -v86
	v_fmac_f32_e32 v236, v154, v229
	v_add_f32_e32 v85, v85, v86
	s_waitcnt vmcnt(3)
	v_mul_f32_e32 v86, v156, v231
	v_add_f32_e32 v235, v235, v236
	v_mul_f32_e32 v236, v155, v231
	s_waitcnt vmcnt(2)
	v_fma_f32 v86, v155, v232, -v86
	v_fmac_f32_e32 v236, v156, v232
	v_add_f32_e32 v85, v85, v86
	s_waitcnt vmcnt(0) lgkmcnt(0)
	v_mul_f32_e32 v86, v158, v234
	v_add_f32_e32 v235, v235, v236
	v_mul_f32_e32 v236, v157, v234
	v_fma_f32 v86, v157, v233, -v86
	v_fmac_f32_e32 v236, v158, v233
	v_add_f32_e32 v85, v85, v86
	v_add_f32_e32 v235, v235, v236
	v_sub_f32_e32 v85, v181, v85
	v_sub_f32_e32 v86, v182, v235
	buffer_store_dword v85, off, s[0:3], 0 offset:24
	buffer_store_dword v86, off, s[0:3], 0 offset:28
	s_and_saveexec_b64 s[4:5], vcc
	s_cbranch_execz .LBB40_255
; %bb.254:
	buffer_load_dword v85, off, s[0:3], 0 offset:16
	buffer_load_dword v86, off, s[0:3], 0 offset:20
	s_waitcnt vmcnt(0)
	ds_write_b64 v83, v[85:86]
	buffer_store_dword v84, off, s[0:3], 0 offset:16
	buffer_store_dword v84, off, s[0:3], 0 offset:20
.LBB40_255:
	s_or_b64 exec, exec, s[4:5]
	s_waitcnt lgkmcnt(0)
	; wave barrier
	buffer_load_dword v161, off, s[0:3], 0 offset:28
	buffer_load_dword v162, off, s[0:3], 0 offset:36
	buffer_load_dword v163, off, s[0:3], 0 offset:44
	buffer_load_dword v164, off, s[0:3], 0 offset:52
	buffer_load_dword v165, off, s[0:3], 0 offset:60
	buffer_load_dword v166, off, s[0:3], 0 offset:68
	buffer_load_dword v167, off, s[0:3], 0 offset:76
	buffer_load_dword v168, off, s[0:3], 0 offset:84
	buffer_load_dword v169, off, s[0:3], 0 offset:92
	buffer_load_dword v170, off, s[0:3], 0 offset:100
	buffer_load_dword v171, off, s[0:3], 0 offset:24
	buffer_load_dword v172, off, s[0:3], 0 offset:32
	buffer_load_dword v173, off, s[0:3], 0 offset:40
	buffer_load_dword v174, off, s[0:3], 0 offset:48
	buffer_load_dword v175, off, s[0:3], 0 offset:56
	buffer_load_dword v176, off, s[0:3], 0 offset:64
	buffer_load_dword v177, off, s[0:3], 0 offset:72
	buffer_load_dword v178, off, s[0:3], 0 offset:80
	buffer_load_dword v179, off, s[0:3], 0 offset:88
	buffer_load_dword v180, off, s[0:3], 0 offset:96
	buffer_load_dword v181, off, s[0:3], 0 offset:108
	buffer_load_dword v182, off, s[0:3], 0 offset:104
	buffer_load_dword v183, off, s[0:3], 0 offset:116
	buffer_load_dword v184, off, s[0:3], 0 offset:112
	buffer_load_dword v185, off, s[0:3], 0 offset:16
	buffer_load_dword v186, off, s[0:3], 0 offset:20
	ds_read2_b64 v[85:88], v84 offset0:45 offset1:46
	ds_read2_b64 v[89:92], v84 offset0:47 offset1:48
	;; [unrolled: 1-line block ×4, first 2 shown]
	buffer_load_dword v187, off, s[0:3], 0 offset:124
	ds_read2_b64 v[101:104], v84 offset0:53 offset1:54
	ds_read2_b64 v[105:108], v84 offset0:55 offset1:56
	buffer_load_dword v188, off, s[0:3], 0 offset:120
	buffer_load_dword v189, off, s[0:3], 0 offset:128
	;; [unrolled: 1-line block ×37, first 2 shown]
	v_cmp_lt_u32_e32 vcc, 1, v0
	s_waitcnt vmcnt(62) lgkmcnt(5)
	v_mul_f32_e32 v109, v85, v161
	v_mul_f32_e32 v110, v87, v162
	s_waitcnt vmcnt(61) lgkmcnt(4)
	v_mul_f32_e32 v111, v89, v163
	s_waitcnt vmcnt(60)
	v_mul_f32_e32 v112, v91, v164
	s_waitcnt vmcnt(59) lgkmcnt(3)
	v_mul_f32_e32 v113, v93, v165
	s_waitcnt vmcnt(58)
	;; [unrolled: 4-line block ×4, first 2 shown]
	v_mul_f32_e32 v118, v103, v170
	s_waitcnt vmcnt(53)
	v_fmac_f32_e32 v109, v86, v171
	s_waitcnt vmcnt(52)
	v_fmac_f32_e32 v110, v88, v172
	v_add_f32_e32 v109, 0, v109
	s_waitcnt vmcnt(51)
	v_fmac_f32_e32 v111, v90, v173
	v_add_f32_e32 v109, v109, v110
	;; [unrolled: 3-line block ×9, first 2 shown]
	s_waitcnt vmcnt(43) lgkmcnt(0)
	v_mul_f32_e32 v110, v105, v181
	v_add_f32_e32 v109, v109, v118
	s_waitcnt vmcnt(42)
	v_fmac_f32_e32 v110, v106, v182
	v_add_f32_e32 v113, v109, v110
	s_waitcnt vmcnt(41)
	v_mul_f32_e32 v114, v107, v183
	ds_read2_b64 v[109:112], v84 offset0:57 offset1:58
	buffer_load_dword v225, off, s[0:3], 0 offset:272
	buffer_load_dword v226, off, s[0:3], 0 offset:276
	s_waitcnt vmcnt(42)
	v_fmac_f32_e32 v114, v108, v184
	v_add_f32_e32 v117, v113, v114
	ds_read2_b64 v[113:116], v84 offset0:59 offset1:60
	buffer_load_dword v227, off, s[0:3], 0 offset:280
	buffer_load_dword v228, off, s[0:3], 0 offset:284
	;; [unrolled: 1-line block ×12, first 2 shown]
	v_mul_f32_e32 v86, v86, v161
	v_fma_f32 v85, v85, v171, -v86
	v_mul_f32_e32 v86, v88, v162
	v_add_f32_e32 v85, 0, v85
	v_fma_f32 v86, v87, v172, -v86
	v_add_f32_e32 v85, v85, v86
	v_mul_f32_e32 v86, v90, v163
	v_fma_f32 v86, v89, v173, -v86
	v_add_f32_e32 v85, v85, v86
	v_mul_f32_e32 v86, v92, v164
	v_fma_f32 v86, v91, v174, -v86
	s_waitcnt vmcnt(51) lgkmcnt(1)
	v_mul_f32_e32 v118, v109, v187
	v_add_f32_e32 v85, v85, v86
	v_mul_f32_e32 v86, v94, v165
	s_waitcnt vmcnt(50)
	v_fmac_f32_e32 v118, v110, v188
	v_fma_f32 v86, v93, v175, -v86
	v_add_f32_e32 v117, v117, v118
	s_waitcnt vmcnt(48)
	v_mul_f32_e32 v118, v111, v190
	v_add_f32_e32 v85, v85, v86
	v_mul_f32_e32 v86, v96, v166
	v_fmac_f32_e32 v118, v112, v189
	v_fma_f32 v86, v95, v176, -v86
	v_add_f32_e32 v117, v117, v118
	s_waitcnt vmcnt(46) lgkmcnt(0)
	v_mul_f32_e32 v118, v113, v192
	v_add_f32_e32 v85, v85, v86
	v_mul_f32_e32 v86, v98, v167
	v_fmac_f32_e32 v118, v114, v191
	v_fma_f32 v86, v97, v177, -v86
	v_add_f32_e32 v121, v117, v118
	ds_read2_b64 v[117:120], v84 offset0:61 offset1:62
	v_add_f32_e32 v85, v85, v86
	v_mul_f32_e32 v86, v100, v168
	v_fma_f32 v86, v99, v178, -v86
	s_waitcnt vmcnt(44)
	v_mul_f32_e32 v122, v115, v194
	v_add_f32_e32 v85, v85, v86
	v_mul_f32_e32 v86, v102, v169
	v_fmac_f32_e32 v122, v116, v193
	v_fma_f32 v86, v101, v179, -v86
	v_add_f32_e32 v125, v121, v122
	ds_read2_b64 v[121:124], v84 offset0:63 offset1:64
	v_add_f32_e32 v85, v85, v86
	v_mul_f32_e32 v86, v104, v170
	s_waitcnt vmcnt(42) lgkmcnt(1)
	v_mul_f32_e32 v126, v117, v196
	v_fma_f32 v86, v103, v180, -v86
	v_fmac_f32_e32 v126, v118, v195
	v_add_f32_e32 v85, v85, v86
	v_mul_f32_e32 v86, v106, v181
	v_add_f32_e32 v125, v125, v126
	s_waitcnt vmcnt(40)
	v_mul_f32_e32 v126, v119, v198
	v_fma_f32 v86, v105, v182, -v86
	v_fmac_f32_e32 v126, v120, v197
	v_add_f32_e32 v85, v85, v86
	v_mul_f32_e32 v86, v108, v183
	v_add_f32_e32 v125, v125, v126
	s_waitcnt vmcnt(38) lgkmcnt(0)
	v_mul_f32_e32 v126, v121, v200
	v_fma_f32 v86, v107, v184, -v86
	v_fmac_f32_e32 v126, v122, v199
	v_add_f32_e32 v85, v85, v86
	v_mul_f32_e32 v86, v110, v187
	v_add_f32_e32 v129, v125, v126
	ds_read2_b64 v[125:128], v84 offset0:65 offset1:66
	v_fma_f32 v86, v109, v188, -v86
	v_add_f32_e32 v85, v85, v86
	v_mul_f32_e32 v86, v112, v190
	s_waitcnt vmcnt(36)
	v_mul_f32_e32 v130, v123, v202
	v_fma_f32 v86, v111, v189, -v86
	v_fmac_f32_e32 v130, v124, v201
	v_add_f32_e32 v85, v85, v86
	v_mul_f32_e32 v86, v114, v192
	v_add_f32_e32 v133, v129, v130
	ds_read2_b64 v[129:132], v84 offset0:67 offset1:68
	v_fma_f32 v86, v113, v191, -v86
	s_waitcnt vmcnt(34) lgkmcnt(1)
	v_mul_f32_e32 v134, v125, v204
	v_add_f32_e32 v85, v85, v86
	v_mul_f32_e32 v86, v116, v194
	v_fmac_f32_e32 v134, v126, v203
	v_fma_f32 v86, v115, v193, -v86
	v_add_f32_e32 v133, v133, v134
	s_waitcnt vmcnt(32)
	v_mul_f32_e32 v134, v127, v206
	v_add_f32_e32 v85, v85, v86
	v_mul_f32_e32 v86, v118, v196
	v_fmac_f32_e32 v134, v128, v205
	v_fma_f32 v86, v117, v195, -v86
	v_add_f32_e32 v133, v133, v134
	s_waitcnt vmcnt(30) lgkmcnt(0)
	v_mul_f32_e32 v134, v129, v208
	v_add_f32_e32 v85, v85, v86
	v_mul_f32_e32 v86, v120, v198
	v_fmac_f32_e32 v134, v130, v207
	v_fma_f32 v86, v119, v197, -v86
	v_add_f32_e32 v137, v133, v134
	ds_read2_b64 v[133:136], v84 offset0:69 offset1:70
	v_add_f32_e32 v85, v85, v86
	v_mul_f32_e32 v86, v122, v200
	v_fma_f32 v86, v121, v199, -v86
	s_waitcnt vmcnt(28)
	v_mul_f32_e32 v138, v131, v210
	v_add_f32_e32 v85, v85, v86
	v_mul_f32_e32 v86, v124, v202
	v_fmac_f32_e32 v138, v132, v209
	v_fma_f32 v86, v123, v201, -v86
	v_add_f32_e32 v141, v137, v138
	ds_read2_b64 v[137:140], v84 offset0:71 offset1:72
	v_add_f32_e32 v85, v85, v86
	v_mul_f32_e32 v86, v126, v204
	s_waitcnt vmcnt(26) lgkmcnt(1)
	v_mul_f32_e32 v142, v133, v212
	v_fma_f32 v86, v125, v203, -v86
	v_fmac_f32_e32 v142, v134, v211
	v_add_f32_e32 v85, v85, v86
	v_mul_f32_e32 v86, v128, v206
	v_add_f32_e32 v141, v141, v142
	s_waitcnt vmcnt(25)
	v_mul_f32_e32 v142, v135, v213
	v_fma_f32 v86, v127, v205, -v86
	s_waitcnt vmcnt(24)
	v_fmac_f32_e32 v142, v136, v214
	v_add_f32_e32 v85, v85, v86
	v_mul_f32_e32 v86, v130, v208
	v_add_f32_e32 v141, v141, v142
	s_waitcnt vmcnt(22) lgkmcnt(0)
	v_mul_f32_e32 v142, v137, v216
	v_fma_f32 v86, v129, v207, -v86
	v_fmac_f32_e32 v142, v138, v215
	v_add_f32_e32 v85, v85, v86
	v_mul_f32_e32 v86, v132, v210
	v_add_f32_e32 v145, v141, v142
	ds_read2_b64 v[141:144], v84 offset0:73 offset1:74
	v_fma_f32 v86, v131, v209, -v86
	v_add_f32_e32 v85, v85, v86
	v_mul_f32_e32 v86, v134, v212
	s_waitcnt vmcnt(20)
	v_mul_f32_e32 v146, v139, v218
	v_fma_f32 v86, v133, v211, -v86
	v_fmac_f32_e32 v146, v140, v217
	v_add_f32_e32 v85, v85, v86
	v_mul_f32_e32 v86, v136, v213
	v_add_f32_e32 v149, v145, v146
	ds_read2_b64 v[145:148], v84 offset0:75 offset1:76
	v_fma_f32 v86, v135, v214, -v86
	s_waitcnt vmcnt(18) lgkmcnt(1)
	v_mul_f32_e32 v150, v141, v220
	v_add_f32_e32 v85, v85, v86
	v_mul_f32_e32 v86, v138, v216
	v_fmac_f32_e32 v150, v142, v219
	v_fma_f32 v86, v137, v215, -v86
	v_add_f32_e32 v149, v149, v150
	s_waitcnt vmcnt(17)
	v_mul_f32_e32 v150, v143, v221
	v_add_f32_e32 v85, v85, v86
	v_mul_f32_e32 v86, v140, v218
	s_waitcnt vmcnt(16)
	v_fmac_f32_e32 v150, v144, v222
	v_fma_f32 v86, v139, v217, -v86
	v_add_f32_e32 v149, v149, v150
	s_waitcnt vmcnt(14) lgkmcnt(0)
	v_mul_f32_e32 v150, v145, v224
	v_add_f32_e32 v85, v85, v86
	v_mul_f32_e32 v86, v142, v220
	v_fmac_f32_e32 v150, v146, v223
	v_fma_f32 v86, v141, v219, -v86
	v_add_f32_e32 v153, v149, v150
	ds_read2_b64 v[149:152], v84 offset0:77 offset1:78
	v_add_f32_e32 v85, v85, v86
	v_mul_f32_e32 v86, v144, v221
	v_fma_f32 v86, v143, v222, -v86
	v_add_f32_e32 v85, v85, v86
	v_mul_f32_e32 v86, v146, v224
	s_waitcnt vmcnt(12)
	v_mul_f32_e32 v154, v147, v226
	v_fma_f32 v86, v145, v223, -v86
	v_fmac_f32_e32 v154, v148, v225
	v_add_f32_e32 v85, v85, v86
	v_mul_f32_e32 v86, v148, v226
	v_add_f32_e32 v157, v153, v154
	ds_read2_b64 v[153:156], v84 offset0:79 offset1:80
	s_waitcnt vmcnt(10) lgkmcnt(1)
	v_mul_f32_e32 v158, v149, v228
	v_fma_f32 v86, v147, v225, -v86
	v_fmac_f32_e32 v158, v150, v227
	v_add_f32_e32 v85, v85, v86
	v_mul_f32_e32 v86, v150, v228
	v_add_f32_e32 v157, v157, v158
	s_waitcnt vmcnt(9)
	v_mul_f32_e32 v158, v151, v229
	v_fma_f32 v86, v149, v227, -v86
	s_waitcnt vmcnt(8)
	v_fmac_f32_e32 v158, v152, v230
	v_add_f32_e32 v85, v85, v86
	v_mul_f32_e32 v86, v152, v229
	v_add_f32_e32 v239, v157, v158
	ds_read2_b64 v[157:160], v84 offset0:81 offset1:82
	v_fma_f32 v86, v151, v230, -v86
	v_add_f32_e32 v85, v85, v86
	s_waitcnt vmcnt(6) lgkmcnt(1)
	v_mul_f32_e32 v86, v154, v232
	v_mul_f32_e32 v240, v153, v232
	v_fma_f32 v86, v153, v231, -v86
	v_fmac_f32_e32 v240, v154, v231
	v_add_f32_e32 v85, v85, v86
	s_waitcnt vmcnt(4)
	v_mul_f32_e32 v86, v156, v234
	v_add_f32_e32 v84, v239, v240
	v_mul_f32_e32 v239, v155, v234
	v_fma_f32 v86, v155, v233, -v86
	v_fmac_f32_e32 v239, v156, v233
	v_add_f32_e32 v85, v85, v86
	s_waitcnt vmcnt(3) lgkmcnt(0)
	v_mul_f32_e32 v86, v158, v235
	v_add_f32_e32 v84, v84, v239
	v_mul_f32_e32 v239, v157, v235
	s_waitcnt vmcnt(2)
	v_fma_f32 v86, v157, v236, -v86
	v_fmac_f32_e32 v239, v158, v236
	v_add_f32_e32 v85, v85, v86
	s_waitcnt vmcnt(0)
	v_mul_f32_e32 v86, v160, v238
	v_add_f32_e32 v84, v84, v239
	v_mul_f32_e32 v239, v159, v238
	v_fma_f32 v86, v159, v237, -v86
	v_fmac_f32_e32 v239, v160, v237
	v_add_f32_e32 v85, v85, v86
	v_add_f32_e32 v84, v84, v239
	v_sub_f32_e32 v85, v185, v85
	v_sub_f32_e32 v84, v186, v84
	buffer_store_dword v85, off, s[0:3], 0 offset:16
	buffer_store_dword v84, off, s[0:3], 0 offset:20
	s_and_saveexec_b64 s[4:5], vcc
	s_cbranch_execz .LBB40_257
; %bb.256:
	buffer_load_dword v84, off, s[0:3], 0 offset:8
	buffer_load_dword v85, off, s[0:3], 0 offset:12
	v_mov_b32_e32 v86, 0
	buffer_store_dword v86, off, s[0:3], 0 offset:8
	buffer_store_dword v86, off, s[0:3], 0 offset:12
	s_waitcnt vmcnt(2)
	ds_write_b64 v83, v[84:85]
.LBB40_257:
	s_or_b64 exec, exec, s[4:5]
	s_waitcnt lgkmcnt(0)
	; wave barrier
	buffer_load_dword v163, off, s[0:3], 0 offset:20
	buffer_load_dword v164, off, s[0:3], 0 offset:28
	;; [unrolled: 1-line block ×52, first 2 shown]
	v_mov_b32_e32 v84, 0
	ds_read_b128 v[85:88], v84 offset:352
	ds_read_b128 v[89:92], v84 offset:368
	;; [unrolled: 1-line block ×6, first 2 shown]
	buffer_load_dword v215, off, s[0:3], 0 offset:220
	buffer_load_dword v216, off, s[0:3], 0 offset:216
	;; [unrolled: 1-line block ×8, first 2 shown]
	v_cmp_ne_u32_e32 vcc, 0, v0
	s_waitcnt vmcnt(59) lgkmcnt(5)
	v_mul_f32_e32 v109, v85, v163
	s_waitcnt vmcnt(58)
	v_mul_f32_e32 v110, v87, v164
	s_waitcnt vmcnt(57) lgkmcnt(4)
	v_mul_f32_e32 v111, v89, v165
	s_waitcnt vmcnt(56)
	v_mul_f32_e32 v112, v91, v166
	s_waitcnt vmcnt(55) lgkmcnt(3)
	v_mul_f32_e32 v113, v93, v167
	s_waitcnt vmcnt(54)
	v_mul_f32_e32 v114, v95, v168
	s_waitcnt vmcnt(53) lgkmcnt(2)
	v_mul_f32_e32 v115, v97, v169
	s_waitcnt vmcnt(52)
	v_mul_f32_e32 v116, v99, v170
	s_waitcnt vmcnt(51) lgkmcnt(1)
	v_mul_f32_e32 v117, v101, v171
	s_waitcnt vmcnt(50)
	v_mul_f32_e32 v118, v103, v172
	s_waitcnt vmcnt(49) lgkmcnt(0)
	v_mul_f32_e32 v119, v105, v173
	s_waitcnt vmcnt(48)
	v_fmac_f32_e32 v109, v86, v174
	s_waitcnt vmcnt(47)
	v_fmac_f32_e32 v110, v88, v175
	v_add_f32_e32 v109, 0, v109
	s_waitcnt vmcnt(46)
	v_fmac_f32_e32 v111, v90, v176
	v_add_f32_e32 v109, v109, v110
	;; [unrolled: 3-line block ×9, first 2 shown]
	v_add_f32_e32 v109, v109, v118
	s_waitcnt vmcnt(38)
	v_fmac_f32_e32 v119, v106, v184
	s_waitcnt vmcnt(37)
	v_mul_f32_e32 v110, v107, v185
	v_add_f32_e32 v109, v109, v119
	s_waitcnt vmcnt(36)
	v_fmac_f32_e32 v110, v108, v186
	v_add_f32_e32 v117, v109, v110
	ds_read_b128 v[109:112], v84 offset:448
	buffer_load_dword v223, off, s[0:3], 0 offset:252
	buffer_load_dword v224, off, s[0:3], 0 offset:248
	;; [unrolled: 1-line block ×4, first 2 shown]
	ds_read_b128 v[113:116], v84 offset:464
	buffer_load_dword v227, off, s[0:3], 0 offset:264
	buffer_load_dword v228, off, s[0:3], 0 offset:268
	buffer_load_dword v229, off, s[0:3], 0 offset:272
	buffer_load_dword v230, off, s[0:3], 0 offset:276
	buffer_load_dword v231, off, s[0:3], 0 offset:284
	buffer_load_dword v232, off, s[0:3], 0 offset:280
	buffer_load_dword v233, off, s[0:3], 0 offset:288
	buffer_load_dword v234, off, s[0:3], 0 offset:292
	buffer_load_dword v235, off, s[0:3], 0 offset:296
	buffer_load_dword v236, off, s[0:3], 0 offset:300
	s_waitcnt vmcnt(46) lgkmcnt(1)
	v_mul_f32_e32 v118, v109, v190
	v_fmac_f32_e32 v118, v110, v189
	v_add_f32_e32 v117, v117, v118
	s_waitcnt vmcnt(44)
	v_mul_f32_e32 v118, v111, v192
	buffer_load_dword v237, off, s[0:3], 0 offset:304
	buffer_load_dword v238, off, s[0:3], 0 offset:308
	v_fmac_f32_e32 v118, v112, v191
	v_add_f32_e32 v117, v117, v118
	s_waitcnt vmcnt(44) lgkmcnt(0)
	v_mul_f32_e32 v118, v113, v194
	v_fmac_f32_e32 v118, v114, v193
	v_add_f32_e32 v121, v117, v118
	ds_read_b128 v[117:120], v84 offset:480
	buffer_load_dword v239, off, s[0:3], 0 offset:316
	buffer_load_dword v240, off, s[0:3], 0 offset:312
	;; [unrolled: 1-line block ×4, first 2 shown]
	v_mul_f32_e32 v86, v86, v163
	v_fma_f32 v85, v85, v174, -v86
	v_mul_f32_e32 v86, v88, v164
	v_add_f32_e32 v85, 0, v85
	v_fma_f32 v86, v87, v175, -v86
	v_add_f32_e32 v85, v85, v86
	v_mul_f32_e32 v86, v90, v165
	v_fma_f32 v86, v89, v176, -v86
	v_add_f32_e32 v85, v85, v86
	v_mul_f32_e32 v86, v92, v166
	;; [unrolled: 3-line block ×5, first 2 shown]
	v_fma_f32 v86, v97, v180, -v86
	s_waitcnt vmcnt(46)
	v_mul_f32_e32 v122, v115, v196
	v_add_f32_e32 v85, v85, v86
	v_mul_f32_e32 v86, v100, v170
	v_fmac_f32_e32 v122, v116, v195
	v_fma_f32 v86, v99, v181, -v86
	v_add_f32_e32 v125, v121, v122
	ds_read_b128 v[121:124], v84 offset:496
	v_add_f32_e32 v85, v85, v86
	v_mul_f32_e32 v86, v102, v171
	s_waitcnt vmcnt(44) lgkmcnt(1)
	v_mul_f32_e32 v126, v117, v198
	v_fma_f32 v86, v101, v182, -v86
	v_fmac_f32_e32 v126, v118, v197
	v_add_f32_e32 v85, v85, v86
	v_mul_f32_e32 v86, v104, v172
	v_add_f32_e32 v125, v125, v126
	s_waitcnt vmcnt(42)
	v_mul_f32_e32 v126, v119, v200
	v_fma_f32 v86, v103, v183, -v86
	v_fmac_f32_e32 v126, v120, v199
	v_add_f32_e32 v85, v85, v86
	v_mul_f32_e32 v86, v106, v173
	v_add_f32_e32 v125, v125, v126
	s_waitcnt vmcnt(40) lgkmcnt(0)
	v_mul_f32_e32 v126, v121, v202
	v_fma_f32 v86, v105, v184, -v86
	v_fmac_f32_e32 v126, v122, v201
	v_add_f32_e32 v85, v85, v86
	v_mul_f32_e32 v86, v108, v185
	v_add_f32_e32 v129, v125, v126
	ds_read_b128 v[125:128], v84 offset:512
	v_fma_f32 v86, v107, v186, -v86
	v_add_f32_e32 v85, v85, v86
	v_mul_f32_e32 v86, v110, v190
	s_waitcnt vmcnt(38)
	v_mul_f32_e32 v130, v123, v204
	v_fma_f32 v86, v109, v189, -v86
	v_fmac_f32_e32 v130, v124, v203
	v_add_f32_e32 v85, v85, v86
	v_mul_f32_e32 v86, v112, v192
	v_add_f32_e32 v133, v129, v130
	ds_read_b128 v[129:132], v84 offset:528
	v_fma_f32 v86, v111, v191, -v86
	s_waitcnt vmcnt(36) lgkmcnt(1)
	v_mul_f32_e32 v134, v125, v206
	v_add_f32_e32 v85, v85, v86
	v_mul_f32_e32 v86, v114, v194
	v_fmac_f32_e32 v134, v126, v205
	v_fma_f32 v86, v113, v193, -v86
	v_add_f32_e32 v133, v133, v134
	s_waitcnt vmcnt(34)
	v_mul_f32_e32 v134, v127, v208
	v_add_f32_e32 v85, v85, v86
	v_mul_f32_e32 v86, v116, v196
	v_fmac_f32_e32 v134, v128, v207
	v_fma_f32 v86, v115, v195, -v86
	v_add_f32_e32 v133, v133, v134
	s_waitcnt vmcnt(32) lgkmcnt(0)
	v_mul_f32_e32 v134, v129, v210
	v_add_f32_e32 v85, v85, v86
	v_mul_f32_e32 v86, v118, v198
	v_fmac_f32_e32 v134, v130, v209
	v_fma_f32 v86, v117, v197, -v86
	v_add_f32_e32 v137, v133, v134
	ds_read_b128 v[133:136], v84 offset:544
	v_add_f32_e32 v85, v85, v86
	v_mul_f32_e32 v86, v120, v200
	v_fma_f32 v86, v119, v199, -v86
	s_waitcnt vmcnt(30)
	v_mul_f32_e32 v138, v131, v212
	v_add_f32_e32 v85, v85, v86
	v_mul_f32_e32 v86, v122, v202
	v_fmac_f32_e32 v138, v132, v211
	v_fma_f32 v86, v121, v201, -v86
	v_add_f32_e32 v141, v137, v138
	ds_read_b128 v[137:140], v84 offset:560
	v_add_f32_e32 v85, v85, v86
	v_mul_f32_e32 v86, v124, v204
	s_waitcnt vmcnt(28) lgkmcnt(1)
	v_mul_f32_e32 v142, v133, v214
	v_fma_f32 v86, v123, v203, -v86
	v_fmac_f32_e32 v142, v134, v213
	v_add_f32_e32 v85, v85, v86
	v_mul_f32_e32 v86, v126, v206
	v_add_f32_e32 v141, v141, v142
	s_waitcnt vmcnt(27)
	v_mul_f32_e32 v142, v135, v215
	v_fma_f32 v86, v125, v205, -v86
	s_waitcnt vmcnt(26)
	v_fmac_f32_e32 v142, v136, v216
	v_add_f32_e32 v85, v85, v86
	v_mul_f32_e32 v86, v128, v208
	v_add_f32_e32 v141, v141, v142
	s_waitcnt vmcnt(24) lgkmcnt(0)
	v_mul_f32_e32 v142, v137, v218
	v_fma_f32 v86, v127, v207, -v86
	v_fmac_f32_e32 v142, v138, v217
	v_add_f32_e32 v85, v85, v86
	v_mul_f32_e32 v86, v130, v210
	v_add_f32_e32 v145, v141, v142
	ds_read_b128 v[141:144], v84 offset:576
	v_fma_f32 v86, v129, v209, -v86
	v_add_f32_e32 v85, v85, v86
	v_mul_f32_e32 v86, v132, v212
	s_waitcnt vmcnt(22)
	v_mul_f32_e32 v146, v139, v220
	v_fma_f32 v86, v131, v211, -v86
	v_fmac_f32_e32 v146, v140, v219
	v_add_f32_e32 v85, v85, v86
	v_mul_f32_e32 v86, v134, v214
	v_add_f32_e32 v149, v145, v146
	ds_read_b128 v[145:148], v84 offset:592
	v_fma_f32 v86, v133, v213, -v86
	s_waitcnt vmcnt(20) lgkmcnt(1)
	v_mul_f32_e32 v150, v141, v222
	v_add_f32_e32 v85, v85, v86
	v_mul_f32_e32 v86, v136, v215
	v_fmac_f32_e32 v150, v142, v221
	v_fma_f32 v86, v135, v216, -v86
	v_add_f32_e32 v149, v149, v150
	s_waitcnt vmcnt(19)
	v_mul_f32_e32 v150, v143, v223
	v_add_f32_e32 v85, v85, v86
	v_mul_f32_e32 v86, v138, v218
	s_waitcnt vmcnt(18)
	v_fmac_f32_e32 v150, v144, v224
	v_fma_f32 v86, v137, v217, -v86
	v_add_f32_e32 v149, v149, v150
	s_waitcnt vmcnt(16) lgkmcnt(0)
	v_mul_f32_e32 v150, v145, v226
	v_add_f32_e32 v85, v85, v86
	v_mul_f32_e32 v86, v140, v220
	v_fmac_f32_e32 v150, v146, v225
	v_fma_f32 v86, v139, v219, -v86
	v_add_f32_e32 v153, v149, v150
	ds_read_b128 v[149:152], v84 offset:608
	v_add_f32_e32 v85, v85, v86
	v_mul_f32_e32 v86, v142, v222
	v_fma_f32 v86, v141, v221, -v86
	s_waitcnt vmcnt(14)
	v_mul_f32_e32 v154, v147, v228
	v_add_f32_e32 v85, v85, v86
	v_mul_f32_e32 v86, v144, v223
	v_fmac_f32_e32 v154, v148, v227
	v_fma_f32 v86, v143, v224, -v86
	v_add_f32_e32 v157, v153, v154
	ds_read_b128 v[153:156], v84 offset:624
	v_add_f32_e32 v85, v85, v86
	v_mul_f32_e32 v86, v146, v226
	s_waitcnt vmcnt(12) lgkmcnt(1)
	v_mul_f32_e32 v158, v149, v230
	v_fma_f32 v86, v145, v225, -v86
	v_fmac_f32_e32 v158, v150, v229
	v_add_f32_e32 v85, v85, v86
	v_mul_f32_e32 v86, v148, v228
	v_add_f32_e32 v157, v157, v158
	s_waitcnt vmcnt(11)
	v_mul_f32_e32 v158, v151, v231
	v_fma_f32 v86, v147, v227, -v86
	s_waitcnt vmcnt(10)
	v_fmac_f32_e32 v158, v152, v232
	v_add_f32_e32 v85, v85, v86
	v_mul_f32_e32 v86, v150, v230
	v_add_f32_e32 v157, v157, v158
	s_waitcnt vmcnt(8) lgkmcnt(0)
	v_mul_f32_e32 v158, v153, v234
	v_fma_f32 v86, v149, v229, -v86
	v_fmac_f32_e32 v158, v154, v233
	v_add_f32_e32 v85, v85, v86
	v_mul_f32_e32 v86, v152, v231
	v_add_f32_e32 v161, v157, v158
	ds_read_b128 v[157:160], v84 offset:640
	v_fma_f32 v86, v151, v232, -v86
	v_add_f32_e32 v85, v85, v86
	v_mul_f32_e32 v86, v154, v234
	s_waitcnt vmcnt(6)
	v_mul_f32_e32 v162, v155, v236
	v_fma_f32 v86, v153, v233, -v86
	v_fmac_f32_e32 v162, v156, v235
	v_add_f32_e32 v85, v85, v86
	v_mul_f32_e32 v86, v156, v236
	v_add_f32_e32 v243, v161, v162
	ds_read_b64 v[161:162], v84 offset:656
	v_fma_f32 v86, v155, v235, -v86
	v_add_f32_e32 v85, v85, v86
	s_waitcnt vmcnt(4) lgkmcnt(1)
	v_mul_f32_e32 v86, v158, v238
	v_mul_f32_e32 v244, v157, v238
	v_fma_f32 v86, v157, v237, -v86
	v_fmac_f32_e32 v244, v158, v237
	v_add_f32_e32 v85, v85, v86
	s_waitcnt vmcnt(3)
	v_mul_f32_e32 v86, v160, v239
	v_add_f32_e32 v243, v243, v244
	v_mul_f32_e32 v244, v159, v239
	s_waitcnt vmcnt(2)
	v_fma_f32 v86, v159, v240, -v86
	v_fmac_f32_e32 v244, v160, v240
	v_add_f32_e32 v85, v85, v86
	s_waitcnt vmcnt(0) lgkmcnt(0)
	v_mul_f32_e32 v86, v162, v242
	v_add_f32_e32 v243, v243, v244
	v_mul_f32_e32 v244, v161, v242
	v_fma_f32 v86, v161, v241, -v86
	v_fmac_f32_e32 v244, v162, v241
	v_add_f32_e32 v85, v85, v86
	v_add_f32_e32 v243, v243, v244
	v_sub_f32_e32 v85, v187, v85
	v_sub_f32_e32 v86, v188, v243
	buffer_store_dword v85, off, s[0:3], 0 offset:8
	buffer_store_dword v86, off, s[0:3], 0 offset:12
	s_and_saveexec_b64 s[4:5], vcc
	s_cbranch_execz .LBB40_259
; %bb.258:
	buffer_load_dword v85, off, s[0:3], 0
	buffer_load_dword v86, off, s[0:3], 0 offset:4
	s_waitcnt vmcnt(0)
	ds_write_b64 v83, v[85:86]
	buffer_store_dword v84, off, s[0:3], 0
	buffer_store_dword v84, off, s[0:3], 0 offset:4
.LBB40_259:
	s_or_b64 exec, exec, s[4:5]
	s_waitcnt lgkmcnt(0)
	; wave barrier
	buffer_load_dword v0, off, s[0:3], 0 offset:12
	buffer_load_dword v83, off, s[0:3], 0 offset:20
	;; [unrolled: 1-line block ×25, first 2 shown]
	buffer_load_dword v188, off, s[0:3], 0
	buffer_load_dword v189, off, s[0:3], 0 offset:4
	buffer_load_dword v190, off, s[0:3], 0 offset:104
	ds_read2_b64 v[85:88], v84 offset0:43 offset1:44
	ds_read2_b64 v[89:92], v84 offset0:45 offset1:46
	;; [unrolled: 1-line block ×4, first 2 shown]
	buffer_load_dword v191, off, s[0:3], 0 offset:112
	buffer_load_dword v192, off, s[0:3], 0 offset:116
	ds_read2_b64 v[101:104], v84 offset0:51 offset1:52
	ds_read2_b64 v[105:108], v84 offset0:53 offset1:54
	buffer_load_dword v193, off, s[0:3], 0 offset:120
	buffer_load_dword v194, off, s[0:3], 0 offset:124
	;; [unrolled: 1-line block ×28, first 2 shown]
	s_and_b64 vcc, exec, s[22:23]
	s_waitcnt vmcnt(57) lgkmcnt(5)
	v_mul_f32_e32 v109, v85, v0
	s_waitcnt vmcnt(56)
	v_mul_f32_e32 v110, v87, v83
	s_waitcnt vmcnt(55) lgkmcnt(4)
	v_mul_f32_e32 v111, v89, v165
	s_waitcnt vmcnt(54)
	v_mul_f32_e32 v112, v91, v166
	;; [unrolled: 4-line block ×5, first 2 shown]
	s_waitcnt vmcnt(47) lgkmcnt(0)
	v_mul_f32_e32 v119, v105, v173
	s_waitcnt vmcnt(46)
	v_fmac_f32_e32 v109, v86, v174
	s_waitcnt vmcnt(45)
	v_fmac_f32_e32 v110, v88, v175
	v_add_f32_e32 v109, 0, v109
	s_waitcnt vmcnt(44)
	v_fmac_f32_e32 v111, v90, v176
	v_add_f32_e32 v109, v109, v110
	;; [unrolled: 3-line block ×10, first 2 shown]
	v_add_f32_e32 v113, v109, v119
	ds_read2_b64 v[109:112], v84 offset0:55 offset1:56
	buffer_load_dword v221, off, s[0:3], 0 offset:232
	buffer_load_dword v222, off, s[0:3], 0 offset:236
	s_waitcnt vmcnt(37)
	v_mul_f32_e32 v114, v107, v185
	s_waitcnt vmcnt(36)
	v_fmac_f32_e32 v114, v108, v186
	v_add_f32_e32 v117, v113, v114
	ds_read2_b64 v[113:116], v84 offset0:57 offset1:58
	buffer_load_dword v223, off, s[0:3], 0 offset:244
	buffer_load_dword v224, off, s[0:3], 0 offset:240
	;; [unrolled: 1-line block ×12, first 2 shown]
	s_waitcnt vmcnt(47) lgkmcnt(1)
	v_mul_f32_e32 v118, v109, v187
	s_waitcnt vmcnt(44)
	v_fmac_f32_e32 v118, v110, v190
	buffer_load_dword v235, off, s[0:3], 0 offset:288
	buffer_load_dword v236, off, s[0:3], 0 offset:292
	v_add_f32_e32 v117, v117, v118
	s_waitcnt vmcnt(44)
	v_mul_f32_e32 v118, v111, v192
	v_fmac_f32_e32 v118, v112, v191
	v_add_f32_e32 v117, v117, v118
	s_waitcnt vmcnt(42) lgkmcnt(0)
	v_mul_f32_e32 v118, v113, v194
	buffer_load_dword v237, off, s[0:3], 0 offset:296
	buffer_load_dword v238, off, s[0:3], 0 offset:300
	v_fmac_f32_e32 v118, v114, v193
	v_add_f32_e32 v117, v117, v118
	s_waitcnt vmcnt(42)
	v_mul_f32_e32 v118, v115, v196
	v_fmac_f32_e32 v118, v116, v195
	v_add_f32_e32 v125, v117, v118
	ds_read2_b64 v[117:120], v84 offset0:59 offset1:60
	buffer_load_dword v239, off, s[0:3], 0 offset:308
	buffer_load_dword v240, off, s[0:3], 0 offset:304
	;; [unrolled: 1-line block ×4, first 2 shown]
	ds_read2_b64 v[121:124], v84 offset0:61 offset1:62
	buffer_load_dword v243, off, s[0:3], 0 offset:320
	buffer_load_dword v244, off, s[0:3], 0 offset:324
	v_mul_f32_e32 v0, v86, v0
	v_fma_f32 v0, v85, v174, -v0
	v_mul_f32_e32 v83, v88, v83
	v_add_f32_e32 v0, 0, v0
	v_fma_f32 v83, v87, v175, -v83
	v_add_f32_e32 v0, v0, v83
	v_mul_f32_e32 v83, v90, v165
	v_fma_f32 v83, v89, v176, -v83
	v_add_f32_e32 v0, v0, v83
	v_mul_f32_e32 v83, v92, v166
	;; [unrolled: 3-line block ×7, first 2 shown]
	s_waitcnt vmcnt(46) lgkmcnt(1)
	v_mul_f32_e32 v126, v117, v198
	v_fma_f32 v83, v101, v182, -v83
	v_fmac_f32_e32 v126, v118, v197
	v_add_f32_e32 v0, v0, v83
	v_mul_f32_e32 v83, v104, v172
	v_add_f32_e32 v125, v125, v126
	s_waitcnt vmcnt(44)
	v_mul_f32_e32 v126, v119, v200
	v_fma_f32 v83, v103, v183, -v83
	v_fmac_f32_e32 v126, v120, v199
	v_add_f32_e32 v0, v0, v83
	v_mul_f32_e32 v83, v106, v173
	v_add_f32_e32 v125, v125, v126
	s_waitcnt vmcnt(42) lgkmcnt(0)
	v_mul_f32_e32 v126, v121, v202
	v_fma_f32 v83, v105, v184, -v83
	v_fmac_f32_e32 v126, v122, v201
	v_add_f32_e32 v0, v0, v83
	v_mul_f32_e32 v83, v108, v185
	v_add_f32_e32 v129, v125, v126
	ds_read2_b64 v[125:128], v84 offset0:63 offset1:64
	v_fma_f32 v83, v107, v186, -v83
	v_add_f32_e32 v0, v0, v83
	v_mul_f32_e32 v83, v110, v187
	s_waitcnt vmcnt(40)
	v_mul_f32_e32 v130, v123, v204
	v_fma_f32 v83, v109, v190, -v83
	v_fmac_f32_e32 v130, v124, v203
	v_add_f32_e32 v0, v0, v83
	v_mul_f32_e32 v83, v112, v192
	v_add_f32_e32 v133, v129, v130
	ds_read2_b64 v[129:132], v84 offset0:65 offset1:66
	v_fma_f32 v83, v111, v191, -v83
	s_waitcnt vmcnt(38) lgkmcnt(1)
	v_mul_f32_e32 v134, v125, v206
	v_add_f32_e32 v0, v0, v83
	v_mul_f32_e32 v83, v114, v194
	v_fmac_f32_e32 v134, v126, v205
	v_fma_f32 v83, v113, v193, -v83
	v_add_f32_e32 v133, v133, v134
	s_waitcnt vmcnt(36)
	v_mul_f32_e32 v134, v127, v208
	v_add_f32_e32 v0, v0, v83
	v_mul_f32_e32 v83, v116, v196
	v_fmac_f32_e32 v134, v128, v207
	v_fma_f32 v83, v115, v195, -v83
	v_add_f32_e32 v133, v133, v134
	s_waitcnt vmcnt(34) lgkmcnt(0)
	v_mul_f32_e32 v134, v129, v210
	v_add_f32_e32 v0, v0, v83
	v_mul_f32_e32 v83, v118, v198
	v_fmac_f32_e32 v134, v130, v209
	v_fma_f32 v83, v117, v197, -v83
	v_add_f32_e32 v137, v133, v134
	ds_read2_b64 v[133:136], v84 offset0:67 offset1:68
	v_add_f32_e32 v0, v0, v83
	v_mul_f32_e32 v83, v120, v200
	v_fma_f32 v83, v119, v199, -v83
	s_waitcnt vmcnt(32)
	v_mul_f32_e32 v138, v131, v212
	v_add_f32_e32 v0, v0, v83
	v_mul_f32_e32 v83, v122, v202
	v_fmac_f32_e32 v138, v132, v211
	v_fma_f32 v83, v121, v201, -v83
	v_add_f32_e32 v141, v137, v138
	ds_read2_b64 v[137:140], v84 offset0:69 offset1:70
	v_add_f32_e32 v0, v0, v83
	v_mul_f32_e32 v83, v124, v204
	s_waitcnt vmcnt(30) lgkmcnt(1)
	v_mul_f32_e32 v142, v133, v214
	v_fma_f32 v83, v123, v203, -v83
	v_fmac_f32_e32 v142, v134, v213
	v_add_f32_e32 v0, v0, v83
	v_mul_f32_e32 v83, v126, v206
	v_add_f32_e32 v141, v141, v142
	s_waitcnt vmcnt(29)
	v_mul_f32_e32 v142, v135, v215
	v_fma_f32 v83, v125, v205, -v83
	s_waitcnt vmcnt(28)
	v_fmac_f32_e32 v142, v136, v216
	v_add_f32_e32 v0, v0, v83
	v_mul_f32_e32 v83, v128, v208
	v_add_f32_e32 v141, v141, v142
	s_waitcnt vmcnt(26) lgkmcnt(0)
	v_mul_f32_e32 v142, v137, v218
	v_fma_f32 v83, v127, v207, -v83
	v_fmac_f32_e32 v142, v138, v217
	v_add_f32_e32 v0, v0, v83
	v_mul_f32_e32 v83, v130, v210
	v_add_f32_e32 v145, v141, v142
	ds_read2_b64 v[141:144], v84 offset0:71 offset1:72
	v_fma_f32 v83, v129, v209, -v83
	v_add_f32_e32 v0, v0, v83
	v_mul_f32_e32 v83, v132, v212
	s_waitcnt vmcnt(24)
	v_mul_f32_e32 v146, v139, v220
	v_fma_f32 v83, v131, v211, -v83
	v_fmac_f32_e32 v146, v140, v219
	v_add_f32_e32 v0, v0, v83
	v_mul_f32_e32 v83, v134, v214
	v_add_f32_e32 v149, v145, v146
	ds_read2_b64 v[145:148], v84 offset0:73 offset1:74
	v_fma_f32 v83, v133, v213, -v83
	s_waitcnt vmcnt(22) lgkmcnt(1)
	v_mul_f32_e32 v150, v141, v222
	v_add_f32_e32 v0, v0, v83
	v_mul_f32_e32 v83, v136, v215
	v_fmac_f32_e32 v150, v142, v221
	v_fma_f32 v83, v135, v216, -v83
	v_add_f32_e32 v149, v149, v150
	s_waitcnt vmcnt(21)
	v_mul_f32_e32 v150, v143, v223
	v_add_f32_e32 v0, v0, v83
	v_mul_f32_e32 v83, v138, v218
	s_waitcnt vmcnt(20)
	v_fmac_f32_e32 v150, v144, v224
	v_fma_f32 v83, v137, v217, -v83
	v_add_f32_e32 v149, v149, v150
	s_waitcnt vmcnt(18) lgkmcnt(0)
	v_mul_f32_e32 v150, v145, v226
	v_add_f32_e32 v0, v0, v83
	v_mul_f32_e32 v83, v140, v220
	v_fmac_f32_e32 v150, v146, v225
	v_fma_f32 v83, v139, v219, -v83
	v_add_f32_e32 v153, v149, v150
	ds_read2_b64 v[149:152], v84 offset0:75 offset1:76
	v_add_f32_e32 v0, v0, v83
	v_mul_f32_e32 v83, v142, v222
	v_fma_f32 v83, v141, v221, -v83
	s_waitcnt vmcnt(16)
	v_mul_f32_e32 v154, v147, v228
	v_add_f32_e32 v0, v0, v83
	v_mul_f32_e32 v83, v144, v223
	v_fmac_f32_e32 v154, v148, v227
	v_fma_f32 v83, v143, v224, -v83
	v_add_f32_e32 v157, v153, v154
	ds_read2_b64 v[153:156], v84 offset0:77 offset1:78
	v_add_f32_e32 v0, v0, v83
	v_mul_f32_e32 v83, v146, v226
	s_waitcnt vmcnt(14) lgkmcnt(1)
	v_mul_f32_e32 v158, v149, v230
	v_fma_f32 v83, v145, v225, -v83
	v_fmac_f32_e32 v158, v150, v229
	v_add_f32_e32 v0, v0, v83
	v_mul_f32_e32 v83, v148, v228
	v_add_f32_e32 v157, v157, v158
	s_waitcnt vmcnt(13)
	v_mul_f32_e32 v158, v151, v231
	v_fma_f32 v83, v147, v227, -v83
	s_waitcnt vmcnt(12)
	v_fmac_f32_e32 v158, v152, v232
	v_add_f32_e32 v0, v0, v83
	v_mul_f32_e32 v83, v150, v230
	v_add_f32_e32 v157, v157, v158
	s_waitcnt vmcnt(10) lgkmcnt(0)
	v_mul_f32_e32 v158, v153, v234
	v_fma_f32 v83, v149, v229, -v83
	v_fmac_f32_e32 v158, v154, v233
	v_add_f32_e32 v0, v0, v83
	v_mul_f32_e32 v83, v152, v231
	v_add_f32_e32 v161, v157, v158
	ds_read2_b64 v[157:160], v84 offset0:79 offset1:80
	v_fma_f32 v83, v151, v232, -v83
	v_add_f32_e32 v0, v0, v83
	v_mul_f32_e32 v83, v154, v234
	s_waitcnt vmcnt(8)
	v_mul_f32_e32 v162, v155, v236
	v_fma_f32 v83, v153, v233, -v83
	v_fmac_f32_e32 v162, v156, v235
	v_add_f32_e32 v0, v0, v83
	v_mul_f32_e32 v83, v156, v236
	v_add_f32_e32 v245, v161, v162
	ds_read2_b64 v[161:164], v84 offset0:81 offset1:82
	v_fma_f32 v83, v155, v235, -v83
	v_add_f32_e32 v0, v0, v83
	s_waitcnt vmcnt(6) lgkmcnt(1)
	v_mul_f32_e32 v83, v158, v238
	v_mul_f32_e32 v84, v157, v238
	v_fma_f32 v83, v157, v237, -v83
	v_fmac_f32_e32 v84, v158, v237
	v_add_f32_e32 v0, v0, v83
	s_waitcnt vmcnt(5)
	v_mul_f32_e32 v83, v160, v239
	v_add_f32_e32 v84, v245, v84
	v_mul_f32_e32 v245, v159, v239
	s_waitcnt vmcnt(4)
	v_fma_f32 v83, v159, v240, -v83
	v_fmac_f32_e32 v245, v160, v240
	v_add_f32_e32 v0, v0, v83
	s_waitcnt vmcnt(2) lgkmcnt(0)
	v_mul_f32_e32 v83, v162, v242
	v_add_f32_e32 v84, v84, v245
	v_mul_f32_e32 v245, v161, v242
	v_fma_f32 v83, v161, v241, -v83
	v_fmac_f32_e32 v245, v162, v241
	v_add_f32_e32 v0, v0, v83
	s_waitcnt vmcnt(0)
	v_mul_f32_e32 v83, v164, v244
	v_add_f32_e32 v84, v84, v245
	v_mul_f32_e32 v245, v163, v244
	v_fma_f32 v83, v163, v243, -v83
	v_fmac_f32_e32 v245, v164, v243
	v_add_f32_e32 v0, v0, v83
	v_add_f32_e32 v84, v84, v245
	v_sub_f32_e32 v0, v188, v0
	v_sub_f32_e32 v83, v189, v84
	buffer_store_dword v0, off, s[0:3], 0
	buffer_store_dword v83, off, s[0:3], 0 offset:4
	s_cbranch_vccz .LBB40_340
; %bb.260:
	v_mov_b32_e32 v0, 0
	global_load_dword v83, v0, s[20:21] offset:156
	s_waitcnt vmcnt(0)
	v_add_u32_e32 v83, -1, v83
	v_cmp_ne_u32_e32 vcc, 39, v83
	s_cbranch_vccz .LBB40_262
; %bb.261:
	v_lshlrev_b32_e32 v83, 3, v83
	buffer_load_dword v84, v83, s[0:3], 0 offen
	buffer_load_dword v85, v83, s[0:3], 0 offen offset:4
	buffer_load_dword v86, off, s[0:3], 0 offset:312
	buffer_load_dword v87, off, s[0:3], 0 offset:316
	s_waitcnt vmcnt(3)
	buffer_store_dword v84, off, s[0:3], 0 offset:312
	s_waitcnt vmcnt(3)
	buffer_store_dword v85, off, s[0:3], 0 offset:316
	s_waitcnt vmcnt(3)
	buffer_store_dword v86, v83, s[0:3], 0 offen
	s_waitcnt vmcnt(3)
	buffer_store_dword v87, v83, s[0:3], 0 offen offset:4
.LBB40_262:
	global_load_dword v0, v0, s[20:21] offset:152
	s_waitcnt vmcnt(0)
	v_add_u32_e32 v0, -1, v0
	v_cmp_eq_u32_e32 vcc, 38, v0
	s_cbranch_vccnz .LBB40_264
; %bb.263:
	v_lshlrev_b32_e32 v0, 3, v0
	buffer_load_dword v83, v0, s[0:3], 0 offen
	buffer_load_dword v84, v0, s[0:3], 0 offen offset:4
	buffer_load_dword v85, off, s[0:3], 0 offset:308
	buffer_load_dword v86, off, s[0:3], 0 offset:304
	s_waitcnt vmcnt(3)
	buffer_store_dword v83, off, s[0:3], 0 offset:304
	s_waitcnt vmcnt(3)
	buffer_store_dword v84, off, s[0:3], 0 offset:308
	s_waitcnt vmcnt(3)
	buffer_store_dword v85, v0, s[0:3], 0 offen offset:4
	s_waitcnt vmcnt(3)
	buffer_store_dword v86, v0, s[0:3], 0 offen
.LBB40_264:
	v_mov_b32_e32 v0, 0
	global_load_dword v83, v0, s[20:21] offset:148
	s_waitcnt vmcnt(0)
	v_add_u32_e32 v83, -1, v83
	v_cmp_eq_u32_e32 vcc, 37, v83
	s_cbranch_vccnz .LBB40_266
; %bb.265:
	v_lshlrev_b32_e32 v83, 3, v83
	buffer_load_dword v84, v83, s[0:3], 0 offen
	buffer_load_dword v85, v83, s[0:3], 0 offen offset:4
	buffer_load_dword v86, off, s[0:3], 0 offset:296
	buffer_load_dword v87, off, s[0:3], 0 offset:300
	s_waitcnt vmcnt(3)
	buffer_store_dword v84, off, s[0:3], 0 offset:296
	s_waitcnt vmcnt(3)
	buffer_store_dword v85, off, s[0:3], 0 offset:300
	s_waitcnt vmcnt(3)
	buffer_store_dword v86, v83, s[0:3], 0 offen
	s_waitcnt vmcnt(3)
	buffer_store_dword v87, v83, s[0:3], 0 offen offset:4
.LBB40_266:
	global_load_dword v0, v0, s[20:21] offset:144
	s_waitcnt vmcnt(0)
	v_add_u32_e32 v0, -1, v0
	v_cmp_eq_u32_e32 vcc, 36, v0
	s_cbranch_vccnz .LBB40_268
; %bb.267:
	v_lshlrev_b32_e32 v0, 3, v0
	buffer_load_dword v83, v0, s[0:3], 0 offen
	buffer_load_dword v84, v0, s[0:3], 0 offen offset:4
	buffer_load_dword v85, off, s[0:3], 0 offset:292
	buffer_load_dword v86, off, s[0:3], 0 offset:288
	s_waitcnt vmcnt(3)
	buffer_store_dword v83, off, s[0:3], 0 offset:288
	s_waitcnt vmcnt(3)
	buffer_store_dword v84, off, s[0:3], 0 offset:292
	s_waitcnt vmcnt(3)
	buffer_store_dword v85, v0, s[0:3], 0 offen offset:4
	s_waitcnt vmcnt(3)
	buffer_store_dword v86, v0, s[0:3], 0 offen
.LBB40_268:
	v_mov_b32_e32 v0, 0
	global_load_dword v83, v0, s[20:21] offset:140
	s_waitcnt vmcnt(0)
	v_add_u32_e32 v83, -1, v83
	v_cmp_eq_u32_e32 vcc, 35, v83
	s_cbranch_vccnz .LBB40_270
; %bb.269:
	v_lshlrev_b32_e32 v83, 3, v83
	buffer_load_dword v84, v83, s[0:3], 0 offen
	buffer_load_dword v85, v83, s[0:3], 0 offen offset:4
	buffer_load_dword v86, off, s[0:3], 0 offset:280
	buffer_load_dword v87, off, s[0:3], 0 offset:284
	s_waitcnt vmcnt(3)
	buffer_store_dword v84, off, s[0:3], 0 offset:280
	s_waitcnt vmcnt(3)
	buffer_store_dword v85, off, s[0:3], 0 offset:284
	s_waitcnt vmcnt(3)
	buffer_store_dword v86, v83, s[0:3], 0 offen
	s_waitcnt vmcnt(3)
	buffer_store_dword v87, v83, s[0:3], 0 offen offset:4
.LBB40_270:
	;; [unrolled: 41-line block ×19, first 2 shown]
	global_load_dword v0, v0, s[20:21]
	s_waitcnt vmcnt(0)
	v_add_u32_e32 v0, -1, v0
	v_cmp_eq_u32_e32 vcc, 0, v0
	s_cbranch_vccnz .LBB40_340
; %bb.339:
	v_lshlrev_b32_e32 v0, 3, v0
	buffer_load_dword v83, v0, s[0:3], 0 offen
	buffer_load_dword v84, v0, s[0:3], 0 offen offset:4
	buffer_load_dword v85, off, s[0:3], 0 offset:4
	buffer_load_dword v86, off, s[0:3], 0
	s_waitcnt vmcnt(3)
	buffer_store_dword v83, off, s[0:3], 0
	s_waitcnt vmcnt(3)
	buffer_store_dword v84, off, s[0:3], 0 offset:4
	s_waitcnt vmcnt(3)
	buffer_store_dword v85, v0, s[0:3], 0 offen offset:4
	s_waitcnt vmcnt(3)
	buffer_store_dword v86, v0, s[0:3], 0 offen
.LBB40_340:
	buffer_load_dword v83, off, s[0:3], 0
	buffer_load_dword v84, off, s[0:3], 0 offset:4
	buffer_load_dword v85, off, s[0:3], 0 offset:8
	s_nop 0
	buffer_load_dword v86, off, s[0:3], 0 offset:12
	buffer_load_dword v87, off, s[0:3], 0 offset:16
	;; [unrolled: 1-line block ×79, first 2 shown]
	s_waitcnt vmcnt(62)
	global_store_dwordx2 v[71:72], v[83:84], off
	global_store_dwordx2 v[73:74], v[85:86], off
	;; [unrolled: 1-line block ×8, first 2 shown]
	s_waitcnt vmcnt(62)
	global_store_dwordx2 v[13:14], v[99:100], off
	global_store_dwordx2 v[15:16], v[101:102], off
	;; [unrolled: 1-line block ×6, first 2 shown]
	s_waitcnt vmcnt(62)
	global_store_dwordx2 v[25:26], v[111:112], off
	global_store_dwordx2 v[27:28], v[113:114], off
	;; [unrolled: 1-line block ×3, first 2 shown]
	s_waitcnt vmcnt(62)
	global_store_dwordx2 v[31:32], v[117:118], off
	s_waitcnt vmcnt(62)
	global_store_dwordx2 v[33:34], v[119:120], off
	s_waitcnt vmcnt(61)
	global_store_dwordx2 v[35:36], v[121:122], off
	s_waitcnt vmcnt(60)
	global_store_dwordx2 v[37:38], v[123:124], off
	s_waitcnt vmcnt(59)
	global_store_dwordx2 v[39:40], v[125:126], off
	s_waitcnt vmcnt(58)
	global_store_dwordx2 v[41:42], v[127:128], off
	s_waitcnt vmcnt(57)
	global_store_dwordx2 v[43:44], v[129:130], off
	s_waitcnt vmcnt(56)
	global_store_dwordx2 v[45:46], v[131:132], off
	s_waitcnt vmcnt(55)
	global_store_dwordx2 v[47:48], v[133:134], off
	s_waitcnt vmcnt(54)
	global_store_dwordx2 v[49:50], v[135:136], off
	s_waitcnt vmcnt(53)
	global_store_dwordx2 v[51:52], v[137:138], off
	s_waitcnt vmcnt(52)
	global_store_dwordx2 v[53:54], v[139:140], off
	s_waitcnt vmcnt(51)
	global_store_dwordx2 v[55:56], v[141:142], off
	s_waitcnt vmcnt(50)
	global_store_dwordx2 v[57:58], v[143:144], off
	s_waitcnt vmcnt(49)
	global_store_dwordx2 v[59:60], v[145:146], off
	s_waitcnt vmcnt(48)
	global_store_dwordx2 v[61:62], v[147:148], off
	s_waitcnt vmcnt(47)
	global_store_dwordx2 v[63:64], v[149:150], off
	s_waitcnt vmcnt(46)
	global_store_dwordx2 v[65:66], v[151:152], off
	s_waitcnt vmcnt(45)
	global_store_dwordx2 v[67:68], v[153:154], off
	s_waitcnt vmcnt(44)
	global_store_dwordx2 v[69:70], v[155:156], off
	s_waitcnt vmcnt(43)
	global_store_dwordx2 v[75:76], v[157:158], off
	s_waitcnt vmcnt(42)
	global_store_dwordx2 v[77:78], v[159:160], off
	s_waitcnt vmcnt(41)
	global_store_dwordx2 v[79:80], v[161:162], off
	s_waitcnt vmcnt(40)
	global_store_dwordx2 v[81:82], v[163:164], off
	s_endpgm
	.section	.rodata,"a",@progbits
	.p2align	6, 0x0
	.amdhsa_kernel _ZN9rocsolver6v33100L18getri_kernel_smallILi41E19rocblas_complex_numIfEPS3_EEvT1_iilPiilS6_bb
		.amdhsa_group_segment_fixed_size 664
		.amdhsa_private_segment_fixed_size 336
		.amdhsa_kernarg_size 60
		.amdhsa_user_sgpr_count 6
		.amdhsa_user_sgpr_private_segment_buffer 1
		.amdhsa_user_sgpr_dispatch_ptr 0
		.amdhsa_user_sgpr_queue_ptr 0
		.amdhsa_user_sgpr_kernarg_segment_ptr 1
		.amdhsa_user_sgpr_dispatch_id 0
		.amdhsa_user_sgpr_flat_scratch_init 0
		.amdhsa_user_sgpr_private_segment_size 0
		.amdhsa_uses_dynamic_stack 0
		.amdhsa_system_sgpr_private_segment_wavefront_offset 1
		.amdhsa_system_sgpr_workgroup_id_x 1
		.amdhsa_system_sgpr_workgroup_id_y 0
		.amdhsa_system_sgpr_workgroup_id_z 0
		.amdhsa_system_sgpr_workgroup_info 0
		.amdhsa_system_vgpr_workitem_id 0
		.amdhsa_next_free_vgpr 246
		.amdhsa_next_free_sgpr 24
		.amdhsa_reserve_vcc 1
		.amdhsa_reserve_flat_scratch 0
		.amdhsa_float_round_mode_32 0
		.amdhsa_float_round_mode_16_64 0
		.amdhsa_float_denorm_mode_32 3
		.amdhsa_float_denorm_mode_16_64 3
		.amdhsa_dx10_clamp 1
		.amdhsa_ieee_mode 1
		.amdhsa_fp16_overflow 0
		.amdhsa_exception_fp_ieee_invalid_op 0
		.amdhsa_exception_fp_denorm_src 0
		.amdhsa_exception_fp_ieee_div_zero 0
		.amdhsa_exception_fp_ieee_overflow 0
		.amdhsa_exception_fp_ieee_underflow 0
		.amdhsa_exception_fp_ieee_inexact 0
		.amdhsa_exception_int_div_zero 0
	.end_amdhsa_kernel
	.section	.text._ZN9rocsolver6v33100L18getri_kernel_smallILi41E19rocblas_complex_numIfEPS3_EEvT1_iilPiilS6_bb,"axG",@progbits,_ZN9rocsolver6v33100L18getri_kernel_smallILi41E19rocblas_complex_numIfEPS3_EEvT1_iilPiilS6_bb,comdat
.Lfunc_end40:
	.size	_ZN9rocsolver6v33100L18getri_kernel_smallILi41E19rocblas_complex_numIfEPS3_EEvT1_iilPiilS6_bb, .Lfunc_end40-_ZN9rocsolver6v33100L18getri_kernel_smallILi41E19rocblas_complex_numIfEPS3_EEvT1_iilPiilS6_bb
                                        ; -- End function
	.set _ZN9rocsolver6v33100L18getri_kernel_smallILi41E19rocblas_complex_numIfEPS3_EEvT1_iilPiilS6_bb.num_vgpr, 246
	.set _ZN9rocsolver6v33100L18getri_kernel_smallILi41E19rocblas_complex_numIfEPS3_EEvT1_iilPiilS6_bb.num_agpr, 0
	.set _ZN9rocsolver6v33100L18getri_kernel_smallILi41E19rocblas_complex_numIfEPS3_EEvT1_iilPiilS6_bb.numbered_sgpr, 24
	.set _ZN9rocsolver6v33100L18getri_kernel_smallILi41E19rocblas_complex_numIfEPS3_EEvT1_iilPiilS6_bb.num_named_barrier, 0
	.set _ZN9rocsolver6v33100L18getri_kernel_smallILi41E19rocblas_complex_numIfEPS3_EEvT1_iilPiilS6_bb.private_seg_size, 336
	.set _ZN9rocsolver6v33100L18getri_kernel_smallILi41E19rocblas_complex_numIfEPS3_EEvT1_iilPiilS6_bb.uses_vcc, 1
	.set _ZN9rocsolver6v33100L18getri_kernel_smallILi41E19rocblas_complex_numIfEPS3_EEvT1_iilPiilS6_bb.uses_flat_scratch, 0
	.set _ZN9rocsolver6v33100L18getri_kernel_smallILi41E19rocblas_complex_numIfEPS3_EEvT1_iilPiilS6_bb.has_dyn_sized_stack, 0
	.set _ZN9rocsolver6v33100L18getri_kernel_smallILi41E19rocblas_complex_numIfEPS3_EEvT1_iilPiilS6_bb.has_recursion, 0
	.set _ZN9rocsolver6v33100L18getri_kernel_smallILi41E19rocblas_complex_numIfEPS3_EEvT1_iilPiilS6_bb.has_indirect_call, 0
	.section	.AMDGPU.csdata,"",@progbits
; Kernel info:
; codeLenInByte = 66624
; TotalNumSgprs: 28
; NumVgprs: 246
; ScratchSize: 336
; MemoryBound: 0
; FloatMode: 240
; IeeeMode: 1
; LDSByteSize: 664 bytes/workgroup (compile time only)
; SGPRBlocks: 3
; VGPRBlocks: 61
; NumSGPRsForWavesPerEU: 28
; NumVGPRsForWavesPerEU: 246
; Occupancy: 1
; WaveLimiterHint : 1
; COMPUTE_PGM_RSRC2:SCRATCH_EN: 1
; COMPUTE_PGM_RSRC2:USER_SGPR: 6
; COMPUTE_PGM_RSRC2:TRAP_HANDLER: 0
; COMPUTE_PGM_RSRC2:TGID_X_EN: 1
; COMPUTE_PGM_RSRC2:TGID_Y_EN: 0
; COMPUTE_PGM_RSRC2:TGID_Z_EN: 0
; COMPUTE_PGM_RSRC2:TIDIG_COMP_CNT: 0
	.section	.text._ZN9rocsolver6v33100L18getri_kernel_smallILi42E19rocblas_complex_numIfEPS3_EEvT1_iilPiilS6_bb,"axG",@progbits,_ZN9rocsolver6v33100L18getri_kernel_smallILi42E19rocblas_complex_numIfEPS3_EEvT1_iilPiilS6_bb,comdat
	.globl	_ZN9rocsolver6v33100L18getri_kernel_smallILi42E19rocblas_complex_numIfEPS3_EEvT1_iilPiilS6_bb ; -- Begin function _ZN9rocsolver6v33100L18getri_kernel_smallILi42E19rocblas_complex_numIfEPS3_EEvT1_iilPiilS6_bb
	.p2align	8
	.type	_ZN9rocsolver6v33100L18getri_kernel_smallILi42E19rocblas_complex_numIfEPS3_EEvT1_iilPiilS6_bb,@function
_ZN9rocsolver6v33100L18getri_kernel_smallILi42E19rocblas_complex_numIfEPS3_EEvT1_iilPiilS6_bb: ; @_ZN9rocsolver6v33100L18getri_kernel_smallILi42E19rocblas_complex_numIfEPS3_EEvT1_iilPiilS6_bb
; %bb.0:
	s_add_u32 s0, s0, s7
	s_addc_u32 s1, s1, 0
	v_cmp_gt_u32_e32 vcc, 42, v0
	s_and_saveexec_b64 s[8:9], vcc
	s_cbranch_execz .LBB41_182
; %bb.1:
	s_load_dword s12, s[4:5], 0x38
	s_load_dwordx4 s[16:19], s[4:5], 0x10
	s_load_dwordx4 s[8:11], s[4:5], 0x28
                                        ; implicit-def: $sgpr20_sgpr21
	s_waitcnt lgkmcnt(0)
	s_bitcmp1_b32 s12, 8
	s_cselect_b64 s[22:23], -1, 0
	s_ashr_i32 s7, s6, 31
	s_bfe_u32 s12, s12, 0x10008
	s_cmp_eq_u32 s12, 0
	s_cbranch_scc1 .LBB41_3
; %bb.2:
	s_load_dword s12, s[4:5], 0x20
	s_mul_i32 s13, s8, s7
	s_mul_hi_u32 s14, s8, s6
	s_mul_i32 s9, s9, s6
	s_add_i32 s14, s14, s13
	s_add_i32 s9, s14, s9
	s_mul_i32 s8, s8, s6
	s_waitcnt lgkmcnt(0)
	s_ashr_i32 s13, s12, 31
	s_lshl_b64 s[8:9], s[8:9], 2
	s_add_u32 s14, s18, s8
	s_addc_u32 s15, s19, s9
	s_lshl_b64 s[8:9], s[12:13], 2
	s_add_u32 s20, s14, s8
	s_addc_u32 s21, s15, s9
.LBB41_3:
	s_load_dwordx4 s[12:15], s[4:5], 0x0
	s_load_dword s8, s[4:5], 0x38
	s_mul_i32 s9, s16, s7
	s_mul_hi_u32 s18, s16, s6
	s_add_i32 s9, s18, s9
	s_waitcnt lgkmcnt(0)
	s_ashr_i32 s5, s14, 31
	s_mov_b32 s4, s14
	s_mul_i32 s14, s17, s6
	s_add_i32 s17, s9, s14
	s_mul_i32 s16, s16, s6
	s_lshl_b64 s[16:17], s[16:17], 3
	s_add_u32 s9, s12, s16
	s_addc_u32 s12, s13, s17
	s_lshl_b64 s[4:5], s[4:5], 3
	s_add_u32 s4, s9, s4
	s_addc_u32 s5, s12, s5
	s_add_i32 s9, s15, s15
	v_add_u32_e32 v3, s9, v0
	v_ashrrev_i32_e32 v4, 31, v3
	v_lshlrev_b64 v[1:2], 3, v[3:4]
	v_add_u32_e32 v5, s15, v3
	v_mov_b32_e32 v4, s5
	v_add_co_u32_e32 v1, vcc, s4, v1
	v_ashrrev_i32_e32 v6, 31, v5
	v_addc_co_u32_e32 v2, vcc, v4, v2, vcc
	v_lshlrev_b64 v[3:4], 3, v[5:6]
	v_add_u32_e32 v7, s15, v5
	v_mov_b32_e32 v6, s5
	v_add_co_u32_e32 v3, vcc, s4, v3
	v_ashrrev_i32_e32 v8, 31, v7
	v_addc_co_u32_e32 v4, vcc, v6, v4, vcc
	;; [unrolled: 6-line block ×8, first 2 shown]
	v_lshlrev_b64 v[17:18], 3, v[19:20]
	v_mov_b32_e32 v21, s5
	v_add_co_u32_e32 v17, vcc, s4, v17
	v_addc_co_u32_e32 v18, vcc, v21, v18, vcc
	v_add_u32_e32 v21, s15, v19
	v_ashrrev_i32_e32 v22, 31, v21
	v_lshlrev_b64 v[19:20], 3, v[21:22]
	v_mov_b32_e32 v23, s5
	v_add_co_u32_e32 v19, vcc, s4, v19
	v_addc_co_u32_e32 v20, vcc, v23, v20, vcc
	v_add_u32_e32 v23, s15, v21
	v_ashrrev_i32_e32 v24, 31, v23
	;; [unrolled: 6-line block ×26, first 2 shown]
	v_lshlrev_b64 v[69:70], 3, v[71:72]
	v_mov_b32_e32 v73, s5
	v_add_co_u32_e32 v69, vcc, s4, v69
	v_addc_co_u32_e32 v70, vcc, v73, v70, vcc
	v_lshlrev_b32_e32 v87, 3, v0
	v_add_u32_e32 v77, s15, v71
	v_mov_b32_e32 v71, s5
	v_add_co_u32_e32 v73, vcc, s4, v87
	s_ashr_i32 s13, s15, 31
	s_mov_b32 s12, s15
	v_addc_co_u32_e32 v74, vcc, 0, v71, vcc
	s_lshl_b64 s[12:13], s[12:13], 3
	v_ashrrev_i32_e32 v78, 31, v77
	v_mov_b32_e32 v71, s13
	v_add_co_u32_e32 v75, vcc, s12, v73
	v_addc_co_u32_e32 v76, vcc, v74, v71, vcc
	v_lshlrev_b64 v[71:72], 3, v[77:78]
	v_mov_b32_e32 v79, s5
	v_add_co_u32_e32 v71, vcc, s4, v71
	v_addc_co_u32_e32 v72, vcc, v79, v72, vcc
	v_add_u32_e32 v79, s15, v77
	v_ashrrev_i32_e32 v80, 31, v79
	v_lshlrev_b64 v[77:78], 3, v[79:80]
	v_mov_b32_e32 v81, s5
	v_add_co_u32_e32 v77, vcc, s4, v77
	v_addc_co_u32_e32 v78, vcc, v81, v78, vcc
	v_add_u32_e32 v81, s15, v79
	v_ashrrev_i32_e32 v82, 31, v81
	;; [unrolled: 6-line block ×3, first 2 shown]
	global_load_dwordx2 v[85:86], v87, s[4:5]
	global_load_dwordx2 v[88:89], v[75:76], off
	v_lshlrev_b64 v[81:82], 3, v[83:84]
	v_mov_b32_e32 v146, s5
	v_add_co_u32_e32 v81, vcc, s4, v81
	global_load_dwordx2 v[90:91], v[1:2], off
	global_load_dwordx2 v[92:93], v[3:4], off
	;; [unrolled: 1-line block ×28, first 2 shown]
	v_addc_co_u32_e32 v82, vcc, v146, v82, vcc
	global_load_dwordx2 v[146:147], v[57:58], off
	global_load_dwordx2 v[148:149], v[59:60], off
	;; [unrolled: 1-line block ×8, first 2 shown]
	v_add_u32_e32 v83, s15, v83
	v_ashrrev_i32_e32 v84, 31, v83
	v_lshlrev_b64 v[83:84], 3, v[83:84]
	v_mov_b32_e32 v162, s5
	v_add_co_u32_e32 v83, vcc, s4, v83
	v_addc_co_u32_e32 v84, vcc, v162, v84, vcc
	global_load_dwordx2 v[162:163], v[77:78], off
	global_load_dwordx2 v[164:165], v[79:80], off
	;; [unrolled: 1-line block ×3, first 2 shown]
	s_bitcmp0_b32 s8, 0
	s_mov_b64 s[8:9], -1
	s_waitcnt vmcnt(40)
	buffer_store_dword v86, off, s[0:3], 0 offset:4
	buffer_store_dword v85, off, s[0:3], 0
	global_load_dwordx2 v[85:86], v[81:82], off
	s_waitcnt vmcnt(42)
	buffer_store_dword v89, off, s[0:3], 0 offset:12
	buffer_store_dword v88, off, s[0:3], 0 offset:8
	s_waitcnt vmcnt(43)
	buffer_store_dword v91, off, s[0:3], 0 offset:20
	buffer_store_dword v90, off, s[0:3], 0 offset:16
	;; [unrolled: 3-line block ×22, first 2 shown]
	buffer_store_dword v132, off, s[0:3], 0 offset:184
	buffer_store_dword v133, off, s[0:3], 0 offset:188
	s_waitcnt vmcnt(62)
	buffer_store_dword v134, off, s[0:3], 0 offset:192
	buffer_store_dword v135, off, s[0:3], 0 offset:196
	;; [unrolled: 1-line block ×8, first 2 shown]
	s_waitcnt vmcnt(62)
	buffer_store_dword v142, off, s[0:3], 0 offset:224
	buffer_store_dword v143, off, s[0:3], 0 offset:228
	;; [unrolled: 1-line block ×16, first 2 shown]
	s_waitcnt vmcnt(62)
	buffer_store_dword v158, off, s[0:3], 0 offset:288
	buffer_store_dword v159, off, s[0:3], 0 offset:292
	;; [unrolled: 1-line block ×12, first 2 shown]
	s_cbranch_scc1 .LBB41_180
; %bb.4:
	v_cmp_eq_u32_e64 s[4:5], 0, v0
	s_and_saveexec_b64 s[8:9], s[4:5]
; %bb.5:
	v_mov_b32_e32 v85, 0
	ds_write_b32 v85, v85 offset:672
; %bb.6:
	s_or_b64 exec, exec, s[8:9]
	v_mov_b32_e32 v85, 0
	v_lshl_add_u32 v89, v0, 3, v85
	s_waitcnt lgkmcnt(0)
	; wave barrier
	buffer_load_dword v85, v89, s[0:3], 0 offen
	buffer_load_dword v86, v89, s[0:3], 0 offen offset:4
	s_waitcnt vmcnt(1)
	v_cmp_eq_f32_e32 vcc, 0, v85
	s_waitcnt vmcnt(0)
	v_cmp_eq_f32_e64 s[8:9], 0, v86
	s_and_b64 s[8:9], vcc, s[8:9]
	s_and_saveexec_b64 s[12:13], s[8:9]
	s_cbranch_execz .LBB41_10
; %bb.7:
	v_mov_b32_e32 v85, 0
	ds_read_b32 v88, v85 offset:672
	v_add_u32_e32 v86, 1, v0
	s_waitcnt lgkmcnt(0)
	v_readfirstlane_b32 s8, v88
	s_cmp_eq_u32 s8, 0
	s_cselect_b64 s[14:15], -1, 0
	v_cmp_gt_i32_e32 vcc, s8, v86
	s_or_b64 s[14:15], s[14:15], vcc
	s_and_b64 exec, exec, s[14:15]
	s_cbranch_execz .LBB41_10
; %bb.8:
	s_mov_b64 s[14:15], 0
	v_mov_b32_e32 v88, s8
.LBB41_9:                               ; =>This Inner Loop Header: Depth=1
	ds_cmpst_rtn_b32 v88, v85, v88, v86 offset:672
	s_waitcnt lgkmcnt(0)
	v_cmp_ne_u32_e32 vcc, 0, v88
	v_cmp_le_i32_e64 s[8:9], v88, v86
	s_and_b64 s[8:9], vcc, s[8:9]
	s_and_b64 s[8:9], exec, s[8:9]
	s_or_b64 s[14:15], s[8:9], s[14:15]
	s_andn2_b64 exec, exec, s[14:15]
	s_cbranch_execnz .LBB41_9
.LBB41_10:
	s_or_b64 exec, exec, s[12:13]
	v_mov_b32_e32 v86, 0
	; wave barrier
	ds_read_b32 v85, v86 offset:672
	s_and_saveexec_b64 s[8:9], s[4:5]
	s_cbranch_execz .LBB41_12
; %bb.11:
	s_lshl_b64 s[12:13], s[6:7], 2
	s_add_u32 s12, s10, s12
	s_addc_u32 s13, s11, s13
	s_waitcnt lgkmcnt(0)
	global_store_dword v86, v85, s[12:13]
.LBB41_12:
	s_or_b64 exec, exec, s[8:9]
	s_waitcnt lgkmcnt(0)
	v_cmp_ne_u32_e32 vcc, 0, v85
	s_mov_b64 s[8:9], 0
	s_cbranch_vccnz .LBB41_180
; %bb.13:
	buffer_load_dword v86, v89, s[0:3], 0 offen
	buffer_load_dword v88, v89, s[0:3], 0 offen offset:4
                                        ; implicit-def: $vgpr91
                                        ; implicit-def: $vgpr90
                                        ; implicit-def: $vgpr85
	s_waitcnt vmcnt(0)
	v_cmp_ngt_f32_e64 s[8:9], |v86|, |v88|
	s_and_saveexec_b64 s[12:13], s[8:9]
	s_xor_b64 s[8:9], exec, s[12:13]
	s_cbranch_execz .LBB41_15
; %bb.14:
	v_div_scale_f32 v85, s[12:13], v88, v88, v86
	v_div_scale_f32 v90, vcc, v86, v88, v86
	v_rcp_f32_e32 v91, v85
	v_fma_f32 v92, -v85, v91, 1.0
	v_fmac_f32_e32 v91, v92, v91
	v_mul_f32_e32 v92, v90, v91
	v_fma_f32 v93, -v85, v92, v90
	v_fmac_f32_e32 v92, v93, v91
	v_fma_f32 v85, -v85, v92, v90
	v_div_fmas_f32 v85, v85, v91, v92
	v_div_fixup_f32 v85, v85, v88, v86
	v_fmac_f32_e32 v88, v86, v85
	v_div_scale_f32 v86, s[12:13], v88, v88, 1.0
	v_div_scale_f32 v90, vcc, 1.0, v88, 1.0
	v_rcp_f32_e32 v91, v86
	v_fma_f32 v92, -v86, v91, 1.0
	v_fmac_f32_e32 v91, v92, v91
	v_mul_f32_e32 v92, v90, v91
	v_fma_f32 v93, -v86, v92, v90
	v_fmac_f32_e32 v92, v93, v91
	v_fma_f32 v86, -v86, v92, v90
	v_div_fmas_f32 v86, v86, v91, v92
	v_div_fixup_f32 v86, v86, v88, 1.0
	v_mul_f32_e32 v91, v85, v86
	v_xor_b32_e32 v90, 0x80000000, v86
	v_xor_b32_e32 v85, 0x80000000, v91
                                        ; implicit-def: $vgpr86
                                        ; implicit-def: $vgpr88
.LBB41_15:
	s_andn2_saveexec_b64 s[8:9], s[8:9]
	s_cbranch_execz .LBB41_17
; %bb.16:
	v_div_scale_f32 v85, s[12:13], v86, v86, v88
	v_div_scale_f32 v90, vcc, v88, v86, v88
	v_rcp_f32_e32 v91, v85
	v_fma_f32 v92, -v85, v91, 1.0
	v_fmac_f32_e32 v91, v92, v91
	v_mul_f32_e32 v92, v90, v91
	v_fma_f32 v93, -v85, v92, v90
	v_fmac_f32_e32 v92, v93, v91
	v_fma_f32 v85, -v85, v92, v90
	v_div_fmas_f32 v85, v85, v91, v92
	v_div_fixup_f32 v90, v85, v86, v88
	v_fmac_f32_e32 v86, v88, v90
	v_div_scale_f32 v85, s[12:13], v86, v86, 1.0
	v_div_scale_f32 v88, vcc, 1.0, v86, 1.0
	v_rcp_f32_e32 v91, v85
	v_fma_f32 v92, -v85, v91, 1.0
	v_fmac_f32_e32 v91, v92, v91
	v_mul_f32_e32 v92, v88, v91
	v_fma_f32 v93, -v85, v92, v88
	v_fmac_f32_e32 v92, v93, v91
	v_fma_f32 v85, -v85, v92, v88
	v_div_fmas_f32 v85, v85, v91, v92
	v_div_fixup_f32 v91, v85, v86, 1.0
	v_xor_b32_e32 v85, 0x80000000, v91
	v_mul_f32_e64 v90, v90, -v91
.LBB41_17:
	s_or_b64 exec, exec, s[8:9]
	buffer_store_dword v91, v89, s[0:3], 0 offen
	buffer_store_dword v90, v89, s[0:3], 0 offen offset:4
	buffer_load_dword v92, off, s[0:3], 0 offset:12
	s_nop 0
	buffer_load_dword v91, off, s[0:3], 0 offset:8
	v_xor_b32_e32 v86, 0x80000000, v90
	v_add_u32_e32 v88, 0x150, v87
	s_waitcnt vmcnt(0)
	ds_write2_b64 v87, v[85:86], v[91:92] offset1:42
	s_waitcnt lgkmcnt(0)
	; wave barrier
	s_and_saveexec_b64 s[8:9], s[4:5]
	s_cbranch_execz .LBB41_19
; %bb.18:
	buffer_load_dword v92, v89, s[0:3], 0 offen offset:4
	buffer_load_dword v93, v89, s[0:3], 0 offen
	ds_read_b64 v[85:86], v88
	v_mov_b32_e32 v90, 0
	ds_read_b64 v[90:91], v90 offset:8
	s_waitcnt vmcnt(1) lgkmcnt(1)
	v_mul_f32_e32 v94, v86, v92
	v_mul_f32_e32 v92, v85, v92
	s_waitcnt vmcnt(0)
	v_fmac_f32_e32 v92, v86, v93
	v_fma_f32 v85, v85, v93, -v94
	v_add_f32_e32 v86, 0, v92
	v_add_f32_e32 v85, 0, v85
	s_waitcnt lgkmcnt(0)
	v_mul_f32_e32 v92, v86, v91
	v_mul_f32_e32 v91, v85, v91
	v_fma_f32 v85, v85, v90, -v92
	v_fmac_f32_e32 v91, v86, v90
	buffer_store_dword v85, off, s[0:3], 0 offset:8
	buffer_store_dword v91, off, s[0:3], 0 offset:12
.LBB41_19:
	s_or_b64 exec, exec, s[8:9]
	; wave barrier
	buffer_load_dword v85, off, s[0:3], 0 offset:16
	buffer_load_dword v86, off, s[0:3], 0 offset:20
	v_cmp_gt_u32_e32 vcc, 2, v0
	s_waitcnt vmcnt(0)
	ds_write_b64 v88, v[85:86]
	s_waitcnt lgkmcnt(0)
	; wave barrier
	s_and_saveexec_b64 s[8:9], vcc
	s_cbranch_execz .LBB41_23
; %bb.20:
	buffer_load_dword v90, v89, s[0:3], 0 offen offset:4
	buffer_load_dword v91, v89, s[0:3], 0 offen
	ds_read_b64 v[85:86], v88
	s_waitcnt vmcnt(1) lgkmcnt(0)
	v_mul_f32_e32 v89, v86, v90
	v_mul_f32_e32 v90, v85, v90
	s_waitcnt vmcnt(0)
	v_fma_f32 v85, v85, v91, -v89
	v_fmac_f32_e32 v90, v86, v91
	v_add_f32_e32 v86, 0, v85
	v_add_f32_e32 v85, 0, v90
	s_and_saveexec_b64 s[12:13], s[4:5]
	s_cbranch_execz .LBB41_22
; %bb.21:
	buffer_load_dword v91, off, s[0:3], 0 offset:12
	buffer_load_dword v92, off, s[0:3], 0 offset:8
	v_mov_b32_e32 v89, 0
	ds_read_b64 v[89:90], v89 offset:344
	s_waitcnt vmcnt(1) lgkmcnt(0)
	v_mul_f32_e32 v93, v89, v91
	v_mul_f32_e32 v91, v90, v91
	s_waitcnt vmcnt(0)
	v_fmac_f32_e32 v93, v90, v92
	v_fma_f32 v89, v89, v92, -v91
	v_add_f32_e32 v85, v85, v93
	v_add_f32_e32 v86, v86, v89
.LBB41_22:
	s_or_b64 exec, exec, s[12:13]
	v_mov_b32_e32 v89, 0
	ds_read_b64 v[89:90], v89 offset:16
	s_waitcnt lgkmcnt(0)
	v_mul_f32_e32 v91, v85, v90
	v_mul_f32_e32 v90, v86, v90
	v_fma_f32 v86, v86, v89, -v91
	v_fmac_f32_e32 v90, v85, v89
	buffer_store_dword v86, off, s[0:3], 0 offset:16
	buffer_store_dword v90, off, s[0:3], 0 offset:20
.LBB41_23:
	s_or_b64 exec, exec, s[8:9]
	; wave barrier
	buffer_load_dword v85, off, s[0:3], 0 offset:24
	buffer_load_dword v86, off, s[0:3], 0 offset:28
	v_cmp_gt_u32_e32 vcc, 3, v0
	s_waitcnt vmcnt(0)
	ds_write_b64 v88, v[85:86]
	v_add_u32_e32 v85, -1, v0
	s_waitcnt lgkmcnt(0)
	; wave barrier
	s_and_saveexec_b64 s[4:5], vcc
	s_cbranch_execz .LBB41_27
; %bb.24:
	v_add_u32_e32 v89, -1, v0
	v_add_u32_e32 v90, 0x150, v87
	v_mov_b32_e32 v91, v87
	v_mov_b32_e32 v86, 0
	s_mov_b64 s[8:9], 0
	v_mov_b32_e32 v92, 0
.LBB41_25:                              ; =>This Inner Loop Header: Depth=1
	buffer_load_dword v95, v91, s[0:3], 0 offen offset:4
	buffer_load_dword v96, v91, s[0:3], 0 offen
	ds_read_b64 v[93:94], v90
	v_add_u32_e32 v89, 1, v89
	v_cmp_lt_u32_e32 vcc, 1, v89
	v_add_u32_e32 v90, 8, v90
	v_add_u32_e32 v91, 8, v91
	s_or_b64 s[8:9], vcc, s[8:9]
	s_waitcnt vmcnt(1) lgkmcnt(0)
	v_mul_f32_e32 v97, v94, v95
	v_mul_f32_e32 v95, v93, v95
	s_waitcnt vmcnt(0)
	v_fma_f32 v93, v93, v96, -v97
	v_fmac_f32_e32 v95, v94, v96
	v_add_f32_e32 v92, v92, v93
	v_add_f32_e32 v86, v86, v95
	s_andn2_b64 exec, exec, s[8:9]
	s_cbranch_execnz .LBB41_25
; %bb.26:
	s_or_b64 exec, exec, s[8:9]
	v_mov_b32_e32 v89, 0
	ds_read_b64 v[89:90], v89 offset:24
	s_waitcnt lgkmcnt(0)
	v_mul_f32_e32 v91, v86, v90
	v_mul_f32_e32 v90, v92, v90
	v_fma_f32 v91, v92, v89, -v91
	v_fmac_f32_e32 v90, v86, v89
	buffer_store_dword v91, off, s[0:3], 0 offset:24
	buffer_store_dword v90, off, s[0:3], 0 offset:28
.LBB41_27:
	s_or_b64 exec, exec, s[4:5]
	; wave barrier
	buffer_load_dword v89, off, s[0:3], 0 offset:32
	buffer_load_dword v90, off, s[0:3], 0 offset:36
	v_cmp_gt_u32_e32 vcc, 4, v0
	s_waitcnt vmcnt(0)
	ds_write_b64 v88, v[89:90]
	s_waitcnt lgkmcnt(0)
	; wave barrier
	s_and_saveexec_b64 s[4:5], vcc
	s_cbranch_execz .LBB41_31
; %bb.28:
	v_add_u32_e32 v89, -1, v0
	v_add_u32_e32 v90, 0x150, v87
	v_mov_b32_e32 v91, v87
	v_mov_b32_e32 v86, 0
	s_mov_b64 s[8:9], 0
	v_mov_b32_e32 v92, 0
.LBB41_29:                              ; =>This Inner Loop Header: Depth=1
	buffer_load_dword v95, v91, s[0:3], 0 offen offset:4
	buffer_load_dword v96, v91, s[0:3], 0 offen
	ds_read_b64 v[93:94], v90
	v_add_u32_e32 v89, 1, v89
	v_cmp_lt_u32_e32 vcc, 2, v89
	v_add_u32_e32 v90, 8, v90
	v_add_u32_e32 v91, 8, v91
	s_or_b64 s[8:9], vcc, s[8:9]
	s_waitcnt vmcnt(1) lgkmcnt(0)
	v_mul_f32_e32 v97, v94, v95
	v_mul_f32_e32 v95, v93, v95
	s_waitcnt vmcnt(0)
	v_fma_f32 v93, v93, v96, -v97
	v_fmac_f32_e32 v95, v94, v96
	v_add_f32_e32 v92, v92, v93
	v_add_f32_e32 v86, v86, v95
	s_andn2_b64 exec, exec, s[8:9]
	s_cbranch_execnz .LBB41_29
; %bb.30:
	s_or_b64 exec, exec, s[8:9]
	v_mov_b32_e32 v89, 0
	ds_read_b64 v[89:90], v89 offset:32
	s_waitcnt lgkmcnt(0)
	v_mul_f32_e32 v91, v86, v90
	v_mul_f32_e32 v90, v92, v90
	v_fma_f32 v91, v92, v89, -v91
	v_fmac_f32_e32 v90, v86, v89
	buffer_store_dword v91, off, s[0:3], 0 offset:32
	buffer_store_dword v90, off, s[0:3], 0 offset:36
.LBB41_31:
	s_or_b64 exec, exec, s[4:5]
	; wave barrier
	buffer_load_dword v89, off, s[0:3], 0 offset:40
	buffer_load_dword v90, off, s[0:3], 0 offset:44
	v_cmp_gt_u32_e32 vcc, 5, v0
	s_waitcnt vmcnt(0)
	ds_write_b64 v88, v[89:90]
	;; [unrolled: 49-line block ×19, first 2 shown]
	s_waitcnt lgkmcnt(0)
	; wave barrier
	s_and_saveexec_b64 s[4:5], vcc
	s_cbranch_execz .LBB41_103
; %bb.100:
	v_add_u32_e32 v89, -1, v0
	v_add_u32_e32 v90, 0x150, v87
	v_mov_b32_e32 v91, v87
	v_mov_b32_e32 v86, 0
	s_mov_b64 s[8:9], 0
	v_mov_b32_e32 v92, 0
.LBB41_101:                             ; =>This Inner Loop Header: Depth=1
	buffer_load_dword v95, v91, s[0:3], 0 offen offset:4
	buffer_load_dword v96, v91, s[0:3], 0 offen
	ds_read_b64 v[93:94], v90
	v_add_u32_e32 v89, 1, v89
	v_cmp_lt_u32_e32 vcc, 20, v89
	v_add_u32_e32 v90, 8, v90
	v_add_u32_e32 v91, 8, v91
	s_or_b64 s[8:9], vcc, s[8:9]
	s_waitcnt vmcnt(1) lgkmcnt(0)
	v_mul_f32_e32 v97, v94, v95
	v_mul_f32_e32 v95, v93, v95
	s_waitcnt vmcnt(0)
	v_fma_f32 v93, v93, v96, -v97
	v_fmac_f32_e32 v95, v94, v96
	v_add_f32_e32 v92, v92, v93
	v_add_f32_e32 v86, v86, v95
	s_andn2_b64 exec, exec, s[8:9]
	s_cbranch_execnz .LBB41_101
; %bb.102:
	s_or_b64 exec, exec, s[8:9]
	v_mov_b32_e32 v89, 0
	ds_read_b64 v[89:90], v89 offset:176
	s_waitcnt lgkmcnt(0)
	v_mul_f32_e32 v91, v86, v90
	v_mul_f32_e32 v90, v92, v90
	v_fma_f32 v91, v92, v89, -v91
	v_fmac_f32_e32 v90, v86, v89
	buffer_store_dword v91, off, s[0:3], 0 offset:176
	buffer_store_dword v90, off, s[0:3], 0 offset:180
.LBB41_103:
	s_or_b64 exec, exec, s[4:5]
	; wave barrier
	buffer_load_dword v89, off, s[0:3], 0 offset:184
	buffer_load_dword v90, off, s[0:3], 0 offset:188
	v_cmp_gt_u32_e32 vcc, 23, v0
	s_waitcnt vmcnt(0)
	ds_write_b64 v88, v[89:90]
	s_waitcnt lgkmcnt(0)
	; wave barrier
	s_and_saveexec_b64 s[4:5], vcc
	s_cbranch_execz .LBB41_107
; %bb.104:
	v_add_u32_e32 v89, -1, v0
	v_add_u32_e32 v90, 0x150, v87
	v_mov_b32_e32 v91, v87
	v_mov_b32_e32 v86, 0
	s_mov_b64 s[8:9], 0
	v_mov_b32_e32 v92, 0
.LBB41_105:                             ; =>This Inner Loop Header: Depth=1
	buffer_load_dword v95, v91, s[0:3], 0 offen offset:4
	buffer_load_dword v96, v91, s[0:3], 0 offen
	ds_read_b64 v[93:94], v90
	v_add_u32_e32 v89, 1, v89
	v_cmp_lt_u32_e32 vcc, 21, v89
	v_add_u32_e32 v90, 8, v90
	v_add_u32_e32 v91, 8, v91
	s_or_b64 s[8:9], vcc, s[8:9]
	s_waitcnt vmcnt(1) lgkmcnt(0)
	v_mul_f32_e32 v97, v94, v95
	v_mul_f32_e32 v95, v93, v95
	s_waitcnt vmcnt(0)
	v_fma_f32 v93, v93, v96, -v97
	v_fmac_f32_e32 v95, v94, v96
	v_add_f32_e32 v92, v92, v93
	v_add_f32_e32 v86, v86, v95
	s_andn2_b64 exec, exec, s[8:9]
	s_cbranch_execnz .LBB41_105
; %bb.106:
	s_or_b64 exec, exec, s[8:9]
	v_mov_b32_e32 v89, 0
	ds_read_b64 v[89:90], v89 offset:184
	s_waitcnt lgkmcnt(0)
	v_mul_f32_e32 v91, v86, v90
	v_mul_f32_e32 v90, v92, v90
	v_fma_f32 v91, v92, v89, -v91
	v_fmac_f32_e32 v90, v86, v89
	buffer_store_dword v91, off, s[0:3], 0 offset:184
	buffer_store_dword v90, off, s[0:3], 0 offset:188
.LBB41_107:
	s_or_b64 exec, exec, s[4:5]
	; wave barrier
	buffer_load_dword v89, off, s[0:3], 0 offset:192
	buffer_load_dword v90, off, s[0:3], 0 offset:196
	v_cmp_gt_u32_e32 vcc, 24, v0
	s_waitcnt vmcnt(0)
	ds_write_b64 v88, v[89:90]
	;; [unrolled: 49-line block ×18, first 2 shown]
	s_waitcnt lgkmcnt(0)
	; wave barrier
	s_and_saveexec_b64 s[4:5], vcc
	s_cbranch_execz .LBB41_175
; %bb.172:
	v_add_u32_e32 v89, -1, v0
	v_add_u32_e32 v90, 0x150, v87
	v_mov_b32_e32 v91, v87
	v_mov_b32_e32 v86, 0
	s_mov_b64 s[8:9], 0
	v_mov_b32_e32 v92, 0
.LBB41_173:                             ; =>This Inner Loop Header: Depth=1
	buffer_load_dword v95, v91, s[0:3], 0 offen offset:4
	buffer_load_dword v96, v91, s[0:3], 0 offen
	ds_read_b64 v[93:94], v90
	v_add_u32_e32 v89, 1, v89
	v_cmp_lt_u32_e32 vcc, 38, v89
	v_add_u32_e32 v90, 8, v90
	v_add_u32_e32 v91, 8, v91
	s_or_b64 s[8:9], vcc, s[8:9]
	s_waitcnt vmcnt(1) lgkmcnt(0)
	v_mul_f32_e32 v97, v94, v95
	v_mul_f32_e32 v95, v93, v95
	s_waitcnt vmcnt(0)
	v_fma_f32 v93, v93, v96, -v97
	v_fmac_f32_e32 v95, v94, v96
	v_add_f32_e32 v92, v92, v93
	v_add_f32_e32 v86, v86, v95
	s_andn2_b64 exec, exec, s[8:9]
	s_cbranch_execnz .LBB41_173
; %bb.174:
	s_or_b64 exec, exec, s[8:9]
	v_mov_b32_e32 v89, 0
	ds_read_b64 v[89:90], v89 offset:320
	s_waitcnt lgkmcnt(0)
	v_mul_f32_e32 v91, v86, v90
	v_mul_f32_e32 v90, v92, v90
	v_fma_f32 v91, v92, v89, -v91
	v_fmac_f32_e32 v90, v86, v89
	buffer_store_dword v91, off, s[0:3], 0 offset:320
	buffer_store_dword v90, off, s[0:3], 0 offset:324
.LBB41_175:
	s_or_b64 exec, exec, s[4:5]
	; wave barrier
	buffer_load_dword v89, off, s[0:3], 0 offset:328
	buffer_load_dword v90, off, s[0:3], 0 offset:332
	v_cmp_ne_u32_e32 vcc, 41, v0
	s_waitcnt vmcnt(0)
	ds_write_b64 v88, v[89:90]
	s_waitcnt lgkmcnt(0)
	; wave barrier
	s_and_saveexec_b64 s[4:5], vcc
	s_cbranch_execz .LBB41_179
; %bb.176:
	v_add_u32_e32 v88, 0x150, v87
	v_mov_b32_e32 v86, 0
	s_mov_b64 s[8:9], 0
	v_mov_b32_e32 v89, 0
.LBB41_177:                             ; =>This Inner Loop Header: Depth=1
	buffer_load_dword v92, v87, s[0:3], 0 offen offset:4
	buffer_load_dword v93, v87, s[0:3], 0 offen
	ds_read_b64 v[90:91], v88
	v_add_u32_e32 v85, 1, v85
	v_cmp_lt_u32_e32 vcc, 39, v85
	v_add_u32_e32 v88, 8, v88
	v_add_u32_e32 v87, 8, v87
	s_or_b64 s[8:9], vcc, s[8:9]
	s_waitcnt vmcnt(1) lgkmcnt(0)
	v_mul_f32_e32 v94, v91, v92
	v_mul_f32_e32 v92, v90, v92
	s_waitcnt vmcnt(0)
	v_fma_f32 v90, v90, v93, -v94
	v_fmac_f32_e32 v92, v91, v93
	v_add_f32_e32 v89, v89, v90
	v_add_f32_e32 v86, v86, v92
	s_andn2_b64 exec, exec, s[8:9]
	s_cbranch_execnz .LBB41_177
; %bb.178:
	s_or_b64 exec, exec, s[8:9]
	v_mov_b32_e32 v85, 0
	ds_read_b64 v[87:88], v85 offset:328
	s_waitcnt lgkmcnt(0)
	v_mul_f32_e32 v85, v86, v88
	v_mul_f32_e32 v88, v89, v88
	v_fma_f32 v85, v89, v87, -v85
	v_fmac_f32_e32 v88, v86, v87
	buffer_store_dword v85, off, s[0:3], 0 offset:328
	buffer_store_dword v88, off, s[0:3], 0 offset:332
.LBB41_179:
	s_or_b64 exec, exec, s[4:5]
	s_mov_b64 s[8:9], -1
	; wave barrier
.LBB41_180:
	s_and_b64 vcc, exec, s[8:9]
	s_cbranch_vccz .LBB41_182
; %bb.181:
	s_lshl_b64 s[4:5], s[6:7], 2
	s_add_u32 s4, s10, s4
	s_addc_u32 s5, s11, s5
	v_mov_b32_e32 v85, 0
	global_load_dword v85, v85, s[4:5]
	s_waitcnt vmcnt(0)
	v_cmp_ne_u32_e32 vcc, 0, v85
	s_cbranch_vccz .LBB41_183
.LBB41_182:
	s_endpgm
.LBB41_183:
	v_mov_b32_e32 v85, 0x150
	v_lshl_add_u32 v85, v0, 3, v85
	v_cmp_eq_u32_e32 vcc, 41, v0
	s_and_saveexec_b64 s[4:5], vcc
	s_cbranch_execz .LBB41_185
; %bb.184:
	buffer_load_dword v86, off, s[0:3], 0 offset:320
	buffer_load_dword v87, off, s[0:3], 0 offset:324
	v_mov_b32_e32 v88, 0
	buffer_store_dword v88, off, s[0:3], 0 offset:320
	buffer_store_dword v88, off, s[0:3], 0 offset:324
	s_waitcnt vmcnt(2)
	ds_write_b64 v85, v[86:87]
.LBB41_185:
	s_or_b64 exec, exec, s[4:5]
	s_waitcnt lgkmcnt(0)
	; wave barrier
	buffer_load_dword v89, off, s[0:3], 0 offset:332
	buffer_load_dword v90, off, s[0:3], 0 offset:328
	;; [unrolled: 1-line block ×4, first 2 shown]
	v_mov_b32_e32 v86, 0
	ds_read_b64 v[87:88], v86 offset:664
	v_cmp_lt_u32_e32 vcc, 39, v0
	s_waitcnt vmcnt(3) lgkmcnt(0)
	v_mul_f32_e32 v93, v87, v89
	v_mul_f32_e32 v89, v88, v89
	s_waitcnt vmcnt(2)
	v_fma_f32 v87, v87, v90, -v89
	v_fmac_f32_e32 v93, v88, v90
	v_add_f32_e32 v87, 0, v87
	v_add_f32_e32 v88, 0, v93
	s_waitcnt vmcnt(1)
	v_sub_f32_e32 v87, v91, v87
	s_waitcnt vmcnt(0)
	v_sub_f32_e32 v88, v92, v88
	buffer_store_dword v87, off, s[0:3], 0 offset:320
	buffer_store_dword v88, off, s[0:3], 0 offset:324
	s_and_saveexec_b64 s[4:5], vcc
	s_cbranch_execz .LBB41_187
; %bb.186:
	buffer_load_dword v87, off, s[0:3], 0 offset:312
	buffer_load_dword v88, off, s[0:3], 0 offset:316
	s_waitcnt vmcnt(0)
	ds_write_b64 v85, v[87:88]
	buffer_store_dword v86, off, s[0:3], 0 offset:312
	buffer_store_dword v86, off, s[0:3], 0 offset:316
.LBB41_187:
	s_or_b64 exec, exec, s[4:5]
	s_waitcnt lgkmcnt(0)
	; wave barrier
	buffer_load_dword v90, off, s[0:3], 0 offset:324
	buffer_load_dword v91, off, s[0:3], 0 offset:332
	;; [unrolled: 1-line block ×6, first 2 shown]
	ds_read_b128 v[86:89], v86 offset:656
	v_cmp_lt_u32_e32 vcc, 38, v0
	s_waitcnt vmcnt(5) lgkmcnt(0)
	v_mul_f32_e32 v96, v86, v90
	v_mul_f32_e32 v90, v87, v90
	s_waitcnt vmcnt(4)
	v_mul_f32_e32 v97, v88, v91
	v_mul_f32_e32 v91, v89, v91
	s_waitcnt vmcnt(3)
	v_fma_f32 v86, v86, v92, -v90
	v_fmac_f32_e32 v96, v87, v92
	s_waitcnt vmcnt(2)
	v_fma_f32 v87, v88, v93, -v91
	v_add_f32_e32 v86, 0, v86
	v_fmac_f32_e32 v97, v89, v93
	v_add_f32_e32 v88, 0, v96
	v_add_f32_e32 v86, v86, v87
	;; [unrolled: 1-line block ×3, first 2 shown]
	s_waitcnt vmcnt(1)
	v_sub_f32_e32 v86, v94, v86
	s_waitcnt vmcnt(0)
	v_sub_f32_e32 v87, v95, v88
	buffer_store_dword v86, off, s[0:3], 0 offset:312
	buffer_store_dword v87, off, s[0:3], 0 offset:316
	s_and_saveexec_b64 s[4:5], vcc
	s_cbranch_execz .LBB41_189
; %bb.188:
	buffer_load_dword v86, off, s[0:3], 0 offset:304
	buffer_load_dword v87, off, s[0:3], 0 offset:308
	v_mov_b32_e32 v88, 0
	buffer_store_dword v88, off, s[0:3], 0 offset:304
	buffer_store_dword v88, off, s[0:3], 0 offset:308
	s_waitcnt vmcnt(2)
	ds_write_b64 v85, v[86:87]
.LBB41_189:
	s_or_b64 exec, exec, s[4:5]
	s_waitcnt lgkmcnt(0)
	; wave barrier
	buffer_load_dword v93, off, s[0:3], 0 offset:316
	buffer_load_dword v94, off, s[0:3], 0 offset:324
	;; [unrolled: 1-line block ×8, first 2 shown]
	v_mov_b32_e32 v86, 0
	ds_read2_b64 v[87:90], v86 offset0:81 offset1:82
	ds_read_b64 v[91:92], v86 offset:664
	v_cmp_lt_u32_e32 vcc, 37, v0
	s_waitcnt vmcnt(7) lgkmcnt(1)
	v_mul_f32_e32 v101, v87, v93
	v_mul_f32_e32 v93, v88, v93
	s_waitcnt vmcnt(6)
	v_mul_f32_e32 v102, v89, v94
	v_mul_f32_e32 v94, v90, v94
	s_waitcnt vmcnt(4)
	v_fma_f32 v87, v87, v96, -v93
	s_waitcnt lgkmcnt(0)
	v_mul_f32_e32 v103, v91, v95
	v_mul_f32_e32 v95, v92, v95
	v_fmac_f32_e32 v101, v88, v96
	s_waitcnt vmcnt(3)
	v_fma_f32 v88, v89, v97, -v94
	v_add_f32_e32 v87, 0, v87
	v_fmac_f32_e32 v102, v90, v97
	s_waitcnt vmcnt(2)
	v_fma_f32 v89, v91, v98, -v95
	v_add_f32_e32 v90, 0, v101
	v_add_f32_e32 v87, v87, v88
	v_fmac_f32_e32 v103, v92, v98
	v_add_f32_e32 v90, v90, v102
	v_add_f32_e32 v87, v87, v89
	v_add_f32_e32 v88, v90, v103
	s_waitcnt vmcnt(1)
	v_sub_f32_e32 v87, v99, v87
	s_waitcnt vmcnt(0)
	v_sub_f32_e32 v88, v100, v88
	buffer_store_dword v87, off, s[0:3], 0 offset:304
	buffer_store_dword v88, off, s[0:3], 0 offset:308
	s_and_saveexec_b64 s[4:5], vcc
	s_cbranch_execz .LBB41_191
; %bb.190:
	buffer_load_dword v87, off, s[0:3], 0 offset:296
	buffer_load_dword v88, off, s[0:3], 0 offset:300
	s_waitcnt vmcnt(0)
	ds_write_b64 v85, v[87:88]
	buffer_store_dword v86, off, s[0:3], 0 offset:296
	buffer_store_dword v86, off, s[0:3], 0 offset:300
.LBB41_191:
	s_or_b64 exec, exec, s[4:5]
	s_waitcnt lgkmcnt(0)
	; wave barrier
	buffer_load_dword v95, off, s[0:3], 0 offset:308
	buffer_load_dword v96, off, s[0:3], 0 offset:316
	buffer_load_dword v97, off, s[0:3], 0 offset:324
	buffer_load_dword v98, off, s[0:3], 0 offset:332
	buffer_load_dword v99, off, s[0:3], 0 offset:304
	buffer_load_dword v100, off, s[0:3], 0 offset:312
	buffer_load_dword v101, off, s[0:3], 0 offset:320
	buffer_load_dword v102, off, s[0:3], 0 offset:328
	buffer_load_dword v103, off, s[0:3], 0 offset:296
	buffer_load_dword v104, off, s[0:3], 0 offset:300
	ds_read_b128 v[87:90], v86 offset:640
	ds_read_b128 v[91:94], v86 offset:656
	v_cmp_lt_u32_e32 vcc, 36, v0
	s_waitcnt vmcnt(9) lgkmcnt(1)
	v_mul_f32_e32 v86, v87, v95
	v_mul_f32_e32 v95, v88, v95
	s_waitcnt vmcnt(8)
	v_mul_f32_e32 v105, v89, v96
	v_mul_f32_e32 v96, v90, v96
	s_waitcnt vmcnt(5)
	v_fma_f32 v87, v87, v99, -v95
	s_waitcnt lgkmcnt(0)
	v_mul_f32_e32 v106, v91, v97
	v_mul_f32_e32 v97, v92, v97
	v_fmac_f32_e32 v86, v88, v99
	s_waitcnt vmcnt(4)
	v_fma_f32 v88, v89, v100, -v96
	v_add_f32_e32 v87, 0, v87
	v_mul_f32_e32 v107, v93, v98
	v_mul_f32_e32 v98, v94, v98
	v_fmac_f32_e32 v105, v90, v100
	s_waitcnt vmcnt(3)
	v_fma_f32 v89, v91, v101, -v97
	v_add_f32_e32 v86, 0, v86
	v_add_f32_e32 v87, v87, v88
	v_fmac_f32_e32 v106, v92, v101
	s_waitcnt vmcnt(2)
	v_fma_f32 v90, v93, v102, -v98
	v_add_f32_e32 v86, v86, v105
	v_add_f32_e32 v87, v87, v89
	v_fmac_f32_e32 v107, v94, v102
	v_add_f32_e32 v86, v86, v106
	v_add_f32_e32 v87, v87, v90
	;; [unrolled: 1-line block ×3, first 2 shown]
	s_waitcnt vmcnt(1)
	v_sub_f32_e32 v87, v103, v87
	s_waitcnt vmcnt(0)
	v_sub_f32_e32 v86, v104, v86
	buffer_store_dword v87, off, s[0:3], 0 offset:296
	buffer_store_dword v86, off, s[0:3], 0 offset:300
	s_and_saveexec_b64 s[4:5], vcc
	s_cbranch_execz .LBB41_193
; %bb.192:
	buffer_load_dword v86, off, s[0:3], 0 offset:288
	buffer_load_dword v87, off, s[0:3], 0 offset:292
	v_mov_b32_e32 v88, 0
	buffer_store_dword v88, off, s[0:3], 0 offset:288
	buffer_store_dword v88, off, s[0:3], 0 offset:292
	s_waitcnt vmcnt(2)
	ds_write_b64 v85, v[86:87]
.LBB41_193:
	s_or_b64 exec, exec, s[4:5]
	s_waitcnt lgkmcnt(0)
	; wave barrier
	buffer_load_dword v97, off, s[0:3], 0 offset:300
	buffer_load_dword v98, off, s[0:3], 0 offset:308
	;; [unrolled: 1-line block ×12, first 2 shown]
	v_mov_b32_e32 v86, 0
	ds_read2_b64 v[87:90], v86 offset0:79 offset1:80
	ds_read2_b64 v[91:94], v86 offset0:81 offset1:82
	ds_read_b64 v[95:96], v86 offset:664
	v_cmp_lt_u32_e32 vcc, 35, v0
	s_waitcnt vmcnt(11) lgkmcnt(2)
	v_mul_f32_e32 v109, v87, v97
	v_mul_f32_e32 v97, v88, v97
	s_waitcnt vmcnt(10)
	v_mul_f32_e32 v110, v89, v98
	v_mul_f32_e32 v98, v90, v98
	s_waitcnt vmcnt(9) lgkmcnt(1)
	v_mul_f32_e32 v111, v91, v99
	s_waitcnt vmcnt(6)
	v_fma_f32 v87, v87, v102, -v97
	v_mul_f32_e32 v99, v92, v99
	v_fmac_f32_e32 v109, v88, v102
	s_waitcnt vmcnt(5)
	v_fma_f32 v88, v89, v103, -v98
	v_add_f32_e32 v87, 0, v87
	v_mul_f32_e32 v112, v93, v100
	v_mul_f32_e32 v100, v94, v100
	v_fmac_f32_e32 v110, v90, v103
	s_waitcnt vmcnt(4)
	v_fmac_f32_e32 v111, v92, v104
	v_fma_f32 v89, v91, v104, -v99
	v_add_f32_e32 v92, 0, v109
	v_add_f32_e32 v87, v87, v88
	s_waitcnt lgkmcnt(0)
	v_mul_f32_e32 v113, v95, v101
	v_mul_f32_e32 v101, v96, v101
	s_waitcnt vmcnt(3)
	v_fma_f32 v90, v93, v105, -v100
	v_add_f32_e32 v92, v92, v110
	v_add_f32_e32 v87, v87, v89
	v_fmac_f32_e32 v112, v94, v105
	s_waitcnt vmcnt(2)
	v_fma_f32 v91, v95, v106, -v101
	v_add_f32_e32 v88, v92, v111
	v_add_f32_e32 v87, v87, v90
	v_fmac_f32_e32 v113, v96, v106
	v_add_f32_e32 v88, v88, v112
	v_add_f32_e32 v87, v87, v91
	;; [unrolled: 1-line block ×3, first 2 shown]
	s_waitcnt vmcnt(1)
	v_sub_f32_e32 v87, v107, v87
	s_waitcnt vmcnt(0)
	v_sub_f32_e32 v88, v108, v88
	buffer_store_dword v87, off, s[0:3], 0 offset:288
	buffer_store_dword v88, off, s[0:3], 0 offset:292
	s_and_saveexec_b64 s[4:5], vcc
	s_cbranch_execz .LBB41_195
; %bb.194:
	buffer_load_dword v87, off, s[0:3], 0 offset:280
	buffer_load_dword v88, off, s[0:3], 0 offset:284
	s_waitcnt vmcnt(0)
	ds_write_b64 v85, v[87:88]
	buffer_store_dword v86, off, s[0:3], 0 offset:280
	buffer_store_dword v86, off, s[0:3], 0 offset:284
.LBB41_195:
	s_or_b64 exec, exec, s[4:5]
	s_waitcnt lgkmcnt(0)
	; wave barrier
	buffer_load_dword v99, off, s[0:3], 0 offset:292
	buffer_load_dword v100, off, s[0:3], 0 offset:300
	;; [unrolled: 1-line block ×14, first 2 shown]
	ds_read_b128 v[87:90], v86 offset:624
	ds_read_b128 v[91:94], v86 offset:640
	;; [unrolled: 1-line block ×3, first 2 shown]
	v_cmp_lt_u32_e32 vcc, 34, v0
	s_waitcnt vmcnt(13) lgkmcnt(2)
	v_mul_f32_e32 v86, v87, v99
	v_mul_f32_e32 v99, v88, v99
	s_waitcnt vmcnt(12)
	v_mul_f32_e32 v113, v89, v100
	v_mul_f32_e32 v100, v90, v100
	s_waitcnt vmcnt(11) lgkmcnt(1)
	v_mul_f32_e32 v114, v91, v101
	v_mul_f32_e32 v101, v92, v101
	s_waitcnt vmcnt(7)
	v_fma_f32 v87, v87, v105, -v99
	v_fmac_f32_e32 v86, v88, v105
	s_waitcnt vmcnt(6)
	v_fma_f32 v88, v89, v106, -v100
	v_add_f32_e32 v87, 0, v87
	v_mul_f32_e32 v115, v93, v102
	v_mul_f32_e32 v102, v94, v102
	v_fmac_f32_e32 v113, v90, v106
	s_waitcnt vmcnt(5)
	v_fma_f32 v89, v91, v107, -v101
	v_add_f32_e32 v86, 0, v86
	v_add_f32_e32 v87, v87, v88
	s_waitcnt lgkmcnt(0)
	v_mul_f32_e32 v116, v95, v103
	v_mul_f32_e32 v103, v96, v103
	v_fmac_f32_e32 v114, v92, v107
	s_waitcnt vmcnt(4)
	v_fma_f32 v90, v93, v108, -v102
	v_add_f32_e32 v86, v86, v113
	v_add_f32_e32 v87, v87, v89
	v_mul_f32_e32 v117, v97, v104
	v_mul_f32_e32 v104, v98, v104
	v_fmac_f32_e32 v115, v94, v108
	s_waitcnt vmcnt(3)
	v_fma_f32 v91, v95, v109, -v103
	v_add_f32_e32 v86, v86, v114
	v_add_f32_e32 v87, v87, v90
	v_fmac_f32_e32 v116, v96, v109
	s_waitcnt vmcnt(2)
	v_fma_f32 v92, v97, v110, -v104
	v_add_f32_e32 v86, v86, v115
	v_add_f32_e32 v87, v87, v91
	v_fmac_f32_e32 v117, v98, v110
	v_add_f32_e32 v86, v86, v116
	v_add_f32_e32 v87, v87, v92
	;; [unrolled: 1-line block ×3, first 2 shown]
	s_waitcnt vmcnt(1)
	v_sub_f32_e32 v87, v111, v87
	s_waitcnt vmcnt(0)
	v_sub_f32_e32 v86, v112, v86
	buffer_store_dword v87, off, s[0:3], 0 offset:280
	buffer_store_dword v86, off, s[0:3], 0 offset:284
	s_and_saveexec_b64 s[4:5], vcc
	s_cbranch_execz .LBB41_197
; %bb.196:
	buffer_load_dword v86, off, s[0:3], 0 offset:272
	buffer_load_dword v87, off, s[0:3], 0 offset:276
	v_mov_b32_e32 v88, 0
	buffer_store_dword v88, off, s[0:3], 0 offset:272
	buffer_store_dword v88, off, s[0:3], 0 offset:276
	s_waitcnt vmcnt(2)
	ds_write_b64 v85, v[86:87]
.LBB41_197:
	s_or_b64 exec, exec, s[4:5]
	s_waitcnt lgkmcnt(0)
	; wave barrier
	buffer_load_dword v101, off, s[0:3], 0 offset:284
	buffer_load_dword v102, off, s[0:3], 0 offset:292
	;; [unrolled: 1-line block ×16, first 2 shown]
	v_mov_b32_e32 v86, 0
	ds_read2_b64 v[87:90], v86 offset0:77 offset1:78
	ds_read2_b64 v[91:94], v86 offset0:79 offset1:80
	;; [unrolled: 1-line block ×3, first 2 shown]
	ds_read_b64 v[99:100], v86 offset:664
	v_cmp_lt_u32_e32 vcc, 33, v0
	s_waitcnt vmcnt(15) lgkmcnt(3)
	v_mul_f32_e32 v117, v87, v101
	v_mul_f32_e32 v101, v88, v101
	s_waitcnt vmcnt(14)
	v_mul_f32_e32 v118, v89, v102
	v_mul_f32_e32 v102, v90, v102
	s_waitcnt vmcnt(13) lgkmcnt(2)
	v_mul_f32_e32 v119, v91, v103
	s_waitcnt vmcnt(12)
	v_mul_f32_e32 v120, v93, v104
	v_mul_f32_e32 v103, v92, v103
	s_waitcnt vmcnt(8)
	v_fma_f32 v87, v87, v108, -v101
	v_fmac_f32_e32 v117, v88, v108
	s_waitcnt vmcnt(7)
	v_fma_f32 v88, v89, v109, -v102
	v_add_f32_e32 v87, 0, v87
	v_mul_f32_e32 v104, v94, v104
	v_fmac_f32_e32 v118, v90, v109
	s_waitcnt vmcnt(5)
	v_fmac_f32_e32 v120, v94, v111
	v_fma_f32 v89, v91, v110, -v103
	v_add_f32_e32 v94, 0, v117
	v_add_f32_e32 v87, v87, v88
	s_waitcnt lgkmcnt(1)
	v_mul_f32_e32 v121, v95, v105
	v_mul_f32_e32 v105, v96, v105
	v_fmac_f32_e32 v119, v92, v110
	v_fma_f32 v90, v93, v111, -v104
	v_add_f32_e32 v94, v94, v118
	v_add_f32_e32 v87, v87, v89
	v_mul_f32_e32 v122, v97, v106
	v_mul_f32_e32 v106, v98, v106
	s_waitcnt vmcnt(4)
	v_fma_f32 v91, v95, v112, -v105
	v_add_f32_e32 v88, v94, v119
	v_add_f32_e32 v87, v87, v90
	s_waitcnt lgkmcnt(0)
	v_mul_f32_e32 v123, v99, v107
	v_mul_f32_e32 v107, v100, v107
	v_fmac_f32_e32 v121, v96, v112
	s_waitcnt vmcnt(3)
	v_fma_f32 v92, v97, v113, -v106
	v_add_f32_e32 v88, v88, v120
	v_add_f32_e32 v87, v87, v91
	v_fmac_f32_e32 v122, v98, v113
	s_waitcnt vmcnt(2)
	v_fma_f32 v93, v99, v114, -v107
	v_add_f32_e32 v88, v88, v121
	v_add_f32_e32 v87, v87, v92
	v_fmac_f32_e32 v123, v100, v114
	v_add_f32_e32 v88, v88, v122
	v_add_f32_e32 v87, v87, v93
	;; [unrolled: 1-line block ×3, first 2 shown]
	s_waitcnt vmcnt(1)
	v_sub_f32_e32 v87, v115, v87
	s_waitcnt vmcnt(0)
	v_sub_f32_e32 v88, v116, v88
	buffer_store_dword v87, off, s[0:3], 0 offset:272
	buffer_store_dword v88, off, s[0:3], 0 offset:276
	s_and_saveexec_b64 s[4:5], vcc
	s_cbranch_execz .LBB41_199
; %bb.198:
	buffer_load_dword v87, off, s[0:3], 0 offset:264
	buffer_load_dword v88, off, s[0:3], 0 offset:268
	s_waitcnt vmcnt(0)
	ds_write_b64 v85, v[87:88]
	buffer_store_dword v86, off, s[0:3], 0 offset:264
	buffer_store_dword v86, off, s[0:3], 0 offset:268
.LBB41_199:
	s_or_b64 exec, exec, s[4:5]
	s_waitcnt lgkmcnt(0)
	; wave barrier
	ds_read_b128 v[87:90], v86 offset:608
	ds_read_b128 v[91:94], v86 offset:624
	;; [unrolled: 1-line block ×4, first 2 shown]
	buffer_load_dword v86, off, s[0:3], 0 offset:264
	buffer_load_dword v103, off, s[0:3], 0 offset:268
	;; [unrolled: 1-line block ×16, first 2 shown]
	v_cmp_lt_u32_e32 vcc, 32, v0
	s_waitcnt vmcnt(12) lgkmcnt(3)
	v_mul_f32_e32 v118, v87, v105
	v_fmac_f32_e32 v118, v88, v104
	s_waitcnt vmcnt(10)
	v_mul_f32_e32 v119, v89, v107
	v_add_f32_e32 v118, 0, v118
	v_fmac_f32_e32 v119, v90, v106
	v_add_f32_e32 v118, v118, v119
	s_waitcnt vmcnt(8) lgkmcnt(2)
	v_mul_f32_e32 v119, v91, v109
	v_fmac_f32_e32 v119, v92, v108
	v_add_f32_e32 v118, v118, v119
	s_waitcnt vmcnt(6)
	v_mul_f32_e32 v119, v93, v111
	v_fmac_f32_e32 v119, v94, v110
	v_add_f32_e32 v118, v118, v119
	s_waitcnt vmcnt(4) lgkmcnt(1)
	v_mul_f32_e32 v119, v95, v113
	v_fmac_f32_e32 v119, v96, v112
	v_add_f32_e32 v118, v118, v119
	s_waitcnt vmcnt(2)
	v_mul_f32_e32 v119, v97, v115
	v_fmac_f32_e32 v119, v98, v114
	v_add_f32_e32 v118, v118, v119
	s_waitcnt vmcnt(0) lgkmcnt(0)
	v_mul_f32_e32 v119, v99, v117
	v_fmac_f32_e32 v119, v100, v116
	v_add_f32_e32 v118, v118, v119
	buffer_load_dword v119, off, s[0:3], 0 offset:328
	buffer_load_dword v120, off, s[0:3], 0 offset:332
	v_mul_f32_e32 v88, v88, v105
	v_fma_f32 v87, v87, v104, -v88
	v_mul_f32_e32 v88, v90, v107
	v_add_f32_e32 v87, 0, v87
	v_fma_f32 v88, v89, v106, -v88
	v_add_f32_e32 v87, v87, v88
	v_mul_f32_e32 v88, v92, v109
	v_fma_f32 v88, v91, v108, -v88
	v_add_f32_e32 v87, v87, v88
	v_mul_f32_e32 v88, v94, v111
	;; [unrolled: 3-line block ×5, first 2 shown]
	v_fma_f32 v88, v99, v116, -v88
	v_add_f32_e32 v87, v87, v88
	s_waitcnt vmcnt(0)
	v_mul_f32_e32 v88, v102, v120
	v_mul_f32_e32 v121, v101, v120
	v_fma_f32 v88, v101, v119, -v88
	v_fmac_f32_e32 v121, v102, v119
	v_add_f32_e32 v87, v87, v88
	v_add_f32_e32 v118, v118, v121
	v_sub_f32_e32 v86, v86, v87
	v_sub_f32_e32 v87, v103, v118
	buffer_store_dword v86, off, s[0:3], 0 offset:264
	buffer_store_dword v87, off, s[0:3], 0 offset:268
	s_and_saveexec_b64 s[4:5], vcc
	s_cbranch_execz .LBB41_201
; %bb.200:
	buffer_load_dword v86, off, s[0:3], 0 offset:256
	buffer_load_dword v87, off, s[0:3], 0 offset:260
	v_mov_b32_e32 v88, 0
	buffer_store_dword v88, off, s[0:3], 0 offset:256
	buffer_store_dword v88, off, s[0:3], 0 offset:260
	s_waitcnt vmcnt(2)
	ds_write_b64 v85, v[86:87]
.LBB41_201:
	s_or_b64 exec, exec, s[4:5]
	v_mov_b32_e32 v86, 0
	s_waitcnt lgkmcnt(0)
	; wave barrier
	ds_read2_b64 v[87:90], v86 offset0:75 offset1:76
	buffer_load_dword v105, off, s[0:3], 0 offset:256
	buffer_load_dword v106, off, s[0:3], 0 offset:260
	;; [unrolled: 1-line block ×16, first 2 shown]
	v_cmp_lt_u32_e32 vcc, 31, v0
	s_waitcnt vmcnt(12) lgkmcnt(0)
	v_mul_f32_e32 v91, v87, v108
	v_fmac_f32_e32 v91, v88, v107
	s_waitcnt vmcnt(10)
	v_mul_f32_e32 v92, v89, v110
	v_add_f32_e32 v91, 0, v91
	v_fmac_f32_e32 v92, v90, v109
	v_add_f32_e32 v95, v91, v92
	ds_read2_b64 v[91:94], v86 offset0:77 offset1:78
	v_mul_f32_e32 v88, v88, v108
	v_fma_f32 v87, v87, v107, -v88
	v_mul_f32_e32 v88, v90, v110
	v_add_f32_e32 v87, 0, v87
	s_waitcnt vmcnt(8) lgkmcnt(0)
	v_mul_f32_e32 v96, v91, v112
	v_fmac_f32_e32 v96, v92, v111
	v_add_f32_e32 v95, v95, v96
	s_waitcnt vmcnt(6)
	v_mul_f32_e32 v96, v93, v114
	v_fmac_f32_e32 v96, v94, v113
	v_add_f32_e32 v99, v95, v96
	ds_read2_b64 v[95:98], v86 offset0:79 offset1:80
	v_fma_f32 v88, v89, v109, -v88
	v_add_f32_e32 v87, v87, v88
	v_mul_f32_e32 v88, v92, v112
	v_fma_f32 v88, v91, v111, -v88
	s_waitcnt vmcnt(4) lgkmcnt(0)
	v_mul_f32_e32 v100, v95, v116
	v_fmac_f32_e32 v100, v96, v115
	v_add_f32_e32 v99, v99, v100
	s_waitcnt vmcnt(2)
	v_mul_f32_e32 v100, v97, v118
	v_fmac_f32_e32 v100, v98, v117
	v_add_f32_e32 v103, v99, v100
	ds_read2_b64 v[99:102], v86 offset0:81 offset1:82
	buffer_load_dword v121, off, s[0:3], 0 offset:320
	buffer_load_dword v122, off, s[0:3], 0 offset:324
	v_add_f32_e32 v87, v87, v88
	v_mul_f32_e32 v88, v94, v114
	v_fma_f32 v88, v93, v113, -v88
	s_waitcnt vmcnt(2) lgkmcnt(0)
	v_mul_f32_e32 v104, v99, v120
	v_fmac_f32_e32 v104, v100, v119
	v_add_f32_e32 v103, v103, v104
	v_add_f32_e32 v87, v87, v88
	v_mul_f32_e32 v88, v96, v116
	v_fma_f32 v88, v95, v115, -v88
	v_add_f32_e32 v87, v87, v88
	v_mul_f32_e32 v88, v98, v118
	v_fma_f32 v88, v97, v117, -v88
	;; [unrolled: 3-line block ×3, first 2 shown]
	v_add_f32_e32 v87, v87, v88
	s_waitcnt vmcnt(0)
	v_mul_f32_e32 v104, v101, v122
	v_fmac_f32_e32 v104, v102, v121
	v_add_f32_e32 v123, v103, v104
	ds_read_b64 v[103:104], v86 offset:664
	buffer_load_dword v124, off, s[0:3], 0 offset:328
	buffer_load_dword v125, off, s[0:3], 0 offset:332
	v_mul_f32_e32 v88, v102, v122
	v_fma_f32 v88, v101, v121, -v88
	v_add_f32_e32 v87, v87, v88
	s_waitcnt vmcnt(0) lgkmcnt(0)
	v_mul_f32_e32 v88, v104, v125
	v_mul_f32_e32 v126, v103, v125
	v_fma_f32 v88, v103, v124, -v88
	v_fmac_f32_e32 v126, v104, v124
	v_add_f32_e32 v87, v87, v88
	v_add_f32_e32 v123, v123, v126
	v_sub_f32_e32 v87, v105, v87
	v_sub_f32_e32 v88, v106, v123
	buffer_store_dword v87, off, s[0:3], 0 offset:256
	buffer_store_dword v88, off, s[0:3], 0 offset:260
	s_and_saveexec_b64 s[4:5], vcc
	s_cbranch_execz .LBB41_203
; %bb.202:
	buffer_load_dword v87, off, s[0:3], 0 offset:248
	buffer_load_dword v88, off, s[0:3], 0 offset:252
	s_waitcnt vmcnt(0)
	ds_write_b64 v85, v[87:88]
	buffer_store_dword v86, off, s[0:3], 0 offset:248
	buffer_store_dword v86, off, s[0:3], 0 offset:252
.LBB41_203:
	s_or_b64 exec, exec, s[4:5]
	s_waitcnt lgkmcnt(0)
	; wave barrier
	buffer_load_dword v107, off, s[0:3], 0 offset:260
	buffer_load_dword v108, off, s[0:3], 0 offset:268
	;; [unrolled: 1-line block ×22, first 2 shown]
	ds_read_b128 v[87:90], v86 offset:592
	ds_read_b128 v[91:94], v86 offset:608
	;; [unrolled: 1-line block ×5, first 2 shown]
	v_cmp_lt_u32_e32 vcc, 30, v0
	s_waitcnt vmcnt(21) lgkmcnt(4)
	v_mul_f32_e32 v86, v87, v107
	v_mul_f32_e32 v107, v88, v107
	s_waitcnt vmcnt(20)
	v_mul_f32_e32 v129, v89, v108
	v_mul_f32_e32 v108, v90, v108
	s_waitcnt vmcnt(19) lgkmcnt(3)
	v_mul_f32_e32 v130, v91, v109
	v_mul_f32_e32 v109, v92, v109
	s_waitcnt vmcnt(18)
	v_mul_f32_e32 v131, v93, v110
	v_mul_f32_e32 v110, v94, v110
	s_waitcnt vmcnt(17) lgkmcnt(2)
	v_mul_f32_e32 v132, v95, v111
	v_mul_f32_e32 v111, v96, v111
	s_waitcnt vmcnt(11)
	v_fma_f32 v87, v87, v117, -v107
	v_fmac_f32_e32 v86, v88, v117
	s_waitcnt vmcnt(10)
	v_fma_f32 v88, v89, v118, -v108
	v_add_f32_e32 v87, 0, v87
	v_fmac_f32_e32 v129, v90, v118
	s_waitcnt vmcnt(9)
	v_fma_f32 v89, v91, v119, -v109
	v_add_f32_e32 v86, 0, v86
	v_add_f32_e32 v87, v87, v88
	v_fmac_f32_e32 v130, v92, v119
	s_waitcnt vmcnt(8)
	v_fma_f32 v90, v93, v120, -v110
	v_add_f32_e32 v86, v86, v129
	v_add_f32_e32 v87, v87, v89
	v_mul_f32_e32 v133, v97, v112
	v_mul_f32_e32 v112, v98, v112
	v_fmac_f32_e32 v131, v94, v120
	s_waitcnt vmcnt(7)
	v_fma_f32 v91, v95, v121, -v111
	v_add_f32_e32 v86, v86, v130
	v_add_f32_e32 v87, v87, v90
	s_waitcnt lgkmcnt(1)
	v_mul_f32_e32 v134, v99, v113
	v_mul_f32_e32 v113, v100, v113
	v_fmac_f32_e32 v132, v96, v121
	s_waitcnt vmcnt(6)
	v_fma_f32 v92, v97, v122, -v112
	v_add_f32_e32 v86, v86, v131
	v_add_f32_e32 v87, v87, v91
	v_mul_f32_e32 v135, v101, v114
	v_mul_f32_e32 v114, v102, v114
	v_fmac_f32_e32 v133, v98, v122
	s_waitcnt vmcnt(5)
	v_fma_f32 v93, v99, v123, -v113
	v_add_f32_e32 v86, v86, v132
	v_add_f32_e32 v87, v87, v92
	s_waitcnt lgkmcnt(0)
	v_mul_f32_e32 v136, v103, v115
	v_mul_f32_e32 v115, v104, v115
	v_fmac_f32_e32 v134, v100, v123
	s_waitcnt vmcnt(4)
	v_fma_f32 v94, v101, v124, -v114
	v_add_f32_e32 v86, v86, v133
	v_add_f32_e32 v87, v87, v93
	v_mul_f32_e32 v137, v105, v116
	v_mul_f32_e32 v116, v106, v116
	v_fmac_f32_e32 v135, v102, v124
	s_waitcnt vmcnt(3)
	v_fma_f32 v95, v103, v125, -v115
	v_add_f32_e32 v86, v86, v134
	v_add_f32_e32 v87, v87, v94
	v_fmac_f32_e32 v136, v104, v125
	s_waitcnt vmcnt(2)
	v_fma_f32 v96, v105, v126, -v116
	v_add_f32_e32 v86, v86, v135
	v_add_f32_e32 v87, v87, v95
	v_fmac_f32_e32 v137, v106, v126
	v_add_f32_e32 v86, v86, v136
	v_add_f32_e32 v87, v87, v96
	;; [unrolled: 1-line block ×3, first 2 shown]
	s_waitcnt vmcnt(1)
	v_sub_f32_e32 v87, v127, v87
	s_waitcnt vmcnt(0)
	v_sub_f32_e32 v86, v128, v86
	buffer_store_dword v87, off, s[0:3], 0 offset:248
	buffer_store_dword v86, off, s[0:3], 0 offset:252
	s_and_saveexec_b64 s[4:5], vcc
	s_cbranch_execz .LBB41_205
; %bb.204:
	buffer_load_dword v86, off, s[0:3], 0 offset:240
	buffer_load_dword v87, off, s[0:3], 0 offset:244
	v_mov_b32_e32 v88, 0
	buffer_store_dword v88, off, s[0:3], 0 offset:240
	buffer_store_dword v88, off, s[0:3], 0 offset:244
	s_waitcnt vmcnt(2)
	ds_write_b64 v85, v[86:87]
.LBB41_205:
	s_or_b64 exec, exec, s[4:5]
	s_waitcnt lgkmcnt(0)
	; wave barrier
	buffer_load_dword v109, off, s[0:3], 0 offset:252
	buffer_load_dword v110, off, s[0:3], 0 offset:260
	;; [unrolled: 1-line block ×24, first 2 shown]
	v_mov_b32_e32 v86, 0
	ds_read2_b64 v[87:90], v86 offset0:73 offset1:74
	ds_read2_b64 v[91:94], v86 offset0:75 offset1:76
	;; [unrolled: 1-line block ×5, first 2 shown]
	ds_read_b64 v[107:108], v86 offset:664
	v_cmp_lt_u32_e32 vcc, 29, v0
	s_waitcnt vmcnt(23) lgkmcnt(5)
	v_mul_f32_e32 v133, v87, v109
	v_mul_f32_e32 v109, v88, v109
	s_waitcnt vmcnt(22)
	v_mul_f32_e32 v134, v89, v110
	v_mul_f32_e32 v110, v90, v110
	s_waitcnt vmcnt(21) lgkmcnt(4)
	v_mul_f32_e32 v135, v91, v111
	v_mul_f32_e32 v111, v92, v111
	s_waitcnt vmcnt(20)
	v_mul_f32_e32 v136, v93, v112
	s_waitcnt vmcnt(19) lgkmcnt(3)
	v_mul_f32_e32 v137, v95, v113
	v_mul_f32_e32 v112, v94, v112
	;; [unrolled: 1-line block ×3, first 2 shown]
	s_waitcnt vmcnt(18)
	v_mul_f32_e32 v138, v97, v114
	s_waitcnt vmcnt(12)
	v_fma_f32 v87, v87, v120, -v109
	v_fmac_f32_e32 v133, v88, v120
	s_waitcnt vmcnt(11)
	v_fma_f32 v88, v89, v121, -v110
	v_add_f32_e32 v87, 0, v87
	s_waitcnt vmcnt(10)
	v_fma_f32 v89, v91, v122, -v111
	v_add_f32_e32 v87, v87, v88
	v_fmac_f32_e32 v134, v90, v121
	s_waitcnt vmcnt(8)
	v_fmac_f32_e32 v137, v96, v124
	v_fma_f32 v90, v93, v123, -v112
	v_add_f32_e32 v96, 0, v133
	v_add_f32_e32 v87, v87, v89
	v_mul_f32_e32 v114, v98, v114
	v_fmac_f32_e32 v135, v92, v122
	v_fma_f32 v91, v95, v124, -v113
	v_add_f32_e32 v96, v96, v134
	v_add_f32_e32 v87, v87, v90
	s_waitcnt lgkmcnt(2)
	v_mul_f32_e32 v139, v99, v115
	v_mul_f32_e32 v115, v100, v115
	v_fmac_f32_e32 v136, v94, v123
	s_waitcnt vmcnt(7)
	v_fma_f32 v92, v97, v125, -v114
	v_add_f32_e32 v88, v96, v135
	v_add_f32_e32 v87, v87, v91
	v_mul_f32_e32 v140, v101, v116
	v_mul_f32_e32 v116, v102, v116
	s_waitcnt vmcnt(6)
	v_fma_f32 v93, v99, v126, -v115
	v_add_f32_e32 v88, v88, v136
	v_add_f32_e32 v87, v87, v92
	s_waitcnt lgkmcnt(1)
	v_mul_f32_e32 v141, v103, v117
	v_mul_f32_e32 v117, v104, v117
	v_fmac_f32_e32 v138, v98, v125
	s_waitcnt vmcnt(5)
	v_fma_f32 v94, v101, v127, -v116
	v_add_f32_e32 v88, v88, v137
	v_add_f32_e32 v87, v87, v93
	v_fmac_f32_e32 v139, v100, v126
	s_waitcnt vmcnt(4)
	v_fma_f32 v95, v103, v128, -v117
	v_add_f32_e32 v88, v88, v138
	v_add_f32_e32 v87, v87, v94
	v_mul_f32_e32 v89, v106, v118
	v_fmac_f32_e32 v140, v102, v127
	v_add_f32_e32 v88, v88, v139
	v_add_f32_e32 v87, v87, v95
	s_waitcnt vmcnt(3)
	v_fma_f32 v89, v105, v129, -v89
	v_mul_f32_e32 v142, v105, v118
	v_fmac_f32_e32 v141, v104, v128
	v_add_f32_e32 v88, v88, v140
	v_add_f32_e32 v87, v87, v89
	s_waitcnt lgkmcnt(0)
	v_mul_f32_e32 v89, v108, v119
	v_mul_f32_e32 v143, v107, v119
	v_fmac_f32_e32 v142, v106, v129
	v_add_f32_e32 v88, v88, v141
	s_waitcnt vmcnt(2)
	v_fma_f32 v89, v107, v130, -v89
	v_fmac_f32_e32 v143, v108, v130
	v_add_f32_e32 v88, v88, v142
	v_add_f32_e32 v87, v87, v89
	;; [unrolled: 1-line block ×3, first 2 shown]
	s_waitcnt vmcnt(1)
	v_sub_f32_e32 v87, v131, v87
	s_waitcnt vmcnt(0)
	v_sub_f32_e32 v88, v132, v88
	buffer_store_dword v87, off, s[0:3], 0 offset:240
	buffer_store_dword v88, off, s[0:3], 0 offset:244
	s_and_saveexec_b64 s[4:5], vcc
	s_cbranch_execz .LBB41_207
; %bb.206:
	buffer_load_dword v87, off, s[0:3], 0 offset:232
	buffer_load_dword v88, off, s[0:3], 0 offset:236
	s_waitcnt vmcnt(0)
	ds_write_b64 v85, v[87:88]
	buffer_store_dword v86, off, s[0:3], 0 offset:232
	buffer_store_dword v86, off, s[0:3], 0 offset:236
.LBB41_207:
	s_or_b64 exec, exec, s[4:5]
	s_waitcnt lgkmcnt(0)
	; wave barrier
	buffer_load_dword v111, off, s[0:3], 0 offset:244
	buffer_load_dword v112, off, s[0:3], 0 offset:252
	;; [unrolled: 1-line block ×26, first 2 shown]
	ds_read_b128 v[87:90], v86 offset:576
	ds_read_b128 v[91:94], v86 offset:592
	;; [unrolled: 1-line block ×6, first 2 shown]
	v_cmp_lt_u32_e32 vcc, 28, v0
	s_waitcnt vmcnt(25) lgkmcnt(5)
	v_mul_f32_e32 v86, v87, v111
	v_mul_f32_e32 v111, v88, v111
	s_waitcnt vmcnt(24)
	v_mul_f32_e32 v137, v89, v112
	v_mul_f32_e32 v112, v90, v112
	s_waitcnt vmcnt(23) lgkmcnt(4)
	v_mul_f32_e32 v138, v91, v113
	v_mul_f32_e32 v113, v92, v113
	s_waitcnt vmcnt(22)
	v_mul_f32_e32 v139, v93, v114
	v_mul_f32_e32 v114, v94, v114
	;; [unrolled: 6-line block ×3, first 2 shown]
	s_waitcnt vmcnt(13)
	v_fma_f32 v87, v87, v123, -v111
	v_fmac_f32_e32 v86, v88, v123
	s_waitcnt vmcnt(12)
	v_fma_f32 v88, v89, v124, -v112
	v_add_f32_e32 v87, 0, v87
	s_waitcnt vmcnt(11)
	v_fma_f32 v89, v91, v125, -v113
	v_add_f32_e32 v87, v87, v88
	v_fmac_f32_e32 v137, v90, v124
	s_waitcnt vmcnt(10)
	v_fma_f32 v90, v93, v126, -v114
	v_add_f32_e32 v87, v87, v89
	s_waitcnt vmcnt(9)
	v_fma_f32 v91, v95, v127, -v115
	v_add_f32_e32 v87, v87, v90
	s_waitcnt lgkmcnt(2)
	v_mul_f32_e32 v142, v99, v117
	v_mul_f32_e32 v117, v100, v117
	v_fmac_f32_e32 v138, v92, v125
	s_waitcnt vmcnt(8)
	v_fma_f32 v92, v97, v128, -v116
	v_add_f32_e32 v86, 0, v86
	v_add_f32_e32 v87, v87, v91
	v_mul_f32_e32 v143, v101, v118
	v_mul_f32_e32 v118, v102, v118
	s_waitcnt vmcnt(7)
	v_fma_f32 v93, v99, v129, -v117
	v_add_f32_e32 v86, v86, v137
	v_add_f32_e32 v87, v87, v92
	v_fmac_f32_e32 v139, v94, v126
	s_waitcnt vmcnt(6)
	v_fma_f32 v94, v101, v130, -v118
	v_add_f32_e32 v86, v86, v138
	v_add_f32_e32 v87, v87, v93
	s_waitcnt lgkmcnt(1)
	v_mul_f32_e32 v88, v104, v119
	v_fmac_f32_e32 v140, v96, v127
	v_add_f32_e32 v86, v86, v139
	v_add_f32_e32 v87, v87, v94
	s_waitcnt vmcnt(5)
	v_fma_f32 v88, v103, v131, -v88
	v_fmac_f32_e32 v141, v98, v128
	v_add_f32_e32 v86, v86, v140
	v_add_f32_e32 v87, v87, v88
	v_mul_f32_e32 v88, v106, v120
	v_fmac_f32_e32 v142, v100, v129
	v_add_f32_e32 v86, v86, v141
	s_waitcnt vmcnt(4)
	v_fma_f32 v88, v105, v132, -v88
	v_mul_f32_e32 v144, v103, v119
	v_fmac_f32_e32 v143, v102, v130
	v_add_f32_e32 v86, v86, v142
	v_add_f32_e32 v87, v87, v88
	s_waitcnt lgkmcnt(0)
	v_mul_f32_e32 v88, v108, v121
	v_mul_f32_e32 v145, v105, v120
	v_fmac_f32_e32 v144, v104, v131
	v_add_f32_e32 v86, v86, v143
	s_waitcnt vmcnt(3)
	v_fma_f32 v88, v107, v133, -v88
	v_mul_f32_e32 v146, v107, v121
	v_fmac_f32_e32 v145, v106, v132
	v_add_f32_e32 v86, v86, v144
	v_add_f32_e32 v87, v87, v88
	v_mul_f32_e32 v88, v110, v122
	v_mul_f32_e32 v147, v109, v122
	v_fmac_f32_e32 v146, v108, v133
	v_add_f32_e32 v86, v86, v145
	s_waitcnt vmcnt(2)
	v_fma_f32 v88, v109, v134, -v88
	v_fmac_f32_e32 v147, v110, v134
	v_add_f32_e32 v86, v86, v146
	v_add_f32_e32 v87, v87, v88
	;; [unrolled: 1-line block ×3, first 2 shown]
	s_waitcnt vmcnt(1)
	v_sub_f32_e32 v87, v135, v87
	s_waitcnt vmcnt(0)
	v_sub_f32_e32 v86, v136, v86
	buffer_store_dword v87, off, s[0:3], 0 offset:232
	buffer_store_dword v86, off, s[0:3], 0 offset:236
	s_and_saveexec_b64 s[4:5], vcc
	s_cbranch_execz .LBB41_209
; %bb.208:
	buffer_load_dword v86, off, s[0:3], 0 offset:224
	buffer_load_dword v87, off, s[0:3], 0 offset:228
	v_mov_b32_e32 v88, 0
	buffer_store_dword v88, off, s[0:3], 0 offset:224
	buffer_store_dword v88, off, s[0:3], 0 offset:228
	s_waitcnt vmcnt(2)
	ds_write_b64 v85, v[86:87]
.LBB41_209:
	s_or_b64 exec, exec, s[4:5]
	s_waitcnt lgkmcnt(0)
	; wave barrier
	buffer_load_dword v113, off, s[0:3], 0 offset:236
	buffer_load_dword v114, off, s[0:3], 0 offset:244
	;; [unrolled: 1-line block ×28, first 2 shown]
	v_mov_b32_e32 v86, 0
	ds_read2_b64 v[87:90], v86 offset0:71 offset1:72
	ds_read2_b64 v[91:94], v86 offset0:73 offset1:74
	;; [unrolled: 1-line block ×6, first 2 shown]
	ds_read_b64 v[111:112], v86 offset:664
	v_cmp_lt_u32_e32 vcc, 27, v0
	s_waitcnt vmcnt(27) lgkmcnt(6)
	v_mul_f32_e32 v141, v87, v113
	v_mul_f32_e32 v113, v88, v113
	s_waitcnt vmcnt(26)
	v_mul_f32_e32 v142, v89, v114
	v_mul_f32_e32 v114, v90, v114
	s_waitcnt vmcnt(25) lgkmcnt(5)
	v_mul_f32_e32 v143, v91, v115
	v_mul_f32_e32 v115, v92, v115
	s_waitcnt vmcnt(24)
	v_mul_f32_e32 v144, v93, v116
	v_mul_f32_e32 v116, v94, v116
	;; [unrolled: 6-line block ×3, first 2 shown]
	s_waitcnt vmcnt(21) lgkmcnt(3)
	v_mul_f32_e32 v147, v99, v119
	s_waitcnt vmcnt(14)
	v_fma_f32 v87, v87, v126, -v113
	v_fmac_f32_e32 v141, v88, v126
	s_waitcnt vmcnt(13)
	v_fma_f32 v88, v89, v127, -v114
	v_add_f32_e32 v87, 0, v87
	s_waitcnt vmcnt(12)
	v_fma_f32 v89, v91, v128, -v115
	v_add_f32_e32 v87, v87, v88
	v_fmac_f32_e32 v142, v90, v127
	s_waitcnt vmcnt(11)
	v_fma_f32 v90, v93, v129, -v116
	v_add_f32_e32 v87, v87, v89
	s_waitcnt vmcnt(10)
	v_fma_f32 v91, v95, v130, -v117
	v_add_f32_e32 v87, v87, v90
	v_fmac_f32_e32 v143, v92, v128
	s_waitcnt vmcnt(9)
	v_fma_f32 v92, v97, v131, -v118
	v_add_f32_e32 v87, v87, v91
	v_mul_f32_e32 v89, v100, v119
	v_add_f32_e32 v87, v87, v92
	s_waitcnt vmcnt(8)
	v_fma_f32 v89, v99, v132, -v89
	v_add_f32_e32 v87, v87, v89
	v_mul_f32_e32 v89, v102, v120
	v_add_f32_e32 v93, 0, v141
	s_waitcnt vmcnt(7)
	v_fma_f32 v89, v101, v133, -v89
	v_add_f32_e32 v93, v93, v142
	v_add_f32_e32 v87, v87, v89
	s_waitcnt lgkmcnt(2)
	v_mul_f32_e32 v89, v104, v121
	v_fmac_f32_e32 v144, v94, v129
	v_add_f32_e32 v88, v93, v143
	s_waitcnt vmcnt(6)
	v_fma_f32 v89, v103, v134, -v89
	v_fmac_f32_e32 v145, v96, v130
	v_add_f32_e32 v88, v88, v144
	v_add_f32_e32 v87, v87, v89
	v_mul_f32_e32 v89, v106, v122
	v_fmac_f32_e32 v146, v98, v131
	v_add_f32_e32 v88, v88, v145
	s_waitcnt vmcnt(5)
	v_fma_f32 v89, v105, v135, -v89
	v_mul_f32_e32 v148, v101, v120
	v_fmac_f32_e32 v147, v100, v132
	v_add_f32_e32 v88, v88, v146
	v_add_f32_e32 v87, v87, v89
	s_waitcnt lgkmcnt(1)
	v_mul_f32_e32 v89, v108, v123
	v_mul_f32_e32 v149, v103, v121
	v_fmac_f32_e32 v148, v102, v133
	v_add_f32_e32 v88, v88, v147
	s_waitcnt vmcnt(4)
	v_fma_f32 v89, v107, v136, -v89
	v_mul_f32_e32 v150, v105, v122
	v_fmac_f32_e32 v149, v104, v134
	v_add_f32_e32 v88, v88, v148
	v_add_f32_e32 v87, v87, v89
	v_mul_f32_e32 v89, v110, v124
	v_mul_f32_e32 v151, v107, v123
	v_fmac_f32_e32 v150, v106, v135
	v_add_f32_e32 v88, v88, v149
	s_waitcnt vmcnt(3)
	v_fma_f32 v89, v109, v137, -v89
	v_mul_f32_e32 v152, v109, v124
	v_fmac_f32_e32 v151, v108, v136
	v_add_f32_e32 v88, v88, v150
	v_add_f32_e32 v87, v87, v89
	s_waitcnt lgkmcnt(0)
	v_mul_f32_e32 v89, v112, v125
	v_mul_f32_e32 v153, v111, v125
	v_fmac_f32_e32 v152, v110, v137
	v_add_f32_e32 v88, v88, v151
	s_waitcnt vmcnt(2)
	v_fma_f32 v89, v111, v138, -v89
	v_fmac_f32_e32 v153, v112, v138
	v_add_f32_e32 v88, v88, v152
	v_add_f32_e32 v87, v87, v89
	;; [unrolled: 1-line block ×3, first 2 shown]
	s_waitcnt vmcnt(1)
	v_sub_f32_e32 v87, v139, v87
	s_waitcnt vmcnt(0)
	v_sub_f32_e32 v88, v140, v88
	buffer_store_dword v87, off, s[0:3], 0 offset:224
	buffer_store_dword v88, off, s[0:3], 0 offset:228
	s_and_saveexec_b64 s[4:5], vcc
	s_cbranch_execz .LBB41_211
; %bb.210:
	buffer_load_dword v87, off, s[0:3], 0 offset:216
	buffer_load_dword v88, off, s[0:3], 0 offset:220
	s_waitcnt vmcnt(0)
	ds_write_b64 v85, v[87:88]
	buffer_store_dword v86, off, s[0:3], 0 offset:216
	buffer_store_dword v86, off, s[0:3], 0 offset:220
.LBB41_211:
	s_or_b64 exec, exec, s[4:5]
	s_waitcnt lgkmcnt(0)
	; wave barrier
	buffer_load_dword v115, off, s[0:3], 0 offset:228
	buffer_load_dword v116, off, s[0:3], 0 offset:236
	;; [unrolled: 1-line block ×30, first 2 shown]
	ds_read_b128 v[87:90], v86 offset:560
	ds_read_b128 v[91:94], v86 offset:576
	ds_read_b128 v[95:98], v86 offset:592
	ds_read_b128 v[99:102], v86 offset:608
	ds_read_b128 v[103:106], v86 offset:624
	ds_read_b128 v[107:110], v86 offset:640
	ds_read_b128 v[111:114], v86 offset:656
	v_cmp_lt_u32_e32 vcc, 26, v0
	s_waitcnt vmcnt(29) lgkmcnt(6)
	v_mul_f32_e32 v86, v87, v115
	v_mul_f32_e32 v115, v88, v115
	s_waitcnt vmcnt(28)
	v_mul_f32_e32 v145, v89, v116
	v_mul_f32_e32 v116, v90, v116
	s_waitcnt vmcnt(27) lgkmcnt(5)
	v_mul_f32_e32 v146, v91, v117
	v_mul_f32_e32 v117, v92, v117
	s_waitcnt vmcnt(26)
	v_mul_f32_e32 v147, v93, v118
	v_mul_f32_e32 v118, v94, v118
	s_waitcnt vmcnt(25) lgkmcnt(4)
	v_mul_f32_e32 v148, v95, v119
	v_mul_f32_e32 v119, v96, v119
	s_waitcnt vmcnt(24)
	v_mul_f32_e32 v149, v97, v120
	s_waitcnt vmcnt(23) lgkmcnt(3)
	v_mul_f32_e32 v150, v99, v121
	s_waitcnt vmcnt(22)
	v_mul_f32_e32 v151, v101, v122
	s_waitcnt vmcnt(21) lgkmcnt(2)
	v_mul_f32_e32 v152, v103, v123
	s_waitcnt vmcnt(15)
	v_fma_f32 v87, v87, v129, -v115
	v_fmac_f32_e32 v86, v88, v129
	s_waitcnt vmcnt(14)
	v_fma_f32 v88, v89, v130, -v116
	v_add_f32_e32 v87, 0, v87
	s_waitcnt vmcnt(13)
	v_fma_f32 v89, v91, v131, -v117
	v_add_f32_e32 v87, v87, v88
	v_fmac_f32_e32 v145, v90, v130
	s_waitcnt vmcnt(12)
	v_fma_f32 v90, v93, v132, -v118
	v_add_f32_e32 v87, v87, v89
	s_waitcnt vmcnt(11)
	v_fma_f32 v91, v95, v133, -v119
	v_add_f32_e32 v87, v87, v90
	v_mul_f32_e32 v88, v98, v120
	v_add_f32_e32 v87, v87, v91
	s_waitcnt vmcnt(10)
	v_fma_f32 v88, v97, v134, -v88
	v_add_f32_e32 v87, v87, v88
	v_mul_f32_e32 v88, v100, v121
	s_waitcnt vmcnt(9)
	v_fma_f32 v88, v99, v135, -v88
	v_add_f32_e32 v87, v87, v88
	v_mul_f32_e32 v88, v102, v122
	s_waitcnt vmcnt(8)
	v_fma_f32 v88, v101, v136, -v88
	v_add_f32_e32 v86, 0, v86
	v_add_f32_e32 v87, v87, v88
	v_mul_f32_e32 v88, v104, v123
	v_fmac_f32_e32 v146, v92, v131
	v_add_f32_e32 v86, v86, v145
	s_waitcnt vmcnt(7)
	v_fma_f32 v88, v103, v137, -v88
	v_fmac_f32_e32 v147, v94, v132
	v_add_f32_e32 v86, v86, v146
	v_add_f32_e32 v87, v87, v88
	v_mul_f32_e32 v88, v106, v124
	v_fmac_f32_e32 v148, v96, v133
	v_add_f32_e32 v86, v86, v147
	s_waitcnt vmcnt(6)
	v_fma_f32 v88, v105, v138, -v88
	v_fmac_f32_e32 v149, v98, v134
	v_add_f32_e32 v86, v86, v148
	v_add_f32_e32 v87, v87, v88
	s_waitcnt lgkmcnt(1)
	v_mul_f32_e32 v88, v108, v125
	v_fmac_f32_e32 v150, v100, v135
	v_add_f32_e32 v86, v86, v149
	s_waitcnt vmcnt(5)
	v_fma_f32 v88, v107, v139, -v88
	v_fmac_f32_e32 v151, v102, v136
	v_add_f32_e32 v86, v86, v150
	v_add_f32_e32 v87, v87, v88
	v_mul_f32_e32 v88, v110, v126
	v_mul_f32_e32 v153, v105, v124
	v_fmac_f32_e32 v152, v104, v137
	v_add_f32_e32 v86, v86, v151
	s_waitcnt vmcnt(4)
	v_fma_f32 v88, v109, v140, -v88
	v_mul_f32_e32 v154, v107, v125
	v_fmac_f32_e32 v153, v106, v138
	v_add_f32_e32 v86, v86, v152
	v_add_f32_e32 v87, v87, v88
	s_waitcnt lgkmcnt(0)
	v_mul_f32_e32 v88, v112, v127
	v_mul_f32_e32 v155, v109, v126
	v_fmac_f32_e32 v154, v108, v139
	v_add_f32_e32 v86, v86, v153
	s_waitcnt vmcnt(3)
	v_fma_f32 v88, v111, v141, -v88
	v_mul_f32_e32 v156, v111, v127
	v_fmac_f32_e32 v155, v110, v140
	v_add_f32_e32 v86, v86, v154
	v_add_f32_e32 v87, v87, v88
	v_mul_f32_e32 v88, v114, v128
	v_mul_f32_e32 v157, v113, v128
	v_fmac_f32_e32 v156, v112, v141
	v_add_f32_e32 v86, v86, v155
	s_waitcnt vmcnt(2)
	v_fma_f32 v88, v113, v142, -v88
	v_fmac_f32_e32 v157, v114, v142
	v_add_f32_e32 v86, v86, v156
	v_add_f32_e32 v87, v87, v88
	;; [unrolled: 1-line block ×3, first 2 shown]
	s_waitcnt vmcnt(1)
	v_sub_f32_e32 v87, v143, v87
	s_waitcnt vmcnt(0)
	v_sub_f32_e32 v86, v144, v86
	buffer_store_dword v87, off, s[0:3], 0 offset:216
	buffer_store_dword v86, off, s[0:3], 0 offset:220
	s_and_saveexec_b64 s[4:5], vcc
	s_cbranch_execz .LBB41_213
; %bb.212:
	buffer_load_dword v86, off, s[0:3], 0 offset:208
	buffer_load_dword v87, off, s[0:3], 0 offset:212
	v_mov_b32_e32 v88, 0
	buffer_store_dword v88, off, s[0:3], 0 offset:208
	buffer_store_dword v88, off, s[0:3], 0 offset:212
	s_waitcnt vmcnt(2)
	ds_write_b64 v85, v[86:87]
.LBB41_213:
	s_or_b64 exec, exec, s[4:5]
	s_waitcnt lgkmcnt(0)
	; wave barrier
	buffer_load_dword v117, off, s[0:3], 0 offset:220
	buffer_load_dword v118, off, s[0:3], 0 offset:228
	;; [unrolled: 1-line block ×32, first 2 shown]
	v_mov_b32_e32 v86, 0
	ds_read2_b64 v[87:90], v86 offset0:69 offset1:70
	ds_read2_b64 v[91:94], v86 offset0:71 offset1:72
	;; [unrolled: 1-line block ×7, first 2 shown]
	ds_read_b64 v[115:116], v86 offset:664
	v_cmp_lt_u32_e32 vcc, 25, v0
	s_waitcnt vmcnt(31) lgkmcnt(7)
	v_mul_f32_e32 v149, v87, v117
	v_mul_f32_e32 v117, v88, v117
	s_waitcnt vmcnt(30)
	v_mul_f32_e32 v150, v89, v118
	v_mul_f32_e32 v118, v90, v118
	s_waitcnt vmcnt(29) lgkmcnt(6)
	v_mul_f32_e32 v151, v91, v119
	v_mul_f32_e32 v119, v92, v119
	s_waitcnt vmcnt(28)
	v_mul_f32_e32 v152, v93, v120
	s_waitcnt vmcnt(27) lgkmcnt(5)
	v_mul_f32_e32 v153, v95, v121
	s_waitcnt vmcnt(26)
	v_mul_f32_e32 v154, v97, v122
	s_waitcnt vmcnt(25) lgkmcnt(4)
	;; [unrolled: 4-line block ×4, first 2 shown]
	v_mul_f32_e32 v159, v107, v127
	s_waitcnt vmcnt(20)
	v_mul_f32_e32 v160, v109, v128
	s_waitcnt vmcnt(16)
	v_fma_f32 v87, v87, v132, -v117
	v_fmac_f32_e32 v149, v88, v132
	s_waitcnt vmcnt(15)
	v_fma_f32 v88, v89, v133, -v118
	v_add_f32_e32 v87, 0, v87
	s_waitcnt vmcnt(14)
	v_fma_f32 v89, v91, v134, -v119
	v_add_f32_e32 v87, v87, v88
	v_add_f32_e32 v87, v87, v89
	v_mul_f32_e32 v89, v94, v120
	s_waitcnt vmcnt(13)
	v_fma_f32 v89, v93, v135, -v89
	v_add_f32_e32 v87, v87, v89
	v_mul_f32_e32 v89, v96, v121
	s_waitcnt vmcnt(12)
	v_fma_f32 v89, v95, v136, -v89
	;; [unrolled: 4-line block ×5, first 2 shown]
	v_add_f32_e32 v87, v87, v89
	v_mul_f32_e32 v89, v104, v125
	v_fmac_f32_e32 v150, v90, v133
	v_add_f32_e32 v90, 0, v149
	s_waitcnt vmcnt(8)
	v_fma_f32 v89, v103, v140, -v89
	v_fmac_f32_e32 v151, v92, v134
	v_add_f32_e32 v90, v90, v150
	v_add_f32_e32 v87, v87, v89
	v_mul_f32_e32 v89, v106, v126
	v_fmac_f32_e32 v152, v94, v135
	v_add_f32_e32 v88, v90, v151
	s_waitcnt vmcnt(7)
	v_fma_f32 v89, v105, v141, -v89
	v_fmac_f32_e32 v153, v96, v136
	v_add_f32_e32 v88, v88, v152
	;; [unrolled: 8-line block ×4, first 2 shown]
	v_add_f32_e32 v87, v87, v89
	s_waitcnt lgkmcnt(1)
	v_mul_f32_e32 v89, v112, v129
	v_fmac_f32_e32 v158, v106, v141
	v_add_f32_e32 v88, v88, v157
	s_waitcnt vmcnt(4)
	v_fma_f32 v89, v111, v144, -v89
	v_fmac_f32_e32 v159, v108, v142
	v_add_f32_e32 v88, v88, v158
	v_add_f32_e32 v87, v87, v89
	v_mul_f32_e32 v89, v114, v130
	v_mul_f32_e32 v161, v111, v129
	v_fmac_f32_e32 v160, v110, v143
	v_add_f32_e32 v88, v88, v159
	s_waitcnt vmcnt(3)
	v_fma_f32 v89, v113, v145, -v89
	v_mul_f32_e32 v162, v113, v130
	v_fmac_f32_e32 v161, v112, v144
	v_add_f32_e32 v88, v88, v160
	v_add_f32_e32 v87, v87, v89
	s_waitcnt lgkmcnt(0)
	v_mul_f32_e32 v89, v116, v131
	v_mul_f32_e32 v163, v115, v131
	v_fmac_f32_e32 v162, v114, v145
	v_add_f32_e32 v88, v88, v161
	s_waitcnt vmcnt(2)
	v_fma_f32 v89, v115, v146, -v89
	v_fmac_f32_e32 v163, v116, v146
	v_add_f32_e32 v88, v88, v162
	v_add_f32_e32 v87, v87, v89
	;; [unrolled: 1-line block ×3, first 2 shown]
	s_waitcnt vmcnt(1)
	v_sub_f32_e32 v87, v147, v87
	s_waitcnt vmcnt(0)
	v_sub_f32_e32 v88, v148, v88
	buffer_store_dword v87, off, s[0:3], 0 offset:208
	buffer_store_dword v88, off, s[0:3], 0 offset:212
	s_and_saveexec_b64 s[4:5], vcc
	s_cbranch_execz .LBB41_215
; %bb.214:
	buffer_load_dword v87, off, s[0:3], 0 offset:200
	buffer_load_dword v88, off, s[0:3], 0 offset:204
	s_waitcnt vmcnt(0)
	ds_write_b64 v85, v[87:88]
	buffer_store_dword v86, off, s[0:3], 0 offset:200
	buffer_store_dword v86, off, s[0:3], 0 offset:204
.LBB41_215:
	s_or_b64 exec, exec, s[4:5]
	s_waitcnt lgkmcnt(0)
	; wave barrier
	buffer_load_dword v119, off, s[0:3], 0 offset:212
	buffer_load_dword v120, off, s[0:3], 0 offset:220
	buffer_load_dword v121, off, s[0:3], 0 offset:228
	buffer_load_dword v122, off, s[0:3], 0 offset:236
	buffer_load_dword v123, off, s[0:3], 0 offset:244
	buffer_load_dword v124, off, s[0:3], 0 offset:252
	buffer_load_dword v125, off, s[0:3], 0 offset:260
	buffer_load_dword v126, off, s[0:3], 0 offset:268
	buffer_load_dword v127, off, s[0:3], 0 offset:276
	buffer_load_dword v128, off, s[0:3], 0 offset:284
	buffer_load_dword v129, off, s[0:3], 0 offset:292
	buffer_load_dword v130, off, s[0:3], 0 offset:300
	buffer_load_dword v131, off, s[0:3], 0 offset:308
	buffer_load_dword v132, off, s[0:3], 0 offset:316
	buffer_load_dword v133, off, s[0:3], 0 offset:324
	buffer_load_dword v134, off, s[0:3], 0 offset:332
	buffer_load_dword v135, off, s[0:3], 0 offset:208
	buffer_load_dword v136, off, s[0:3], 0 offset:216
	buffer_load_dword v137, off, s[0:3], 0 offset:224
	buffer_load_dword v138, off, s[0:3], 0 offset:232
	buffer_load_dword v139, off, s[0:3], 0 offset:240
	buffer_load_dword v140, off, s[0:3], 0 offset:248
	buffer_load_dword v141, off, s[0:3], 0 offset:256
	buffer_load_dword v142, off, s[0:3], 0 offset:264
	buffer_load_dword v143, off, s[0:3], 0 offset:272
	buffer_load_dword v144, off, s[0:3], 0 offset:280
	buffer_load_dword v145, off, s[0:3], 0 offset:288
	buffer_load_dword v146, off, s[0:3], 0 offset:296
	buffer_load_dword v147, off, s[0:3], 0 offset:304
	buffer_load_dword v148, off, s[0:3], 0 offset:312
	buffer_load_dword v149, off, s[0:3], 0 offset:320
	buffer_load_dword v150, off, s[0:3], 0 offset:328
	buffer_load_dword v151, off, s[0:3], 0 offset:200
	buffer_load_dword v152, off, s[0:3], 0 offset:204
	ds_read_b128 v[87:90], v86 offset:544
	ds_read_b128 v[91:94], v86 offset:560
	;; [unrolled: 1-line block ×8, first 2 shown]
	v_cmp_lt_u32_e32 vcc, 24, v0
	s_waitcnt vmcnt(33) lgkmcnt(7)
	v_mul_f32_e32 v86, v87, v119
	v_mul_f32_e32 v119, v88, v119
	s_waitcnt vmcnt(32)
	v_mul_f32_e32 v153, v89, v120
	v_mul_f32_e32 v120, v90, v120
	s_waitcnt vmcnt(31) lgkmcnt(6)
	v_mul_f32_e32 v154, v91, v121
	s_waitcnt vmcnt(30)
	v_mul_f32_e32 v155, v93, v122
	s_waitcnt vmcnt(29) lgkmcnt(5)
	v_mul_f32_e32 v156, v95, v123
	s_waitcnt vmcnt(28)
	;; [unrolled: 4-line block ×6, first 2 shown]
	v_mul_f32_e32 v165, v113, v132
	s_waitcnt vmcnt(17)
	v_fma_f32 v87, v87, v135, -v119
	v_fmac_f32_e32 v86, v88, v135
	s_waitcnt vmcnt(16)
	v_fma_f32 v88, v89, v136, -v120
	v_add_f32_e32 v87, 0, v87
	v_add_f32_e32 v87, v87, v88
	v_mul_f32_e32 v88, v92, v121
	s_waitcnt vmcnt(15)
	v_fma_f32 v88, v91, v137, -v88
	v_add_f32_e32 v87, v87, v88
	v_mul_f32_e32 v88, v94, v122
	s_waitcnt vmcnt(14)
	v_fma_f32 v88, v93, v138, -v88
	;; [unrolled: 4-line block ×7, first 2 shown]
	v_fmac_f32_e32 v153, v90, v136
	v_add_f32_e32 v86, 0, v86
	v_add_f32_e32 v87, v87, v88
	v_mul_f32_e32 v88, v106, v128
	v_fmac_f32_e32 v154, v92, v137
	v_add_f32_e32 v86, v86, v153
	s_waitcnt vmcnt(8)
	v_fma_f32 v88, v105, v144, -v88
	v_fmac_f32_e32 v155, v94, v138
	v_add_f32_e32 v86, v86, v154
	v_add_f32_e32 v87, v87, v88
	v_mul_f32_e32 v88, v108, v129
	v_fmac_f32_e32 v156, v96, v139
	v_add_f32_e32 v86, v86, v155
	s_waitcnt vmcnt(7)
	v_fma_f32 v88, v107, v145, -v88
	;; [unrolled: 8-line block ×5, first 2 shown]
	v_fmac_f32_e32 v163, v110, v146
	v_add_f32_e32 v86, v86, v162
	v_add_f32_e32 v87, v87, v88
	s_waitcnt lgkmcnt(0)
	v_mul_f32_e32 v88, v116, v133
	v_fmac_f32_e32 v164, v112, v147
	v_add_f32_e32 v86, v86, v163
	s_waitcnt vmcnt(3)
	v_fma_f32 v88, v115, v149, -v88
	v_mul_f32_e32 v166, v115, v133
	v_fmac_f32_e32 v165, v114, v148
	v_add_f32_e32 v86, v86, v164
	v_add_f32_e32 v87, v87, v88
	v_mul_f32_e32 v88, v118, v134
	v_mul_f32_e32 v167, v117, v134
	v_fmac_f32_e32 v166, v116, v149
	v_add_f32_e32 v86, v86, v165
	s_waitcnt vmcnt(2)
	v_fma_f32 v88, v117, v150, -v88
	v_fmac_f32_e32 v167, v118, v150
	v_add_f32_e32 v86, v86, v166
	v_add_f32_e32 v87, v87, v88
	;; [unrolled: 1-line block ×3, first 2 shown]
	s_waitcnt vmcnt(1)
	v_sub_f32_e32 v87, v151, v87
	s_waitcnt vmcnt(0)
	v_sub_f32_e32 v86, v152, v86
	buffer_store_dword v87, off, s[0:3], 0 offset:200
	buffer_store_dword v86, off, s[0:3], 0 offset:204
	s_and_saveexec_b64 s[4:5], vcc
	s_cbranch_execz .LBB41_217
; %bb.216:
	buffer_load_dword v86, off, s[0:3], 0 offset:192
	buffer_load_dword v87, off, s[0:3], 0 offset:196
	v_mov_b32_e32 v88, 0
	buffer_store_dword v88, off, s[0:3], 0 offset:192
	buffer_store_dword v88, off, s[0:3], 0 offset:196
	s_waitcnt vmcnt(2)
	ds_write_b64 v85, v[86:87]
.LBB41_217:
	s_or_b64 exec, exec, s[4:5]
	s_waitcnt lgkmcnt(0)
	; wave barrier
	buffer_load_dword v121, off, s[0:3], 0 offset:204
	buffer_load_dword v122, off, s[0:3], 0 offset:212
	;; [unrolled: 1-line block ×36, first 2 shown]
	v_mov_b32_e32 v86, 0
	ds_read2_b64 v[87:90], v86 offset0:67 offset1:68
	ds_read2_b64 v[91:94], v86 offset0:69 offset1:70
	;; [unrolled: 1-line block ×8, first 2 shown]
	ds_read_b64 v[119:120], v86 offset:664
	v_cmp_lt_u32_e32 vcc, 23, v0
	s_waitcnt vmcnt(35) lgkmcnt(8)
	v_mul_f32_e32 v157, v87, v121
	s_waitcnt vmcnt(34)
	v_mul_f32_e32 v158, v89, v122
	s_waitcnt vmcnt(33) lgkmcnt(7)
	v_mul_f32_e32 v159, v91, v123
	s_waitcnt vmcnt(32)
	v_mul_f32_e32 v160, v93, v124
	;; [unrolled: 4-line block ×8, first 2 shown]
	s_waitcnt vmcnt(19) lgkmcnt(0)
	v_mul_f32_e32 v173, v119, v137
	s_waitcnt vmcnt(18)
	v_fmac_f32_e32 v157, v88, v138
	v_mul_f32_e32 v88, v88, v121
	v_fma_f32 v87, v87, v138, -v88
	v_mul_f32_e32 v88, v90, v122
	v_add_f32_e32 v87, 0, v87
	s_waitcnt vmcnt(17)
	v_fma_f32 v88, v89, v139, -v88
	v_add_f32_e32 v87, v87, v88
	v_mul_f32_e32 v88, v92, v123
	s_waitcnt vmcnt(16)
	v_fma_f32 v88, v91, v140, -v88
	v_add_f32_e32 v87, v87, v88
	v_mul_f32_e32 v88, v94, v124
	;; [unrolled: 4-line block ×8, first 2 shown]
	v_fmac_f32_e32 v158, v90, v139
	v_add_f32_e32 v157, 0, v157
	s_waitcnt vmcnt(9)
	v_fma_f32 v88, v105, v147, -v88
	v_fmac_f32_e32 v159, v92, v140
	v_add_f32_e32 v157, v157, v158
	v_add_f32_e32 v87, v87, v88
	v_mul_f32_e32 v88, v108, v131
	v_fmac_f32_e32 v160, v94, v141
	v_add_f32_e32 v157, v157, v159
	s_waitcnt vmcnt(8)
	v_fma_f32 v88, v107, v148, -v88
	v_fmac_f32_e32 v161, v96, v142
	v_add_f32_e32 v157, v157, v160
	v_add_f32_e32 v87, v87, v88
	v_mul_f32_e32 v88, v110, v132
	;; [unrolled: 8-line block ×7, first 2 shown]
	v_fmac_f32_e32 v172, v118, v153
	v_add_f32_e32 v157, v157, v171
	s_waitcnt vmcnt(2)
	v_fma_f32 v88, v119, v154, -v88
	v_fmac_f32_e32 v173, v120, v154
	v_add_f32_e32 v157, v157, v172
	v_add_f32_e32 v87, v87, v88
	;; [unrolled: 1-line block ×3, first 2 shown]
	s_waitcnt vmcnt(1)
	v_sub_f32_e32 v87, v155, v87
	s_waitcnt vmcnt(0)
	v_sub_f32_e32 v88, v156, v157
	buffer_store_dword v87, off, s[0:3], 0 offset:192
	buffer_store_dword v88, off, s[0:3], 0 offset:196
	s_and_saveexec_b64 s[4:5], vcc
	s_cbranch_execz .LBB41_219
; %bb.218:
	buffer_load_dword v87, off, s[0:3], 0 offset:184
	buffer_load_dword v88, off, s[0:3], 0 offset:188
	s_waitcnt vmcnt(0)
	ds_write_b64 v85, v[87:88]
	buffer_store_dword v86, off, s[0:3], 0 offset:184
	buffer_store_dword v86, off, s[0:3], 0 offset:188
.LBB41_219:
	s_or_b64 exec, exec, s[4:5]
	s_waitcnt lgkmcnt(0)
	; wave barrier
	buffer_load_dword v123, off, s[0:3], 0 offset:196
	buffer_load_dword v124, off, s[0:3], 0 offset:204
	;; [unrolled: 1-line block ×38, first 2 shown]
	ds_read_b128 v[87:90], v86 offset:528
	ds_read_b128 v[91:94], v86 offset:544
	;; [unrolled: 1-line block ×9, first 2 shown]
	v_cmp_lt_u32_e32 vcc, 22, v0
	s_waitcnt vmcnt(37) lgkmcnt(8)
	v_mul_f32_e32 v86, v87, v123
	s_waitcnt vmcnt(36)
	v_mul_f32_e32 v161, v89, v124
	s_waitcnt vmcnt(35) lgkmcnt(7)
	v_mul_f32_e32 v162, v91, v125
	s_waitcnt vmcnt(34)
	v_mul_f32_e32 v163, v93, v126
	;; [unrolled: 4-line block ×8, first 2 shown]
	s_waitcnt vmcnt(21) lgkmcnt(0)
	v_mul_f32_e32 v176, v119, v139
	s_waitcnt vmcnt(20)
	v_fmac_f32_e32 v86, v88, v140
	v_mul_f32_e32 v88, v88, v123
	v_fma_f32 v87, v87, v140, -v88
	v_mul_f32_e32 v88, v90, v124
	v_add_f32_e32 v87, 0, v87
	s_waitcnt vmcnt(19)
	v_fma_f32 v88, v89, v141, -v88
	v_add_f32_e32 v87, v87, v88
	v_mul_f32_e32 v88, v92, v125
	s_waitcnt vmcnt(18)
	v_fma_f32 v88, v91, v142, -v88
	v_add_f32_e32 v87, v87, v88
	v_mul_f32_e32 v88, v94, v126
	;; [unrolled: 4-line block ×8, first 2 shown]
	s_waitcnt vmcnt(11)
	v_fma_f32 v88, v105, v149, -v88
	v_fmac_f32_e32 v161, v90, v141
	v_add_f32_e32 v86, 0, v86
	v_add_f32_e32 v87, v87, v88
	v_mul_f32_e32 v88, v108, v133
	v_fmac_f32_e32 v162, v92, v142
	v_add_f32_e32 v86, v86, v161
	s_waitcnt vmcnt(10)
	v_fma_f32 v88, v107, v150, -v88
	v_fmac_f32_e32 v163, v94, v143
	v_add_f32_e32 v86, v86, v162
	v_add_f32_e32 v87, v87, v88
	v_mul_f32_e32 v88, v110, v134
	v_fmac_f32_e32 v164, v96, v144
	v_add_f32_e32 v86, v86, v163
	;; [unrolled: 8-line block ×7, first 2 shown]
	s_waitcnt vmcnt(4)
	v_fma_f32 v88, v119, v156, -v88
	v_fmac_f32_e32 v175, v118, v155
	v_add_f32_e32 v86, v86, v174
	v_add_f32_e32 v87, v87, v88
	s_waitcnt vmcnt(3)
	v_mul_f32_e32 v88, v122, v157
	v_add_f32_e32 v86, v86, v175
	v_fmac_f32_e32 v176, v120, v156
	v_mul_f32_e32 v161, v121, v157
	s_waitcnt vmcnt(2)
	v_fma_f32 v88, v121, v158, -v88
	v_add_f32_e32 v86, v86, v176
	v_fmac_f32_e32 v161, v122, v158
	v_add_f32_e32 v87, v87, v88
	v_add_f32_e32 v86, v86, v161
	s_waitcnt vmcnt(1)
	v_sub_f32_e32 v87, v159, v87
	s_waitcnt vmcnt(0)
	v_sub_f32_e32 v86, v160, v86
	buffer_store_dword v87, off, s[0:3], 0 offset:184
	buffer_store_dword v86, off, s[0:3], 0 offset:188
	s_and_saveexec_b64 s[4:5], vcc
	s_cbranch_execz .LBB41_221
; %bb.220:
	buffer_load_dword v86, off, s[0:3], 0 offset:176
	buffer_load_dword v87, off, s[0:3], 0 offset:180
	v_mov_b32_e32 v88, 0
	buffer_store_dword v88, off, s[0:3], 0 offset:176
	buffer_store_dword v88, off, s[0:3], 0 offset:180
	s_waitcnt vmcnt(2)
	ds_write_b64 v85, v[86:87]
.LBB41_221:
	s_or_b64 exec, exec, s[4:5]
	s_waitcnt lgkmcnt(0)
	; wave barrier
	buffer_load_dword v125, off, s[0:3], 0 offset:188
	buffer_load_dword v126, off, s[0:3], 0 offset:196
	;; [unrolled: 1-line block ×40, first 2 shown]
	v_mov_b32_e32 v86, 0
	ds_read2_b64 v[87:90], v86 offset0:65 offset1:66
	ds_read2_b64 v[91:94], v86 offset0:67 offset1:68
	;; [unrolled: 1-line block ×9, first 2 shown]
	v_cmp_lt_u32_e32 vcc, 21, v0
	s_waitcnt vmcnt(39) lgkmcnt(8)
	v_mul_f32_e32 v123, v87, v125
	s_waitcnt vmcnt(38)
	v_mul_f32_e32 v124, v89, v126
	s_waitcnt vmcnt(37) lgkmcnt(7)
	v_mul_f32_e32 v165, v91, v127
	s_waitcnt vmcnt(36)
	v_mul_f32_e32 v166, v93, v128
	;; [unrolled: 4-line block ×7, first 2 shown]
	s_waitcnt vmcnt(25) lgkmcnt(1)
	v_mul_f32_e32 v177, v115, v139
	s_waitcnt vmcnt(24)
	v_fmac_f32_e32 v123, v88, v140
	v_mul_f32_e32 v88, v88, v125
	v_fma_f32 v87, v87, v140, -v88
	v_mul_f32_e32 v88, v90, v126
	v_add_f32_e32 v87, 0, v87
	s_waitcnt vmcnt(23)
	v_fma_f32 v88, v89, v141, -v88
	v_add_f32_e32 v87, v87, v88
	v_mul_f32_e32 v88, v92, v127
	s_waitcnt vmcnt(22)
	v_fma_f32 v88, v91, v142, -v88
	v_add_f32_e32 v87, v87, v88
	v_mul_f32_e32 v88, v94, v128
	;; [unrolled: 4-line block ×6, first 2 shown]
	s_waitcnt vmcnt(17)
	v_fma_f32 v88, v101, v147, -v88
	v_fmac_f32_e32 v124, v90, v141
	v_add_f32_e32 v123, 0, v123
	v_add_f32_e32 v87, v87, v88
	v_mul_f32_e32 v88, v104, v133
	v_fmac_f32_e32 v165, v92, v142
	v_add_f32_e32 v123, v123, v124
	s_waitcnt vmcnt(16)
	v_fma_f32 v88, v103, v148, -v88
	v_fmac_f32_e32 v166, v94, v143
	v_add_f32_e32 v123, v123, v165
	v_add_f32_e32 v87, v87, v88
	v_mul_f32_e32 v88, v106, v134
	v_fmac_f32_e32 v167, v96, v144
	v_add_f32_e32 v123, v123, v166
	;; [unrolled: 8-line block ×6, first 2 shown]
	s_waitcnt vmcnt(11)
	v_fma_f32 v88, v113, v153, -v88
	v_fmac_f32_e32 v176, v114, v153
	v_add_f32_e32 v123, v123, v175
	v_add_f32_e32 v87, v87, v88
	v_mul_f32_e32 v88, v116, v139
	s_waitcnt vmcnt(10)
	v_fmac_f32_e32 v177, v116, v154
	v_add_f32_e32 v123, v123, v176
	s_waitcnt vmcnt(9)
	v_mul_f32_e32 v124, v117, v155
	v_fma_f32 v88, v115, v154, -v88
	v_add_f32_e32 v123, v123, v177
	s_waitcnt vmcnt(8)
	v_fmac_f32_e32 v124, v118, v156
	v_add_f32_e32 v87, v87, v88
	v_mul_f32_e32 v88, v118, v155
	v_add_f32_e32 v165, v123, v124
	ds_read_b64 v[123:124], v86 offset:664
	v_fma_f32 v88, v117, v156, -v88
	v_add_f32_e32 v87, v87, v88
	s_waitcnt vmcnt(7) lgkmcnt(1)
	v_mul_f32_e32 v88, v120, v157
	v_mul_f32_e32 v166, v119, v157
	s_waitcnt vmcnt(6)
	v_fma_f32 v88, v119, v158, -v88
	v_fmac_f32_e32 v166, v120, v158
	v_add_f32_e32 v87, v87, v88
	s_waitcnt vmcnt(5)
	v_mul_f32_e32 v88, v122, v159
	v_add_f32_e32 v165, v165, v166
	v_mul_f32_e32 v166, v121, v159
	s_waitcnt vmcnt(4)
	v_fma_f32 v88, v121, v160, -v88
	v_fmac_f32_e32 v166, v122, v160
	v_add_f32_e32 v87, v87, v88
	s_waitcnt vmcnt(3) lgkmcnt(0)
	v_mul_f32_e32 v88, v124, v161
	v_add_f32_e32 v165, v165, v166
	v_mul_f32_e32 v166, v123, v161
	s_waitcnt vmcnt(2)
	v_fma_f32 v88, v123, v162, -v88
	v_fmac_f32_e32 v166, v124, v162
	v_add_f32_e32 v87, v87, v88
	v_add_f32_e32 v165, v165, v166
	s_waitcnt vmcnt(1)
	v_sub_f32_e32 v87, v163, v87
	s_waitcnt vmcnt(0)
	v_sub_f32_e32 v88, v164, v165
	buffer_store_dword v87, off, s[0:3], 0 offset:176
	buffer_store_dword v88, off, s[0:3], 0 offset:180
	s_and_saveexec_b64 s[4:5], vcc
	s_cbranch_execz .LBB41_223
; %bb.222:
	buffer_load_dword v87, off, s[0:3], 0 offset:168
	buffer_load_dword v88, off, s[0:3], 0 offset:172
	s_waitcnt vmcnt(0)
	ds_write_b64 v85, v[87:88]
	buffer_store_dword v86, off, s[0:3], 0 offset:168
	buffer_store_dword v86, off, s[0:3], 0 offset:172
.LBB41_223:
	s_or_b64 exec, exec, s[4:5]
	s_waitcnt lgkmcnt(0)
	; wave barrier
	buffer_load_dword v127, off, s[0:3], 0 offset:180
	buffer_load_dword v128, off, s[0:3], 0 offset:188
	;; [unrolled: 1-line block ×42, first 2 shown]
	ds_read_b128 v[87:90], v86 offset:512
	ds_read_b128 v[91:94], v86 offset:528
	;; [unrolled: 1-line block ×8, first 2 shown]
	v_cmp_lt_u32_e32 vcc, 20, v0
	s_waitcnt vmcnt(41) lgkmcnt(7)
	v_mul_f32_e32 v119, v87, v127
	s_waitcnt vmcnt(40)
	v_mul_f32_e32 v120, v89, v128
	s_waitcnt vmcnt(39) lgkmcnt(6)
	v_mul_f32_e32 v121, v91, v129
	s_waitcnt vmcnt(38)
	v_mul_f32_e32 v122, v93, v130
	;; [unrolled: 4-line block ×7, first 2 shown]
	s_waitcnt vmcnt(27) lgkmcnt(0)
	v_mul_f32_e32 v175, v115, v141
	s_waitcnt vmcnt(26)
	v_fmac_f32_e32 v119, v88, v142
	v_mul_f32_e32 v88, v88, v127
	v_fma_f32 v87, v87, v142, -v88
	v_mul_f32_e32 v88, v90, v128
	v_add_f32_e32 v87, 0, v87
	s_waitcnt vmcnt(25)
	v_fma_f32 v88, v89, v143, -v88
	v_add_f32_e32 v87, v87, v88
	v_mul_f32_e32 v88, v92, v129
	s_waitcnt vmcnt(24)
	v_fma_f32 v88, v91, v144, -v88
	v_add_f32_e32 v87, v87, v88
	v_mul_f32_e32 v88, v94, v130
	s_waitcnt vmcnt(23)
	v_fma_f32 v88, v93, v145, -v88
	v_add_f32_e32 v87, v87, v88
	v_mul_f32_e32 v88, v96, v131
	s_waitcnt vmcnt(22)
	v_fma_f32 v88, v95, v146, -v88
	v_add_f32_e32 v87, v87, v88
	v_mul_f32_e32 v88, v98, v132
	s_waitcnt vmcnt(21)
	v_fma_f32 v88, v97, v147, -v88
	v_add_f32_e32 v87, v87, v88
	v_mul_f32_e32 v88, v100, v133
	v_fmac_f32_e32 v120, v90, v143
	v_add_f32_e32 v119, 0, v119
	s_waitcnt vmcnt(20)
	v_fma_f32 v88, v99, v148, -v88
	v_fmac_f32_e32 v121, v92, v144
	v_add_f32_e32 v119, v119, v120
	v_add_f32_e32 v87, v87, v88
	v_mul_f32_e32 v88, v102, v134
	v_fmac_f32_e32 v122, v94, v145
	v_add_f32_e32 v119, v119, v121
	s_waitcnt vmcnt(19)
	v_fma_f32 v88, v101, v149, -v88
	v_fmac_f32_e32 v123, v96, v146
	v_add_f32_e32 v119, v119, v122
	v_add_f32_e32 v87, v87, v88
	v_mul_f32_e32 v88, v104, v135
	;; [unrolled: 8-line block ×5, first 2 shown]
	s_waitcnt vmcnt(15)
	v_fmac_f32_e32 v172, v110, v153
	v_add_f32_e32 v119, v119, v171
	v_fma_f32 v88, v109, v153, -v88
	s_waitcnt vmcnt(14)
	v_fmac_f32_e32 v173, v112, v154
	v_add_f32_e32 v119, v119, v172
	v_add_f32_e32 v87, v87, v88
	v_mul_f32_e32 v88, v112, v139
	s_waitcnt vmcnt(13)
	v_fmac_f32_e32 v174, v114, v155
	v_add_f32_e32 v119, v119, v173
	v_fma_f32 v88, v111, v154, -v88
	s_waitcnt vmcnt(12)
	v_fmac_f32_e32 v175, v116, v156
	v_add_f32_e32 v119, v119, v174
	v_add_f32_e32 v87, v87, v88
	v_mul_f32_e32 v88, v114, v140
	v_add_f32_e32 v123, v119, v175
	ds_read_b128 v[119:122], v86 offset:640
	v_fma_f32 v88, v113, v155, -v88
	v_add_f32_e32 v87, v87, v88
	v_mul_f32_e32 v88, v116, v141
	s_waitcnt vmcnt(11)
	v_mul_f32_e32 v124, v117, v157
	v_fma_f32 v88, v115, v156, -v88
	s_waitcnt vmcnt(10)
	v_fmac_f32_e32 v124, v118, v158
	v_add_f32_e32 v87, v87, v88
	v_mul_f32_e32 v88, v118, v157
	v_add_f32_e32 v169, v123, v124
	ds_read_b128 v[123:126], v86 offset:656
	v_fma_f32 v88, v117, v158, -v88
	v_add_f32_e32 v87, v87, v88
	s_waitcnt vmcnt(9) lgkmcnt(1)
	v_mul_f32_e32 v88, v120, v159
	v_mul_f32_e32 v86, v119, v159
	s_waitcnt vmcnt(8)
	v_fma_f32 v88, v119, v160, -v88
	v_fmac_f32_e32 v86, v120, v160
	v_add_f32_e32 v87, v87, v88
	s_waitcnt vmcnt(7)
	v_mul_f32_e32 v88, v122, v161
	v_add_f32_e32 v86, v169, v86
	v_mul_f32_e32 v169, v121, v161
	s_waitcnt vmcnt(6)
	v_fma_f32 v88, v121, v162, -v88
	v_fmac_f32_e32 v169, v122, v162
	v_add_f32_e32 v87, v87, v88
	s_waitcnt vmcnt(5) lgkmcnt(0)
	v_mul_f32_e32 v88, v124, v163
	v_add_f32_e32 v86, v86, v169
	v_mul_f32_e32 v169, v123, v163
	s_waitcnt vmcnt(4)
	v_fma_f32 v88, v123, v164, -v88
	v_fmac_f32_e32 v169, v124, v164
	v_add_f32_e32 v87, v87, v88
	s_waitcnt vmcnt(3)
	v_mul_f32_e32 v88, v126, v165
	v_add_f32_e32 v86, v86, v169
	v_mul_f32_e32 v169, v125, v165
	s_waitcnt vmcnt(2)
	v_fma_f32 v88, v125, v166, -v88
	v_fmac_f32_e32 v169, v126, v166
	v_add_f32_e32 v87, v87, v88
	v_add_f32_e32 v86, v86, v169
	s_waitcnt vmcnt(1)
	v_sub_f32_e32 v87, v167, v87
	s_waitcnt vmcnt(0)
	v_sub_f32_e32 v86, v168, v86
	buffer_store_dword v87, off, s[0:3], 0 offset:168
	buffer_store_dword v86, off, s[0:3], 0 offset:172
	s_and_saveexec_b64 s[4:5], vcc
	s_cbranch_execz .LBB41_225
; %bb.224:
	buffer_load_dword v86, off, s[0:3], 0 offset:160
	buffer_load_dword v87, off, s[0:3], 0 offset:164
	v_mov_b32_e32 v88, 0
	buffer_store_dword v88, off, s[0:3], 0 offset:160
	buffer_store_dword v88, off, s[0:3], 0 offset:164
	s_waitcnt vmcnt(2)
	ds_write_b64 v85, v[86:87]
.LBB41_225:
	s_or_b64 exec, exec, s[4:5]
	s_waitcnt lgkmcnt(0)
	; wave barrier
	buffer_load_dword v129, off, s[0:3], 0 offset:172
	buffer_load_dword v130, off, s[0:3], 0 offset:180
	;; [unrolled: 1-line block ×44, first 2 shown]
	v_mov_b32_e32 v86, 0
	ds_read2_b64 v[87:90], v86 offset0:63 offset1:64
	ds_read2_b64 v[91:94], v86 offset0:65 offset1:66
	;; [unrolled: 1-line block ×8, first 2 shown]
	v_cmp_lt_u32_e32 vcc, 19, v0
	s_waitcnt vmcnt(43) lgkmcnt(7)
	v_mul_f32_e32 v119, v87, v129
	s_waitcnt vmcnt(42)
	v_mul_f32_e32 v120, v89, v130
	s_waitcnt vmcnt(41) lgkmcnt(6)
	v_mul_f32_e32 v121, v91, v131
	s_waitcnt vmcnt(40)
	v_mul_f32_e32 v122, v93, v132
	;; [unrolled: 4-line block ×7, first 2 shown]
	s_waitcnt vmcnt(29)
	v_fmac_f32_e32 v119, v88, v143
	v_mul_f32_e32 v88, v88, v129
	v_fma_f32 v87, v87, v143, -v88
	v_mul_f32_e32 v88, v90, v130
	v_add_f32_e32 v87, 0, v87
	s_waitcnt vmcnt(28)
	v_fma_f32 v88, v89, v144, -v88
	v_add_f32_e32 v87, v87, v88
	v_mul_f32_e32 v88, v92, v131
	s_waitcnt vmcnt(27)
	v_fma_f32 v88, v91, v145, -v88
	v_add_f32_e32 v87, v87, v88
	v_mul_f32_e32 v88, v94, v132
	;; [unrolled: 4-line block ×4, first 2 shown]
	s_waitcnt vmcnt(24)
	v_fma_f32 v88, v97, v148, -v88
	v_fmac_f32_e32 v120, v90, v144
	v_add_f32_e32 v119, 0, v119
	v_add_f32_e32 v87, v87, v88
	v_mul_f32_e32 v88, v100, v135
	v_fmac_f32_e32 v121, v92, v145
	v_add_f32_e32 v119, v119, v120
	s_waitcnt vmcnt(23)
	v_fma_f32 v88, v99, v149, -v88
	v_fmac_f32_e32 v122, v94, v146
	v_add_f32_e32 v119, v119, v121
	v_add_f32_e32 v87, v87, v88
	v_mul_f32_e32 v88, v102, v136
	v_fmac_f32_e32 v123, v96, v147
	v_add_f32_e32 v119, v119, v122
	;; [unrolled: 8-line block ×4, first 2 shown]
	s_waitcnt vmcnt(20)
	v_fma_f32 v88, v105, v152, -v88
	v_fmac_f32_e32 v128, v106, v152
	v_add_f32_e32 v119, v119, v127
	v_add_f32_e32 v87, v87, v88
	v_mul_f32_e32 v88, v108, v139
	s_waitcnt vmcnt(19)
	v_fmac_f32_e32 v173, v108, v153
	v_add_f32_e32 v119, v119, v128
	v_fma_f32 v88, v107, v153, -v88
	s_waitcnt vmcnt(18)
	v_fmac_f32_e32 v174, v110, v154
	v_add_f32_e32 v119, v119, v173
	v_add_f32_e32 v87, v87, v88
	v_mul_f32_e32 v88, v110, v140
	s_waitcnt vmcnt(17)
	v_fmac_f32_e32 v175, v112, v155
	v_add_f32_e32 v119, v119, v174
	v_fma_f32 v88, v109, v154, -v88
	v_add_f32_e32 v119, v119, v175
	s_waitcnt vmcnt(16)
	v_fmac_f32_e32 v176, v114, v156
	s_waitcnt vmcnt(15) lgkmcnt(0)
	v_mul_f32_e32 v120, v115, v157
	v_add_f32_e32 v87, v87, v88
	v_mul_f32_e32 v88, v112, v141
	v_add_f32_e32 v119, v119, v176
	s_waitcnt vmcnt(14)
	v_fmac_f32_e32 v120, v116, v158
	v_fma_f32 v88, v111, v155, -v88
	v_add_f32_e32 v123, v119, v120
	ds_read2_b64 v[119:122], v86 offset0:79 offset1:80
	v_add_f32_e32 v87, v87, v88
	v_mul_f32_e32 v88, v114, v142
	v_fma_f32 v88, v113, v156, -v88
	v_add_f32_e32 v87, v87, v88
	v_mul_f32_e32 v88, v116, v157
	s_waitcnt vmcnt(13)
	v_mul_f32_e32 v124, v117, v159
	v_fma_f32 v88, v115, v158, -v88
	s_waitcnt vmcnt(12)
	v_fmac_f32_e32 v124, v118, v160
	v_add_f32_e32 v87, v87, v88
	v_mul_f32_e32 v88, v118, v159
	v_add_f32_e32 v127, v123, v124
	ds_read2_b64 v[123:126], v86 offset0:81 offset1:82
	s_waitcnt vmcnt(11) lgkmcnt(1)
	v_mul_f32_e32 v128, v119, v161
	v_fma_f32 v88, v117, v160, -v88
	s_waitcnt vmcnt(10)
	v_fmac_f32_e32 v128, v120, v162
	v_add_f32_e32 v87, v87, v88
	v_mul_f32_e32 v88, v120, v161
	v_add_f32_e32 v127, v127, v128
	s_waitcnt vmcnt(9)
	v_mul_f32_e32 v128, v121, v163
	v_fma_f32 v88, v119, v162, -v88
	s_waitcnt vmcnt(8)
	v_fmac_f32_e32 v128, v122, v164
	v_add_f32_e32 v87, v87, v88
	v_mul_f32_e32 v88, v122, v163
	v_add_f32_e32 v173, v127, v128
	ds_read_b64 v[127:128], v86 offset:664
	v_fma_f32 v88, v121, v164, -v88
	v_add_f32_e32 v87, v87, v88
	s_waitcnt vmcnt(7) lgkmcnt(1)
	v_mul_f32_e32 v88, v124, v165
	v_mul_f32_e32 v174, v123, v165
	s_waitcnt vmcnt(6)
	v_fma_f32 v88, v123, v166, -v88
	v_fmac_f32_e32 v174, v124, v166
	v_add_f32_e32 v87, v87, v88
	s_waitcnt vmcnt(5)
	v_mul_f32_e32 v88, v126, v167
	v_add_f32_e32 v173, v173, v174
	v_mul_f32_e32 v174, v125, v167
	s_waitcnt vmcnt(4)
	v_fma_f32 v88, v125, v168, -v88
	v_fmac_f32_e32 v174, v126, v168
	v_add_f32_e32 v87, v87, v88
	s_waitcnt vmcnt(3) lgkmcnt(0)
	v_mul_f32_e32 v88, v128, v169
	v_add_f32_e32 v173, v173, v174
	v_mul_f32_e32 v174, v127, v169
	s_waitcnt vmcnt(2)
	v_fma_f32 v88, v127, v170, -v88
	v_fmac_f32_e32 v174, v128, v170
	v_add_f32_e32 v87, v87, v88
	v_add_f32_e32 v173, v173, v174
	s_waitcnt vmcnt(1)
	v_sub_f32_e32 v87, v171, v87
	s_waitcnt vmcnt(0)
	v_sub_f32_e32 v88, v172, v173
	buffer_store_dword v87, off, s[0:3], 0 offset:160
	buffer_store_dword v88, off, s[0:3], 0 offset:164
	s_and_saveexec_b64 s[4:5], vcc
	s_cbranch_execz .LBB41_227
; %bb.226:
	buffer_load_dword v87, off, s[0:3], 0 offset:152
	buffer_load_dword v88, off, s[0:3], 0 offset:156
	s_waitcnt vmcnt(0)
	ds_write_b64 v85, v[87:88]
	buffer_store_dword v86, off, s[0:3], 0 offset:152
	buffer_store_dword v86, off, s[0:3], 0 offset:156
.LBB41_227:
	s_or_b64 exec, exec, s[4:5]
	s_waitcnt lgkmcnt(0)
	; wave barrier
	buffer_load_dword v131, off, s[0:3], 0 offset:164
	buffer_load_dword v132, off, s[0:3], 0 offset:172
	;; [unrolled: 1-line block ×46, first 2 shown]
	ds_read_b128 v[87:90], v86 offset:496
	ds_read_b128 v[91:94], v86 offset:512
	;; [unrolled: 1-line block ×8, first 2 shown]
	v_cmp_lt_u32_e32 vcc, 18, v0
	s_waitcnt vmcnt(45) lgkmcnt(7)
	v_mul_f32_e32 v119, v87, v131
	s_waitcnt vmcnt(44)
	v_mul_f32_e32 v120, v89, v132
	s_waitcnt vmcnt(43) lgkmcnt(6)
	v_mul_f32_e32 v121, v91, v133
	s_waitcnt vmcnt(42)
	v_mul_f32_e32 v122, v93, v134
	s_waitcnt vmcnt(41) lgkmcnt(5)
	v_mul_f32_e32 v123, v95, v135
	s_waitcnt vmcnt(40)
	v_mul_f32_e32 v124, v97, v136
	s_waitcnt vmcnt(39) lgkmcnt(4)
	v_mul_f32_e32 v125, v99, v137
	s_waitcnt vmcnt(38)
	v_mul_f32_e32 v126, v101, v138
	s_waitcnt vmcnt(37) lgkmcnt(3)
	v_mul_f32_e32 v127, v103, v139
	s_waitcnt vmcnt(36)
	v_mul_f32_e32 v128, v105, v140
	s_waitcnt vmcnt(35) lgkmcnt(2)
	v_mul_f32_e32 v129, v107, v141
	s_waitcnt vmcnt(34)
	v_mul_f32_e32 v130, v109, v142
	s_waitcnt vmcnt(33) lgkmcnt(1)
	v_mul_f32_e32 v177, v111, v143
	s_waitcnt vmcnt(32)
	v_fmac_f32_e32 v119, v88, v144
	v_mul_f32_e32 v88, v88, v131
	v_fma_f32 v87, v87, v144, -v88
	v_mul_f32_e32 v88, v90, v132
	v_add_f32_e32 v87, 0, v87
	s_waitcnt vmcnt(31)
	v_fma_f32 v88, v89, v145, -v88
	v_add_f32_e32 v87, v87, v88
	v_mul_f32_e32 v88, v92, v133
	s_waitcnt vmcnt(30)
	v_fma_f32 v88, v91, v146, -v88
	v_add_f32_e32 v87, v87, v88
	v_mul_f32_e32 v88, v94, v134
	;; [unrolled: 4-line block ×4, first 2 shown]
	v_fmac_f32_e32 v120, v90, v145
	v_add_f32_e32 v119, 0, v119
	s_waitcnt vmcnt(27)
	v_fma_f32 v88, v97, v149, -v88
	v_fmac_f32_e32 v121, v92, v146
	v_add_f32_e32 v119, v119, v120
	v_add_f32_e32 v87, v87, v88
	v_mul_f32_e32 v88, v100, v137
	v_fmac_f32_e32 v122, v94, v147
	v_add_f32_e32 v119, v119, v121
	s_waitcnt vmcnt(26)
	v_fma_f32 v88, v99, v150, -v88
	v_fmac_f32_e32 v123, v96, v148
	v_add_f32_e32 v119, v119, v122
	v_add_f32_e32 v87, v87, v88
	v_mul_f32_e32 v88, v102, v138
	;; [unrolled: 8-line block ×4, first 2 shown]
	s_waitcnt vmcnt(23)
	v_fmac_f32_e32 v128, v106, v153
	v_add_f32_e32 v119, v119, v127
	v_fma_f32 v88, v105, v153, -v88
	s_waitcnt vmcnt(22)
	v_fmac_f32_e32 v129, v108, v154
	v_add_f32_e32 v119, v119, v128
	v_add_f32_e32 v87, v87, v88
	v_mul_f32_e32 v88, v108, v141
	s_waitcnt vmcnt(21)
	v_fmac_f32_e32 v130, v110, v155
	v_add_f32_e32 v119, v119, v129
	v_fma_f32 v88, v107, v154, -v88
	s_waitcnt vmcnt(20)
	v_fmac_f32_e32 v177, v112, v156
	v_add_f32_e32 v119, v119, v130
	s_waitcnt vmcnt(19)
	v_mul_f32_e32 v120, v113, v157
	v_add_f32_e32 v87, v87, v88
	v_mul_f32_e32 v88, v110, v142
	v_add_f32_e32 v119, v119, v177
	s_waitcnt vmcnt(18)
	v_fmac_f32_e32 v120, v114, v158
	v_fma_f32 v88, v109, v155, -v88
	v_add_f32_e32 v119, v119, v120
	s_waitcnt vmcnt(17) lgkmcnt(0)
	v_mul_f32_e32 v120, v115, v159
	v_add_f32_e32 v87, v87, v88
	v_mul_f32_e32 v88, v112, v143
	s_waitcnt vmcnt(16)
	v_fmac_f32_e32 v120, v116, v160
	v_fma_f32 v88, v111, v156, -v88
	v_add_f32_e32 v123, v119, v120
	ds_read_b128 v[119:122], v86 offset:624
	v_add_f32_e32 v87, v87, v88
	v_mul_f32_e32 v88, v114, v157
	v_fma_f32 v88, v113, v158, -v88
	v_add_f32_e32 v87, v87, v88
	v_mul_f32_e32 v88, v116, v159
	s_waitcnt vmcnt(15)
	v_mul_f32_e32 v124, v117, v161
	v_fma_f32 v88, v115, v160, -v88
	s_waitcnt vmcnt(14)
	v_fmac_f32_e32 v124, v118, v162
	v_add_f32_e32 v87, v87, v88
	v_mul_f32_e32 v88, v118, v161
	v_add_f32_e32 v127, v123, v124
	ds_read_b128 v[123:126], v86 offset:640
	s_waitcnt vmcnt(13) lgkmcnt(1)
	v_mul_f32_e32 v128, v119, v163
	v_fma_f32 v88, v117, v162, -v88
	s_waitcnt vmcnt(12)
	v_fmac_f32_e32 v128, v120, v164
	v_add_f32_e32 v87, v87, v88
	v_mul_f32_e32 v88, v120, v163
	v_add_f32_e32 v127, v127, v128
	s_waitcnt vmcnt(11)
	v_mul_f32_e32 v128, v121, v165
	v_fma_f32 v88, v119, v164, -v88
	s_waitcnt vmcnt(10)
	v_fmac_f32_e32 v128, v122, v166
	v_add_f32_e32 v87, v87, v88
	v_mul_f32_e32 v88, v122, v165
	v_add_f32_e32 v177, v127, v128
	ds_read_b128 v[127:130], v86 offset:656
	v_fma_f32 v88, v121, v166, -v88
	v_add_f32_e32 v87, v87, v88
	s_waitcnt vmcnt(9) lgkmcnt(1)
	v_mul_f32_e32 v88, v124, v167
	v_mul_f32_e32 v178, v123, v167
	s_waitcnt vmcnt(8)
	v_fma_f32 v88, v123, v168, -v88
	v_fmac_f32_e32 v178, v124, v168
	v_add_f32_e32 v87, v87, v88
	s_waitcnt vmcnt(7)
	v_mul_f32_e32 v88, v126, v169
	v_add_f32_e32 v86, v177, v178
	v_mul_f32_e32 v177, v125, v169
	s_waitcnt vmcnt(6)
	v_fma_f32 v88, v125, v170, -v88
	v_fmac_f32_e32 v177, v126, v170
	v_add_f32_e32 v87, v87, v88
	s_waitcnt vmcnt(5) lgkmcnt(0)
	v_mul_f32_e32 v88, v128, v171
	v_add_f32_e32 v86, v86, v177
	v_mul_f32_e32 v177, v127, v171
	s_waitcnt vmcnt(4)
	v_fma_f32 v88, v127, v172, -v88
	v_fmac_f32_e32 v177, v128, v172
	v_add_f32_e32 v87, v87, v88
	s_waitcnt vmcnt(3)
	v_mul_f32_e32 v88, v130, v173
	v_add_f32_e32 v86, v86, v177
	v_mul_f32_e32 v177, v129, v173
	s_waitcnt vmcnt(2)
	v_fma_f32 v88, v129, v174, -v88
	v_fmac_f32_e32 v177, v130, v174
	v_add_f32_e32 v87, v87, v88
	v_add_f32_e32 v86, v86, v177
	s_waitcnt vmcnt(1)
	v_sub_f32_e32 v87, v175, v87
	s_waitcnt vmcnt(0)
	v_sub_f32_e32 v86, v176, v86
	buffer_store_dword v87, off, s[0:3], 0 offset:152
	buffer_store_dword v86, off, s[0:3], 0 offset:156
	s_and_saveexec_b64 s[4:5], vcc
	s_cbranch_execz .LBB41_229
; %bb.228:
	buffer_load_dword v86, off, s[0:3], 0 offset:144
	buffer_load_dword v87, off, s[0:3], 0 offset:148
	v_mov_b32_e32 v88, 0
	buffer_store_dword v88, off, s[0:3], 0 offset:144
	buffer_store_dword v88, off, s[0:3], 0 offset:148
	s_waitcnt vmcnt(2)
	ds_write_b64 v85, v[86:87]
.LBB41_229:
	s_or_b64 exec, exec, s[4:5]
	s_waitcnt lgkmcnt(0)
	; wave barrier
	buffer_load_dword v133, off, s[0:3], 0 offset:156
	buffer_load_dword v134, off, s[0:3], 0 offset:164
	;; [unrolled: 1-line block ×48, first 2 shown]
	v_mov_b32_e32 v86, 0
	ds_read2_b64 v[87:90], v86 offset0:61 offset1:62
	ds_read2_b64 v[91:94], v86 offset0:63 offset1:64
	;; [unrolled: 1-line block ×7, first 2 shown]
	v_cmp_lt_u32_e32 vcc, 17, v0
	s_waitcnt vmcnt(47) lgkmcnt(6)
	v_mul_f32_e32 v115, v87, v133
	s_waitcnt vmcnt(46)
	v_mul_f32_e32 v116, v89, v134
	s_waitcnt vmcnt(45) lgkmcnt(5)
	v_mul_f32_e32 v117, v91, v135
	s_waitcnt vmcnt(44)
	v_mul_f32_e32 v118, v93, v136
	;; [unrolled: 4-line block ×6, first 2 shown]
	s_waitcnt vmcnt(35)
	v_fmac_f32_e32 v115, v88, v145
	v_mul_f32_e32 v88, v88, v133
	v_fma_f32 v87, v87, v145, -v88
	v_mul_f32_e32 v88, v90, v134
	v_add_f32_e32 v87, 0, v87
	s_waitcnt vmcnt(34)
	v_fma_f32 v88, v89, v146, -v88
	v_add_f32_e32 v87, v87, v88
	v_mul_f32_e32 v88, v92, v135
	s_waitcnt vmcnt(33)
	v_fma_f32 v88, v91, v147, -v88
	v_fmac_f32_e32 v116, v90, v146
	v_add_f32_e32 v115, 0, v115
	v_add_f32_e32 v87, v87, v88
	v_mul_f32_e32 v88, v94, v136
	v_fmac_f32_e32 v117, v92, v147
	v_add_f32_e32 v115, v115, v116
	s_waitcnt vmcnt(32)
	v_fma_f32 v88, v93, v148, -v88
	v_fmac_f32_e32 v118, v94, v148
	v_add_f32_e32 v115, v115, v117
	v_add_f32_e32 v87, v87, v88
	v_mul_f32_e32 v88, v96, v137
	s_waitcnt vmcnt(31)
	v_fmac_f32_e32 v119, v96, v149
	v_add_f32_e32 v115, v115, v118
	v_fma_f32 v88, v95, v149, -v88
	s_waitcnt vmcnt(30)
	v_fmac_f32_e32 v120, v98, v150
	v_add_f32_e32 v115, v115, v119
	v_add_f32_e32 v87, v87, v88
	v_mul_f32_e32 v88, v98, v138
	s_waitcnt vmcnt(29)
	v_fmac_f32_e32 v121, v100, v151
	v_add_f32_e32 v115, v115, v120
	v_fma_f32 v88, v97, v150, -v88
	s_waitcnt vmcnt(28)
	;; [unrolled: 9-line block ×4, first 2 shown]
	v_fmac_f32_e32 v126, v110, v156
	v_add_f32_e32 v115, v115, v125
	v_add_f32_e32 v87, v87, v88
	v_mul_f32_e32 v88, v104, v141
	v_add_f32_e32 v119, v115, v126
	ds_read2_b64 v[115:118], v86 offset0:75 offset1:76
	v_fma_f32 v88, v103, v153, -v88
	s_waitcnt vmcnt(23) lgkmcnt(1)
	v_mul_f32_e32 v120, v111, v157
	v_add_f32_e32 v87, v87, v88
	v_mul_f32_e32 v88, v106, v142
	s_waitcnt vmcnt(22)
	v_fmac_f32_e32 v120, v112, v158
	v_fma_f32 v88, v105, v154, -v88
	v_add_f32_e32 v119, v119, v120
	s_waitcnt vmcnt(21)
	v_mul_f32_e32 v120, v113, v159
	v_add_f32_e32 v87, v87, v88
	v_mul_f32_e32 v88, v108, v143
	s_waitcnt vmcnt(20)
	v_fmac_f32_e32 v120, v114, v160
	v_fma_f32 v88, v107, v155, -v88
	v_add_f32_e32 v119, v119, v120
	s_waitcnt vmcnt(19) lgkmcnt(0)
	v_mul_f32_e32 v120, v115, v161
	v_add_f32_e32 v87, v87, v88
	v_mul_f32_e32 v88, v110, v144
	s_waitcnt vmcnt(18)
	v_fmac_f32_e32 v120, v116, v162
	v_fma_f32 v88, v109, v156, -v88
	v_add_f32_e32 v123, v119, v120
	ds_read2_b64 v[119:122], v86 offset0:77 offset1:78
	v_add_f32_e32 v87, v87, v88
	v_mul_f32_e32 v88, v112, v157
	v_fma_f32 v88, v111, v158, -v88
	s_waitcnt vmcnt(17)
	v_mul_f32_e32 v124, v117, v163
	v_add_f32_e32 v87, v87, v88
	v_mul_f32_e32 v88, v114, v159
	s_waitcnt vmcnt(16)
	v_fmac_f32_e32 v124, v118, v164
	v_fma_f32 v88, v113, v160, -v88
	v_add_f32_e32 v127, v123, v124
	ds_read2_b64 v[123:126], v86 offset0:79 offset1:80
	v_add_f32_e32 v87, v87, v88
	v_mul_f32_e32 v88, v116, v161
	s_waitcnt vmcnt(15) lgkmcnt(1)
	v_mul_f32_e32 v128, v119, v165
	v_fma_f32 v88, v115, v162, -v88
	s_waitcnt vmcnt(14)
	v_fmac_f32_e32 v128, v120, v166
	v_add_f32_e32 v87, v87, v88
	v_mul_f32_e32 v88, v118, v163
	v_add_f32_e32 v127, v127, v128
	s_waitcnt vmcnt(13)
	v_mul_f32_e32 v128, v121, v167
	v_fma_f32 v88, v117, v164, -v88
	s_waitcnt vmcnt(12)
	v_fmac_f32_e32 v128, v122, v168
	v_add_f32_e32 v87, v87, v88
	v_mul_f32_e32 v88, v120, v165
	v_add_f32_e32 v127, v127, v128
	s_waitcnt vmcnt(11) lgkmcnt(0)
	v_mul_f32_e32 v128, v123, v169
	v_fma_f32 v88, v119, v166, -v88
	s_waitcnt vmcnt(10)
	v_fmac_f32_e32 v128, v124, v170
	v_add_f32_e32 v87, v87, v88
	v_mul_f32_e32 v88, v122, v167
	v_add_f32_e32 v131, v127, v128
	ds_read2_b64 v[127:130], v86 offset0:81 offset1:82
	v_fma_f32 v88, v121, v168, -v88
	v_add_f32_e32 v87, v87, v88
	v_mul_f32_e32 v88, v124, v169
	s_waitcnt vmcnt(9)
	v_mul_f32_e32 v132, v125, v171
	v_fma_f32 v88, v123, v170, -v88
	s_waitcnt vmcnt(8)
	v_fmac_f32_e32 v132, v126, v172
	v_add_f32_e32 v87, v87, v88
	v_mul_f32_e32 v88, v126, v171
	v_add_f32_e32 v181, v131, v132
	ds_read_b64 v[131:132], v86 offset:664
	v_fma_f32 v88, v125, v172, -v88
	v_add_f32_e32 v87, v87, v88
	s_waitcnt vmcnt(6) lgkmcnt(1)
	v_mul_f32_e32 v88, v128, v174
	v_mul_f32_e32 v182, v127, v174
	v_fma_f32 v88, v127, v173, -v88
	v_fmac_f32_e32 v182, v128, v173
	v_add_f32_e32 v87, v87, v88
	s_waitcnt vmcnt(3)
	v_mul_f32_e32 v88, v130, v177
	v_add_f32_e32 v181, v181, v182
	v_mul_f32_e32 v182, v129, v177
	s_waitcnt vmcnt(2)
	v_fma_f32 v88, v129, v178, -v88
	v_fmac_f32_e32 v182, v130, v178
	v_add_f32_e32 v87, v87, v88
	s_waitcnt vmcnt(0) lgkmcnt(0)
	v_mul_f32_e32 v88, v132, v180
	v_add_f32_e32 v181, v181, v182
	v_mul_f32_e32 v182, v131, v180
	v_fma_f32 v88, v131, v179, -v88
	v_fmac_f32_e32 v182, v132, v179
	v_add_f32_e32 v87, v87, v88
	v_add_f32_e32 v181, v181, v182
	v_sub_f32_e32 v87, v175, v87
	v_sub_f32_e32 v88, v176, v181
	buffer_store_dword v87, off, s[0:3], 0 offset:144
	buffer_store_dword v88, off, s[0:3], 0 offset:148
	s_and_saveexec_b64 s[4:5], vcc
	s_cbranch_execz .LBB41_231
; %bb.230:
	buffer_load_dword v87, off, s[0:3], 0 offset:136
	buffer_load_dword v88, off, s[0:3], 0 offset:140
	s_waitcnt vmcnt(0)
	ds_write_b64 v85, v[87:88]
	buffer_store_dword v86, off, s[0:3], 0 offset:136
	buffer_store_dword v86, off, s[0:3], 0 offset:140
.LBB41_231:
	s_or_b64 exec, exec, s[4:5]
	s_waitcnt lgkmcnt(0)
	; wave barrier
	buffer_load_dword v135, off, s[0:3], 0 offset:148
	buffer_load_dword v136, off, s[0:3], 0 offset:156
	;; [unrolled: 1-line block ×48, first 2 shown]
	ds_read_b128 v[87:90], v86 offset:480
	ds_read_b128 v[91:94], v86 offset:496
	buffer_load_dword v183, off, s[0:3], 0 offset:328
	buffer_load_dword v184, off, s[0:3], 0 offset:332
	ds_read_b128 v[95:98], v86 offset:512
	ds_read_b128 v[99:102], v86 offset:528
	;; [unrolled: 1-line block ×5, first 2 shown]
	v_cmp_lt_u32_e32 vcc, 16, v0
	s_waitcnt vmcnt(49) lgkmcnt(6)
	v_mul_f32_e32 v115, v87, v135
	s_waitcnt vmcnt(48)
	v_mul_f32_e32 v116, v89, v136
	s_waitcnt vmcnt(47) lgkmcnt(5)
	v_mul_f32_e32 v117, v91, v137
	s_waitcnt vmcnt(46)
	v_mul_f32_e32 v118, v93, v138
	;; [unrolled: 4-line block ×6, first 2 shown]
	s_waitcnt vmcnt(37)
	v_fmac_f32_e32 v115, v88, v147
	v_mul_f32_e32 v88, v88, v135
	v_fma_f32 v87, v87, v147, -v88
	v_mul_f32_e32 v88, v90, v136
	v_add_f32_e32 v87, 0, v87
	s_waitcnt vmcnt(36)
	v_fma_f32 v88, v89, v148, -v88
	v_add_f32_e32 v87, v87, v88
	v_mul_f32_e32 v88, v92, v137
	s_waitcnt vmcnt(35)
	v_fma_f32 v88, v91, v149, -v88
	v_fmac_f32_e32 v116, v90, v148
	v_add_f32_e32 v115, 0, v115
	v_add_f32_e32 v87, v87, v88
	v_mul_f32_e32 v88, v94, v138
	v_fmac_f32_e32 v117, v92, v149
	v_add_f32_e32 v115, v115, v116
	s_waitcnt vmcnt(34)
	v_fma_f32 v88, v93, v150, -v88
	v_fmac_f32_e32 v118, v94, v150
	v_add_f32_e32 v115, v115, v117
	v_add_f32_e32 v87, v87, v88
	v_mul_f32_e32 v88, v96, v139
	s_waitcnt vmcnt(33)
	v_fmac_f32_e32 v119, v96, v151
	v_add_f32_e32 v115, v115, v118
	v_fma_f32 v88, v95, v151, -v88
	s_waitcnt vmcnt(32)
	v_fmac_f32_e32 v120, v98, v152
	v_add_f32_e32 v115, v115, v119
	v_add_f32_e32 v87, v87, v88
	v_mul_f32_e32 v88, v98, v140
	s_waitcnt vmcnt(31)
	v_fmac_f32_e32 v121, v100, v153
	v_add_f32_e32 v115, v115, v120
	v_fma_f32 v88, v97, v152, -v88
	s_waitcnt vmcnt(30)
	;; [unrolled: 9-line block ×3, first 2 shown]
	v_fmac_f32_e32 v124, v106, v156
	v_add_f32_e32 v115, v115, v123
	v_add_f32_e32 v87, v87, v88
	v_mul_f32_e32 v88, v102, v142
	s_waitcnt vmcnt(27)
	v_fmac_f32_e32 v125, v108, v157
	v_add_f32_e32 v115, v115, v124
	v_fma_f32 v88, v101, v154, -v88
	v_add_f32_e32 v115, v115, v125
	s_waitcnt vmcnt(26)
	v_fmac_f32_e32 v126, v110, v158
	v_add_f32_e32 v87, v87, v88
	v_mul_f32_e32 v88, v104, v143
	v_add_f32_e32 v119, v115, v126
	ds_read_b128 v[115:118], v86 offset:592
	v_fma_f32 v88, v103, v155, -v88
	s_waitcnt vmcnt(25) lgkmcnt(1)
	v_mul_f32_e32 v120, v111, v159
	v_add_f32_e32 v87, v87, v88
	v_mul_f32_e32 v88, v106, v144
	s_waitcnt vmcnt(24)
	v_fmac_f32_e32 v120, v112, v160
	v_fma_f32 v88, v105, v156, -v88
	v_add_f32_e32 v119, v119, v120
	s_waitcnt vmcnt(23)
	v_mul_f32_e32 v120, v113, v161
	v_add_f32_e32 v87, v87, v88
	v_mul_f32_e32 v88, v108, v145
	s_waitcnt vmcnt(22)
	v_fmac_f32_e32 v120, v114, v162
	v_fma_f32 v88, v107, v157, -v88
	v_add_f32_e32 v119, v119, v120
	s_waitcnt vmcnt(21) lgkmcnt(0)
	v_mul_f32_e32 v120, v115, v163
	v_add_f32_e32 v87, v87, v88
	v_mul_f32_e32 v88, v110, v146
	s_waitcnt vmcnt(20)
	v_fmac_f32_e32 v120, v116, v164
	v_fma_f32 v88, v109, v158, -v88
	v_add_f32_e32 v123, v119, v120
	ds_read_b128 v[119:122], v86 offset:608
	v_add_f32_e32 v87, v87, v88
	v_mul_f32_e32 v88, v112, v159
	v_fma_f32 v88, v111, v160, -v88
	s_waitcnt vmcnt(19)
	v_mul_f32_e32 v124, v117, v165
	v_add_f32_e32 v87, v87, v88
	v_mul_f32_e32 v88, v114, v161
	s_waitcnt vmcnt(18)
	v_fmac_f32_e32 v124, v118, v166
	v_fma_f32 v88, v113, v162, -v88
	v_add_f32_e32 v127, v123, v124
	ds_read_b128 v[123:126], v86 offset:624
	v_add_f32_e32 v87, v87, v88
	v_mul_f32_e32 v88, v116, v163
	s_waitcnt vmcnt(17) lgkmcnt(1)
	v_mul_f32_e32 v128, v119, v167
	v_fma_f32 v88, v115, v164, -v88
	s_waitcnt vmcnt(16)
	v_fmac_f32_e32 v128, v120, v168
	v_add_f32_e32 v87, v87, v88
	v_mul_f32_e32 v88, v118, v165
	v_add_f32_e32 v127, v127, v128
	s_waitcnt vmcnt(15)
	v_mul_f32_e32 v128, v121, v169
	v_fma_f32 v88, v117, v166, -v88
	s_waitcnt vmcnt(14)
	v_fmac_f32_e32 v128, v122, v170
	v_add_f32_e32 v87, v87, v88
	v_mul_f32_e32 v88, v120, v167
	v_add_f32_e32 v127, v127, v128
	s_waitcnt vmcnt(13) lgkmcnt(0)
	v_mul_f32_e32 v128, v123, v171
	v_fma_f32 v88, v119, v168, -v88
	s_waitcnt vmcnt(12)
	v_fmac_f32_e32 v128, v124, v172
	v_add_f32_e32 v87, v87, v88
	v_mul_f32_e32 v88, v122, v169
	v_add_f32_e32 v131, v127, v128
	ds_read_b128 v[127:130], v86 offset:640
	v_fma_f32 v88, v121, v170, -v88
	v_add_f32_e32 v87, v87, v88
	v_mul_f32_e32 v88, v124, v171
	s_waitcnt vmcnt(11)
	v_mul_f32_e32 v132, v125, v173
	v_fma_f32 v88, v123, v172, -v88
	s_waitcnt vmcnt(10)
	v_fmac_f32_e32 v132, v126, v174
	v_add_f32_e32 v87, v87, v88
	v_mul_f32_e32 v88, v126, v173
	v_add_f32_e32 v185, v131, v132
	ds_read_b128 v[131:134], v86 offset:656
	v_fma_f32 v88, v125, v174, -v88
	v_add_f32_e32 v87, v87, v88
	s_waitcnt vmcnt(7) lgkmcnt(1)
	v_mul_f32_e32 v88, v128, v177
	v_mul_f32_e32 v86, v127, v177
	s_waitcnt vmcnt(6)
	v_fma_f32 v88, v127, v178, -v88
	v_fmac_f32_e32 v86, v128, v178
	v_add_f32_e32 v87, v87, v88
	s_waitcnt vmcnt(4)
	v_mul_f32_e32 v88, v130, v180
	v_add_f32_e32 v86, v185, v86
	v_mul_f32_e32 v185, v129, v180
	v_fma_f32 v88, v129, v179, -v88
	v_fmac_f32_e32 v185, v130, v179
	v_add_f32_e32 v87, v87, v88
	s_waitcnt vmcnt(2) lgkmcnt(0)
	v_mul_f32_e32 v88, v132, v182
	v_add_f32_e32 v86, v86, v185
	v_mul_f32_e32 v185, v131, v182
	v_fma_f32 v88, v131, v181, -v88
	v_fmac_f32_e32 v185, v132, v181
	v_add_f32_e32 v87, v87, v88
	s_waitcnt vmcnt(0)
	v_mul_f32_e32 v88, v134, v184
	v_add_f32_e32 v86, v86, v185
	v_mul_f32_e32 v185, v133, v184
	v_fma_f32 v88, v133, v183, -v88
	v_fmac_f32_e32 v185, v134, v183
	v_add_f32_e32 v87, v87, v88
	v_add_f32_e32 v86, v86, v185
	v_sub_f32_e32 v87, v175, v87
	v_sub_f32_e32 v86, v176, v86
	buffer_store_dword v87, off, s[0:3], 0 offset:136
	buffer_store_dword v86, off, s[0:3], 0 offset:140
	s_and_saveexec_b64 s[4:5], vcc
	s_cbranch_execz .LBB41_233
; %bb.232:
	buffer_load_dword v86, off, s[0:3], 0 offset:128
	buffer_load_dword v87, off, s[0:3], 0 offset:132
	v_mov_b32_e32 v88, 0
	buffer_store_dword v88, off, s[0:3], 0 offset:128
	buffer_store_dword v88, off, s[0:3], 0 offset:132
	s_waitcnt vmcnt(2)
	ds_write_b64 v85, v[86:87]
.LBB41_233:
	s_or_b64 exec, exec, s[4:5]
	s_waitcnt lgkmcnt(0)
	; wave barrier
	buffer_load_dword v137, off, s[0:3], 0 offset:140
	buffer_load_dword v138, off, s[0:3], 0 offset:148
	;; [unrolled: 1-line block ×52, first 2 shown]
	v_mov_b32_e32 v86, 0
	ds_read2_b64 v[87:90], v86 offset0:59 offset1:60
	ds_read2_b64 v[91:94], v86 offset0:61 offset1:62
	;; [unrolled: 1-line block ×6, first 2 shown]
	v_cmp_lt_u32_e32 vcc, 15, v0
	s_waitcnt vmcnt(51) lgkmcnt(5)
	v_mul_f32_e32 v111, v87, v137
	s_waitcnt vmcnt(50)
	v_mul_f32_e32 v112, v89, v138
	s_waitcnt vmcnt(49) lgkmcnt(4)
	v_mul_f32_e32 v113, v91, v139
	s_waitcnt vmcnt(48)
	v_mul_f32_e32 v114, v93, v140
	;; [unrolled: 4-line block ×5, first 2 shown]
	s_waitcnt vmcnt(41) lgkmcnt(0)
	v_mul_f32_e32 v121, v107, v147
	s_waitcnt vmcnt(40)
	v_fmac_f32_e32 v111, v88, v148
	v_mul_f32_e32 v88, v88, v137
	s_waitcnt vmcnt(39)
	v_fmac_f32_e32 v112, v90, v149
	v_add_f32_e32 v111, 0, v111
	v_fma_f32 v87, v87, v148, -v88
	v_mul_f32_e32 v88, v90, v138
	s_waitcnt vmcnt(38)
	v_fmac_f32_e32 v113, v92, v150
	v_add_f32_e32 v111, v111, v112
	v_add_f32_e32 v87, 0, v87
	v_fma_f32 v88, v89, v149, -v88
	s_waitcnt vmcnt(37)
	v_fmac_f32_e32 v114, v94, v151
	v_add_f32_e32 v111, v111, v113
	v_add_f32_e32 v87, v87, v88
	v_mul_f32_e32 v88, v92, v139
	s_waitcnt vmcnt(36)
	v_fmac_f32_e32 v115, v96, v152
	v_add_f32_e32 v111, v111, v114
	v_fma_f32 v88, v91, v150, -v88
	s_waitcnt vmcnt(35)
	v_fmac_f32_e32 v116, v98, v153
	v_add_f32_e32 v111, v111, v115
	v_add_f32_e32 v87, v87, v88
	v_mul_f32_e32 v88, v94, v140
	s_waitcnt vmcnt(34)
	v_fmac_f32_e32 v117, v100, v154
	;; [unrolled: 9-line block ×3, first 2 shown]
	v_add_f32_e32 v111, v111, v118
	v_fma_f32 v88, v95, v152, -v88
	s_waitcnt vmcnt(31)
	v_fmac_f32_e32 v120, v106, v157
	v_add_f32_e32 v111, v111, v119
	v_add_f32_e32 v87, v87, v88
	v_mul_f32_e32 v88, v98, v142
	v_add_f32_e32 v111, v111, v120
	s_waitcnt vmcnt(30)
	v_fmac_f32_e32 v121, v108, v158
	v_fma_f32 v88, v97, v153, -v88
	v_add_f32_e32 v115, v111, v121
	ds_read2_b64 v[111:114], v86 offset0:71 offset1:72
	v_add_f32_e32 v87, v87, v88
	v_mul_f32_e32 v88, v100, v143
	v_fma_f32 v88, v99, v154, -v88
	s_waitcnt vmcnt(29)
	v_mul_f32_e32 v116, v109, v159
	v_add_f32_e32 v87, v87, v88
	v_mul_f32_e32 v88, v102, v144
	s_waitcnt vmcnt(28)
	v_fmac_f32_e32 v116, v110, v160
	v_fma_f32 v88, v101, v155, -v88
	v_add_f32_e32 v119, v115, v116
	ds_read2_b64 v[115:118], v86 offset0:73 offset1:74
	v_add_f32_e32 v87, v87, v88
	v_mul_f32_e32 v88, v104, v145
	s_waitcnt vmcnt(27) lgkmcnt(1)
	v_mul_f32_e32 v120, v111, v161
	v_fma_f32 v88, v103, v156, -v88
	s_waitcnt vmcnt(26)
	v_fmac_f32_e32 v120, v112, v162
	v_add_f32_e32 v87, v87, v88
	v_mul_f32_e32 v88, v106, v146
	v_add_f32_e32 v119, v119, v120
	s_waitcnt vmcnt(25)
	v_mul_f32_e32 v120, v113, v163
	v_fma_f32 v88, v105, v157, -v88
	s_waitcnt vmcnt(24)
	v_fmac_f32_e32 v120, v114, v164
	v_add_f32_e32 v87, v87, v88
	v_mul_f32_e32 v88, v108, v147
	v_add_f32_e32 v119, v119, v120
	s_waitcnt vmcnt(23) lgkmcnt(0)
	v_mul_f32_e32 v120, v115, v165
	v_fma_f32 v88, v107, v158, -v88
	s_waitcnt vmcnt(22)
	v_fmac_f32_e32 v120, v116, v166
	v_add_f32_e32 v87, v87, v88
	v_mul_f32_e32 v88, v110, v159
	v_add_f32_e32 v123, v119, v120
	ds_read2_b64 v[119:122], v86 offset0:75 offset1:76
	v_fma_f32 v88, v109, v160, -v88
	v_add_f32_e32 v87, v87, v88
	v_mul_f32_e32 v88, v112, v161
	s_waitcnt vmcnt(21)
	v_mul_f32_e32 v124, v117, v167
	v_fma_f32 v88, v111, v162, -v88
	s_waitcnt vmcnt(20)
	v_fmac_f32_e32 v124, v118, v168
	v_add_f32_e32 v87, v87, v88
	v_mul_f32_e32 v88, v114, v163
	v_add_f32_e32 v127, v123, v124
	ds_read2_b64 v[123:126], v86 offset0:77 offset1:78
	v_fma_f32 v88, v113, v164, -v88
	s_waitcnt vmcnt(19) lgkmcnt(1)
	v_mul_f32_e32 v128, v119, v169
	v_add_f32_e32 v87, v87, v88
	v_mul_f32_e32 v88, v116, v165
	s_waitcnt vmcnt(18)
	v_fmac_f32_e32 v128, v120, v170
	v_fma_f32 v88, v115, v166, -v88
	v_add_f32_e32 v127, v127, v128
	s_waitcnt vmcnt(17)
	v_mul_f32_e32 v128, v121, v171
	v_add_f32_e32 v87, v87, v88
	v_mul_f32_e32 v88, v118, v167
	s_waitcnt vmcnt(16)
	v_fmac_f32_e32 v128, v122, v172
	v_fma_f32 v88, v117, v168, -v88
	v_add_f32_e32 v127, v127, v128
	s_waitcnt vmcnt(14) lgkmcnt(0)
	v_mul_f32_e32 v128, v123, v174
	v_add_f32_e32 v87, v87, v88
	v_mul_f32_e32 v88, v120, v169
	v_fmac_f32_e32 v128, v124, v173
	v_fma_f32 v88, v119, v170, -v88
	v_add_f32_e32 v131, v127, v128
	ds_read2_b64 v[127:130], v86 offset0:79 offset1:80
	v_add_f32_e32 v87, v87, v88
	v_mul_f32_e32 v88, v122, v171
	v_fma_f32 v88, v121, v172, -v88
	v_add_f32_e32 v87, v87, v88
	v_mul_f32_e32 v88, v124, v174
	s_waitcnt vmcnt(11)
	v_mul_f32_e32 v132, v125, v177
	v_fma_f32 v88, v123, v173, -v88
	s_waitcnt vmcnt(10)
	v_fmac_f32_e32 v132, v126, v178
	v_add_f32_e32 v87, v87, v88
	v_mul_f32_e32 v88, v126, v177
	v_add_f32_e32 v135, v131, v132
	ds_read2_b64 v[131:134], v86 offset0:81 offset1:82
	s_waitcnt vmcnt(8) lgkmcnt(1)
	v_mul_f32_e32 v136, v127, v180
	v_fma_f32 v88, v125, v178, -v88
	v_fmac_f32_e32 v136, v128, v179
	v_add_f32_e32 v87, v87, v88
	v_mul_f32_e32 v88, v128, v180
	v_add_f32_e32 v135, v135, v136
	s_waitcnt vmcnt(6)
	v_mul_f32_e32 v136, v129, v182
	v_fma_f32 v88, v127, v179, -v88
	v_fmac_f32_e32 v136, v130, v181
	v_add_f32_e32 v87, v87, v88
	v_mul_f32_e32 v88, v130, v182
	v_add_f32_e32 v189, v135, v136
	ds_read_b64 v[135:136], v86 offset:664
	v_fma_f32 v88, v129, v181, -v88
	v_add_f32_e32 v87, v87, v88
	s_waitcnt vmcnt(4) lgkmcnt(1)
	v_mul_f32_e32 v88, v132, v184
	v_mul_f32_e32 v190, v131, v184
	v_fma_f32 v88, v131, v183, -v88
	v_fmac_f32_e32 v190, v132, v183
	v_add_f32_e32 v87, v87, v88
	s_waitcnt vmcnt(2)
	v_mul_f32_e32 v88, v134, v186
	v_add_f32_e32 v189, v189, v190
	v_mul_f32_e32 v190, v133, v186
	v_fma_f32 v88, v133, v185, -v88
	v_fmac_f32_e32 v190, v134, v185
	v_add_f32_e32 v87, v87, v88
	s_waitcnt vmcnt(0) lgkmcnt(0)
	v_mul_f32_e32 v88, v136, v188
	v_add_f32_e32 v189, v189, v190
	v_mul_f32_e32 v190, v135, v188
	v_fma_f32 v88, v135, v187, -v88
	v_fmac_f32_e32 v190, v136, v187
	v_add_f32_e32 v87, v87, v88
	v_add_f32_e32 v189, v189, v190
	v_sub_f32_e32 v87, v175, v87
	v_sub_f32_e32 v88, v176, v189
	buffer_store_dword v87, off, s[0:3], 0 offset:128
	buffer_store_dword v88, off, s[0:3], 0 offset:132
	s_and_saveexec_b64 s[4:5], vcc
	s_cbranch_execz .LBB41_235
; %bb.234:
	buffer_load_dword v87, off, s[0:3], 0 offset:120
	buffer_load_dword v88, off, s[0:3], 0 offset:124
	s_waitcnt vmcnt(0)
	ds_write_b64 v85, v[87:88]
	buffer_store_dword v86, off, s[0:3], 0 offset:120
	buffer_store_dword v86, off, s[0:3], 0 offset:124
.LBB41_235:
	s_or_b64 exec, exec, s[4:5]
	s_waitcnt lgkmcnt(0)
	; wave barrier
	buffer_load_dword v139, off, s[0:3], 0 offset:132
	buffer_load_dword v140, off, s[0:3], 0 offset:140
	buffer_load_dword v141, off, s[0:3], 0 offset:148
	buffer_load_dword v142, off, s[0:3], 0 offset:156
	buffer_load_dword v143, off, s[0:3], 0 offset:164
	buffer_load_dword v144, off, s[0:3], 0 offset:172
	buffer_load_dword v145, off, s[0:3], 0 offset:180
	buffer_load_dword v146, off, s[0:3], 0 offset:188
	buffer_load_dword v147, off, s[0:3], 0 offset:196
	buffer_load_dword v148, off, s[0:3], 0 offset:204
	buffer_load_dword v149, off, s[0:3], 0 offset:128
	buffer_load_dword v150, off, s[0:3], 0 offset:136
	buffer_load_dword v151, off, s[0:3], 0 offset:144
	buffer_load_dword v152, off, s[0:3], 0 offset:152
	buffer_load_dword v153, off, s[0:3], 0 offset:160
	buffer_load_dword v154, off, s[0:3], 0 offset:168
	buffer_load_dword v155, off, s[0:3], 0 offset:176
	buffer_load_dword v156, off, s[0:3], 0 offset:184
	buffer_load_dword v157, off, s[0:3], 0 offset:192
	buffer_load_dword v158, off, s[0:3], 0 offset:200
	buffer_load_dword v159, off, s[0:3], 0 offset:212
	buffer_load_dword v160, off, s[0:3], 0 offset:208
	buffer_load_dword v161, off, s[0:3], 0 offset:220
	buffer_load_dword v162, off, s[0:3], 0 offset:216
	buffer_load_dword v163, off, s[0:3], 0 offset:228
	buffer_load_dword v164, off, s[0:3], 0 offset:224
	buffer_load_dword v165, off, s[0:3], 0 offset:236
	buffer_load_dword v166, off, s[0:3], 0 offset:232
	buffer_load_dword v167, off, s[0:3], 0 offset:244
	buffer_load_dword v168, off, s[0:3], 0 offset:240
	buffer_load_dword v169, off, s[0:3], 0 offset:252
	buffer_load_dword v170, off, s[0:3], 0 offset:248
	buffer_load_dword v171, off, s[0:3], 0 offset:260
	buffer_load_dword v172, off, s[0:3], 0 offset:256
	buffer_load_dword v173, off, s[0:3], 0 offset:264
	buffer_load_dword v174, off, s[0:3], 0 offset:268
	buffer_load_dword v175, off, s[0:3], 0 offset:120
	buffer_load_dword v176, off, s[0:3], 0 offset:124
	buffer_load_dword v177, off, s[0:3], 0 offset:276
	buffer_load_dword v178, off, s[0:3], 0 offset:272
	buffer_load_dword v179, off, s[0:3], 0 offset:280
	buffer_load_dword v180, off, s[0:3], 0 offset:284
	ds_read_b128 v[87:90], v86 offset:464
	ds_read_b128 v[91:94], v86 offset:480
	;; [unrolled: 1-line block ×4, first 2 shown]
	buffer_load_dword v181, off, s[0:3], 0 offset:292
	buffer_load_dword v182, off, s[0:3], 0 offset:288
	;; [unrolled: 1-line block ×6, first 2 shown]
	ds_read_b128 v[103:106], v86 offset:528
	ds_read_b128 v[107:110], v86 offset:544
	buffer_load_dword v187, off, s[0:3], 0 offset:312
	buffer_load_dword v188, off, s[0:3], 0 offset:316
	;; [unrolled: 1-line block ×6, first 2 shown]
	v_cmp_lt_u32_e32 vcc, 14, v0
	s_waitcnt vmcnt(53) lgkmcnt(5)
	v_mul_f32_e32 v111, v87, v139
	s_waitcnt vmcnt(52)
	v_mul_f32_e32 v112, v89, v140
	s_waitcnt vmcnt(51) lgkmcnt(4)
	v_mul_f32_e32 v113, v91, v141
	s_waitcnt vmcnt(50)
	v_mul_f32_e32 v114, v93, v142
	;; [unrolled: 4-line block ×5, first 2 shown]
	s_waitcnt vmcnt(43)
	v_fmac_f32_e32 v111, v88, v149
	v_mul_f32_e32 v88, v88, v139
	s_waitcnt vmcnt(42)
	v_fmac_f32_e32 v112, v90, v150
	v_add_f32_e32 v111, 0, v111
	v_fma_f32 v87, v87, v149, -v88
	v_mul_f32_e32 v88, v90, v140
	s_waitcnt vmcnt(41)
	v_fmac_f32_e32 v113, v92, v151
	v_add_f32_e32 v111, v111, v112
	v_add_f32_e32 v87, 0, v87
	v_fma_f32 v88, v89, v150, -v88
	s_waitcnt vmcnt(40)
	v_fmac_f32_e32 v114, v94, v152
	v_add_f32_e32 v111, v111, v113
	v_add_f32_e32 v87, v87, v88
	v_mul_f32_e32 v88, v92, v141
	s_waitcnt vmcnt(39)
	v_fmac_f32_e32 v115, v96, v153
	v_add_f32_e32 v111, v111, v114
	v_fma_f32 v88, v91, v151, -v88
	s_waitcnt vmcnt(38)
	v_fmac_f32_e32 v116, v98, v154
	v_add_f32_e32 v111, v111, v115
	v_add_f32_e32 v87, v87, v88
	v_mul_f32_e32 v88, v94, v142
	s_waitcnt vmcnt(37)
	v_fmac_f32_e32 v117, v100, v155
	;; [unrolled: 9-line block ×3, first 2 shown]
	v_add_f32_e32 v111, v111, v118
	v_fma_f32 v88, v95, v153, -v88
	s_waitcnt vmcnt(34)
	v_fmac_f32_e32 v120, v106, v158
	v_add_f32_e32 v111, v111, v119
	s_waitcnt vmcnt(33) lgkmcnt(0)
	v_mul_f32_e32 v112, v107, v159
	v_add_f32_e32 v87, v87, v88
	v_mul_f32_e32 v88, v98, v144
	v_add_f32_e32 v111, v111, v120
	s_waitcnt vmcnt(32)
	v_fmac_f32_e32 v112, v108, v160
	v_fma_f32 v88, v97, v154, -v88
	v_add_f32_e32 v115, v111, v112
	ds_read_b128 v[111:114], v86 offset:560
	v_add_f32_e32 v87, v87, v88
	v_mul_f32_e32 v88, v100, v145
	v_fma_f32 v88, v99, v155, -v88
	s_waitcnt vmcnt(31)
	v_mul_f32_e32 v116, v109, v161
	v_add_f32_e32 v87, v87, v88
	v_mul_f32_e32 v88, v102, v146
	s_waitcnt vmcnt(30)
	v_fmac_f32_e32 v116, v110, v162
	v_fma_f32 v88, v101, v156, -v88
	v_add_f32_e32 v119, v115, v116
	ds_read_b128 v[115:118], v86 offset:576
	v_add_f32_e32 v87, v87, v88
	v_mul_f32_e32 v88, v104, v147
	s_waitcnt vmcnt(29) lgkmcnt(1)
	v_mul_f32_e32 v120, v111, v163
	v_fma_f32 v88, v103, v157, -v88
	s_waitcnt vmcnt(28)
	v_fmac_f32_e32 v120, v112, v164
	v_add_f32_e32 v87, v87, v88
	v_mul_f32_e32 v88, v106, v148
	v_add_f32_e32 v119, v119, v120
	s_waitcnt vmcnt(27)
	v_mul_f32_e32 v120, v113, v165
	v_fma_f32 v88, v105, v158, -v88
	s_waitcnt vmcnt(26)
	v_fmac_f32_e32 v120, v114, v166
	v_add_f32_e32 v87, v87, v88
	v_mul_f32_e32 v88, v108, v159
	v_add_f32_e32 v119, v119, v120
	s_waitcnt vmcnt(25) lgkmcnt(0)
	v_mul_f32_e32 v120, v115, v167
	v_fma_f32 v88, v107, v160, -v88
	s_waitcnt vmcnt(24)
	v_fmac_f32_e32 v120, v116, v168
	v_add_f32_e32 v87, v87, v88
	v_mul_f32_e32 v88, v110, v161
	v_add_f32_e32 v123, v119, v120
	ds_read_b128 v[119:122], v86 offset:592
	v_fma_f32 v88, v109, v162, -v88
	v_add_f32_e32 v87, v87, v88
	v_mul_f32_e32 v88, v112, v163
	s_waitcnt vmcnt(23)
	v_mul_f32_e32 v124, v117, v169
	v_fma_f32 v88, v111, v164, -v88
	s_waitcnt vmcnt(22)
	v_fmac_f32_e32 v124, v118, v170
	v_add_f32_e32 v87, v87, v88
	v_mul_f32_e32 v88, v114, v165
	v_add_f32_e32 v127, v123, v124
	ds_read_b128 v[123:126], v86 offset:608
	v_fma_f32 v88, v113, v166, -v88
	s_waitcnt vmcnt(21) lgkmcnt(1)
	v_mul_f32_e32 v128, v119, v171
	v_add_f32_e32 v87, v87, v88
	v_mul_f32_e32 v88, v116, v167
	s_waitcnt vmcnt(20)
	v_fmac_f32_e32 v128, v120, v172
	v_fma_f32 v88, v115, v168, -v88
	v_add_f32_e32 v127, v127, v128
	s_waitcnt vmcnt(18)
	v_mul_f32_e32 v128, v121, v174
	v_add_f32_e32 v87, v87, v88
	v_mul_f32_e32 v88, v118, v169
	v_fmac_f32_e32 v128, v122, v173
	v_fma_f32 v88, v117, v170, -v88
	v_add_f32_e32 v127, v127, v128
	s_waitcnt vmcnt(15) lgkmcnt(0)
	v_mul_f32_e32 v128, v123, v177
	v_add_f32_e32 v87, v87, v88
	v_mul_f32_e32 v88, v120, v171
	s_waitcnt vmcnt(14)
	v_fmac_f32_e32 v128, v124, v178
	v_fma_f32 v88, v119, v172, -v88
	v_add_f32_e32 v131, v127, v128
	ds_read_b128 v[127:130], v86 offset:624
	v_add_f32_e32 v87, v87, v88
	v_mul_f32_e32 v88, v122, v174
	v_fma_f32 v88, v121, v173, -v88
	v_add_f32_e32 v87, v87, v88
	v_mul_f32_e32 v88, v124, v177
	s_waitcnt vmcnt(12)
	v_mul_f32_e32 v132, v125, v180
	v_fma_f32 v88, v123, v178, -v88
	v_fmac_f32_e32 v132, v126, v179
	v_add_f32_e32 v87, v87, v88
	v_mul_f32_e32 v88, v126, v180
	v_add_f32_e32 v135, v131, v132
	ds_read_b128 v[131:134], v86 offset:640
	s_waitcnt vmcnt(11) lgkmcnt(1)
	v_mul_f32_e32 v136, v127, v181
	v_fma_f32 v88, v125, v179, -v88
	s_waitcnt vmcnt(10)
	v_fmac_f32_e32 v136, v128, v182
	v_add_f32_e32 v87, v87, v88
	v_mul_f32_e32 v88, v128, v181
	v_add_f32_e32 v135, v135, v136
	s_waitcnt vmcnt(8)
	v_mul_f32_e32 v136, v129, v184
	v_fma_f32 v88, v127, v182, -v88
	v_fmac_f32_e32 v136, v130, v183
	v_add_f32_e32 v87, v87, v88
	v_mul_f32_e32 v88, v130, v184
	v_add_f32_e32 v193, v135, v136
	ds_read_b128 v[135:138], v86 offset:656
	v_fma_f32 v88, v129, v183, -v88
	v_add_f32_e32 v87, v87, v88
	s_waitcnt vmcnt(6) lgkmcnt(1)
	v_mul_f32_e32 v88, v132, v186
	v_mul_f32_e32 v194, v131, v186
	v_fma_f32 v88, v131, v185, -v88
	v_fmac_f32_e32 v194, v132, v185
	v_add_f32_e32 v87, v87, v88
	s_waitcnt vmcnt(4)
	v_mul_f32_e32 v88, v134, v188
	v_add_f32_e32 v86, v193, v194
	v_mul_f32_e32 v193, v133, v188
	v_fma_f32 v88, v133, v187, -v88
	v_fmac_f32_e32 v193, v134, v187
	v_add_f32_e32 v87, v87, v88
	s_waitcnt vmcnt(2) lgkmcnt(0)
	v_mul_f32_e32 v88, v136, v190
	v_add_f32_e32 v86, v86, v193
	v_mul_f32_e32 v193, v135, v190
	v_fma_f32 v88, v135, v189, -v88
	v_fmac_f32_e32 v193, v136, v189
	v_add_f32_e32 v87, v87, v88
	s_waitcnt vmcnt(0)
	v_mul_f32_e32 v88, v138, v192
	v_add_f32_e32 v86, v86, v193
	v_mul_f32_e32 v193, v137, v192
	v_fma_f32 v88, v137, v191, -v88
	v_fmac_f32_e32 v193, v138, v191
	v_add_f32_e32 v87, v87, v88
	v_add_f32_e32 v86, v86, v193
	v_sub_f32_e32 v87, v175, v87
	v_sub_f32_e32 v86, v176, v86
	buffer_store_dword v87, off, s[0:3], 0 offset:120
	buffer_store_dword v86, off, s[0:3], 0 offset:124
	s_and_saveexec_b64 s[4:5], vcc
	s_cbranch_execz .LBB41_237
; %bb.236:
	buffer_load_dword v86, off, s[0:3], 0 offset:112
	buffer_load_dword v87, off, s[0:3], 0 offset:116
	v_mov_b32_e32 v88, 0
	buffer_store_dword v88, off, s[0:3], 0 offset:112
	buffer_store_dword v88, off, s[0:3], 0 offset:116
	s_waitcnt vmcnt(2)
	ds_write_b64 v85, v[86:87]
.LBB41_237:
	s_or_b64 exec, exec, s[4:5]
	s_waitcnt lgkmcnt(0)
	; wave barrier
	buffer_load_dword v141, off, s[0:3], 0 offset:124
	buffer_load_dword v142, off, s[0:3], 0 offset:132
	;; [unrolled: 1-line block ×56, first 2 shown]
	v_mov_b32_e32 v86, 0
	ds_read2_b64 v[87:90], v86 offset0:57 offset1:58
	ds_read2_b64 v[91:94], v86 offset0:59 offset1:60
	;; [unrolled: 1-line block ×6, first 2 shown]
	v_cmp_lt_u32_e32 vcc, 13, v0
	s_waitcnt vmcnt(55) lgkmcnt(5)
	v_mul_f32_e32 v111, v87, v141
	s_waitcnt vmcnt(54)
	v_mul_f32_e32 v112, v89, v142
	s_waitcnt vmcnt(53) lgkmcnt(4)
	v_mul_f32_e32 v113, v91, v143
	s_waitcnt vmcnt(52)
	v_mul_f32_e32 v114, v93, v144
	;; [unrolled: 4-line block ×4, first 2 shown]
	s_waitcnt vmcnt(47) lgkmcnt(1)
	v_mul_f32_e32 v119, v103, v149
	s_waitcnt vmcnt(46)
	v_fmac_f32_e32 v111, v88, v150
	s_waitcnt vmcnt(45)
	v_fmac_f32_e32 v112, v90, v151
	v_add_f32_e32 v111, 0, v111
	s_waitcnt vmcnt(44)
	v_fmac_f32_e32 v113, v92, v152
	v_add_f32_e32 v111, v111, v112
	;; [unrolled: 3-line block ×3, first 2 shown]
	v_mul_f32_e32 v88, v88, v141
	s_waitcnt vmcnt(42)
	v_fmac_f32_e32 v115, v96, v154
	v_add_f32_e32 v111, v111, v114
	v_fma_f32 v87, v87, v150, -v88
	v_mul_f32_e32 v88, v90, v142
	s_waitcnt vmcnt(41)
	v_fmac_f32_e32 v116, v98, v155
	v_add_f32_e32 v111, v111, v115
	v_add_f32_e32 v87, 0, v87
	v_fma_f32 v88, v89, v151, -v88
	s_waitcnt vmcnt(40)
	v_fmac_f32_e32 v117, v100, v156
	v_add_f32_e32 v111, v111, v116
	v_add_f32_e32 v87, v87, v88
	v_mul_f32_e32 v88, v92, v143
	s_waitcnt vmcnt(39)
	v_fmac_f32_e32 v118, v102, v157
	v_add_f32_e32 v111, v111, v117
	v_fma_f32 v88, v91, v152, -v88
	v_add_f32_e32 v111, v111, v118
	s_waitcnt vmcnt(38)
	v_fmac_f32_e32 v119, v104, v158
	s_waitcnt vmcnt(37)
	v_mul_f32_e32 v112, v105, v159
	v_add_f32_e32 v87, v87, v88
	v_mul_f32_e32 v88, v94, v144
	v_add_f32_e32 v111, v111, v119
	s_waitcnt vmcnt(36)
	v_fmac_f32_e32 v112, v106, v160
	v_fma_f32 v88, v93, v153, -v88
	v_add_f32_e32 v111, v111, v112
	s_waitcnt vmcnt(35) lgkmcnt(0)
	v_mul_f32_e32 v112, v107, v161
	v_add_f32_e32 v87, v87, v88
	v_mul_f32_e32 v88, v96, v145
	s_waitcnt vmcnt(34)
	v_fmac_f32_e32 v112, v108, v162
	v_fma_f32 v88, v95, v154, -v88
	v_add_f32_e32 v115, v111, v112
	ds_read2_b64 v[111:114], v86 offset0:69 offset1:70
	v_add_f32_e32 v87, v87, v88
	v_mul_f32_e32 v88, v98, v146
	v_fma_f32 v88, v97, v155, -v88
	s_waitcnt vmcnt(33)
	v_mul_f32_e32 v116, v109, v163
	v_add_f32_e32 v87, v87, v88
	v_mul_f32_e32 v88, v100, v147
	s_waitcnt vmcnt(32)
	v_fmac_f32_e32 v116, v110, v164
	v_fma_f32 v88, v99, v156, -v88
	v_add_f32_e32 v119, v115, v116
	ds_read2_b64 v[115:118], v86 offset0:71 offset1:72
	v_add_f32_e32 v87, v87, v88
	v_mul_f32_e32 v88, v102, v148
	s_waitcnt vmcnt(31) lgkmcnt(1)
	v_mul_f32_e32 v120, v111, v165
	v_fma_f32 v88, v101, v157, -v88
	s_waitcnt vmcnt(30)
	v_fmac_f32_e32 v120, v112, v166
	v_add_f32_e32 v87, v87, v88
	v_mul_f32_e32 v88, v104, v149
	v_add_f32_e32 v119, v119, v120
	s_waitcnt vmcnt(29)
	v_mul_f32_e32 v120, v113, v167
	v_fma_f32 v88, v103, v158, -v88
	s_waitcnt vmcnt(28)
	v_fmac_f32_e32 v120, v114, v168
	v_add_f32_e32 v87, v87, v88
	v_mul_f32_e32 v88, v106, v159
	v_add_f32_e32 v119, v119, v120
	s_waitcnt vmcnt(27) lgkmcnt(0)
	v_mul_f32_e32 v120, v115, v169
	v_fma_f32 v88, v105, v160, -v88
	s_waitcnt vmcnt(26)
	v_fmac_f32_e32 v120, v116, v170
	v_add_f32_e32 v87, v87, v88
	v_mul_f32_e32 v88, v108, v161
	v_add_f32_e32 v123, v119, v120
	ds_read2_b64 v[119:122], v86 offset0:73 offset1:74
	v_fma_f32 v88, v107, v162, -v88
	v_add_f32_e32 v87, v87, v88
	v_mul_f32_e32 v88, v110, v163
	s_waitcnt vmcnt(24)
	v_mul_f32_e32 v124, v117, v172
	v_fma_f32 v88, v109, v164, -v88
	v_fmac_f32_e32 v124, v118, v171
	v_add_f32_e32 v87, v87, v88
	v_mul_f32_e32 v88, v112, v165
	v_add_f32_e32 v127, v123, v124
	ds_read2_b64 v[123:126], v86 offset0:75 offset1:76
	v_fma_f32 v88, v111, v166, -v88
	s_waitcnt vmcnt(21) lgkmcnt(1)
	v_mul_f32_e32 v128, v119, v175
	v_add_f32_e32 v87, v87, v88
	v_mul_f32_e32 v88, v114, v167
	s_waitcnt vmcnt(20)
	v_fmac_f32_e32 v128, v120, v176
	v_fma_f32 v88, v113, v168, -v88
	v_add_f32_e32 v127, v127, v128
	s_waitcnt vmcnt(18)
	v_mul_f32_e32 v128, v121, v178
	v_add_f32_e32 v87, v87, v88
	v_mul_f32_e32 v88, v116, v169
	v_fmac_f32_e32 v128, v122, v177
	v_fma_f32 v88, v115, v170, -v88
	v_add_f32_e32 v127, v127, v128
	s_waitcnt vmcnt(16) lgkmcnt(0)
	v_mul_f32_e32 v128, v123, v180
	v_add_f32_e32 v87, v87, v88
	v_mul_f32_e32 v88, v118, v172
	v_fmac_f32_e32 v128, v124, v179
	v_fma_f32 v88, v117, v171, -v88
	v_add_f32_e32 v131, v127, v128
	ds_read2_b64 v[127:130], v86 offset0:77 offset1:78
	v_add_f32_e32 v87, v87, v88
	v_mul_f32_e32 v88, v120, v175
	v_fma_f32 v88, v119, v176, -v88
	s_waitcnt vmcnt(14)
	v_mul_f32_e32 v132, v125, v182
	v_add_f32_e32 v87, v87, v88
	v_mul_f32_e32 v88, v122, v178
	v_fmac_f32_e32 v132, v126, v181
	v_fma_f32 v88, v121, v177, -v88
	v_add_f32_e32 v135, v131, v132
	ds_read2_b64 v[131:134], v86 offset0:79 offset1:80
	v_add_f32_e32 v87, v87, v88
	v_mul_f32_e32 v88, v124, v180
	s_waitcnt vmcnt(12) lgkmcnt(1)
	v_mul_f32_e32 v136, v127, v184
	v_fma_f32 v88, v123, v179, -v88
	v_fmac_f32_e32 v136, v128, v183
	v_add_f32_e32 v87, v87, v88
	v_mul_f32_e32 v88, v126, v182
	v_add_f32_e32 v135, v135, v136
	s_waitcnt vmcnt(10)
	v_mul_f32_e32 v136, v129, v186
	v_fma_f32 v88, v125, v181, -v88
	v_fmac_f32_e32 v136, v130, v185
	v_add_f32_e32 v87, v87, v88
	v_mul_f32_e32 v88, v128, v184
	v_add_f32_e32 v135, v135, v136
	s_waitcnt vmcnt(8) lgkmcnt(0)
	v_mul_f32_e32 v136, v131, v188
	v_fma_f32 v88, v127, v183, -v88
	v_fmac_f32_e32 v136, v132, v187
	v_add_f32_e32 v87, v87, v88
	v_mul_f32_e32 v88, v130, v186
	v_add_f32_e32 v139, v135, v136
	ds_read2_b64 v[135:138], v86 offset0:81 offset1:82
	v_fma_f32 v88, v129, v185, -v88
	v_add_f32_e32 v87, v87, v88
	v_mul_f32_e32 v88, v132, v188
	s_waitcnt vmcnt(6)
	v_mul_f32_e32 v140, v133, v190
	v_fma_f32 v88, v131, v187, -v88
	v_fmac_f32_e32 v140, v134, v189
	v_add_f32_e32 v87, v87, v88
	v_mul_f32_e32 v88, v134, v190
	v_add_f32_e32 v197, v139, v140
	ds_read_b64 v[139:140], v86 offset:664
	v_fma_f32 v88, v133, v189, -v88
	v_add_f32_e32 v87, v87, v88
	s_waitcnt vmcnt(4) lgkmcnt(1)
	v_mul_f32_e32 v88, v136, v192
	v_mul_f32_e32 v198, v135, v192
	v_fma_f32 v88, v135, v191, -v88
	v_fmac_f32_e32 v198, v136, v191
	v_add_f32_e32 v87, v87, v88
	s_waitcnt vmcnt(2)
	v_mul_f32_e32 v88, v138, v194
	v_add_f32_e32 v197, v197, v198
	v_mul_f32_e32 v198, v137, v194
	v_fma_f32 v88, v137, v193, -v88
	v_fmac_f32_e32 v198, v138, v193
	v_add_f32_e32 v87, v87, v88
	s_waitcnt vmcnt(0) lgkmcnt(0)
	v_mul_f32_e32 v88, v140, v196
	v_add_f32_e32 v197, v197, v198
	v_mul_f32_e32 v198, v139, v196
	v_fma_f32 v88, v139, v195, -v88
	v_fmac_f32_e32 v198, v140, v195
	v_add_f32_e32 v87, v87, v88
	v_add_f32_e32 v197, v197, v198
	v_sub_f32_e32 v87, v173, v87
	v_sub_f32_e32 v88, v174, v197
	buffer_store_dword v87, off, s[0:3], 0 offset:112
	buffer_store_dword v88, off, s[0:3], 0 offset:116
	s_and_saveexec_b64 s[4:5], vcc
	s_cbranch_execz .LBB41_239
; %bb.238:
	buffer_load_dword v87, off, s[0:3], 0 offset:104
	buffer_load_dword v88, off, s[0:3], 0 offset:108
	s_waitcnt vmcnt(0)
	ds_write_b64 v85, v[87:88]
	buffer_store_dword v86, off, s[0:3], 0 offset:104
	buffer_store_dword v86, off, s[0:3], 0 offset:108
.LBB41_239:
	s_or_b64 exec, exec, s[4:5]
	s_waitcnt lgkmcnt(0)
	; wave barrier
	buffer_load_dword v143, off, s[0:3], 0 offset:116
	buffer_load_dword v144, off, s[0:3], 0 offset:124
	;; [unrolled: 1-line block ×34, first 2 shown]
	ds_read_b128 v[87:90], v86 offset:448
	ds_read_b128 v[91:94], v86 offset:464
	buffer_load_dword v177, off, s[0:3], 0 offset:244
	buffer_load_dword v178, off, s[0:3], 0 offset:240
	;; [unrolled: 1-line block ×6, first 2 shown]
	ds_read_b128 v[95:98], v86 offset:480
	ds_read_b128 v[99:102], v86 offset:496
	;; [unrolled: 1-line block ×4, first 2 shown]
	buffer_load_dword v183, off, s[0:3], 0 offset:268
	buffer_load_dword v184, off, s[0:3], 0 offset:264
	;; [unrolled: 1-line block ×18, first 2 shown]
	v_cmp_lt_u32_e32 vcc, 12, v0
	s_waitcnt vmcnt(57) lgkmcnt(5)
	v_mul_f32_e32 v111, v87, v143
	s_waitcnt vmcnt(56)
	v_mul_f32_e32 v112, v89, v144
	s_waitcnt vmcnt(55) lgkmcnt(4)
	v_mul_f32_e32 v113, v91, v145
	s_waitcnt vmcnt(54)
	v_mul_f32_e32 v114, v93, v146
	s_waitcnt vmcnt(53) lgkmcnt(3)
	v_mul_f32_e32 v115, v95, v147
	s_waitcnt vmcnt(52)
	v_mul_f32_e32 v116, v97, v148
	s_waitcnt vmcnt(51) lgkmcnt(2)
	v_mul_f32_e32 v117, v99, v149
	s_waitcnt vmcnt(50)
	v_mul_f32_e32 v118, v101, v150
	s_waitcnt vmcnt(49)
	v_fmac_f32_e32 v111, v88, v151
	s_waitcnt vmcnt(48)
	v_fmac_f32_e32 v112, v90, v152
	v_add_f32_e32 v111, 0, v111
	s_waitcnt vmcnt(47)
	v_fmac_f32_e32 v113, v92, v153
	v_add_f32_e32 v111, v111, v112
	;; [unrolled: 3-line block ×4, first 2 shown]
	v_mul_f32_e32 v88, v88, v143
	s_waitcnt vmcnt(44)
	v_fmac_f32_e32 v116, v98, v156
	v_add_f32_e32 v111, v111, v115
	v_fma_f32 v87, v87, v151, -v88
	v_mul_f32_e32 v88, v90, v144
	s_waitcnt vmcnt(43)
	v_fmac_f32_e32 v117, v100, v157
	v_add_f32_e32 v111, v111, v116
	v_add_f32_e32 v87, 0, v87
	v_fma_f32 v88, v89, v152, -v88
	s_waitcnt vmcnt(42)
	v_fmac_f32_e32 v118, v102, v158
	v_add_f32_e32 v111, v111, v117
	s_waitcnt vmcnt(41) lgkmcnt(1)
	v_mul_f32_e32 v112, v103, v159
	v_add_f32_e32 v87, v87, v88
	v_mul_f32_e32 v88, v92, v145
	v_add_f32_e32 v111, v111, v118
	s_waitcnt vmcnt(40)
	v_fmac_f32_e32 v112, v104, v160
	v_fma_f32 v88, v91, v153, -v88
	v_add_f32_e32 v111, v111, v112
	s_waitcnt vmcnt(39)
	v_mul_f32_e32 v112, v105, v161
	v_add_f32_e32 v87, v87, v88
	v_mul_f32_e32 v88, v94, v146
	s_waitcnt vmcnt(38)
	v_fmac_f32_e32 v112, v106, v162
	v_fma_f32 v88, v93, v154, -v88
	v_add_f32_e32 v111, v111, v112
	s_waitcnt vmcnt(37) lgkmcnt(0)
	v_mul_f32_e32 v112, v107, v163
	v_add_f32_e32 v87, v87, v88
	v_mul_f32_e32 v88, v96, v147
	s_waitcnt vmcnt(36)
	v_fmac_f32_e32 v112, v108, v164
	v_fma_f32 v88, v95, v155, -v88
	v_add_f32_e32 v115, v111, v112
	ds_read_b128 v[111:114], v86 offset:544
	v_add_f32_e32 v87, v87, v88
	v_mul_f32_e32 v88, v98, v148
	v_fma_f32 v88, v97, v156, -v88
	s_waitcnt vmcnt(35)
	v_mul_f32_e32 v116, v109, v165
	v_add_f32_e32 v87, v87, v88
	v_mul_f32_e32 v88, v100, v149
	s_waitcnt vmcnt(34)
	v_fmac_f32_e32 v116, v110, v166
	v_fma_f32 v88, v99, v157, -v88
	v_add_f32_e32 v119, v115, v116
	ds_read_b128 v[115:118], v86 offset:560
	v_add_f32_e32 v87, v87, v88
	v_mul_f32_e32 v88, v102, v150
	s_waitcnt vmcnt(33) lgkmcnt(1)
	v_mul_f32_e32 v120, v111, v167
	v_fma_f32 v88, v101, v158, -v88
	s_waitcnt vmcnt(32)
	v_fmac_f32_e32 v120, v112, v168
	v_add_f32_e32 v87, v87, v88
	v_mul_f32_e32 v88, v104, v159
	v_add_f32_e32 v119, v119, v120
	s_waitcnt vmcnt(31)
	v_mul_f32_e32 v120, v113, v169
	v_fma_f32 v88, v103, v160, -v88
	s_waitcnt vmcnt(30)
	v_fmac_f32_e32 v120, v114, v170
	v_add_f32_e32 v87, v87, v88
	v_mul_f32_e32 v88, v106, v161
	v_add_f32_e32 v119, v119, v120
	s_waitcnt vmcnt(29) lgkmcnt(0)
	v_mul_f32_e32 v120, v115, v171
	v_fma_f32 v88, v105, v162, -v88
	s_waitcnt vmcnt(28)
	v_fmac_f32_e32 v120, v116, v172
	v_add_f32_e32 v87, v87, v88
	v_mul_f32_e32 v88, v108, v163
	v_add_f32_e32 v123, v119, v120
	ds_read_b128 v[119:122], v86 offset:576
	v_fma_f32 v88, v107, v164, -v88
	v_add_f32_e32 v87, v87, v88
	v_mul_f32_e32 v88, v110, v165
	s_waitcnt vmcnt(25)
	v_mul_f32_e32 v124, v117, v175
	v_fma_f32 v88, v109, v166, -v88
	s_waitcnt vmcnt(24)
	v_fmac_f32_e32 v124, v118, v176
	v_add_f32_e32 v87, v87, v88
	v_mul_f32_e32 v88, v112, v167
	v_add_f32_e32 v127, v123, v124
	ds_read_b128 v[123:126], v86 offset:592
	v_fma_f32 v88, v111, v168, -v88
	s_waitcnt vmcnt(23) lgkmcnt(1)
	v_mul_f32_e32 v128, v119, v177
	v_add_f32_e32 v87, v87, v88
	v_mul_f32_e32 v88, v114, v169
	s_waitcnt vmcnt(22)
	v_fmac_f32_e32 v128, v120, v178
	v_fma_f32 v88, v113, v170, -v88
	v_add_f32_e32 v127, v127, v128
	s_waitcnt vmcnt(20)
	v_mul_f32_e32 v128, v121, v180
	v_add_f32_e32 v87, v87, v88
	v_mul_f32_e32 v88, v116, v171
	v_fmac_f32_e32 v128, v122, v179
	v_fma_f32 v88, v115, v172, -v88
	v_add_f32_e32 v127, v127, v128
	s_waitcnt vmcnt(18) lgkmcnt(0)
	v_mul_f32_e32 v128, v123, v182
	v_add_f32_e32 v87, v87, v88
	v_mul_f32_e32 v88, v118, v175
	v_fmac_f32_e32 v128, v124, v181
	v_fma_f32 v88, v117, v176, -v88
	v_add_f32_e32 v131, v127, v128
	ds_read_b128 v[127:130], v86 offset:608
	v_add_f32_e32 v87, v87, v88
	v_mul_f32_e32 v88, v120, v177
	v_fma_f32 v88, v119, v178, -v88
	s_waitcnt vmcnt(17)
	v_mul_f32_e32 v132, v125, v183
	v_add_f32_e32 v87, v87, v88
	v_mul_f32_e32 v88, v122, v180
	s_waitcnt vmcnt(16)
	v_fmac_f32_e32 v132, v126, v184
	v_fma_f32 v88, v121, v179, -v88
	v_add_f32_e32 v135, v131, v132
	ds_read_b128 v[131:134], v86 offset:624
	v_add_f32_e32 v87, v87, v88
	v_mul_f32_e32 v88, v124, v182
	s_waitcnt vmcnt(14) lgkmcnt(1)
	v_mul_f32_e32 v136, v127, v186
	v_fma_f32 v88, v123, v181, -v88
	v_fmac_f32_e32 v136, v128, v185
	v_add_f32_e32 v87, v87, v88
	v_mul_f32_e32 v88, v126, v183
	v_add_f32_e32 v135, v135, v136
	s_waitcnt vmcnt(12)
	v_mul_f32_e32 v136, v129, v188
	v_fma_f32 v88, v125, v184, -v88
	v_fmac_f32_e32 v136, v130, v187
	v_add_f32_e32 v87, v87, v88
	v_mul_f32_e32 v88, v128, v186
	v_add_f32_e32 v135, v135, v136
	s_waitcnt vmcnt(10) lgkmcnt(0)
	v_mul_f32_e32 v136, v131, v190
	v_fma_f32 v88, v127, v185, -v88
	v_fmac_f32_e32 v136, v132, v189
	v_add_f32_e32 v87, v87, v88
	v_mul_f32_e32 v88, v130, v188
	v_add_f32_e32 v139, v135, v136
	ds_read_b128 v[135:138], v86 offset:640
	v_fma_f32 v88, v129, v187, -v88
	v_add_f32_e32 v87, v87, v88
	v_mul_f32_e32 v88, v132, v190
	s_waitcnt vmcnt(8)
	v_mul_f32_e32 v140, v133, v192
	v_fma_f32 v88, v131, v189, -v88
	v_fmac_f32_e32 v140, v134, v191
	v_add_f32_e32 v87, v87, v88
	v_mul_f32_e32 v88, v134, v192
	v_add_f32_e32 v201, v139, v140
	ds_read_b128 v[139:142], v86 offset:656
	v_fma_f32 v88, v133, v191, -v88
	v_add_f32_e32 v87, v87, v88
	s_waitcnt vmcnt(6) lgkmcnt(1)
	v_mul_f32_e32 v88, v136, v194
	v_mul_f32_e32 v86, v135, v194
	v_fma_f32 v88, v135, v193, -v88
	v_fmac_f32_e32 v86, v136, v193
	v_add_f32_e32 v87, v87, v88
	s_waitcnt vmcnt(4)
	v_mul_f32_e32 v88, v138, v196
	v_add_f32_e32 v86, v201, v86
	v_mul_f32_e32 v201, v137, v196
	v_fma_f32 v88, v137, v195, -v88
	v_fmac_f32_e32 v201, v138, v195
	v_add_f32_e32 v87, v87, v88
	s_waitcnt vmcnt(2) lgkmcnt(0)
	v_mul_f32_e32 v88, v140, v198
	v_add_f32_e32 v86, v86, v201
	v_mul_f32_e32 v201, v139, v198
	v_fma_f32 v88, v139, v197, -v88
	v_fmac_f32_e32 v201, v140, v197
	v_add_f32_e32 v87, v87, v88
	s_waitcnt vmcnt(0)
	v_mul_f32_e32 v88, v142, v200
	v_add_f32_e32 v86, v86, v201
	v_mul_f32_e32 v201, v141, v200
	v_fma_f32 v88, v141, v199, -v88
	v_fmac_f32_e32 v201, v142, v199
	v_add_f32_e32 v87, v87, v88
	v_add_f32_e32 v86, v86, v201
	v_sub_f32_e32 v87, v173, v87
	v_sub_f32_e32 v86, v174, v86
	buffer_store_dword v87, off, s[0:3], 0 offset:104
	buffer_store_dword v86, off, s[0:3], 0 offset:108
	s_and_saveexec_b64 s[4:5], vcc
	s_cbranch_execz .LBB41_241
; %bb.240:
	buffer_load_dword v86, off, s[0:3], 0 offset:96
	buffer_load_dword v87, off, s[0:3], 0 offset:100
	v_mov_b32_e32 v88, 0
	buffer_store_dword v88, off, s[0:3], 0 offset:96
	buffer_store_dword v88, off, s[0:3], 0 offset:100
	s_waitcnt vmcnt(2)
	ds_write_b64 v85, v[86:87]
.LBB41_241:
	s_or_b64 exec, exec, s[4:5]
	s_waitcnt lgkmcnt(0)
	; wave barrier
	buffer_load_dword v145, off, s[0:3], 0 offset:108
	buffer_load_dword v146, off, s[0:3], 0 offset:116
	buffer_load_dword v147, off, s[0:3], 0 offset:124
	buffer_load_dword v148, off, s[0:3], 0 offset:132
	buffer_load_dword v149, off, s[0:3], 0 offset:140
	buffer_load_dword v150, off, s[0:3], 0 offset:148
	buffer_load_dword v151, off, s[0:3], 0 offset:156
	buffer_load_dword v152, off, s[0:3], 0 offset:104
	buffer_load_dword v153, off, s[0:3], 0 offset:112
	buffer_load_dword v154, off, s[0:3], 0 offset:120
	buffer_load_dword v155, off, s[0:3], 0 offset:128
	buffer_load_dword v156, off, s[0:3], 0 offset:136
	buffer_load_dword v157, off, s[0:3], 0 offset:144
	buffer_load_dword v158, off, s[0:3], 0 offset:152
	buffer_load_dword v159, off, s[0:3], 0 offset:164
	buffer_load_dword v160, off, s[0:3], 0 offset:160
	buffer_load_dword v161, off, s[0:3], 0 offset:172
	buffer_load_dword v162, off, s[0:3], 0 offset:168
	buffer_load_dword v163, off, s[0:3], 0 offset:180
	buffer_load_dword v164, off, s[0:3], 0 offset:176
	buffer_load_dword v165, off, s[0:3], 0 offset:188
	buffer_load_dword v166, off, s[0:3], 0 offset:184
	buffer_load_dword v167, off, s[0:3], 0 offset:196
	buffer_load_dword v168, off, s[0:3], 0 offset:192
	buffer_load_dword v169, off, s[0:3], 0 offset:200
	buffer_load_dword v170, off, s[0:3], 0 offset:204
	buffer_load_dword v171, off, s[0:3], 0 offset:96
	buffer_load_dword v172, off, s[0:3], 0 offset:100
	buffer_load_dword v173, off, s[0:3], 0 offset:212
	buffer_load_dword v174, off, s[0:3], 0 offset:208
	buffer_load_dword v175, off, s[0:3], 0 offset:216
	buffer_load_dword v176, off, s[0:3], 0 offset:220
	buffer_load_dword v177, off, s[0:3], 0 offset:224
	buffer_load_dword v178, off, s[0:3], 0 offset:228
	buffer_load_dword v179, off, s[0:3], 0 offset:232
	buffer_load_dword v180, off, s[0:3], 0 offset:236
	buffer_load_dword v181, off, s[0:3], 0 offset:240
	buffer_load_dword v182, off, s[0:3], 0 offset:244
	buffer_load_dword v183, off, s[0:3], 0 offset:248
	buffer_load_dword v184, off, s[0:3], 0 offset:252
	buffer_load_dword v185, off, s[0:3], 0 offset:256
	buffer_load_dword v186, off, s[0:3], 0 offset:260
	buffer_load_dword v187, off, s[0:3], 0 offset:264
	buffer_load_dword v188, off, s[0:3], 0 offset:268
	buffer_load_dword v189, off, s[0:3], 0 offset:272
	buffer_load_dword v190, off, s[0:3], 0 offset:276
	buffer_load_dword v191, off, s[0:3], 0 offset:280
	buffer_load_dword v192, off, s[0:3], 0 offset:284
	buffer_load_dword v193, off, s[0:3], 0 offset:288
	buffer_load_dword v194, off, s[0:3], 0 offset:292
	buffer_load_dword v195, off, s[0:3], 0 offset:296
	buffer_load_dword v196, off, s[0:3], 0 offset:300
	buffer_load_dword v197, off, s[0:3], 0 offset:304
	buffer_load_dword v198, off, s[0:3], 0 offset:308
	buffer_load_dword v199, off, s[0:3], 0 offset:312
	buffer_load_dword v200, off, s[0:3], 0 offset:316
	buffer_load_dword v201, off, s[0:3], 0 offset:320
	buffer_load_dword v202, off, s[0:3], 0 offset:324
	buffer_load_dword v203, off, s[0:3], 0 offset:328
	buffer_load_dword v204, off, s[0:3], 0 offset:332
	v_mov_b32_e32 v86, 0
	ds_read2_b64 v[87:90], v86 offset0:55 offset1:56
	ds_read2_b64 v[91:94], v86 offset0:57 offset1:58
	;; [unrolled: 1-line block ×5, first 2 shown]
	v_cmp_lt_u32_e32 vcc, 11, v0
	s_waitcnt vmcnt(59) lgkmcnt(4)
	v_mul_f32_e32 v107, v87, v145
	s_waitcnt vmcnt(58)
	v_mul_f32_e32 v108, v89, v146
	s_waitcnt vmcnt(57) lgkmcnt(3)
	v_mul_f32_e32 v109, v91, v147
	s_waitcnt vmcnt(56)
	v_mul_f32_e32 v110, v93, v148
	;; [unrolled: 4-line block ×3, first 2 shown]
	s_waitcnt vmcnt(53) lgkmcnt(1)
	v_mul_f32_e32 v113, v99, v151
	s_waitcnt vmcnt(52)
	v_fmac_f32_e32 v107, v88, v152
	s_waitcnt vmcnt(51)
	v_fmac_f32_e32 v108, v90, v153
	v_add_f32_e32 v107, 0, v107
	s_waitcnt vmcnt(50)
	v_fmac_f32_e32 v109, v92, v154
	v_add_f32_e32 v107, v107, v108
	s_waitcnt vmcnt(49)
	v_fmac_f32_e32 v110, v94, v155
	v_add_f32_e32 v107, v107, v109
	s_waitcnt vmcnt(48)
	v_fmac_f32_e32 v111, v96, v156
	v_add_f32_e32 v107, v107, v110
	s_waitcnt vmcnt(47)
	v_fmac_f32_e32 v112, v98, v157
	v_add_f32_e32 v107, v107, v111
	s_waitcnt vmcnt(46)
	v_fmac_f32_e32 v113, v100, v158
	v_add_f32_e32 v107, v107, v112
	s_waitcnt vmcnt(45)
	v_mul_f32_e32 v108, v101, v159
	v_add_f32_e32 v107, v107, v113
	s_waitcnt vmcnt(44)
	v_fmac_f32_e32 v108, v102, v160
	v_mul_f32_e32 v88, v88, v145
	v_add_f32_e32 v111, v107, v108
	ds_read2_b64 v[107:110], v86 offset0:65 offset1:66
	v_fma_f32 v87, v87, v152, -v88
	v_mul_f32_e32 v88, v90, v146
	s_waitcnt vmcnt(43) lgkmcnt(1)
	v_mul_f32_e32 v112, v103, v161
	v_add_f32_e32 v87, 0, v87
	v_fma_f32 v88, v89, v153, -v88
	s_waitcnt vmcnt(42)
	v_fmac_f32_e32 v112, v104, v162
	v_add_f32_e32 v87, v87, v88
	v_mul_f32_e32 v88, v92, v147
	v_add_f32_e32 v111, v111, v112
	s_waitcnt vmcnt(41)
	v_mul_f32_e32 v112, v105, v163
	v_fma_f32 v88, v91, v154, -v88
	s_waitcnt vmcnt(40)
	v_fmac_f32_e32 v112, v106, v164
	v_add_f32_e32 v87, v87, v88
	v_mul_f32_e32 v88, v94, v148
	v_add_f32_e32 v111, v111, v112
	s_waitcnt vmcnt(39) lgkmcnt(0)
	v_mul_f32_e32 v112, v107, v165
	v_fma_f32 v88, v93, v155, -v88
	s_waitcnt vmcnt(38)
	v_fmac_f32_e32 v112, v108, v166
	v_add_f32_e32 v87, v87, v88
	v_mul_f32_e32 v88, v96, v149
	v_add_f32_e32 v115, v111, v112
	ds_read2_b64 v[111:114], v86 offset0:67 offset1:68
	v_fma_f32 v88, v95, v156, -v88
	v_add_f32_e32 v87, v87, v88
	v_mul_f32_e32 v88, v98, v150
	s_waitcnt vmcnt(37)
	v_mul_f32_e32 v116, v109, v167
	v_fma_f32 v88, v97, v157, -v88
	s_waitcnt vmcnt(36)
	v_fmac_f32_e32 v116, v110, v168
	v_add_f32_e32 v87, v87, v88
	v_mul_f32_e32 v88, v100, v151
	v_add_f32_e32 v119, v115, v116
	ds_read2_b64 v[115:118], v86 offset0:69 offset1:70
	v_fma_f32 v88, v99, v158, -v88
	s_waitcnt vmcnt(34) lgkmcnt(1)
	v_mul_f32_e32 v120, v111, v170
	v_add_f32_e32 v87, v87, v88
	v_mul_f32_e32 v88, v102, v159
	v_fmac_f32_e32 v120, v112, v169
	v_fma_f32 v88, v101, v160, -v88
	v_add_f32_e32 v119, v119, v120
	s_waitcnt vmcnt(31)
	v_mul_f32_e32 v120, v113, v173
	v_add_f32_e32 v87, v87, v88
	v_mul_f32_e32 v88, v104, v161
	s_waitcnt vmcnt(30)
	v_fmac_f32_e32 v120, v114, v174
	v_fma_f32 v88, v103, v162, -v88
	v_add_f32_e32 v119, v119, v120
	s_waitcnt vmcnt(28) lgkmcnt(0)
	v_mul_f32_e32 v120, v115, v176
	v_add_f32_e32 v87, v87, v88
	v_mul_f32_e32 v88, v106, v163
	v_fmac_f32_e32 v120, v116, v175
	v_fma_f32 v88, v105, v164, -v88
	v_add_f32_e32 v123, v119, v120
	ds_read2_b64 v[119:122], v86 offset0:71 offset1:72
	v_add_f32_e32 v87, v87, v88
	v_mul_f32_e32 v88, v108, v165
	v_fma_f32 v88, v107, v166, -v88
	s_waitcnt vmcnt(26)
	v_mul_f32_e32 v124, v117, v178
	v_add_f32_e32 v87, v87, v88
	v_mul_f32_e32 v88, v110, v167
	v_fmac_f32_e32 v124, v118, v177
	v_fma_f32 v88, v109, v168, -v88
	v_add_f32_e32 v127, v123, v124
	ds_read2_b64 v[123:126], v86 offset0:73 offset1:74
	v_add_f32_e32 v87, v87, v88
	v_mul_f32_e32 v88, v112, v170
	s_waitcnt vmcnt(24) lgkmcnt(1)
	v_mul_f32_e32 v128, v119, v180
	v_fma_f32 v88, v111, v169, -v88
	v_fmac_f32_e32 v128, v120, v179
	v_add_f32_e32 v87, v87, v88
	v_mul_f32_e32 v88, v114, v173
	v_add_f32_e32 v127, v127, v128
	s_waitcnt vmcnt(22)
	v_mul_f32_e32 v128, v121, v182
	v_fma_f32 v88, v113, v174, -v88
	v_fmac_f32_e32 v128, v122, v181
	v_add_f32_e32 v87, v87, v88
	v_mul_f32_e32 v88, v116, v176
	v_add_f32_e32 v127, v127, v128
	s_waitcnt vmcnt(20) lgkmcnt(0)
	v_mul_f32_e32 v128, v123, v184
	v_fma_f32 v88, v115, v175, -v88
	v_fmac_f32_e32 v128, v124, v183
	v_add_f32_e32 v87, v87, v88
	v_mul_f32_e32 v88, v118, v178
	v_add_f32_e32 v131, v127, v128
	ds_read2_b64 v[127:130], v86 offset0:75 offset1:76
	v_fma_f32 v88, v117, v177, -v88
	v_add_f32_e32 v87, v87, v88
	v_mul_f32_e32 v88, v120, v180
	s_waitcnt vmcnt(18)
	v_mul_f32_e32 v132, v125, v186
	v_fma_f32 v88, v119, v179, -v88
	v_fmac_f32_e32 v132, v126, v185
	v_add_f32_e32 v87, v87, v88
	v_mul_f32_e32 v88, v122, v182
	v_add_f32_e32 v135, v131, v132
	ds_read2_b64 v[131:134], v86 offset0:77 offset1:78
	v_fma_f32 v88, v121, v181, -v88
	s_waitcnt vmcnt(16) lgkmcnt(1)
	v_mul_f32_e32 v136, v127, v188
	v_add_f32_e32 v87, v87, v88
	v_mul_f32_e32 v88, v124, v184
	v_fmac_f32_e32 v136, v128, v187
	v_fma_f32 v88, v123, v183, -v88
	v_add_f32_e32 v135, v135, v136
	s_waitcnt vmcnt(14)
	v_mul_f32_e32 v136, v129, v190
	v_add_f32_e32 v87, v87, v88
	v_mul_f32_e32 v88, v126, v186
	v_fmac_f32_e32 v136, v130, v189
	v_fma_f32 v88, v125, v185, -v88
	v_add_f32_e32 v135, v135, v136
	s_waitcnt vmcnt(12) lgkmcnt(0)
	v_mul_f32_e32 v136, v131, v192
	v_add_f32_e32 v87, v87, v88
	v_mul_f32_e32 v88, v128, v188
	v_fmac_f32_e32 v136, v132, v191
	v_fma_f32 v88, v127, v187, -v88
	v_add_f32_e32 v139, v135, v136
	ds_read2_b64 v[135:138], v86 offset0:79 offset1:80
	v_add_f32_e32 v87, v87, v88
	v_mul_f32_e32 v88, v130, v190
	v_fma_f32 v88, v129, v189, -v88
	v_add_f32_e32 v87, v87, v88
	v_mul_f32_e32 v88, v132, v192
	s_waitcnt vmcnt(10)
	v_mul_f32_e32 v140, v133, v194
	v_fma_f32 v88, v131, v191, -v88
	v_fmac_f32_e32 v140, v134, v193
	v_add_f32_e32 v87, v87, v88
	v_mul_f32_e32 v88, v134, v194
	v_add_f32_e32 v143, v139, v140
	ds_read2_b64 v[139:142], v86 offset0:81 offset1:82
	s_waitcnt vmcnt(8) lgkmcnt(1)
	v_mul_f32_e32 v144, v135, v196
	v_fma_f32 v88, v133, v193, -v88
	v_fmac_f32_e32 v144, v136, v195
	v_add_f32_e32 v87, v87, v88
	v_mul_f32_e32 v88, v136, v196
	v_add_f32_e32 v143, v143, v144
	s_waitcnt vmcnt(6)
	v_mul_f32_e32 v144, v137, v198
	v_fma_f32 v88, v135, v195, -v88
	v_fmac_f32_e32 v144, v138, v197
	v_add_f32_e32 v87, v87, v88
	v_mul_f32_e32 v88, v138, v198
	v_add_f32_e32 v205, v143, v144
	ds_read_b64 v[143:144], v86 offset:664
	v_fma_f32 v88, v137, v197, -v88
	v_add_f32_e32 v87, v87, v88
	s_waitcnt vmcnt(4) lgkmcnt(1)
	v_mul_f32_e32 v88, v140, v200
	v_mul_f32_e32 v206, v139, v200
	v_fma_f32 v88, v139, v199, -v88
	v_fmac_f32_e32 v206, v140, v199
	v_add_f32_e32 v87, v87, v88
	s_waitcnt vmcnt(2)
	v_mul_f32_e32 v88, v142, v202
	v_add_f32_e32 v205, v205, v206
	v_mul_f32_e32 v206, v141, v202
	v_fma_f32 v88, v141, v201, -v88
	v_fmac_f32_e32 v206, v142, v201
	v_add_f32_e32 v87, v87, v88
	s_waitcnt vmcnt(0) lgkmcnt(0)
	v_mul_f32_e32 v88, v144, v204
	v_add_f32_e32 v205, v205, v206
	v_mul_f32_e32 v206, v143, v204
	v_fma_f32 v88, v143, v203, -v88
	v_fmac_f32_e32 v206, v144, v203
	v_add_f32_e32 v87, v87, v88
	v_add_f32_e32 v205, v205, v206
	v_sub_f32_e32 v87, v171, v87
	v_sub_f32_e32 v88, v172, v205
	buffer_store_dword v87, off, s[0:3], 0 offset:96
	buffer_store_dword v88, off, s[0:3], 0 offset:100
	s_and_saveexec_b64 s[4:5], vcc
	s_cbranch_execz .LBB41_243
; %bb.242:
	buffer_load_dword v87, off, s[0:3], 0 offset:88
	buffer_load_dword v88, off, s[0:3], 0 offset:92
	s_waitcnt vmcnt(0)
	ds_write_b64 v85, v[87:88]
	buffer_store_dword v86, off, s[0:3], 0 offset:88
	buffer_store_dword v86, off, s[0:3], 0 offset:92
.LBB41_243:
	s_or_b64 exec, exec, s[4:5]
	s_waitcnt lgkmcnt(0)
	; wave barrier
	buffer_load_dword v147, off, s[0:3], 0 offset:100
	buffer_load_dword v148, off, s[0:3], 0 offset:108
	;; [unrolled: 1-line block ×32, first 2 shown]
	ds_read_b128 v[87:90], v86 offset:432
	ds_read_b128 v[91:94], v86 offset:448
	;; [unrolled: 1-line block ×4, first 2 shown]
	buffer_load_dword v179, off, s[0:3], 0 offset:220
	buffer_load_dword v180, off, s[0:3], 0 offset:216
	;; [unrolled: 1-line block ×30, first 2 shown]
	v_cmp_lt_u32_e32 vcc, 10, v0
	s_waitcnt vmcnt(61) lgkmcnt(3)
	v_mul_f32_e32 v103, v87, v147
	s_waitcnt vmcnt(60)
	v_mul_f32_e32 v104, v89, v148
	s_waitcnt vmcnt(59) lgkmcnt(2)
	v_mul_f32_e32 v105, v91, v149
	s_waitcnt vmcnt(58)
	v_mul_f32_e32 v106, v93, v150
	;; [unrolled: 4-line block ×3, first 2 shown]
	s_waitcnt vmcnt(55) lgkmcnt(0)
	v_mul_f32_e32 v109, v99, v153
	s_waitcnt vmcnt(54)
	v_fmac_f32_e32 v103, v88, v154
	s_waitcnt vmcnt(53)
	v_fmac_f32_e32 v104, v90, v155
	v_add_f32_e32 v103, 0, v103
	s_waitcnt vmcnt(52)
	v_fmac_f32_e32 v105, v92, v156
	v_add_f32_e32 v103, v103, v104
	;; [unrolled: 3-line block ×6, first 2 shown]
	v_add_f32_e32 v107, v103, v109
	ds_read_b128 v[103:106], v86 offset:496
	s_waitcnt vmcnt(47)
	v_mul_f32_e32 v108, v101, v161
	s_waitcnt vmcnt(46)
	v_fmac_f32_e32 v108, v102, v162
	v_mul_f32_e32 v88, v88, v147
	v_add_f32_e32 v111, v107, v108
	ds_read_b128 v[107:110], v86 offset:512
	v_fma_f32 v87, v87, v154, -v88
	v_mul_f32_e32 v88, v90, v148
	s_waitcnt vmcnt(45) lgkmcnt(1)
	v_mul_f32_e32 v112, v103, v163
	v_add_f32_e32 v87, 0, v87
	v_fma_f32 v88, v89, v155, -v88
	s_waitcnt vmcnt(44)
	v_fmac_f32_e32 v112, v104, v164
	v_add_f32_e32 v87, v87, v88
	v_mul_f32_e32 v88, v92, v149
	v_add_f32_e32 v111, v111, v112
	s_waitcnt vmcnt(43)
	v_mul_f32_e32 v112, v105, v165
	v_fma_f32 v88, v91, v156, -v88
	s_waitcnt vmcnt(42)
	v_fmac_f32_e32 v112, v106, v166
	v_add_f32_e32 v87, v87, v88
	v_mul_f32_e32 v88, v94, v150
	v_add_f32_e32 v111, v111, v112
	s_waitcnt vmcnt(41) lgkmcnt(0)
	v_mul_f32_e32 v112, v107, v167
	v_fma_f32 v88, v93, v157, -v88
	s_waitcnt vmcnt(40)
	v_fmac_f32_e32 v112, v108, v168
	v_add_f32_e32 v87, v87, v88
	v_mul_f32_e32 v88, v96, v151
	v_add_f32_e32 v115, v111, v112
	ds_read_b128 v[111:114], v86 offset:528
	v_fma_f32 v88, v95, v158, -v88
	v_add_f32_e32 v87, v87, v88
	v_mul_f32_e32 v88, v98, v152
	s_waitcnt vmcnt(39)
	v_mul_f32_e32 v116, v109, v169
	v_fma_f32 v88, v97, v159, -v88
	s_waitcnt vmcnt(38)
	v_fmac_f32_e32 v116, v110, v170
	v_add_f32_e32 v87, v87, v88
	v_mul_f32_e32 v88, v100, v153
	v_add_f32_e32 v119, v115, v116
	ds_read_b128 v[115:118], v86 offset:544
	v_fma_f32 v88, v99, v160, -v88
	s_waitcnt vmcnt(35) lgkmcnt(1)
	v_mul_f32_e32 v120, v111, v173
	v_add_f32_e32 v87, v87, v88
	v_mul_f32_e32 v88, v102, v161
	s_waitcnt vmcnt(34)
	v_fmac_f32_e32 v120, v112, v174
	v_fma_f32 v88, v101, v162, -v88
	v_add_f32_e32 v119, v119, v120
	s_waitcnt vmcnt(32)
	v_mul_f32_e32 v120, v113, v176
	v_add_f32_e32 v87, v87, v88
	v_mul_f32_e32 v88, v104, v163
	v_fmac_f32_e32 v120, v114, v175
	v_fma_f32 v88, v103, v164, -v88
	v_add_f32_e32 v119, v119, v120
	s_waitcnt vmcnt(30) lgkmcnt(0)
	v_mul_f32_e32 v120, v115, v178
	v_add_f32_e32 v87, v87, v88
	v_mul_f32_e32 v88, v106, v165
	v_fmac_f32_e32 v120, v116, v177
	v_fma_f32 v88, v105, v166, -v88
	v_add_f32_e32 v123, v119, v120
	ds_read_b128 v[119:122], v86 offset:560
	v_add_f32_e32 v87, v87, v88
	v_mul_f32_e32 v88, v108, v167
	v_fma_f32 v88, v107, v168, -v88
	s_waitcnt vmcnt(29)
	v_mul_f32_e32 v124, v117, v179
	v_add_f32_e32 v87, v87, v88
	v_mul_f32_e32 v88, v110, v169
	s_waitcnt vmcnt(28)
	v_fmac_f32_e32 v124, v118, v180
	v_fma_f32 v88, v109, v170, -v88
	v_add_f32_e32 v127, v123, v124
	ds_read_b128 v[123:126], v86 offset:576
	v_add_f32_e32 v87, v87, v88
	v_mul_f32_e32 v88, v112, v173
	s_waitcnt vmcnt(26) lgkmcnt(1)
	v_mul_f32_e32 v128, v119, v182
	v_fma_f32 v88, v111, v174, -v88
	v_fmac_f32_e32 v128, v120, v181
	v_add_f32_e32 v87, v87, v88
	v_mul_f32_e32 v88, v114, v176
	v_add_f32_e32 v127, v127, v128
	s_waitcnt vmcnt(24)
	v_mul_f32_e32 v128, v121, v184
	v_fma_f32 v88, v113, v175, -v88
	v_fmac_f32_e32 v128, v122, v183
	v_add_f32_e32 v87, v87, v88
	v_mul_f32_e32 v88, v116, v178
	v_add_f32_e32 v127, v127, v128
	s_waitcnt vmcnt(22) lgkmcnt(0)
	v_mul_f32_e32 v128, v123, v186
	v_fma_f32 v88, v115, v177, -v88
	v_fmac_f32_e32 v128, v124, v185
	v_add_f32_e32 v87, v87, v88
	v_mul_f32_e32 v88, v118, v179
	v_add_f32_e32 v131, v127, v128
	ds_read_b128 v[127:130], v86 offset:592
	v_fma_f32 v88, v117, v180, -v88
	v_add_f32_e32 v87, v87, v88
	v_mul_f32_e32 v88, v120, v182
	s_waitcnt vmcnt(20)
	v_mul_f32_e32 v132, v125, v188
	v_fma_f32 v88, v119, v181, -v88
	v_fmac_f32_e32 v132, v126, v187
	v_add_f32_e32 v87, v87, v88
	v_mul_f32_e32 v88, v122, v184
	v_add_f32_e32 v135, v131, v132
	ds_read_b128 v[131:134], v86 offset:608
	v_fma_f32 v88, v121, v183, -v88
	s_waitcnt vmcnt(18) lgkmcnt(1)
	v_mul_f32_e32 v136, v127, v190
	v_add_f32_e32 v87, v87, v88
	v_mul_f32_e32 v88, v124, v186
	v_fmac_f32_e32 v136, v128, v189
	v_fma_f32 v88, v123, v185, -v88
	v_add_f32_e32 v135, v135, v136
	s_waitcnt vmcnt(16)
	v_mul_f32_e32 v136, v129, v192
	v_add_f32_e32 v87, v87, v88
	v_mul_f32_e32 v88, v126, v188
	v_fmac_f32_e32 v136, v130, v191
	v_fma_f32 v88, v125, v187, -v88
	v_add_f32_e32 v135, v135, v136
	s_waitcnt vmcnt(14) lgkmcnt(0)
	v_mul_f32_e32 v136, v131, v194
	v_add_f32_e32 v87, v87, v88
	v_mul_f32_e32 v88, v128, v190
	v_fmac_f32_e32 v136, v132, v193
	v_fma_f32 v88, v127, v189, -v88
	v_add_f32_e32 v139, v135, v136
	ds_read_b128 v[135:138], v86 offset:624
	v_add_f32_e32 v87, v87, v88
	v_mul_f32_e32 v88, v130, v192
	v_fma_f32 v88, v129, v191, -v88
	v_add_f32_e32 v87, v87, v88
	v_mul_f32_e32 v88, v132, v194
	s_waitcnt vmcnt(12)
	v_mul_f32_e32 v140, v133, v196
	v_fma_f32 v88, v131, v193, -v88
	v_fmac_f32_e32 v140, v134, v195
	v_add_f32_e32 v87, v87, v88
	v_mul_f32_e32 v88, v134, v196
	v_add_f32_e32 v143, v139, v140
	ds_read_b128 v[139:142], v86 offset:640
	s_waitcnt vmcnt(10) lgkmcnt(1)
	v_mul_f32_e32 v144, v135, v198
	v_fma_f32 v88, v133, v195, -v88
	v_fmac_f32_e32 v144, v136, v197
	v_add_f32_e32 v87, v87, v88
	v_mul_f32_e32 v88, v136, v198
	v_add_f32_e32 v143, v143, v144
	s_waitcnt vmcnt(8)
	v_mul_f32_e32 v144, v137, v200
	v_fma_f32 v88, v135, v197, -v88
	v_fmac_f32_e32 v144, v138, v199
	v_add_f32_e32 v87, v87, v88
	v_mul_f32_e32 v88, v138, v200
	v_add_f32_e32 v209, v143, v144
	ds_read_b128 v[143:146], v86 offset:656
	v_fma_f32 v88, v137, v199, -v88
	v_add_f32_e32 v87, v87, v88
	s_waitcnt vmcnt(6) lgkmcnt(1)
	v_mul_f32_e32 v88, v140, v202
	v_mul_f32_e32 v210, v139, v202
	v_fma_f32 v88, v139, v201, -v88
	v_fmac_f32_e32 v210, v140, v201
	v_add_f32_e32 v87, v87, v88
	s_waitcnt vmcnt(4)
	v_mul_f32_e32 v88, v142, v204
	v_add_f32_e32 v86, v209, v210
	v_mul_f32_e32 v209, v141, v204
	v_fma_f32 v88, v141, v203, -v88
	v_fmac_f32_e32 v209, v142, v203
	v_add_f32_e32 v87, v87, v88
	s_waitcnt vmcnt(2) lgkmcnt(0)
	v_mul_f32_e32 v88, v144, v206
	v_add_f32_e32 v86, v86, v209
	v_mul_f32_e32 v209, v143, v206
	v_fma_f32 v88, v143, v205, -v88
	v_fmac_f32_e32 v209, v144, v205
	v_add_f32_e32 v87, v87, v88
	s_waitcnt vmcnt(0)
	v_mul_f32_e32 v88, v146, v208
	v_add_f32_e32 v86, v86, v209
	v_mul_f32_e32 v209, v145, v208
	v_fma_f32 v88, v145, v207, -v88
	v_fmac_f32_e32 v209, v146, v207
	v_add_f32_e32 v87, v87, v88
	v_add_f32_e32 v86, v86, v209
	v_sub_f32_e32 v87, v171, v87
	v_sub_f32_e32 v86, v172, v86
	buffer_store_dword v87, off, s[0:3], 0 offset:88
	buffer_store_dword v86, off, s[0:3], 0 offset:92
	s_and_saveexec_b64 s[4:5], vcc
	s_cbranch_execz .LBB41_245
; %bb.244:
	buffer_load_dword v86, off, s[0:3], 0 offset:80
	buffer_load_dword v87, off, s[0:3], 0 offset:84
	v_mov_b32_e32 v88, 0
	buffer_store_dword v88, off, s[0:3], 0 offset:80
	buffer_store_dword v88, off, s[0:3], 0 offset:84
	s_waitcnt vmcnt(2)
	ds_write_b64 v85, v[86:87]
.LBB41_245:
	s_or_b64 exec, exec, s[4:5]
	s_waitcnt lgkmcnt(0)
	; wave barrier
	buffer_load_dword v149, off, s[0:3], 0 offset:92
	buffer_load_dword v150, off, s[0:3], 0 offset:100
	;; [unrolled: 1-line block ×56, first 2 shown]
	v_mov_b32_e32 v86, 0
	ds_read2_b64 v[87:90], v86 offset0:53 offset1:54
	buffer_load_dword v205, off, s[0:3], 0 offset:304
	buffer_load_dword v206, off, s[0:3], 0 offset:308
	;; [unrolled: 1-line block ×4, first 2 shown]
	ds_read2_b64 v[91:94], v86 offset0:55 offset1:56
	ds_read2_b64 v[95:98], v86 offset0:57 offset1:58
	;; [unrolled: 1-line block ×3, first 2 shown]
	v_cmp_lt_u32_e32 vcc, 9, v0
	s_waitcnt vmcnt(59) lgkmcnt(3)
	v_mul_f32_e32 v103, v87, v149
	s_waitcnt vmcnt(58)
	v_mul_f32_e32 v104, v89, v150
	s_waitcnt vmcnt(57) lgkmcnt(2)
	v_mul_f32_e32 v105, v91, v151
	s_waitcnt vmcnt(56)
	v_mul_f32_e32 v106, v93, v152
	;; [unrolled: 4-line block ×4, first 2 shown]
	s_waitcnt vmcnt(51)
	v_fmac_f32_e32 v103, v88, v157
	s_waitcnt vmcnt(50)
	v_fmac_f32_e32 v104, v90, v158
	v_add_f32_e32 v103, 0, v103
	s_waitcnt vmcnt(49)
	v_fmac_f32_e32 v105, v92, v159
	v_add_f32_e32 v103, v103, v104
	;; [unrolled: 3-line block ×6, first 2 shown]
	v_add_f32_e32 v107, v103, v109
	ds_read2_b64 v[103:106], v86 offset0:61 offset1:62
	buffer_load_dword v209, off, s[0:3], 0 offset:324
	buffer_load_dword v210, off, s[0:3], 0 offset:320
	;; [unrolled: 1-line block ×4, first 2 shown]
	s_waitcnt vmcnt(48)
	v_fmac_f32_e32 v110, v102, v164
	v_add_f32_e32 v111, v107, v110
	ds_read2_b64 v[107:110], v86 offset0:63 offset1:64
	s_waitcnt vmcnt(47) lgkmcnt(1)
	v_mul_f32_e32 v112, v103, v165
	v_mul_f32_e32 v88, v88, v149
	s_waitcnt vmcnt(46)
	v_fmac_f32_e32 v112, v104, v166
	v_fma_f32 v87, v87, v157, -v88
	v_mul_f32_e32 v88, v90, v150
	v_add_f32_e32 v111, v111, v112
	s_waitcnt vmcnt(45)
	v_mul_f32_e32 v112, v105, v167
	v_add_f32_e32 v87, 0, v87
	v_fma_f32 v88, v89, v158, -v88
	s_waitcnt vmcnt(44)
	v_fmac_f32_e32 v112, v106, v168
	v_add_f32_e32 v87, v87, v88
	v_mul_f32_e32 v88, v92, v151
	v_add_f32_e32 v111, v111, v112
	s_waitcnt vmcnt(42) lgkmcnt(0)
	v_mul_f32_e32 v112, v107, v170
	v_fma_f32 v88, v91, v159, -v88
	v_fmac_f32_e32 v112, v108, v169
	v_add_f32_e32 v87, v87, v88
	v_mul_f32_e32 v88, v94, v152
	v_add_f32_e32 v115, v111, v112
	ds_read2_b64 v[111:114], v86 offset0:65 offset1:66
	v_fma_f32 v88, v93, v160, -v88
	v_add_f32_e32 v87, v87, v88
	v_mul_f32_e32 v88, v96, v153
	s_waitcnt vmcnt(39)
	v_mul_f32_e32 v116, v109, v173
	v_fma_f32 v88, v95, v161, -v88
	s_waitcnt vmcnt(38)
	v_fmac_f32_e32 v116, v110, v174
	v_add_f32_e32 v87, v87, v88
	v_mul_f32_e32 v88, v98, v154
	v_add_f32_e32 v119, v115, v116
	ds_read2_b64 v[115:118], v86 offset0:67 offset1:68
	v_fma_f32 v88, v97, v162, -v88
	s_waitcnt vmcnt(36) lgkmcnt(1)
	v_mul_f32_e32 v120, v111, v176
	v_add_f32_e32 v87, v87, v88
	v_mul_f32_e32 v88, v100, v155
	v_fmac_f32_e32 v120, v112, v175
	v_fma_f32 v88, v99, v163, -v88
	v_add_f32_e32 v119, v119, v120
	s_waitcnt vmcnt(34)
	v_mul_f32_e32 v120, v113, v178
	v_add_f32_e32 v87, v87, v88
	v_mul_f32_e32 v88, v102, v156
	v_fmac_f32_e32 v120, v114, v177
	v_fma_f32 v88, v101, v164, -v88
	v_add_f32_e32 v119, v119, v120
	s_waitcnt vmcnt(32) lgkmcnt(0)
	v_mul_f32_e32 v120, v115, v180
	v_add_f32_e32 v87, v87, v88
	v_mul_f32_e32 v88, v104, v165
	v_fmac_f32_e32 v120, v116, v179
	v_fma_f32 v88, v103, v166, -v88
	v_add_f32_e32 v123, v119, v120
	ds_read2_b64 v[119:122], v86 offset0:69 offset1:70
	v_add_f32_e32 v87, v87, v88
	v_mul_f32_e32 v88, v106, v167
	v_fma_f32 v88, v105, v168, -v88
	s_waitcnt vmcnt(30)
	v_mul_f32_e32 v124, v117, v182
	v_add_f32_e32 v87, v87, v88
	v_mul_f32_e32 v88, v108, v170
	v_fmac_f32_e32 v124, v118, v181
	v_fma_f32 v88, v107, v169, -v88
	v_add_f32_e32 v127, v123, v124
	ds_read2_b64 v[123:126], v86 offset0:71 offset1:72
	v_add_f32_e32 v87, v87, v88
	v_mul_f32_e32 v88, v110, v173
	s_waitcnt vmcnt(28) lgkmcnt(1)
	v_mul_f32_e32 v128, v119, v184
	v_fma_f32 v88, v109, v174, -v88
	v_fmac_f32_e32 v128, v120, v183
	v_add_f32_e32 v87, v87, v88
	v_mul_f32_e32 v88, v112, v176
	v_add_f32_e32 v127, v127, v128
	s_waitcnt vmcnt(26)
	v_mul_f32_e32 v128, v121, v186
	v_fma_f32 v88, v111, v175, -v88
	v_fmac_f32_e32 v128, v122, v185
	v_add_f32_e32 v87, v87, v88
	v_mul_f32_e32 v88, v114, v178
	v_add_f32_e32 v127, v127, v128
	s_waitcnt vmcnt(24) lgkmcnt(0)
	v_mul_f32_e32 v128, v123, v188
	v_fma_f32 v88, v113, v177, -v88
	v_fmac_f32_e32 v128, v124, v187
	v_add_f32_e32 v87, v87, v88
	v_mul_f32_e32 v88, v116, v180
	v_add_f32_e32 v131, v127, v128
	ds_read2_b64 v[127:130], v86 offset0:73 offset1:74
	v_fma_f32 v88, v115, v179, -v88
	v_add_f32_e32 v87, v87, v88
	v_mul_f32_e32 v88, v118, v182
	s_waitcnt vmcnt(22)
	v_mul_f32_e32 v132, v125, v190
	v_fma_f32 v88, v117, v181, -v88
	v_fmac_f32_e32 v132, v126, v189
	v_add_f32_e32 v87, v87, v88
	v_mul_f32_e32 v88, v120, v184
	v_add_f32_e32 v135, v131, v132
	ds_read2_b64 v[131:134], v86 offset0:75 offset1:76
	v_fma_f32 v88, v119, v183, -v88
	s_waitcnt vmcnt(20) lgkmcnt(1)
	v_mul_f32_e32 v136, v127, v192
	v_add_f32_e32 v87, v87, v88
	v_mul_f32_e32 v88, v122, v186
	v_fmac_f32_e32 v136, v128, v191
	v_fma_f32 v88, v121, v185, -v88
	v_add_f32_e32 v135, v135, v136
	s_waitcnt vmcnt(18)
	v_mul_f32_e32 v136, v129, v194
	v_add_f32_e32 v87, v87, v88
	v_mul_f32_e32 v88, v124, v188
	v_fmac_f32_e32 v136, v130, v193
	v_fma_f32 v88, v123, v187, -v88
	v_add_f32_e32 v135, v135, v136
	s_waitcnt vmcnt(16) lgkmcnt(0)
	v_mul_f32_e32 v136, v131, v196
	v_add_f32_e32 v87, v87, v88
	v_mul_f32_e32 v88, v126, v190
	v_fmac_f32_e32 v136, v132, v195
	v_fma_f32 v88, v125, v189, -v88
	v_add_f32_e32 v139, v135, v136
	ds_read2_b64 v[135:138], v86 offset0:77 offset1:78
	v_add_f32_e32 v87, v87, v88
	v_mul_f32_e32 v88, v128, v192
	v_fma_f32 v88, v127, v191, -v88
	s_waitcnt vmcnt(14)
	v_mul_f32_e32 v140, v133, v198
	v_add_f32_e32 v87, v87, v88
	v_mul_f32_e32 v88, v130, v194
	v_fmac_f32_e32 v140, v134, v197
	v_fma_f32 v88, v129, v193, -v88
	v_add_f32_e32 v143, v139, v140
	ds_read2_b64 v[139:142], v86 offset0:79 offset1:80
	v_add_f32_e32 v87, v87, v88
	v_mul_f32_e32 v88, v132, v196
	s_waitcnt vmcnt(12) lgkmcnt(1)
	v_mul_f32_e32 v144, v135, v200
	v_fma_f32 v88, v131, v195, -v88
	v_fmac_f32_e32 v144, v136, v199
	v_add_f32_e32 v87, v87, v88
	v_mul_f32_e32 v88, v134, v198
	v_add_f32_e32 v143, v143, v144
	s_waitcnt vmcnt(10)
	v_mul_f32_e32 v144, v137, v202
	v_fma_f32 v88, v133, v197, -v88
	v_fmac_f32_e32 v144, v138, v201
	v_add_f32_e32 v87, v87, v88
	v_mul_f32_e32 v88, v136, v200
	v_add_f32_e32 v143, v143, v144
	s_waitcnt vmcnt(8) lgkmcnt(0)
	v_mul_f32_e32 v144, v139, v204
	v_fma_f32 v88, v135, v199, -v88
	v_fmac_f32_e32 v144, v140, v203
	v_add_f32_e32 v87, v87, v88
	v_mul_f32_e32 v88, v138, v202
	v_add_f32_e32 v147, v143, v144
	ds_read2_b64 v[143:146], v86 offset0:81 offset1:82
	v_fma_f32 v88, v137, v201, -v88
	v_add_f32_e32 v87, v87, v88
	v_mul_f32_e32 v88, v140, v204
	s_waitcnt vmcnt(6)
	v_mul_f32_e32 v148, v141, v206
	v_fma_f32 v88, v139, v203, -v88
	v_fmac_f32_e32 v148, v142, v205
	v_add_f32_e32 v87, v87, v88
	v_mul_f32_e32 v88, v142, v206
	v_add_f32_e32 v213, v147, v148
	ds_read_b64 v[147:148], v86 offset:664
	v_fma_f32 v88, v141, v205, -v88
	v_add_f32_e32 v87, v87, v88
	s_waitcnt vmcnt(4) lgkmcnt(1)
	v_mul_f32_e32 v88, v144, v208
	v_mul_f32_e32 v214, v143, v208
	v_fma_f32 v88, v143, v207, -v88
	v_fmac_f32_e32 v214, v144, v207
	v_add_f32_e32 v87, v87, v88
	s_waitcnt vmcnt(3)
	v_mul_f32_e32 v88, v146, v209
	v_add_f32_e32 v213, v213, v214
	v_mul_f32_e32 v214, v145, v209
	s_waitcnt vmcnt(2)
	v_fma_f32 v88, v145, v210, -v88
	v_fmac_f32_e32 v214, v146, v210
	v_add_f32_e32 v87, v87, v88
	s_waitcnt vmcnt(0) lgkmcnt(0)
	v_mul_f32_e32 v88, v148, v212
	v_add_f32_e32 v213, v213, v214
	v_mul_f32_e32 v214, v147, v212
	v_fma_f32 v88, v147, v211, -v88
	v_fmac_f32_e32 v214, v148, v211
	v_add_f32_e32 v87, v87, v88
	v_add_f32_e32 v213, v213, v214
	v_sub_f32_e32 v87, v171, v87
	v_sub_f32_e32 v88, v172, v213
	buffer_store_dword v87, off, s[0:3], 0 offset:80
	buffer_store_dword v88, off, s[0:3], 0 offset:84
	s_and_saveexec_b64 s[4:5], vcc
	s_cbranch_execz .LBB41_247
; %bb.246:
	buffer_load_dword v87, off, s[0:3], 0 offset:72
	buffer_load_dword v88, off, s[0:3], 0 offset:76
	s_waitcnt vmcnt(0)
	ds_write_b64 v85, v[87:88]
	buffer_store_dword v86, off, s[0:3], 0 offset:72
	buffer_store_dword v86, off, s[0:3], 0 offset:76
.LBB41_247:
	s_or_b64 exec, exec, s[4:5]
	s_waitcnt lgkmcnt(0)
	; wave barrier
	buffer_load_dword v151, off, s[0:3], 0 offset:84
	buffer_load_dword v152, off, s[0:3], 0 offset:92
	;; [unrolled: 1-line block ×26, first 2 shown]
	ds_read_b128 v[87:90], v86 offset:416
	ds_read_b128 v[91:94], v86 offset:432
	;; [unrolled: 1-line block ×4, first 2 shown]
	buffer_load_dword v177, off, s[0:3], 0 offset:180
	buffer_load_dword v178, off, s[0:3], 0 offset:176
	;; [unrolled: 1-line block ×34, first 2 shown]
	v_cmp_lt_u32_e32 vcc, 8, v0
	s_waitcnt vmcnt(59) lgkmcnt(3)
	v_mul_f32_e32 v103, v87, v151
	s_waitcnt vmcnt(58)
	v_mul_f32_e32 v104, v89, v152
	s_waitcnt vmcnt(57) lgkmcnt(2)
	v_mul_f32_e32 v105, v91, v153
	s_waitcnt vmcnt(56)
	v_mul_f32_e32 v106, v93, v154
	;; [unrolled: 4-line block ×4, first 2 shown]
	s_waitcnt vmcnt(51)
	v_fmac_f32_e32 v103, v88, v159
	s_waitcnt vmcnt(50)
	v_fmac_f32_e32 v104, v90, v160
	v_add_f32_e32 v103, 0, v103
	s_waitcnt vmcnt(49)
	v_fmac_f32_e32 v105, v92, v161
	v_add_f32_e32 v103, v103, v104
	;; [unrolled: 3-line block ×7, first 2 shown]
	v_add_f32_e32 v111, v103, v110
	ds_read_b128 v[103:106], v86 offset:480
	buffer_load_dword v211, off, s[0:3], 0 offset:316
	buffer_load_dword v212, off, s[0:3], 0 offset:312
	;; [unrolled: 1-line block ×4, first 2 shown]
	ds_read_b128 v[107:110], v86 offset:496
	buffer_load_dword v215, off, s[0:3], 0 offset:328
	buffer_load_dword v216, off, s[0:3], 0 offset:332
	v_mul_f32_e32 v88, v88, v151
	s_waitcnt vmcnt(49) lgkmcnt(1)
	v_mul_f32_e32 v112, v103, v167
	s_waitcnt vmcnt(48)
	v_fmac_f32_e32 v112, v104, v168
	v_fma_f32 v87, v87, v159, -v88
	v_mul_f32_e32 v88, v90, v152
	v_add_f32_e32 v111, v111, v112
	s_waitcnt vmcnt(46)
	v_mul_f32_e32 v112, v105, v170
	v_add_f32_e32 v87, 0, v87
	v_fma_f32 v88, v89, v160, -v88
	v_fmac_f32_e32 v112, v106, v169
	v_add_f32_e32 v87, v87, v88
	v_mul_f32_e32 v88, v92, v153
	v_add_f32_e32 v111, v111, v112
	s_waitcnt vmcnt(43) lgkmcnt(0)
	v_mul_f32_e32 v112, v107, v173
	v_fma_f32 v88, v91, v161, -v88
	s_waitcnt vmcnt(42)
	v_fmac_f32_e32 v112, v108, v174
	v_add_f32_e32 v87, v87, v88
	v_mul_f32_e32 v88, v94, v154
	v_add_f32_e32 v115, v111, v112
	ds_read_b128 v[111:114], v86 offset:512
	v_fma_f32 v88, v93, v162, -v88
	v_add_f32_e32 v87, v87, v88
	v_mul_f32_e32 v88, v96, v155
	s_waitcnt vmcnt(40)
	v_mul_f32_e32 v116, v109, v176
	v_fma_f32 v88, v95, v163, -v88
	v_fmac_f32_e32 v116, v110, v175
	v_add_f32_e32 v87, v87, v88
	v_mul_f32_e32 v88, v98, v156
	v_add_f32_e32 v119, v115, v116
	ds_read_b128 v[115:118], v86 offset:528
	v_fma_f32 v88, v97, v164, -v88
	s_waitcnt vmcnt(39) lgkmcnt(1)
	v_mul_f32_e32 v120, v111, v177
	v_add_f32_e32 v87, v87, v88
	v_mul_f32_e32 v88, v100, v157
	s_waitcnt vmcnt(38)
	v_fmac_f32_e32 v120, v112, v178
	v_fma_f32 v88, v99, v165, -v88
	v_add_f32_e32 v119, v119, v120
	s_waitcnt vmcnt(36)
	v_mul_f32_e32 v120, v113, v180
	v_add_f32_e32 v87, v87, v88
	v_mul_f32_e32 v88, v102, v158
	v_fmac_f32_e32 v120, v114, v179
	v_fma_f32 v88, v101, v166, -v88
	v_add_f32_e32 v119, v119, v120
	s_waitcnt vmcnt(34) lgkmcnt(0)
	v_mul_f32_e32 v120, v115, v182
	v_add_f32_e32 v87, v87, v88
	v_mul_f32_e32 v88, v104, v167
	v_fmac_f32_e32 v120, v116, v181
	v_fma_f32 v88, v103, v168, -v88
	v_add_f32_e32 v123, v119, v120
	ds_read_b128 v[119:122], v86 offset:544
	v_add_f32_e32 v87, v87, v88
	v_mul_f32_e32 v88, v106, v170
	v_fma_f32 v88, v105, v169, -v88
	s_waitcnt vmcnt(32)
	v_mul_f32_e32 v124, v117, v184
	v_add_f32_e32 v87, v87, v88
	v_mul_f32_e32 v88, v108, v173
	v_fmac_f32_e32 v124, v118, v183
	v_fma_f32 v88, v107, v174, -v88
	v_add_f32_e32 v127, v123, v124
	ds_read_b128 v[123:126], v86 offset:560
	v_add_f32_e32 v87, v87, v88
	v_mul_f32_e32 v88, v110, v176
	s_waitcnt vmcnt(30) lgkmcnt(1)
	v_mul_f32_e32 v128, v119, v186
	v_fma_f32 v88, v109, v175, -v88
	v_fmac_f32_e32 v128, v120, v185
	v_add_f32_e32 v87, v87, v88
	v_mul_f32_e32 v88, v112, v177
	v_add_f32_e32 v127, v127, v128
	s_waitcnt vmcnt(28)
	v_mul_f32_e32 v128, v121, v188
	v_fma_f32 v88, v111, v178, -v88
	v_fmac_f32_e32 v128, v122, v187
	v_add_f32_e32 v87, v87, v88
	v_mul_f32_e32 v88, v114, v180
	v_add_f32_e32 v127, v127, v128
	s_waitcnt vmcnt(26) lgkmcnt(0)
	v_mul_f32_e32 v128, v123, v190
	v_fma_f32 v88, v113, v179, -v88
	v_fmac_f32_e32 v128, v124, v189
	v_add_f32_e32 v87, v87, v88
	v_mul_f32_e32 v88, v116, v182
	v_add_f32_e32 v131, v127, v128
	ds_read_b128 v[127:130], v86 offset:576
	v_fma_f32 v88, v115, v181, -v88
	v_add_f32_e32 v87, v87, v88
	v_mul_f32_e32 v88, v118, v184
	s_waitcnt vmcnt(24)
	v_mul_f32_e32 v132, v125, v192
	v_fma_f32 v88, v117, v183, -v88
	v_fmac_f32_e32 v132, v126, v191
	v_add_f32_e32 v87, v87, v88
	v_mul_f32_e32 v88, v120, v186
	v_add_f32_e32 v135, v131, v132
	ds_read_b128 v[131:134], v86 offset:592
	v_fma_f32 v88, v119, v185, -v88
	s_waitcnt vmcnt(22) lgkmcnt(1)
	v_mul_f32_e32 v136, v127, v194
	v_add_f32_e32 v87, v87, v88
	v_mul_f32_e32 v88, v122, v188
	v_fmac_f32_e32 v136, v128, v193
	v_fma_f32 v88, v121, v187, -v88
	v_add_f32_e32 v135, v135, v136
	s_waitcnt vmcnt(20)
	v_mul_f32_e32 v136, v129, v196
	v_add_f32_e32 v87, v87, v88
	v_mul_f32_e32 v88, v124, v190
	v_fmac_f32_e32 v136, v130, v195
	v_fma_f32 v88, v123, v189, -v88
	v_add_f32_e32 v135, v135, v136
	s_waitcnt vmcnt(18) lgkmcnt(0)
	v_mul_f32_e32 v136, v131, v198
	v_add_f32_e32 v87, v87, v88
	v_mul_f32_e32 v88, v126, v192
	v_fmac_f32_e32 v136, v132, v197
	v_fma_f32 v88, v125, v191, -v88
	v_add_f32_e32 v139, v135, v136
	ds_read_b128 v[135:138], v86 offset:608
	v_add_f32_e32 v87, v87, v88
	v_mul_f32_e32 v88, v128, v194
	v_fma_f32 v88, v127, v193, -v88
	s_waitcnt vmcnt(16)
	v_mul_f32_e32 v140, v133, v200
	v_add_f32_e32 v87, v87, v88
	v_mul_f32_e32 v88, v130, v196
	v_fmac_f32_e32 v140, v134, v199
	v_fma_f32 v88, v129, v195, -v88
	v_add_f32_e32 v143, v139, v140
	ds_read_b128 v[139:142], v86 offset:624
	v_add_f32_e32 v87, v87, v88
	v_mul_f32_e32 v88, v132, v198
	s_waitcnt vmcnt(14) lgkmcnt(1)
	v_mul_f32_e32 v144, v135, v202
	v_fma_f32 v88, v131, v197, -v88
	v_fmac_f32_e32 v144, v136, v201
	v_add_f32_e32 v87, v87, v88
	v_mul_f32_e32 v88, v134, v200
	v_add_f32_e32 v143, v143, v144
	s_waitcnt vmcnt(12)
	v_mul_f32_e32 v144, v137, v204
	v_fma_f32 v88, v133, v199, -v88
	v_fmac_f32_e32 v144, v138, v203
	v_add_f32_e32 v87, v87, v88
	v_mul_f32_e32 v88, v136, v202
	v_add_f32_e32 v143, v143, v144
	s_waitcnt vmcnt(10) lgkmcnt(0)
	v_mul_f32_e32 v144, v139, v206
	v_fma_f32 v88, v135, v201, -v88
	v_fmac_f32_e32 v144, v140, v205
	v_add_f32_e32 v87, v87, v88
	v_mul_f32_e32 v88, v138, v204
	v_add_f32_e32 v147, v143, v144
	ds_read_b128 v[143:146], v86 offset:640
	v_fma_f32 v88, v137, v203, -v88
	v_add_f32_e32 v87, v87, v88
	v_mul_f32_e32 v88, v140, v206
	s_waitcnt vmcnt(8)
	v_mul_f32_e32 v148, v141, v208
	v_fma_f32 v88, v139, v205, -v88
	v_fmac_f32_e32 v148, v142, v207
	v_add_f32_e32 v87, v87, v88
	v_mul_f32_e32 v88, v142, v208
	v_add_f32_e32 v217, v147, v148
	ds_read_b128 v[147:150], v86 offset:656
	v_fma_f32 v88, v141, v207, -v88
	v_add_f32_e32 v87, v87, v88
	s_waitcnt vmcnt(6) lgkmcnt(1)
	v_mul_f32_e32 v88, v144, v210
	v_mul_f32_e32 v86, v143, v210
	v_fma_f32 v88, v143, v209, -v88
	v_fmac_f32_e32 v86, v144, v209
	v_add_f32_e32 v87, v87, v88
	s_waitcnt vmcnt(5)
	v_mul_f32_e32 v88, v146, v211
	v_add_f32_e32 v86, v217, v86
	v_mul_f32_e32 v217, v145, v211
	s_waitcnt vmcnt(4)
	v_fma_f32 v88, v145, v212, -v88
	v_fmac_f32_e32 v217, v146, v212
	v_add_f32_e32 v87, v87, v88
	s_waitcnt vmcnt(2) lgkmcnt(0)
	v_mul_f32_e32 v88, v148, v214
	v_add_f32_e32 v86, v86, v217
	v_mul_f32_e32 v217, v147, v214
	v_fma_f32 v88, v147, v213, -v88
	v_fmac_f32_e32 v217, v148, v213
	v_add_f32_e32 v87, v87, v88
	s_waitcnt vmcnt(0)
	v_mul_f32_e32 v88, v150, v216
	v_add_f32_e32 v86, v86, v217
	v_mul_f32_e32 v217, v149, v216
	v_fma_f32 v88, v149, v215, -v88
	v_fmac_f32_e32 v217, v150, v215
	v_add_f32_e32 v87, v87, v88
	v_add_f32_e32 v86, v86, v217
	v_sub_f32_e32 v87, v171, v87
	v_sub_f32_e32 v86, v172, v86
	buffer_store_dword v87, off, s[0:3], 0 offset:72
	buffer_store_dword v86, off, s[0:3], 0 offset:76
	s_and_saveexec_b64 s[4:5], vcc
	s_cbranch_execz .LBB41_249
; %bb.248:
	buffer_load_dword v86, off, s[0:3], 0 offset:64
	buffer_load_dword v87, off, s[0:3], 0 offset:68
	v_mov_b32_e32 v88, 0
	buffer_store_dword v88, off, s[0:3], 0 offset:64
	buffer_store_dword v88, off, s[0:3], 0 offset:68
	s_waitcnt vmcnt(2)
	ds_write_b64 v85, v[86:87]
.LBB41_249:
	s_or_b64 exec, exec, s[4:5]
	s_waitcnt lgkmcnt(0)
	; wave barrier
	buffer_load_dword v153, off, s[0:3], 0 offset:76
	buffer_load_dword v154, off, s[0:3], 0 offset:84
	;; [unrolled: 1-line block ×58, first 2 shown]
	v_mov_b32_e32 v86, 0
	ds_read2_b64 v[87:90], v86 offset0:51 offset1:52
	ds_read2_b64 v[91:94], v86 offset0:53 offset1:54
	;; [unrolled: 1-line block ×5, first 2 shown]
	buffer_load_dword v211, off, s[0:3], 0 offset:296
	buffer_load_dword v212, off, s[0:3], 0 offset:300
	v_cmp_lt_u32_e32 vcc, 7, v0
	s_waitcnt vmcnt(59) lgkmcnt(4)
	v_mul_f32_e32 v107, v87, v153
	s_waitcnt vmcnt(58)
	v_mul_f32_e32 v108, v89, v154
	s_waitcnt vmcnt(57) lgkmcnt(3)
	v_mul_f32_e32 v109, v91, v155
	s_waitcnt vmcnt(56)
	v_mul_f32_e32 v110, v93, v156
	;; [unrolled: 4-line block ×4, first 2 shown]
	s_waitcnt vmcnt(51)
	v_fmac_f32_e32 v107, v88, v161
	s_waitcnt vmcnt(50)
	v_fmac_f32_e32 v108, v90, v162
	v_add_f32_e32 v107, 0, v107
	s_waitcnt vmcnt(49)
	v_fmac_f32_e32 v109, v92, v163
	v_add_f32_e32 v107, v107, v108
	s_waitcnt vmcnt(48)
	v_fmac_f32_e32 v110, v94, v164
	v_add_f32_e32 v107, v107, v109
	s_waitcnt vmcnt(47)
	v_fmac_f32_e32 v111, v96, v165
	v_add_f32_e32 v107, v107, v110
	s_waitcnt vmcnt(46)
	v_fmac_f32_e32 v112, v98, v166
	v_add_f32_e32 v107, v107, v111
	s_waitcnt vmcnt(45)
	v_fmac_f32_e32 v113, v100, v167
	v_add_f32_e32 v107, v107, v112
	s_waitcnt vmcnt(44)
	v_fmac_f32_e32 v114, v102, v168
	v_add_f32_e32 v107, v107, v113
	v_add_f32_e32 v111, v107, v114
	ds_read2_b64 v[107:110], v86 offset0:61 offset1:62
	buffer_load_dword v213, off, s[0:3], 0 offset:308
	buffer_load_dword v214, off, s[0:3], 0 offset:304
	;; [unrolled: 1-line block ×8, first 2 shown]
	s_waitcnt vmcnt(51) lgkmcnt(1)
	v_mul_f32_e32 v112, v103, v169
	s_waitcnt vmcnt(50)
	v_fmac_f32_e32 v112, v104, v170
	v_mul_f32_e32 v88, v88, v153
	v_add_f32_e32 v111, v111, v112
	s_waitcnt vmcnt(49)
	v_mul_f32_e32 v112, v105, v171
	v_fma_f32 v87, v87, v161, -v88
	v_mul_f32_e32 v88, v90, v154
	s_waitcnt vmcnt(46)
	v_fmac_f32_e32 v112, v106, v174
	v_add_f32_e32 v87, 0, v87
	v_fma_f32 v88, v89, v162, -v88
	v_add_f32_e32 v111, v111, v112
	s_waitcnt vmcnt(44) lgkmcnt(0)
	v_mul_f32_e32 v112, v107, v176
	v_add_f32_e32 v87, v87, v88
	v_mul_f32_e32 v88, v92, v155
	v_fmac_f32_e32 v112, v108, v175
	v_fma_f32 v88, v91, v163, -v88
	v_add_f32_e32 v115, v111, v112
	ds_read2_b64 v[111:114], v86 offset0:63 offset1:64
	v_add_f32_e32 v87, v87, v88
	v_mul_f32_e32 v88, v94, v156
	v_fma_f32 v88, v93, v164, -v88
	s_waitcnt vmcnt(42)
	v_mul_f32_e32 v116, v109, v178
	v_add_f32_e32 v87, v87, v88
	v_mul_f32_e32 v88, v96, v157
	v_fmac_f32_e32 v116, v110, v177
	v_fma_f32 v88, v95, v165, -v88
	v_add_f32_e32 v119, v115, v116
	ds_read2_b64 v[115:118], v86 offset0:65 offset1:66
	v_add_f32_e32 v87, v87, v88
	v_mul_f32_e32 v88, v98, v158
	s_waitcnt vmcnt(40) lgkmcnt(1)
	v_mul_f32_e32 v120, v111, v180
	v_fma_f32 v88, v97, v166, -v88
	v_fmac_f32_e32 v120, v112, v179
	v_add_f32_e32 v87, v87, v88
	v_mul_f32_e32 v88, v100, v159
	v_add_f32_e32 v119, v119, v120
	s_waitcnt vmcnt(38)
	v_mul_f32_e32 v120, v113, v182
	v_fma_f32 v88, v99, v167, -v88
	v_fmac_f32_e32 v120, v114, v181
	v_add_f32_e32 v87, v87, v88
	v_mul_f32_e32 v88, v102, v160
	v_add_f32_e32 v119, v119, v120
	s_waitcnt vmcnt(36) lgkmcnt(0)
	v_mul_f32_e32 v120, v115, v184
	v_fma_f32 v88, v101, v168, -v88
	v_fmac_f32_e32 v120, v116, v183
	v_add_f32_e32 v87, v87, v88
	v_mul_f32_e32 v88, v104, v169
	v_add_f32_e32 v123, v119, v120
	ds_read2_b64 v[119:122], v86 offset0:67 offset1:68
	v_fma_f32 v88, v103, v170, -v88
	v_add_f32_e32 v87, v87, v88
	v_mul_f32_e32 v88, v106, v171
	s_waitcnt vmcnt(34)
	v_mul_f32_e32 v124, v117, v186
	v_fma_f32 v88, v105, v174, -v88
	v_fmac_f32_e32 v124, v118, v185
	v_add_f32_e32 v87, v87, v88
	v_mul_f32_e32 v88, v108, v176
	v_add_f32_e32 v127, v123, v124
	ds_read2_b64 v[123:126], v86 offset0:69 offset1:70
	v_fma_f32 v88, v107, v175, -v88
	s_waitcnt vmcnt(32) lgkmcnt(1)
	v_mul_f32_e32 v128, v119, v188
	v_add_f32_e32 v87, v87, v88
	v_mul_f32_e32 v88, v110, v178
	v_fmac_f32_e32 v128, v120, v187
	v_fma_f32 v88, v109, v177, -v88
	v_add_f32_e32 v127, v127, v128
	s_waitcnt vmcnt(30)
	v_mul_f32_e32 v128, v121, v190
	v_add_f32_e32 v87, v87, v88
	v_mul_f32_e32 v88, v112, v180
	v_fmac_f32_e32 v128, v122, v189
	v_fma_f32 v88, v111, v179, -v88
	v_add_f32_e32 v127, v127, v128
	s_waitcnt vmcnt(28) lgkmcnt(0)
	v_mul_f32_e32 v128, v123, v192
	v_add_f32_e32 v87, v87, v88
	v_mul_f32_e32 v88, v114, v182
	v_fmac_f32_e32 v128, v124, v191
	v_fma_f32 v88, v113, v181, -v88
	v_add_f32_e32 v131, v127, v128
	ds_read2_b64 v[127:130], v86 offset0:71 offset1:72
	v_add_f32_e32 v87, v87, v88
	v_mul_f32_e32 v88, v116, v184
	v_fma_f32 v88, v115, v183, -v88
	s_waitcnt vmcnt(26)
	v_mul_f32_e32 v132, v125, v194
	v_add_f32_e32 v87, v87, v88
	v_mul_f32_e32 v88, v118, v186
	v_fmac_f32_e32 v132, v126, v193
	v_fma_f32 v88, v117, v185, -v88
	v_add_f32_e32 v135, v131, v132
	ds_read2_b64 v[131:134], v86 offset0:73 offset1:74
	v_add_f32_e32 v87, v87, v88
	v_mul_f32_e32 v88, v120, v188
	s_waitcnt vmcnt(24) lgkmcnt(1)
	v_mul_f32_e32 v136, v127, v196
	v_fma_f32 v88, v119, v187, -v88
	v_fmac_f32_e32 v136, v128, v195
	v_add_f32_e32 v87, v87, v88
	v_mul_f32_e32 v88, v122, v190
	v_add_f32_e32 v135, v135, v136
	s_waitcnt vmcnt(22)
	v_mul_f32_e32 v136, v129, v198
	v_fma_f32 v88, v121, v189, -v88
	v_fmac_f32_e32 v136, v130, v197
	v_add_f32_e32 v87, v87, v88
	v_mul_f32_e32 v88, v124, v192
	v_add_f32_e32 v135, v135, v136
	s_waitcnt vmcnt(20) lgkmcnt(0)
	v_mul_f32_e32 v136, v131, v200
	v_fma_f32 v88, v123, v191, -v88
	v_fmac_f32_e32 v136, v132, v199
	v_add_f32_e32 v87, v87, v88
	v_mul_f32_e32 v88, v126, v194
	v_add_f32_e32 v139, v135, v136
	ds_read2_b64 v[135:138], v86 offset0:75 offset1:76
	v_fma_f32 v88, v125, v193, -v88
	v_add_f32_e32 v87, v87, v88
	v_mul_f32_e32 v88, v128, v196
	s_waitcnt vmcnt(18)
	v_mul_f32_e32 v140, v133, v202
	v_fma_f32 v88, v127, v195, -v88
	v_fmac_f32_e32 v140, v134, v201
	v_add_f32_e32 v87, v87, v88
	v_mul_f32_e32 v88, v130, v198
	v_add_f32_e32 v143, v139, v140
	ds_read2_b64 v[139:142], v86 offset0:77 offset1:78
	v_fma_f32 v88, v129, v197, -v88
	s_waitcnt vmcnt(16) lgkmcnt(1)
	v_mul_f32_e32 v144, v135, v204
	v_add_f32_e32 v87, v87, v88
	v_mul_f32_e32 v88, v132, v200
	v_fmac_f32_e32 v144, v136, v203
	v_fma_f32 v88, v131, v199, -v88
	v_add_f32_e32 v143, v143, v144
	s_waitcnt vmcnt(14)
	v_mul_f32_e32 v144, v137, v206
	v_add_f32_e32 v87, v87, v88
	v_mul_f32_e32 v88, v134, v202
	v_fmac_f32_e32 v144, v138, v205
	v_fma_f32 v88, v133, v201, -v88
	v_add_f32_e32 v143, v143, v144
	s_waitcnt vmcnt(12) lgkmcnt(0)
	v_mul_f32_e32 v144, v139, v208
	v_add_f32_e32 v87, v87, v88
	v_mul_f32_e32 v88, v136, v204
	v_fmac_f32_e32 v144, v140, v207
	v_fma_f32 v88, v135, v203, -v88
	v_add_f32_e32 v147, v143, v144
	ds_read2_b64 v[143:146], v86 offset0:79 offset1:80
	v_add_f32_e32 v87, v87, v88
	v_mul_f32_e32 v88, v138, v206
	v_fma_f32 v88, v137, v205, -v88
	v_add_f32_e32 v87, v87, v88
	v_mul_f32_e32 v88, v140, v208
	s_waitcnt vmcnt(10)
	v_mul_f32_e32 v148, v141, v210
	v_fma_f32 v88, v139, v207, -v88
	v_fmac_f32_e32 v148, v142, v209
	v_add_f32_e32 v87, v87, v88
	v_mul_f32_e32 v88, v142, v210
	v_add_f32_e32 v151, v147, v148
	ds_read2_b64 v[147:150], v86 offset0:81 offset1:82
	s_waitcnt vmcnt(8) lgkmcnt(1)
	v_mul_f32_e32 v152, v143, v212
	v_fma_f32 v88, v141, v209, -v88
	v_fmac_f32_e32 v152, v144, v211
	v_add_f32_e32 v87, v87, v88
	v_mul_f32_e32 v88, v144, v212
	v_add_f32_e32 v151, v151, v152
	s_waitcnt vmcnt(7)
	v_mul_f32_e32 v152, v145, v213
	v_fma_f32 v88, v143, v211, -v88
	s_waitcnt vmcnt(6)
	v_fmac_f32_e32 v152, v146, v214
	v_add_f32_e32 v87, v87, v88
	v_mul_f32_e32 v88, v146, v213
	v_add_f32_e32 v221, v151, v152
	ds_read_b64 v[151:152], v86 offset:664
	v_fma_f32 v88, v145, v214, -v88
	v_add_f32_e32 v87, v87, v88
	s_waitcnt vmcnt(4) lgkmcnt(1)
	v_mul_f32_e32 v88, v148, v216
	v_mul_f32_e32 v222, v147, v216
	v_fma_f32 v88, v147, v215, -v88
	v_fmac_f32_e32 v222, v148, v215
	v_add_f32_e32 v87, v87, v88
	s_waitcnt vmcnt(3)
	v_mul_f32_e32 v88, v150, v217
	v_add_f32_e32 v221, v221, v222
	v_mul_f32_e32 v222, v149, v217
	s_waitcnt vmcnt(2)
	v_fma_f32 v88, v149, v218, -v88
	v_fmac_f32_e32 v222, v150, v218
	v_add_f32_e32 v87, v87, v88
	s_waitcnt vmcnt(0) lgkmcnt(0)
	v_mul_f32_e32 v88, v152, v220
	v_add_f32_e32 v221, v221, v222
	v_mul_f32_e32 v222, v151, v220
	v_fma_f32 v88, v151, v219, -v88
	v_fmac_f32_e32 v222, v152, v219
	v_add_f32_e32 v87, v87, v88
	v_add_f32_e32 v221, v221, v222
	v_sub_f32_e32 v87, v172, v87
	v_sub_f32_e32 v88, v173, v221
	buffer_store_dword v87, off, s[0:3], 0 offset:64
	buffer_store_dword v88, off, s[0:3], 0 offset:68
	s_and_saveexec_b64 s[4:5], vcc
	s_cbranch_execz .LBB41_251
; %bb.250:
	buffer_load_dword v87, off, s[0:3], 0 offset:56
	buffer_load_dword v88, off, s[0:3], 0 offset:60
	s_waitcnt vmcnt(0)
	ds_write_b64 v85, v[87:88]
	buffer_store_dword v86, off, s[0:3], 0 offset:56
	buffer_store_dword v86, off, s[0:3], 0 offset:60
.LBB41_251:
	s_or_b64 exec, exec, s[4:5]
	s_waitcnt lgkmcnt(0)
	; wave barrier
	buffer_load_dword v155, off, s[0:3], 0 offset:68
	buffer_load_dword v156, off, s[0:3], 0 offset:76
	;; [unrolled: 1-line block ×24, first 2 shown]
	ds_read_b128 v[87:90], v86 offset:400
	ds_read_b128 v[91:94], v86 offset:416
	;; [unrolled: 1-line block ×6, first 2 shown]
	buffer_load_dword v179, off, s[0:3], 0 offset:156
	buffer_load_dword v180, off, s[0:3], 0 offset:152
	;; [unrolled: 1-line block ×46, first 2 shown]
	v_cmp_lt_u32_e32 vcc, 6, v0
	s_waitcnt vmcnt(62) lgkmcnt(5)
	v_mul_f32_e32 v111, v87, v155
	v_mul_f32_e32 v112, v89, v156
	s_waitcnt lgkmcnt(4)
	v_mul_f32_e32 v113, v91, v157
	v_mul_f32_e32 v114, v93, v158
	s_waitcnt lgkmcnt(3)
	;; [unrolled: 3-line block ×3, first 2 shown]
	v_mul_f32_e32 v117, v99, v161
	v_mul_f32_e32 v118, v101, v162
	s_waitcnt vmcnt(61)
	v_fmac_f32_e32 v111, v88, v163
	s_waitcnt vmcnt(60)
	v_fmac_f32_e32 v112, v90, v164
	v_add_f32_e32 v111, 0, v111
	s_waitcnt vmcnt(59)
	v_fmac_f32_e32 v113, v92, v165
	v_add_f32_e32 v111, v111, v112
	;; [unrolled: 3-line block ×7, first 2 shown]
	s_waitcnt vmcnt(53) lgkmcnt(1)
	v_mul_f32_e32 v112, v103, v171
	v_add_f32_e32 v111, v111, v118
	s_waitcnt vmcnt(52)
	v_fmac_f32_e32 v112, v104, v172
	v_mul_f32_e32 v88, v88, v155
	v_add_f32_e32 v111, v111, v112
	s_waitcnt vmcnt(51)
	v_mul_f32_e32 v112, v105, v173
	v_fma_f32 v87, v87, v163, -v88
	v_mul_f32_e32 v88, v90, v156
	s_waitcnt vmcnt(50)
	v_fmac_f32_e32 v112, v106, v174
	v_add_f32_e32 v87, 0, v87
	v_fma_f32 v88, v89, v164, -v88
	v_add_f32_e32 v111, v111, v112
	s_waitcnt vmcnt(47) lgkmcnt(0)
	v_mul_f32_e32 v112, v107, v177
	v_add_f32_e32 v87, v87, v88
	v_mul_f32_e32 v88, v92, v157
	s_waitcnt vmcnt(46)
	v_fmac_f32_e32 v112, v108, v178
	v_fma_f32 v88, v91, v165, -v88
	v_add_f32_e32 v115, v111, v112
	ds_read_b128 v[111:114], v86 offset:496
	v_add_f32_e32 v87, v87, v88
	v_mul_f32_e32 v88, v94, v158
	v_fma_f32 v88, v93, v166, -v88
	s_waitcnt vmcnt(45)
	v_mul_f32_e32 v116, v109, v179
	v_add_f32_e32 v87, v87, v88
	v_mul_f32_e32 v88, v96, v159
	s_waitcnt vmcnt(44)
	v_fmac_f32_e32 v116, v110, v180
	v_fma_f32 v88, v95, v167, -v88
	v_add_f32_e32 v119, v115, v116
	ds_read_b128 v[115:118], v86 offset:512
	v_add_f32_e32 v87, v87, v88
	v_mul_f32_e32 v88, v98, v160
	s_waitcnt vmcnt(42) lgkmcnt(1)
	v_mul_f32_e32 v120, v111, v182
	v_fma_f32 v88, v97, v168, -v88
	v_fmac_f32_e32 v120, v112, v181
	v_add_f32_e32 v87, v87, v88
	v_mul_f32_e32 v88, v100, v161
	v_add_f32_e32 v119, v119, v120
	s_waitcnt vmcnt(40)
	v_mul_f32_e32 v120, v113, v184
	v_fma_f32 v88, v99, v169, -v88
	v_fmac_f32_e32 v120, v114, v183
	v_add_f32_e32 v87, v87, v88
	v_mul_f32_e32 v88, v102, v162
	v_add_f32_e32 v119, v119, v120
	s_waitcnt vmcnt(38) lgkmcnt(0)
	v_mul_f32_e32 v120, v115, v186
	v_fma_f32 v88, v101, v170, -v88
	v_fmac_f32_e32 v120, v116, v185
	v_add_f32_e32 v87, v87, v88
	v_mul_f32_e32 v88, v104, v171
	v_add_f32_e32 v123, v119, v120
	ds_read_b128 v[119:122], v86 offset:528
	v_fma_f32 v88, v103, v172, -v88
	v_add_f32_e32 v87, v87, v88
	v_mul_f32_e32 v88, v106, v173
	s_waitcnt vmcnt(36)
	v_mul_f32_e32 v124, v117, v188
	v_fma_f32 v88, v105, v174, -v88
	v_fmac_f32_e32 v124, v118, v187
	v_add_f32_e32 v87, v87, v88
	v_mul_f32_e32 v88, v108, v177
	v_add_f32_e32 v127, v123, v124
	ds_read_b128 v[123:126], v86 offset:544
	v_fma_f32 v88, v107, v178, -v88
	s_waitcnt vmcnt(34) lgkmcnt(1)
	v_mul_f32_e32 v128, v119, v190
	v_add_f32_e32 v87, v87, v88
	v_mul_f32_e32 v88, v110, v179
	v_fmac_f32_e32 v128, v120, v189
	v_fma_f32 v88, v109, v180, -v88
	v_add_f32_e32 v127, v127, v128
	s_waitcnt vmcnt(32)
	v_mul_f32_e32 v128, v121, v192
	v_add_f32_e32 v87, v87, v88
	v_mul_f32_e32 v88, v112, v182
	v_fmac_f32_e32 v128, v122, v191
	v_fma_f32 v88, v111, v181, -v88
	v_add_f32_e32 v127, v127, v128
	s_waitcnt vmcnt(30) lgkmcnt(0)
	v_mul_f32_e32 v128, v123, v194
	v_add_f32_e32 v87, v87, v88
	v_mul_f32_e32 v88, v114, v184
	v_fmac_f32_e32 v128, v124, v193
	v_fma_f32 v88, v113, v183, -v88
	v_add_f32_e32 v131, v127, v128
	ds_read_b128 v[127:130], v86 offset:560
	v_add_f32_e32 v87, v87, v88
	v_mul_f32_e32 v88, v116, v186
	v_fma_f32 v88, v115, v185, -v88
	s_waitcnt vmcnt(28)
	v_mul_f32_e32 v132, v125, v196
	v_add_f32_e32 v87, v87, v88
	v_mul_f32_e32 v88, v118, v188
	v_fmac_f32_e32 v132, v126, v195
	v_fma_f32 v88, v117, v187, -v88
	v_add_f32_e32 v135, v131, v132
	ds_read_b128 v[131:134], v86 offset:576
	v_add_f32_e32 v87, v87, v88
	v_mul_f32_e32 v88, v120, v190
	s_waitcnt vmcnt(26) lgkmcnt(1)
	v_mul_f32_e32 v136, v127, v198
	v_fma_f32 v88, v119, v189, -v88
	v_fmac_f32_e32 v136, v128, v197
	v_add_f32_e32 v87, v87, v88
	v_mul_f32_e32 v88, v122, v192
	v_add_f32_e32 v135, v135, v136
	s_waitcnt vmcnt(24)
	v_mul_f32_e32 v136, v129, v200
	v_fma_f32 v88, v121, v191, -v88
	v_fmac_f32_e32 v136, v130, v199
	v_add_f32_e32 v87, v87, v88
	v_mul_f32_e32 v88, v124, v194
	v_add_f32_e32 v135, v135, v136
	s_waitcnt vmcnt(22) lgkmcnt(0)
	v_mul_f32_e32 v136, v131, v202
	v_fma_f32 v88, v123, v193, -v88
	v_fmac_f32_e32 v136, v132, v201
	v_add_f32_e32 v87, v87, v88
	v_mul_f32_e32 v88, v126, v196
	v_add_f32_e32 v139, v135, v136
	ds_read_b128 v[135:138], v86 offset:592
	v_fma_f32 v88, v125, v195, -v88
	v_add_f32_e32 v87, v87, v88
	v_mul_f32_e32 v88, v128, v198
	s_waitcnt vmcnt(20)
	v_mul_f32_e32 v140, v133, v204
	v_fma_f32 v88, v127, v197, -v88
	v_fmac_f32_e32 v140, v134, v203
	v_add_f32_e32 v87, v87, v88
	v_mul_f32_e32 v88, v130, v200
	v_add_f32_e32 v143, v139, v140
	ds_read_b128 v[139:142], v86 offset:608
	v_fma_f32 v88, v129, v199, -v88
	s_waitcnt vmcnt(18) lgkmcnt(1)
	v_mul_f32_e32 v144, v135, v206
	v_add_f32_e32 v87, v87, v88
	v_mul_f32_e32 v88, v132, v202
	v_fmac_f32_e32 v144, v136, v205
	v_fma_f32 v88, v131, v201, -v88
	v_add_f32_e32 v143, v143, v144
	s_waitcnt vmcnt(16)
	v_mul_f32_e32 v144, v137, v208
	v_add_f32_e32 v87, v87, v88
	v_mul_f32_e32 v88, v134, v204
	v_fmac_f32_e32 v144, v138, v207
	v_fma_f32 v88, v133, v203, -v88
	v_add_f32_e32 v143, v143, v144
	s_waitcnt vmcnt(14) lgkmcnt(0)
	v_mul_f32_e32 v144, v139, v210
	v_add_f32_e32 v87, v87, v88
	v_mul_f32_e32 v88, v136, v206
	v_fmac_f32_e32 v144, v140, v209
	v_fma_f32 v88, v135, v205, -v88
	v_add_f32_e32 v147, v143, v144
	ds_read_b128 v[143:146], v86 offset:624
	v_add_f32_e32 v87, v87, v88
	v_mul_f32_e32 v88, v138, v208
	v_fma_f32 v88, v137, v207, -v88
	v_add_f32_e32 v87, v87, v88
	v_mul_f32_e32 v88, v140, v210
	s_waitcnt vmcnt(12)
	v_mul_f32_e32 v148, v141, v212
	v_fma_f32 v88, v139, v209, -v88
	v_fmac_f32_e32 v148, v142, v211
	v_add_f32_e32 v87, v87, v88
	v_mul_f32_e32 v88, v142, v212
	v_add_f32_e32 v151, v147, v148
	ds_read_b128 v[147:150], v86 offset:640
	s_waitcnt vmcnt(10) lgkmcnt(1)
	v_mul_f32_e32 v152, v143, v214
	v_fma_f32 v88, v141, v211, -v88
	v_fmac_f32_e32 v152, v144, v213
	v_add_f32_e32 v87, v87, v88
	v_mul_f32_e32 v88, v144, v214
	v_add_f32_e32 v151, v151, v152
	s_waitcnt vmcnt(9)
	v_mul_f32_e32 v152, v145, v215
	v_fma_f32 v88, v143, v213, -v88
	s_waitcnt vmcnt(8)
	v_fmac_f32_e32 v152, v146, v216
	v_add_f32_e32 v87, v87, v88
	v_mul_f32_e32 v88, v146, v215
	v_add_f32_e32 v225, v151, v152
	ds_read_b128 v[151:154], v86 offset:656
	v_fma_f32 v88, v145, v216, -v88
	v_add_f32_e32 v87, v87, v88
	s_waitcnt vmcnt(6) lgkmcnt(1)
	v_mul_f32_e32 v88, v148, v218
	v_mul_f32_e32 v226, v147, v218
	v_fma_f32 v88, v147, v217, -v88
	v_fmac_f32_e32 v226, v148, v217
	v_add_f32_e32 v87, v87, v88
	s_waitcnt vmcnt(4)
	v_mul_f32_e32 v88, v150, v220
	v_add_f32_e32 v86, v225, v226
	v_mul_f32_e32 v225, v149, v220
	v_fma_f32 v88, v149, v219, -v88
	v_fmac_f32_e32 v225, v150, v219
	v_add_f32_e32 v87, v87, v88
	s_waitcnt vmcnt(3) lgkmcnt(0)
	v_mul_f32_e32 v88, v152, v221
	v_add_f32_e32 v86, v86, v225
	v_mul_f32_e32 v225, v151, v221
	s_waitcnt vmcnt(2)
	v_fma_f32 v88, v151, v222, -v88
	v_fmac_f32_e32 v225, v152, v222
	v_add_f32_e32 v87, v87, v88
	s_waitcnt vmcnt(0)
	v_mul_f32_e32 v88, v154, v224
	v_add_f32_e32 v86, v86, v225
	v_mul_f32_e32 v225, v153, v224
	v_fma_f32 v88, v153, v223, -v88
	v_fmac_f32_e32 v225, v154, v223
	v_add_f32_e32 v87, v87, v88
	v_add_f32_e32 v86, v86, v225
	v_sub_f32_e32 v87, v175, v87
	v_sub_f32_e32 v86, v176, v86
	buffer_store_dword v87, off, s[0:3], 0 offset:56
	buffer_store_dword v86, off, s[0:3], 0 offset:60
	s_and_saveexec_b64 s[4:5], vcc
	s_cbranch_execz .LBB41_253
; %bb.252:
	buffer_load_dword v86, off, s[0:3], 0 offset:48
	buffer_load_dword v87, off, s[0:3], 0 offset:52
	v_mov_b32_e32 v88, 0
	buffer_store_dword v88, off, s[0:3], 0 offset:48
	buffer_store_dword v88, off, s[0:3], 0 offset:52
	s_waitcnt vmcnt(2)
	ds_write_b64 v85, v[86:87]
.LBB41_253:
	s_or_b64 exec, exec, s[4:5]
	s_waitcnt lgkmcnt(0)
	; wave barrier
	buffer_load_dword v157, off, s[0:3], 0 offset:60
	buffer_load_dword v158, off, s[0:3], 0 offset:68
	;; [unrolled: 1-line block ×56, first 2 shown]
	v_mov_b32_e32 v86, 0
	ds_read2_b64 v[87:90], v86 offset0:49 offset1:50
	ds_read2_b64 v[91:94], v86 offset0:51 offset1:52
	;; [unrolled: 1-line block ×6, first 2 shown]
	buffer_load_dword v213, off, s[0:3], 0 offset:272
	buffer_load_dword v214, off, s[0:3], 0 offset:276
	;; [unrolled: 1-line block ×12, first 2 shown]
	v_cmp_lt_u32_e32 vcc, 5, v0
	s_waitcnt vmcnt(62) lgkmcnt(5)
	v_mul_f32_e32 v111, v87, v157
	v_mul_f32_e32 v112, v89, v158
	s_waitcnt lgkmcnt(4)
	v_mul_f32_e32 v113, v91, v159
	v_mul_f32_e32 v114, v93, v160
	s_waitcnt lgkmcnt(3)
	v_mul_f32_e32 v115, v95, v161
	v_mul_f32_e32 v116, v97, v162
	s_waitcnt vmcnt(61) lgkmcnt(2)
	v_mul_f32_e32 v117, v99, v163
	s_waitcnt vmcnt(60)
	v_mul_f32_e32 v118, v101, v164
	s_waitcnt vmcnt(59) lgkmcnt(1)
	v_mul_f32_e32 v119, v103, v165
	s_waitcnt vmcnt(58)
	v_fmac_f32_e32 v111, v88, v166
	s_waitcnt vmcnt(57)
	v_fmac_f32_e32 v112, v90, v167
	v_add_f32_e32 v111, 0, v111
	s_waitcnt vmcnt(56)
	v_fmac_f32_e32 v113, v92, v168
	v_add_f32_e32 v111, v111, v112
	;; [unrolled: 3-line block ×7, first 2 shown]
	v_add_f32_e32 v111, v111, v118
	s_waitcnt vmcnt(50)
	v_fmac_f32_e32 v119, v104, v174
	s_waitcnt vmcnt(49)
	v_mul_f32_e32 v112, v105, v175
	v_add_f32_e32 v111, v111, v119
	s_waitcnt vmcnt(48)
	v_fmac_f32_e32 v112, v106, v176
	v_add_f32_e32 v111, v111, v112
	s_waitcnt vmcnt(47) lgkmcnt(0)
	v_mul_f32_e32 v112, v107, v177
	s_waitcnt vmcnt(44)
	v_fmac_f32_e32 v112, v108, v180
	v_add_f32_e32 v115, v111, v112
	ds_read2_b64 v[111:114], v86 offset0:61 offset1:62
	buffer_load_dword v225, off, s[0:3], 0 offset:324
	buffer_load_dword v226, off, s[0:3], 0 offset:320
	;; [unrolled: 1-line block ×4, first 2 shown]
	v_mul_f32_e32 v88, v88, v157
	v_fma_f32 v87, v87, v166, -v88
	v_mul_f32_e32 v88, v90, v158
	v_add_f32_e32 v87, 0, v87
	v_fma_f32 v88, v89, v167, -v88
	v_add_f32_e32 v87, v87, v88
	v_mul_f32_e32 v88, v92, v159
	v_fma_f32 v88, v91, v168, -v88
	s_waitcnt vmcnt(46)
	v_mul_f32_e32 v116, v109, v182
	v_add_f32_e32 v87, v87, v88
	v_mul_f32_e32 v88, v94, v160
	v_fmac_f32_e32 v116, v110, v181
	v_fma_f32 v88, v93, v169, -v88
	v_add_f32_e32 v119, v115, v116
	ds_read2_b64 v[115:118], v86 offset0:63 offset1:64
	v_add_f32_e32 v87, v87, v88
	v_mul_f32_e32 v88, v96, v161
	s_waitcnt vmcnt(44) lgkmcnt(1)
	v_mul_f32_e32 v120, v111, v184
	v_fma_f32 v88, v95, v170, -v88
	v_fmac_f32_e32 v120, v112, v183
	v_add_f32_e32 v87, v87, v88
	v_mul_f32_e32 v88, v98, v162
	v_add_f32_e32 v119, v119, v120
	s_waitcnt vmcnt(42)
	v_mul_f32_e32 v120, v113, v186
	v_fma_f32 v88, v97, v171, -v88
	v_fmac_f32_e32 v120, v114, v185
	v_add_f32_e32 v87, v87, v88
	v_mul_f32_e32 v88, v100, v163
	v_add_f32_e32 v119, v119, v120
	s_waitcnt vmcnt(40) lgkmcnt(0)
	v_mul_f32_e32 v120, v115, v188
	v_fma_f32 v88, v99, v172, -v88
	v_fmac_f32_e32 v120, v116, v187
	v_add_f32_e32 v87, v87, v88
	v_mul_f32_e32 v88, v102, v164
	v_add_f32_e32 v123, v119, v120
	ds_read2_b64 v[119:122], v86 offset0:65 offset1:66
	v_fma_f32 v88, v101, v173, -v88
	v_add_f32_e32 v87, v87, v88
	v_mul_f32_e32 v88, v104, v165
	s_waitcnt vmcnt(38)
	v_mul_f32_e32 v124, v117, v190
	v_fma_f32 v88, v103, v174, -v88
	v_fmac_f32_e32 v124, v118, v189
	v_add_f32_e32 v87, v87, v88
	v_mul_f32_e32 v88, v106, v175
	v_add_f32_e32 v127, v123, v124
	ds_read2_b64 v[123:126], v86 offset0:67 offset1:68
	v_fma_f32 v88, v105, v176, -v88
	s_waitcnt vmcnt(36) lgkmcnt(1)
	v_mul_f32_e32 v128, v119, v192
	v_add_f32_e32 v87, v87, v88
	v_mul_f32_e32 v88, v108, v177
	v_fmac_f32_e32 v128, v120, v191
	v_fma_f32 v88, v107, v180, -v88
	v_add_f32_e32 v127, v127, v128
	s_waitcnt vmcnt(34)
	v_mul_f32_e32 v128, v121, v194
	v_add_f32_e32 v87, v87, v88
	v_mul_f32_e32 v88, v110, v182
	v_fmac_f32_e32 v128, v122, v193
	v_fma_f32 v88, v109, v181, -v88
	v_add_f32_e32 v127, v127, v128
	s_waitcnt vmcnt(32) lgkmcnt(0)
	v_mul_f32_e32 v128, v123, v196
	v_add_f32_e32 v87, v87, v88
	v_mul_f32_e32 v88, v112, v184
	v_fmac_f32_e32 v128, v124, v195
	v_fma_f32 v88, v111, v183, -v88
	v_add_f32_e32 v131, v127, v128
	ds_read2_b64 v[127:130], v86 offset0:69 offset1:70
	v_add_f32_e32 v87, v87, v88
	v_mul_f32_e32 v88, v114, v186
	v_fma_f32 v88, v113, v185, -v88
	s_waitcnt vmcnt(30)
	v_mul_f32_e32 v132, v125, v198
	v_add_f32_e32 v87, v87, v88
	v_mul_f32_e32 v88, v116, v188
	v_fmac_f32_e32 v132, v126, v197
	v_fma_f32 v88, v115, v187, -v88
	v_add_f32_e32 v135, v131, v132
	ds_read2_b64 v[131:134], v86 offset0:71 offset1:72
	v_add_f32_e32 v87, v87, v88
	v_mul_f32_e32 v88, v118, v190
	s_waitcnt vmcnt(28) lgkmcnt(1)
	v_mul_f32_e32 v136, v127, v200
	v_fma_f32 v88, v117, v189, -v88
	v_fmac_f32_e32 v136, v128, v199
	v_add_f32_e32 v87, v87, v88
	v_mul_f32_e32 v88, v120, v192
	v_add_f32_e32 v135, v135, v136
	s_waitcnt vmcnt(26)
	v_mul_f32_e32 v136, v129, v202
	v_fma_f32 v88, v119, v191, -v88
	v_fmac_f32_e32 v136, v130, v201
	v_add_f32_e32 v87, v87, v88
	v_mul_f32_e32 v88, v122, v194
	v_add_f32_e32 v135, v135, v136
	s_waitcnt vmcnt(24) lgkmcnt(0)
	v_mul_f32_e32 v136, v131, v204
	v_fma_f32 v88, v121, v193, -v88
	v_fmac_f32_e32 v136, v132, v203
	v_add_f32_e32 v87, v87, v88
	v_mul_f32_e32 v88, v124, v196
	v_add_f32_e32 v139, v135, v136
	ds_read2_b64 v[135:138], v86 offset0:73 offset1:74
	v_fma_f32 v88, v123, v195, -v88
	v_add_f32_e32 v87, v87, v88
	v_mul_f32_e32 v88, v126, v198
	s_waitcnt vmcnt(22)
	v_mul_f32_e32 v140, v133, v206
	v_fma_f32 v88, v125, v197, -v88
	v_fmac_f32_e32 v140, v134, v205
	v_add_f32_e32 v87, v87, v88
	v_mul_f32_e32 v88, v128, v200
	v_add_f32_e32 v143, v139, v140
	ds_read2_b64 v[139:142], v86 offset0:75 offset1:76
	v_fma_f32 v88, v127, v199, -v88
	s_waitcnt vmcnt(20) lgkmcnt(1)
	v_mul_f32_e32 v144, v135, v208
	v_add_f32_e32 v87, v87, v88
	v_mul_f32_e32 v88, v130, v202
	v_fmac_f32_e32 v144, v136, v207
	v_fma_f32 v88, v129, v201, -v88
	v_add_f32_e32 v143, v143, v144
	s_waitcnt vmcnt(18)
	v_mul_f32_e32 v144, v137, v210
	v_add_f32_e32 v87, v87, v88
	v_mul_f32_e32 v88, v132, v204
	v_fmac_f32_e32 v144, v138, v209
	v_fma_f32 v88, v131, v203, -v88
	v_add_f32_e32 v143, v143, v144
	s_waitcnt vmcnt(16) lgkmcnt(0)
	v_mul_f32_e32 v144, v139, v212
	v_add_f32_e32 v87, v87, v88
	v_mul_f32_e32 v88, v134, v206
	v_fmac_f32_e32 v144, v140, v211
	v_fma_f32 v88, v133, v205, -v88
	v_add_f32_e32 v147, v143, v144
	ds_read2_b64 v[143:146], v86 offset0:77 offset1:78
	v_add_f32_e32 v87, v87, v88
	v_mul_f32_e32 v88, v136, v208
	v_fma_f32 v88, v135, v207, -v88
	s_waitcnt vmcnt(14)
	v_mul_f32_e32 v148, v141, v214
	v_add_f32_e32 v87, v87, v88
	v_mul_f32_e32 v88, v138, v210
	v_fmac_f32_e32 v148, v142, v213
	v_fma_f32 v88, v137, v209, -v88
	v_add_f32_e32 v151, v147, v148
	ds_read2_b64 v[147:150], v86 offset0:79 offset1:80
	v_add_f32_e32 v87, v87, v88
	v_mul_f32_e32 v88, v140, v212
	s_waitcnt vmcnt(12) lgkmcnt(1)
	v_mul_f32_e32 v152, v143, v216
	v_fma_f32 v88, v139, v211, -v88
	v_fmac_f32_e32 v152, v144, v215
	v_add_f32_e32 v87, v87, v88
	v_mul_f32_e32 v88, v142, v214
	v_add_f32_e32 v151, v151, v152
	s_waitcnt vmcnt(11)
	v_mul_f32_e32 v152, v145, v217
	v_fma_f32 v88, v141, v213, -v88
	s_waitcnt vmcnt(10)
	v_fmac_f32_e32 v152, v146, v218
	v_add_f32_e32 v87, v87, v88
	v_mul_f32_e32 v88, v144, v216
	v_add_f32_e32 v151, v151, v152
	s_waitcnt vmcnt(8) lgkmcnt(0)
	v_mul_f32_e32 v152, v147, v220
	v_fma_f32 v88, v143, v215, -v88
	v_fmac_f32_e32 v152, v148, v219
	v_add_f32_e32 v87, v87, v88
	v_mul_f32_e32 v88, v146, v217
	v_add_f32_e32 v155, v151, v152
	ds_read2_b64 v[151:154], v86 offset0:81 offset1:82
	v_fma_f32 v88, v145, v218, -v88
	v_add_f32_e32 v87, v87, v88
	v_mul_f32_e32 v88, v148, v220
	s_waitcnt vmcnt(6)
	v_mul_f32_e32 v156, v149, v222
	v_fma_f32 v88, v147, v219, -v88
	v_fmac_f32_e32 v156, v150, v221
	v_add_f32_e32 v87, v87, v88
	v_mul_f32_e32 v88, v150, v222
	v_add_f32_e32 v229, v155, v156
	ds_read_b64 v[155:156], v86 offset:664
	v_fma_f32 v88, v149, v221, -v88
	v_add_f32_e32 v87, v87, v88
	s_waitcnt vmcnt(4) lgkmcnt(1)
	v_mul_f32_e32 v88, v152, v224
	v_mul_f32_e32 v230, v151, v224
	v_fma_f32 v88, v151, v223, -v88
	v_fmac_f32_e32 v230, v152, v223
	v_add_f32_e32 v87, v87, v88
	s_waitcnt vmcnt(3)
	v_mul_f32_e32 v88, v154, v225
	v_add_f32_e32 v229, v229, v230
	v_mul_f32_e32 v230, v153, v225
	s_waitcnt vmcnt(2)
	v_fma_f32 v88, v153, v226, -v88
	v_fmac_f32_e32 v230, v154, v226
	v_add_f32_e32 v87, v87, v88
	s_waitcnt vmcnt(0) lgkmcnt(0)
	v_mul_f32_e32 v88, v156, v228
	v_add_f32_e32 v229, v229, v230
	v_mul_f32_e32 v230, v155, v228
	v_fma_f32 v88, v155, v227, -v88
	v_fmac_f32_e32 v230, v156, v227
	v_add_f32_e32 v87, v87, v88
	v_add_f32_e32 v229, v229, v230
	v_sub_f32_e32 v87, v178, v87
	v_sub_f32_e32 v88, v179, v229
	buffer_store_dword v87, off, s[0:3], 0 offset:48
	buffer_store_dword v88, off, s[0:3], 0 offset:52
	s_and_saveexec_b64 s[4:5], vcc
	s_cbranch_execz .LBB41_255
; %bb.254:
	buffer_load_dword v87, off, s[0:3], 0 offset:40
	buffer_load_dword v88, off, s[0:3], 0 offset:44
	s_waitcnt vmcnt(0)
	ds_write_b64 v85, v[87:88]
	buffer_store_dword v86, off, s[0:3], 0 offset:40
	buffer_store_dword v86, off, s[0:3], 0 offset:44
.LBB41_255:
	s_or_b64 exec, exec, s[4:5]
	s_waitcnt lgkmcnt(0)
	; wave barrier
	buffer_load_dword v159, off, s[0:3], 0 offset:52
	buffer_load_dword v160, off, s[0:3], 0 offset:60
	;; [unrolled: 1-line block ×26, first 2 shown]
	ds_read_b128 v[87:90], v86 offset:384
	ds_read_b128 v[91:94], v86 offset:400
	;; [unrolled: 1-line block ×6, first 2 shown]
	buffer_load_dword v185, off, s[0:3], 0 offset:144
	buffer_load_dword v186, off, s[0:3], 0 offset:148
	;; [unrolled: 1-line block ×42, first 2 shown]
	v_cmp_lt_u32_e32 vcc, 4, v0
	s_waitcnt vmcnt(62) lgkmcnt(5)
	v_mul_f32_e32 v111, v87, v159
	v_mul_f32_e32 v112, v89, v160
	s_waitcnt lgkmcnt(4)
	v_mul_f32_e32 v113, v91, v161
	v_mul_f32_e32 v114, v93, v162
	s_waitcnt lgkmcnt(3)
	v_mul_f32_e32 v115, v95, v163
	v_mul_f32_e32 v116, v97, v164
	s_waitcnt vmcnt(61) lgkmcnt(2)
	v_mul_f32_e32 v117, v99, v165
	s_waitcnt vmcnt(60)
	v_mul_f32_e32 v118, v101, v166
	s_waitcnt vmcnt(59) lgkmcnt(1)
	v_mul_f32_e32 v119, v103, v167
	s_waitcnt vmcnt(58)
	v_fmac_f32_e32 v111, v88, v168
	s_waitcnt vmcnt(57)
	v_fmac_f32_e32 v112, v90, v169
	v_add_f32_e32 v111, 0, v111
	s_waitcnt vmcnt(56)
	v_fmac_f32_e32 v113, v92, v170
	v_add_f32_e32 v111, v111, v112
	;; [unrolled: 3-line block ×8, first 2 shown]
	s_waitcnt vmcnt(49)
	v_mul_f32_e32 v112, v105, v177
	v_add_f32_e32 v111, v111, v119
	s_waitcnt vmcnt(48)
	v_fmac_f32_e32 v112, v106, v178
	v_add_f32_e32 v111, v111, v112
	s_waitcnt vmcnt(47) lgkmcnt(0)
	v_mul_f32_e32 v112, v107, v179
	s_waitcnt vmcnt(46)
	v_fmac_f32_e32 v112, v108, v180
	v_add_f32_e32 v111, v111, v112
	s_waitcnt vmcnt(42)
	v_mul_f32_e32 v112, v109, v184
	v_fmac_f32_e32 v112, v110, v183
	v_add_f32_e32 v119, v111, v112
	ds_read_b128 v[111:114], v86 offset:480
	buffer_load_dword v227, off, s[0:3], 0 offset:316
	buffer_load_dword v228, off, s[0:3], 0 offset:312
	;; [unrolled: 1-line block ×4, first 2 shown]
	ds_read_b128 v[115:118], v86 offset:496
	buffer_load_dword v231, off, s[0:3], 0 offset:328
	buffer_load_dword v232, off, s[0:3], 0 offset:332
	v_mul_f32_e32 v88, v88, v159
	v_fma_f32 v87, v87, v168, -v88
	v_mul_f32_e32 v88, v90, v160
	v_add_f32_e32 v87, 0, v87
	v_fma_f32 v88, v89, v169, -v88
	v_add_f32_e32 v87, v87, v88
	v_mul_f32_e32 v88, v92, v161
	v_fma_f32 v88, v91, v170, -v88
	v_add_f32_e32 v87, v87, v88
	v_mul_f32_e32 v88, v94, v162
	;; [unrolled: 3-line block ×3, first 2 shown]
	s_waitcnt vmcnt(46) lgkmcnt(1)
	v_mul_f32_e32 v120, v111, v186
	v_fma_f32 v88, v95, v172, -v88
	v_fmac_f32_e32 v120, v112, v185
	v_add_f32_e32 v87, v87, v88
	v_mul_f32_e32 v88, v98, v164
	v_add_f32_e32 v119, v119, v120
	s_waitcnt vmcnt(44)
	v_mul_f32_e32 v120, v113, v188
	v_fma_f32 v88, v97, v173, -v88
	v_fmac_f32_e32 v120, v114, v187
	v_add_f32_e32 v87, v87, v88
	v_mul_f32_e32 v88, v100, v165
	v_add_f32_e32 v119, v119, v120
	s_waitcnt vmcnt(42) lgkmcnt(0)
	v_mul_f32_e32 v120, v115, v190
	v_fma_f32 v88, v99, v174, -v88
	v_fmac_f32_e32 v120, v116, v189
	v_add_f32_e32 v87, v87, v88
	v_mul_f32_e32 v88, v102, v166
	v_add_f32_e32 v123, v119, v120
	ds_read_b128 v[119:122], v86 offset:512
	v_fma_f32 v88, v101, v175, -v88
	v_add_f32_e32 v87, v87, v88
	v_mul_f32_e32 v88, v104, v167
	s_waitcnt vmcnt(40)
	v_mul_f32_e32 v124, v117, v192
	v_fma_f32 v88, v103, v176, -v88
	v_fmac_f32_e32 v124, v118, v191
	v_add_f32_e32 v87, v87, v88
	v_mul_f32_e32 v88, v106, v177
	v_add_f32_e32 v127, v123, v124
	ds_read_b128 v[123:126], v86 offset:528
	v_fma_f32 v88, v105, v178, -v88
	s_waitcnt vmcnt(38) lgkmcnt(1)
	v_mul_f32_e32 v128, v119, v194
	v_add_f32_e32 v87, v87, v88
	v_mul_f32_e32 v88, v108, v179
	v_fmac_f32_e32 v128, v120, v193
	v_fma_f32 v88, v107, v180, -v88
	v_add_f32_e32 v127, v127, v128
	s_waitcnt vmcnt(36)
	v_mul_f32_e32 v128, v121, v196
	v_add_f32_e32 v87, v87, v88
	v_mul_f32_e32 v88, v110, v184
	v_fmac_f32_e32 v128, v122, v195
	v_fma_f32 v88, v109, v183, -v88
	v_add_f32_e32 v127, v127, v128
	s_waitcnt vmcnt(34) lgkmcnt(0)
	v_mul_f32_e32 v128, v123, v198
	v_add_f32_e32 v87, v87, v88
	v_mul_f32_e32 v88, v112, v186
	v_fmac_f32_e32 v128, v124, v197
	v_fma_f32 v88, v111, v185, -v88
	v_add_f32_e32 v131, v127, v128
	ds_read_b128 v[127:130], v86 offset:544
	v_add_f32_e32 v87, v87, v88
	v_mul_f32_e32 v88, v114, v188
	v_fma_f32 v88, v113, v187, -v88
	s_waitcnt vmcnt(32)
	v_mul_f32_e32 v132, v125, v200
	v_add_f32_e32 v87, v87, v88
	v_mul_f32_e32 v88, v116, v190
	v_fmac_f32_e32 v132, v126, v199
	v_fma_f32 v88, v115, v189, -v88
	v_add_f32_e32 v135, v131, v132
	ds_read_b128 v[131:134], v86 offset:560
	v_add_f32_e32 v87, v87, v88
	v_mul_f32_e32 v88, v118, v192
	s_waitcnt vmcnt(30) lgkmcnt(1)
	v_mul_f32_e32 v136, v127, v202
	v_fma_f32 v88, v117, v191, -v88
	v_fmac_f32_e32 v136, v128, v201
	v_add_f32_e32 v87, v87, v88
	v_mul_f32_e32 v88, v120, v194
	v_add_f32_e32 v135, v135, v136
	s_waitcnt vmcnt(28)
	v_mul_f32_e32 v136, v129, v204
	v_fma_f32 v88, v119, v193, -v88
	v_fmac_f32_e32 v136, v130, v203
	v_add_f32_e32 v87, v87, v88
	v_mul_f32_e32 v88, v122, v196
	v_add_f32_e32 v135, v135, v136
	s_waitcnt vmcnt(26) lgkmcnt(0)
	v_mul_f32_e32 v136, v131, v206
	v_fma_f32 v88, v121, v195, -v88
	v_fmac_f32_e32 v136, v132, v205
	v_add_f32_e32 v87, v87, v88
	v_mul_f32_e32 v88, v124, v198
	v_add_f32_e32 v139, v135, v136
	ds_read_b128 v[135:138], v86 offset:576
	v_fma_f32 v88, v123, v197, -v88
	v_add_f32_e32 v87, v87, v88
	v_mul_f32_e32 v88, v126, v200
	s_waitcnt vmcnt(24)
	v_mul_f32_e32 v140, v133, v208
	v_fma_f32 v88, v125, v199, -v88
	v_fmac_f32_e32 v140, v134, v207
	v_add_f32_e32 v87, v87, v88
	v_mul_f32_e32 v88, v128, v202
	v_add_f32_e32 v143, v139, v140
	ds_read_b128 v[139:142], v86 offset:592
	v_fma_f32 v88, v127, v201, -v88
	s_waitcnt vmcnt(22) lgkmcnt(1)
	v_mul_f32_e32 v144, v135, v210
	v_add_f32_e32 v87, v87, v88
	v_mul_f32_e32 v88, v130, v204
	v_fmac_f32_e32 v144, v136, v209
	v_fma_f32 v88, v129, v203, -v88
	v_add_f32_e32 v143, v143, v144
	s_waitcnt vmcnt(20)
	v_mul_f32_e32 v144, v137, v212
	v_add_f32_e32 v87, v87, v88
	v_mul_f32_e32 v88, v132, v206
	v_fmac_f32_e32 v144, v138, v211
	v_fma_f32 v88, v131, v205, -v88
	v_add_f32_e32 v143, v143, v144
	s_waitcnt vmcnt(18) lgkmcnt(0)
	v_mul_f32_e32 v144, v139, v214
	v_add_f32_e32 v87, v87, v88
	v_mul_f32_e32 v88, v134, v208
	v_fmac_f32_e32 v144, v140, v213
	v_fma_f32 v88, v133, v207, -v88
	v_add_f32_e32 v147, v143, v144
	ds_read_b128 v[143:146], v86 offset:608
	v_add_f32_e32 v87, v87, v88
	v_mul_f32_e32 v88, v136, v210
	v_fma_f32 v88, v135, v209, -v88
	s_waitcnt vmcnt(16)
	v_mul_f32_e32 v148, v141, v216
	v_add_f32_e32 v87, v87, v88
	v_mul_f32_e32 v88, v138, v212
	v_fmac_f32_e32 v148, v142, v215
	v_fma_f32 v88, v137, v211, -v88
	v_add_f32_e32 v151, v147, v148
	ds_read_b128 v[147:150], v86 offset:624
	v_add_f32_e32 v87, v87, v88
	v_mul_f32_e32 v88, v140, v214
	s_waitcnt vmcnt(14) lgkmcnt(1)
	v_mul_f32_e32 v152, v143, v218
	v_fma_f32 v88, v139, v213, -v88
	v_fmac_f32_e32 v152, v144, v217
	v_add_f32_e32 v87, v87, v88
	v_mul_f32_e32 v88, v142, v216
	v_add_f32_e32 v151, v151, v152
	s_waitcnt vmcnt(13)
	v_mul_f32_e32 v152, v145, v219
	v_fma_f32 v88, v141, v215, -v88
	s_waitcnt vmcnt(12)
	v_fmac_f32_e32 v152, v146, v220
	v_add_f32_e32 v87, v87, v88
	v_mul_f32_e32 v88, v144, v218
	v_add_f32_e32 v151, v151, v152
	s_waitcnt vmcnt(10) lgkmcnt(0)
	v_mul_f32_e32 v152, v147, v222
	v_fma_f32 v88, v143, v217, -v88
	v_fmac_f32_e32 v152, v148, v221
	v_add_f32_e32 v87, v87, v88
	v_mul_f32_e32 v88, v146, v219
	v_add_f32_e32 v155, v151, v152
	ds_read_b128 v[151:154], v86 offset:640
	v_fma_f32 v88, v145, v220, -v88
	v_add_f32_e32 v87, v87, v88
	v_mul_f32_e32 v88, v148, v222
	s_waitcnt vmcnt(8)
	v_mul_f32_e32 v156, v149, v224
	v_fma_f32 v88, v147, v221, -v88
	v_fmac_f32_e32 v156, v150, v223
	v_add_f32_e32 v87, v87, v88
	v_mul_f32_e32 v88, v150, v224
	v_add_f32_e32 v233, v155, v156
	ds_read_b128 v[155:158], v86 offset:656
	v_fma_f32 v88, v149, v223, -v88
	v_add_f32_e32 v87, v87, v88
	s_waitcnt vmcnt(6) lgkmcnt(1)
	v_mul_f32_e32 v88, v152, v226
	v_mul_f32_e32 v86, v151, v226
	v_fma_f32 v88, v151, v225, -v88
	v_fmac_f32_e32 v86, v152, v225
	v_add_f32_e32 v87, v87, v88
	s_waitcnt vmcnt(5)
	v_mul_f32_e32 v88, v154, v227
	v_add_f32_e32 v86, v233, v86
	v_mul_f32_e32 v233, v153, v227
	s_waitcnt vmcnt(4)
	v_fma_f32 v88, v153, v228, -v88
	v_fmac_f32_e32 v233, v154, v228
	v_add_f32_e32 v87, v87, v88
	s_waitcnt vmcnt(2) lgkmcnt(0)
	v_mul_f32_e32 v88, v156, v230
	v_add_f32_e32 v86, v86, v233
	v_mul_f32_e32 v233, v155, v230
	v_fma_f32 v88, v155, v229, -v88
	v_fmac_f32_e32 v233, v156, v229
	v_add_f32_e32 v87, v87, v88
	s_waitcnt vmcnt(0)
	v_mul_f32_e32 v88, v158, v232
	v_add_f32_e32 v86, v86, v233
	v_mul_f32_e32 v233, v157, v232
	v_fma_f32 v88, v157, v231, -v88
	v_fmac_f32_e32 v233, v158, v231
	v_add_f32_e32 v87, v87, v88
	v_add_f32_e32 v86, v86, v233
	v_sub_f32_e32 v87, v181, v87
	v_sub_f32_e32 v86, v182, v86
	buffer_store_dword v87, off, s[0:3], 0 offset:40
	buffer_store_dword v86, off, s[0:3], 0 offset:44
	s_and_saveexec_b64 s[4:5], vcc
	s_cbranch_execz .LBB41_257
; %bb.256:
	buffer_load_dword v86, off, s[0:3], 0 offset:32
	buffer_load_dword v87, off, s[0:3], 0 offset:36
	v_mov_b32_e32 v88, 0
	buffer_store_dword v88, off, s[0:3], 0 offset:32
	buffer_store_dword v88, off, s[0:3], 0 offset:36
	s_waitcnt vmcnt(2)
	ds_write_b64 v85, v[86:87]
.LBB41_257:
	s_or_b64 exec, exec, s[4:5]
	s_waitcnt lgkmcnt(0)
	; wave barrier
	buffer_load_dword v161, off, s[0:3], 0 offset:44
	buffer_load_dword v162, off, s[0:3], 0 offset:52
	;; [unrolled: 1-line block ×52, first 2 shown]
	v_mov_b32_e32 v86, 0
	ds_read2_b64 v[87:90], v86 offset0:47 offset1:48
	ds_read2_b64 v[91:94], v86 offset0:49 offset1:50
	;; [unrolled: 1-line block ×6, first 2 shown]
	buffer_load_dword v213, off, s[0:3], 0 offset:244
	buffer_load_dword v214, off, s[0:3], 0 offset:240
	buffer_load_dword v215, off, s[0:3], 0 offset:248
	buffer_load_dword v216, off, s[0:3], 0 offset:252
	buffer_load_dword v217, off, s[0:3], 0 offset:256
	buffer_load_dword v218, off, s[0:3], 0 offset:260
	buffer_load_dword v219, off, s[0:3], 0 offset:264
	buffer_load_dword v220, off, s[0:3], 0 offset:268
	buffer_load_dword v221, off, s[0:3], 0 offset:276
	buffer_load_dword v222, off, s[0:3], 0 offset:272
	buffer_load_dword v223, off, s[0:3], 0 offset:280
	buffer_load_dword v224, off, s[0:3], 0 offset:284
	buffer_load_dword v225, off, s[0:3], 0 offset:288
	buffer_load_dword v226, off, s[0:3], 0 offset:292
	v_cmp_lt_u32_e32 vcc, 3, v0
	s_waitcnt vmcnt(62) lgkmcnt(5)
	v_mul_f32_e32 v111, v87, v161
	v_mul_f32_e32 v112, v89, v162
	s_waitcnt lgkmcnt(4)
	v_mul_f32_e32 v113, v91, v163
	v_mul_f32_e32 v114, v93, v164
	s_waitcnt vmcnt(61) lgkmcnt(3)
	v_mul_f32_e32 v115, v95, v165
	s_waitcnt vmcnt(60)
	v_mul_f32_e32 v116, v97, v166
	s_waitcnt vmcnt(59) lgkmcnt(2)
	v_mul_f32_e32 v117, v99, v167
	s_waitcnt vmcnt(58)
	;; [unrolled: 4-line block ×3, first 2 shown]
	v_fmac_f32_e32 v111, v88, v170
	s_waitcnt vmcnt(55)
	v_fmac_f32_e32 v112, v90, v171
	v_add_f32_e32 v111, 0, v111
	s_waitcnt vmcnt(54)
	v_fmac_f32_e32 v113, v92, v172
	v_add_f32_e32 v111, v111, v112
	;; [unrolled: 3-line block ×8, first 2 shown]
	s_waitcnt vmcnt(47)
	v_mul_f32_e32 v112, v105, v179
	v_add_f32_e32 v111, v111, v119
	s_waitcnt vmcnt(46)
	v_fmac_f32_e32 v112, v106, v180
	v_add_f32_e32 v111, v111, v112
	s_waitcnt vmcnt(45) lgkmcnt(0)
	v_mul_f32_e32 v112, v107, v181
	s_waitcnt vmcnt(44)
	v_fmac_f32_e32 v112, v108, v182
	v_add_f32_e32 v115, v111, v112
	ds_read2_b64 v[111:114], v86 offset0:59 offset1:60
	buffer_load_dword v227, off, s[0:3], 0 offset:296
	buffer_load_dword v228, off, s[0:3], 0 offset:300
	s_waitcnt vmcnt(43)
	v_mul_f32_e32 v116, v109, v185
	s_waitcnt vmcnt(42)
	v_fmac_f32_e32 v116, v110, v186
	v_add_f32_e32 v119, v115, v116
	ds_read2_b64 v[115:118], v86 offset0:61 offset1:62
	buffer_load_dword v229, off, s[0:3], 0 offset:308
	buffer_load_dword v230, off, s[0:3], 0 offset:304
	;; [unrolled: 1-line block ×8, first 2 shown]
	v_mul_f32_e32 v88, v88, v161
	v_fma_f32 v87, v87, v170, -v88
	v_mul_f32_e32 v88, v90, v162
	v_add_f32_e32 v87, 0, v87
	v_fma_f32 v88, v89, v171, -v88
	v_add_f32_e32 v87, v87, v88
	v_mul_f32_e32 v88, v92, v163
	v_fma_f32 v88, v91, v172, -v88
	v_add_f32_e32 v87, v87, v88
	v_mul_f32_e32 v88, v94, v164
	v_fma_f32 v88, v93, v173, -v88
	s_waitcnt vmcnt(48) lgkmcnt(1)
	v_mul_f32_e32 v120, v111, v188
	v_add_f32_e32 v87, v87, v88
	v_mul_f32_e32 v88, v96, v165
	v_fmac_f32_e32 v120, v112, v187
	v_fma_f32 v88, v95, v174, -v88
	v_add_f32_e32 v119, v119, v120
	s_waitcnt vmcnt(46)
	v_mul_f32_e32 v120, v113, v190
	v_add_f32_e32 v87, v87, v88
	v_mul_f32_e32 v88, v98, v166
	v_fmac_f32_e32 v120, v114, v189
	v_fma_f32 v88, v97, v175, -v88
	v_add_f32_e32 v119, v119, v120
	s_waitcnt vmcnt(44) lgkmcnt(0)
	v_mul_f32_e32 v120, v115, v192
	v_add_f32_e32 v87, v87, v88
	v_mul_f32_e32 v88, v100, v167
	v_fmac_f32_e32 v120, v116, v191
	v_fma_f32 v88, v99, v176, -v88
	v_add_f32_e32 v123, v119, v120
	ds_read2_b64 v[119:122], v86 offset0:63 offset1:64
	v_add_f32_e32 v87, v87, v88
	v_mul_f32_e32 v88, v102, v168
	v_fma_f32 v88, v101, v177, -v88
	s_waitcnt vmcnt(42)
	v_mul_f32_e32 v124, v117, v194
	v_add_f32_e32 v87, v87, v88
	v_mul_f32_e32 v88, v104, v169
	v_fmac_f32_e32 v124, v118, v193
	v_fma_f32 v88, v103, v178, -v88
	v_add_f32_e32 v127, v123, v124
	ds_read2_b64 v[123:126], v86 offset0:65 offset1:66
	v_add_f32_e32 v87, v87, v88
	v_mul_f32_e32 v88, v106, v179
	s_waitcnt vmcnt(40) lgkmcnt(1)
	v_mul_f32_e32 v128, v119, v196
	v_fma_f32 v88, v105, v180, -v88
	v_fmac_f32_e32 v128, v120, v195
	v_add_f32_e32 v87, v87, v88
	v_mul_f32_e32 v88, v108, v181
	v_add_f32_e32 v127, v127, v128
	s_waitcnt vmcnt(38)
	v_mul_f32_e32 v128, v121, v198
	v_fma_f32 v88, v107, v182, -v88
	v_fmac_f32_e32 v128, v122, v197
	v_add_f32_e32 v87, v87, v88
	v_mul_f32_e32 v88, v110, v185
	v_add_f32_e32 v127, v127, v128
	s_waitcnt vmcnt(36) lgkmcnt(0)
	v_mul_f32_e32 v128, v123, v200
	v_fma_f32 v88, v109, v186, -v88
	v_fmac_f32_e32 v128, v124, v199
	v_add_f32_e32 v87, v87, v88
	v_mul_f32_e32 v88, v112, v188
	v_add_f32_e32 v131, v127, v128
	ds_read2_b64 v[127:130], v86 offset0:67 offset1:68
	v_fma_f32 v88, v111, v187, -v88
	v_add_f32_e32 v87, v87, v88
	v_mul_f32_e32 v88, v114, v190
	s_waitcnt vmcnt(34)
	v_mul_f32_e32 v132, v125, v202
	v_fma_f32 v88, v113, v189, -v88
	v_fmac_f32_e32 v132, v126, v201
	v_add_f32_e32 v87, v87, v88
	v_mul_f32_e32 v88, v116, v192
	v_add_f32_e32 v135, v131, v132
	ds_read2_b64 v[131:134], v86 offset0:69 offset1:70
	v_fma_f32 v88, v115, v191, -v88
	s_waitcnt vmcnt(32) lgkmcnt(1)
	v_mul_f32_e32 v136, v127, v204
	v_add_f32_e32 v87, v87, v88
	v_mul_f32_e32 v88, v118, v194
	v_fmac_f32_e32 v136, v128, v203
	v_fma_f32 v88, v117, v193, -v88
	v_add_f32_e32 v135, v135, v136
	s_waitcnt vmcnt(30)
	v_mul_f32_e32 v136, v129, v206
	v_add_f32_e32 v87, v87, v88
	v_mul_f32_e32 v88, v120, v196
	v_fmac_f32_e32 v136, v130, v205
	v_fma_f32 v88, v119, v195, -v88
	v_add_f32_e32 v135, v135, v136
	s_waitcnt vmcnt(28) lgkmcnt(0)
	v_mul_f32_e32 v136, v131, v208
	v_add_f32_e32 v87, v87, v88
	v_mul_f32_e32 v88, v122, v198
	v_fmac_f32_e32 v136, v132, v207
	v_fma_f32 v88, v121, v197, -v88
	v_add_f32_e32 v139, v135, v136
	ds_read2_b64 v[135:138], v86 offset0:71 offset1:72
	v_add_f32_e32 v87, v87, v88
	v_mul_f32_e32 v88, v124, v200
	v_fma_f32 v88, v123, v199, -v88
	s_waitcnt vmcnt(26)
	v_mul_f32_e32 v140, v133, v210
	v_add_f32_e32 v87, v87, v88
	v_mul_f32_e32 v88, v126, v202
	v_fmac_f32_e32 v140, v134, v209
	v_fma_f32 v88, v125, v201, -v88
	v_add_f32_e32 v143, v139, v140
	ds_read2_b64 v[139:142], v86 offset0:73 offset1:74
	v_add_f32_e32 v87, v87, v88
	v_mul_f32_e32 v88, v128, v204
	s_waitcnt vmcnt(24) lgkmcnt(1)
	v_mul_f32_e32 v144, v135, v212
	v_fma_f32 v88, v127, v203, -v88
	v_fmac_f32_e32 v144, v136, v211
	v_add_f32_e32 v87, v87, v88
	v_mul_f32_e32 v88, v130, v206
	v_add_f32_e32 v143, v143, v144
	s_waitcnt vmcnt(23)
	v_mul_f32_e32 v144, v137, v213
	v_fma_f32 v88, v129, v205, -v88
	s_waitcnt vmcnt(22)
	v_fmac_f32_e32 v144, v138, v214
	v_add_f32_e32 v87, v87, v88
	v_mul_f32_e32 v88, v132, v208
	v_add_f32_e32 v143, v143, v144
	s_waitcnt vmcnt(20) lgkmcnt(0)
	v_mul_f32_e32 v144, v139, v216
	v_fma_f32 v88, v131, v207, -v88
	v_fmac_f32_e32 v144, v140, v215
	v_add_f32_e32 v87, v87, v88
	v_mul_f32_e32 v88, v134, v210
	v_add_f32_e32 v147, v143, v144
	ds_read2_b64 v[143:146], v86 offset0:75 offset1:76
	v_fma_f32 v88, v133, v209, -v88
	v_add_f32_e32 v87, v87, v88
	v_mul_f32_e32 v88, v136, v212
	s_waitcnt vmcnt(18)
	v_mul_f32_e32 v148, v141, v218
	v_fma_f32 v88, v135, v211, -v88
	v_fmac_f32_e32 v148, v142, v217
	v_add_f32_e32 v87, v87, v88
	v_mul_f32_e32 v88, v138, v213
	v_add_f32_e32 v151, v147, v148
	ds_read2_b64 v[147:150], v86 offset0:77 offset1:78
	v_fma_f32 v88, v137, v214, -v88
	s_waitcnt vmcnt(16) lgkmcnt(1)
	v_mul_f32_e32 v152, v143, v220
	v_add_f32_e32 v87, v87, v88
	v_mul_f32_e32 v88, v140, v216
	v_fmac_f32_e32 v152, v144, v219
	v_fma_f32 v88, v139, v215, -v88
	v_add_f32_e32 v151, v151, v152
	s_waitcnt vmcnt(15)
	v_mul_f32_e32 v152, v145, v221
	v_add_f32_e32 v87, v87, v88
	v_mul_f32_e32 v88, v142, v218
	s_waitcnt vmcnt(14)
	v_fmac_f32_e32 v152, v146, v222
	v_fma_f32 v88, v141, v217, -v88
	v_add_f32_e32 v151, v151, v152
	s_waitcnt vmcnt(12) lgkmcnt(0)
	v_mul_f32_e32 v152, v147, v224
	v_add_f32_e32 v87, v87, v88
	v_mul_f32_e32 v88, v144, v220
	v_fmac_f32_e32 v152, v148, v223
	v_fma_f32 v88, v143, v219, -v88
	v_add_f32_e32 v155, v151, v152
	ds_read2_b64 v[151:154], v86 offset0:79 offset1:80
	v_add_f32_e32 v87, v87, v88
	v_mul_f32_e32 v88, v146, v221
	v_fma_f32 v88, v145, v222, -v88
	v_add_f32_e32 v87, v87, v88
	v_mul_f32_e32 v88, v148, v224
	s_waitcnt vmcnt(10)
	v_mul_f32_e32 v156, v149, v226
	v_fma_f32 v88, v147, v223, -v88
	v_fmac_f32_e32 v156, v150, v225
	v_add_f32_e32 v87, v87, v88
	v_mul_f32_e32 v88, v150, v226
	v_add_f32_e32 v159, v155, v156
	ds_read2_b64 v[155:158], v86 offset0:81 offset1:82
	s_waitcnt vmcnt(8) lgkmcnt(1)
	v_mul_f32_e32 v160, v151, v228
	v_fma_f32 v88, v149, v225, -v88
	v_fmac_f32_e32 v160, v152, v227
	v_add_f32_e32 v87, v87, v88
	v_mul_f32_e32 v88, v152, v228
	v_add_f32_e32 v159, v159, v160
	s_waitcnt vmcnt(7)
	v_mul_f32_e32 v160, v153, v229
	v_fma_f32 v88, v151, v227, -v88
	s_waitcnt vmcnt(6)
	v_fmac_f32_e32 v160, v154, v230
	v_add_f32_e32 v87, v87, v88
	v_mul_f32_e32 v88, v154, v229
	v_add_f32_e32 v237, v159, v160
	ds_read_b64 v[159:160], v86 offset:664
	v_fma_f32 v88, v153, v230, -v88
	v_add_f32_e32 v87, v87, v88
	s_waitcnt vmcnt(4) lgkmcnt(1)
	v_mul_f32_e32 v88, v156, v232
	v_mul_f32_e32 v238, v155, v232
	v_fma_f32 v88, v155, v231, -v88
	v_fmac_f32_e32 v238, v156, v231
	v_add_f32_e32 v87, v87, v88
	s_waitcnt vmcnt(3)
	v_mul_f32_e32 v88, v158, v233
	v_add_f32_e32 v237, v237, v238
	v_mul_f32_e32 v238, v157, v233
	s_waitcnt vmcnt(2)
	v_fma_f32 v88, v157, v234, -v88
	v_fmac_f32_e32 v238, v158, v234
	v_add_f32_e32 v87, v87, v88
	s_waitcnt vmcnt(0) lgkmcnt(0)
	v_mul_f32_e32 v88, v160, v236
	v_add_f32_e32 v237, v237, v238
	v_mul_f32_e32 v238, v159, v236
	v_fma_f32 v88, v159, v235, -v88
	v_fmac_f32_e32 v238, v160, v235
	v_add_f32_e32 v87, v87, v88
	v_add_f32_e32 v237, v237, v238
	v_sub_f32_e32 v87, v183, v87
	v_sub_f32_e32 v88, v184, v237
	buffer_store_dword v87, off, s[0:3], 0 offset:32
	buffer_store_dword v88, off, s[0:3], 0 offset:36
	s_and_saveexec_b64 s[4:5], vcc
	s_cbranch_execz .LBB41_259
; %bb.258:
	buffer_load_dword v87, off, s[0:3], 0 offset:24
	buffer_load_dword v88, off, s[0:3], 0 offset:28
	s_waitcnt vmcnt(0)
	ds_write_b64 v85, v[87:88]
	buffer_store_dword v86, off, s[0:3], 0 offset:24
	buffer_store_dword v86, off, s[0:3], 0 offset:28
.LBB41_259:
	s_or_b64 exec, exec, s[4:5]
	s_waitcnt lgkmcnt(0)
	; wave barrier
	buffer_load_dword v163, off, s[0:3], 0 offset:36
	buffer_load_dword v164, off, s[0:3], 0 offset:44
	;; [unrolled: 1-line block ×26, first 2 shown]
	ds_read_b128 v[87:90], v86 offset:368
	ds_read_b128 v[91:94], v86 offset:384
	;; [unrolled: 1-line block ×4, first 2 shown]
	buffer_load_dword v189, off, s[0:3], 0 offset:132
	ds_read_b128 v[103:106], v86 offset:432
	ds_read_b128 v[107:110], v86 offset:448
	buffer_load_dword v190, off, s[0:3], 0 offset:128
	buffer_load_dword v191, off, s[0:3], 0 offset:136
	;; [unrolled: 1-line block ×37, first 2 shown]
	v_cmp_lt_u32_e32 vcc, 2, v0
	s_waitcnt vmcnt(62) lgkmcnt(5)
	v_mul_f32_e32 v111, v87, v163
	v_mul_f32_e32 v112, v89, v164
	s_waitcnt vmcnt(61) lgkmcnt(4)
	v_mul_f32_e32 v113, v91, v165
	s_waitcnt vmcnt(60)
	v_mul_f32_e32 v114, v93, v166
	s_waitcnt vmcnt(59) lgkmcnt(3)
	v_mul_f32_e32 v115, v95, v167
	s_waitcnt vmcnt(58)
	;; [unrolled: 4-line block ×4, first 2 shown]
	v_mul_f32_e32 v120, v105, v172
	s_waitcnt vmcnt(53)
	v_fmac_f32_e32 v111, v88, v173
	s_waitcnt vmcnt(52)
	v_fmac_f32_e32 v112, v90, v174
	v_add_f32_e32 v111, 0, v111
	s_waitcnt vmcnt(51)
	v_fmac_f32_e32 v113, v92, v175
	v_add_f32_e32 v111, v111, v112
	;; [unrolled: 3-line block ×9, first 2 shown]
	s_waitcnt vmcnt(43) lgkmcnt(0)
	v_mul_f32_e32 v112, v107, v183
	v_add_f32_e32 v111, v111, v120
	s_waitcnt vmcnt(42)
	v_fmac_f32_e32 v112, v108, v184
	v_add_f32_e32 v115, v111, v112
	s_waitcnt vmcnt(41)
	v_mul_f32_e32 v116, v109, v185
	ds_read_b128 v[111:114], v86 offset:464
	buffer_load_dword v227, off, s[0:3], 0 offset:280
	buffer_load_dword v228, off, s[0:3], 0 offset:284
	s_waitcnt vmcnt(42)
	v_fmac_f32_e32 v116, v110, v186
	v_add_f32_e32 v119, v115, v116
	ds_read_b128 v[115:118], v86 offset:480
	buffer_load_dword v229, off, s[0:3], 0 offset:288
	buffer_load_dword v230, off, s[0:3], 0 offset:292
	;; [unrolled: 1-line block ×12, first 2 shown]
	v_mul_f32_e32 v88, v88, v163
	v_fma_f32 v87, v87, v173, -v88
	v_mul_f32_e32 v88, v90, v164
	v_add_f32_e32 v87, 0, v87
	v_fma_f32 v88, v89, v174, -v88
	v_add_f32_e32 v87, v87, v88
	v_mul_f32_e32 v88, v92, v165
	v_fma_f32 v88, v91, v175, -v88
	v_add_f32_e32 v87, v87, v88
	v_mul_f32_e32 v88, v94, v166
	v_fma_f32 v88, v93, v176, -v88
	s_waitcnt vmcnt(51) lgkmcnt(1)
	v_mul_f32_e32 v120, v111, v189
	v_add_f32_e32 v87, v87, v88
	v_mul_f32_e32 v88, v96, v167
	s_waitcnt vmcnt(50)
	v_fmac_f32_e32 v120, v112, v190
	v_fma_f32 v88, v95, v177, -v88
	v_add_f32_e32 v119, v119, v120
	s_waitcnt vmcnt(48)
	v_mul_f32_e32 v120, v113, v192
	v_add_f32_e32 v87, v87, v88
	v_mul_f32_e32 v88, v98, v168
	v_fmac_f32_e32 v120, v114, v191
	v_fma_f32 v88, v97, v178, -v88
	v_add_f32_e32 v119, v119, v120
	s_waitcnt vmcnt(46) lgkmcnt(0)
	v_mul_f32_e32 v120, v115, v194
	v_add_f32_e32 v87, v87, v88
	v_mul_f32_e32 v88, v100, v169
	v_fmac_f32_e32 v120, v116, v193
	v_fma_f32 v88, v99, v179, -v88
	v_add_f32_e32 v123, v119, v120
	ds_read_b128 v[119:122], v86 offset:496
	v_add_f32_e32 v87, v87, v88
	v_mul_f32_e32 v88, v102, v170
	v_fma_f32 v88, v101, v180, -v88
	s_waitcnt vmcnt(44)
	v_mul_f32_e32 v124, v117, v196
	v_add_f32_e32 v87, v87, v88
	v_mul_f32_e32 v88, v104, v171
	v_fmac_f32_e32 v124, v118, v195
	v_fma_f32 v88, v103, v181, -v88
	v_add_f32_e32 v127, v123, v124
	ds_read_b128 v[123:126], v86 offset:512
	v_add_f32_e32 v87, v87, v88
	v_mul_f32_e32 v88, v106, v172
	s_waitcnt vmcnt(42) lgkmcnt(1)
	v_mul_f32_e32 v128, v119, v198
	v_fma_f32 v88, v105, v182, -v88
	v_fmac_f32_e32 v128, v120, v197
	v_add_f32_e32 v87, v87, v88
	v_mul_f32_e32 v88, v108, v183
	v_add_f32_e32 v127, v127, v128
	s_waitcnt vmcnt(40)
	v_mul_f32_e32 v128, v121, v200
	v_fma_f32 v88, v107, v184, -v88
	v_fmac_f32_e32 v128, v122, v199
	v_add_f32_e32 v87, v87, v88
	v_mul_f32_e32 v88, v110, v185
	v_add_f32_e32 v127, v127, v128
	s_waitcnt vmcnt(38) lgkmcnt(0)
	v_mul_f32_e32 v128, v123, v202
	v_fma_f32 v88, v109, v186, -v88
	v_fmac_f32_e32 v128, v124, v201
	v_add_f32_e32 v87, v87, v88
	v_mul_f32_e32 v88, v112, v189
	v_add_f32_e32 v131, v127, v128
	ds_read_b128 v[127:130], v86 offset:528
	v_fma_f32 v88, v111, v190, -v88
	v_add_f32_e32 v87, v87, v88
	v_mul_f32_e32 v88, v114, v192
	s_waitcnt vmcnt(36)
	v_mul_f32_e32 v132, v125, v204
	v_fma_f32 v88, v113, v191, -v88
	v_fmac_f32_e32 v132, v126, v203
	v_add_f32_e32 v87, v87, v88
	v_mul_f32_e32 v88, v116, v194
	v_add_f32_e32 v135, v131, v132
	ds_read_b128 v[131:134], v86 offset:544
	v_fma_f32 v88, v115, v193, -v88
	s_waitcnt vmcnt(34) lgkmcnt(1)
	v_mul_f32_e32 v136, v127, v206
	v_add_f32_e32 v87, v87, v88
	v_mul_f32_e32 v88, v118, v196
	v_fmac_f32_e32 v136, v128, v205
	v_fma_f32 v88, v117, v195, -v88
	v_add_f32_e32 v135, v135, v136
	s_waitcnt vmcnt(32)
	v_mul_f32_e32 v136, v129, v208
	v_add_f32_e32 v87, v87, v88
	v_mul_f32_e32 v88, v120, v198
	v_fmac_f32_e32 v136, v130, v207
	v_fma_f32 v88, v119, v197, -v88
	v_add_f32_e32 v135, v135, v136
	s_waitcnt vmcnt(30) lgkmcnt(0)
	v_mul_f32_e32 v136, v131, v210
	v_add_f32_e32 v87, v87, v88
	v_mul_f32_e32 v88, v122, v200
	v_fmac_f32_e32 v136, v132, v209
	v_fma_f32 v88, v121, v199, -v88
	v_add_f32_e32 v139, v135, v136
	ds_read_b128 v[135:138], v86 offset:560
	v_add_f32_e32 v87, v87, v88
	v_mul_f32_e32 v88, v124, v202
	v_fma_f32 v88, v123, v201, -v88
	s_waitcnt vmcnt(28)
	v_mul_f32_e32 v140, v133, v212
	v_add_f32_e32 v87, v87, v88
	v_mul_f32_e32 v88, v126, v204
	v_fmac_f32_e32 v140, v134, v211
	v_fma_f32 v88, v125, v203, -v88
	v_add_f32_e32 v143, v139, v140
	ds_read_b128 v[139:142], v86 offset:576
	v_add_f32_e32 v87, v87, v88
	v_mul_f32_e32 v88, v128, v206
	s_waitcnt vmcnt(26) lgkmcnt(1)
	v_mul_f32_e32 v144, v135, v214
	v_fma_f32 v88, v127, v205, -v88
	v_fmac_f32_e32 v144, v136, v213
	v_add_f32_e32 v87, v87, v88
	v_mul_f32_e32 v88, v130, v208
	v_add_f32_e32 v143, v143, v144
	s_waitcnt vmcnt(25)
	v_mul_f32_e32 v144, v137, v215
	v_fma_f32 v88, v129, v207, -v88
	s_waitcnt vmcnt(24)
	v_fmac_f32_e32 v144, v138, v216
	v_add_f32_e32 v87, v87, v88
	v_mul_f32_e32 v88, v132, v210
	v_add_f32_e32 v143, v143, v144
	s_waitcnt vmcnt(22) lgkmcnt(0)
	v_mul_f32_e32 v144, v139, v218
	v_fma_f32 v88, v131, v209, -v88
	v_fmac_f32_e32 v144, v140, v217
	v_add_f32_e32 v87, v87, v88
	v_mul_f32_e32 v88, v134, v212
	v_add_f32_e32 v147, v143, v144
	ds_read_b128 v[143:146], v86 offset:592
	v_fma_f32 v88, v133, v211, -v88
	v_add_f32_e32 v87, v87, v88
	v_mul_f32_e32 v88, v136, v214
	s_waitcnt vmcnt(20)
	v_mul_f32_e32 v148, v141, v220
	v_fma_f32 v88, v135, v213, -v88
	v_fmac_f32_e32 v148, v142, v219
	v_add_f32_e32 v87, v87, v88
	v_mul_f32_e32 v88, v138, v215
	v_add_f32_e32 v151, v147, v148
	ds_read_b128 v[147:150], v86 offset:608
	v_fma_f32 v88, v137, v216, -v88
	s_waitcnt vmcnt(18) lgkmcnt(1)
	v_mul_f32_e32 v152, v143, v222
	v_add_f32_e32 v87, v87, v88
	v_mul_f32_e32 v88, v140, v218
	v_fmac_f32_e32 v152, v144, v221
	v_fma_f32 v88, v139, v217, -v88
	v_add_f32_e32 v151, v151, v152
	s_waitcnt vmcnt(17)
	v_mul_f32_e32 v152, v145, v223
	v_add_f32_e32 v87, v87, v88
	v_mul_f32_e32 v88, v142, v220
	s_waitcnt vmcnt(16)
	v_fmac_f32_e32 v152, v146, v224
	v_fma_f32 v88, v141, v219, -v88
	v_add_f32_e32 v151, v151, v152
	s_waitcnt vmcnt(14) lgkmcnt(0)
	v_mul_f32_e32 v152, v147, v226
	v_add_f32_e32 v87, v87, v88
	v_mul_f32_e32 v88, v144, v222
	v_fmac_f32_e32 v152, v148, v225
	v_fma_f32 v88, v143, v221, -v88
	v_add_f32_e32 v155, v151, v152
	ds_read_b128 v[151:154], v86 offset:624
	v_add_f32_e32 v87, v87, v88
	v_mul_f32_e32 v88, v146, v223
	v_fma_f32 v88, v145, v224, -v88
	v_add_f32_e32 v87, v87, v88
	v_mul_f32_e32 v88, v148, v226
	s_waitcnt vmcnt(12)
	v_mul_f32_e32 v156, v149, v228
	v_fma_f32 v88, v147, v225, -v88
	v_fmac_f32_e32 v156, v150, v227
	v_add_f32_e32 v87, v87, v88
	v_mul_f32_e32 v88, v150, v228
	v_add_f32_e32 v159, v155, v156
	ds_read_b128 v[155:158], v86 offset:640
	s_waitcnt vmcnt(10) lgkmcnt(1)
	v_mul_f32_e32 v160, v151, v230
	v_fma_f32 v88, v149, v227, -v88
	v_fmac_f32_e32 v160, v152, v229
	v_add_f32_e32 v87, v87, v88
	v_mul_f32_e32 v88, v152, v230
	v_add_f32_e32 v159, v159, v160
	s_waitcnt vmcnt(9)
	v_mul_f32_e32 v160, v153, v231
	v_fma_f32 v88, v151, v229, -v88
	s_waitcnt vmcnt(8)
	v_fmac_f32_e32 v160, v154, v232
	v_add_f32_e32 v87, v87, v88
	v_mul_f32_e32 v88, v154, v231
	v_add_f32_e32 v241, v159, v160
	ds_read_b128 v[159:162], v86 offset:656
	v_fma_f32 v88, v153, v232, -v88
	v_add_f32_e32 v87, v87, v88
	s_waitcnt vmcnt(6) lgkmcnt(1)
	v_mul_f32_e32 v88, v156, v234
	v_mul_f32_e32 v242, v155, v234
	v_fma_f32 v88, v155, v233, -v88
	v_fmac_f32_e32 v242, v156, v233
	v_add_f32_e32 v87, v87, v88
	s_waitcnt vmcnt(4)
	v_mul_f32_e32 v88, v158, v236
	v_add_f32_e32 v86, v241, v242
	v_mul_f32_e32 v241, v157, v236
	v_fma_f32 v88, v157, v235, -v88
	v_fmac_f32_e32 v241, v158, v235
	v_add_f32_e32 v87, v87, v88
	s_waitcnt vmcnt(3) lgkmcnt(0)
	v_mul_f32_e32 v88, v160, v237
	v_add_f32_e32 v86, v86, v241
	v_mul_f32_e32 v241, v159, v237
	s_waitcnt vmcnt(2)
	v_fma_f32 v88, v159, v238, -v88
	v_fmac_f32_e32 v241, v160, v238
	v_add_f32_e32 v87, v87, v88
	s_waitcnt vmcnt(0)
	v_mul_f32_e32 v88, v162, v240
	v_add_f32_e32 v86, v86, v241
	v_mul_f32_e32 v241, v161, v240
	v_fma_f32 v88, v161, v239, -v88
	v_fmac_f32_e32 v241, v162, v239
	v_add_f32_e32 v87, v87, v88
	v_add_f32_e32 v86, v86, v241
	v_sub_f32_e32 v87, v187, v87
	v_sub_f32_e32 v86, v188, v86
	buffer_store_dword v87, off, s[0:3], 0 offset:24
	buffer_store_dword v86, off, s[0:3], 0 offset:28
	s_and_saveexec_b64 s[4:5], vcc
	s_cbranch_execz .LBB41_261
; %bb.260:
	buffer_load_dword v86, off, s[0:3], 0 offset:16
	buffer_load_dword v87, off, s[0:3], 0 offset:20
	v_mov_b32_e32 v88, 0
	buffer_store_dword v88, off, s[0:3], 0 offset:16
	buffer_store_dword v88, off, s[0:3], 0 offset:20
	s_waitcnt vmcnt(2)
	ds_write_b64 v85, v[86:87]
.LBB41_261:
	s_or_b64 exec, exec, s[4:5]
	s_waitcnt lgkmcnt(0)
	; wave barrier
	buffer_load_dword v165, off, s[0:3], 0 offset:28
	buffer_load_dword v166, off, s[0:3], 0 offset:36
	;; [unrolled: 1-line block ×52, first 2 shown]
	v_mov_b32_e32 v86, 0
	ds_read2_b64 v[87:90], v86 offset0:45 offset1:46
	ds_read2_b64 v[91:94], v86 offset0:47 offset1:48
	ds_read2_b64 v[95:98], v86 offset0:49 offset1:50
	ds_read2_b64 v[99:102], v86 offset0:51 offset1:52
	ds_read2_b64 v[103:106], v86 offset0:53 offset1:54
	ds_read2_b64 v[107:110], v86 offset0:55 offset1:56
	buffer_load_dword v217, off, s[0:3], 0 offset:228
	buffer_load_dword v218, off, s[0:3], 0 offset:224
	;; [unrolled: 1-line block ×8, first 2 shown]
	v_cmp_lt_u32_e32 vcc, 1, v0
	s_waitcnt vmcnt(59) lgkmcnt(5)
	v_mul_f32_e32 v111, v87, v165
	s_waitcnt vmcnt(58)
	v_mul_f32_e32 v112, v89, v166
	s_waitcnt vmcnt(57) lgkmcnt(4)
	v_mul_f32_e32 v113, v91, v167
	s_waitcnt vmcnt(56)
	v_mul_f32_e32 v114, v93, v168
	;; [unrolled: 4-line block ×5, first 2 shown]
	s_waitcnt vmcnt(49) lgkmcnt(0)
	v_mul_f32_e32 v121, v107, v175
	s_waitcnt vmcnt(48)
	v_fmac_f32_e32 v111, v88, v176
	s_waitcnt vmcnt(47)
	v_fmac_f32_e32 v112, v90, v177
	v_add_f32_e32 v111, 0, v111
	s_waitcnt vmcnt(46)
	v_fmac_f32_e32 v113, v92, v178
	v_add_f32_e32 v111, v111, v112
	;; [unrolled: 3-line block ×9, first 2 shown]
	v_add_f32_e32 v111, v111, v120
	s_waitcnt vmcnt(38)
	v_fmac_f32_e32 v121, v108, v186
	s_waitcnt vmcnt(37)
	v_mul_f32_e32 v112, v109, v187
	v_add_f32_e32 v111, v111, v121
	s_waitcnt vmcnt(36)
	v_fmac_f32_e32 v112, v110, v188
	v_add_f32_e32 v119, v111, v112
	ds_read2_b64 v[111:114], v86 offset0:57 offset1:58
	buffer_load_dword v225, off, s[0:3], 0 offset:260
	buffer_load_dword v226, off, s[0:3], 0 offset:256
	;; [unrolled: 1-line block ×4, first 2 shown]
	ds_read2_b64 v[115:118], v86 offset0:59 offset1:60
	buffer_load_dword v229, off, s[0:3], 0 offset:272
	buffer_load_dword v230, off, s[0:3], 0 offset:276
	;; [unrolled: 1-line block ×10, first 2 shown]
	s_waitcnt vmcnt(46) lgkmcnt(1)
	v_mul_f32_e32 v120, v111, v192
	v_fmac_f32_e32 v120, v112, v191
	v_add_f32_e32 v119, v119, v120
	s_waitcnt vmcnt(44)
	v_mul_f32_e32 v120, v113, v194
	buffer_load_dword v239, off, s[0:3], 0 offset:312
	buffer_load_dword v240, off, s[0:3], 0 offset:316
	v_fmac_f32_e32 v120, v114, v193
	v_add_f32_e32 v119, v119, v120
	s_waitcnt vmcnt(44) lgkmcnt(0)
	v_mul_f32_e32 v120, v115, v196
	v_fmac_f32_e32 v120, v116, v195
	v_add_f32_e32 v123, v119, v120
	ds_read2_b64 v[119:122], v86 offset0:61 offset1:62
	buffer_load_dword v241, off, s[0:3], 0 offset:324
	buffer_load_dword v242, off, s[0:3], 0 offset:320
	;; [unrolled: 1-line block ×4, first 2 shown]
	v_mul_f32_e32 v88, v88, v165
	v_fma_f32 v87, v87, v176, -v88
	v_mul_f32_e32 v88, v90, v166
	v_add_f32_e32 v87, 0, v87
	v_fma_f32 v88, v89, v177, -v88
	v_add_f32_e32 v87, v87, v88
	v_mul_f32_e32 v88, v92, v167
	v_fma_f32 v88, v91, v178, -v88
	v_add_f32_e32 v87, v87, v88
	v_mul_f32_e32 v88, v94, v168
	;; [unrolled: 3-line block ×5, first 2 shown]
	v_fma_f32 v88, v99, v182, -v88
	s_waitcnt vmcnt(46)
	v_mul_f32_e32 v124, v117, v198
	v_add_f32_e32 v87, v87, v88
	v_mul_f32_e32 v88, v102, v172
	v_fmac_f32_e32 v124, v118, v197
	v_fma_f32 v88, v101, v183, -v88
	v_add_f32_e32 v127, v123, v124
	ds_read2_b64 v[123:126], v86 offset0:63 offset1:64
	v_add_f32_e32 v87, v87, v88
	v_mul_f32_e32 v88, v104, v173
	s_waitcnt vmcnt(44) lgkmcnt(1)
	v_mul_f32_e32 v128, v119, v200
	v_fma_f32 v88, v103, v184, -v88
	v_fmac_f32_e32 v128, v120, v199
	v_add_f32_e32 v87, v87, v88
	v_mul_f32_e32 v88, v106, v174
	v_add_f32_e32 v127, v127, v128
	s_waitcnt vmcnt(42)
	v_mul_f32_e32 v128, v121, v202
	v_fma_f32 v88, v105, v185, -v88
	v_fmac_f32_e32 v128, v122, v201
	v_add_f32_e32 v87, v87, v88
	v_mul_f32_e32 v88, v108, v175
	v_add_f32_e32 v127, v127, v128
	s_waitcnt vmcnt(40) lgkmcnt(0)
	v_mul_f32_e32 v128, v123, v204
	v_fma_f32 v88, v107, v186, -v88
	v_fmac_f32_e32 v128, v124, v203
	v_add_f32_e32 v87, v87, v88
	v_mul_f32_e32 v88, v110, v187
	v_add_f32_e32 v131, v127, v128
	ds_read2_b64 v[127:130], v86 offset0:65 offset1:66
	v_fma_f32 v88, v109, v188, -v88
	v_add_f32_e32 v87, v87, v88
	v_mul_f32_e32 v88, v112, v192
	s_waitcnt vmcnt(38)
	v_mul_f32_e32 v132, v125, v206
	v_fma_f32 v88, v111, v191, -v88
	v_fmac_f32_e32 v132, v126, v205
	v_add_f32_e32 v87, v87, v88
	v_mul_f32_e32 v88, v114, v194
	v_add_f32_e32 v135, v131, v132
	ds_read2_b64 v[131:134], v86 offset0:67 offset1:68
	v_fma_f32 v88, v113, v193, -v88
	s_waitcnt vmcnt(36) lgkmcnt(1)
	v_mul_f32_e32 v136, v127, v208
	v_add_f32_e32 v87, v87, v88
	v_mul_f32_e32 v88, v116, v196
	v_fmac_f32_e32 v136, v128, v207
	v_fma_f32 v88, v115, v195, -v88
	v_add_f32_e32 v135, v135, v136
	s_waitcnt vmcnt(34)
	v_mul_f32_e32 v136, v129, v210
	v_add_f32_e32 v87, v87, v88
	v_mul_f32_e32 v88, v118, v198
	v_fmac_f32_e32 v136, v130, v209
	v_fma_f32 v88, v117, v197, -v88
	v_add_f32_e32 v135, v135, v136
	s_waitcnt vmcnt(32) lgkmcnt(0)
	v_mul_f32_e32 v136, v131, v212
	v_add_f32_e32 v87, v87, v88
	v_mul_f32_e32 v88, v120, v200
	v_fmac_f32_e32 v136, v132, v211
	v_fma_f32 v88, v119, v199, -v88
	v_add_f32_e32 v139, v135, v136
	ds_read2_b64 v[135:138], v86 offset0:69 offset1:70
	v_add_f32_e32 v87, v87, v88
	v_mul_f32_e32 v88, v122, v202
	v_fma_f32 v88, v121, v201, -v88
	s_waitcnt vmcnt(30)
	v_mul_f32_e32 v140, v133, v214
	v_add_f32_e32 v87, v87, v88
	v_mul_f32_e32 v88, v124, v204
	v_fmac_f32_e32 v140, v134, v213
	v_fma_f32 v88, v123, v203, -v88
	v_add_f32_e32 v143, v139, v140
	ds_read2_b64 v[139:142], v86 offset0:71 offset1:72
	v_add_f32_e32 v87, v87, v88
	v_mul_f32_e32 v88, v126, v206
	s_waitcnt vmcnt(28) lgkmcnt(1)
	v_mul_f32_e32 v144, v135, v216
	v_fma_f32 v88, v125, v205, -v88
	v_fmac_f32_e32 v144, v136, v215
	v_add_f32_e32 v87, v87, v88
	v_mul_f32_e32 v88, v128, v208
	v_add_f32_e32 v143, v143, v144
	s_waitcnt vmcnt(27)
	v_mul_f32_e32 v144, v137, v217
	v_fma_f32 v88, v127, v207, -v88
	s_waitcnt vmcnt(26)
	v_fmac_f32_e32 v144, v138, v218
	v_add_f32_e32 v87, v87, v88
	v_mul_f32_e32 v88, v130, v210
	v_add_f32_e32 v143, v143, v144
	s_waitcnt vmcnt(24) lgkmcnt(0)
	v_mul_f32_e32 v144, v139, v220
	v_fma_f32 v88, v129, v209, -v88
	v_fmac_f32_e32 v144, v140, v219
	v_add_f32_e32 v87, v87, v88
	v_mul_f32_e32 v88, v132, v212
	v_add_f32_e32 v147, v143, v144
	ds_read2_b64 v[143:146], v86 offset0:73 offset1:74
	v_fma_f32 v88, v131, v211, -v88
	v_add_f32_e32 v87, v87, v88
	v_mul_f32_e32 v88, v134, v214
	s_waitcnt vmcnt(22)
	v_mul_f32_e32 v148, v141, v222
	v_fma_f32 v88, v133, v213, -v88
	v_fmac_f32_e32 v148, v142, v221
	v_add_f32_e32 v87, v87, v88
	v_mul_f32_e32 v88, v136, v216
	v_add_f32_e32 v151, v147, v148
	ds_read2_b64 v[147:150], v86 offset0:75 offset1:76
	v_fma_f32 v88, v135, v215, -v88
	s_waitcnt vmcnt(20) lgkmcnt(1)
	v_mul_f32_e32 v152, v143, v224
	v_add_f32_e32 v87, v87, v88
	v_mul_f32_e32 v88, v138, v217
	v_fmac_f32_e32 v152, v144, v223
	v_fma_f32 v88, v137, v218, -v88
	v_add_f32_e32 v151, v151, v152
	s_waitcnt vmcnt(19)
	v_mul_f32_e32 v152, v145, v225
	v_add_f32_e32 v87, v87, v88
	v_mul_f32_e32 v88, v140, v220
	s_waitcnt vmcnt(18)
	v_fmac_f32_e32 v152, v146, v226
	v_fma_f32 v88, v139, v219, -v88
	v_add_f32_e32 v151, v151, v152
	s_waitcnt vmcnt(16) lgkmcnt(0)
	v_mul_f32_e32 v152, v147, v228
	v_add_f32_e32 v87, v87, v88
	v_mul_f32_e32 v88, v142, v222
	v_fmac_f32_e32 v152, v148, v227
	v_fma_f32 v88, v141, v221, -v88
	v_add_f32_e32 v155, v151, v152
	ds_read2_b64 v[151:154], v86 offset0:77 offset1:78
	v_add_f32_e32 v87, v87, v88
	v_mul_f32_e32 v88, v144, v224
	v_fma_f32 v88, v143, v223, -v88
	s_waitcnt vmcnt(14)
	v_mul_f32_e32 v156, v149, v230
	v_add_f32_e32 v87, v87, v88
	v_mul_f32_e32 v88, v146, v225
	v_fmac_f32_e32 v156, v150, v229
	v_fma_f32 v88, v145, v226, -v88
	v_add_f32_e32 v159, v155, v156
	ds_read2_b64 v[155:158], v86 offset0:79 offset1:80
	v_add_f32_e32 v87, v87, v88
	v_mul_f32_e32 v88, v148, v228
	s_waitcnt vmcnt(12) lgkmcnt(1)
	v_mul_f32_e32 v160, v151, v232
	v_fma_f32 v88, v147, v227, -v88
	v_fmac_f32_e32 v160, v152, v231
	v_add_f32_e32 v87, v87, v88
	v_mul_f32_e32 v88, v150, v230
	v_add_f32_e32 v159, v159, v160
	s_waitcnt vmcnt(11)
	v_mul_f32_e32 v160, v153, v233
	v_fma_f32 v88, v149, v229, -v88
	s_waitcnt vmcnt(10)
	v_fmac_f32_e32 v160, v154, v234
	v_add_f32_e32 v87, v87, v88
	v_mul_f32_e32 v88, v152, v232
	v_add_f32_e32 v159, v159, v160
	s_waitcnt vmcnt(8) lgkmcnt(0)
	v_mul_f32_e32 v160, v155, v236
	v_fma_f32 v88, v151, v231, -v88
	v_fmac_f32_e32 v160, v156, v235
	v_add_f32_e32 v87, v87, v88
	v_mul_f32_e32 v88, v154, v233
	v_add_f32_e32 v163, v159, v160
	ds_read2_b64 v[159:162], v86 offset0:81 offset1:82
	v_fma_f32 v88, v153, v234, -v88
	v_add_f32_e32 v87, v87, v88
	v_mul_f32_e32 v88, v156, v236
	s_waitcnt vmcnt(6)
	v_mul_f32_e32 v164, v157, v238
	v_fma_f32 v88, v155, v235, -v88
	v_fmac_f32_e32 v164, v158, v237
	v_add_f32_e32 v87, v87, v88
	v_mul_f32_e32 v88, v158, v238
	v_add_f32_e32 v245, v163, v164
	ds_read_b64 v[163:164], v86 offset:664
	v_fma_f32 v88, v157, v237, -v88
	v_add_f32_e32 v87, v87, v88
	s_waitcnt vmcnt(4) lgkmcnt(1)
	v_mul_f32_e32 v88, v160, v240
	v_mul_f32_e32 v246, v159, v240
	v_fma_f32 v88, v159, v239, -v88
	v_fmac_f32_e32 v246, v160, v239
	v_add_f32_e32 v87, v87, v88
	s_waitcnt vmcnt(3)
	v_mul_f32_e32 v88, v162, v241
	v_add_f32_e32 v245, v245, v246
	v_mul_f32_e32 v246, v161, v241
	s_waitcnt vmcnt(2)
	v_fma_f32 v88, v161, v242, -v88
	v_fmac_f32_e32 v246, v162, v242
	v_add_f32_e32 v87, v87, v88
	s_waitcnt vmcnt(0) lgkmcnt(0)
	v_mul_f32_e32 v88, v164, v244
	v_add_f32_e32 v245, v245, v246
	v_mul_f32_e32 v246, v163, v244
	v_fma_f32 v88, v163, v243, -v88
	v_fmac_f32_e32 v246, v164, v243
	v_add_f32_e32 v87, v87, v88
	v_add_f32_e32 v245, v245, v246
	v_sub_f32_e32 v87, v189, v87
	v_sub_f32_e32 v88, v190, v245
	buffer_store_dword v87, off, s[0:3], 0 offset:16
	buffer_store_dword v88, off, s[0:3], 0 offset:20
	s_and_saveexec_b64 s[4:5], vcc
	s_cbranch_execz .LBB41_263
; %bb.262:
	buffer_load_dword v87, off, s[0:3], 0 offset:8
	buffer_load_dword v88, off, s[0:3], 0 offset:12
	s_waitcnt vmcnt(0)
	ds_write_b64 v85, v[87:88]
	buffer_store_dword v86, off, s[0:3], 0 offset:8
	buffer_store_dword v86, off, s[0:3], 0 offset:12
.LBB41_263:
	s_or_b64 exec, exec, s[4:5]
	s_waitcnt lgkmcnt(0)
	; wave barrier
	buffer_load_dword v167, off, s[0:3], 0 offset:20
	buffer_load_dword v168, off, s[0:3], 0 offset:28
	;; [unrolled: 1-line block ×28, first 2 shown]
	ds_read_b128 v[87:90], v86 offset:352
	ds_read_b128 v[91:94], v86 offset:368
	;; [unrolled: 1-line block ×4, first 2 shown]
	buffer_load_dword v195, off, s[0:3], 0 offset:120
	buffer_load_dword v196, off, s[0:3], 0 offset:124
	ds_read_b128 v[103:106], v86 offset:416
	ds_read_b128 v[107:110], v86 offset:432
	buffer_load_dword v197, off, s[0:3], 0 offset:128
	buffer_load_dword v198, off, s[0:3], 0 offset:132
	;; [unrolled: 1-line block ×28, first 2 shown]
	v_cmp_ne_u32_e32 vcc, 0, v0
	s_waitcnt vmcnt(57) lgkmcnt(5)
	v_mul_f32_e32 v111, v87, v167
	s_waitcnt vmcnt(56)
	v_mul_f32_e32 v112, v89, v168
	s_waitcnt vmcnt(55) lgkmcnt(4)
	v_mul_f32_e32 v113, v91, v169
	s_waitcnt vmcnt(54)
	v_mul_f32_e32 v114, v93, v170
	;; [unrolled: 4-line block ×5, first 2 shown]
	s_waitcnt vmcnt(47) lgkmcnt(0)
	v_mul_f32_e32 v121, v107, v177
	s_waitcnt vmcnt(46)
	v_fmac_f32_e32 v111, v88, v178
	s_waitcnt vmcnt(45)
	v_fmac_f32_e32 v112, v90, v179
	v_add_f32_e32 v111, 0, v111
	s_waitcnt vmcnt(44)
	v_fmac_f32_e32 v113, v92, v180
	v_add_f32_e32 v111, v111, v112
	;; [unrolled: 3-line block ×10, first 2 shown]
	v_add_f32_e32 v115, v111, v121
	ds_read_b128 v[111:114], v86 offset:448
	buffer_load_dword v225, off, s[0:3], 0 offset:240
	buffer_load_dword v226, off, s[0:3], 0 offset:244
	s_waitcnt vmcnt(37)
	v_mul_f32_e32 v116, v109, v189
	s_waitcnt vmcnt(36)
	v_fmac_f32_e32 v116, v110, v190
	v_add_f32_e32 v119, v115, v116
	ds_read_b128 v[115:118], v86 offset:464
	buffer_load_dword v227, off, s[0:3], 0 offset:252
	buffer_load_dword v228, off, s[0:3], 0 offset:248
	;; [unrolled: 1-line block ×12, first 2 shown]
	s_waitcnt vmcnt(47) lgkmcnt(1)
	v_mul_f32_e32 v120, v111, v191
	s_waitcnt vmcnt(44)
	v_fmac_f32_e32 v120, v112, v194
	buffer_load_dword v239, off, s[0:3], 0 offset:296
	buffer_load_dword v240, off, s[0:3], 0 offset:300
	v_add_f32_e32 v119, v119, v120
	s_waitcnt vmcnt(44)
	v_mul_f32_e32 v120, v113, v196
	v_fmac_f32_e32 v120, v114, v195
	v_add_f32_e32 v119, v119, v120
	s_waitcnt vmcnt(42) lgkmcnt(0)
	v_mul_f32_e32 v120, v115, v198
	buffer_load_dword v241, off, s[0:3], 0 offset:304
	buffer_load_dword v242, off, s[0:3], 0 offset:308
	v_fmac_f32_e32 v120, v116, v197
	v_add_f32_e32 v119, v119, v120
	s_waitcnt vmcnt(42)
	v_mul_f32_e32 v120, v117, v200
	v_fmac_f32_e32 v120, v118, v199
	v_add_f32_e32 v127, v119, v120
	ds_read_b128 v[119:122], v86 offset:480
	buffer_load_dword v243, off, s[0:3], 0 offset:316
	buffer_load_dword v244, off, s[0:3], 0 offset:312
	;; [unrolled: 1-line block ×4, first 2 shown]
	ds_read_b128 v[123:126], v86 offset:496
	buffer_load_dword v247, off, s[0:3], 0 offset:328
	buffer_load_dword v248, off, s[0:3], 0 offset:332
	v_mul_f32_e32 v88, v88, v167
	v_fma_f32 v87, v87, v178, -v88
	v_mul_f32_e32 v88, v90, v168
	v_add_f32_e32 v87, 0, v87
	v_fma_f32 v88, v89, v179, -v88
	v_add_f32_e32 v87, v87, v88
	v_mul_f32_e32 v88, v92, v169
	v_fma_f32 v88, v91, v180, -v88
	v_add_f32_e32 v87, v87, v88
	v_mul_f32_e32 v88, v94, v170
	;; [unrolled: 3-line block ×7, first 2 shown]
	s_waitcnt vmcnt(46) lgkmcnt(1)
	v_mul_f32_e32 v128, v119, v202
	v_fma_f32 v88, v103, v186, -v88
	v_fmac_f32_e32 v128, v120, v201
	v_add_f32_e32 v87, v87, v88
	v_mul_f32_e32 v88, v106, v176
	v_add_f32_e32 v127, v127, v128
	s_waitcnt vmcnt(44)
	v_mul_f32_e32 v128, v121, v204
	v_fma_f32 v88, v105, v187, -v88
	v_fmac_f32_e32 v128, v122, v203
	v_add_f32_e32 v87, v87, v88
	v_mul_f32_e32 v88, v108, v177
	v_add_f32_e32 v127, v127, v128
	s_waitcnt vmcnt(42) lgkmcnt(0)
	v_mul_f32_e32 v128, v123, v206
	v_fma_f32 v88, v107, v188, -v88
	v_fmac_f32_e32 v128, v124, v205
	v_add_f32_e32 v87, v87, v88
	v_mul_f32_e32 v88, v110, v189
	v_add_f32_e32 v131, v127, v128
	ds_read_b128 v[127:130], v86 offset:512
	v_fma_f32 v88, v109, v190, -v88
	v_add_f32_e32 v87, v87, v88
	v_mul_f32_e32 v88, v112, v191
	s_waitcnt vmcnt(40)
	v_mul_f32_e32 v132, v125, v208
	v_fma_f32 v88, v111, v194, -v88
	v_fmac_f32_e32 v132, v126, v207
	v_add_f32_e32 v87, v87, v88
	v_mul_f32_e32 v88, v114, v196
	v_add_f32_e32 v135, v131, v132
	ds_read_b128 v[131:134], v86 offset:528
	v_fma_f32 v88, v113, v195, -v88
	s_waitcnt vmcnt(38) lgkmcnt(1)
	v_mul_f32_e32 v136, v127, v210
	v_add_f32_e32 v87, v87, v88
	v_mul_f32_e32 v88, v116, v198
	v_fmac_f32_e32 v136, v128, v209
	v_fma_f32 v88, v115, v197, -v88
	v_add_f32_e32 v135, v135, v136
	s_waitcnt vmcnt(36)
	v_mul_f32_e32 v136, v129, v212
	v_add_f32_e32 v87, v87, v88
	v_mul_f32_e32 v88, v118, v200
	v_fmac_f32_e32 v136, v130, v211
	v_fma_f32 v88, v117, v199, -v88
	v_add_f32_e32 v135, v135, v136
	s_waitcnt vmcnt(34) lgkmcnt(0)
	v_mul_f32_e32 v136, v131, v214
	v_add_f32_e32 v87, v87, v88
	v_mul_f32_e32 v88, v120, v202
	v_fmac_f32_e32 v136, v132, v213
	v_fma_f32 v88, v119, v201, -v88
	v_add_f32_e32 v139, v135, v136
	ds_read_b128 v[135:138], v86 offset:544
	v_add_f32_e32 v87, v87, v88
	v_mul_f32_e32 v88, v122, v204
	v_fma_f32 v88, v121, v203, -v88
	s_waitcnt vmcnt(32)
	v_mul_f32_e32 v140, v133, v216
	v_add_f32_e32 v87, v87, v88
	v_mul_f32_e32 v88, v124, v206
	v_fmac_f32_e32 v140, v134, v215
	v_fma_f32 v88, v123, v205, -v88
	v_add_f32_e32 v143, v139, v140
	ds_read_b128 v[139:142], v86 offset:560
	v_add_f32_e32 v87, v87, v88
	v_mul_f32_e32 v88, v126, v208
	s_waitcnt vmcnt(30) lgkmcnt(1)
	v_mul_f32_e32 v144, v135, v218
	v_fma_f32 v88, v125, v207, -v88
	v_fmac_f32_e32 v144, v136, v217
	v_add_f32_e32 v87, v87, v88
	v_mul_f32_e32 v88, v128, v210
	v_add_f32_e32 v143, v143, v144
	s_waitcnt vmcnt(29)
	v_mul_f32_e32 v144, v137, v219
	v_fma_f32 v88, v127, v209, -v88
	s_waitcnt vmcnt(28)
	v_fmac_f32_e32 v144, v138, v220
	v_add_f32_e32 v87, v87, v88
	v_mul_f32_e32 v88, v130, v212
	v_add_f32_e32 v143, v143, v144
	s_waitcnt vmcnt(26) lgkmcnt(0)
	v_mul_f32_e32 v144, v139, v222
	v_fma_f32 v88, v129, v211, -v88
	v_fmac_f32_e32 v144, v140, v221
	v_add_f32_e32 v87, v87, v88
	v_mul_f32_e32 v88, v132, v214
	v_add_f32_e32 v147, v143, v144
	ds_read_b128 v[143:146], v86 offset:576
	v_fma_f32 v88, v131, v213, -v88
	v_add_f32_e32 v87, v87, v88
	v_mul_f32_e32 v88, v134, v216
	s_waitcnt vmcnt(24)
	v_mul_f32_e32 v148, v141, v224
	v_fma_f32 v88, v133, v215, -v88
	v_fmac_f32_e32 v148, v142, v223
	v_add_f32_e32 v87, v87, v88
	v_mul_f32_e32 v88, v136, v218
	v_add_f32_e32 v151, v147, v148
	ds_read_b128 v[147:150], v86 offset:592
	v_fma_f32 v88, v135, v217, -v88
	s_waitcnt vmcnt(22) lgkmcnt(1)
	v_mul_f32_e32 v152, v143, v226
	v_add_f32_e32 v87, v87, v88
	v_mul_f32_e32 v88, v138, v219
	v_fmac_f32_e32 v152, v144, v225
	v_fma_f32 v88, v137, v220, -v88
	v_add_f32_e32 v151, v151, v152
	s_waitcnt vmcnt(21)
	v_mul_f32_e32 v152, v145, v227
	v_add_f32_e32 v87, v87, v88
	v_mul_f32_e32 v88, v140, v222
	s_waitcnt vmcnt(20)
	v_fmac_f32_e32 v152, v146, v228
	v_fma_f32 v88, v139, v221, -v88
	v_add_f32_e32 v151, v151, v152
	s_waitcnt vmcnt(18) lgkmcnt(0)
	v_mul_f32_e32 v152, v147, v230
	v_add_f32_e32 v87, v87, v88
	v_mul_f32_e32 v88, v142, v224
	v_fmac_f32_e32 v152, v148, v229
	v_fma_f32 v88, v141, v223, -v88
	v_add_f32_e32 v155, v151, v152
	ds_read_b128 v[151:154], v86 offset:608
	v_add_f32_e32 v87, v87, v88
	v_mul_f32_e32 v88, v144, v226
	v_fma_f32 v88, v143, v225, -v88
	s_waitcnt vmcnt(16)
	v_mul_f32_e32 v156, v149, v232
	v_add_f32_e32 v87, v87, v88
	v_mul_f32_e32 v88, v146, v227
	v_fmac_f32_e32 v156, v150, v231
	v_fma_f32 v88, v145, v228, -v88
	v_add_f32_e32 v159, v155, v156
	ds_read_b128 v[155:158], v86 offset:624
	v_add_f32_e32 v87, v87, v88
	v_mul_f32_e32 v88, v148, v230
	s_waitcnt vmcnt(14) lgkmcnt(1)
	v_mul_f32_e32 v160, v151, v234
	v_fma_f32 v88, v147, v229, -v88
	v_fmac_f32_e32 v160, v152, v233
	v_add_f32_e32 v87, v87, v88
	v_mul_f32_e32 v88, v150, v232
	v_add_f32_e32 v159, v159, v160
	s_waitcnt vmcnt(13)
	v_mul_f32_e32 v160, v153, v235
	v_fma_f32 v88, v149, v231, -v88
	s_waitcnt vmcnt(12)
	v_fmac_f32_e32 v160, v154, v236
	v_add_f32_e32 v87, v87, v88
	v_mul_f32_e32 v88, v152, v234
	v_add_f32_e32 v159, v159, v160
	s_waitcnt vmcnt(10) lgkmcnt(0)
	v_mul_f32_e32 v160, v155, v238
	v_fma_f32 v88, v151, v233, -v88
	v_fmac_f32_e32 v160, v156, v237
	v_add_f32_e32 v87, v87, v88
	v_mul_f32_e32 v88, v154, v235
	v_add_f32_e32 v163, v159, v160
	ds_read_b128 v[159:162], v86 offset:640
	v_fma_f32 v88, v153, v236, -v88
	v_add_f32_e32 v87, v87, v88
	v_mul_f32_e32 v88, v156, v238
	s_waitcnt vmcnt(8)
	v_mul_f32_e32 v164, v157, v240
	v_fma_f32 v88, v155, v237, -v88
	v_fmac_f32_e32 v164, v158, v239
	v_add_f32_e32 v87, v87, v88
	v_mul_f32_e32 v88, v158, v240
	v_add_f32_e32 v249, v163, v164
	ds_read_b128 v[163:166], v86 offset:656
	v_fma_f32 v88, v157, v239, -v88
	v_add_f32_e32 v87, v87, v88
	s_waitcnt vmcnt(6) lgkmcnt(1)
	v_mul_f32_e32 v88, v160, v242
	v_mul_f32_e32 v86, v159, v242
	v_fma_f32 v88, v159, v241, -v88
	v_fmac_f32_e32 v86, v160, v241
	v_add_f32_e32 v87, v87, v88
	s_waitcnt vmcnt(5)
	v_mul_f32_e32 v88, v162, v243
	v_add_f32_e32 v86, v249, v86
	v_mul_f32_e32 v249, v161, v243
	s_waitcnt vmcnt(4)
	v_fma_f32 v88, v161, v244, -v88
	v_fmac_f32_e32 v249, v162, v244
	v_add_f32_e32 v87, v87, v88
	s_waitcnt vmcnt(2) lgkmcnt(0)
	v_mul_f32_e32 v88, v164, v246
	v_add_f32_e32 v86, v86, v249
	v_mul_f32_e32 v249, v163, v246
	v_fma_f32 v88, v163, v245, -v88
	v_fmac_f32_e32 v249, v164, v245
	v_add_f32_e32 v87, v87, v88
	s_waitcnt vmcnt(0)
	v_mul_f32_e32 v88, v166, v248
	v_add_f32_e32 v86, v86, v249
	v_mul_f32_e32 v249, v165, v248
	v_fma_f32 v88, v165, v247, -v88
	v_fmac_f32_e32 v249, v166, v247
	v_add_f32_e32 v87, v87, v88
	v_add_f32_e32 v86, v86, v249
	v_sub_f32_e32 v87, v192, v87
	v_sub_f32_e32 v86, v193, v86
	buffer_store_dword v87, off, s[0:3], 0 offset:8
	buffer_store_dword v86, off, s[0:3], 0 offset:12
	s_and_saveexec_b64 s[4:5], vcc
	s_cbranch_execz .LBB41_265
; %bb.264:
	buffer_load_dword v86, off, s[0:3], 0
	buffer_load_dword v87, off, s[0:3], 0 offset:4
	v_mov_b32_e32 v0, 0
	buffer_store_dword v0, off, s[0:3], 0
	buffer_store_dword v0, off, s[0:3], 0 offset:4
	s_waitcnt vmcnt(2)
	ds_write_b64 v85, v[86:87]
.LBB41_265:
	s_or_b64 exec, exec, s[4:5]
	s_waitcnt lgkmcnt(0)
	; wave barrier
	buffer_load_dword v167, off, s[0:3], 0 offset:12
	buffer_load_dword v168, off, s[0:3], 0 offset:20
	;; [unrolled: 1-line block ×26, first 2 shown]
	buffer_load_dword v193, off, s[0:3], 0
	buffer_load_dword v194, off, s[0:3], 0 offset:4
	buffer_load_dword v195, off, s[0:3], 0 offset:112
	;; [unrolled: 1-line block ×23, first 2 shown]
	v_mov_b32_e32 v0, 0
	ds_read2_b64 v[85:88], v0 offset0:43 offset1:44
	ds_read2_b64 v[89:92], v0 offset0:45 offset1:46
	;; [unrolled: 1-line block ×6, first 2 shown]
	buffer_load_dword v217, off, s[0:3], 0 offset:200
	buffer_load_dword v218, off, s[0:3], 0 offset:204
	;; [unrolled: 1-line block ×6, first 2 shown]
	s_and_b64 vcc, exec, s[22:23]
	s_waitcnt vmcnt(55) lgkmcnt(5)
	v_mul_f32_e32 v109, v85, v167
	s_waitcnt vmcnt(54)
	v_mul_f32_e32 v110, v87, v168
	s_waitcnt vmcnt(53) lgkmcnt(4)
	v_mul_f32_e32 v111, v89, v169
	s_waitcnt vmcnt(52)
	v_mul_f32_e32 v112, v91, v170
	;; [unrolled: 4-line block ×5, first 2 shown]
	s_waitcnt vmcnt(45) lgkmcnt(0)
	v_mul_f32_e32 v119, v105, v177
	s_waitcnt vmcnt(44)
	v_fmac_f32_e32 v109, v86, v178
	s_waitcnt vmcnt(43)
	v_fmac_f32_e32 v110, v88, v179
	v_add_f32_e32 v109, 0, v109
	s_waitcnt vmcnt(42)
	v_fmac_f32_e32 v111, v90, v180
	v_add_f32_e32 v109, v109, v110
	s_waitcnt vmcnt(41)
	v_fmac_f32_e32 v112, v92, v181
	v_add_f32_e32 v109, v109, v111
	s_waitcnt vmcnt(40)
	v_fmac_f32_e32 v113, v94, v182
	v_add_f32_e32 v109, v109, v112
	s_waitcnt vmcnt(39)
	v_fmac_f32_e32 v114, v96, v183
	v_add_f32_e32 v109, v109, v113
	s_waitcnt vmcnt(38)
	v_fmac_f32_e32 v115, v98, v184
	v_add_f32_e32 v109, v109, v114
	s_waitcnt vmcnt(37)
	v_fmac_f32_e32 v116, v100, v185
	v_add_f32_e32 v109, v109, v115
	s_waitcnt vmcnt(36)
	v_fmac_f32_e32 v117, v102, v186
	v_add_f32_e32 v109, v109, v116
	s_waitcnt vmcnt(35)
	v_fmac_f32_e32 v118, v104, v187
	v_add_f32_e32 v109, v109, v117
	s_waitcnt vmcnt(34)
	v_fmac_f32_e32 v119, v106, v188
	v_add_f32_e32 v109, v109, v118
	v_add_f32_e32 v113, v109, v119
	ds_read2_b64 v[109:112], v0 offset0:55 offset1:56
	buffer_load_dword v223, off, s[0:3], 0 offset:224
	buffer_load_dword v224, off, s[0:3], 0 offset:228
	s_waitcnt vmcnt(35)
	v_mul_f32_e32 v114, v107, v189
	s_waitcnt vmcnt(34)
	v_fmac_f32_e32 v114, v108, v190
	v_add_f32_e32 v117, v113, v114
	ds_read2_b64 v[113:116], v0 offset0:57 offset1:58
	buffer_load_dword v225, off, s[0:3], 0 offset:232
	buffer_load_dword v226, off, s[0:3], 0 offset:236
	;; [unrolled: 1-line block ×14, first 2 shown]
	s_waitcnt vmcnt(47) lgkmcnt(1)
	v_mul_f32_e32 v118, v109, v191
	s_waitcnt vmcnt(46)
	v_fmac_f32_e32 v118, v110, v192
	v_add_f32_e32 v117, v117, v118
	s_waitcnt vmcnt(42)
	v_mul_f32_e32 v118, v111, v196
	v_fmac_f32_e32 v118, v112, v195
	v_add_f32_e32 v117, v117, v118
	s_waitcnt vmcnt(40) lgkmcnt(0)
	v_mul_f32_e32 v118, v113, v198
	buffer_load_dword v239, off, s[0:3], 0 offset:288
	buffer_load_dword v240, off, s[0:3], 0 offset:292
	v_fmac_f32_e32 v118, v114, v197
	v_add_f32_e32 v121, v117, v118
	ds_read2_b64 v[117:120], v0 offset0:59 offset1:60
	buffer_load_dword v241, off, s[0:3], 0 offset:296
	buffer_load_dword v242, off, s[0:3], 0 offset:300
	s_waitcnt vmcnt(42)
	v_mul_f32_e32 v122, v115, v200
	v_fmac_f32_e32 v122, v116, v199
	v_add_f32_e32 v125, v121, v122
	ds_read2_b64 v[121:124], v0 offset0:61 offset1:62
	buffer_load_dword v243, off, s[0:3], 0 offset:308
	buffer_load_dword v244, off, s[0:3], 0 offset:304
	;; [unrolled: 1-line block ×8, first 2 shown]
	v_mul_f32_e32 v86, v86, v167
	v_fma_f32 v85, v85, v178, -v86
	v_mul_f32_e32 v86, v88, v168
	v_add_f32_e32 v85, 0, v85
	v_fma_f32 v86, v87, v179, -v86
	v_add_f32_e32 v85, v85, v86
	v_mul_f32_e32 v86, v90, v169
	v_fma_f32 v86, v89, v180, -v86
	v_add_f32_e32 v85, v85, v86
	v_mul_f32_e32 v86, v92, v170
	;; [unrolled: 3-line block ×6, first 2 shown]
	v_fma_f32 v86, v99, v185, -v86
	s_waitcnt vmcnt(48) lgkmcnt(1)
	v_mul_f32_e32 v126, v117, v202
	v_add_f32_e32 v85, v85, v86
	v_mul_f32_e32 v86, v102, v175
	v_fmac_f32_e32 v126, v118, v201
	v_fma_f32 v86, v101, v186, -v86
	v_add_f32_e32 v125, v125, v126
	s_waitcnt vmcnt(46)
	v_mul_f32_e32 v126, v119, v204
	v_add_f32_e32 v85, v85, v86
	v_mul_f32_e32 v86, v104, v176
	v_fmac_f32_e32 v126, v120, v203
	v_fma_f32 v86, v103, v187, -v86
	v_add_f32_e32 v125, v125, v126
	s_waitcnt vmcnt(44) lgkmcnt(0)
	v_mul_f32_e32 v126, v121, v206
	v_add_f32_e32 v85, v85, v86
	v_mul_f32_e32 v86, v106, v177
	v_fmac_f32_e32 v126, v122, v205
	v_fma_f32 v86, v105, v188, -v86
	v_add_f32_e32 v129, v125, v126
	ds_read2_b64 v[125:128], v0 offset0:63 offset1:64
	v_add_f32_e32 v85, v85, v86
	v_mul_f32_e32 v86, v108, v189
	v_fma_f32 v86, v107, v190, -v86
	s_waitcnt vmcnt(42)
	v_mul_f32_e32 v130, v123, v208
	v_add_f32_e32 v85, v85, v86
	v_mul_f32_e32 v86, v110, v191
	v_fmac_f32_e32 v130, v124, v207
	v_fma_f32 v86, v109, v192, -v86
	v_add_f32_e32 v133, v129, v130
	ds_read2_b64 v[129:132], v0 offset0:65 offset1:66
	v_add_f32_e32 v85, v85, v86
	v_mul_f32_e32 v86, v112, v196
	s_waitcnt vmcnt(40) lgkmcnt(1)
	v_mul_f32_e32 v134, v125, v210
	v_fma_f32 v86, v111, v195, -v86
	v_fmac_f32_e32 v134, v126, v209
	v_add_f32_e32 v85, v85, v86
	v_mul_f32_e32 v86, v114, v198
	v_add_f32_e32 v133, v133, v134
	s_waitcnt vmcnt(38)
	v_mul_f32_e32 v134, v127, v212
	v_fma_f32 v86, v113, v197, -v86
	v_fmac_f32_e32 v134, v128, v211
	v_add_f32_e32 v85, v85, v86
	v_mul_f32_e32 v86, v116, v200
	v_add_f32_e32 v133, v133, v134
	s_waitcnt vmcnt(36) lgkmcnt(0)
	v_mul_f32_e32 v134, v129, v214
	v_fma_f32 v86, v115, v199, -v86
	v_fmac_f32_e32 v134, v130, v213
	v_add_f32_e32 v85, v85, v86
	v_mul_f32_e32 v86, v118, v202
	v_add_f32_e32 v137, v133, v134
	ds_read2_b64 v[133:136], v0 offset0:67 offset1:68
	v_fma_f32 v86, v117, v201, -v86
	v_add_f32_e32 v85, v85, v86
	v_mul_f32_e32 v86, v120, v204
	s_waitcnt vmcnt(34)
	v_mul_f32_e32 v138, v131, v216
	v_fma_f32 v86, v119, v203, -v86
	v_fmac_f32_e32 v138, v132, v215
	v_add_f32_e32 v85, v85, v86
	v_mul_f32_e32 v86, v122, v206
	v_add_f32_e32 v141, v137, v138
	ds_read2_b64 v[137:140], v0 offset0:69 offset1:70
	v_fma_f32 v86, v121, v205, -v86
	s_waitcnt vmcnt(32) lgkmcnt(1)
	v_mul_f32_e32 v142, v133, v218
	v_add_f32_e32 v85, v85, v86
	v_mul_f32_e32 v86, v124, v208
	v_fmac_f32_e32 v142, v134, v217
	v_fma_f32 v86, v123, v207, -v86
	v_add_f32_e32 v141, v141, v142
	s_waitcnt vmcnt(31)
	v_mul_f32_e32 v142, v135, v219
	v_add_f32_e32 v85, v85, v86
	v_mul_f32_e32 v86, v126, v210
	s_waitcnt vmcnt(30)
	v_fmac_f32_e32 v142, v136, v220
	v_fma_f32 v86, v125, v209, -v86
	v_add_f32_e32 v141, v141, v142
	s_waitcnt vmcnt(28) lgkmcnt(0)
	v_mul_f32_e32 v142, v137, v222
	v_add_f32_e32 v85, v85, v86
	v_mul_f32_e32 v86, v128, v212
	v_fmac_f32_e32 v142, v138, v221
	v_fma_f32 v86, v127, v211, -v86
	v_add_f32_e32 v145, v141, v142
	ds_read2_b64 v[141:144], v0 offset0:71 offset1:72
	v_add_f32_e32 v85, v85, v86
	v_mul_f32_e32 v86, v130, v214
	v_fma_f32 v86, v129, v213, -v86
	s_waitcnt vmcnt(26)
	v_mul_f32_e32 v146, v139, v224
	v_add_f32_e32 v85, v85, v86
	v_mul_f32_e32 v86, v132, v216
	v_fmac_f32_e32 v146, v140, v223
	v_fma_f32 v86, v131, v215, -v86
	v_add_f32_e32 v149, v145, v146
	ds_read2_b64 v[145:148], v0 offset0:73 offset1:74
	v_add_f32_e32 v85, v85, v86
	v_mul_f32_e32 v86, v134, v218
	s_waitcnt vmcnt(24) lgkmcnt(1)
	v_mul_f32_e32 v150, v141, v226
	v_fma_f32 v86, v133, v217, -v86
	v_fmac_f32_e32 v150, v142, v225
	v_add_f32_e32 v85, v85, v86
	v_mul_f32_e32 v86, v136, v219
	v_add_f32_e32 v149, v149, v150
	s_waitcnt vmcnt(23)
	v_mul_f32_e32 v150, v143, v227
	v_fma_f32 v86, v135, v220, -v86
	s_waitcnt vmcnt(22)
	v_fmac_f32_e32 v150, v144, v228
	v_add_f32_e32 v85, v85, v86
	v_mul_f32_e32 v86, v138, v222
	v_add_f32_e32 v149, v149, v150
	s_waitcnt vmcnt(20) lgkmcnt(0)
	v_mul_f32_e32 v150, v145, v230
	v_fma_f32 v86, v137, v221, -v86
	v_fmac_f32_e32 v150, v146, v229
	v_add_f32_e32 v85, v85, v86
	v_mul_f32_e32 v86, v140, v224
	v_add_f32_e32 v153, v149, v150
	ds_read2_b64 v[149:152], v0 offset0:75 offset1:76
	v_fma_f32 v86, v139, v223, -v86
	v_add_f32_e32 v85, v85, v86
	v_mul_f32_e32 v86, v142, v226
	s_waitcnt vmcnt(18)
	v_mul_f32_e32 v154, v147, v232
	v_fma_f32 v86, v141, v225, -v86
	v_fmac_f32_e32 v154, v148, v231
	v_add_f32_e32 v85, v85, v86
	v_mul_f32_e32 v86, v144, v227
	v_add_f32_e32 v157, v153, v154
	ds_read2_b64 v[153:156], v0 offset0:77 offset1:78
	v_fma_f32 v86, v143, v228, -v86
	s_waitcnt vmcnt(16) lgkmcnt(1)
	v_mul_f32_e32 v158, v149, v234
	v_add_f32_e32 v85, v85, v86
	v_mul_f32_e32 v86, v146, v230
	v_fmac_f32_e32 v158, v150, v233
	v_fma_f32 v86, v145, v229, -v86
	v_add_f32_e32 v157, v157, v158
	s_waitcnt vmcnt(15)
	v_mul_f32_e32 v158, v151, v235
	v_add_f32_e32 v85, v85, v86
	v_mul_f32_e32 v86, v148, v232
	s_waitcnt vmcnt(14)
	v_fmac_f32_e32 v158, v152, v236
	v_fma_f32 v86, v147, v231, -v86
	v_add_f32_e32 v157, v157, v158
	s_waitcnt vmcnt(12) lgkmcnt(0)
	v_mul_f32_e32 v158, v153, v238
	v_add_f32_e32 v85, v85, v86
	v_mul_f32_e32 v86, v150, v234
	v_fmac_f32_e32 v158, v154, v237
	v_fma_f32 v86, v149, v233, -v86
	v_add_f32_e32 v161, v157, v158
	ds_read2_b64 v[157:160], v0 offset0:79 offset1:80
	v_add_f32_e32 v85, v85, v86
	v_mul_f32_e32 v86, v152, v235
	v_fma_f32 v86, v151, v236, -v86
	v_add_f32_e32 v85, v85, v86
	v_mul_f32_e32 v86, v154, v238
	s_waitcnt vmcnt(10)
	v_mul_f32_e32 v162, v155, v240
	v_fma_f32 v86, v153, v237, -v86
	v_fmac_f32_e32 v162, v156, v239
	v_add_f32_e32 v85, v85, v86
	v_mul_f32_e32 v86, v156, v240
	v_add_f32_e32 v165, v161, v162
	ds_read2_b64 v[161:164], v0 offset0:81 offset1:82
	s_waitcnt vmcnt(8) lgkmcnt(1)
	v_mul_f32_e32 v166, v157, v242
	v_fma_f32 v86, v155, v239, -v86
	v_fmac_f32_e32 v166, v158, v241
	v_add_f32_e32 v85, v85, v86
	v_mul_f32_e32 v86, v158, v242
	v_add_f32_e32 v165, v165, v166
	s_waitcnt vmcnt(7)
	v_mul_f32_e32 v166, v159, v243
	v_fma_f32 v86, v157, v241, -v86
	s_waitcnt vmcnt(6)
	v_fmac_f32_e32 v166, v160, v244
	v_add_f32_e32 v85, v85, v86
	v_mul_f32_e32 v86, v160, v243
	v_add_f32_e32 v251, v165, v166
	ds_read_b64 v[165:166], v0 offset:664
	v_fma_f32 v86, v159, v244, -v86
	v_add_f32_e32 v85, v85, v86
	s_waitcnt vmcnt(4) lgkmcnt(1)
	v_mul_f32_e32 v86, v162, v246
	v_mul_f32_e32 v252, v161, v246
	v_fma_f32 v86, v161, v245, -v86
	v_fmac_f32_e32 v252, v162, v245
	v_add_f32_e32 v85, v85, v86
	s_waitcnt vmcnt(3)
	v_mul_f32_e32 v86, v164, v247
	v_add_f32_e32 v251, v251, v252
	v_mul_f32_e32 v252, v163, v247
	s_waitcnt vmcnt(2)
	v_fma_f32 v86, v163, v248, -v86
	v_fmac_f32_e32 v252, v164, v248
	v_add_f32_e32 v85, v85, v86
	s_waitcnt vmcnt(0) lgkmcnt(0)
	v_mul_f32_e32 v86, v166, v250
	v_add_f32_e32 v251, v251, v252
	v_mul_f32_e32 v252, v165, v250
	v_fma_f32 v86, v165, v249, -v86
	v_fmac_f32_e32 v252, v166, v249
	v_add_f32_e32 v85, v85, v86
	v_add_f32_e32 v251, v251, v252
	v_sub_f32_e32 v85, v193, v85
	v_sub_f32_e32 v86, v194, v251
	buffer_store_dword v85, off, s[0:3], 0
	buffer_store_dword v86, off, s[0:3], 0 offset:4
	s_cbranch_vccz .LBB41_348
; %bb.266:
	global_load_dword v0, v0, s[20:21] offset:160
	s_waitcnt vmcnt(0)
	v_add_u32_e32 v0, -1, v0
	v_cmp_ne_u32_e32 vcc, 40, v0
	s_cbranch_vccz .LBB41_268
; %bb.267:
	v_lshlrev_b32_e32 v0, 3, v0
	buffer_load_dword v85, v0, s[0:3], 0 offen
	buffer_load_dword v86, v0, s[0:3], 0 offen offset:4
	buffer_load_dword v87, off, s[0:3], 0 offset:324
	buffer_load_dword v88, off, s[0:3], 0 offset:320
	s_waitcnt vmcnt(3)
	buffer_store_dword v85, off, s[0:3], 0 offset:320
	s_waitcnt vmcnt(3)
	buffer_store_dword v86, off, s[0:3], 0 offset:324
	s_waitcnt vmcnt(3)
	buffer_store_dword v87, v0, s[0:3], 0 offen offset:4
	s_waitcnt vmcnt(3)
	buffer_store_dword v88, v0, s[0:3], 0 offen
.LBB41_268:
	v_mov_b32_e32 v0, 0
	global_load_dword v85, v0, s[20:21] offset:156
	s_waitcnt vmcnt(0)
	v_add_u32_e32 v85, -1, v85
	v_cmp_eq_u32_e32 vcc, 39, v85
	s_cbranch_vccnz .LBB41_270
; %bb.269:
	v_lshlrev_b32_e32 v85, 3, v85
	buffer_load_dword v86, v85, s[0:3], 0 offen
	buffer_load_dword v87, v85, s[0:3], 0 offen offset:4
	buffer_load_dword v88, off, s[0:3], 0 offset:312
	buffer_load_dword v89, off, s[0:3], 0 offset:316
	s_waitcnt vmcnt(3)
	buffer_store_dword v86, off, s[0:3], 0 offset:312
	s_waitcnt vmcnt(3)
	buffer_store_dword v87, off, s[0:3], 0 offset:316
	s_waitcnt vmcnt(3)
	buffer_store_dword v88, v85, s[0:3], 0 offen
	s_waitcnt vmcnt(3)
	buffer_store_dword v89, v85, s[0:3], 0 offen offset:4
.LBB41_270:
	global_load_dword v0, v0, s[20:21] offset:152
	s_waitcnt vmcnt(0)
	v_add_u32_e32 v0, -1, v0
	v_cmp_eq_u32_e32 vcc, 38, v0
	s_cbranch_vccnz .LBB41_272
; %bb.271:
	v_lshlrev_b32_e32 v0, 3, v0
	buffer_load_dword v85, v0, s[0:3], 0 offen
	buffer_load_dword v86, v0, s[0:3], 0 offen offset:4
	buffer_load_dword v87, off, s[0:3], 0 offset:308
	buffer_load_dword v88, off, s[0:3], 0 offset:304
	s_waitcnt vmcnt(3)
	buffer_store_dword v85, off, s[0:3], 0 offset:304
	s_waitcnt vmcnt(3)
	buffer_store_dword v86, off, s[0:3], 0 offset:308
	s_waitcnt vmcnt(3)
	buffer_store_dword v87, v0, s[0:3], 0 offen offset:4
	s_waitcnt vmcnt(3)
	buffer_store_dword v88, v0, s[0:3], 0 offen
.LBB41_272:
	v_mov_b32_e32 v0, 0
	global_load_dword v85, v0, s[20:21] offset:148
	s_waitcnt vmcnt(0)
	v_add_u32_e32 v85, -1, v85
	v_cmp_eq_u32_e32 vcc, 37, v85
	s_cbranch_vccnz .LBB41_274
; %bb.273:
	v_lshlrev_b32_e32 v85, 3, v85
	buffer_load_dword v86, v85, s[0:3], 0 offen
	buffer_load_dword v87, v85, s[0:3], 0 offen offset:4
	buffer_load_dword v88, off, s[0:3], 0 offset:296
	buffer_load_dword v89, off, s[0:3], 0 offset:300
	s_waitcnt vmcnt(3)
	buffer_store_dword v86, off, s[0:3], 0 offset:296
	s_waitcnt vmcnt(3)
	buffer_store_dword v87, off, s[0:3], 0 offset:300
	s_waitcnt vmcnt(3)
	buffer_store_dword v88, v85, s[0:3], 0 offen
	s_waitcnt vmcnt(3)
	buffer_store_dword v89, v85, s[0:3], 0 offen offset:4
.LBB41_274:
	global_load_dword v0, v0, s[20:21] offset:144
	s_waitcnt vmcnt(0)
	v_add_u32_e32 v0, -1, v0
	v_cmp_eq_u32_e32 vcc, 36, v0
	s_cbranch_vccnz .LBB41_276
; %bb.275:
	v_lshlrev_b32_e32 v0, 3, v0
	buffer_load_dword v85, v0, s[0:3], 0 offen
	buffer_load_dword v86, v0, s[0:3], 0 offen offset:4
	buffer_load_dword v87, off, s[0:3], 0 offset:292
	buffer_load_dword v88, off, s[0:3], 0 offset:288
	s_waitcnt vmcnt(3)
	buffer_store_dword v85, off, s[0:3], 0 offset:288
	s_waitcnt vmcnt(3)
	buffer_store_dword v86, off, s[0:3], 0 offset:292
	s_waitcnt vmcnt(3)
	buffer_store_dword v87, v0, s[0:3], 0 offen offset:4
	s_waitcnt vmcnt(3)
	buffer_store_dword v88, v0, s[0:3], 0 offen
.LBB41_276:
	;; [unrolled: 41-line block ×19, first 2 shown]
	v_mov_b32_e32 v0, 0
	global_load_dword v85, v0, s[20:21] offset:4
	s_waitcnt vmcnt(0)
	v_add_u32_e32 v85, -1, v85
	v_cmp_eq_u32_e32 vcc, 1, v85
	s_cbranch_vccnz .LBB41_346
; %bb.345:
	v_lshlrev_b32_e32 v85, 3, v85
	buffer_load_dword v86, v85, s[0:3], 0 offen
	buffer_load_dword v87, v85, s[0:3], 0 offen offset:4
	buffer_load_dword v88, off, s[0:3], 0 offset:8
	buffer_load_dword v89, off, s[0:3], 0 offset:12
	s_waitcnt vmcnt(3)
	buffer_store_dword v86, off, s[0:3], 0 offset:8
	s_waitcnt vmcnt(3)
	buffer_store_dword v87, off, s[0:3], 0 offset:12
	s_waitcnt vmcnt(3)
	buffer_store_dword v88, v85, s[0:3], 0 offen
	s_waitcnt vmcnt(3)
	buffer_store_dword v89, v85, s[0:3], 0 offen offset:4
.LBB41_346:
	global_load_dword v0, v0, s[20:21]
	s_waitcnt vmcnt(0)
	v_add_u32_e32 v0, -1, v0
	v_cmp_eq_u32_e32 vcc, 0, v0
	s_cbranch_vccnz .LBB41_348
; %bb.347:
	v_lshlrev_b32_e32 v0, 3, v0
	buffer_load_dword v85, v0, s[0:3], 0 offen
	buffer_load_dword v86, v0, s[0:3], 0 offen offset:4
	buffer_load_dword v87, off, s[0:3], 0 offset:4
	buffer_load_dword v88, off, s[0:3], 0
	s_waitcnt vmcnt(3)
	buffer_store_dword v85, off, s[0:3], 0
	s_waitcnt vmcnt(3)
	buffer_store_dword v86, off, s[0:3], 0 offset:4
	s_waitcnt vmcnt(3)
	buffer_store_dword v87, v0, s[0:3], 0 offen offset:4
	s_waitcnt vmcnt(3)
	buffer_store_dword v88, v0, s[0:3], 0 offen
.LBB41_348:
	buffer_load_dword v85, off, s[0:3], 0
	buffer_load_dword v86, off, s[0:3], 0 offset:4
	buffer_load_dword v87, off, s[0:3], 0 offset:8
	s_nop 0
	buffer_load_dword v88, off, s[0:3], 0 offset:12
	buffer_load_dword v89, off, s[0:3], 0 offset:16
	buffer_load_dword v90, off, s[0:3], 0 offset:20
	buffer_load_dword v91, off, s[0:3], 0 offset:24
	buffer_load_dword v92, off, s[0:3], 0 offset:28
	buffer_load_dword v93, off, s[0:3], 0 offset:32
	buffer_load_dword v94, off, s[0:3], 0 offset:36
	buffer_load_dword v95, off, s[0:3], 0 offset:40
	buffer_load_dword v96, off, s[0:3], 0 offset:44
	buffer_load_dword v97, off, s[0:3], 0 offset:48
	buffer_load_dword v98, off, s[0:3], 0 offset:52
	buffer_load_dword v99, off, s[0:3], 0 offset:56
	buffer_load_dword v100, off, s[0:3], 0 offset:60
	buffer_load_dword v102, off, s[0:3], 0 offset:68
	buffer_load_dword v103, off, s[0:3], 0 offset:72
	buffer_load_dword v104, off, s[0:3], 0 offset:76
	buffer_load_dword v105, off, s[0:3], 0 offset:80
	buffer_load_dword v106, off, s[0:3], 0 offset:84
	buffer_load_dword v107, off, s[0:3], 0 offset:88
	buffer_load_dword v108, off, s[0:3], 0 offset:92
	buffer_load_dword v101, off, s[0:3], 0 offset:64
	buffer_load_dword v109, off, s[0:3], 0 offset:96
	buffer_load_dword v110, off, s[0:3], 0 offset:100
	buffer_load_dword v111, off, s[0:3], 0 offset:104
	buffer_load_dword v112, off, s[0:3], 0 offset:108
	buffer_load_dword v113, off, s[0:3], 0 offset:112
	buffer_load_dword v114, off, s[0:3], 0 offset:116
	buffer_load_dword v115, off, s[0:3], 0 offset:120
	buffer_load_dword v116, off, s[0:3], 0 offset:124
	buffer_load_dword v117, off, s[0:3], 0 offset:128
	buffer_load_dword v118, off, s[0:3], 0 offset:132
	buffer_load_dword v119, off, s[0:3], 0 offset:136
	buffer_load_dword v120, off, s[0:3], 0 offset:140
	buffer_load_dword v121, off, s[0:3], 0 offset:144
	buffer_load_dword v122, off, s[0:3], 0 offset:148
	buffer_load_dword v123, off, s[0:3], 0 offset:152
	buffer_load_dword v124, off, s[0:3], 0 offset:156
	buffer_load_dword v125, off, s[0:3], 0 offset:160
	buffer_load_dword v126, off, s[0:3], 0 offset:164
	buffer_load_dword v127, off, s[0:3], 0 offset:168
	buffer_load_dword v128, off, s[0:3], 0 offset:172
	buffer_load_dword v129, off, s[0:3], 0 offset:176
	buffer_load_dword v130, off, s[0:3], 0 offset:180
	buffer_load_dword v131, off, s[0:3], 0 offset:184
	buffer_load_dword v132, off, s[0:3], 0 offset:188
	buffer_load_dword v133, off, s[0:3], 0 offset:192
	buffer_load_dword v134, off, s[0:3], 0 offset:196
	buffer_load_dword v135, off, s[0:3], 0 offset:200
	buffer_load_dword v136, off, s[0:3], 0 offset:204
	buffer_load_dword v137, off, s[0:3], 0 offset:208
	buffer_load_dword v138, off, s[0:3], 0 offset:212
	buffer_load_dword v139, off, s[0:3], 0 offset:216
	buffer_load_dword v140, off, s[0:3], 0 offset:220
	buffer_load_dword v141, off, s[0:3], 0 offset:224
	buffer_load_dword v142, off, s[0:3], 0 offset:228
	buffer_load_dword v143, off, s[0:3], 0 offset:232
	buffer_load_dword v144, off, s[0:3], 0 offset:236
	buffer_load_dword v145, off, s[0:3], 0 offset:240
	buffer_load_dword v146, off, s[0:3], 0 offset:244
	buffer_load_dword v147, off, s[0:3], 0 offset:248
	buffer_load_dword v148, off, s[0:3], 0 offset:252
	buffer_load_dword v149, off, s[0:3], 0 offset:256
	buffer_load_dword v150, off, s[0:3], 0 offset:260
	buffer_load_dword v151, off, s[0:3], 0 offset:264
	buffer_load_dword v152, off, s[0:3], 0 offset:268
	buffer_load_dword v153, off, s[0:3], 0 offset:272
	buffer_load_dword v154, off, s[0:3], 0 offset:276
	buffer_load_dword v155, off, s[0:3], 0 offset:280
	buffer_load_dword v156, off, s[0:3], 0 offset:284
	buffer_load_dword v157, off, s[0:3], 0 offset:288
	buffer_load_dword v158, off, s[0:3], 0 offset:292
	buffer_load_dword v159, off, s[0:3], 0 offset:296
	buffer_load_dword v160, off, s[0:3], 0 offset:300
	buffer_load_dword v161, off, s[0:3], 0 offset:304
	buffer_load_dword v162, off, s[0:3], 0 offset:308
	buffer_load_dword v163, off, s[0:3], 0 offset:312
	buffer_load_dword v164, off, s[0:3], 0 offset:316
	buffer_load_dword v165, off, s[0:3], 0 offset:320
	buffer_load_dword v166, off, s[0:3], 0 offset:324
	buffer_load_dword v167, off, s[0:3], 0 offset:328
	buffer_load_dword v168, off, s[0:3], 0 offset:332
	s_waitcnt vmcnt(62)
	global_store_dwordx2 v[73:74], v[85:86], off
	global_store_dwordx2 v[75:76], v[87:88], off
	;; [unrolled: 1-line block ×8, first 2 shown]
	s_waitcnt vmcnt(62)
	global_store_dwordx2 v[13:14], v[101:102], off
	global_store_dwordx2 v[15:16], v[103:104], off
	global_store_dwordx2 v[17:18], v[105:106], off
	global_store_dwordx2 v[19:20], v[107:108], off
	global_store_dwordx2 v[21:22], v[109:110], off
	global_store_dwordx2 v[23:24], v[111:112], off
	global_store_dwordx2 v[25:26], v[113:114], off
	s_waitcnt vmcnt(62)
	global_store_dwordx2 v[27:28], v[115:116], off
	global_store_dwordx2 v[29:30], v[117:118], off
	;; [unrolled: 1-line block ×3, first 2 shown]
	s_waitcnt vmcnt(62)
	global_store_dwordx2 v[33:34], v[121:122], off
	global_store_dwordx2 v[35:36], v[123:124], off
	s_waitcnt vmcnt(62)
	global_store_dwordx2 v[37:38], v[125:126], off
	s_waitcnt vmcnt(61)
	;; [unrolled: 2-line block ×22, first 2 shown]
	global_store_dwordx2 v[83:84], v[167:168], off
	s_endpgm
	.section	.rodata,"a",@progbits
	.p2align	6, 0x0
	.amdhsa_kernel _ZN9rocsolver6v33100L18getri_kernel_smallILi42E19rocblas_complex_numIfEPS3_EEvT1_iilPiilS6_bb
		.amdhsa_group_segment_fixed_size 676
		.amdhsa_private_segment_fixed_size 352
		.amdhsa_kernarg_size 60
		.amdhsa_user_sgpr_count 6
		.amdhsa_user_sgpr_private_segment_buffer 1
		.amdhsa_user_sgpr_dispatch_ptr 0
		.amdhsa_user_sgpr_queue_ptr 0
		.amdhsa_user_sgpr_kernarg_segment_ptr 1
		.amdhsa_user_sgpr_dispatch_id 0
		.amdhsa_user_sgpr_flat_scratch_init 0
		.amdhsa_user_sgpr_private_segment_size 0
		.amdhsa_uses_dynamic_stack 0
		.amdhsa_system_sgpr_private_segment_wavefront_offset 1
		.amdhsa_system_sgpr_workgroup_id_x 1
		.amdhsa_system_sgpr_workgroup_id_y 0
		.amdhsa_system_sgpr_workgroup_id_z 0
		.amdhsa_system_sgpr_workgroup_info 0
		.amdhsa_system_vgpr_workitem_id 0
		.amdhsa_next_free_vgpr 253
		.amdhsa_next_free_sgpr 24
		.amdhsa_reserve_vcc 1
		.amdhsa_reserve_flat_scratch 0
		.amdhsa_float_round_mode_32 0
		.amdhsa_float_round_mode_16_64 0
		.amdhsa_float_denorm_mode_32 3
		.amdhsa_float_denorm_mode_16_64 3
		.amdhsa_dx10_clamp 1
		.amdhsa_ieee_mode 1
		.amdhsa_fp16_overflow 0
		.amdhsa_exception_fp_ieee_invalid_op 0
		.amdhsa_exception_fp_denorm_src 0
		.amdhsa_exception_fp_ieee_div_zero 0
		.amdhsa_exception_fp_ieee_overflow 0
		.amdhsa_exception_fp_ieee_underflow 0
		.amdhsa_exception_fp_ieee_inexact 0
		.amdhsa_exception_int_div_zero 0
	.end_amdhsa_kernel
	.section	.text._ZN9rocsolver6v33100L18getri_kernel_smallILi42E19rocblas_complex_numIfEPS3_EEvT1_iilPiilS6_bb,"axG",@progbits,_ZN9rocsolver6v33100L18getri_kernel_smallILi42E19rocblas_complex_numIfEPS3_EEvT1_iilPiilS6_bb,comdat
.Lfunc_end41:
	.size	_ZN9rocsolver6v33100L18getri_kernel_smallILi42E19rocblas_complex_numIfEPS3_EEvT1_iilPiilS6_bb, .Lfunc_end41-_ZN9rocsolver6v33100L18getri_kernel_smallILi42E19rocblas_complex_numIfEPS3_EEvT1_iilPiilS6_bb
                                        ; -- End function
	.set _ZN9rocsolver6v33100L18getri_kernel_smallILi42E19rocblas_complex_numIfEPS3_EEvT1_iilPiilS6_bb.num_vgpr, 253
	.set _ZN9rocsolver6v33100L18getri_kernel_smallILi42E19rocblas_complex_numIfEPS3_EEvT1_iilPiilS6_bb.num_agpr, 0
	.set _ZN9rocsolver6v33100L18getri_kernel_smallILi42E19rocblas_complex_numIfEPS3_EEvT1_iilPiilS6_bb.numbered_sgpr, 24
	.set _ZN9rocsolver6v33100L18getri_kernel_smallILi42E19rocblas_complex_numIfEPS3_EEvT1_iilPiilS6_bb.num_named_barrier, 0
	.set _ZN9rocsolver6v33100L18getri_kernel_smallILi42E19rocblas_complex_numIfEPS3_EEvT1_iilPiilS6_bb.private_seg_size, 352
	.set _ZN9rocsolver6v33100L18getri_kernel_smallILi42E19rocblas_complex_numIfEPS3_EEvT1_iilPiilS6_bb.uses_vcc, 1
	.set _ZN9rocsolver6v33100L18getri_kernel_smallILi42E19rocblas_complex_numIfEPS3_EEvT1_iilPiilS6_bb.uses_flat_scratch, 0
	.set _ZN9rocsolver6v33100L18getri_kernel_smallILi42E19rocblas_complex_numIfEPS3_EEvT1_iilPiilS6_bb.has_dyn_sized_stack, 0
	.set _ZN9rocsolver6v33100L18getri_kernel_smallILi42E19rocblas_complex_numIfEPS3_EEvT1_iilPiilS6_bb.has_recursion, 0
	.set _ZN9rocsolver6v33100L18getri_kernel_smallILi42E19rocblas_complex_numIfEPS3_EEvT1_iilPiilS6_bb.has_indirect_call, 0
	.section	.AMDGPU.csdata,"",@progbits
; Kernel info:
; codeLenInByte = 69308
; TotalNumSgprs: 28
; NumVgprs: 253
; ScratchSize: 352
; MemoryBound: 0
; FloatMode: 240
; IeeeMode: 1
; LDSByteSize: 676 bytes/workgroup (compile time only)
; SGPRBlocks: 3
; VGPRBlocks: 63
; NumSGPRsForWavesPerEU: 28
; NumVGPRsForWavesPerEU: 253
; Occupancy: 1
; WaveLimiterHint : 1
; COMPUTE_PGM_RSRC2:SCRATCH_EN: 1
; COMPUTE_PGM_RSRC2:USER_SGPR: 6
; COMPUTE_PGM_RSRC2:TRAP_HANDLER: 0
; COMPUTE_PGM_RSRC2:TGID_X_EN: 1
; COMPUTE_PGM_RSRC2:TGID_Y_EN: 0
; COMPUTE_PGM_RSRC2:TGID_Z_EN: 0
; COMPUTE_PGM_RSRC2:TIDIG_COMP_CNT: 0
	.section	.text._ZN9rocsolver6v33100L18getri_kernel_smallILi43E19rocblas_complex_numIfEPS3_EEvT1_iilPiilS6_bb,"axG",@progbits,_ZN9rocsolver6v33100L18getri_kernel_smallILi43E19rocblas_complex_numIfEPS3_EEvT1_iilPiilS6_bb,comdat
	.globl	_ZN9rocsolver6v33100L18getri_kernel_smallILi43E19rocblas_complex_numIfEPS3_EEvT1_iilPiilS6_bb ; -- Begin function _ZN9rocsolver6v33100L18getri_kernel_smallILi43E19rocblas_complex_numIfEPS3_EEvT1_iilPiilS6_bb
	.p2align	8
	.type	_ZN9rocsolver6v33100L18getri_kernel_smallILi43E19rocblas_complex_numIfEPS3_EEvT1_iilPiilS6_bb,@function
_ZN9rocsolver6v33100L18getri_kernel_smallILi43E19rocblas_complex_numIfEPS3_EEvT1_iilPiilS6_bb: ; @_ZN9rocsolver6v33100L18getri_kernel_smallILi43E19rocblas_complex_numIfEPS3_EEvT1_iilPiilS6_bb
; %bb.0:
	s_add_u32 s0, s0, s7
	s_addc_u32 s1, s1, 0
	v_cmp_gt_u32_e32 vcc, 43, v0
	s_and_saveexec_b64 s[8:9], vcc
	s_cbranch_execz .LBB42_186
; %bb.1:
	s_load_dword s12, s[4:5], 0x38
	s_load_dwordx4 s[16:19], s[4:5], 0x10
	s_load_dwordx4 s[8:11], s[4:5], 0x28
                                        ; implicit-def: $sgpr20_sgpr21
	s_waitcnt lgkmcnt(0)
	s_bitcmp1_b32 s12, 8
	s_cselect_b64 s[22:23], -1, 0
	s_ashr_i32 s7, s6, 31
	s_bfe_u32 s12, s12, 0x10008
	s_cmp_eq_u32 s12, 0
	s_cbranch_scc1 .LBB42_3
; %bb.2:
	s_load_dword s12, s[4:5], 0x20
	s_mul_i32 s13, s8, s7
	s_mul_hi_u32 s14, s8, s6
	s_mul_i32 s9, s9, s6
	s_add_i32 s14, s14, s13
	s_add_i32 s9, s14, s9
	s_mul_i32 s8, s8, s6
	s_waitcnt lgkmcnt(0)
	s_ashr_i32 s13, s12, 31
	s_lshl_b64 s[8:9], s[8:9], 2
	s_add_u32 s14, s18, s8
	s_addc_u32 s15, s19, s9
	s_lshl_b64 s[8:9], s[12:13], 2
	s_add_u32 s20, s14, s8
	s_addc_u32 s21, s15, s9
.LBB42_3:
	s_load_dwordx4 s[12:15], s[4:5], 0x0
	s_load_dword s8, s[4:5], 0x38
	s_mul_i32 s9, s16, s7
	s_mul_hi_u32 s18, s16, s6
	s_add_i32 s9, s18, s9
	s_waitcnt lgkmcnt(0)
	s_ashr_i32 s5, s14, 31
	s_mov_b32 s4, s14
	s_mul_i32 s14, s17, s6
	s_add_i32 s17, s9, s14
	s_mul_i32 s16, s16, s6
	s_lshl_b64 s[16:17], s[16:17], 3
	s_add_u32 s9, s12, s16
	s_addc_u32 s12, s13, s17
	s_lshl_b64 s[4:5], s[4:5], 3
	s_add_u32 s4, s9, s4
	s_addc_u32 s5, s12, s5
	s_add_i32 s9, s15, s15
	v_add_u32_e32 v3, s9, v0
	v_ashrrev_i32_e32 v4, 31, v3
	v_lshlrev_b64 v[1:2], 3, v[3:4]
	v_add_u32_e32 v5, s15, v3
	v_mov_b32_e32 v4, s5
	v_add_co_u32_e32 v1, vcc, s4, v1
	v_ashrrev_i32_e32 v6, 31, v5
	v_addc_co_u32_e32 v2, vcc, v4, v2, vcc
	v_lshlrev_b64 v[3:4], 3, v[5:6]
	v_add_u32_e32 v7, s15, v5
	v_mov_b32_e32 v6, s5
	v_add_co_u32_e32 v3, vcc, s4, v3
	v_ashrrev_i32_e32 v8, 31, v7
	v_addc_co_u32_e32 v4, vcc, v6, v4, vcc
	v_lshlrev_b64 v[5:6], 3, v[7:8]
	v_add_u32_e32 v9, s15, v7
	v_mov_b32_e32 v8, s5
	v_add_co_u32_e32 v5, vcc, s4, v5
	v_ashrrev_i32_e32 v10, 31, v9
	v_addc_co_u32_e32 v6, vcc, v8, v6, vcc
	v_lshlrev_b64 v[7:8], 3, v[9:10]
	v_add_u32_e32 v11, s15, v9
	v_mov_b32_e32 v10, s5
	v_add_co_u32_e32 v7, vcc, s4, v7
	v_ashrrev_i32_e32 v12, 31, v11
	v_addc_co_u32_e32 v8, vcc, v10, v8, vcc
	v_lshlrev_b64 v[9:10], 3, v[11:12]
	v_add_u32_e32 v13, s15, v11
	v_mov_b32_e32 v12, s5
	v_add_co_u32_e32 v9, vcc, s4, v9
	v_ashrrev_i32_e32 v14, 31, v13
	v_addc_co_u32_e32 v10, vcc, v12, v10, vcc
	v_lshlrev_b64 v[11:12], 3, v[13:14]
	v_add_u32_e32 v15, s15, v13
	v_mov_b32_e32 v14, s5
	v_add_co_u32_e32 v11, vcc, s4, v11
	v_ashrrev_i32_e32 v16, 31, v15
	v_addc_co_u32_e32 v12, vcc, v14, v12, vcc
	v_lshlrev_b64 v[13:14], 3, v[15:16]
	v_add_u32_e32 v17, s15, v15
	v_mov_b32_e32 v16, s5
	v_add_co_u32_e32 v13, vcc, s4, v13
	v_ashrrev_i32_e32 v18, 31, v17
	v_addc_co_u32_e32 v14, vcc, v16, v14, vcc
	v_lshlrev_b64 v[15:16], 3, v[17:18]
	v_add_u32_e32 v19, s15, v17
	v_mov_b32_e32 v18, s5
	v_add_co_u32_e32 v15, vcc, s4, v15
	v_ashrrev_i32_e32 v20, 31, v19
	v_addc_co_u32_e32 v16, vcc, v18, v16, vcc
	v_lshlrev_b64 v[17:18], 3, v[19:20]
	v_mov_b32_e32 v21, s5
	v_add_co_u32_e32 v17, vcc, s4, v17
	v_addc_co_u32_e32 v18, vcc, v21, v18, vcc
	v_add_u32_e32 v21, s15, v19
	v_ashrrev_i32_e32 v22, 31, v21
	v_lshlrev_b64 v[19:20], 3, v[21:22]
	v_mov_b32_e32 v23, s5
	v_add_co_u32_e32 v19, vcc, s4, v19
	v_addc_co_u32_e32 v20, vcc, v23, v20, vcc
	v_add_u32_e32 v23, s15, v21
	v_ashrrev_i32_e32 v24, 31, v23
	;; [unrolled: 6-line block ×27, first 2 shown]
	v_lshlrev_b64 v[71:72], 3, v[73:74]
	v_mov_b32_e32 v75, s5
	v_add_co_u32_e32 v71, vcc, s4, v71
	v_addc_co_u32_e32 v72, vcc, v75, v72, vcc
	v_lshlrev_b32_e32 v89, 3, v0
	v_add_u32_e32 v79, s15, v73
	v_mov_b32_e32 v73, s5
	v_add_co_u32_e32 v75, vcc, s4, v89
	s_ashr_i32 s13, s15, 31
	s_mov_b32 s12, s15
	v_addc_co_u32_e32 v76, vcc, 0, v73, vcc
	s_lshl_b64 s[12:13], s[12:13], 3
	v_mov_b32_e32 v73, s13
	v_add_co_u32_e32 v77, vcc, s12, v75
	v_addc_co_u32_e32 v78, vcc, v76, v73, vcc
	global_load_dwordx2 v[87:88], v89, s[4:5]
	global_load_dwordx2 v[90:91], v[77:78], off
	s_nop 0
	buffer_store_dword v1, off, s[0:3], 0 offset:344 ; 4-byte Folded Spill
	s_nop 0
	buffer_store_dword v2, off, s[0:3], 0 offset:348 ; 4-byte Folded Spill
	v_ashrrev_i32_e32 v80, 31, v79
	v_lshlrev_b64 v[73:74], 3, v[79:80]
	v_mov_b32_e32 v81, s5
	v_add_co_u32_e32 v73, vcc, s4, v73
	v_addc_co_u32_e32 v74, vcc, v81, v74, vcc
	v_add_u32_e32 v81, s15, v79
	v_ashrrev_i32_e32 v82, 31, v81
	v_lshlrev_b64 v[79:80], 3, v[81:82]
	v_mov_b32_e32 v83, s5
	v_add_co_u32_e32 v79, vcc, s4, v79
	v_addc_co_u32_e32 v80, vcc, v83, v80, vcc
	v_add_u32_e32 v83, s15, v81
	;; [unrolled: 6-line block ×4, first 2 shown]
	v_ashrrev_i32_e32 v86, 31, v85
	v_lshlrev_b64 v[85:86], 3, v[85:86]
	v_mov_b32_e32 v162, s5
	v_add_co_u32_e32 v85, vcc, s4, v85
	v_addc_co_u32_e32 v86, vcc, v162, v86, vcc
	s_bitcmp0_b32 s8, 0
	s_mov_b64 s[8:9], -1
	global_load_dwordx2 v[92:93], v[1:2], off
	s_nop 0
	buffer_store_dword v3, off, s[0:3], 0 offset:352 ; 4-byte Folded Spill
	s_nop 0
	buffer_store_dword v4, off, s[0:3], 0 offset:356 ; 4-byte Folded Spill
	global_load_dwordx2 v[94:95], v[3:4], off
	global_load_dwordx2 v[96:97], v[5:6], off
	;; [unrolled: 1-line block ×38, first 2 shown]
	s_waitcnt vmcnt(44)
	buffer_store_dword v88, off, s[0:3], 0 offset:4
	buffer_store_dword v87, off, s[0:3], 0
	global_load_dwordx2 v[87:88], v[79:80], off
	s_waitcnt vmcnt(46)
	buffer_store_dword v91, off, s[0:3], 0 offset:12
	buffer_store_dword v90, off, s[0:3], 0 offset:8
	global_load_dwordx2 v[90:91], v[83:84], off
	s_waitcnt vmcnt(46)
	buffer_store_dword v93, off, s[0:3], 0 offset:20
	buffer_store_dword v92, off, s[0:3], 0 offset:16
	s_waitcnt vmcnt(45)
	buffer_store_dword v95, off, s[0:3], 0 offset:28
	buffer_store_dword v94, off, s[0:3], 0 offset:24
	;; [unrolled: 3-line block ×20, first 2 shown]
	buffer_store_dword v132, off, s[0:3], 0 offset:176
	buffer_store_dword v133, off, s[0:3], 0 offset:180
	s_waitcnt vmcnt(62)
	buffer_store_dword v134, off, s[0:3], 0 offset:184
	buffer_store_dword v135, off, s[0:3], 0 offset:188
	;; [unrolled: 1-line block ×8, first 2 shown]
	s_waitcnt vmcnt(62)
	buffer_store_dword v142, off, s[0:3], 0 offset:216
	buffer_store_dword v143, off, s[0:3], 0 offset:220
	;; [unrolled: 1-line block ×16, first 2 shown]
	s_waitcnt vmcnt(62)
	buffer_store_dword v158, off, s[0:3], 0 offset:280
	buffer_store_dword v159, off, s[0:3], 0 offset:284
	;; [unrolled: 1-line block ×16, first 2 shown]
	s_cbranch_scc1 .LBB42_184
; %bb.4:
	v_cmp_eq_u32_e64 s[4:5], 0, v0
	s_and_saveexec_b64 s[8:9], s[4:5]
; %bb.5:
	v_mov_b32_e32 v87, 0
	ds_write_b32 v87, v87 offset:344
; %bb.6:
	s_or_b64 exec, exec, s[8:9]
	v_mov_b32_e32 v87, 0
	v_lshl_add_u32 v91, v0, 3, v87
	s_waitcnt lgkmcnt(0)
	; wave barrier
	buffer_load_dword v87, v91, s[0:3], 0 offen
	buffer_load_dword v88, v91, s[0:3], 0 offen offset:4
	s_waitcnt vmcnt(1)
	v_cmp_eq_f32_e32 vcc, 0, v87
	s_waitcnt vmcnt(0)
	v_cmp_eq_f32_e64 s[8:9], 0, v88
	s_and_b64 s[8:9], vcc, s[8:9]
	s_and_saveexec_b64 s[12:13], s[8:9]
	s_cbranch_execz .LBB42_10
; %bb.7:
	v_mov_b32_e32 v87, 0
	ds_read_b32 v90, v87 offset:344
	v_add_u32_e32 v88, 1, v0
	s_waitcnt lgkmcnt(0)
	v_readfirstlane_b32 s8, v90
	s_cmp_eq_u32 s8, 0
	s_cselect_b64 s[14:15], -1, 0
	v_cmp_gt_i32_e32 vcc, s8, v88
	s_or_b64 s[14:15], s[14:15], vcc
	s_and_b64 exec, exec, s[14:15]
	s_cbranch_execz .LBB42_10
; %bb.8:
	s_mov_b64 s[14:15], 0
	v_mov_b32_e32 v90, s8
.LBB42_9:                               ; =>This Inner Loop Header: Depth=1
	ds_cmpst_rtn_b32 v90, v87, v90, v88 offset:344
	s_waitcnt lgkmcnt(0)
	v_cmp_ne_u32_e32 vcc, 0, v90
	v_cmp_le_i32_e64 s[8:9], v90, v88
	s_and_b64 s[8:9], vcc, s[8:9]
	s_and_b64 s[8:9], exec, s[8:9]
	s_or_b64 s[14:15], s[8:9], s[14:15]
	s_andn2_b64 exec, exec, s[14:15]
	s_cbranch_execnz .LBB42_9
.LBB42_10:
	s_or_b64 exec, exec, s[12:13]
	v_mov_b32_e32 v88, 0
	; wave barrier
	ds_read_b32 v87, v88 offset:344
	s_and_saveexec_b64 s[8:9], s[4:5]
	s_cbranch_execz .LBB42_12
; %bb.11:
	s_lshl_b64 s[12:13], s[6:7], 2
	s_add_u32 s12, s10, s12
	s_addc_u32 s13, s11, s13
	s_waitcnt lgkmcnt(0)
	global_store_dword v88, v87, s[12:13]
.LBB42_12:
	s_or_b64 exec, exec, s[8:9]
	s_waitcnt lgkmcnt(0)
	v_cmp_ne_u32_e32 vcc, 0, v87
	s_mov_b64 s[8:9], 0
	s_cbranch_vccnz .LBB42_184
; %bb.13:
	buffer_load_dword v88, v91, s[0:3], 0 offen
	buffer_load_dword v90, v91, s[0:3], 0 offen offset:4
                                        ; implicit-def: $vgpr93
                                        ; implicit-def: $vgpr92
                                        ; implicit-def: $vgpr87
	s_waitcnt vmcnt(0)
	v_cmp_ngt_f32_e64 s[8:9], |v88|, |v90|
	s_and_saveexec_b64 s[12:13], s[8:9]
	s_xor_b64 s[8:9], exec, s[12:13]
	s_cbranch_execz .LBB42_15
; %bb.14:
	v_div_scale_f32 v87, s[12:13], v90, v90, v88
	v_div_scale_f32 v92, vcc, v88, v90, v88
	v_rcp_f32_e32 v93, v87
	v_fma_f32 v94, -v87, v93, 1.0
	v_fmac_f32_e32 v93, v94, v93
	v_mul_f32_e32 v94, v92, v93
	v_fma_f32 v95, -v87, v94, v92
	v_fmac_f32_e32 v94, v95, v93
	v_fma_f32 v87, -v87, v94, v92
	v_div_fmas_f32 v87, v87, v93, v94
	v_div_fixup_f32 v87, v87, v90, v88
	v_fmac_f32_e32 v90, v88, v87
	v_div_scale_f32 v88, s[12:13], v90, v90, 1.0
	v_div_scale_f32 v92, vcc, 1.0, v90, 1.0
	v_rcp_f32_e32 v93, v88
	v_fma_f32 v94, -v88, v93, 1.0
	v_fmac_f32_e32 v93, v94, v93
	v_mul_f32_e32 v94, v92, v93
	v_fma_f32 v95, -v88, v94, v92
	v_fmac_f32_e32 v94, v95, v93
	v_fma_f32 v88, -v88, v94, v92
	v_div_fmas_f32 v88, v88, v93, v94
	v_div_fixup_f32 v88, v88, v90, 1.0
	v_mul_f32_e32 v93, v87, v88
	v_xor_b32_e32 v92, 0x80000000, v88
	v_xor_b32_e32 v87, 0x80000000, v93
                                        ; implicit-def: $vgpr88
                                        ; implicit-def: $vgpr90
.LBB42_15:
	s_andn2_saveexec_b64 s[8:9], s[8:9]
	s_cbranch_execz .LBB42_17
; %bb.16:
	v_div_scale_f32 v87, s[12:13], v88, v88, v90
	v_div_scale_f32 v92, vcc, v90, v88, v90
	v_rcp_f32_e32 v93, v87
	v_fma_f32 v94, -v87, v93, 1.0
	v_fmac_f32_e32 v93, v94, v93
	v_mul_f32_e32 v94, v92, v93
	v_fma_f32 v95, -v87, v94, v92
	v_fmac_f32_e32 v94, v95, v93
	v_fma_f32 v87, -v87, v94, v92
	v_div_fmas_f32 v87, v87, v93, v94
	v_div_fixup_f32 v92, v87, v88, v90
	v_fmac_f32_e32 v88, v90, v92
	v_div_scale_f32 v87, s[12:13], v88, v88, 1.0
	v_div_scale_f32 v90, vcc, 1.0, v88, 1.0
	v_rcp_f32_e32 v93, v87
	v_fma_f32 v94, -v87, v93, 1.0
	v_fmac_f32_e32 v93, v94, v93
	v_mul_f32_e32 v94, v90, v93
	v_fma_f32 v95, -v87, v94, v90
	v_fmac_f32_e32 v94, v95, v93
	v_fma_f32 v87, -v87, v94, v90
	v_div_fmas_f32 v87, v87, v93, v94
	v_div_fixup_f32 v93, v87, v88, 1.0
	v_xor_b32_e32 v87, 0x80000000, v93
	v_mul_f32_e64 v92, v92, -v93
.LBB42_17:
	s_or_b64 exec, exec, s[8:9]
	buffer_store_dword v93, v91, s[0:3], 0 offen
	buffer_store_dword v92, v91, s[0:3], 0 offen offset:4
	buffer_load_dword v94, off, s[0:3], 0 offset:12
	s_nop 0
	buffer_load_dword v93, off, s[0:3], 0 offset:8
	v_xor_b32_e32 v88, 0x80000000, v92
	v_add_u32_e32 v90, 0x160, v89
	s_waitcnt vmcnt(0)
	ds_write2_b64 v89, v[87:88], v[93:94] offset1:44
	s_waitcnt lgkmcnt(0)
	; wave barrier
	s_and_saveexec_b64 s[8:9], s[4:5]
	s_cbranch_execz .LBB42_19
; %bb.18:
	buffer_load_dword v94, v91, s[0:3], 0 offen offset:4
	buffer_load_dword v95, v91, s[0:3], 0 offen
	ds_read_b64 v[87:88], v90
	v_mov_b32_e32 v92, 0
	ds_read_b64 v[92:93], v92 offset:8
	s_waitcnt vmcnt(1) lgkmcnt(1)
	v_mul_f32_e32 v96, v88, v94
	v_mul_f32_e32 v94, v87, v94
	s_waitcnt vmcnt(0)
	v_fmac_f32_e32 v94, v88, v95
	v_fma_f32 v87, v87, v95, -v96
	v_add_f32_e32 v88, 0, v94
	v_add_f32_e32 v87, 0, v87
	s_waitcnt lgkmcnt(0)
	v_mul_f32_e32 v94, v88, v93
	v_mul_f32_e32 v93, v87, v93
	v_fma_f32 v87, v87, v92, -v94
	v_fmac_f32_e32 v93, v88, v92
	buffer_store_dword v87, off, s[0:3], 0 offset:8
	buffer_store_dword v93, off, s[0:3], 0 offset:12
.LBB42_19:
	s_or_b64 exec, exec, s[8:9]
	; wave barrier
	buffer_load_dword v87, off, s[0:3], 0 offset:16
	buffer_load_dword v88, off, s[0:3], 0 offset:20
	v_cmp_gt_u32_e32 vcc, 2, v0
	s_waitcnt vmcnt(0)
	ds_write_b64 v90, v[87:88]
	s_waitcnt lgkmcnt(0)
	; wave barrier
	s_and_saveexec_b64 s[8:9], vcc
	s_cbranch_execz .LBB42_23
; %bb.20:
	buffer_load_dword v92, v91, s[0:3], 0 offen offset:4
	buffer_load_dword v93, v91, s[0:3], 0 offen
	ds_read_b64 v[87:88], v90
	s_waitcnt vmcnt(1) lgkmcnt(0)
	v_mul_f32_e32 v91, v88, v92
	v_mul_f32_e32 v92, v87, v92
	s_waitcnt vmcnt(0)
	v_fma_f32 v87, v87, v93, -v91
	v_fmac_f32_e32 v92, v88, v93
	v_add_f32_e32 v88, 0, v87
	v_add_f32_e32 v87, 0, v92
	s_and_saveexec_b64 s[12:13], s[4:5]
	s_cbranch_execz .LBB42_22
; %bb.21:
	buffer_load_dword v93, off, s[0:3], 0 offset:12
	buffer_load_dword v94, off, s[0:3], 0 offset:8
	v_mov_b32_e32 v91, 0
	ds_read_b64 v[91:92], v91 offset:360
	s_waitcnt vmcnt(1) lgkmcnt(0)
	v_mul_f32_e32 v95, v91, v93
	v_mul_f32_e32 v93, v92, v93
	s_waitcnt vmcnt(0)
	v_fmac_f32_e32 v95, v92, v94
	v_fma_f32 v91, v91, v94, -v93
	v_add_f32_e32 v87, v87, v95
	v_add_f32_e32 v88, v88, v91
.LBB42_22:
	s_or_b64 exec, exec, s[12:13]
	v_mov_b32_e32 v91, 0
	ds_read_b64 v[91:92], v91 offset:16
	s_waitcnt lgkmcnt(0)
	v_mul_f32_e32 v93, v87, v92
	v_mul_f32_e32 v92, v88, v92
	v_fma_f32 v88, v88, v91, -v93
	v_fmac_f32_e32 v92, v87, v91
	buffer_store_dword v88, off, s[0:3], 0 offset:16
	buffer_store_dword v92, off, s[0:3], 0 offset:20
.LBB42_23:
	s_or_b64 exec, exec, s[8:9]
	; wave barrier
	buffer_load_dword v87, off, s[0:3], 0 offset:24
	buffer_load_dword v88, off, s[0:3], 0 offset:28
	v_cmp_gt_u32_e32 vcc, 3, v0
	s_waitcnt vmcnt(0)
	ds_write_b64 v90, v[87:88]
	v_add_u32_e32 v87, -1, v0
	s_waitcnt lgkmcnt(0)
	; wave barrier
	s_and_saveexec_b64 s[4:5], vcc
	s_cbranch_execz .LBB42_27
; %bb.24:
	v_add_u32_e32 v91, -1, v0
	v_add_u32_e32 v92, 0x160, v89
	v_mov_b32_e32 v93, v89
	v_mov_b32_e32 v88, 0
	s_mov_b64 s[8:9], 0
	v_mov_b32_e32 v94, 0
.LBB42_25:                              ; =>This Inner Loop Header: Depth=1
	buffer_load_dword v97, v93, s[0:3], 0 offen offset:4
	buffer_load_dword v98, v93, s[0:3], 0 offen
	ds_read_b64 v[95:96], v92
	v_add_u32_e32 v91, 1, v91
	v_cmp_lt_u32_e32 vcc, 1, v91
	v_add_u32_e32 v92, 8, v92
	v_add_u32_e32 v93, 8, v93
	s_or_b64 s[8:9], vcc, s[8:9]
	s_waitcnt vmcnt(1) lgkmcnt(0)
	v_mul_f32_e32 v99, v96, v97
	v_mul_f32_e32 v97, v95, v97
	s_waitcnt vmcnt(0)
	v_fma_f32 v95, v95, v98, -v99
	v_fmac_f32_e32 v97, v96, v98
	v_add_f32_e32 v94, v94, v95
	v_add_f32_e32 v88, v88, v97
	s_andn2_b64 exec, exec, s[8:9]
	s_cbranch_execnz .LBB42_25
; %bb.26:
	s_or_b64 exec, exec, s[8:9]
	v_mov_b32_e32 v91, 0
	ds_read_b64 v[91:92], v91 offset:24
	s_waitcnt lgkmcnt(0)
	v_mul_f32_e32 v93, v88, v92
	v_mul_f32_e32 v92, v94, v92
	v_fma_f32 v93, v94, v91, -v93
	v_fmac_f32_e32 v92, v88, v91
	buffer_store_dword v93, off, s[0:3], 0 offset:24
	buffer_store_dword v92, off, s[0:3], 0 offset:28
.LBB42_27:
	s_or_b64 exec, exec, s[4:5]
	; wave barrier
	buffer_load_dword v91, off, s[0:3], 0 offset:32
	buffer_load_dword v92, off, s[0:3], 0 offset:36
	v_cmp_gt_u32_e32 vcc, 4, v0
	s_waitcnt vmcnt(0)
	ds_write_b64 v90, v[91:92]
	s_waitcnt lgkmcnt(0)
	; wave barrier
	s_and_saveexec_b64 s[4:5], vcc
	s_cbranch_execz .LBB42_31
; %bb.28:
	v_add_u32_e32 v91, -1, v0
	v_add_u32_e32 v92, 0x160, v89
	v_mov_b32_e32 v93, v89
	v_mov_b32_e32 v88, 0
	s_mov_b64 s[8:9], 0
	v_mov_b32_e32 v94, 0
.LBB42_29:                              ; =>This Inner Loop Header: Depth=1
	buffer_load_dword v97, v93, s[0:3], 0 offen offset:4
	buffer_load_dword v98, v93, s[0:3], 0 offen
	ds_read_b64 v[95:96], v92
	v_add_u32_e32 v91, 1, v91
	v_cmp_lt_u32_e32 vcc, 2, v91
	v_add_u32_e32 v92, 8, v92
	v_add_u32_e32 v93, 8, v93
	s_or_b64 s[8:9], vcc, s[8:9]
	s_waitcnt vmcnt(1) lgkmcnt(0)
	v_mul_f32_e32 v99, v96, v97
	v_mul_f32_e32 v97, v95, v97
	s_waitcnt vmcnt(0)
	v_fma_f32 v95, v95, v98, -v99
	v_fmac_f32_e32 v97, v96, v98
	v_add_f32_e32 v94, v94, v95
	v_add_f32_e32 v88, v88, v97
	s_andn2_b64 exec, exec, s[8:9]
	s_cbranch_execnz .LBB42_29
; %bb.30:
	s_or_b64 exec, exec, s[8:9]
	v_mov_b32_e32 v91, 0
	ds_read_b64 v[91:92], v91 offset:32
	s_waitcnt lgkmcnt(0)
	v_mul_f32_e32 v93, v88, v92
	v_mul_f32_e32 v92, v94, v92
	v_fma_f32 v93, v94, v91, -v93
	v_fmac_f32_e32 v92, v88, v91
	buffer_store_dword v93, off, s[0:3], 0 offset:32
	buffer_store_dword v92, off, s[0:3], 0 offset:36
.LBB42_31:
	s_or_b64 exec, exec, s[4:5]
	; wave barrier
	buffer_load_dword v91, off, s[0:3], 0 offset:40
	buffer_load_dword v92, off, s[0:3], 0 offset:44
	v_cmp_gt_u32_e32 vcc, 5, v0
	s_waitcnt vmcnt(0)
	ds_write_b64 v90, v[91:92]
	;; [unrolled: 49-line block ×19, first 2 shown]
	s_waitcnt lgkmcnt(0)
	; wave barrier
	s_and_saveexec_b64 s[4:5], vcc
	s_cbranch_execz .LBB42_103
; %bb.100:
	v_add_u32_e32 v91, -1, v0
	v_add_u32_e32 v92, 0x160, v89
	v_mov_b32_e32 v93, v89
	v_mov_b32_e32 v88, 0
	s_mov_b64 s[8:9], 0
	v_mov_b32_e32 v94, 0
.LBB42_101:                             ; =>This Inner Loop Header: Depth=1
	buffer_load_dword v97, v93, s[0:3], 0 offen offset:4
	buffer_load_dword v98, v93, s[0:3], 0 offen
	ds_read_b64 v[95:96], v92
	v_add_u32_e32 v91, 1, v91
	v_cmp_lt_u32_e32 vcc, 20, v91
	v_add_u32_e32 v92, 8, v92
	v_add_u32_e32 v93, 8, v93
	s_or_b64 s[8:9], vcc, s[8:9]
	s_waitcnt vmcnt(1) lgkmcnt(0)
	v_mul_f32_e32 v99, v96, v97
	v_mul_f32_e32 v97, v95, v97
	s_waitcnt vmcnt(0)
	v_fma_f32 v95, v95, v98, -v99
	v_fmac_f32_e32 v97, v96, v98
	v_add_f32_e32 v94, v94, v95
	v_add_f32_e32 v88, v88, v97
	s_andn2_b64 exec, exec, s[8:9]
	s_cbranch_execnz .LBB42_101
; %bb.102:
	s_or_b64 exec, exec, s[8:9]
	v_mov_b32_e32 v91, 0
	ds_read_b64 v[91:92], v91 offset:176
	s_waitcnt lgkmcnt(0)
	v_mul_f32_e32 v93, v88, v92
	v_mul_f32_e32 v92, v94, v92
	v_fma_f32 v93, v94, v91, -v93
	v_fmac_f32_e32 v92, v88, v91
	buffer_store_dword v93, off, s[0:3], 0 offset:176
	buffer_store_dword v92, off, s[0:3], 0 offset:180
.LBB42_103:
	s_or_b64 exec, exec, s[4:5]
	; wave barrier
	buffer_load_dword v91, off, s[0:3], 0 offset:184
	buffer_load_dword v92, off, s[0:3], 0 offset:188
	v_cmp_gt_u32_e32 vcc, 23, v0
	s_waitcnt vmcnt(0)
	ds_write_b64 v90, v[91:92]
	s_waitcnt lgkmcnt(0)
	; wave barrier
	s_and_saveexec_b64 s[4:5], vcc
	s_cbranch_execz .LBB42_107
; %bb.104:
	v_add_u32_e32 v91, -1, v0
	v_add_u32_e32 v92, 0x160, v89
	v_mov_b32_e32 v93, v89
	v_mov_b32_e32 v88, 0
	s_mov_b64 s[8:9], 0
	v_mov_b32_e32 v94, 0
.LBB42_105:                             ; =>This Inner Loop Header: Depth=1
	buffer_load_dword v97, v93, s[0:3], 0 offen offset:4
	buffer_load_dword v98, v93, s[0:3], 0 offen
	ds_read_b64 v[95:96], v92
	v_add_u32_e32 v91, 1, v91
	v_cmp_lt_u32_e32 vcc, 21, v91
	v_add_u32_e32 v92, 8, v92
	v_add_u32_e32 v93, 8, v93
	s_or_b64 s[8:9], vcc, s[8:9]
	s_waitcnt vmcnt(1) lgkmcnt(0)
	v_mul_f32_e32 v99, v96, v97
	v_mul_f32_e32 v97, v95, v97
	s_waitcnt vmcnt(0)
	v_fma_f32 v95, v95, v98, -v99
	v_fmac_f32_e32 v97, v96, v98
	v_add_f32_e32 v94, v94, v95
	v_add_f32_e32 v88, v88, v97
	s_andn2_b64 exec, exec, s[8:9]
	s_cbranch_execnz .LBB42_105
; %bb.106:
	s_or_b64 exec, exec, s[8:9]
	v_mov_b32_e32 v91, 0
	ds_read_b64 v[91:92], v91 offset:184
	s_waitcnt lgkmcnt(0)
	v_mul_f32_e32 v93, v88, v92
	v_mul_f32_e32 v92, v94, v92
	v_fma_f32 v93, v94, v91, -v93
	v_fmac_f32_e32 v92, v88, v91
	buffer_store_dword v93, off, s[0:3], 0 offset:184
	buffer_store_dword v92, off, s[0:3], 0 offset:188
.LBB42_107:
	s_or_b64 exec, exec, s[4:5]
	; wave barrier
	buffer_load_dword v91, off, s[0:3], 0 offset:192
	buffer_load_dword v92, off, s[0:3], 0 offset:196
	v_cmp_gt_u32_e32 vcc, 24, v0
	s_waitcnt vmcnt(0)
	ds_write_b64 v90, v[91:92]
	;; [unrolled: 49-line block ×19, first 2 shown]
	s_waitcnt lgkmcnt(0)
	; wave barrier
	s_and_saveexec_b64 s[4:5], vcc
	s_cbranch_execz .LBB42_179
; %bb.176:
	v_add_u32_e32 v91, -1, v0
	v_add_u32_e32 v92, 0x160, v89
	v_mov_b32_e32 v93, v89
	v_mov_b32_e32 v88, 0
	s_mov_b64 s[8:9], 0
	v_mov_b32_e32 v94, 0
.LBB42_177:                             ; =>This Inner Loop Header: Depth=1
	buffer_load_dword v97, v93, s[0:3], 0 offen offset:4
	buffer_load_dword v98, v93, s[0:3], 0 offen
	ds_read_b64 v[95:96], v92
	v_add_u32_e32 v91, 1, v91
	v_cmp_lt_u32_e32 vcc, 39, v91
	v_add_u32_e32 v92, 8, v92
	v_add_u32_e32 v93, 8, v93
	s_or_b64 s[8:9], vcc, s[8:9]
	s_waitcnt vmcnt(1) lgkmcnt(0)
	v_mul_f32_e32 v99, v96, v97
	v_mul_f32_e32 v97, v95, v97
	s_waitcnt vmcnt(0)
	v_fma_f32 v95, v95, v98, -v99
	v_fmac_f32_e32 v97, v96, v98
	v_add_f32_e32 v94, v94, v95
	v_add_f32_e32 v88, v88, v97
	s_andn2_b64 exec, exec, s[8:9]
	s_cbranch_execnz .LBB42_177
; %bb.178:
	s_or_b64 exec, exec, s[8:9]
	v_mov_b32_e32 v91, 0
	ds_read_b64 v[91:92], v91 offset:328
	s_waitcnt lgkmcnt(0)
	v_mul_f32_e32 v93, v88, v92
	v_mul_f32_e32 v92, v94, v92
	v_fma_f32 v93, v94, v91, -v93
	v_fmac_f32_e32 v92, v88, v91
	buffer_store_dword v93, off, s[0:3], 0 offset:328
	buffer_store_dword v92, off, s[0:3], 0 offset:332
.LBB42_179:
	s_or_b64 exec, exec, s[4:5]
	; wave barrier
	buffer_load_dword v91, off, s[0:3], 0 offset:336
	buffer_load_dword v92, off, s[0:3], 0 offset:340
	v_cmp_ne_u32_e32 vcc, 42, v0
	s_waitcnt vmcnt(0)
	ds_write_b64 v90, v[91:92]
	s_waitcnt lgkmcnt(0)
	; wave barrier
	s_and_saveexec_b64 s[4:5], vcc
	s_cbranch_execz .LBB42_183
; %bb.180:
	v_add_u32_e32 v90, 0x160, v89
	v_mov_b32_e32 v88, 0
	s_mov_b64 s[8:9], 0
	v_mov_b32_e32 v91, 0
.LBB42_181:                             ; =>This Inner Loop Header: Depth=1
	buffer_load_dword v94, v89, s[0:3], 0 offen offset:4
	buffer_load_dword v95, v89, s[0:3], 0 offen
	ds_read_b64 v[92:93], v90
	v_add_u32_e32 v87, 1, v87
	v_cmp_lt_u32_e32 vcc, 40, v87
	v_add_u32_e32 v90, 8, v90
	v_add_u32_e32 v89, 8, v89
	s_or_b64 s[8:9], vcc, s[8:9]
	s_waitcnt vmcnt(1) lgkmcnt(0)
	v_mul_f32_e32 v96, v93, v94
	v_mul_f32_e32 v94, v92, v94
	s_waitcnt vmcnt(0)
	v_fma_f32 v92, v92, v95, -v96
	v_fmac_f32_e32 v94, v93, v95
	v_add_f32_e32 v91, v91, v92
	v_add_f32_e32 v88, v88, v94
	s_andn2_b64 exec, exec, s[8:9]
	s_cbranch_execnz .LBB42_181
; %bb.182:
	s_or_b64 exec, exec, s[8:9]
	v_mov_b32_e32 v87, 0
	ds_read_b64 v[89:90], v87 offset:336
	s_waitcnt lgkmcnt(0)
	v_mul_f32_e32 v87, v88, v90
	v_mul_f32_e32 v90, v91, v90
	v_fma_f32 v87, v91, v89, -v87
	v_fmac_f32_e32 v90, v88, v89
	buffer_store_dword v87, off, s[0:3], 0 offset:336
	buffer_store_dword v90, off, s[0:3], 0 offset:340
.LBB42_183:
	s_or_b64 exec, exec, s[4:5]
	s_mov_b64 s[8:9], -1
	; wave barrier
.LBB42_184:
	s_and_b64 vcc, exec, s[8:9]
	s_cbranch_vccz .LBB42_186
; %bb.185:
	s_lshl_b64 s[4:5], s[6:7], 2
	s_add_u32 s4, s10, s4
	s_addc_u32 s5, s11, s5
	v_mov_b32_e32 v87, 0
	global_load_dword v87, v87, s[4:5]
	s_waitcnt vmcnt(0)
	v_cmp_ne_u32_e32 vcc, 0, v87
	s_cbranch_vccz .LBB42_187
.LBB42_186:
	s_endpgm
.LBB42_187:
	v_mov_b32_e32 v87, 0x160
	v_lshl_add_u32 v87, v0, 3, v87
	v_cmp_eq_u32_e32 vcc, 42, v0
	s_and_saveexec_b64 s[4:5], vcc
	s_cbranch_execz .LBB42_189
; %bb.188:
	buffer_load_dword v88, off, s[0:3], 0 offset:328
	buffer_load_dword v89, off, s[0:3], 0 offset:332
	v_mov_b32_e32 v90, 0
	buffer_store_dword v90, off, s[0:3], 0 offset:328
	buffer_store_dword v90, off, s[0:3], 0 offset:332
	s_waitcnt vmcnt(2)
	ds_write_b64 v87, v[88:89]
.LBB42_189:
	s_or_b64 exec, exec, s[4:5]
	s_waitcnt lgkmcnt(0)
	; wave barrier
	buffer_load_dword v91, off, s[0:3], 0 offset:340
	buffer_load_dword v92, off, s[0:3], 0 offset:336
	;; [unrolled: 1-line block ×4, first 2 shown]
	v_mov_b32_e32 v88, 0
	ds_read_b64 v[89:90], v88 offset:688
	v_cmp_lt_u32_e32 vcc, 40, v0
	s_waitcnt vmcnt(3) lgkmcnt(0)
	v_mul_f32_e32 v95, v89, v91
	v_mul_f32_e32 v91, v90, v91
	s_waitcnt vmcnt(2)
	v_fma_f32 v89, v89, v92, -v91
	v_fmac_f32_e32 v95, v90, v92
	v_add_f32_e32 v89, 0, v89
	v_add_f32_e32 v90, 0, v95
	s_waitcnt vmcnt(1)
	v_sub_f32_e32 v89, v93, v89
	s_waitcnt vmcnt(0)
	v_sub_f32_e32 v90, v94, v90
	buffer_store_dword v89, off, s[0:3], 0 offset:328
	buffer_store_dword v90, off, s[0:3], 0 offset:332
	s_and_saveexec_b64 s[4:5], vcc
	s_cbranch_execz .LBB42_191
; %bb.190:
	buffer_load_dword v89, off, s[0:3], 0 offset:320
	buffer_load_dword v90, off, s[0:3], 0 offset:324
	s_waitcnt vmcnt(0)
	ds_write_b64 v87, v[89:90]
	buffer_store_dword v88, off, s[0:3], 0 offset:320
	buffer_store_dword v88, off, s[0:3], 0 offset:324
.LBB42_191:
	s_or_b64 exec, exec, s[4:5]
	s_waitcnt lgkmcnt(0)
	; wave barrier
	buffer_load_dword v92, off, s[0:3], 0 offset:332
	buffer_load_dword v93, off, s[0:3], 0 offset:340
	;; [unrolled: 1-line block ×6, first 2 shown]
	ds_read2_b64 v[88:91], v88 offset0:85 offset1:86
	v_cmp_lt_u32_e32 vcc, 39, v0
	s_waitcnt vmcnt(5) lgkmcnt(0)
	v_mul_f32_e32 v98, v88, v92
	v_mul_f32_e32 v92, v89, v92
	s_waitcnt vmcnt(4)
	v_mul_f32_e32 v99, v90, v93
	v_mul_f32_e32 v93, v91, v93
	s_waitcnt vmcnt(3)
	v_fma_f32 v88, v88, v94, -v92
	v_fmac_f32_e32 v98, v89, v94
	s_waitcnt vmcnt(2)
	v_fma_f32 v89, v90, v95, -v93
	v_add_f32_e32 v88, 0, v88
	v_fmac_f32_e32 v99, v91, v95
	v_add_f32_e32 v90, 0, v98
	v_add_f32_e32 v88, v88, v89
	;; [unrolled: 1-line block ×3, first 2 shown]
	s_waitcnt vmcnt(1)
	v_sub_f32_e32 v88, v96, v88
	s_waitcnt vmcnt(0)
	v_sub_f32_e32 v89, v97, v90
	buffer_store_dword v88, off, s[0:3], 0 offset:320
	buffer_store_dword v89, off, s[0:3], 0 offset:324
	s_and_saveexec_b64 s[4:5], vcc
	s_cbranch_execz .LBB42_193
; %bb.192:
	buffer_load_dword v88, off, s[0:3], 0 offset:312
	buffer_load_dword v89, off, s[0:3], 0 offset:316
	v_mov_b32_e32 v90, 0
	buffer_store_dword v90, off, s[0:3], 0 offset:312
	buffer_store_dword v90, off, s[0:3], 0 offset:316
	s_waitcnt vmcnt(2)
	ds_write_b64 v87, v[88:89]
.LBB42_193:
	s_or_b64 exec, exec, s[4:5]
	s_waitcnt lgkmcnt(0)
	; wave barrier
	buffer_load_dword v95, off, s[0:3], 0 offset:324
	buffer_load_dword v96, off, s[0:3], 0 offset:332
	;; [unrolled: 1-line block ×8, first 2 shown]
	v_mov_b32_e32 v88, 0
	ds_read_b128 v[89:92], v88 offset:672
	ds_read_b64 v[93:94], v88 offset:688
	v_cmp_lt_u32_e32 vcc, 38, v0
	s_waitcnt vmcnt(7) lgkmcnt(1)
	v_mul_f32_e32 v103, v89, v95
	v_mul_f32_e32 v95, v90, v95
	s_waitcnt vmcnt(6)
	v_mul_f32_e32 v104, v91, v96
	v_mul_f32_e32 v96, v92, v96
	s_waitcnt vmcnt(4)
	v_fma_f32 v89, v89, v98, -v95
	s_waitcnt lgkmcnt(0)
	v_mul_f32_e32 v105, v93, v97
	v_mul_f32_e32 v97, v94, v97
	v_fmac_f32_e32 v103, v90, v98
	s_waitcnt vmcnt(3)
	v_fma_f32 v90, v91, v99, -v96
	v_add_f32_e32 v89, 0, v89
	v_fmac_f32_e32 v104, v92, v99
	s_waitcnt vmcnt(2)
	v_fma_f32 v91, v93, v100, -v97
	v_add_f32_e32 v92, 0, v103
	v_add_f32_e32 v89, v89, v90
	v_fmac_f32_e32 v105, v94, v100
	v_add_f32_e32 v92, v92, v104
	v_add_f32_e32 v89, v89, v91
	;; [unrolled: 1-line block ×3, first 2 shown]
	s_waitcnt vmcnt(1)
	v_sub_f32_e32 v89, v101, v89
	s_waitcnt vmcnt(0)
	v_sub_f32_e32 v90, v102, v90
	buffer_store_dword v89, off, s[0:3], 0 offset:312
	buffer_store_dword v90, off, s[0:3], 0 offset:316
	s_and_saveexec_b64 s[4:5], vcc
	s_cbranch_execz .LBB42_195
; %bb.194:
	buffer_load_dword v89, off, s[0:3], 0 offset:304
	buffer_load_dword v90, off, s[0:3], 0 offset:308
	s_waitcnt vmcnt(0)
	ds_write_b64 v87, v[89:90]
	buffer_store_dword v88, off, s[0:3], 0 offset:304
	buffer_store_dword v88, off, s[0:3], 0 offset:308
.LBB42_195:
	s_or_b64 exec, exec, s[4:5]
	s_waitcnt lgkmcnt(0)
	; wave barrier
	buffer_load_dword v97, off, s[0:3], 0 offset:316
	buffer_load_dword v98, off, s[0:3], 0 offset:324
	;; [unrolled: 1-line block ×10, first 2 shown]
	ds_read2_b64 v[89:92], v88 offset0:83 offset1:84
	ds_read2_b64 v[93:96], v88 offset0:85 offset1:86
	v_cmp_lt_u32_e32 vcc, 37, v0
	s_waitcnt vmcnt(9) lgkmcnt(1)
	v_mul_f32_e32 v88, v89, v97
	v_mul_f32_e32 v97, v90, v97
	s_waitcnt vmcnt(8)
	v_mul_f32_e32 v107, v91, v98
	v_mul_f32_e32 v98, v92, v98
	s_waitcnt vmcnt(5)
	v_fma_f32 v89, v89, v101, -v97
	s_waitcnt lgkmcnt(0)
	v_mul_f32_e32 v108, v93, v99
	v_mul_f32_e32 v99, v94, v99
	v_fmac_f32_e32 v88, v90, v101
	s_waitcnt vmcnt(4)
	v_fma_f32 v90, v91, v102, -v98
	v_add_f32_e32 v89, 0, v89
	v_mul_f32_e32 v109, v95, v100
	v_mul_f32_e32 v100, v96, v100
	v_fmac_f32_e32 v107, v92, v102
	s_waitcnt vmcnt(3)
	v_fma_f32 v91, v93, v103, -v99
	v_add_f32_e32 v88, 0, v88
	v_add_f32_e32 v89, v89, v90
	v_fmac_f32_e32 v108, v94, v103
	s_waitcnt vmcnt(2)
	v_fma_f32 v92, v95, v104, -v100
	v_add_f32_e32 v88, v88, v107
	v_add_f32_e32 v89, v89, v91
	v_fmac_f32_e32 v109, v96, v104
	v_add_f32_e32 v88, v88, v108
	v_add_f32_e32 v89, v89, v92
	;; [unrolled: 1-line block ×3, first 2 shown]
	s_waitcnt vmcnt(1)
	v_sub_f32_e32 v89, v105, v89
	s_waitcnt vmcnt(0)
	v_sub_f32_e32 v88, v106, v88
	buffer_store_dword v89, off, s[0:3], 0 offset:304
	buffer_store_dword v88, off, s[0:3], 0 offset:308
	s_and_saveexec_b64 s[4:5], vcc
	s_cbranch_execz .LBB42_197
; %bb.196:
	buffer_load_dword v88, off, s[0:3], 0 offset:296
	buffer_load_dword v89, off, s[0:3], 0 offset:300
	v_mov_b32_e32 v90, 0
	buffer_store_dword v90, off, s[0:3], 0 offset:296
	buffer_store_dword v90, off, s[0:3], 0 offset:300
	s_waitcnt vmcnt(2)
	ds_write_b64 v87, v[88:89]
.LBB42_197:
	s_or_b64 exec, exec, s[4:5]
	s_waitcnt lgkmcnt(0)
	; wave barrier
	buffer_load_dword v99, off, s[0:3], 0 offset:308
	buffer_load_dword v100, off, s[0:3], 0 offset:316
	;; [unrolled: 1-line block ×12, first 2 shown]
	v_mov_b32_e32 v88, 0
	ds_read_b128 v[89:92], v88 offset:656
	ds_read_b128 v[93:96], v88 offset:672
	ds_read_b64 v[97:98], v88 offset:688
	v_cmp_lt_u32_e32 vcc, 36, v0
	s_waitcnt vmcnt(11) lgkmcnt(2)
	v_mul_f32_e32 v111, v89, v99
	v_mul_f32_e32 v99, v90, v99
	s_waitcnt vmcnt(10)
	v_mul_f32_e32 v112, v91, v100
	v_mul_f32_e32 v100, v92, v100
	s_waitcnt vmcnt(9) lgkmcnt(1)
	v_mul_f32_e32 v113, v93, v101
	s_waitcnt vmcnt(6)
	v_fma_f32 v89, v89, v104, -v99
	v_mul_f32_e32 v101, v94, v101
	v_fmac_f32_e32 v111, v90, v104
	s_waitcnt vmcnt(5)
	v_fma_f32 v90, v91, v105, -v100
	v_add_f32_e32 v89, 0, v89
	v_mul_f32_e32 v114, v95, v102
	v_mul_f32_e32 v102, v96, v102
	v_fmac_f32_e32 v112, v92, v105
	s_waitcnt vmcnt(4)
	v_fmac_f32_e32 v113, v94, v106
	v_fma_f32 v91, v93, v106, -v101
	v_add_f32_e32 v94, 0, v111
	v_add_f32_e32 v89, v89, v90
	s_waitcnt lgkmcnt(0)
	v_mul_f32_e32 v115, v97, v103
	v_mul_f32_e32 v103, v98, v103
	s_waitcnt vmcnt(3)
	v_fma_f32 v92, v95, v107, -v102
	v_add_f32_e32 v94, v94, v112
	v_add_f32_e32 v89, v89, v91
	v_fmac_f32_e32 v114, v96, v107
	s_waitcnt vmcnt(2)
	v_fma_f32 v93, v97, v108, -v103
	v_add_f32_e32 v90, v94, v113
	v_add_f32_e32 v89, v89, v92
	v_fmac_f32_e32 v115, v98, v108
	v_add_f32_e32 v90, v90, v114
	v_add_f32_e32 v89, v89, v93
	;; [unrolled: 1-line block ×3, first 2 shown]
	s_waitcnt vmcnt(1)
	v_sub_f32_e32 v89, v109, v89
	s_waitcnt vmcnt(0)
	v_sub_f32_e32 v90, v110, v90
	buffer_store_dword v89, off, s[0:3], 0 offset:296
	buffer_store_dword v90, off, s[0:3], 0 offset:300
	s_and_saveexec_b64 s[4:5], vcc
	s_cbranch_execz .LBB42_199
; %bb.198:
	buffer_load_dword v89, off, s[0:3], 0 offset:288
	buffer_load_dword v90, off, s[0:3], 0 offset:292
	s_waitcnt vmcnt(0)
	ds_write_b64 v87, v[89:90]
	buffer_store_dword v88, off, s[0:3], 0 offset:288
	buffer_store_dword v88, off, s[0:3], 0 offset:292
.LBB42_199:
	s_or_b64 exec, exec, s[4:5]
	s_waitcnt lgkmcnt(0)
	; wave barrier
	buffer_load_dword v101, off, s[0:3], 0 offset:300
	buffer_load_dword v102, off, s[0:3], 0 offset:308
	;; [unrolled: 1-line block ×14, first 2 shown]
	ds_read2_b64 v[89:92], v88 offset0:81 offset1:82
	ds_read2_b64 v[93:96], v88 offset0:83 offset1:84
	ds_read2_b64 v[97:100], v88 offset0:85 offset1:86
	v_cmp_lt_u32_e32 vcc, 35, v0
	s_waitcnt vmcnt(13) lgkmcnt(2)
	v_mul_f32_e32 v88, v89, v101
	v_mul_f32_e32 v101, v90, v101
	s_waitcnt vmcnt(12)
	v_mul_f32_e32 v115, v91, v102
	v_mul_f32_e32 v102, v92, v102
	s_waitcnt vmcnt(11) lgkmcnt(1)
	v_mul_f32_e32 v116, v93, v103
	v_mul_f32_e32 v103, v94, v103
	s_waitcnt vmcnt(7)
	v_fma_f32 v89, v89, v107, -v101
	v_fmac_f32_e32 v88, v90, v107
	s_waitcnt vmcnt(6)
	v_fma_f32 v90, v91, v108, -v102
	v_add_f32_e32 v89, 0, v89
	v_mul_f32_e32 v117, v95, v104
	v_mul_f32_e32 v104, v96, v104
	v_fmac_f32_e32 v115, v92, v108
	s_waitcnt vmcnt(5)
	v_fma_f32 v91, v93, v109, -v103
	v_add_f32_e32 v88, 0, v88
	v_add_f32_e32 v89, v89, v90
	s_waitcnt lgkmcnt(0)
	v_mul_f32_e32 v118, v97, v105
	v_mul_f32_e32 v105, v98, v105
	v_fmac_f32_e32 v116, v94, v109
	s_waitcnt vmcnt(4)
	v_fma_f32 v92, v95, v110, -v104
	v_add_f32_e32 v88, v88, v115
	v_add_f32_e32 v89, v89, v91
	v_mul_f32_e32 v119, v99, v106
	v_mul_f32_e32 v106, v100, v106
	v_fmac_f32_e32 v117, v96, v110
	s_waitcnt vmcnt(3)
	v_fma_f32 v93, v97, v111, -v105
	v_add_f32_e32 v88, v88, v116
	v_add_f32_e32 v89, v89, v92
	v_fmac_f32_e32 v118, v98, v111
	s_waitcnt vmcnt(2)
	v_fma_f32 v94, v99, v112, -v106
	v_add_f32_e32 v88, v88, v117
	v_add_f32_e32 v89, v89, v93
	v_fmac_f32_e32 v119, v100, v112
	v_add_f32_e32 v88, v88, v118
	v_add_f32_e32 v89, v89, v94
	;; [unrolled: 1-line block ×3, first 2 shown]
	s_waitcnt vmcnt(1)
	v_sub_f32_e32 v89, v113, v89
	s_waitcnt vmcnt(0)
	v_sub_f32_e32 v88, v114, v88
	buffer_store_dword v89, off, s[0:3], 0 offset:288
	buffer_store_dword v88, off, s[0:3], 0 offset:292
	s_and_saveexec_b64 s[4:5], vcc
	s_cbranch_execz .LBB42_201
; %bb.200:
	buffer_load_dword v88, off, s[0:3], 0 offset:280
	buffer_load_dword v89, off, s[0:3], 0 offset:284
	v_mov_b32_e32 v90, 0
	buffer_store_dword v90, off, s[0:3], 0 offset:280
	buffer_store_dword v90, off, s[0:3], 0 offset:284
	s_waitcnt vmcnt(2)
	ds_write_b64 v87, v[88:89]
.LBB42_201:
	s_or_b64 exec, exec, s[4:5]
	s_waitcnt lgkmcnt(0)
	; wave barrier
	buffer_load_dword v103, off, s[0:3], 0 offset:292
	buffer_load_dword v104, off, s[0:3], 0 offset:300
	;; [unrolled: 1-line block ×16, first 2 shown]
	v_mov_b32_e32 v88, 0
	ds_read_b128 v[89:92], v88 offset:640
	ds_read_b128 v[93:96], v88 offset:656
	;; [unrolled: 1-line block ×3, first 2 shown]
	ds_read_b64 v[101:102], v88 offset:688
	v_cmp_lt_u32_e32 vcc, 34, v0
	s_waitcnt vmcnt(15) lgkmcnt(3)
	v_mul_f32_e32 v119, v89, v103
	v_mul_f32_e32 v103, v90, v103
	s_waitcnt vmcnt(14)
	v_mul_f32_e32 v120, v91, v104
	v_mul_f32_e32 v104, v92, v104
	s_waitcnt vmcnt(13) lgkmcnt(2)
	v_mul_f32_e32 v121, v93, v105
	s_waitcnt vmcnt(12)
	v_mul_f32_e32 v122, v95, v106
	v_mul_f32_e32 v105, v94, v105
	s_waitcnt vmcnt(8)
	v_fma_f32 v89, v89, v110, -v103
	v_fmac_f32_e32 v119, v90, v110
	s_waitcnt vmcnt(7)
	v_fma_f32 v90, v91, v111, -v104
	v_add_f32_e32 v89, 0, v89
	v_mul_f32_e32 v106, v96, v106
	v_fmac_f32_e32 v120, v92, v111
	s_waitcnt vmcnt(5)
	v_fmac_f32_e32 v122, v96, v113
	v_fma_f32 v91, v93, v112, -v105
	v_add_f32_e32 v96, 0, v119
	v_add_f32_e32 v89, v89, v90
	s_waitcnt lgkmcnt(1)
	v_mul_f32_e32 v123, v97, v107
	v_mul_f32_e32 v107, v98, v107
	v_fmac_f32_e32 v121, v94, v112
	v_fma_f32 v92, v95, v113, -v106
	v_add_f32_e32 v96, v96, v120
	v_add_f32_e32 v89, v89, v91
	v_mul_f32_e32 v124, v99, v108
	v_mul_f32_e32 v108, v100, v108
	s_waitcnt vmcnt(4)
	v_fma_f32 v93, v97, v114, -v107
	v_add_f32_e32 v90, v96, v121
	v_add_f32_e32 v89, v89, v92
	s_waitcnt lgkmcnt(0)
	v_mul_f32_e32 v125, v101, v109
	v_mul_f32_e32 v109, v102, v109
	v_fmac_f32_e32 v123, v98, v114
	s_waitcnt vmcnt(3)
	v_fma_f32 v94, v99, v115, -v108
	v_add_f32_e32 v90, v90, v122
	v_add_f32_e32 v89, v89, v93
	v_fmac_f32_e32 v124, v100, v115
	s_waitcnt vmcnt(2)
	v_fma_f32 v95, v101, v116, -v109
	v_add_f32_e32 v90, v90, v123
	v_add_f32_e32 v89, v89, v94
	v_fmac_f32_e32 v125, v102, v116
	v_add_f32_e32 v90, v90, v124
	v_add_f32_e32 v89, v89, v95
	;; [unrolled: 1-line block ×3, first 2 shown]
	s_waitcnt vmcnt(1)
	v_sub_f32_e32 v89, v117, v89
	s_waitcnt vmcnt(0)
	v_sub_f32_e32 v90, v118, v90
	buffer_store_dword v89, off, s[0:3], 0 offset:280
	buffer_store_dword v90, off, s[0:3], 0 offset:284
	s_and_saveexec_b64 s[4:5], vcc
	s_cbranch_execz .LBB42_203
; %bb.202:
	buffer_load_dword v89, off, s[0:3], 0 offset:272
	buffer_load_dword v90, off, s[0:3], 0 offset:276
	s_waitcnt vmcnt(0)
	ds_write_b64 v87, v[89:90]
	buffer_store_dword v88, off, s[0:3], 0 offset:272
	buffer_store_dword v88, off, s[0:3], 0 offset:276
.LBB42_203:
	s_or_b64 exec, exec, s[4:5]
	s_waitcnt lgkmcnt(0)
	; wave barrier
	ds_read2_b64 v[89:92], v88 offset0:79 offset1:80
	buffer_load_dword v105, off, s[0:3], 0 offset:272
	buffer_load_dword v106, off, s[0:3], 0 offset:276
	;; [unrolled: 1-line block ×16, first 2 shown]
	v_cmp_lt_u32_e32 vcc, 33, v0
	s_waitcnt vmcnt(12) lgkmcnt(0)
	v_mul_f32_e32 v93, v89, v108
	v_fmac_f32_e32 v93, v90, v107
	s_waitcnt vmcnt(10)
	v_mul_f32_e32 v94, v91, v110
	v_add_f32_e32 v93, 0, v93
	v_fmac_f32_e32 v94, v92, v109
	v_add_f32_e32 v97, v93, v94
	ds_read2_b64 v[93:96], v88 offset0:81 offset1:82
	v_mul_f32_e32 v90, v90, v108
	v_fma_f32 v89, v89, v107, -v90
	v_mul_f32_e32 v90, v92, v110
	v_add_f32_e32 v89, 0, v89
	s_waitcnt vmcnt(8) lgkmcnt(0)
	v_mul_f32_e32 v98, v93, v112
	v_fmac_f32_e32 v98, v94, v111
	v_add_f32_e32 v97, v97, v98
	s_waitcnt vmcnt(6)
	v_mul_f32_e32 v98, v95, v114
	v_fmac_f32_e32 v98, v96, v113
	v_add_f32_e32 v101, v97, v98
	ds_read2_b64 v[97:100], v88 offset0:83 offset1:84
	v_fma_f32 v90, v91, v109, -v90
	v_add_f32_e32 v89, v89, v90
	v_mul_f32_e32 v90, v94, v112
	v_fma_f32 v90, v93, v111, -v90
	s_waitcnt vmcnt(4) lgkmcnt(0)
	v_mul_f32_e32 v102, v97, v116
	v_fmac_f32_e32 v102, v98, v115
	v_add_f32_e32 v101, v101, v102
	s_waitcnt vmcnt(2)
	v_mul_f32_e32 v102, v99, v118
	v_fmac_f32_e32 v102, v100, v117
	v_add_f32_e32 v121, v101, v102
	ds_read2_b64 v[101:104], v88 offset0:85 offset1:86
	v_add_f32_e32 v89, v89, v90
	v_mul_f32_e32 v90, v96, v114
	v_fma_f32 v90, v95, v113, -v90
	v_add_f32_e32 v89, v89, v90
	s_waitcnt vmcnt(0) lgkmcnt(0)
	v_mul_f32_e32 v88, v101, v120
	v_fmac_f32_e32 v88, v102, v119
	v_add_f32_e32 v88, v121, v88
	buffer_load_dword v121, off, s[0:3], 0 offset:336
	buffer_load_dword v122, off, s[0:3], 0 offset:340
	v_mul_f32_e32 v90, v98, v116
	v_fma_f32 v90, v97, v115, -v90
	v_add_f32_e32 v89, v89, v90
	v_mul_f32_e32 v90, v100, v118
	v_fma_f32 v90, v99, v117, -v90
	v_add_f32_e32 v89, v89, v90
	;; [unrolled: 3-line block ×3, first 2 shown]
	s_waitcnt vmcnt(0)
	v_mul_f32_e32 v90, v104, v122
	v_mul_f32_e32 v123, v103, v122
	v_fma_f32 v90, v103, v121, -v90
	v_fmac_f32_e32 v123, v104, v121
	v_add_f32_e32 v89, v89, v90
	v_add_f32_e32 v88, v88, v123
	v_sub_f32_e32 v89, v105, v89
	v_sub_f32_e32 v88, v106, v88
	buffer_store_dword v89, off, s[0:3], 0 offset:272
	buffer_store_dword v88, off, s[0:3], 0 offset:276
	s_and_saveexec_b64 s[4:5], vcc
	s_cbranch_execz .LBB42_205
; %bb.204:
	buffer_load_dword v88, off, s[0:3], 0 offset:264
	buffer_load_dword v89, off, s[0:3], 0 offset:268
	v_mov_b32_e32 v90, 0
	buffer_store_dword v90, off, s[0:3], 0 offset:264
	buffer_store_dword v90, off, s[0:3], 0 offset:268
	s_waitcnt vmcnt(2)
	ds_write_b64 v87, v[88:89]
.LBB42_205:
	s_or_b64 exec, exec, s[4:5]
	s_waitcnt lgkmcnt(0)
	; wave barrier
	buffer_load_dword v107, off, s[0:3], 0 offset:276
	buffer_load_dword v108, off, s[0:3], 0 offset:284
	;; [unrolled: 1-line block ×20, first 2 shown]
	v_mov_b32_e32 v88, 0
	ds_read_b128 v[89:92], v88 offset:624
	ds_read_b128 v[93:96], v88 offset:640
	;; [unrolled: 1-line block ×4, first 2 shown]
	ds_read_b64 v[105:106], v88 offset:688
	v_cmp_lt_u32_e32 vcc, 32, v0
	s_waitcnt vmcnt(19) lgkmcnt(4)
	v_mul_f32_e32 v127, v89, v107
	v_mul_f32_e32 v107, v90, v107
	s_waitcnt vmcnt(18)
	v_mul_f32_e32 v128, v91, v108
	v_mul_f32_e32 v108, v92, v108
	s_waitcnt vmcnt(17) lgkmcnt(3)
	v_mul_f32_e32 v129, v93, v109
	s_waitcnt vmcnt(15) lgkmcnt(2)
	v_mul_f32_e32 v131, v97, v111
	v_mul_f32_e32 v109, v94, v109
	v_mul_f32_e32 v130, v95, v110
	v_mul_f32_e32 v110, v96, v110
	s_waitcnt vmcnt(10)
	v_fma_f32 v89, v89, v116, -v107
	v_fmac_f32_e32 v127, v90, v116
	s_waitcnt vmcnt(9)
	v_fma_f32 v90, v91, v117, -v108
	v_add_f32_e32 v89, 0, v89
	v_mul_f32_e32 v111, v98, v111
	v_fmac_f32_e32 v128, v92, v117
	s_waitcnt vmcnt(6)
	v_fmac_f32_e32 v131, v98, v120
	v_fma_f32 v91, v93, v118, -v109
	v_add_f32_e32 v98, 0, v127
	v_add_f32_e32 v89, v89, v90
	v_fmac_f32_e32 v129, v94, v118
	v_fma_f32 v92, v95, v119, -v110
	v_add_f32_e32 v98, v98, v128
	v_add_f32_e32 v89, v89, v91
	v_mul_f32_e32 v132, v99, v112
	v_mul_f32_e32 v112, v100, v112
	v_fmac_f32_e32 v130, v96, v119
	v_fma_f32 v93, v97, v120, -v111
	v_add_f32_e32 v90, v98, v129
	v_add_f32_e32 v89, v89, v92
	s_waitcnt lgkmcnt(1)
	v_mul_f32_e32 v133, v101, v113
	v_mul_f32_e32 v113, v102, v113
	s_waitcnt vmcnt(5)
	v_fma_f32 v94, v99, v121, -v112
	v_add_f32_e32 v90, v90, v130
	v_add_f32_e32 v89, v89, v93
	v_mul_f32_e32 v134, v103, v114
	v_mul_f32_e32 v114, v104, v114
	v_fmac_f32_e32 v132, v100, v121
	s_waitcnt vmcnt(4)
	v_fma_f32 v95, v101, v122, -v113
	v_add_f32_e32 v90, v90, v131
	v_add_f32_e32 v89, v89, v94
	s_waitcnt lgkmcnt(0)
	v_mul_f32_e32 v135, v105, v115
	v_mul_f32_e32 v115, v106, v115
	v_fmac_f32_e32 v133, v102, v122
	s_waitcnt vmcnt(3)
	v_fma_f32 v96, v103, v123, -v114
	v_add_f32_e32 v90, v90, v132
	v_add_f32_e32 v89, v89, v95
	v_fmac_f32_e32 v134, v104, v123
	s_waitcnt vmcnt(2)
	v_fma_f32 v97, v105, v124, -v115
	v_add_f32_e32 v90, v90, v133
	v_add_f32_e32 v89, v89, v96
	v_fmac_f32_e32 v135, v106, v124
	v_add_f32_e32 v90, v90, v134
	v_add_f32_e32 v89, v89, v97
	;; [unrolled: 1-line block ×3, first 2 shown]
	s_waitcnt vmcnt(1)
	v_sub_f32_e32 v89, v125, v89
	s_waitcnt vmcnt(0)
	v_sub_f32_e32 v90, v126, v90
	buffer_store_dword v89, off, s[0:3], 0 offset:264
	buffer_store_dword v90, off, s[0:3], 0 offset:268
	s_and_saveexec_b64 s[4:5], vcc
	s_cbranch_execz .LBB42_207
; %bb.206:
	buffer_load_dword v89, off, s[0:3], 0 offset:256
	buffer_load_dword v90, off, s[0:3], 0 offset:260
	s_waitcnt vmcnt(0)
	ds_write_b64 v87, v[89:90]
	buffer_store_dword v88, off, s[0:3], 0 offset:256
	buffer_store_dword v88, off, s[0:3], 0 offset:260
.LBB42_207:
	s_or_b64 exec, exec, s[4:5]
	s_waitcnt lgkmcnt(0)
	; wave barrier
	buffer_load_dword v109, off, s[0:3], 0 offset:268
	buffer_load_dword v110, off, s[0:3], 0 offset:276
	;; [unrolled: 1-line block ×22, first 2 shown]
	ds_read2_b64 v[89:92], v88 offset0:77 offset1:78
	ds_read2_b64 v[93:96], v88 offset0:79 offset1:80
	;; [unrolled: 1-line block ×5, first 2 shown]
	v_cmp_lt_u32_e32 vcc, 31, v0
	s_waitcnt vmcnt(21) lgkmcnt(4)
	v_mul_f32_e32 v88, v89, v109
	v_mul_f32_e32 v109, v90, v109
	s_waitcnt vmcnt(20)
	v_mul_f32_e32 v131, v91, v110
	v_mul_f32_e32 v110, v92, v110
	s_waitcnt vmcnt(19) lgkmcnt(3)
	v_mul_f32_e32 v132, v93, v111
	v_mul_f32_e32 v111, v94, v111
	s_waitcnt vmcnt(18)
	v_mul_f32_e32 v133, v95, v112
	v_mul_f32_e32 v112, v96, v112
	s_waitcnt vmcnt(17) lgkmcnt(2)
	v_mul_f32_e32 v134, v97, v113
	v_mul_f32_e32 v113, v98, v113
	s_waitcnt vmcnt(11)
	v_fma_f32 v89, v89, v119, -v109
	v_fmac_f32_e32 v88, v90, v119
	s_waitcnt vmcnt(10)
	v_fma_f32 v90, v91, v120, -v110
	v_add_f32_e32 v89, 0, v89
	v_fmac_f32_e32 v131, v92, v120
	s_waitcnt vmcnt(9)
	v_fma_f32 v91, v93, v121, -v111
	v_add_f32_e32 v88, 0, v88
	v_add_f32_e32 v89, v89, v90
	v_fmac_f32_e32 v132, v94, v121
	s_waitcnt vmcnt(8)
	v_fma_f32 v92, v95, v122, -v112
	v_add_f32_e32 v88, v88, v131
	v_add_f32_e32 v89, v89, v91
	v_mul_f32_e32 v135, v99, v114
	v_mul_f32_e32 v114, v100, v114
	v_fmac_f32_e32 v133, v96, v122
	s_waitcnt vmcnt(7)
	v_fma_f32 v93, v97, v123, -v113
	v_add_f32_e32 v88, v88, v132
	v_add_f32_e32 v89, v89, v92
	s_waitcnt lgkmcnt(1)
	v_mul_f32_e32 v136, v101, v115
	v_mul_f32_e32 v115, v102, v115
	v_fmac_f32_e32 v134, v98, v123
	s_waitcnt vmcnt(6)
	v_fma_f32 v94, v99, v124, -v114
	v_add_f32_e32 v88, v88, v133
	v_add_f32_e32 v89, v89, v93
	v_mul_f32_e32 v137, v103, v116
	v_mul_f32_e32 v116, v104, v116
	v_fmac_f32_e32 v135, v100, v124
	s_waitcnt vmcnt(5)
	v_fma_f32 v95, v101, v125, -v115
	v_add_f32_e32 v88, v88, v134
	v_add_f32_e32 v89, v89, v94
	s_waitcnt lgkmcnt(0)
	v_mul_f32_e32 v138, v105, v117
	v_mul_f32_e32 v117, v106, v117
	v_fmac_f32_e32 v136, v102, v125
	s_waitcnt vmcnt(4)
	v_fma_f32 v96, v103, v126, -v116
	v_add_f32_e32 v88, v88, v135
	v_add_f32_e32 v89, v89, v95
	v_mul_f32_e32 v139, v107, v118
	v_mul_f32_e32 v118, v108, v118
	v_fmac_f32_e32 v137, v104, v126
	s_waitcnt vmcnt(3)
	v_fma_f32 v97, v105, v127, -v117
	v_add_f32_e32 v88, v88, v136
	v_add_f32_e32 v89, v89, v96
	v_fmac_f32_e32 v138, v106, v127
	s_waitcnt vmcnt(2)
	v_fma_f32 v98, v107, v128, -v118
	v_add_f32_e32 v88, v88, v137
	v_add_f32_e32 v89, v89, v97
	v_fmac_f32_e32 v139, v108, v128
	v_add_f32_e32 v88, v88, v138
	v_add_f32_e32 v89, v89, v98
	;; [unrolled: 1-line block ×3, first 2 shown]
	s_waitcnt vmcnt(1)
	v_sub_f32_e32 v89, v129, v89
	s_waitcnt vmcnt(0)
	v_sub_f32_e32 v88, v130, v88
	buffer_store_dword v89, off, s[0:3], 0 offset:256
	buffer_store_dword v88, off, s[0:3], 0 offset:260
	s_and_saveexec_b64 s[4:5], vcc
	s_cbranch_execz .LBB42_209
; %bb.208:
	buffer_load_dword v88, off, s[0:3], 0 offset:248
	buffer_load_dword v89, off, s[0:3], 0 offset:252
	v_mov_b32_e32 v90, 0
	buffer_store_dword v90, off, s[0:3], 0 offset:248
	buffer_store_dword v90, off, s[0:3], 0 offset:252
	s_waitcnt vmcnt(2)
	ds_write_b64 v87, v[88:89]
.LBB42_209:
	s_or_b64 exec, exec, s[4:5]
	s_waitcnt lgkmcnt(0)
	; wave barrier
	buffer_load_dword v111, off, s[0:3], 0 offset:260
	buffer_load_dword v112, off, s[0:3], 0 offset:268
	;; [unrolled: 1-line block ×24, first 2 shown]
	v_mov_b32_e32 v88, 0
	ds_read_b128 v[89:92], v88 offset:608
	ds_read_b128 v[93:96], v88 offset:624
	;; [unrolled: 1-line block ×5, first 2 shown]
	ds_read_b64 v[109:110], v88 offset:688
	v_cmp_lt_u32_e32 vcc, 30, v0
	s_waitcnt vmcnt(23) lgkmcnt(5)
	v_mul_f32_e32 v135, v89, v111
	v_mul_f32_e32 v111, v90, v111
	s_waitcnt vmcnt(22)
	v_mul_f32_e32 v136, v91, v112
	v_mul_f32_e32 v112, v92, v112
	s_waitcnt vmcnt(21) lgkmcnt(4)
	v_mul_f32_e32 v137, v93, v113
	v_mul_f32_e32 v113, v94, v113
	s_waitcnt vmcnt(20)
	v_mul_f32_e32 v138, v95, v114
	s_waitcnt vmcnt(19) lgkmcnt(3)
	v_mul_f32_e32 v139, v97, v115
	v_mul_f32_e32 v114, v96, v114
	;; [unrolled: 1-line block ×3, first 2 shown]
	s_waitcnt vmcnt(18)
	v_mul_f32_e32 v140, v99, v116
	s_waitcnt vmcnt(12)
	v_fma_f32 v89, v89, v122, -v111
	v_fmac_f32_e32 v135, v90, v122
	s_waitcnt vmcnt(11)
	v_fma_f32 v90, v91, v123, -v112
	v_add_f32_e32 v89, 0, v89
	s_waitcnt vmcnt(10)
	v_fma_f32 v91, v93, v124, -v113
	v_add_f32_e32 v89, v89, v90
	v_fmac_f32_e32 v136, v92, v123
	s_waitcnt vmcnt(8)
	v_fmac_f32_e32 v139, v98, v126
	v_fma_f32 v92, v95, v125, -v114
	v_add_f32_e32 v98, 0, v135
	v_add_f32_e32 v89, v89, v91
	v_mul_f32_e32 v116, v100, v116
	v_fmac_f32_e32 v137, v94, v124
	v_fma_f32 v93, v97, v126, -v115
	v_add_f32_e32 v98, v98, v136
	v_add_f32_e32 v89, v89, v92
	s_waitcnt lgkmcnt(2)
	v_mul_f32_e32 v141, v101, v117
	v_mul_f32_e32 v117, v102, v117
	v_fmac_f32_e32 v138, v96, v125
	s_waitcnt vmcnt(7)
	v_fma_f32 v94, v99, v127, -v116
	v_add_f32_e32 v90, v98, v137
	v_add_f32_e32 v89, v89, v93
	v_mul_f32_e32 v142, v103, v118
	v_mul_f32_e32 v118, v104, v118
	s_waitcnt vmcnt(6)
	v_fma_f32 v95, v101, v128, -v117
	v_add_f32_e32 v90, v90, v138
	v_add_f32_e32 v89, v89, v94
	s_waitcnt lgkmcnt(1)
	v_mul_f32_e32 v143, v105, v119
	v_mul_f32_e32 v119, v106, v119
	v_fmac_f32_e32 v140, v100, v127
	s_waitcnt vmcnt(5)
	v_fma_f32 v96, v103, v129, -v118
	v_add_f32_e32 v90, v90, v139
	v_add_f32_e32 v89, v89, v95
	v_fmac_f32_e32 v141, v102, v128
	s_waitcnt vmcnt(4)
	v_fma_f32 v97, v105, v130, -v119
	v_add_f32_e32 v90, v90, v140
	v_add_f32_e32 v89, v89, v96
	v_mul_f32_e32 v91, v108, v120
	v_fmac_f32_e32 v142, v104, v129
	v_add_f32_e32 v90, v90, v141
	v_add_f32_e32 v89, v89, v97
	s_waitcnt vmcnt(3)
	v_fma_f32 v91, v107, v131, -v91
	v_mul_f32_e32 v144, v107, v120
	v_fmac_f32_e32 v143, v106, v130
	v_add_f32_e32 v90, v90, v142
	v_add_f32_e32 v89, v89, v91
	s_waitcnt lgkmcnt(0)
	v_mul_f32_e32 v91, v110, v121
	v_mul_f32_e32 v145, v109, v121
	v_fmac_f32_e32 v144, v108, v131
	v_add_f32_e32 v90, v90, v143
	s_waitcnt vmcnt(2)
	v_fma_f32 v91, v109, v132, -v91
	v_fmac_f32_e32 v145, v110, v132
	v_add_f32_e32 v90, v90, v144
	v_add_f32_e32 v89, v89, v91
	;; [unrolled: 1-line block ×3, first 2 shown]
	s_waitcnt vmcnt(1)
	v_sub_f32_e32 v89, v133, v89
	s_waitcnt vmcnt(0)
	v_sub_f32_e32 v90, v134, v90
	buffer_store_dword v89, off, s[0:3], 0 offset:248
	buffer_store_dword v90, off, s[0:3], 0 offset:252
	s_and_saveexec_b64 s[4:5], vcc
	s_cbranch_execz .LBB42_211
; %bb.210:
	buffer_load_dword v89, off, s[0:3], 0 offset:240
	buffer_load_dword v90, off, s[0:3], 0 offset:244
	s_waitcnt vmcnt(0)
	ds_write_b64 v87, v[89:90]
	buffer_store_dword v88, off, s[0:3], 0 offset:240
	buffer_store_dword v88, off, s[0:3], 0 offset:244
.LBB42_211:
	s_or_b64 exec, exec, s[4:5]
	s_waitcnt lgkmcnt(0)
	; wave barrier
	buffer_load_dword v113, off, s[0:3], 0 offset:252
	buffer_load_dword v114, off, s[0:3], 0 offset:260
	;; [unrolled: 1-line block ×26, first 2 shown]
	ds_read2_b64 v[89:92], v88 offset0:75 offset1:76
	ds_read2_b64 v[93:96], v88 offset0:77 offset1:78
	;; [unrolled: 1-line block ×6, first 2 shown]
	v_cmp_lt_u32_e32 vcc, 29, v0
	s_waitcnt vmcnt(25) lgkmcnt(5)
	v_mul_f32_e32 v88, v89, v113
	v_mul_f32_e32 v113, v90, v113
	s_waitcnt vmcnt(24)
	v_mul_f32_e32 v139, v91, v114
	v_mul_f32_e32 v114, v92, v114
	s_waitcnt vmcnt(23) lgkmcnt(4)
	v_mul_f32_e32 v140, v93, v115
	v_mul_f32_e32 v115, v94, v115
	s_waitcnt vmcnt(22)
	v_mul_f32_e32 v141, v95, v116
	v_mul_f32_e32 v116, v96, v116
	;; [unrolled: 6-line block ×3, first 2 shown]
	s_waitcnt vmcnt(13)
	v_fma_f32 v89, v89, v125, -v113
	v_fmac_f32_e32 v88, v90, v125
	s_waitcnt vmcnt(12)
	v_fma_f32 v90, v91, v126, -v114
	v_add_f32_e32 v89, 0, v89
	s_waitcnt vmcnt(11)
	v_fma_f32 v91, v93, v127, -v115
	v_add_f32_e32 v89, v89, v90
	v_fmac_f32_e32 v139, v92, v126
	s_waitcnt vmcnt(10)
	v_fma_f32 v92, v95, v128, -v116
	v_add_f32_e32 v89, v89, v91
	s_waitcnt vmcnt(9)
	v_fma_f32 v93, v97, v129, -v117
	v_add_f32_e32 v89, v89, v92
	s_waitcnt lgkmcnt(2)
	v_mul_f32_e32 v144, v101, v119
	v_mul_f32_e32 v119, v102, v119
	v_fmac_f32_e32 v140, v94, v127
	s_waitcnt vmcnt(8)
	v_fma_f32 v94, v99, v130, -v118
	v_add_f32_e32 v88, 0, v88
	v_add_f32_e32 v89, v89, v93
	v_mul_f32_e32 v145, v103, v120
	v_mul_f32_e32 v120, v104, v120
	s_waitcnt vmcnt(7)
	v_fma_f32 v95, v101, v131, -v119
	v_add_f32_e32 v88, v88, v139
	v_add_f32_e32 v89, v89, v94
	v_fmac_f32_e32 v141, v96, v128
	s_waitcnt vmcnt(6)
	v_fma_f32 v96, v103, v132, -v120
	v_add_f32_e32 v88, v88, v140
	v_add_f32_e32 v89, v89, v95
	s_waitcnt lgkmcnt(1)
	v_mul_f32_e32 v90, v106, v121
	v_fmac_f32_e32 v142, v98, v129
	v_add_f32_e32 v88, v88, v141
	v_add_f32_e32 v89, v89, v96
	s_waitcnt vmcnt(5)
	v_fma_f32 v90, v105, v133, -v90
	v_fmac_f32_e32 v143, v100, v130
	v_add_f32_e32 v88, v88, v142
	v_add_f32_e32 v89, v89, v90
	v_mul_f32_e32 v90, v108, v122
	v_fmac_f32_e32 v144, v102, v131
	v_add_f32_e32 v88, v88, v143
	s_waitcnt vmcnt(4)
	v_fma_f32 v90, v107, v134, -v90
	v_mul_f32_e32 v146, v105, v121
	v_fmac_f32_e32 v145, v104, v132
	v_add_f32_e32 v88, v88, v144
	v_add_f32_e32 v89, v89, v90
	s_waitcnt lgkmcnt(0)
	v_mul_f32_e32 v90, v110, v123
	v_mul_f32_e32 v147, v107, v122
	v_fmac_f32_e32 v146, v106, v133
	v_add_f32_e32 v88, v88, v145
	s_waitcnt vmcnt(3)
	v_fma_f32 v90, v109, v135, -v90
	v_mul_f32_e32 v148, v109, v123
	v_fmac_f32_e32 v147, v108, v134
	v_add_f32_e32 v88, v88, v146
	v_add_f32_e32 v89, v89, v90
	v_mul_f32_e32 v90, v112, v124
	v_mul_f32_e32 v149, v111, v124
	v_fmac_f32_e32 v148, v110, v135
	v_add_f32_e32 v88, v88, v147
	s_waitcnt vmcnt(2)
	v_fma_f32 v90, v111, v136, -v90
	v_fmac_f32_e32 v149, v112, v136
	v_add_f32_e32 v88, v88, v148
	v_add_f32_e32 v89, v89, v90
	;; [unrolled: 1-line block ×3, first 2 shown]
	s_waitcnt vmcnt(1)
	v_sub_f32_e32 v89, v137, v89
	s_waitcnt vmcnt(0)
	v_sub_f32_e32 v88, v138, v88
	buffer_store_dword v89, off, s[0:3], 0 offset:240
	buffer_store_dword v88, off, s[0:3], 0 offset:244
	s_and_saveexec_b64 s[4:5], vcc
	s_cbranch_execz .LBB42_213
; %bb.212:
	buffer_load_dword v88, off, s[0:3], 0 offset:232
	buffer_load_dword v89, off, s[0:3], 0 offset:236
	v_mov_b32_e32 v90, 0
	buffer_store_dword v90, off, s[0:3], 0 offset:232
	buffer_store_dword v90, off, s[0:3], 0 offset:236
	s_waitcnt vmcnt(2)
	ds_write_b64 v87, v[88:89]
.LBB42_213:
	s_or_b64 exec, exec, s[4:5]
	s_waitcnt lgkmcnt(0)
	; wave barrier
	buffer_load_dword v115, off, s[0:3], 0 offset:244
	buffer_load_dword v116, off, s[0:3], 0 offset:252
	;; [unrolled: 1-line block ×28, first 2 shown]
	v_mov_b32_e32 v88, 0
	ds_read_b128 v[89:92], v88 offset:592
	ds_read_b128 v[93:96], v88 offset:608
	;; [unrolled: 1-line block ×6, first 2 shown]
	ds_read_b64 v[113:114], v88 offset:688
	v_cmp_lt_u32_e32 vcc, 28, v0
	s_waitcnt vmcnt(27) lgkmcnt(6)
	v_mul_f32_e32 v143, v89, v115
	v_mul_f32_e32 v115, v90, v115
	s_waitcnt vmcnt(26)
	v_mul_f32_e32 v144, v91, v116
	v_mul_f32_e32 v116, v92, v116
	s_waitcnt vmcnt(25) lgkmcnt(5)
	v_mul_f32_e32 v145, v93, v117
	v_mul_f32_e32 v117, v94, v117
	s_waitcnt vmcnt(24)
	v_mul_f32_e32 v146, v95, v118
	v_mul_f32_e32 v118, v96, v118
	;; [unrolled: 6-line block ×3, first 2 shown]
	s_waitcnt vmcnt(21) lgkmcnt(3)
	v_mul_f32_e32 v149, v101, v121
	s_waitcnt vmcnt(14)
	v_fma_f32 v89, v89, v128, -v115
	v_fmac_f32_e32 v143, v90, v128
	s_waitcnt vmcnt(13)
	v_fma_f32 v90, v91, v129, -v116
	v_add_f32_e32 v89, 0, v89
	s_waitcnt vmcnt(12)
	v_fma_f32 v91, v93, v130, -v117
	v_add_f32_e32 v89, v89, v90
	v_fmac_f32_e32 v144, v92, v129
	s_waitcnt vmcnt(11)
	v_fma_f32 v92, v95, v131, -v118
	v_add_f32_e32 v89, v89, v91
	s_waitcnt vmcnt(10)
	v_fma_f32 v93, v97, v132, -v119
	v_add_f32_e32 v89, v89, v92
	v_fmac_f32_e32 v145, v94, v130
	s_waitcnt vmcnt(9)
	v_fma_f32 v94, v99, v133, -v120
	v_add_f32_e32 v89, v89, v93
	v_mul_f32_e32 v91, v102, v121
	v_add_f32_e32 v89, v89, v94
	s_waitcnt vmcnt(8)
	v_fma_f32 v91, v101, v134, -v91
	v_add_f32_e32 v89, v89, v91
	v_mul_f32_e32 v91, v104, v122
	v_add_f32_e32 v95, 0, v143
	s_waitcnt vmcnt(7)
	v_fma_f32 v91, v103, v135, -v91
	v_add_f32_e32 v95, v95, v144
	v_add_f32_e32 v89, v89, v91
	s_waitcnt lgkmcnt(2)
	v_mul_f32_e32 v91, v106, v123
	v_fmac_f32_e32 v146, v96, v131
	v_add_f32_e32 v90, v95, v145
	s_waitcnt vmcnt(6)
	v_fma_f32 v91, v105, v136, -v91
	v_fmac_f32_e32 v147, v98, v132
	v_add_f32_e32 v90, v90, v146
	v_add_f32_e32 v89, v89, v91
	v_mul_f32_e32 v91, v108, v124
	v_fmac_f32_e32 v148, v100, v133
	v_add_f32_e32 v90, v90, v147
	s_waitcnt vmcnt(5)
	v_fma_f32 v91, v107, v137, -v91
	v_mul_f32_e32 v150, v103, v122
	v_fmac_f32_e32 v149, v102, v134
	v_add_f32_e32 v90, v90, v148
	v_add_f32_e32 v89, v89, v91
	s_waitcnt lgkmcnt(1)
	v_mul_f32_e32 v91, v110, v125
	v_mul_f32_e32 v151, v105, v123
	v_fmac_f32_e32 v150, v104, v135
	v_add_f32_e32 v90, v90, v149
	s_waitcnt vmcnt(4)
	v_fma_f32 v91, v109, v138, -v91
	v_mul_f32_e32 v152, v107, v124
	v_fmac_f32_e32 v151, v106, v136
	v_add_f32_e32 v90, v90, v150
	v_add_f32_e32 v89, v89, v91
	v_mul_f32_e32 v91, v112, v126
	v_mul_f32_e32 v153, v109, v125
	v_fmac_f32_e32 v152, v108, v137
	v_add_f32_e32 v90, v90, v151
	s_waitcnt vmcnt(3)
	v_fma_f32 v91, v111, v139, -v91
	v_mul_f32_e32 v154, v111, v126
	v_fmac_f32_e32 v153, v110, v138
	v_add_f32_e32 v90, v90, v152
	v_add_f32_e32 v89, v89, v91
	s_waitcnt lgkmcnt(0)
	v_mul_f32_e32 v91, v114, v127
	v_mul_f32_e32 v155, v113, v127
	v_fmac_f32_e32 v154, v112, v139
	v_add_f32_e32 v90, v90, v153
	s_waitcnt vmcnt(2)
	v_fma_f32 v91, v113, v140, -v91
	v_fmac_f32_e32 v155, v114, v140
	v_add_f32_e32 v90, v90, v154
	v_add_f32_e32 v89, v89, v91
	;; [unrolled: 1-line block ×3, first 2 shown]
	s_waitcnt vmcnt(1)
	v_sub_f32_e32 v89, v141, v89
	s_waitcnt vmcnt(0)
	v_sub_f32_e32 v90, v142, v90
	buffer_store_dword v89, off, s[0:3], 0 offset:232
	buffer_store_dword v90, off, s[0:3], 0 offset:236
	s_and_saveexec_b64 s[4:5], vcc
	s_cbranch_execz .LBB42_215
; %bb.214:
	buffer_load_dword v89, off, s[0:3], 0 offset:224
	buffer_load_dword v90, off, s[0:3], 0 offset:228
	s_waitcnt vmcnt(0)
	ds_write_b64 v87, v[89:90]
	buffer_store_dword v88, off, s[0:3], 0 offset:224
	buffer_store_dword v88, off, s[0:3], 0 offset:228
.LBB42_215:
	s_or_b64 exec, exec, s[4:5]
	s_waitcnt lgkmcnt(0)
	; wave barrier
	buffer_load_dword v117, off, s[0:3], 0 offset:236
	buffer_load_dword v118, off, s[0:3], 0 offset:244
	;; [unrolled: 1-line block ×30, first 2 shown]
	ds_read2_b64 v[89:92], v88 offset0:73 offset1:74
	ds_read2_b64 v[93:96], v88 offset0:75 offset1:76
	;; [unrolled: 1-line block ×7, first 2 shown]
	v_cmp_lt_u32_e32 vcc, 27, v0
	s_waitcnt vmcnt(29) lgkmcnt(6)
	v_mul_f32_e32 v88, v89, v117
	v_mul_f32_e32 v117, v90, v117
	s_waitcnt vmcnt(28)
	v_mul_f32_e32 v147, v91, v118
	v_mul_f32_e32 v118, v92, v118
	s_waitcnt vmcnt(27) lgkmcnt(5)
	v_mul_f32_e32 v148, v93, v119
	v_mul_f32_e32 v119, v94, v119
	s_waitcnt vmcnt(26)
	v_mul_f32_e32 v149, v95, v120
	v_mul_f32_e32 v120, v96, v120
	s_waitcnt vmcnt(25) lgkmcnt(4)
	v_mul_f32_e32 v150, v97, v121
	v_mul_f32_e32 v121, v98, v121
	s_waitcnt vmcnt(24)
	v_mul_f32_e32 v151, v99, v122
	s_waitcnt vmcnt(23) lgkmcnt(3)
	v_mul_f32_e32 v152, v101, v123
	s_waitcnt vmcnt(22)
	v_mul_f32_e32 v153, v103, v124
	s_waitcnt vmcnt(21) lgkmcnt(2)
	v_mul_f32_e32 v154, v105, v125
	s_waitcnt vmcnt(15)
	v_fma_f32 v89, v89, v131, -v117
	v_fmac_f32_e32 v88, v90, v131
	s_waitcnt vmcnt(14)
	v_fma_f32 v90, v91, v132, -v118
	v_add_f32_e32 v89, 0, v89
	s_waitcnt vmcnt(13)
	v_fma_f32 v91, v93, v133, -v119
	v_add_f32_e32 v89, v89, v90
	v_fmac_f32_e32 v147, v92, v132
	s_waitcnt vmcnt(12)
	v_fma_f32 v92, v95, v134, -v120
	v_add_f32_e32 v89, v89, v91
	s_waitcnt vmcnt(11)
	v_fma_f32 v93, v97, v135, -v121
	v_add_f32_e32 v89, v89, v92
	v_mul_f32_e32 v90, v100, v122
	v_add_f32_e32 v89, v89, v93
	s_waitcnt vmcnt(10)
	v_fma_f32 v90, v99, v136, -v90
	v_add_f32_e32 v89, v89, v90
	v_mul_f32_e32 v90, v102, v123
	s_waitcnt vmcnt(9)
	v_fma_f32 v90, v101, v137, -v90
	v_add_f32_e32 v89, v89, v90
	v_mul_f32_e32 v90, v104, v124
	s_waitcnt vmcnt(8)
	v_fma_f32 v90, v103, v138, -v90
	v_add_f32_e32 v88, 0, v88
	v_add_f32_e32 v89, v89, v90
	v_mul_f32_e32 v90, v106, v125
	v_fmac_f32_e32 v148, v94, v133
	v_add_f32_e32 v88, v88, v147
	s_waitcnt vmcnt(7)
	v_fma_f32 v90, v105, v139, -v90
	v_fmac_f32_e32 v149, v96, v134
	v_add_f32_e32 v88, v88, v148
	v_add_f32_e32 v89, v89, v90
	v_mul_f32_e32 v90, v108, v126
	v_fmac_f32_e32 v150, v98, v135
	v_add_f32_e32 v88, v88, v149
	s_waitcnt vmcnt(6)
	v_fma_f32 v90, v107, v140, -v90
	v_fmac_f32_e32 v151, v100, v136
	v_add_f32_e32 v88, v88, v150
	v_add_f32_e32 v89, v89, v90
	s_waitcnt lgkmcnt(1)
	v_mul_f32_e32 v90, v110, v127
	v_fmac_f32_e32 v152, v102, v137
	v_add_f32_e32 v88, v88, v151
	s_waitcnt vmcnt(5)
	v_fma_f32 v90, v109, v141, -v90
	v_fmac_f32_e32 v153, v104, v138
	v_add_f32_e32 v88, v88, v152
	v_add_f32_e32 v89, v89, v90
	v_mul_f32_e32 v90, v112, v128
	v_mul_f32_e32 v155, v107, v126
	v_fmac_f32_e32 v154, v106, v139
	v_add_f32_e32 v88, v88, v153
	s_waitcnt vmcnt(4)
	v_fma_f32 v90, v111, v142, -v90
	v_mul_f32_e32 v156, v109, v127
	v_fmac_f32_e32 v155, v108, v140
	v_add_f32_e32 v88, v88, v154
	v_add_f32_e32 v89, v89, v90
	s_waitcnt lgkmcnt(0)
	v_mul_f32_e32 v90, v114, v129
	v_mul_f32_e32 v157, v111, v128
	v_fmac_f32_e32 v156, v110, v141
	v_add_f32_e32 v88, v88, v155
	s_waitcnt vmcnt(3)
	v_fma_f32 v90, v113, v143, -v90
	v_mul_f32_e32 v158, v113, v129
	v_fmac_f32_e32 v157, v112, v142
	v_add_f32_e32 v88, v88, v156
	v_add_f32_e32 v89, v89, v90
	v_mul_f32_e32 v90, v116, v130
	v_mul_f32_e32 v159, v115, v130
	v_fmac_f32_e32 v158, v114, v143
	v_add_f32_e32 v88, v88, v157
	s_waitcnt vmcnt(2)
	v_fma_f32 v90, v115, v144, -v90
	v_fmac_f32_e32 v159, v116, v144
	v_add_f32_e32 v88, v88, v158
	v_add_f32_e32 v89, v89, v90
	;; [unrolled: 1-line block ×3, first 2 shown]
	s_waitcnt vmcnt(1)
	v_sub_f32_e32 v89, v145, v89
	s_waitcnt vmcnt(0)
	v_sub_f32_e32 v88, v146, v88
	buffer_store_dword v89, off, s[0:3], 0 offset:224
	buffer_store_dword v88, off, s[0:3], 0 offset:228
	s_and_saveexec_b64 s[4:5], vcc
	s_cbranch_execz .LBB42_217
; %bb.216:
	buffer_load_dword v88, off, s[0:3], 0 offset:216
	buffer_load_dword v89, off, s[0:3], 0 offset:220
	v_mov_b32_e32 v90, 0
	buffer_store_dword v90, off, s[0:3], 0 offset:216
	buffer_store_dword v90, off, s[0:3], 0 offset:220
	s_waitcnt vmcnt(2)
	ds_write_b64 v87, v[88:89]
.LBB42_217:
	s_or_b64 exec, exec, s[4:5]
	s_waitcnt lgkmcnt(0)
	; wave barrier
	buffer_load_dword v119, off, s[0:3], 0 offset:228
	buffer_load_dword v120, off, s[0:3], 0 offset:236
	;; [unrolled: 1-line block ×32, first 2 shown]
	v_mov_b32_e32 v88, 0
	ds_read_b128 v[89:92], v88 offset:576
	ds_read_b128 v[93:96], v88 offset:592
	;; [unrolled: 1-line block ×7, first 2 shown]
	ds_read_b64 v[117:118], v88 offset:688
	v_cmp_lt_u32_e32 vcc, 26, v0
	s_waitcnt vmcnt(31) lgkmcnt(7)
	v_mul_f32_e32 v151, v89, v119
	v_mul_f32_e32 v119, v90, v119
	s_waitcnt vmcnt(30)
	v_mul_f32_e32 v152, v91, v120
	v_mul_f32_e32 v120, v92, v120
	s_waitcnt vmcnt(29) lgkmcnt(6)
	v_mul_f32_e32 v153, v93, v121
	v_mul_f32_e32 v121, v94, v121
	s_waitcnt vmcnt(28)
	v_mul_f32_e32 v154, v95, v122
	s_waitcnt vmcnt(27) lgkmcnt(5)
	v_mul_f32_e32 v155, v97, v123
	s_waitcnt vmcnt(26)
	v_mul_f32_e32 v156, v99, v124
	s_waitcnt vmcnt(25) lgkmcnt(4)
	;; [unrolled: 4-line block ×4, first 2 shown]
	v_mul_f32_e32 v161, v109, v129
	s_waitcnt vmcnt(20)
	v_mul_f32_e32 v162, v111, v130
	s_waitcnt vmcnt(16)
	v_fma_f32 v89, v89, v134, -v119
	v_fmac_f32_e32 v151, v90, v134
	s_waitcnt vmcnt(15)
	v_fma_f32 v90, v91, v135, -v120
	v_add_f32_e32 v89, 0, v89
	s_waitcnt vmcnt(14)
	v_fma_f32 v91, v93, v136, -v121
	v_add_f32_e32 v89, v89, v90
	v_add_f32_e32 v89, v89, v91
	v_mul_f32_e32 v91, v96, v122
	s_waitcnt vmcnt(13)
	v_fma_f32 v91, v95, v137, -v91
	v_add_f32_e32 v89, v89, v91
	v_mul_f32_e32 v91, v98, v123
	s_waitcnt vmcnt(12)
	v_fma_f32 v91, v97, v138, -v91
	;; [unrolled: 4-line block ×5, first 2 shown]
	v_add_f32_e32 v89, v89, v91
	v_mul_f32_e32 v91, v106, v127
	v_fmac_f32_e32 v152, v92, v135
	v_add_f32_e32 v92, 0, v151
	s_waitcnt vmcnt(8)
	v_fma_f32 v91, v105, v142, -v91
	v_fmac_f32_e32 v153, v94, v136
	v_add_f32_e32 v92, v92, v152
	v_add_f32_e32 v89, v89, v91
	v_mul_f32_e32 v91, v108, v128
	v_fmac_f32_e32 v154, v96, v137
	v_add_f32_e32 v90, v92, v153
	s_waitcnt vmcnt(7)
	v_fma_f32 v91, v107, v143, -v91
	v_fmac_f32_e32 v155, v98, v138
	v_add_f32_e32 v90, v90, v154
	;; [unrolled: 8-line block ×4, first 2 shown]
	v_add_f32_e32 v89, v89, v91
	s_waitcnt lgkmcnt(1)
	v_mul_f32_e32 v91, v114, v131
	v_fmac_f32_e32 v160, v108, v143
	v_add_f32_e32 v90, v90, v159
	s_waitcnt vmcnt(4)
	v_fma_f32 v91, v113, v146, -v91
	v_fmac_f32_e32 v161, v110, v144
	v_add_f32_e32 v90, v90, v160
	v_add_f32_e32 v89, v89, v91
	v_mul_f32_e32 v91, v116, v132
	v_mul_f32_e32 v163, v113, v131
	v_fmac_f32_e32 v162, v112, v145
	v_add_f32_e32 v90, v90, v161
	s_waitcnt vmcnt(3)
	v_fma_f32 v91, v115, v147, -v91
	v_mul_f32_e32 v164, v115, v132
	v_fmac_f32_e32 v163, v114, v146
	v_add_f32_e32 v90, v90, v162
	v_add_f32_e32 v89, v89, v91
	s_waitcnt lgkmcnt(0)
	v_mul_f32_e32 v91, v118, v133
	v_mul_f32_e32 v165, v117, v133
	v_fmac_f32_e32 v164, v116, v147
	v_add_f32_e32 v90, v90, v163
	s_waitcnt vmcnt(2)
	v_fma_f32 v91, v117, v148, -v91
	v_fmac_f32_e32 v165, v118, v148
	v_add_f32_e32 v90, v90, v164
	v_add_f32_e32 v89, v89, v91
	;; [unrolled: 1-line block ×3, first 2 shown]
	s_waitcnt vmcnt(1)
	v_sub_f32_e32 v89, v149, v89
	s_waitcnt vmcnt(0)
	v_sub_f32_e32 v90, v150, v90
	buffer_store_dword v89, off, s[0:3], 0 offset:216
	buffer_store_dword v90, off, s[0:3], 0 offset:220
	s_and_saveexec_b64 s[4:5], vcc
	s_cbranch_execz .LBB42_219
; %bb.218:
	buffer_load_dword v89, off, s[0:3], 0 offset:208
	buffer_load_dword v90, off, s[0:3], 0 offset:212
	s_waitcnt vmcnt(0)
	ds_write_b64 v87, v[89:90]
	buffer_store_dword v88, off, s[0:3], 0 offset:208
	buffer_store_dword v88, off, s[0:3], 0 offset:212
.LBB42_219:
	s_or_b64 exec, exec, s[4:5]
	s_waitcnt lgkmcnt(0)
	; wave barrier
	buffer_load_dword v121, off, s[0:3], 0 offset:220
	buffer_load_dword v122, off, s[0:3], 0 offset:228
	;; [unrolled: 1-line block ×34, first 2 shown]
	ds_read2_b64 v[89:92], v88 offset0:71 offset1:72
	ds_read2_b64 v[93:96], v88 offset0:73 offset1:74
	;; [unrolled: 1-line block ×8, first 2 shown]
	v_cmp_lt_u32_e32 vcc, 25, v0
	s_waitcnt vmcnt(33) lgkmcnt(7)
	v_mul_f32_e32 v88, v89, v121
	v_mul_f32_e32 v121, v90, v121
	s_waitcnt vmcnt(32)
	v_mul_f32_e32 v155, v91, v122
	v_mul_f32_e32 v122, v92, v122
	s_waitcnt vmcnt(31) lgkmcnt(6)
	v_mul_f32_e32 v156, v93, v123
	s_waitcnt vmcnt(30)
	v_mul_f32_e32 v157, v95, v124
	s_waitcnt vmcnt(29) lgkmcnt(5)
	v_mul_f32_e32 v158, v97, v125
	s_waitcnt vmcnt(28)
	v_mul_f32_e32 v159, v99, v126
	s_waitcnt vmcnt(27) lgkmcnt(4)
	v_mul_f32_e32 v160, v101, v127
	s_waitcnt vmcnt(26)
	v_mul_f32_e32 v161, v103, v128
	s_waitcnt vmcnt(25) lgkmcnt(3)
	v_mul_f32_e32 v162, v105, v129
	s_waitcnt vmcnt(24)
	v_mul_f32_e32 v163, v107, v130
	s_waitcnt vmcnt(23) lgkmcnt(2)
	v_mul_f32_e32 v164, v109, v131
	s_waitcnt vmcnt(22)
	v_mul_f32_e32 v165, v111, v132
	s_waitcnt vmcnt(21) lgkmcnt(1)
	v_mul_f32_e32 v166, v113, v133
	s_waitcnt vmcnt(20)
	v_mul_f32_e32 v167, v115, v134
	s_waitcnt vmcnt(17)
	v_fma_f32 v89, v89, v137, -v121
	v_fmac_f32_e32 v88, v90, v137
	s_waitcnt vmcnt(16)
	v_fma_f32 v90, v91, v138, -v122
	v_add_f32_e32 v89, 0, v89
	v_add_f32_e32 v89, v89, v90
	v_mul_f32_e32 v90, v94, v123
	s_waitcnt vmcnt(15)
	v_fma_f32 v90, v93, v139, -v90
	v_add_f32_e32 v89, v89, v90
	v_mul_f32_e32 v90, v96, v124
	s_waitcnt vmcnt(14)
	v_fma_f32 v90, v95, v140, -v90
	;; [unrolled: 4-line block ×7, first 2 shown]
	v_fmac_f32_e32 v155, v92, v138
	v_add_f32_e32 v88, 0, v88
	v_add_f32_e32 v89, v89, v90
	v_mul_f32_e32 v90, v108, v130
	v_fmac_f32_e32 v156, v94, v139
	v_add_f32_e32 v88, v88, v155
	s_waitcnt vmcnt(8)
	v_fma_f32 v90, v107, v146, -v90
	v_fmac_f32_e32 v157, v96, v140
	v_add_f32_e32 v88, v88, v156
	v_add_f32_e32 v89, v89, v90
	v_mul_f32_e32 v90, v110, v131
	v_fmac_f32_e32 v158, v98, v141
	v_add_f32_e32 v88, v88, v157
	s_waitcnt vmcnt(7)
	v_fma_f32 v90, v109, v147, -v90
	;; [unrolled: 8-line block ×5, first 2 shown]
	v_fmac_f32_e32 v165, v112, v148
	v_add_f32_e32 v88, v88, v164
	v_add_f32_e32 v89, v89, v90
	s_waitcnt lgkmcnt(0)
	v_mul_f32_e32 v90, v118, v135
	v_fmac_f32_e32 v166, v114, v149
	v_add_f32_e32 v88, v88, v165
	s_waitcnt vmcnt(3)
	v_fma_f32 v90, v117, v151, -v90
	v_mul_f32_e32 v168, v117, v135
	v_fmac_f32_e32 v167, v116, v150
	v_add_f32_e32 v88, v88, v166
	v_add_f32_e32 v89, v89, v90
	v_mul_f32_e32 v90, v120, v136
	v_mul_f32_e32 v169, v119, v136
	v_fmac_f32_e32 v168, v118, v151
	v_add_f32_e32 v88, v88, v167
	s_waitcnt vmcnt(2)
	v_fma_f32 v90, v119, v152, -v90
	v_fmac_f32_e32 v169, v120, v152
	v_add_f32_e32 v88, v88, v168
	v_add_f32_e32 v89, v89, v90
	;; [unrolled: 1-line block ×3, first 2 shown]
	s_waitcnt vmcnt(1)
	v_sub_f32_e32 v89, v153, v89
	s_waitcnt vmcnt(0)
	v_sub_f32_e32 v88, v154, v88
	buffer_store_dword v89, off, s[0:3], 0 offset:208
	buffer_store_dword v88, off, s[0:3], 0 offset:212
	s_and_saveexec_b64 s[4:5], vcc
	s_cbranch_execz .LBB42_221
; %bb.220:
	buffer_load_dword v88, off, s[0:3], 0 offset:200
	buffer_load_dword v89, off, s[0:3], 0 offset:204
	v_mov_b32_e32 v90, 0
	buffer_store_dword v90, off, s[0:3], 0 offset:200
	buffer_store_dword v90, off, s[0:3], 0 offset:204
	s_waitcnt vmcnt(2)
	ds_write_b64 v87, v[88:89]
.LBB42_221:
	s_or_b64 exec, exec, s[4:5]
	s_waitcnt lgkmcnt(0)
	; wave barrier
	buffer_load_dword v123, off, s[0:3], 0 offset:212
	buffer_load_dword v124, off, s[0:3], 0 offset:220
	;; [unrolled: 1-line block ×36, first 2 shown]
	v_mov_b32_e32 v88, 0
	ds_read_b128 v[89:92], v88 offset:560
	ds_read_b128 v[93:96], v88 offset:576
	;; [unrolled: 1-line block ×8, first 2 shown]
	ds_read_b64 v[121:122], v88 offset:688
	v_cmp_lt_u32_e32 vcc, 24, v0
	s_waitcnt vmcnt(35) lgkmcnt(8)
	v_mul_f32_e32 v159, v89, v123
	s_waitcnt vmcnt(34)
	v_mul_f32_e32 v160, v91, v124
	s_waitcnt vmcnt(33) lgkmcnt(7)
	v_mul_f32_e32 v161, v93, v125
	s_waitcnt vmcnt(32)
	v_mul_f32_e32 v162, v95, v126
	;; [unrolled: 4-line block ×8, first 2 shown]
	s_waitcnt vmcnt(19) lgkmcnt(0)
	v_mul_f32_e32 v175, v121, v139
	s_waitcnt vmcnt(18)
	v_fmac_f32_e32 v159, v90, v140
	v_mul_f32_e32 v90, v90, v123
	v_fma_f32 v89, v89, v140, -v90
	v_mul_f32_e32 v90, v92, v124
	v_add_f32_e32 v89, 0, v89
	s_waitcnt vmcnt(17)
	v_fma_f32 v90, v91, v141, -v90
	v_add_f32_e32 v89, v89, v90
	v_mul_f32_e32 v90, v94, v125
	s_waitcnt vmcnt(16)
	v_fma_f32 v90, v93, v142, -v90
	v_add_f32_e32 v89, v89, v90
	v_mul_f32_e32 v90, v96, v126
	;; [unrolled: 4-line block ×8, first 2 shown]
	v_fmac_f32_e32 v160, v92, v141
	v_add_f32_e32 v159, 0, v159
	s_waitcnt vmcnt(9)
	v_fma_f32 v90, v107, v149, -v90
	v_fmac_f32_e32 v161, v94, v142
	v_add_f32_e32 v159, v159, v160
	v_add_f32_e32 v89, v89, v90
	v_mul_f32_e32 v90, v110, v133
	v_fmac_f32_e32 v162, v96, v143
	v_add_f32_e32 v159, v159, v161
	s_waitcnt vmcnt(8)
	v_fma_f32 v90, v109, v150, -v90
	v_fmac_f32_e32 v163, v98, v144
	v_add_f32_e32 v159, v159, v162
	v_add_f32_e32 v89, v89, v90
	v_mul_f32_e32 v90, v112, v134
	;; [unrolled: 8-line block ×7, first 2 shown]
	v_fmac_f32_e32 v174, v120, v155
	v_add_f32_e32 v159, v159, v173
	s_waitcnt vmcnt(2)
	v_fma_f32 v90, v121, v156, -v90
	v_fmac_f32_e32 v175, v122, v156
	v_add_f32_e32 v159, v159, v174
	v_add_f32_e32 v89, v89, v90
	;; [unrolled: 1-line block ×3, first 2 shown]
	s_waitcnt vmcnt(1)
	v_sub_f32_e32 v89, v157, v89
	s_waitcnt vmcnt(0)
	v_sub_f32_e32 v90, v158, v159
	buffer_store_dword v89, off, s[0:3], 0 offset:200
	buffer_store_dword v90, off, s[0:3], 0 offset:204
	s_and_saveexec_b64 s[4:5], vcc
	s_cbranch_execz .LBB42_223
; %bb.222:
	buffer_load_dword v89, off, s[0:3], 0 offset:192
	buffer_load_dword v90, off, s[0:3], 0 offset:196
	s_waitcnt vmcnt(0)
	ds_write_b64 v87, v[89:90]
	buffer_store_dword v88, off, s[0:3], 0 offset:192
	buffer_store_dword v88, off, s[0:3], 0 offset:196
.LBB42_223:
	s_or_b64 exec, exec, s[4:5]
	s_waitcnt lgkmcnt(0)
	; wave barrier
	buffer_load_dword v125, off, s[0:3], 0 offset:204
	buffer_load_dword v126, off, s[0:3], 0 offset:212
	;; [unrolled: 1-line block ×38, first 2 shown]
	ds_read2_b64 v[89:92], v88 offset0:69 offset1:70
	ds_read2_b64 v[93:96], v88 offset0:71 offset1:72
	;; [unrolled: 1-line block ×9, first 2 shown]
	v_cmp_lt_u32_e32 vcc, 23, v0
	s_waitcnt vmcnt(37) lgkmcnt(8)
	v_mul_f32_e32 v88, v89, v125
	s_waitcnt vmcnt(36)
	v_mul_f32_e32 v163, v91, v126
	s_waitcnt vmcnt(35) lgkmcnt(7)
	v_mul_f32_e32 v164, v93, v127
	s_waitcnt vmcnt(34)
	v_mul_f32_e32 v165, v95, v128
	;; [unrolled: 4-line block ×8, first 2 shown]
	s_waitcnt vmcnt(21) lgkmcnt(0)
	v_mul_f32_e32 v178, v121, v141
	s_waitcnt vmcnt(20)
	v_fmac_f32_e32 v88, v90, v142
	v_mul_f32_e32 v90, v90, v125
	v_fma_f32 v89, v89, v142, -v90
	v_mul_f32_e32 v90, v92, v126
	v_add_f32_e32 v89, 0, v89
	s_waitcnt vmcnt(19)
	v_fma_f32 v90, v91, v143, -v90
	v_add_f32_e32 v89, v89, v90
	v_mul_f32_e32 v90, v94, v127
	s_waitcnt vmcnt(18)
	v_fma_f32 v90, v93, v144, -v90
	v_add_f32_e32 v89, v89, v90
	v_mul_f32_e32 v90, v96, v128
	;; [unrolled: 4-line block ×8, first 2 shown]
	s_waitcnt vmcnt(11)
	v_fma_f32 v90, v107, v151, -v90
	v_fmac_f32_e32 v163, v92, v143
	v_add_f32_e32 v88, 0, v88
	v_add_f32_e32 v89, v89, v90
	v_mul_f32_e32 v90, v110, v135
	v_fmac_f32_e32 v164, v94, v144
	v_add_f32_e32 v88, v88, v163
	s_waitcnt vmcnt(10)
	v_fma_f32 v90, v109, v152, -v90
	v_fmac_f32_e32 v165, v96, v145
	v_add_f32_e32 v88, v88, v164
	v_add_f32_e32 v89, v89, v90
	v_mul_f32_e32 v90, v112, v136
	v_fmac_f32_e32 v166, v98, v146
	v_add_f32_e32 v88, v88, v165
	;; [unrolled: 8-line block ×7, first 2 shown]
	s_waitcnt vmcnt(4)
	v_fma_f32 v90, v121, v158, -v90
	v_fmac_f32_e32 v177, v120, v157
	v_add_f32_e32 v88, v88, v176
	v_add_f32_e32 v89, v89, v90
	s_waitcnt vmcnt(3)
	v_mul_f32_e32 v90, v124, v159
	v_add_f32_e32 v88, v88, v177
	v_fmac_f32_e32 v178, v122, v158
	v_mul_f32_e32 v163, v123, v159
	s_waitcnt vmcnt(2)
	v_fma_f32 v90, v123, v160, -v90
	v_add_f32_e32 v88, v88, v178
	v_fmac_f32_e32 v163, v124, v160
	v_add_f32_e32 v89, v89, v90
	v_add_f32_e32 v88, v88, v163
	s_waitcnt vmcnt(1)
	v_sub_f32_e32 v89, v161, v89
	s_waitcnt vmcnt(0)
	v_sub_f32_e32 v88, v162, v88
	buffer_store_dword v89, off, s[0:3], 0 offset:192
	buffer_store_dword v88, off, s[0:3], 0 offset:196
	s_and_saveexec_b64 s[4:5], vcc
	s_cbranch_execz .LBB42_225
; %bb.224:
	buffer_load_dword v88, off, s[0:3], 0 offset:184
	buffer_load_dword v89, off, s[0:3], 0 offset:188
	v_mov_b32_e32 v90, 0
	buffer_store_dword v90, off, s[0:3], 0 offset:184
	buffer_store_dword v90, off, s[0:3], 0 offset:188
	s_waitcnt vmcnt(2)
	ds_write_b64 v87, v[88:89]
.LBB42_225:
	s_or_b64 exec, exec, s[4:5]
	s_waitcnt lgkmcnt(0)
	; wave barrier
	buffer_load_dword v127, off, s[0:3], 0 offset:196
	buffer_load_dword v128, off, s[0:3], 0 offset:204
	;; [unrolled: 1-line block ×40, first 2 shown]
	v_mov_b32_e32 v88, 0
	ds_read_b128 v[89:92], v88 offset:544
	ds_read_b128 v[93:96], v88 offset:560
	;; [unrolled: 1-line block ×9, first 2 shown]
	v_cmp_lt_u32_e32 vcc, 22, v0
	s_waitcnt vmcnt(39) lgkmcnt(8)
	v_mul_f32_e32 v125, v89, v127
	s_waitcnt vmcnt(38)
	v_mul_f32_e32 v126, v91, v128
	s_waitcnt vmcnt(37) lgkmcnt(7)
	v_mul_f32_e32 v167, v93, v129
	s_waitcnt vmcnt(36)
	v_mul_f32_e32 v168, v95, v130
	s_waitcnt vmcnt(35) lgkmcnt(6)
	v_mul_f32_e32 v169, v97, v131
	s_waitcnt vmcnt(34)
	v_mul_f32_e32 v170, v99, v132
	s_waitcnt vmcnt(33) lgkmcnt(5)
	v_mul_f32_e32 v171, v101, v133
	s_waitcnt vmcnt(32)
	v_mul_f32_e32 v172, v103, v134
	s_waitcnt vmcnt(31) lgkmcnt(4)
	v_mul_f32_e32 v173, v105, v135
	s_waitcnt vmcnt(30)
	v_mul_f32_e32 v174, v107, v136
	s_waitcnt vmcnt(29) lgkmcnt(3)
	v_mul_f32_e32 v175, v109, v137
	s_waitcnt vmcnt(28)
	v_mul_f32_e32 v176, v111, v138
	s_waitcnt vmcnt(27) lgkmcnt(2)
	v_mul_f32_e32 v177, v113, v139
	s_waitcnt vmcnt(26)
	v_mul_f32_e32 v178, v115, v140
	s_waitcnt vmcnt(25) lgkmcnt(1)
	v_mul_f32_e32 v179, v117, v141
	s_waitcnt vmcnt(24)
	v_fmac_f32_e32 v125, v90, v142
	v_mul_f32_e32 v90, v90, v127
	v_fma_f32 v89, v89, v142, -v90
	v_mul_f32_e32 v90, v92, v128
	v_add_f32_e32 v89, 0, v89
	s_waitcnt vmcnt(23)
	v_fma_f32 v90, v91, v143, -v90
	v_add_f32_e32 v89, v89, v90
	v_mul_f32_e32 v90, v94, v129
	s_waitcnt vmcnt(22)
	v_fma_f32 v90, v93, v144, -v90
	v_add_f32_e32 v89, v89, v90
	v_mul_f32_e32 v90, v96, v130
	;; [unrolled: 4-line block ×6, first 2 shown]
	s_waitcnt vmcnt(17)
	v_fma_f32 v90, v103, v149, -v90
	v_fmac_f32_e32 v126, v92, v143
	v_add_f32_e32 v125, 0, v125
	v_add_f32_e32 v89, v89, v90
	v_mul_f32_e32 v90, v106, v135
	v_fmac_f32_e32 v167, v94, v144
	v_add_f32_e32 v125, v125, v126
	s_waitcnt vmcnt(16)
	v_fma_f32 v90, v105, v150, -v90
	v_fmac_f32_e32 v168, v96, v145
	v_add_f32_e32 v125, v125, v167
	v_add_f32_e32 v89, v89, v90
	v_mul_f32_e32 v90, v108, v136
	v_fmac_f32_e32 v169, v98, v146
	v_add_f32_e32 v125, v125, v168
	;; [unrolled: 8-line block ×6, first 2 shown]
	s_waitcnt vmcnt(11)
	v_fma_f32 v90, v115, v155, -v90
	v_fmac_f32_e32 v178, v116, v155
	v_add_f32_e32 v125, v125, v177
	v_add_f32_e32 v89, v89, v90
	v_mul_f32_e32 v90, v118, v141
	s_waitcnt vmcnt(10)
	v_fmac_f32_e32 v179, v118, v156
	v_add_f32_e32 v125, v125, v178
	s_waitcnt vmcnt(9)
	v_mul_f32_e32 v126, v119, v157
	v_fma_f32 v90, v117, v156, -v90
	v_add_f32_e32 v125, v125, v179
	s_waitcnt vmcnt(8)
	v_fmac_f32_e32 v126, v120, v158
	v_add_f32_e32 v89, v89, v90
	v_mul_f32_e32 v90, v120, v157
	v_add_f32_e32 v167, v125, v126
	ds_read_b64 v[125:126], v88 offset:688
	v_fma_f32 v90, v119, v158, -v90
	v_add_f32_e32 v89, v89, v90
	s_waitcnt vmcnt(7) lgkmcnt(1)
	v_mul_f32_e32 v90, v122, v159
	v_mul_f32_e32 v168, v121, v159
	s_waitcnt vmcnt(6)
	v_fma_f32 v90, v121, v160, -v90
	v_fmac_f32_e32 v168, v122, v160
	v_add_f32_e32 v89, v89, v90
	s_waitcnt vmcnt(5)
	v_mul_f32_e32 v90, v124, v161
	v_add_f32_e32 v167, v167, v168
	v_mul_f32_e32 v168, v123, v161
	s_waitcnt vmcnt(4)
	v_fma_f32 v90, v123, v162, -v90
	v_fmac_f32_e32 v168, v124, v162
	v_add_f32_e32 v89, v89, v90
	s_waitcnt vmcnt(3) lgkmcnt(0)
	v_mul_f32_e32 v90, v126, v163
	v_add_f32_e32 v167, v167, v168
	v_mul_f32_e32 v168, v125, v163
	s_waitcnt vmcnt(2)
	v_fma_f32 v90, v125, v164, -v90
	v_fmac_f32_e32 v168, v126, v164
	v_add_f32_e32 v89, v89, v90
	v_add_f32_e32 v167, v167, v168
	s_waitcnt vmcnt(1)
	v_sub_f32_e32 v89, v165, v89
	s_waitcnt vmcnt(0)
	v_sub_f32_e32 v90, v166, v167
	buffer_store_dword v89, off, s[0:3], 0 offset:184
	buffer_store_dword v90, off, s[0:3], 0 offset:188
	s_and_saveexec_b64 s[4:5], vcc
	s_cbranch_execz .LBB42_227
; %bb.226:
	buffer_load_dword v89, off, s[0:3], 0 offset:176
	buffer_load_dword v90, off, s[0:3], 0 offset:180
	s_waitcnt vmcnt(0)
	ds_write_b64 v87, v[89:90]
	buffer_store_dword v88, off, s[0:3], 0 offset:176
	buffer_store_dword v88, off, s[0:3], 0 offset:180
.LBB42_227:
	s_or_b64 exec, exec, s[4:5]
	s_waitcnt lgkmcnt(0)
	; wave barrier
	buffer_load_dword v129, off, s[0:3], 0 offset:188
	buffer_load_dword v130, off, s[0:3], 0 offset:196
	buffer_load_dword v131, off, s[0:3], 0 offset:204
	buffer_load_dword v132, off, s[0:3], 0 offset:212
	buffer_load_dword v133, off, s[0:3], 0 offset:220
	buffer_load_dword v134, off, s[0:3], 0 offset:228
	buffer_load_dword v135, off, s[0:3], 0 offset:236
	buffer_load_dword v136, off, s[0:3], 0 offset:244
	buffer_load_dword v137, off, s[0:3], 0 offset:252
	buffer_load_dword v138, off, s[0:3], 0 offset:260
	buffer_load_dword v139, off, s[0:3], 0 offset:268
	buffer_load_dword v140, off, s[0:3], 0 offset:276
	buffer_load_dword v141, off, s[0:3], 0 offset:284
	buffer_load_dword v142, off, s[0:3], 0 offset:292
	buffer_load_dword v143, off, s[0:3], 0 offset:300
	buffer_load_dword v144, off, s[0:3], 0 offset:184
	buffer_load_dword v145, off, s[0:3], 0 offset:192
	buffer_load_dword v146, off, s[0:3], 0 offset:200
	buffer_load_dword v147, off, s[0:3], 0 offset:208
	buffer_load_dword v148, off, s[0:3], 0 offset:216
	buffer_load_dword v149, off, s[0:3], 0 offset:224
	buffer_load_dword v150, off, s[0:3], 0 offset:232
	buffer_load_dword v151, off, s[0:3], 0 offset:240
	buffer_load_dword v152, off, s[0:3], 0 offset:248
	buffer_load_dword v153, off, s[0:3], 0 offset:256
	buffer_load_dword v154, off, s[0:3], 0 offset:264
	buffer_load_dword v155, off, s[0:3], 0 offset:272
	buffer_load_dword v156, off, s[0:3], 0 offset:280
	buffer_load_dword v157, off, s[0:3], 0 offset:288
	buffer_load_dword v158, off, s[0:3], 0 offset:296
	buffer_load_dword v159, off, s[0:3], 0 offset:308
	buffer_load_dword v160, off, s[0:3], 0 offset:304
	buffer_load_dword v161, off, s[0:3], 0 offset:316
	buffer_load_dword v162, off, s[0:3], 0 offset:312
	buffer_load_dword v163, off, s[0:3], 0 offset:324
	buffer_load_dword v164, off, s[0:3], 0 offset:320
	buffer_load_dword v165, off, s[0:3], 0 offset:332
	buffer_load_dword v166, off, s[0:3], 0 offset:328
	buffer_load_dword v167, off, s[0:3], 0 offset:340
	buffer_load_dword v168, off, s[0:3], 0 offset:336
	buffer_load_dword v169, off, s[0:3], 0 offset:176
	buffer_load_dword v170, off, s[0:3], 0 offset:180
	ds_read2_b64 v[89:92], v88 offset0:67 offset1:68
	ds_read2_b64 v[93:96], v88 offset0:69 offset1:70
	;; [unrolled: 1-line block ×8, first 2 shown]
	v_cmp_lt_u32_e32 vcc, 21, v0
	s_waitcnt vmcnt(41) lgkmcnt(7)
	v_mul_f32_e32 v121, v89, v129
	s_waitcnt vmcnt(40)
	v_mul_f32_e32 v122, v91, v130
	s_waitcnt vmcnt(39) lgkmcnt(6)
	v_mul_f32_e32 v123, v93, v131
	s_waitcnt vmcnt(38)
	v_mul_f32_e32 v124, v95, v132
	;; [unrolled: 4-line block ×7, first 2 shown]
	s_waitcnt vmcnt(27) lgkmcnt(0)
	v_mul_f32_e32 v177, v117, v143
	s_waitcnt vmcnt(26)
	v_fmac_f32_e32 v121, v90, v144
	v_mul_f32_e32 v90, v90, v129
	v_fma_f32 v89, v89, v144, -v90
	v_mul_f32_e32 v90, v92, v130
	v_add_f32_e32 v89, 0, v89
	s_waitcnt vmcnt(25)
	v_fma_f32 v90, v91, v145, -v90
	v_add_f32_e32 v89, v89, v90
	v_mul_f32_e32 v90, v94, v131
	s_waitcnt vmcnt(24)
	v_fma_f32 v90, v93, v146, -v90
	v_add_f32_e32 v89, v89, v90
	v_mul_f32_e32 v90, v96, v132
	;; [unrolled: 4-line block ×5, first 2 shown]
	v_fmac_f32_e32 v122, v92, v145
	v_add_f32_e32 v121, 0, v121
	s_waitcnt vmcnt(20)
	v_fma_f32 v90, v101, v150, -v90
	v_fmac_f32_e32 v123, v94, v146
	v_add_f32_e32 v121, v121, v122
	v_add_f32_e32 v89, v89, v90
	v_mul_f32_e32 v90, v104, v136
	v_fmac_f32_e32 v124, v96, v147
	v_add_f32_e32 v121, v121, v123
	s_waitcnt vmcnt(19)
	v_fma_f32 v90, v103, v151, -v90
	v_fmac_f32_e32 v125, v98, v148
	v_add_f32_e32 v121, v121, v124
	v_add_f32_e32 v89, v89, v90
	v_mul_f32_e32 v90, v106, v137
	;; [unrolled: 8-line block ×5, first 2 shown]
	s_waitcnt vmcnt(15)
	v_fmac_f32_e32 v174, v112, v155
	v_add_f32_e32 v121, v121, v173
	v_fma_f32 v90, v111, v155, -v90
	s_waitcnt vmcnt(14)
	v_fmac_f32_e32 v175, v114, v156
	v_add_f32_e32 v121, v121, v174
	v_add_f32_e32 v89, v89, v90
	v_mul_f32_e32 v90, v114, v141
	s_waitcnt vmcnt(13)
	v_fmac_f32_e32 v176, v116, v157
	v_add_f32_e32 v121, v121, v175
	v_fma_f32 v90, v113, v156, -v90
	s_waitcnt vmcnt(12)
	v_fmac_f32_e32 v177, v118, v158
	v_add_f32_e32 v121, v121, v176
	v_add_f32_e32 v89, v89, v90
	v_mul_f32_e32 v90, v116, v142
	v_add_f32_e32 v125, v121, v177
	ds_read2_b64 v[121:124], v88 offset0:83 offset1:84
	v_fma_f32 v90, v115, v157, -v90
	v_add_f32_e32 v89, v89, v90
	v_mul_f32_e32 v90, v118, v143
	s_waitcnt vmcnt(11)
	v_mul_f32_e32 v126, v119, v159
	v_fma_f32 v90, v117, v158, -v90
	s_waitcnt vmcnt(10)
	v_fmac_f32_e32 v126, v120, v160
	v_add_f32_e32 v89, v89, v90
	v_mul_f32_e32 v90, v120, v159
	v_add_f32_e32 v171, v125, v126
	ds_read2_b64 v[125:128], v88 offset0:85 offset1:86
	v_fma_f32 v90, v119, v160, -v90
	v_add_f32_e32 v89, v89, v90
	s_waitcnt vmcnt(9) lgkmcnt(1)
	v_mul_f32_e32 v90, v122, v161
	v_mul_f32_e32 v88, v121, v161
	s_waitcnt vmcnt(8)
	v_fma_f32 v90, v121, v162, -v90
	v_fmac_f32_e32 v88, v122, v162
	v_add_f32_e32 v89, v89, v90
	s_waitcnt vmcnt(7)
	v_mul_f32_e32 v90, v124, v163
	v_add_f32_e32 v88, v171, v88
	v_mul_f32_e32 v171, v123, v163
	s_waitcnt vmcnt(6)
	v_fma_f32 v90, v123, v164, -v90
	v_fmac_f32_e32 v171, v124, v164
	v_add_f32_e32 v89, v89, v90
	s_waitcnt vmcnt(5) lgkmcnt(0)
	v_mul_f32_e32 v90, v126, v165
	v_add_f32_e32 v88, v88, v171
	v_mul_f32_e32 v171, v125, v165
	s_waitcnt vmcnt(4)
	v_fma_f32 v90, v125, v166, -v90
	v_fmac_f32_e32 v171, v126, v166
	v_add_f32_e32 v89, v89, v90
	s_waitcnt vmcnt(3)
	v_mul_f32_e32 v90, v128, v167
	v_add_f32_e32 v88, v88, v171
	v_mul_f32_e32 v171, v127, v167
	s_waitcnt vmcnt(2)
	v_fma_f32 v90, v127, v168, -v90
	v_fmac_f32_e32 v171, v128, v168
	v_add_f32_e32 v89, v89, v90
	v_add_f32_e32 v88, v88, v171
	s_waitcnt vmcnt(1)
	v_sub_f32_e32 v89, v169, v89
	s_waitcnt vmcnt(0)
	v_sub_f32_e32 v88, v170, v88
	buffer_store_dword v89, off, s[0:3], 0 offset:176
	buffer_store_dword v88, off, s[0:3], 0 offset:180
	s_and_saveexec_b64 s[4:5], vcc
	s_cbranch_execz .LBB42_229
; %bb.228:
	buffer_load_dword v88, off, s[0:3], 0 offset:168
	buffer_load_dword v89, off, s[0:3], 0 offset:172
	v_mov_b32_e32 v90, 0
	buffer_store_dword v90, off, s[0:3], 0 offset:168
	buffer_store_dword v90, off, s[0:3], 0 offset:172
	s_waitcnt vmcnt(2)
	ds_write_b64 v87, v[88:89]
.LBB42_229:
	s_or_b64 exec, exec, s[4:5]
	s_waitcnt lgkmcnt(0)
	; wave barrier
	buffer_load_dword v131, off, s[0:3], 0 offset:180
	buffer_load_dword v132, off, s[0:3], 0 offset:188
	;; [unrolled: 1-line block ×44, first 2 shown]
	v_mov_b32_e32 v88, 0
	ds_read_b128 v[89:92], v88 offset:528
	ds_read_b128 v[93:96], v88 offset:544
	;; [unrolled: 1-line block ×8, first 2 shown]
	v_cmp_lt_u32_e32 vcc, 20, v0
	s_waitcnt vmcnt(43) lgkmcnt(7)
	v_mul_f32_e32 v121, v89, v131
	s_waitcnt vmcnt(42)
	v_mul_f32_e32 v122, v91, v132
	s_waitcnt vmcnt(41) lgkmcnt(6)
	v_mul_f32_e32 v123, v93, v133
	s_waitcnt vmcnt(40)
	v_mul_f32_e32 v124, v95, v134
	;; [unrolled: 4-line block ×7, first 2 shown]
	s_waitcnt vmcnt(29)
	v_fmac_f32_e32 v121, v90, v145
	v_mul_f32_e32 v90, v90, v131
	v_fma_f32 v89, v89, v145, -v90
	v_mul_f32_e32 v90, v92, v132
	v_add_f32_e32 v89, 0, v89
	s_waitcnt vmcnt(28)
	v_fma_f32 v90, v91, v146, -v90
	v_add_f32_e32 v89, v89, v90
	v_mul_f32_e32 v90, v94, v133
	s_waitcnt vmcnt(27)
	v_fma_f32 v90, v93, v147, -v90
	v_add_f32_e32 v89, v89, v90
	v_mul_f32_e32 v90, v96, v134
	;; [unrolled: 4-line block ×4, first 2 shown]
	s_waitcnt vmcnt(24)
	v_fma_f32 v90, v99, v150, -v90
	v_fmac_f32_e32 v122, v92, v146
	v_add_f32_e32 v121, 0, v121
	v_add_f32_e32 v89, v89, v90
	v_mul_f32_e32 v90, v102, v137
	v_fmac_f32_e32 v123, v94, v147
	v_add_f32_e32 v121, v121, v122
	s_waitcnt vmcnt(23)
	v_fma_f32 v90, v101, v151, -v90
	v_fmac_f32_e32 v124, v96, v148
	v_add_f32_e32 v121, v121, v123
	v_add_f32_e32 v89, v89, v90
	v_mul_f32_e32 v90, v104, v138
	v_fmac_f32_e32 v125, v98, v149
	v_add_f32_e32 v121, v121, v124
	s_waitcnt vmcnt(22)
	v_fma_f32 v90, v103, v152, -v90
	v_fmac_f32_e32 v126, v100, v150
	v_add_f32_e32 v121, v121, v125
	v_add_f32_e32 v89, v89, v90
	v_mul_f32_e32 v90, v106, v139
	v_fmac_f32_e32 v127, v102, v151
	v_add_f32_e32 v121, v121, v126
	s_waitcnt vmcnt(21)
	v_fma_f32 v90, v105, v153, -v90
	v_fmac_f32_e32 v128, v104, v152
	v_add_f32_e32 v121, v121, v127
	v_add_f32_e32 v89, v89, v90
	v_mul_f32_e32 v90, v108, v140
	v_fmac_f32_e32 v129, v106, v153
	v_add_f32_e32 v121, v121, v128
	s_waitcnt vmcnt(20)
	v_fma_f32 v90, v107, v154, -v90
	v_fmac_f32_e32 v130, v108, v154
	v_add_f32_e32 v121, v121, v129
	v_add_f32_e32 v89, v89, v90
	v_mul_f32_e32 v90, v110, v141
	s_waitcnt vmcnt(19)
	v_fmac_f32_e32 v175, v110, v155
	v_add_f32_e32 v121, v121, v130
	v_fma_f32 v90, v109, v155, -v90
	s_waitcnt vmcnt(18)
	v_fmac_f32_e32 v176, v112, v156
	v_add_f32_e32 v121, v121, v175
	v_add_f32_e32 v89, v89, v90
	v_mul_f32_e32 v90, v112, v142
	s_waitcnt vmcnt(17)
	v_fmac_f32_e32 v177, v114, v157
	v_add_f32_e32 v121, v121, v176
	v_fma_f32 v90, v111, v156, -v90
	v_add_f32_e32 v121, v121, v177
	s_waitcnt vmcnt(16)
	v_fmac_f32_e32 v178, v116, v158
	s_waitcnt vmcnt(15) lgkmcnt(0)
	v_mul_f32_e32 v122, v117, v159
	v_add_f32_e32 v89, v89, v90
	v_mul_f32_e32 v90, v114, v143
	v_add_f32_e32 v121, v121, v178
	s_waitcnt vmcnt(14)
	v_fmac_f32_e32 v122, v118, v160
	v_fma_f32 v90, v113, v157, -v90
	v_add_f32_e32 v125, v121, v122
	ds_read_b128 v[121:124], v88 offset:656
	v_add_f32_e32 v89, v89, v90
	v_mul_f32_e32 v90, v116, v144
	v_fma_f32 v90, v115, v158, -v90
	v_add_f32_e32 v89, v89, v90
	v_mul_f32_e32 v90, v118, v159
	s_waitcnt vmcnt(13)
	v_mul_f32_e32 v126, v119, v161
	v_fma_f32 v90, v117, v160, -v90
	s_waitcnt vmcnt(12)
	v_fmac_f32_e32 v126, v120, v162
	v_add_f32_e32 v89, v89, v90
	v_mul_f32_e32 v90, v120, v161
	v_add_f32_e32 v129, v125, v126
	ds_read_b128 v[125:128], v88 offset:672
	s_waitcnt vmcnt(11) lgkmcnt(1)
	v_mul_f32_e32 v130, v121, v163
	v_fma_f32 v90, v119, v162, -v90
	s_waitcnt vmcnt(10)
	v_fmac_f32_e32 v130, v122, v164
	v_add_f32_e32 v89, v89, v90
	v_mul_f32_e32 v90, v122, v163
	v_add_f32_e32 v129, v129, v130
	s_waitcnt vmcnt(9)
	v_mul_f32_e32 v130, v123, v165
	v_fma_f32 v90, v121, v164, -v90
	s_waitcnt vmcnt(8)
	v_fmac_f32_e32 v130, v124, v166
	v_add_f32_e32 v89, v89, v90
	v_mul_f32_e32 v90, v124, v165
	v_add_f32_e32 v175, v129, v130
	ds_read_b64 v[129:130], v88 offset:688
	v_fma_f32 v90, v123, v166, -v90
	v_add_f32_e32 v89, v89, v90
	s_waitcnt vmcnt(7) lgkmcnt(1)
	v_mul_f32_e32 v90, v126, v167
	v_mul_f32_e32 v176, v125, v167
	s_waitcnt vmcnt(6)
	v_fma_f32 v90, v125, v168, -v90
	v_fmac_f32_e32 v176, v126, v168
	v_add_f32_e32 v89, v89, v90
	s_waitcnt vmcnt(5)
	v_mul_f32_e32 v90, v128, v169
	v_add_f32_e32 v175, v175, v176
	v_mul_f32_e32 v176, v127, v169
	s_waitcnt vmcnt(4)
	v_fma_f32 v90, v127, v170, -v90
	v_fmac_f32_e32 v176, v128, v170
	v_add_f32_e32 v89, v89, v90
	s_waitcnt vmcnt(3) lgkmcnt(0)
	v_mul_f32_e32 v90, v130, v171
	v_add_f32_e32 v175, v175, v176
	v_mul_f32_e32 v176, v129, v171
	s_waitcnt vmcnt(2)
	v_fma_f32 v90, v129, v172, -v90
	v_fmac_f32_e32 v176, v130, v172
	v_add_f32_e32 v89, v89, v90
	v_add_f32_e32 v175, v175, v176
	s_waitcnt vmcnt(1)
	v_sub_f32_e32 v89, v173, v89
	s_waitcnt vmcnt(0)
	v_sub_f32_e32 v90, v174, v175
	buffer_store_dword v89, off, s[0:3], 0 offset:168
	buffer_store_dword v90, off, s[0:3], 0 offset:172
	s_and_saveexec_b64 s[4:5], vcc
	s_cbranch_execz .LBB42_231
; %bb.230:
	buffer_load_dword v89, off, s[0:3], 0 offset:160
	buffer_load_dword v90, off, s[0:3], 0 offset:164
	s_waitcnt vmcnt(0)
	ds_write_b64 v87, v[89:90]
	buffer_store_dword v88, off, s[0:3], 0 offset:160
	buffer_store_dword v88, off, s[0:3], 0 offset:164
.LBB42_231:
	s_or_b64 exec, exec, s[4:5]
	s_waitcnt lgkmcnt(0)
	; wave barrier
	buffer_load_dword v133, off, s[0:3], 0 offset:172
	buffer_load_dword v134, off, s[0:3], 0 offset:180
	;; [unrolled: 1-line block ×46, first 2 shown]
	ds_read2_b64 v[89:92], v88 offset0:65 offset1:66
	ds_read2_b64 v[93:96], v88 offset0:67 offset1:68
	;; [unrolled: 1-line block ×8, first 2 shown]
	v_cmp_lt_u32_e32 vcc, 19, v0
	s_waitcnt vmcnt(45) lgkmcnt(7)
	v_mul_f32_e32 v121, v89, v133
	s_waitcnt vmcnt(44)
	v_mul_f32_e32 v122, v91, v134
	s_waitcnt vmcnt(43) lgkmcnt(6)
	v_mul_f32_e32 v123, v93, v135
	s_waitcnt vmcnt(42)
	v_mul_f32_e32 v124, v95, v136
	;; [unrolled: 4-line block ×6, first 2 shown]
	s_waitcnt vmcnt(33) lgkmcnt(1)
	v_mul_f32_e32 v179, v113, v145
	s_waitcnt vmcnt(32)
	v_fmac_f32_e32 v121, v90, v146
	v_mul_f32_e32 v90, v90, v133
	v_fma_f32 v89, v89, v146, -v90
	v_mul_f32_e32 v90, v92, v134
	v_add_f32_e32 v89, 0, v89
	s_waitcnt vmcnt(31)
	v_fma_f32 v90, v91, v147, -v90
	v_add_f32_e32 v89, v89, v90
	v_mul_f32_e32 v90, v94, v135
	s_waitcnt vmcnt(30)
	v_fma_f32 v90, v93, v148, -v90
	v_add_f32_e32 v89, v89, v90
	v_mul_f32_e32 v90, v96, v136
	;; [unrolled: 4-line block ×4, first 2 shown]
	v_fmac_f32_e32 v122, v92, v147
	v_add_f32_e32 v121, 0, v121
	s_waitcnt vmcnt(27)
	v_fma_f32 v90, v99, v151, -v90
	v_fmac_f32_e32 v123, v94, v148
	v_add_f32_e32 v121, v121, v122
	v_add_f32_e32 v89, v89, v90
	v_mul_f32_e32 v90, v102, v139
	v_fmac_f32_e32 v124, v96, v149
	v_add_f32_e32 v121, v121, v123
	s_waitcnt vmcnt(26)
	v_fma_f32 v90, v101, v152, -v90
	v_fmac_f32_e32 v125, v98, v150
	v_add_f32_e32 v121, v121, v124
	v_add_f32_e32 v89, v89, v90
	v_mul_f32_e32 v90, v104, v140
	v_fmac_f32_e32 v126, v100, v151
	v_add_f32_e32 v121, v121, v125
	s_waitcnt vmcnt(25)
	v_fma_f32 v90, v103, v153, -v90
	v_fmac_f32_e32 v127, v102, v152
	v_add_f32_e32 v121, v121, v126
	v_add_f32_e32 v89, v89, v90
	v_mul_f32_e32 v90, v106, v141
	v_fmac_f32_e32 v128, v104, v153
	v_add_f32_e32 v121, v121, v127
	s_waitcnt vmcnt(24)
	v_fma_f32 v90, v105, v154, -v90
	v_fmac_f32_e32 v129, v106, v154
	v_add_f32_e32 v121, v121, v128
	v_add_f32_e32 v89, v89, v90
	v_mul_f32_e32 v90, v108, v142
	s_waitcnt vmcnt(23)
	v_fmac_f32_e32 v130, v108, v155
	v_add_f32_e32 v121, v121, v129
	v_fma_f32 v90, v107, v155, -v90
	s_waitcnt vmcnt(22)
	v_fmac_f32_e32 v131, v110, v156
	v_add_f32_e32 v121, v121, v130
	v_add_f32_e32 v89, v89, v90
	v_mul_f32_e32 v90, v110, v143
	s_waitcnt vmcnt(21)
	v_fmac_f32_e32 v132, v112, v157
	v_add_f32_e32 v121, v121, v131
	v_fma_f32 v90, v109, v156, -v90
	s_waitcnt vmcnt(20)
	v_fmac_f32_e32 v179, v114, v158
	v_add_f32_e32 v121, v121, v132
	s_waitcnt vmcnt(19)
	v_mul_f32_e32 v122, v115, v159
	v_add_f32_e32 v89, v89, v90
	v_mul_f32_e32 v90, v112, v144
	v_add_f32_e32 v121, v121, v179
	s_waitcnt vmcnt(18)
	v_fmac_f32_e32 v122, v116, v160
	v_fma_f32 v90, v111, v157, -v90
	v_add_f32_e32 v121, v121, v122
	s_waitcnt vmcnt(17) lgkmcnt(0)
	v_mul_f32_e32 v122, v117, v161
	v_add_f32_e32 v89, v89, v90
	v_mul_f32_e32 v90, v114, v145
	s_waitcnt vmcnt(16)
	v_fmac_f32_e32 v122, v118, v162
	v_fma_f32 v90, v113, v158, -v90
	v_add_f32_e32 v125, v121, v122
	ds_read2_b64 v[121:124], v88 offset0:81 offset1:82
	v_add_f32_e32 v89, v89, v90
	v_mul_f32_e32 v90, v116, v159
	v_fma_f32 v90, v115, v160, -v90
	v_add_f32_e32 v89, v89, v90
	v_mul_f32_e32 v90, v118, v161
	s_waitcnt vmcnt(15)
	v_mul_f32_e32 v126, v119, v163
	v_fma_f32 v90, v117, v162, -v90
	s_waitcnt vmcnt(14)
	v_fmac_f32_e32 v126, v120, v164
	v_add_f32_e32 v89, v89, v90
	v_mul_f32_e32 v90, v120, v163
	v_add_f32_e32 v129, v125, v126
	ds_read2_b64 v[125:128], v88 offset0:83 offset1:84
	s_waitcnt vmcnt(13) lgkmcnt(1)
	v_mul_f32_e32 v130, v121, v165
	v_fma_f32 v90, v119, v164, -v90
	s_waitcnt vmcnt(12)
	v_fmac_f32_e32 v130, v122, v166
	v_add_f32_e32 v89, v89, v90
	v_mul_f32_e32 v90, v122, v165
	v_add_f32_e32 v129, v129, v130
	s_waitcnt vmcnt(11)
	v_mul_f32_e32 v130, v123, v167
	v_fma_f32 v90, v121, v166, -v90
	s_waitcnt vmcnt(10)
	v_fmac_f32_e32 v130, v124, v168
	v_add_f32_e32 v89, v89, v90
	v_mul_f32_e32 v90, v124, v167
	v_add_f32_e32 v179, v129, v130
	ds_read2_b64 v[129:132], v88 offset0:85 offset1:86
	v_fma_f32 v90, v123, v168, -v90
	v_add_f32_e32 v89, v89, v90
	s_waitcnt vmcnt(9) lgkmcnt(1)
	v_mul_f32_e32 v90, v126, v169
	v_mul_f32_e32 v180, v125, v169
	s_waitcnt vmcnt(8)
	v_fma_f32 v90, v125, v170, -v90
	v_fmac_f32_e32 v180, v126, v170
	v_add_f32_e32 v89, v89, v90
	s_waitcnt vmcnt(7)
	v_mul_f32_e32 v90, v128, v171
	v_add_f32_e32 v88, v179, v180
	v_mul_f32_e32 v179, v127, v171
	s_waitcnt vmcnt(6)
	v_fma_f32 v90, v127, v172, -v90
	v_fmac_f32_e32 v179, v128, v172
	v_add_f32_e32 v89, v89, v90
	s_waitcnt vmcnt(5) lgkmcnt(0)
	v_mul_f32_e32 v90, v130, v173
	v_add_f32_e32 v88, v88, v179
	v_mul_f32_e32 v179, v129, v173
	s_waitcnt vmcnt(4)
	v_fma_f32 v90, v129, v174, -v90
	v_fmac_f32_e32 v179, v130, v174
	v_add_f32_e32 v89, v89, v90
	s_waitcnt vmcnt(3)
	v_mul_f32_e32 v90, v132, v175
	v_add_f32_e32 v88, v88, v179
	v_mul_f32_e32 v179, v131, v175
	s_waitcnt vmcnt(2)
	v_fma_f32 v90, v131, v176, -v90
	v_fmac_f32_e32 v179, v132, v176
	v_add_f32_e32 v89, v89, v90
	v_add_f32_e32 v88, v88, v179
	s_waitcnt vmcnt(1)
	v_sub_f32_e32 v89, v177, v89
	s_waitcnt vmcnt(0)
	v_sub_f32_e32 v88, v178, v88
	buffer_store_dword v89, off, s[0:3], 0 offset:160
	buffer_store_dword v88, off, s[0:3], 0 offset:164
	s_and_saveexec_b64 s[4:5], vcc
	s_cbranch_execz .LBB42_233
; %bb.232:
	buffer_load_dword v88, off, s[0:3], 0 offset:152
	buffer_load_dword v89, off, s[0:3], 0 offset:156
	v_mov_b32_e32 v90, 0
	buffer_store_dword v90, off, s[0:3], 0 offset:152
	buffer_store_dword v90, off, s[0:3], 0 offset:156
	s_waitcnt vmcnt(2)
	ds_write_b64 v87, v[88:89]
.LBB42_233:
	s_or_b64 exec, exec, s[4:5]
	s_waitcnt lgkmcnt(0)
	; wave barrier
	buffer_load_dword v135, off, s[0:3], 0 offset:164
	buffer_load_dword v136, off, s[0:3], 0 offset:172
	;; [unrolled: 1-line block ×48, first 2 shown]
	v_mov_b32_e32 v88, 0
	ds_read_b128 v[89:92], v88 offset:512
	ds_read_b128 v[93:96], v88 offset:528
	;; [unrolled: 1-line block ×7, first 2 shown]
	v_cmp_lt_u32_e32 vcc, 18, v0
	s_waitcnt vmcnt(47) lgkmcnt(6)
	v_mul_f32_e32 v117, v89, v135
	s_waitcnt vmcnt(46)
	v_mul_f32_e32 v118, v91, v136
	s_waitcnt vmcnt(45) lgkmcnt(5)
	v_mul_f32_e32 v119, v93, v137
	s_waitcnt vmcnt(44)
	v_mul_f32_e32 v120, v95, v138
	;; [unrolled: 4-line block ×6, first 2 shown]
	s_waitcnt vmcnt(35)
	v_fmac_f32_e32 v117, v90, v147
	v_mul_f32_e32 v90, v90, v135
	v_fma_f32 v89, v89, v147, -v90
	v_mul_f32_e32 v90, v92, v136
	v_add_f32_e32 v89, 0, v89
	s_waitcnt vmcnt(34)
	v_fma_f32 v90, v91, v148, -v90
	v_add_f32_e32 v89, v89, v90
	v_mul_f32_e32 v90, v94, v137
	s_waitcnt vmcnt(33)
	v_fma_f32 v90, v93, v149, -v90
	v_fmac_f32_e32 v118, v92, v148
	v_add_f32_e32 v117, 0, v117
	v_add_f32_e32 v89, v89, v90
	v_mul_f32_e32 v90, v96, v138
	v_fmac_f32_e32 v119, v94, v149
	v_add_f32_e32 v117, v117, v118
	s_waitcnt vmcnt(32)
	v_fma_f32 v90, v95, v150, -v90
	v_fmac_f32_e32 v120, v96, v150
	v_add_f32_e32 v117, v117, v119
	v_add_f32_e32 v89, v89, v90
	v_mul_f32_e32 v90, v98, v139
	s_waitcnt vmcnt(31)
	v_fmac_f32_e32 v121, v98, v151
	v_add_f32_e32 v117, v117, v120
	v_fma_f32 v90, v97, v151, -v90
	s_waitcnt vmcnt(30)
	v_fmac_f32_e32 v122, v100, v152
	v_add_f32_e32 v117, v117, v121
	v_add_f32_e32 v89, v89, v90
	v_mul_f32_e32 v90, v100, v140
	s_waitcnt vmcnt(29)
	v_fmac_f32_e32 v123, v102, v153
	v_add_f32_e32 v117, v117, v122
	v_fma_f32 v90, v99, v152, -v90
	s_waitcnt vmcnt(28)
	;; [unrolled: 9-line block ×4, first 2 shown]
	v_fmac_f32_e32 v128, v112, v158
	v_add_f32_e32 v117, v117, v127
	v_add_f32_e32 v89, v89, v90
	v_mul_f32_e32 v90, v106, v143
	v_add_f32_e32 v121, v117, v128
	ds_read_b128 v[117:120], v88 offset:624
	v_fma_f32 v90, v105, v155, -v90
	s_waitcnt vmcnt(23) lgkmcnt(1)
	v_mul_f32_e32 v122, v113, v159
	v_add_f32_e32 v89, v89, v90
	v_mul_f32_e32 v90, v108, v144
	s_waitcnt vmcnt(22)
	v_fmac_f32_e32 v122, v114, v160
	v_fma_f32 v90, v107, v156, -v90
	v_add_f32_e32 v121, v121, v122
	s_waitcnt vmcnt(21)
	v_mul_f32_e32 v122, v115, v161
	v_add_f32_e32 v89, v89, v90
	v_mul_f32_e32 v90, v110, v145
	s_waitcnt vmcnt(20)
	v_fmac_f32_e32 v122, v116, v162
	v_fma_f32 v90, v109, v157, -v90
	v_add_f32_e32 v121, v121, v122
	s_waitcnt vmcnt(19) lgkmcnt(0)
	v_mul_f32_e32 v122, v117, v163
	v_add_f32_e32 v89, v89, v90
	v_mul_f32_e32 v90, v112, v146
	s_waitcnt vmcnt(18)
	v_fmac_f32_e32 v122, v118, v164
	v_fma_f32 v90, v111, v158, -v90
	v_add_f32_e32 v125, v121, v122
	ds_read_b128 v[121:124], v88 offset:640
	v_add_f32_e32 v89, v89, v90
	v_mul_f32_e32 v90, v114, v159
	v_fma_f32 v90, v113, v160, -v90
	s_waitcnt vmcnt(17)
	v_mul_f32_e32 v126, v119, v165
	v_add_f32_e32 v89, v89, v90
	v_mul_f32_e32 v90, v116, v161
	s_waitcnt vmcnt(16)
	v_fmac_f32_e32 v126, v120, v166
	v_fma_f32 v90, v115, v162, -v90
	v_add_f32_e32 v129, v125, v126
	ds_read_b128 v[125:128], v88 offset:656
	v_add_f32_e32 v89, v89, v90
	v_mul_f32_e32 v90, v118, v163
	s_waitcnt vmcnt(15) lgkmcnt(1)
	v_mul_f32_e32 v130, v121, v167
	v_fma_f32 v90, v117, v164, -v90
	s_waitcnt vmcnt(14)
	v_fmac_f32_e32 v130, v122, v168
	v_add_f32_e32 v89, v89, v90
	v_mul_f32_e32 v90, v120, v165
	v_add_f32_e32 v129, v129, v130
	s_waitcnt vmcnt(13)
	v_mul_f32_e32 v130, v123, v169
	v_fma_f32 v90, v119, v166, -v90
	s_waitcnt vmcnt(12)
	v_fmac_f32_e32 v130, v124, v170
	v_add_f32_e32 v89, v89, v90
	v_mul_f32_e32 v90, v122, v167
	v_add_f32_e32 v129, v129, v130
	s_waitcnt vmcnt(11) lgkmcnt(0)
	v_mul_f32_e32 v130, v125, v171
	v_fma_f32 v90, v121, v168, -v90
	s_waitcnt vmcnt(10)
	v_fmac_f32_e32 v130, v126, v172
	v_add_f32_e32 v89, v89, v90
	v_mul_f32_e32 v90, v124, v169
	v_add_f32_e32 v133, v129, v130
	ds_read_b128 v[129:132], v88 offset:672
	v_fma_f32 v90, v123, v170, -v90
	v_add_f32_e32 v89, v89, v90
	v_mul_f32_e32 v90, v126, v171
	s_waitcnt vmcnt(9)
	v_mul_f32_e32 v134, v127, v173
	v_fma_f32 v90, v125, v172, -v90
	s_waitcnt vmcnt(8)
	v_fmac_f32_e32 v134, v128, v174
	v_add_f32_e32 v89, v89, v90
	v_mul_f32_e32 v90, v128, v173
	v_add_f32_e32 v183, v133, v134
	ds_read_b64 v[133:134], v88 offset:688
	v_fma_f32 v90, v127, v174, -v90
	v_add_f32_e32 v89, v89, v90
	s_waitcnt vmcnt(6) lgkmcnt(1)
	v_mul_f32_e32 v90, v130, v176
	v_mul_f32_e32 v184, v129, v176
	v_fma_f32 v90, v129, v175, -v90
	v_fmac_f32_e32 v184, v130, v175
	v_add_f32_e32 v89, v89, v90
	s_waitcnt vmcnt(3)
	v_mul_f32_e32 v90, v132, v179
	v_add_f32_e32 v183, v183, v184
	v_mul_f32_e32 v184, v131, v179
	s_waitcnt vmcnt(2)
	v_fma_f32 v90, v131, v180, -v90
	v_fmac_f32_e32 v184, v132, v180
	v_add_f32_e32 v89, v89, v90
	s_waitcnt vmcnt(0) lgkmcnt(0)
	v_mul_f32_e32 v90, v134, v182
	v_add_f32_e32 v183, v183, v184
	v_mul_f32_e32 v184, v133, v182
	v_fma_f32 v90, v133, v181, -v90
	v_fmac_f32_e32 v184, v134, v181
	v_add_f32_e32 v89, v89, v90
	v_add_f32_e32 v183, v183, v184
	v_sub_f32_e32 v89, v177, v89
	v_sub_f32_e32 v90, v178, v183
	buffer_store_dword v89, off, s[0:3], 0 offset:152
	buffer_store_dword v90, off, s[0:3], 0 offset:156
	s_and_saveexec_b64 s[4:5], vcc
	s_cbranch_execz .LBB42_235
; %bb.234:
	buffer_load_dword v89, off, s[0:3], 0 offset:144
	buffer_load_dword v90, off, s[0:3], 0 offset:148
	s_waitcnt vmcnt(0)
	ds_write_b64 v87, v[89:90]
	buffer_store_dword v88, off, s[0:3], 0 offset:144
	buffer_store_dword v88, off, s[0:3], 0 offset:148
.LBB42_235:
	s_or_b64 exec, exec, s[4:5]
	s_waitcnt lgkmcnt(0)
	; wave barrier
	buffer_load_dword v137, off, s[0:3], 0 offset:156
	buffer_load_dword v138, off, s[0:3], 0 offset:164
	;; [unrolled: 1-line block ×48, first 2 shown]
	ds_read2_b64 v[89:92], v88 offset0:63 offset1:64
	ds_read2_b64 v[93:96], v88 offset0:65 offset1:66
	buffer_load_dword v185, off, s[0:3], 0 offset:336
	buffer_load_dword v186, off, s[0:3], 0 offset:340
	ds_read2_b64 v[97:100], v88 offset0:67 offset1:68
	ds_read2_b64 v[101:104], v88 offset0:69 offset1:70
	;; [unrolled: 1-line block ×5, first 2 shown]
	v_cmp_lt_u32_e32 vcc, 17, v0
	s_waitcnt vmcnt(49) lgkmcnt(6)
	v_mul_f32_e32 v117, v89, v137
	s_waitcnt vmcnt(48)
	v_mul_f32_e32 v118, v91, v138
	s_waitcnt vmcnt(47) lgkmcnt(5)
	v_mul_f32_e32 v119, v93, v139
	s_waitcnt vmcnt(46)
	v_mul_f32_e32 v120, v95, v140
	;; [unrolled: 4-line block ×6, first 2 shown]
	s_waitcnt vmcnt(37)
	v_fmac_f32_e32 v117, v90, v149
	v_mul_f32_e32 v90, v90, v137
	v_fma_f32 v89, v89, v149, -v90
	v_mul_f32_e32 v90, v92, v138
	v_add_f32_e32 v89, 0, v89
	s_waitcnt vmcnt(36)
	v_fma_f32 v90, v91, v150, -v90
	v_add_f32_e32 v89, v89, v90
	v_mul_f32_e32 v90, v94, v139
	s_waitcnt vmcnt(35)
	v_fma_f32 v90, v93, v151, -v90
	v_fmac_f32_e32 v118, v92, v150
	v_add_f32_e32 v117, 0, v117
	v_add_f32_e32 v89, v89, v90
	v_mul_f32_e32 v90, v96, v140
	v_fmac_f32_e32 v119, v94, v151
	v_add_f32_e32 v117, v117, v118
	s_waitcnt vmcnt(34)
	v_fma_f32 v90, v95, v152, -v90
	v_fmac_f32_e32 v120, v96, v152
	v_add_f32_e32 v117, v117, v119
	v_add_f32_e32 v89, v89, v90
	v_mul_f32_e32 v90, v98, v141
	s_waitcnt vmcnt(33)
	v_fmac_f32_e32 v121, v98, v153
	v_add_f32_e32 v117, v117, v120
	v_fma_f32 v90, v97, v153, -v90
	s_waitcnt vmcnt(32)
	v_fmac_f32_e32 v122, v100, v154
	v_add_f32_e32 v117, v117, v121
	v_add_f32_e32 v89, v89, v90
	v_mul_f32_e32 v90, v100, v142
	s_waitcnt vmcnt(31)
	v_fmac_f32_e32 v123, v102, v155
	v_add_f32_e32 v117, v117, v122
	v_fma_f32 v90, v99, v154, -v90
	s_waitcnt vmcnt(30)
	;; [unrolled: 9-line block ×3, first 2 shown]
	v_fmac_f32_e32 v126, v108, v158
	v_add_f32_e32 v117, v117, v125
	v_add_f32_e32 v89, v89, v90
	v_mul_f32_e32 v90, v104, v144
	s_waitcnt vmcnt(27)
	v_fmac_f32_e32 v127, v110, v159
	v_add_f32_e32 v117, v117, v126
	v_fma_f32 v90, v103, v156, -v90
	v_add_f32_e32 v117, v117, v127
	s_waitcnt vmcnt(26)
	v_fmac_f32_e32 v128, v112, v160
	v_add_f32_e32 v89, v89, v90
	v_mul_f32_e32 v90, v106, v145
	v_add_f32_e32 v121, v117, v128
	ds_read2_b64 v[117:120], v88 offset0:77 offset1:78
	v_fma_f32 v90, v105, v157, -v90
	s_waitcnt vmcnt(25) lgkmcnt(1)
	v_mul_f32_e32 v122, v113, v161
	v_add_f32_e32 v89, v89, v90
	v_mul_f32_e32 v90, v108, v146
	s_waitcnt vmcnt(24)
	v_fmac_f32_e32 v122, v114, v162
	v_fma_f32 v90, v107, v158, -v90
	v_add_f32_e32 v121, v121, v122
	s_waitcnt vmcnt(23)
	v_mul_f32_e32 v122, v115, v163
	v_add_f32_e32 v89, v89, v90
	v_mul_f32_e32 v90, v110, v147
	s_waitcnt vmcnt(22)
	v_fmac_f32_e32 v122, v116, v164
	v_fma_f32 v90, v109, v159, -v90
	v_add_f32_e32 v121, v121, v122
	s_waitcnt vmcnt(21) lgkmcnt(0)
	v_mul_f32_e32 v122, v117, v165
	v_add_f32_e32 v89, v89, v90
	v_mul_f32_e32 v90, v112, v148
	s_waitcnt vmcnt(20)
	v_fmac_f32_e32 v122, v118, v166
	v_fma_f32 v90, v111, v160, -v90
	v_add_f32_e32 v125, v121, v122
	ds_read2_b64 v[121:124], v88 offset0:79 offset1:80
	v_add_f32_e32 v89, v89, v90
	v_mul_f32_e32 v90, v114, v161
	v_fma_f32 v90, v113, v162, -v90
	s_waitcnt vmcnt(19)
	v_mul_f32_e32 v126, v119, v167
	v_add_f32_e32 v89, v89, v90
	v_mul_f32_e32 v90, v116, v163
	s_waitcnt vmcnt(18)
	v_fmac_f32_e32 v126, v120, v168
	v_fma_f32 v90, v115, v164, -v90
	v_add_f32_e32 v129, v125, v126
	ds_read2_b64 v[125:128], v88 offset0:81 offset1:82
	v_add_f32_e32 v89, v89, v90
	v_mul_f32_e32 v90, v118, v165
	s_waitcnt vmcnt(17) lgkmcnt(1)
	v_mul_f32_e32 v130, v121, v169
	v_fma_f32 v90, v117, v166, -v90
	s_waitcnt vmcnt(16)
	v_fmac_f32_e32 v130, v122, v170
	v_add_f32_e32 v89, v89, v90
	v_mul_f32_e32 v90, v120, v167
	v_add_f32_e32 v129, v129, v130
	s_waitcnt vmcnt(15)
	v_mul_f32_e32 v130, v123, v171
	v_fma_f32 v90, v119, v168, -v90
	s_waitcnt vmcnt(14)
	v_fmac_f32_e32 v130, v124, v172
	v_add_f32_e32 v89, v89, v90
	v_mul_f32_e32 v90, v122, v169
	v_add_f32_e32 v129, v129, v130
	s_waitcnt vmcnt(13) lgkmcnt(0)
	v_mul_f32_e32 v130, v125, v173
	v_fma_f32 v90, v121, v170, -v90
	s_waitcnt vmcnt(12)
	v_fmac_f32_e32 v130, v126, v174
	v_add_f32_e32 v89, v89, v90
	v_mul_f32_e32 v90, v124, v171
	v_add_f32_e32 v133, v129, v130
	ds_read2_b64 v[129:132], v88 offset0:83 offset1:84
	v_fma_f32 v90, v123, v172, -v90
	v_add_f32_e32 v89, v89, v90
	v_mul_f32_e32 v90, v126, v173
	s_waitcnt vmcnt(11)
	v_mul_f32_e32 v134, v127, v175
	v_fma_f32 v90, v125, v174, -v90
	s_waitcnt vmcnt(10)
	v_fmac_f32_e32 v134, v128, v176
	v_add_f32_e32 v89, v89, v90
	v_mul_f32_e32 v90, v128, v175
	v_add_f32_e32 v187, v133, v134
	ds_read2_b64 v[133:136], v88 offset0:85 offset1:86
	v_fma_f32 v90, v127, v176, -v90
	v_add_f32_e32 v89, v89, v90
	s_waitcnt vmcnt(7) lgkmcnt(1)
	v_mul_f32_e32 v90, v130, v179
	v_mul_f32_e32 v88, v129, v179
	s_waitcnt vmcnt(6)
	v_fma_f32 v90, v129, v180, -v90
	v_fmac_f32_e32 v88, v130, v180
	v_add_f32_e32 v89, v89, v90
	s_waitcnt vmcnt(4)
	v_mul_f32_e32 v90, v132, v182
	v_add_f32_e32 v88, v187, v88
	v_mul_f32_e32 v187, v131, v182
	v_fma_f32 v90, v131, v181, -v90
	v_fmac_f32_e32 v187, v132, v181
	v_add_f32_e32 v89, v89, v90
	s_waitcnt vmcnt(2) lgkmcnt(0)
	v_mul_f32_e32 v90, v134, v184
	v_add_f32_e32 v88, v88, v187
	v_mul_f32_e32 v187, v133, v184
	v_fma_f32 v90, v133, v183, -v90
	v_fmac_f32_e32 v187, v134, v183
	v_add_f32_e32 v89, v89, v90
	s_waitcnt vmcnt(0)
	v_mul_f32_e32 v90, v136, v186
	v_add_f32_e32 v88, v88, v187
	v_mul_f32_e32 v187, v135, v186
	v_fma_f32 v90, v135, v185, -v90
	v_fmac_f32_e32 v187, v136, v185
	v_add_f32_e32 v89, v89, v90
	v_add_f32_e32 v88, v88, v187
	v_sub_f32_e32 v89, v177, v89
	v_sub_f32_e32 v88, v178, v88
	buffer_store_dword v89, off, s[0:3], 0 offset:144
	buffer_store_dword v88, off, s[0:3], 0 offset:148
	s_and_saveexec_b64 s[4:5], vcc
	s_cbranch_execz .LBB42_237
; %bb.236:
	buffer_load_dword v88, off, s[0:3], 0 offset:136
	buffer_load_dword v89, off, s[0:3], 0 offset:140
	v_mov_b32_e32 v90, 0
	buffer_store_dword v90, off, s[0:3], 0 offset:136
	buffer_store_dword v90, off, s[0:3], 0 offset:140
	s_waitcnt vmcnt(2)
	ds_write_b64 v87, v[88:89]
.LBB42_237:
	s_or_b64 exec, exec, s[4:5]
	s_waitcnt lgkmcnt(0)
	; wave barrier
	buffer_load_dword v139, off, s[0:3], 0 offset:148
	buffer_load_dword v140, off, s[0:3], 0 offset:156
	;; [unrolled: 1-line block ×52, first 2 shown]
	v_mov_b32_e32 v88, 0
	ds_read_b128 v[89:92], v88 offset:496
	ds_read_b128 v[93:96], v88 offset:512
	;; [unrolled: 1-line block ×6, first 2 shown]
	v_cmp_lt_u32_e32 vcc, 16, v0
	s_waitcnt vmcnt(51) lgkmcnt(5)
	v_mul_f32_e32 v113, v89, v139
	s_waitcnt vmcnt(50)
	v_mul_f32_e32 v114, v91, v140
	s_waitcnt vmcnt(49) lgkmcnt(4)
	v_mul_f32_e32 v115, v93, v141
	s_waitcnt vmcnt(48)
	v_mul_f32_e32 v116, v95, v142
	;; [unrolled: 4-line block ×5, first 2 shown]
	s_waitcnt vmcnt(41) lgkmcnt(0)
	v_mul_f32_e32 v123, v109, v149
	s_waitcnt vmcnt(40)
	v_fmac_f32_e32 v113, v90, v150
	v_mul_f32_e32 v90, v90, v139
	s_waitcnt vmcnt(39)
	v_fmac_f32_e32 v114, v92, v151
	v_add_f32_e32 v113, 0, v113
	v_fma_f32 v89, v89, v150, -v90
	v_mul_f32_e32 v90, v92, v140
	s_waitcnt vmcnt(38)
	v_fmac_f32_e32 v115, v94, v152
	v_add_f32_e32 v113, v113, v114
	v_add_f32_e32 v89, 0, v89
	v_fma_f32 v90, v91, v151, -v90
	s_waitcnt vmcnt(37)
	v_fmac_f32_e32 v116, v96, v153
	v_add_f32_e32 v113, v113, v115
	v_add_f32_e32 v89, v89, v90
	v_mul_f32_e32 v90, v94, v141
	s_waitcnt vmcnt(36)
	v_fmac_f32_e32 v117, v98, v154
	v_add_f32_e32 v113, v113, v116
	v_fma_f32 v90, v93, v152, -v90
	s_waitcnt vmcnt(35)
	v_fmac_f32_e32 v118, v100, v155
	v_add_f32_e32 v113, v113, v117
	v_add_f32_e32 v89, v89, v90
	v_mul_f32_e32 v90, v96, v142
	s_waitcnt vmcnt(34)
	v_fmac_f32_e32 v119, v102, v156
	;; [unrolled: 9-line block ×3, first 2 shown]
	v_add_f32_e32 v113, v113, v120
	v_fma_f32 v90, v97, v154, -v90
	s_waitcnt vmcnt(31)
	v_fmac_f32_e32 v122, v108, v159
	v_add_f32_e32 v113, v113, v121
	v_add_f32_e32 v89, v89, v90
	v_mul_f32_e32 v90, v100, v144
	v_add_f32_e32 v113, v113, v122
	s_waitcnt vmcnt(30)
	v_fmac_f32_e32 v123, v110, v160
	v_fma_f32 v90, v99, v155, -v90
	v_add_f32_e32 v117, v113, v123
	ds_read_b128 v[113:116], v88 offset:592
	v_add_f32_e32 v89, v89, v90
	v_mul_f32_e32 v90, v102, v145
	v_fma_f32 v90, v101, v156, -v90
	s_waitcnt vmcnt(29)
	v_mul_f32_e32 v118, v111, v161
	v_add_f32_e32 v89, v89, v90
	v_mul_f32_e32 v90, v104, v146
	s_waitcnt vmcnt(28)
	v_fmac_f32_e32 v118, v112, v162
	v_fma_f32 v90, v103, v157, -v90
	v_add_f32_e32 v121, v117, v118
	ds_read_b128 v[117:120], v88 offset:608
	v_add_f32_e32 v89, v89, v90
	v_mul_f32_e32 v90, v106, v147
	s_waitcnt vmcnt(27) lgkmcnt(1)
	v_mul_f32_e32 v122, v113, v163
	v_fma_f32 v90, v105, v158, -v90
	s_waitcnt vmcnt(26)
	v_fmac_f32_e32 v122, v114, v164
	v_add_f32_e32 v89, v89, v90
	v_mul_f32_e32 v90, v108, v148
	v_add_f32_e32 v121, v121, v122
	s_waitcnt vmcnt(25)
	v_mul_f32_e32 v122, v115, v165
	v_fma_f32 v90, v107, v159, -v90
	s_waitcnt vmcnt(24)
	v_fmac_f32_e32 v122, v116, v166
	v_add_f32_e32 v89, v89, v90
	v_mul_f32_e32 v90, v110, v149
	v_add_f32_e32 v121, v121, v122
	s_waitcnt vmcnt(23) lgkmcnt(0)
	v_mul_f32_e32 v122, v117, v167
	v_fma_f32 v90, v109, v160, -v90
	s_waitcnt vmcnt(22)
	v_fmac_f32_e32 v122, v118, v168
	v_add_f32_e32 v89, v89, v90
	v_mul_f32_e32 v90, v112, v161
	v_add_f32_e32 v125, v121, v122
	ds_read_b128 v[121:124], v88 offset:624
	v_fma_f32 v90, v111, v162, -v90
	v_add_f32_e32 v89, v89, v90
	v_mul_f32_e32 v90, v114, v163
	s_waitcnt vmcnt(21)
	v_mul_f32_e32 v126, v119, v169
	v_fma_f32 v90, v113, v164, -v90
	s_waitcnt vmcnt(20)
	v_fmac_f32_e32 v126, v120, v170
	v_add_f32_e32 v89, v89, v90
	v_mul_f32_e32 v90, v116, v165
	v_add_f32_e32 v129, v125, v126
	ds_read_b128 v[125:128], v88 offset:640
	v_fma_f32 v90, v115, v166, -v90
	s_waitcnt vmcnt(19) lgkmcnt(1)
	v_mul_f32_e32 v130, v121, v171
	v_add_f32_e32 v89, v89, v90
	v_mul_f32_e32 v90, v118, v167
	s_waitcnt vmcnt(18)
	v_fmac_f32_e32 v130, v122, v172
	v_fma_f32 v90, v117, v168, -v90
	v_add_f32_e32 v129, v129, v130
	s_waitcnt vmcnt(17)
	v_mul_f32_e32 v130, v123, v173
	v_add_f32_e32 v89, v89, v90
	v_mul_f32_e32 v90, v120, v169
	s_waitcnt vmcnt(16)
	v_fmac_f32_e32 v130, v124, v174
	v_fma_f32 v90, v119, v170, -v90
	v_add_f32_e32 v129, v129, v130
	s_waitcnt vmcnt(14) lgkmcnt(0)
	v_mul_f32_e32 v130, v125, v176
	v_add_f32_e32 v89, v89, v90
	v_mul_f32_e32 v90, v122, v171
	v_fmac_f32_e32 v130, v126, v175
	v_fma_f32 v90, v121, v172, -v90
	v_add_f32_e32 v133, v129, v130
	ds_read_b128 v[129:132], v88 offset:656
	v_add_f32_e32 v89, v89, v90
	v_mul_f32_e32 v90, v124, v173
	v_fma_f32 v90, v123, v174, -v90
	v_add_f32_e32 v89, v89, v90
	v_mul_f32_e32 v90, v126, v176
	s_waitcnt vmcnt(11)
	v_mul_f32_e32 v134, v127, v179
	v_fma_f32 v90, v125, v175, -v90
	s_waitcnt vmcnt(10)
	v_fmac_f32_e32 v134, v128, v180
	v_add_f32_e32 v89, v89, v90
	v_mul_f32_e32 v90, v128, v179
	v_add_f32_e32 v137, v133, v134
	ds_read_b128 v[133:136], v88 offset:672
	s_waitcnt vmcnt(8) lgkmcnt(1)
	v_mul_f32_e32 v138, v129, v182
	v_fma_f32 v90, v127, v180, -v90
	v_fmac_f32_e32 v138, v130, v181
	v_add_f32_e32 v89, v89, v90
	v_mul_f32_e32 v90, v130, v182
	v_add_f32_e32 v137, v137, v138
	s_waitcnt vmcnt(6)
	v_mul_f32_e32 v138, v131, v184
	v_fma_f32 v90, v129, v181, -v90
	v_fmac_f32_e32 v138, v132, v183
	v_add_f32_e32 v89, v89, v90
	v_mul_f32_e32 v90, v132, v184
	v_add_f32_e32 v191, v137, v138
	ds_read_b64 v[137:138], v88 offset:688
	v_fma_f32 v90, v131, v183, -v90
	v_add_f32_e32 v89, v89, v90
	s_waitcnt vmcnt(4) lgkmcnt(1)
	v_mul_f32_e32 v90, v134, v186
	v_mul_f32_e32 v192, v133, v186
	v_fma_f32 v90, v133, v185, -v90
	v_fmac_f32_e32 v192, v134, v185
	v_add_f32_e32 v89, v89, v90
	s_waitcnt vmcnt(2)
	v_mul_f32_e32 v90, v136, v188
	v_add_f32_e32 v191, v191, v192
	v_mul_f32_e32 v192, v135, v188
	v_fma_f32 v90, v135, v187, -v90
	v_fmac_f32_e32 v192, v136, v187
	v_add_f32_e32 v89, v89, v90
	s_waitcnt vmcnt(0) lgkmcnt(0)
	v_mul_f32_e32 v90, v138, v190
	v_add_f32_e32 v191, v191, v192
	v_mul_f32_e32 v192, v137, v190
	v_fma_f32 v90, v137, v189, -v90
	v_fmac_f32_e32 v192, v138, v189
	v_add_f32_e32 v89, v89, v90
	v_add_f32_e32 v191, v191, v192
	v_sub_f32_e32 v89, v177, v89
	v_sub_f32_e32 v90, v178, v191
	buffer_store_dword v89, off, s[0:3], 0 offset:136
	buffer_store_dword v90, off, s[0:3], 0 offset:140
	s_and_saveexec_b64 s[4:5], vcc
	s_cbranch_execz .LBB42_239
; %bb.238:
	buffer_load_dword v89, off, s[0:3], 0 offset:128
	buffer_load_dword v90, off, s[0:3], 0 offset:132
	s_waitcnt vmcnt(0)
	ds_write_b64 v87, v[89:90]
	buffer_store_dword v88, off, s[0:3], 0 offset:128
	buffer_store_dword v88, off, s[0:3], 0 offset:132
.LBB42_239:
	s_or_b64 exec, exec, s[4:5]
	s_waitcnt lgkmcnt(0)
	; wave barrier
	buffer_load_dword v141, off, s[0:3], 0 offset:140
	buffer_load_dword v142, off, s[0:3], 0 offset:148
	;; [unrolled: 1-line block ×42, first 2 shown]
	ds_read2_b64 v[89:92], v88 offset0:61 offset1:62
	ds_read2_b64 v[93:96], v88 offset0:63 offset1:64
	;; [unrolled: 1-line block ×4, first 2 shown]
	buffer_load_dword v183, off, s[0:3], 0 offset:300
	buffer_load_dword v184, off, s[0:3], 0 offset:296
	;; [unrolled: 1-line block ×6, first 2 shown]
	ds_read2_b64 v[105:108], v88 offset0:69 offset1:70
	ds_read2_b64 v[109:112], v88 offset0:71 offset1:72
	buffer_load_dword v189, off, s[0:3], 0 offset:320
	buffer_load_dword v190, off, s[0:3], 0 offset:324
	;; [unrolled: 1-line block ×6, first 2 shown]
	v_cmp_lt_u32_e32 vcc, 15, v0
	s_waitcnt vmcnt(53) lgkmcnt(5)
	v_mul_f32_e32 v113, v89, v141
	s_waitcnt vmcnt(52)
	v_mul_f32_e32 v114, v91, v142
	s_waitcnt vmcnt(51) lgkmcnt(4)
	v_mul_f32_e32 v115, v93, v143
	s_waitcnt vmcnt(50)
	v_mul_f32_e32 v116, v95, v144
	;; [unrolled: 4-line block ×5, first 2 shown]
	s_waitcnt vmcnt(43)
	v_fmac_f32_e32 v113, v90, v151
	v_mul_f32_e32 v90, v90, v141
	s_waitcnt vmcnt(42)
	v_fmac_f32_e32 v114, v92, v152
	v_add_f32_e32 v113, 0, v113
	v_fma_f32 v89, v89, v151, -v90
	v_mul_f32_e32 v90, v92, v142
	s_waitcnt vmcnt(41)
	v_fmac_f32_e32 v115, v94, v153
	v_add_f32_e32 v113, v113, v114
	v_add_f32_e32 v89, 0, v89
	v_fma_f32 v90, v91, v152, -v90
	s_waitcnt vmcnt(40)
	v_fmac_f32_e32 v116, v96, v154
	v_add_f32_e32 v113, v113, v115
	v_add_f32_e32 v89, v89, v90
	v_mul_f32_e32 v90, v94, v143
	s_waitcnt vmcnt(39)
	v_fmac_f32_e32 v117, v98, v155
	v_add_f32_e32 v113, v113, v116
	v_fma_f32 v90, v93, v153, -v90
	s_waitcnt vmcnt(38)
	v_fmac_f32_e32 v118, v100, v156
	v_add_f32_e32 v113, v113, v117
	v_add_f32_e32 v89, v89, v90
	v_mul_f32_e32 v90, v96, v144
	s_waitcnt vmcnt(37)
	v_fmac_f32_e32 v119, v102, v157
	v_add_f32_e32 v113, v113, v118
	v_fma_f32 v90, v95, v154, -v90
	s_waitcnt vmcnt(36)
	v_fmac_f32_e32 v120, v104, v158
	v_add_f32_e32 v113, v113, v119
	v_add_f32_e32 v89, v89, v90
	v_mul_f32_e32 v90, v98, v145
	s_waitcnt vmcnt(35)
	v_fmac_f32_e32 v121, v106, v159
	v_add_f32_e32 v113, v113, v120
	v_fma_f32 v90, v97, v155, -v90
	s_waitcnt vmcnt(34)
	v_fmac_f32_e32 v122, v108, v160
	v_add_f32_e32 v113, v113, v121
	s_waitcnt vmcnt(33) lgkmcnt(0)
	v_mul_f32_e32 v114, v109, v161
	v_add_f32_e32 v89, v89, v90
	v_mul_f32_e32 v90, v100, v146
	v_add_f32_e32 v113, v113, v122
	s_waitcnt vmcnt(32)
	v_fmac_f32_e32 v114, v110, v162
	v_fma_f32 v90, v99, v156, -v90
	v_add_f32_e32 v117, v113, v114
	ds_read2_b64 v[113:116], v88 offset0:73 offset1:74
	v_add_f32_e32 v89, v89, v90
	v_mul_f32_e32 v90, v102, v147
	v_fma_f32 v90, v101, v157, -v90
	s_waitcnt vmcnt(31)
	v_mul_f32_e32 v118, v111, v163
	v_add_f32_e32 v89, v89, v90
	v_mul_f32_e32 v90, v104, v148
	s_waitcnt vmcnt(30)
	v_fmac_f32_e32 v118, v112, v164
	v_fma_f32 v90, v103, v158, -v90
	v_add_f32_e32 v121, v117, v118
	ds_read2_b64 v[117:120], v88 offset0:75 offset1:76
	v_add_f32_e32 v89, v89, v90
	v_mul_f32_e32 v90, v106, v149
	s_waitcnt vmcnt(29) lgkmcnt(1)
	v_mul_f32_e32 v122, v113, v165
	v_fma_f32 v90, v105, v159, -v90
	s_waitcnt vmcnt(28)
	v_fmac_f32_e32 v122, v114, v166
	v_add_f32_e32 v89, v89, v90
	v_mul_f32_e32 v90, v108, v150
	v_add_f32_e32 v121, v121, v122
	s_waitcnt vmcnt(27)
	v_mul_f32_e32 v122, v115, v167
	v_fma_f32 v90, v107, v160, -v90
	s_waitcnt vmcnt(26)
	v_fmac_f32_e32 v122, v116, v168
	v_add_f32_e32 v89, v89, v90
	v_mul_f32_e32 v90, v110, v161
	v_add_f32_e32 v121, v121, v122
	s_waitcnt vmcnt(25) lgkmcnt(0)
	v_mul_f32_e32 v122, v117, v169
	v_fma_f32 v90, v109, v162, -v90
	s_waitcnt vmcnt(24)
	v_fmac_f32_e32 v122, v118, v170
	v_add_f32_e32 v89, v89, v90
	v_mul_f32_e32 v90, v112, v163
	v_add_f32_e32 v125, v121, v122
	ds_read2_b64 v[121:124], v88 offset0:77 offset1:78
	v_fma_f32 v90, v111, v164, -v90
	v_add_f32_e32 v89, v89, v90
	v_mul_f32_e32 v90, v114, v165
	s_waitcnt vmcnt(23)
	v_mul_f32_e32 v126, v119, v171
	v_fma_f32 v90, v113, v166, -v90
	s_waitcnt vmcnt(22)
	v_fmac_f32_e32 v126, v120, v172
	v_add_f32_e32 v89, v89, v90
	v_mul_f32_e32 v90, v116, v167
	v_add_f32_e32 v129, v125, v126
	ds_read2_b64 v[125:128], v88 offset0:79 offset1:80
	v_fma_f32 v90, v115, v168, -v90
	s_waitcnt vmcnt(21) lgkmcnt(1)
	v_mul_f32_e32 v130, v121, v173
	v_add_f32_e32 v89, v89, v90
	v_mul_f32_e32 v90, v118, v169
	s_waitcnt vmcnt(20)
	v_fmac_f32_e32 v130, v122, v174
	v_fma_f32 v90, v117, v170, -v90
	v_add_f32_e32 v129, v129, v130
	s_waitcnt vmcnt(18)
	v_mul_f32_e32 v130, v123, v176
	v_add_f32_e32 v89, v89, v90
	v_mul_f32_e32 v90, v120, v171
	v_fmac_f32_e32 v130, v124, v175
	v_fma_f32 v90, v119, v172, -v90
	v_add_f32_e32 v129, v129, v130
	s_waitcnt vmcnt(15) lgkmcnt(0)
	v_mul_f32_e32 v130, v125, v179
	v_add_f32_e32 v89, v89, v90
	v_mul_f32_e32 v90, v122, v173
	s_waitcnt vmcnt(14)
	v_fmac_f32_e32 v130, v126, v180
	v_fma_f32 v90, v121, v174, -v90
	v_add_f32_e32 v133, v129, v130
	ds_read2_b64 v[129:132], v88 offset0:81 offset1:82
	v_add_f32_e32 v89, v89, v90
	v_mul_f32_e32 v90, v124, v176
	v_fma_f32 v90, v123, v175, -v90
	v_add_f32_e32 v89, v89, v90
	v_mul_f32_e32 v90, v126, v179
	s_waitcnt vmcnt(12)
	v_mul_f32_e32 v134, v127, v182
	v_fma_f32 v90, v125, v180, -v90
	v_fmac_f32_e32 v134, v128, v181
	v_add_f32_e32 v89, v89, v90
	v_mul_f32_e32 v90, v128, v182
	v_add_f32_e32 v137, v133, v134
	ds_read2_b64 v[133:136], v88 offset0:83 offset1:84
	s_waitcnt vmcnt(11) lgkmcnt(1)
	v_mul_f32_e32 v138, v129, v183
	v_fma_f32 v90, v127, v181, -v90
	s_waitcnt vmcnt(10)
	v_fmac_f32_e32 v138, v130, v184
	v_add_f32_e32 v89, v89, v90
	v_mul_f32_e32 v90, v130, v183
	v_add_f32_e32 v137, v137, v138
	s_waitcnt vmcnt(8)
	v_mul_f32_e32 v138, v131, v186
	v_fma_f32 v90, v129, v184, -v90
	v_fmac_f32_e32 v138, v132, v185
	v_add_f32_e32 v89, v89, v90
	v_mul_f32_e32 v90, v132, v186
	v_add_f32_e32 v195, v137, v138
	ds_read2_b64 v[137:140], v88 offset0:85 offset1:86
	v_fma_f32 v90, v131, v185, -v90
	v_add_f32_e32 v89, v89, v90
	s_waitcnt vmcnt(6) lgkmcnt(1)
	v_mul_f32_e32 v90, v134, v188
	v_mul_f32_e32 v196, v133, v188
	v_fma_f32 v90, v133, v187, -v90
	v_fmac_f32_e32 v196, v134, v187
	v_add_f32_e32 v89, v89, v90
	s_waitcnt vmcnt(4)
	v_mul_f32_e32 v90, v136, v190
	v_add_f32_e32 v88, v195, v196
	v_mul_f32_e32 v195, v135, v190
	v_fma_f32 v90, v135, v189, -v90
	v_fmac_f32_e32 v195, v136, v189
	v_add_f32_e32 v89, v89, v90
	s_waitcnt vmcnt(2) lgkmcnt(0)
	v_mul_f32_e32 v90, v138, v192
	v_add_f32_e32 v88, v88, v195
	v_mul_f32_e32 v195, v137, v192
	v_fma_f32 v90, v137, v191, -v90
	v_fmac_f32_e32 v195, v138, v191
	v_add_f32_e32 v89, v89, v90
	s_waitcnt vmcnt(0)
	v_mul_f32_e32 v90, v140, v194
	v_add_f32_e32 v88, v88, v195
	v_mul_f32_e32 v195, v139, v194
	v_fma_f32 v90, v139, v193, -v90
	v_fmac_f32_e32 v195, v140, v193
	v_add_f32_e32 v89, v89, v90
	v_add_f32_e32 v88, v88, v195
	v_sub_f32_e32 v89, v177, v89
	v_sub_f32_e32 v88, v178, v88
	buffer_store_dword v89, off, s[0:3], 0 offset:128
	buffer_store_dword v88, off, s[0:3], 0 offset:132
	s_and_saveexec_b64 s[4:5], vcc
	s_cbranch_execz .LBB42_241
; %bb.240:
	buffer_load_dword v88, off, s[0:3], 0 offset:120
	buffer_load_dword v89, off, s[0:3], 0 offset:124
	v_mov_b32_e32 v90, 0
	buffer_store_dword v90, off, s[0:3], 0 offset:120
	buffer_store_dword v90, off, s[0:3], 0 offset:124
	s_waitcnt vmcnt(2)
	ds_write_b64 v87, v[88:89]
.LBB42_241:
	s_or_b64 exec, exec, s[4:5]
	s_waitcnt lgkmcnt(0)
	; wave barrier
	buffer_load_dword v143, off, s[0:3], 0 offset:132
	buffer_load_dword v144, off, s[0:3], 0 offset:140
	;; [unrolled: 1-line block ×56, first 2 shown]
	v_mov_b32_e32 v88, 0
	ds_read_b128 v[89:92], v88 offset:480
	ds_read_b128 v[93:96], v88 offset:496
	;; [unrolled: 1-line block ×6, first 2 shown]
	v_cmp_lt_u32_e32 vcc, 14, v0
	s_waitcnt vmcnt(55) lgkmcnt(5)
	v_mul_f32_e32 v113, v89, v143
	s_waitcnt vmcnt(54)
	v_mul_f32_e32 v114, v91, v144
	s_waitcnt vmcnt(53) lgkmcnt(4)
	v_mul_f32_e32 v115, v93, v145
	s_waitcnt vmcnt(52)
	v_mul_f32_e32 v116, v95, v146
	;; [unrolled: 4-line block ×4, first 2 shown]
	s_waitcnt vmcnt(47) lgkmcnt(1)
	v_mul_f32_e32 v121, v105, v151
	s_waitcnt vmcnt(46)
	v_fmac_f32_e32 v113, v90, v152
	s_waitcnt vmcnt(45)
	v_fmac_f32_e32 v114, v92, v153
	v_add_f32_e32 v113, 0, v113
	s_waitcnt vmcnt(44)
	v_fmac_f32_e32 v115, v94, v154
	v_add_f32_e32 v113, v113, v114
	;; [unrolled: 3-line block ×3, first 2 shown]
	v_mul_f32_e32 v90, v90, v143
	s_waitcnt vmcnt(42)
	v_fmac_f32_e32 v117, v98, v156
	v_add_f32_e32 v113, v113, v116
	v_fma_f32 v89, v89, v152, -v90
	v_mul_f32_e32 v90, v92, v144
	s_waitcnt vmcnt(41)
	v_fmac_f32_e32 v118, v100, v157
	v_add_f32_e32 v113, v113, v117
	v_add_f32_e32 v89, 0, v89
	v_fma_f32 v90, v91, v153, -v90
	s_waitcnt vmcnt(40)
	v_fmac_f32_e32 v119, v102, v158
	v_add_f32_e32 v113, v113, v118
	v_add_f32_e32 v89, v89, v90
	v_mul_f32_e32 v90, v94, v145
	s_waitcnt vmcnt(39)
	v_fmac_f32_e32 v120, v104, v159
	v_add_f32_e32 v113, v113, v119
	v_fma_f32 v90, v93, v154, -v90
	v_add_f32_e32 v113, v113, v120
	s_waitcnt vmcnt(38)
	v_fmac_f32_e32 v121, v106, v160
	s_waitcnt vmcnt(37)
	v_mul_f32_e32 v114, v107, v161
	v_add_f32_e32 v89, v89, v90
	v_mul_f32_e32 v90, v96, v146
	v_add_f32_e32 v113, v113, v121
	s_waitcnt vmcnt(36)
	v_fmac_f32_e32 v114, v108, v162
	v_fma_f32 v90, v95, v155, -v90
	v_add_f32_e32 v113, v113, v114
	s_waitcnt vmcnt(35) lgkmcnt(0)
	v_mul_f32_e32 v114, v109, v163
	v_add_f32_e32 v89, v89, v90
	v_mul_f32_e32 v90, v98, v147
	s_waitcnt vmcnt(34)
	v_fmac_f32_e32 v114, v110, v164
	v_fma_f32 v90, v97, v156, -v90
	v_add_f32_e32 v117, v113, v114
	ds_read_b128 v[113:116], v88 offset:576
	v_add_f32_e32 v89, v89, v90
	v_mul_f32_e32 v90, v100, v148
	v_fma_f32 v90, v99, v157, -v90
	s_waitcnt vmcnt(33)
	v_mul_f32_e32 v118, v111, v165
	v_add_f32_e32 v89, v89, v90
	v_mul_f32_e32 v90, v102, v149
	s_waitcnt vmcnt(32)
	v_fmac_f32_e32 v118, v112, v166
	v_fma_f32 v90, v101, v158, -v90
	v_add_f32_e32 v121, v117, v118
	ds_read_b128 v[117:120], v88 offset:592
	v_add_f32_e32 v89, v89, v90
	v_mul_f32_e32 v90, v104, v150
	s_waitcnt vmcnt(31) lgkmcnt(1)
	v_mul_f32_e32 v122, v113, v167
	v_fma_f32 v90, v103, v159, -v90
	s_waitcnt vmcnt(30)
	v_fmac_f32_e32 v122, v114, v168
	v_add_f32_e32 v89, v89, v90
	v_mul_f32_e32 v90, v106, v151
	v_add_f32_e32 v121, v121, v122
	s_waitcnt vmcnt(29)
	v_mul_f32_e32 v122, v115, v169
	v_fma_f32 v90, v105, v160, -v90
	s_waitcnt vmcnt(28)
	v_fmac_f32_e32 v122, v116, v170
	v_add_f32_e32 v89, v89, v90
	v_mul_f32_e32 v90, v108, v161
	v_add_f32_e32 v121, v121, v122
	s_waitcnt vmcnt(27) lgkmcnt(0)
	v_mul_f32_e32 v122, v117, v171
	v_fma_f32 v90, v107, v162, -v90
	s_waitcnt vmcnt(26)
	v_fmac_f32_e32 v122, v118, v172
	v_add_f32_e32 v89, v89, v90
	v_mul_f32_e32 v90, v110, v163
	v_add_f32_e32 v125, v121, v122
	ds_read_b128 v[121:124], v88 offset:608
	v_fma_f32 v90, v109, v164, -v90
	v_add_f32_e32 v89, v89, v90
	v_mul_f32_e32 v90, v112, v165
	s_waitcnt vmcnt(24)
	v_mul_f32_e32 v126, v119, v174
	v_fma_f32 v90, v111, v166, -v90
	v_fmac_f32_e32 v126, v120, v173
	v_add_f32_e32 v89, v89, v90
	v_mul_f32_e32 v90, v114, v167
	v_add_f32_e32 v129, v125, v126
	ds_read_b128 v[125:128], v88 offset:624
	v_fma_f32 v90, v113, v168, -v90
	s_waitcnt vmcnt(21) lgkmcnt(1)
	v_mul_f32_e32 v130, v121, v177
	v_add_f32_e32 v89, v89, v90
	v_mul_f32_e32 v90, v116, v169
	s_waitcnt vmcnt(20)
	v_fmac_f32_e32 v130, v122, v178
	v_fma_f32 v90, v115, v170, -v90
	v_add_f32_e32 v129, v129, v130
	s_waitcnt vmcnt(18)
	v_mul_f32_e32 v130, v123, v180
	v_add_f32_e32 v89, v89, v90
	v_mul_f32_e32 v90, v118, v171
	v_fmac_f32_e32 v130, v124, v179
	v_fma_f32 v90, v117, v172, -v90
	v_add_f32_e32 v129, v129, v130
	s_waitcnt vmcnt(16) lgkmcnt(0)
	v_mul_f32_e32 v130, v125, v182
	v_add_f32_e32 v89, v89, v90
	v_mul_f32_e32 v90, v120, v174
	v_fmac_f32_e32 v130, v126, v181
	v_fma_f32 v90, v119, v173, -v90
	v_add_f32_e32 v133, v129, v130
	ds_read_b128 v[129:132], v88 offset:640
	v_add_f32_e32 v89, v89, v90
	v_mul_f32_e32 v90, v122, v177
	v_fma_f32 v90, v121, v178, -v90
	s_waitcnt vmcnt(14)
	v_mul_f32_e32 v134, v127, v184
	v_add_f32_e32 v89, v89, v90
	v_mul_f32_e32 v90, v124, v180
	v_fmac_f32_e32 v134, v128, v183
	v_fma_f32 v90, v123, v179, -v90
	v_add_f32_e32 v137, v133, v134
	ds_read_b128 v[133:136], v88 offset:656
	v_add_f32_e32 v89, v89, v90
	v_mul_f32_e32 v90, v126, v182
	s_waitcnt vmcnt(12) lgkmcnt(1)
	v_mul_f32_e32 v138, v129, v186
	v_fma_f32 v90, v125, v181, -v90
	v_fmac_f32_e32 v138, v130, v185
	v_add_f32_e32 v89, v89, v90
	v_mul_f32_e32 v90, v128, v184
	v_add_f32_e32 v137, v137, v138
	s_waitcnt vmcnt(10)
	v_mul_f32_e32 v138, v131, v188
	v_fma_f32 v90, v127, v183, -v90
	v_fmac_f32_e32 v138, v132, v187
	v_add_f32_e32 v89, v89, v90
	v_mul_f32_e32 v90, v130, v186
	v_add_f32_e32 v137, v137, v138
	s_waitcnt vmcnt(8) lgkmcnt(0)
	v_mul_f32_e32 v138, v133, v190
	v_fma_f32 v90, v129, v185, -v90
	v_fmac_f32_e32 v138, v134, v189
	v_add_f32_e32 v89, v89, v90
	v_mul_f32_e32 v90, v132, v188
	v_add_f32_e32 v141, v137, v138
	ds_read_b128 v[137:140], v88 offset:672
	v_fma_f32 v90, v131, v187, -v90
	v_add_f32_e32 v89, v89, v90
	v_mul_f32_e32 v90, v134, v190
	s_waitcnt vmcnt(6)
	v_mul_f32_e32 v142, v135, v192
	v_fma_f32 v90, v133, v189, -v90
	v_fmac_f32_e32 v142, v136, v191
	v_add_f32_e32 v89, v89, v90
	v_mul_f32_e32 v90, v136, v192
	v_add_f32_e32 v199, v141, v142
	ds_read_b64 v[141:142], v88 offset:688
	v_fma_f32 v90, v135, v191, -v90
	v_add_f32_e32 v89, v89, v90
	s_waitcnt vmcnt(4) lgkmcnt(1)
	v_mul_f32_e32 v90, v138, v194
	v_mul_f32_e32 v200, v137, v194
	v_fma_f32 v90, v137, v193, -v90
	v_fmac_f32_e32 v200, v138, v193
	v_add_f32_e32 v89, v89, v90
	s_waitcnt vmcnt(2)
	v_mul_f32_e32 v90, v140, v196
	v_add_f32_e32 v199, v199, v200
	v_mul_f32_e32 v200, v139, v196
	v_fma_f32 v90, v139, v195, -v90
	v_fmac_f32_e32 v200, v140, v195
	v_add_f32_e32 v89, v89, v90
	s_waitcnt vmcnt(0) lgkmcnt(0)
	v_mul_f32_e32 v90, v142, v198
	v_add_f32_e32 v199, v199, v200
	v_mul_f32_e32 v200, v141, v198
	v_fma_f32 v90, v141, v197, -v90
	v_fmac_f32_e32 v200, v142, v197
	v_add_f32_e32 v89, v89, v90
	v_add_f32_e32 v199, v199, v200
	v_sub_f32_e32 v89, v175, v89
	v_sub_f32_e32 v90, v176, v199
	buffer_store_dword v89, off, s[0:3], 0 offset:120
	buffer_store_dword v90, off, s[0:3], 0 offset:124
	s_and_saveexec_b64 s[4:5], vcc
	s_cbranch_execz .LBB42_243
; %bb.242:
	buffer_load_dword v89, off, s[0:3], 0 offset:112
	buffer_load_dword v90, off, s[0:3], 0 offset:116
	s_waitcnt vmcnt(0)
	ds_write_b64 v87, v[89:90]
	buffer_store_dword v88, off, s[0:3], 0 offset:112
	buffer_store_dword v88, off, s[0:3], 0 offset:116
.LBB42_243:
	s_or_b64 exec, exec, s[4:5]
	s_waitcnt lgkmcnt(0)
	; wave barrier
	buffer_load_dword v145, off, s[0:3], 0 offset:124
	buffer_load_dword v146, off, s[0:3], 0 offset:132
	;; [unrolled: 1-line block ×34, first 2 shown]
	ds_read2_b64 v[89:92], v88 offset0:59 offset1:60
	ds_read2_b64 v[93:96], v88 offset0:61 offset1:62
	buffer_load_dword v179, off, s[0:3], 0 offset:252
	buffer_load_dword v180, off, s[0:3], 0 offset:248
	;; [unrolled: 1-line block ×6, first 2 shown]
	ds_read2_b64 v[97:100], v88 offset0:63 offset1:64
	ds_read2_b64 v[101:104], v88 offset0:65 offset1:66
	;; [unrolled: 1-line block ×4, first 2 shown]
	buffer_load_dword v185, off, s[0:3], 0 offset:276
	buffer_load_dword v186, off, s[0:3], 0 offset:272
	;; [unrolled: 1-line block ×18, first 2 shown]
	v_cmp_lt_u32_e32 vcc, 13, v0
	s_waitcnt vmcnt(57) lgkmcnt(5)
	v_mul_f32_e32 v113, v89, v145
	s_waitcnt vmcnt(56)
	v_mul_f32_e32 v114, v91, v146
	s_waitcnt vmcnt(55) lgkmcnt(4)
	v_mul_f32_e32 v115, v93, v147
	s_waitcnt vmcnt(54)
	v_mul_f32_e32 v116, v95, v148
	;; [unrolled: 4-line block ×4, first 2 shown]
	s_waitcnt vmcnt(49)
	v_fmac_f32_e32 v113, v90, v153
	s_waitcnt vmcnt(48)
	v_fmac_f32_e32 v114, v92, v154
	v_add_f32_e32 v113, 0, v113
	s_waitcnt vmcnt(47)
	v_fmac_f32_e32 v115, v94, v155
	v_add_f32_e32 v113, v113, v114
	s_waitcnt vmcnt(46)
	v_fmac_f32_e32 v116, v96, v156
	v_add_f32_e32 v113, v113, v115
	s_waitcnt vmcnt(45)
	v_fmac_f32_e32 v117, v98, v157
	v_add_f32_e32 v113, v113, v116
	v_mul_f32_e32 v90, v90, v145
	s_waitcnt vmcnt(44)
	v_fmac_f32_e32 v118, v100, v158
	v_add_f32_e32 v113, v113, v117
	v_fma_f32 v89, v89, v153, -v90
	v_mul_f32_e32 v90, v92, v146
	s_waitcnt vmcnt(43)
	v_fmac_f32_e32 v119, v102, v159
	v_add_f32_e32 v113, v113, v118
	v_add_f32_e32 v89, 0, v89
	v_fma_f32 v90, v91, v154, -v90
	s_waitcnt vmcnt(42)
	v_fmac_f32_e32 v120, v104, v160
	v_add_f32_e32 v113, v113, v119
	s_waitcnt vmcnt(41) lgkmcnt(1)
	v_mul_f32_e32 v114, v105, v161
	v_add_f32_e32 v89, v89, v90
	v_mul_f32_e32 v90, v94, v147
	v_add_f32_e32 v113, v113, v120
	s_waitcnt vmcnt(40)
	v_fmac_f32_e32 v114, v106, v162
	v_fma_f32 v90, v93, v155, -v90
	v_add_f32_e32 v113, v113, v114
	s_waitcnt vmcnt(39)
	v_mul_f32_e32 v114, v107, v163
	v_add_f32_e32 v89, v89, v90
	v_mul_f32_e32 v90, v96, v148
	s_waitcnt vmcnt(38)
	v_fmac_f32_e32 v114, v108, v164
	v_fma_f32 v90, v95, v156, -v90
	v_add_f32_e32 v113, v113, v114
	s_waitcnt vmcnt(37) lgkmcnt(0)
	v_mul_f32_e32 v114, v109, v165
	v_add_f32_e32 v89, v89, v90
	v_mul_f32_e32 v90, v98, v149
	s_waitcnt vmcnt(36)
	v_fmac_f32_e32 v114, v110, v166
	v_fma_f32 v90, v97, v157, -v90
	v_add_f32_e32 v117, v113, v114
	ds_read2_b64 v[113:116], v88 offset0:71 offset1:72
	v_add_f32_e32 v89, v89, v90
	v_mul_f32_e32 v90, v100, v150
	v_fma_f32 v90, v99, v158, -v90
	s_waitcnt vmcnt(35)
	v_mul_f32_e32 v118, v111, v167
	v_add_f32_e32 v89, v89, v90
	v_mul_f32_e32 v90, v102, v151
	s_waitcnt vmcnt(34)
	v_fmac_f32_e32 v118, v112, v168
	v_fma_f32 v90, v101, v159, -v90
	v_add_f32_e32 v121, v117, v118
	ds_read2_b64 v[117:120], v88 offset0:73 offset1:74
	v_add_f32_e32 v89, v89, v90
	v_mul_f32_e32 v90, v104, v152
	s_waitcnt vmcnt(33) lgkmcnt(1)
	v_mul_f32_e32 v122, v113, v169
	v_fma_f32 v90, v103, v160, -v90
	s_waitcnt vmcnt(32)
	v_fmac_f32_e32 v122, v114, v170
	v_add_f32_e32 v89, v89, v90
	v_mul_f32_e32 v90, v106, v161
	v_add_f32_e32 v121, v121, v122
	s_waitcnt vmcnt(31)
	v_mul_f32_e32 v122, v115, v171
	v_fma_f32 v90, v105, v162, -v90
	s_waitcnt vmcnt(30)
	v_fmac_f32_e32 v122, v116, v172
	v_add_f32_e32 v89, v89, v90
	v_mul_f32_e32 v90, v108, v163
	v_add_f32_e32 v121, v121, v122
	s_waitcnt vmcnt(29) lgkmcnt(0)
	v_mul_f32_e32 v122, v117, v173
	v_fma_f32 v90, v107, v164, -v90
	s_waitcnt vmcnt(28)
	v_fmac_f32_e32 v122, v118, v174
	v_add_f32_e32 v89, v89, v90
	v_mul_f32_e32 v90, v110, v165
	v_add_f32_e32 v125, v121, v122
	ds_read2_b64 v[121:124], v88 offset0:75 offset1:76
	v_fma_f32 v90, v109, v166, -v90
	v_add_f32_e32 v89, v89, v90
	v_mul_f32_e32 v90, v112, v167
	s_waitcnt vmcnt(25)
	v_mul_f32_e32 v126, v119, v177
	v_fma_f32 v90, v111, v168, -v90
	s_waitcnt vmcnt(24)
	v_fmac_f32_e32 v126, v120, v178
	v_add_f32_e32 v89, v89, v90
	v_mul_f32_e32 v90, v114, v169
	v_add_f32_e32 v129, v125, v126
	ds_read2_b64 v[125:128], v88 offset0:77 offset1:78
	v_fma_f32 v90, v113, v170, -v90
	s_waitcnt vmcnt(23) lgkmcnt(1)
	v_mul_f32_e32 v130, v121, v179
	v_add_f32_e32 v89, v89, v90
	v_mul_f32_e32 v90, v116, v171
	s_waitcnt vmcnt(22)
	v_fmac_f32_e32 v130, v122, v180
	v_fma_f32 v90, v115, v172, -v90
	v_add_f32_e32 v129, v129, v130
	s_waitcnt vmcnt(20)
	v_mul_f32_e32 v130, v123, v182
	v_add_f32_e32 v89, v89, v90
	v_mul_f32_e32 v90, v118, v173
	v_fmac_f32_e32 v130, v124, v181
	v_fma_f32 v90, v117, v174, -v90
	v_add_f32_e32 v129, v129, v130
	s_waitcnt vmcnt(18) lgkmcnt(0)
	v_mul_f32_e32 v130, v125, v184
	v_add_f32_e32 v89, v89, v90
	v_mul_f32_e32 v90, v120, v177
	v_fmac_f32_e32 v130, v126, v183
	v_fma_f32 v90, v119, v178, -v90
	v_add_f32_e32 v133, v129, v130
	ds_read2_b64 v[129:132], v88 offset0:79 offset1:80
	v_add_f32_e32 v89, v89, v90
	v_mul_f32_e32 v90, v122, v179
	v_fma_f32 v90, v121, v180, -v90
	s_waitcnt vmcnt(17)
	v_mul_f32_e32 v134, v127, v185
	v_add_f32_e32 v89, v89, v90
	v_mul_f32_e32 v90, v124, v182
	s_waitcnt vmcnt(16)
	v_fmac_f32_e32 v134, v128, v186
	v_fma_f32 v90, v123, v181, -v90
	v_add_f32_e32 v137, v133, v134
	ds_read2_b64 v[133:136], v88 offset0:81 offset1:82
	v_add_f32_e32 v89, v89, v90
	v_mul_f32_e32 v90, v126, v184
	s_waitcnt vmcnt(14) lgkmcnt(1)
	v_mul_f32_e32 v138, v129, v188
	v_fma_f32 v90, v125, v183, -v90
	v_fmac_f32_e32 v138, v130, v187
	v_add_f32_e32 v89, v89, v90
	v_mul_f32_e32 v90, v128, v185
	v_add_f32_e32 v137, v137, v138
	s_waitcnt vmcnt(12)
	v_mul_f32_e32 v138, v131, v190
	v_fma_f32 v90, v127, v186, -v90
	v_fmac_f32_e32 v138, v132, v189
	v_add_f32_e32 v89, v89, v90
	v_mul_f32_e32 v90, v130, v188
	v_add_f32_e32 v137, v137, v138
	s_waitcnt vmcnt(10) lgkmcnt(0)
	v_mul_f32_e32 v138, v133, v192
	v_fma_f32 v90, v129, v187, -v90
	v_fmac_f32_e32 v138, v134, v191
	v_add_f32_e32 v89, v89, v90
	v_mul_f32_e32 v90, v132, v190
	v_add_f32_e32 v141, v137, v138
	ds_read2_b64 v[137:140], v88 offset0:83 offset1:84
	v_fma_f32 v90, v131, v189, -v90
	v_add_f32_e32 v89, v89, v90
	v_mul_f32_e32 v90, v134, v192
	s_waitcnt vmcnt(8)
	v_mul_f32_e32 v142, v135, v194
	v_fma_f32 v90, v133, v191, -v90
	v_fmac_f32_e32 v142, v136, v193
	v_add_f32_e32 v89, v89, v90
	v_mul_f32_e32 v90, v136, v194
	v_add_f32_e32 v203, v141, v142
	ds_read2_b64 v[141:144], v88 offset0:85 offset1:86
	v_fma_f32 v90, v135, v193, -v90
	v_add_f32_e32 v89, v89, v90
	s_waitcnt vmcnt(6) lgkmcnt(1)
	v_mul_f32_e32 v90, v138, v196
	v_mul_f32_e32 v88, v137, v196
	v_fma_f32 v90, v137, v195, -v90
	v_fmac_f32_e32 v88, v138, v195
	v_add_f32_e32 v89, v89, v90
	s_waitcnt vmcnt(4)
	v_mul_f32_e32 v90, v140, v198
	v_add_f32_e32 v88, v203, v88
	v_mul_f32_e32 v203, v139, v198
	v_fma_f32 v90, v139, v197, -v90
	v_fmac_f32_e32 v203, v140, v197
	v_add_f32_e32 v89, v89, v90
	s_waitcnt vmcnt(2) lgkmcnt(0)
	v_mul_f32_e32 v90, v142, v200
	v_add_f32_e32 v88, v88, v203
	v_mul_f32_e32 v203, v141, v200
	v_fma_f32 v90, v141, v199, -v90
	v_fmac_f32_e32 v203, v142, v199
	v_add_f32_e32 v89, v89, v90
	s_waitcnt vmcnt(0)
	v_mul_f32_e32 v90, v144, v202
	v_add_f32_e32 v88, v88, v203
	v_mul_f32_e32 v203, v143, v202
	v_fma_f32 v90, v143, v201, -v90
	v_fmac_f32_e32 v203, v144, v201
	v_add_f32_e32 v89, v89, v90
	v_add_f32_e32 v88, v88, v203
	v_sub_f32_e32 v89, v175, v89
	v_sub_f32_e32 v88, v176, v88
	buffer_store_dword v89, off, s[0:3], 0 offset:112
	buffer_store_dword v88, off, s[0:3], 0 offset:116
	s_and_saveexec_b64 s[4:5], vcc
	s_cbranch_execz .LBB42_245
; %bb.244:
	buffer_load_dword v88, off, s[0:3], 0 offset:104
	buffer_load_dword v89, off, s[0:3], 0 offset:108
	v_mov_b32_e32 v90, 0
	buffer_store_dword v90, off, s[0:3], 0 offset:104
	buffer_store_dword v90, off, s[0:3], 0 offset:108
	s_waitcnt vmcnt(2)
	ds_write_b64 v87, v[88:89]
.LBB42_245:
	s_or_b64 exec, exec, s[4:5]
	s_waitcnt lgkmcnt(0)
	; wave barrier
	buffer_load_dword v147, off, s[0:3], 0 offset:116
	buffer_load_dword v148, off, s[0:3], 0 offset:124
	;; [unrolled: 1-line block ×60, first 2 shown]
	v_mov_b32_e32 v88, 0
	ds_read_b128 v[89:92], v88 offset:464
	ds_read_b128 v[93:96], v88 offset:480
	;; [unrolled: 1-line block ×5, first 2 shown]
	v_cmp_lt_u32_e32 vcc, 12, v0
	s_waitcnt vmcnt(59) lgkmcnt(4)
	v_mul_f32_e32 v109, v89, v147
	s_waitcnt vmcnt(58)
	v_mul_f32_e32 v110, v91, v148
	s_waitcnt vmcnt(57) lgkmcnt(3)
	v_mul_f32_e32 v111, v93, v149
	s_waitcnt vmcnt(56)
	v_mul_f32_e32 v112, v95, v150
	s_waitcnt vmcnt(55) lgkmcnt(2)
	v_mul_f32_e32 v113, v97, v151
	s_waitcnt vmcnt(54)
	v_mul_f32_e32 v114, v99, v152
	s_waitcnt vmcnt(53) lgkmcnt(1)
	v_mul_f32_e32 v115, v101, v153
	s_waitcnt vmcnt(52)
	v_fmac_f32_e32 v109, v90, v154
	s_waitcnt vmcnt(51)
	v_fmac_f32_e32 v110, v92, v155
	v_add_f32_e32 v109, 0, v109
	s_waitcnt vmcnt(50)
	v_fmac_f32_e32 v111, v94, v156
	v_add_f32_e32 v109, v109, v110
	;; [unrolled: 3-line block ×6, first 2 shown]
	s_waitcnt vmcnt(45)
	v_mul_f32_e32 v110, v103, v161
	v_add_f32_e32 v109, v109, v115
	s_waitcnt vmcnt(44)
	v_fmac_f32_e32 v110, v104, v162
	v_mul_f32_e32 v90, v90, v147
	v_add_f32_e32 v113, v109, v110
	ds_read_b128 v[109:112], v88 offset:544
	v_fma_f32 v89, v89, v154, -v90
	v_mul_f32_e32 v90, v92, v148
	s_waitcnt vmcnt(43) lgkmcnt(1)
	v_mul_f32_e32 v114, v105, v163
	v_add_f32_e32 v89, 0, v89
	v_fma_f32 v90, v91, v155, -v90
	s_waitcnt vmcnt(42)
	v_fmac_f32_e32 v114, v106, v164
	v_add_f32_e32 v89, v89, v90
	v_mul_f32_e32 v90, v94, v149
	v_add_f32_e32 v113, v113, v114
	s_waitcnt vmcnt(41)
	v_mul_f32_e32 v114, v107, v165
	v_fma_f32 v90, v93, v156, -v90
	s_waitcnt vmcnt(40)
	v_fmac_f32_e32 v114, v108, v166
	v_add_f32_e32 v89, v89, v90
	v_mul_f32_e32 v90, v96, v150
	v_add_f32_e32 v113, v113, v114
	s_waitcnt vmcnt(39) lgkmcnt(0)
	v_mul_f32_e32 v114, v109, v167
	v_fma_f32 v90, v95, v157, -v90
	s_waitcnt vmcnt(38)
	v_fmac_f32_e32 v114, v110, v168
	v_add_f32_e32 v89, v89, v90
	v_mul_f32_e32 v90, v98, v151
	v_add_f32_e32 v117, v113, v114
	ds_read_b128 v[113:116], v88 offset:560
	v_fma_f32 v90, v97, v158, -v90
	v_add_f32_e32 v89, v89, v90
	v_mul_f32_e32 v90, v100, v152
	s_waitcnt vmcnt(37)
	v_mul_f32_e32 v118, v111, v169
	v_fma_f32 v90, v99, v159, -v90
	s_waitcnt vmcnt(36)
	v_fmac_f32_e32 v118, v112, v170
	v_add_f32_e32 v89, v89, v90
	v_mul_f32_e32 v90, v102, v153
	v_add_f32_e32 v121, v117, v118
	ds_read_b128 v[117:120], v88 offset:576
	v_fma_f32 v90, v101, v160, -v90
	s_waitcnt vmcnt(34) lgkmcnt(1)
	v_mul_f32_e32 v122, v113, v172
	v_add_f32_e32 v89, v89, v90
	v_mul_f32_e32 v90, v104, v161
	v_fmac_f32_e32 v122, v114, v171
	v_fma_f32 v90, v103, v162, -v90
	v_add_f32_e32 v121, v121, v122
	s_waitcnt vmcnt(31)
	v_mul_f32_e32 v122, v115, v175
	v_add_f32_e32 v89, v89, v90
	v_mul_f32_e32 v90, v106, v163
	s_waitcnt vmcnt(30)
	v_fmac_f32_e32 v122, v116, v176
	v_fma_f32 v90, v105, v164, -v90
	v_add_f32_e32 v121, v121, v122
	s_waitcnt vmcnt(28) lgkmcnt(0)
	v_mul_f32_e32 v122, v117, v178
	v_add_f32_e32 v89, v89, v90
	v_mul_f32_e32 v90, v108, v165
	v_fmac_f32_e32 v122, v118, v177
	v_fma_f32 v90, v107, v166, -v90
	v_add_f32_e32 v125, v121, v122
	ds_read_b128 v[121:124], v88 offset:592
	v_add_f32_e32 v89, v89, v90
	v_mul_f32_e32 v90, v110, v167
	v_fma_f32 v90, v109, v168, -v90
	s_waitcnt vmcnt(26)
	v_mul_f32_e32 v126, v119, v180
	v_add_f32_e32 v89, v89, v90
	v_mul_f32_e32 v90, v112, v169
	v_fmac_f32_e32 v126, v120, v179
	v_fma_f32 v90, v111, v170, -v90
	v_add_f32_e32 v129, v125, v126
	ds_read_b128 v[125:128], v88 offset:608
	v_add_f32_e32 v89, v89, v90
	v_mul_f32_e32 v90, v114, v172
	s_waitcnt vmcnt(24) lgkmcnt(1)
	v_mul_f32_e32 v130, v121, v182
	v_fma_f32 v90, v113, v171, -v90
	v_fmac_f32_e32 v130, v122, v181
	v_add_f32_e32 v89, v89, v90
	v_mul_f32_e32 v90, v116, v175
	v_add_f32_e32 v129, v129, v130
	s_waitcnt vmcnt(22)
	v_mul_f32_e32 v130, v123, v184
	v_fma_f32 v90, v115, v176, -v90
	v_fmac_f32_e32 v130, v124, v183
	v_add_f32_e32 v89, v89, v90
	v_mul_f32_e32 v90, v118, v178
	v_add_f32_e32 v129, v129, v130
	s_waitcnt vmcnt(20) lgkmcnt(0)
	v_mul_f32_e32 v130, v125, v186
	v_fma_f32 v90, v117, v177, -v90
	v_fmac_f32_e32 v130, v126, v185
	v_add_f32_e32 v89, v89, v90
	v_mul_f32_e32 v90, v120, v180
	v_add_f32_e32 v133, v129, v130
	ds_read_b128 v[129:132], v88 offset:624
	v_fma_f32 v90, v119, v179, -v90
	v_add_f32_e32 v89, v89, v90
	v_mul_f32_e32 v90, v122, v182
	s_waitcnt vmcnt(18)
	v_mul_f32_e32 v134, v127, v188
	v_fma_f32 v90, v121, v181, -v90
	v_fmac_f32_e32 v134, v128, v187
	v_add_f32_e32 v89, v89, v90
	v_mul_f32_e32 v90, v124, v184
	v_add_f32_e32 v137, v133, v134
	ds_read_b128 v[133:136], v88 offset:640
	v_fma_f32 v90, v123, v183, -v90
	s_waitcnt vmcnt(16) lgkmcnt(1)
	v_mul_f32_e32 v138, v129, v190
	v_add_f32_e32 v89, v89, v90
	v_mul_f32_e32 v90, v126, v186
	v_fmac_f32_e32 v138, v130, v189
	v_fma_f32 v90, v125, v185, -v90
	v_add_f32_e32 v137, v137, v138
	s_waitcnt vmcnt(14)
	v_mul_f32_e32 v138, v131, v192
	v_add_f32_e32 v89, v89, v90
	v_mul_f32_e32 v90, v128, v188
	v_fmac_f32_e32 v138, v132, v191
	v_fma_f32 v90, v127, v187, -v90
	v_add_f32_e32 v137, v137, v138
	s_waitcnt vmcnt(12) lgkmcnt(0)
	v_mul_f32_e32 v138, v133, v194
	v_add_f32_e32 v89, v89, v90
	v_mul_f32_e32 v90, v130, v190
	v_fmac_f32_e32 v138, v134, v193
	v_fma_f32 v90, v129, v189, -v90
	v_add_f32_e32 v141, v137, v138
	ds_read_b128 v[137:140], v88 offset:656
	v_add_f32_e32 v89, v89, v90
	v_mul_f32_e32 v90, v132, v192
	v_fma_f32 v90, v131, v191, -v90
	v_add_f32_e32 v89, v89, v90
	v_mul_f32_e32 v90, v134, v194
	s_waitcnt vmcnt(10)
	v_mul_f32_e32 v142, v135, v196
	v_fma_f32 v90, v133, v193, -v90
	v_fmac_f32_e32 v142, v136, v195
	v_add_f32_e32 v89, v89, v90
	v_mul_f32_e32 v90, v136, v196
	v_add_f32_e32 v145, v141, v142
	ds_read_b128 v[141:144], v88 offset:672
	s_waitcnt vmcnt(8) lgkmcnt(1)
	v_mul_f32_e32 v146, v137, v198
	v_fma_f32 v90, v135, v195, -v90
	v_fmac_f32_e32 v146, v138, v197
	v_add_f32_e32 v89, v89, v90
	v_mul_f32_e32 v90, v138, v198
	v_add_f32_e32 v145, v145, v146
	s_waitcnt vmcnt(6)
	v_mul_f32_e32 v146, v139, v200
	v_fma_f32 v90, v137, v197, -v90
	v_fmac_f32_e32 v146, v140, v199
	v_add_f32_e32 v89, v89, v90
	v_mul_f32_e32 v90, v140, v200
	v_add_f32_e32 v207, v145, v146
	ds_read_b64 v[145:146], v88 offset:688
	v_fma_f32 v90, v139, v199, -v90
	v_add_f32_e32 v89, v89, v90
	s_waitcnt vmcnt(4) lgkmcnt(1)
	v_mul_f32_e32 v90, v142, v202
	v_mul_f32_e32 v208, v141, v202
	v_fma_f32 v90, v141, v201, -v90
	v_fmac_f32_e32 v208, v142, v201
	v_add_f32_e32 v89, v89, v90
	s_waitcnt vmcnt(2)
	v_mul_f32_e32 v90, v144, v204
	v_add_f32_e32 v207, v207, v208
	v_mul_f32_e32 v208, v143, v204
	v_fma_f32 v90, v143, v203, -v90
	v_fmac_f32_e32 v208, v144, v203
	v_add_f32_e32 v89, v89, v90
	s_waitcnt vmcnt(0) lgkmcnt(0)
	v_mul_f32_e32 v90, v146, v206
	v_add_f32_e32 v207, v207, v208
	v_mul_f32_e32 v208, v145, v206
	v_fma_f32 v90, v145, v205, -v90
	v_fmac_f32_e32 v208, v146, v205
	v_add_f32_e32 v89, v89, v90
	v_add_f32_e32 v207, v207, v208
	v_sub_f32_e32 v89, v173, v89
	v_sub_f32_e32 v90, v174, v207
	buffer_store_dword v89, off, s[0:3], 0 offset:104
	buffer_store_dword v90, off, s[0:3], 0 offset:108
	s_and_saveexec_b64 s[4:5], vcc
	s_cbranch_execz .LBB42_247
; %bb.246:
	buffer_load_dword v89, off, s[0:3], 0 offset:96
	buffer_load_dword v90, off, s[0:3], 0 offset:100
	s_waitcnt vmcnt(0)
	ds_write_b64 v87, v[89:90]
	buffer_store_dword v88, off, s[0:3], 0 offset:96
	buffer_store_dword v88, off, s[0:3], 0 offset:100
.LBB42_247:
	s_or_b64 exec, exec, s[4:5]
	s_waitcnt lgkmcnt(0)
	; wave barrier
	buffer_load_dword v149, off, s[0:3], 0 offset:108
	buffer_load_dword v150, off, s[0:3], 0 offset:116
	;; [unrolled: 1-line block ×32, first 2 shown]
	ds_read2_b64 v[89:92], v88 offset0:57 offset1:58
	ds_read2_b64 v[93:96], v88 offset0:59 offset1:60
	;; [unrolled: 1-line block ×4, first 2 shown]
	buffer_load_dword v181, off, s[0:3], 0 offset:228
	buffer_load_dword v182, off, s[0:3], 0 offset:224
	;; [unrolled: 1-line block ×30, first 2 shown]
	v_cmp_lt_u32_e32 vcc, 11, v0
	s_waitcnt vmcnt(61) lgkmcnt(3)
	v_mul_f32_e32 v105, v89, v149
	s_waitcnt vmcnt(60)
	v_mul_f32_e32 v106, v91, v150
	s_waitcnt vmcnt(59) lgkmcnt(2)
	v_mul_f32_e32 v107, v93, v151
	s_waitcnt vmcnt(58)
	v_mul_f32_e32 v108, v95, v152
	;; [unrolled: 4-line block ×3, first 2 shown]
	s_waitcnt vmcnt(55) lgkmcnt(0)
	v_mul_f32_e32 v111, v101, v155
	s_waitcnt vmcnt(54)
	v_fmac_f32_e32 v105, v90, v156
	s_waitcnt vmcnt(53)
	v_fmac_f32_e32 v106, v92, v157
	v_add_f32_e32 v105, 0, v105
	s_waitcnt vmcnt(52)
	v_fmac_f32_e32 v107, v94, v158
	v_add_f32_e32 v105, v105, v106
	;; [unrolled: 3-line block ×6, first 2 shown]
	v_add_f32_e32 v109, v105, v111
	ds_read2_b64 v[105:108], v88 offset0:65 offset1:66
	s_waitcnt vmcnt(47)
	v_mul_f32_e32 v110, v103, v163
	s_waitcnt vmcnt(46)
	v_fmac_f32_e32 v110, v104, v164
	v_mul_f32_e32 v90, v90, v149
	v_add_f32_e32 v113, v109, v110
	ds_read2_b64 v[109:112], v88 offset0:67 offset1:68
	v_fma_f32 v89, v89, v156, -v90
	v_mul_f32_e32 v90, v92, v150
	s_waitcnt vmcnt(45) lgkmcnt(1)
	v_mul_f32_e32 v114, v105, v165
	v_add_f32_e32 v89, 0, v89
	v_fma_f32 v90, v91, v157, -v90
	s_waitcnt vmcnt(44)
	v_fmac_f32_e32 v114, v106, v166
	v_add_f32_e32 v89, v89, v90
	v_mul_f32_e32 v90, v94, v151
	v_add_f32_e32 v113, v113, v114
	s_waitcnt vmcnt(43)
	v_mul_f32_e32 v114, v107, v167
	v_fma_f32 v90, v93, v158, -v90
	s_waitcnt vmcnt(42)
	v_fmac_f32_e32 v114, v108, v168
	v_add_f32_e32 v89, v89, v90
	v_mul_f32_e32 v90, v96, v152
	v_add_f32_e32 v113, v113, v114
	s_waitcnt vmcnt(41) lgkmcnt(0)
	v_mul_f32_e32 v114, v109, v169
	v_fma_f32 v90, v95, v159, -v90
	s_waitcnt vmcnt(40)
	v_fmac_f32_e32 v114, v110, v170
	v_add_f32_e32 v89, v89, v90
	v_mul_f32_e32 v90, v98, v153
	v_add_f32_e32 v117, v113, v114
	ds_read2_b64 v[113:116], v88 offset0:69 offset1:70
	v_fma_f32 v90, v97, v160, -v90
	v_add_f32_e32 v89, v89, v90
	v_mul_f32_e32 v90, v100, v154
	s_waitcnt vmcnt(39)
	v_mul_f32_e32 v118, v111, v171
	v_fma_f32 v90, v99, v161, -v90
	s_waitcnt vmcnt(38)
	v_fmac_f32_e32 v118, v112, v172
	v_add_f32_e32 v89, v89, v90
	v_mul_f32_e32 v90, v102, v155
	v_add_f32_e32 v121, v117, v118
	ds_read2_b64 v[117:120], v88 offset0:71 offset1:72
	v_fma_f32 v90, v101, v162, -v90
	s_waitcnt vmcnt(35) lgkmcnt(1)
	v_mul_f32_e32 v122, v113, v175
	v_add_f32_e32 v89, v89, v90
	v_mul_f32_e32 v90, v104, v163
	s_waitcnt vmcnt(34)
	v_fmac_f32_e32 v122, v114, v176
	v_fma_f32 v90, v103, v164, -v90
	v_add_f32_e32 v121, v121, v122
	s_waitcnt vmcnt(32)
	v_mul_f32_e32 v122, v115, v178
	v_add_f32_e32 v89, v89, v90
	v_mul_f32_e32 v90, v106, v165
	v_fmac_f32_e32 v122, v116, v177
	v_fma_f32 v90, v105, v166, -v90
	v_add_f32_e32 v121, v121, v122
	s_waitcnt vmcnt(30) lgkmcnt(0)
	v_mul_f32_e32 v122, v117, v180
	v_add_f32_e32 v89, v89, v90
	v_mul_f32_e32 v90, v108, v167
	v_fmac_f32_e32 v122, v118, v179
	v_fma_f32 v90, v107, v168, -v90
	v_add_f32_e32 v125, v121, v122
	ds_read2_b64 v[121:124], v88 offset0:73 offset1:74
	v_add_f32_e32 v89, v89, v90
	v_mul_f32_e32 v90, v110, v169
	v_fma_f32 v90, v109, v170, -v90
	s_waitcnt vmcnt(29)
	v_mul_f32_e32 v126, v119, v181
	v_add_f32_e32 v89, v89, v90
	v_mul_f32_e32 v90, v112, v171
	s_waitcnt vmcnt(28)
	v_fmac_f32_e32 v126, v120, v182
	v_fma_f32 v90, v111, v172, -v90
	v_add_f32_e32 v129, v125, v126
	ds_read2_b64 v[125:128], v88 offset0:75 offset1:76
	v_add_f32_e32 v89, v89, v90
	v_mul_f32_e32 v90, v114, v175
	s_waitcnt vmcnt(26) lgkmcnt(1)
	v_mul_f32_e32 v130, v121, v184
	v_fma_f32 v90, v113, v176, -v90
	v_fmac_f32_e32 v130, v122, v183
	v_add_f32_e32 v89, v89, v90
	v_mul_f32_e32 v90, v116, v178
	v_add_f32_e32 v129, v129, v130
	s_waitcnt vmcnt(24)
	v_mul_f32_e32 v130, v123, v186
	v_fma_f32 v90, v115, v177, -v90
	v_fmac_f32_e32 v130, v124, v185
	v_add_f32_e32 v89, v89, v90
	v_mul_f32_e32 v90, v118, v180
	v_add_f32_e32 v129, v129, v130
	s_waitcnt vmcnt(22) lgkmcnt(0)
	v_mul_f32_e32 v130, v125, v188
	v_fma_f32 v90, v117, v179, -v90
	v_fmac_f32_e32 v130, v126, v187
	v_add_f32_e32 v89, v89, v90
	v_mul_f32_e32 v90, v120, v181
	v_add_f32_e32 v133, v129, v130
	ds_read2_b64 v[129:132], v88 offset0:77 offset1:78
	v_fma_f32 v90, v119, v182, -v90
	v_add_f32_e32 v89, v89, v90
	v_mul_f32_e32 v90, v122, v184
	s_waitcnt vmcnt(20)
	v_mul_f32_e32 v134, v127, v190
	v_fma_f32 v90, v121, v183, -v90
	v_fmac_f32_e32 v134, v128, v189
	v_add_f32_e32 v89, v89, v90
	v_mul_f32_e32 v90, v124, v186
	v_add_f32_e32 v137, v133, v134
	ds_read2_b64 v[133:136], v88 offset0:79 offset1:80
	v_fma_f32 v90, v123, v185, -v90
	s_waitcnt vmcnt(18) lgkmcnt(1)
	v_mul_f32_e32 v138, v129, v192
	v_add_f32_e32 v89, v89, v90
	v_mul_f32_e32 v90, v126, v188
	v_fmac_f32_e32 v138, v130, v191
	v_fma_f32 v90, v125, v187, -v90
	v_add_f32_e32 v137, v137, v138
	s_waitcnt vmcnt(16)
	v_mul_f32_e32 v138, v131, v194
	v_add_f32_e32 v89, v89, v90
	v_mul_f32_e32 v90, v128, v190
	v_fmac_f32_e32 v138, v132, v193
	v_fma_f32 v90, v127, v189, -v90
	v_add_f32_e32 v137, v137, v138
	s_waitcnt vmcnt(14) lgkmcnt(0)
	v_mul_f32_e32 v138, v133, v196
	v_add_f32_e32 v89, v89, v90
	v_mul_f32_e32 v90, v130, v192
	v_fmac_f32_e32 v138, v134, v195
	v_fma_f32 v90, v129, v191, -v90
	v_add_f32_e32 v141, v137, v138
	ds_read2_b64 v[137:140], v88 offset0:81 offset1:82
	v_add_f32_e32 v89, v89, v90
	v_mul_f32_e32 v90, v132, v194
	v_fma_f32 v90, v131, v193, -v90
	v_add_f32_e32 v89, v89, v90
	v_mul_f32_e32 v90, v134, v196
	s_waitcnt vmcnt(12)
	v_mul_f32_e32 v142, v135, v198
	v_fma_f32 v90, v133, v195, -v90
	v_fmac_f32_e32 v142, v136, v197
	v_add_f32_e32 v89, v89, v90
	v_mul_f32_e32 v90, v136, v198
	v_add_f32_e32 v145, v141, v142
	ds_read2_b64 v[141:144], v88 offset0:83 offset1:84
	s_waitcnt vmcnt(10) lgkmcnt(1)
	v_mul_f32_e32 v146, v137, v200
	v_fma_f32 v90, v135, v197, -v90
	v_fmac_f32_e32 v146, v138, v199
	v_add_f32_e32 v89, v89, v90
	v_mul_f32_e32 v90, v138, v200
	v_add_f32_e32 v145, v145, v146
	s_waitcnt vmcnt(8)
	v_mul_f32_e32 v146, v139, v202
	v_fma_f32 v90, v137, v199, -v90
	v_fmac_f32_e32 v146, v140, v201
	v_add_f32_e32 v89, v89, v90
	v_mul_f32_e32 v90, v140, v202
	v_add_f32_e32 v211, v145, v146
	ds_read2_b64 v[145:148], v88 offset0:85 offset1:86
	v_fma_f32 v90, v139, v201, -v90
	v_add_f32_e32 v89, v89, v90
	s_waitcnt vmcnt(6) lgkmcnt(1)
	v_mul_f32_e32 v90, v142, v204
	v_mul_f32_e32 v212, v141, v204
	v_fma_f32 v90, v141, v203, -v90
	v_fmac_f32_e32 v212, v142, v203
	v_add_f32_e32 v89, v89, v90
	s_waitcnt vmcnt(4)
	v_mul_f32_e32 v90, v144, v206
	v_add_f32_e32 v88, v211, v212
	v_mul_f32_e32 v211, v143, v206
	v_fma_f32 v90, v143, v205, -v90
	v_fmac_f32_e32 v211, v144, v205
	v_add_f32_e32 v89, v89, v90
	s_waitcnt vmcnt(2) lgkmcnt(0)
	v_mul_f32_e32 v90, v146, v208
	v_add_f32_e32 v88, v88, v211
	v_mul_f32_e32 v211, v145, v208
	v_fma_f32 v90, v145, v207, -v90
	v_fmac_f32_e32 v211, v146, v207
	v_add_f32_e32 v89, v89, v90
	s_waitcnt vmcnt(0)
	v_mul_f32_e32 v90, v148, v210
	v_add_f32_e32 v88, v88, v211
	v_mul_f32_e32 v211, v147, v210
	v_fma_f32 v90, v147, v209, -v90
	v_fmac_f32_e32 v211, v148, v209
	v_add_f32_e32 v89, v89, v90
	v_add_f32_e32 v88, v88, v211
	v_sub_f32_e32 v89, v173, v89
	v_sub_f32_e32 v88, v174, v88
	buffer_store_dword v89, off, s[0:3], 0 offset:96
	buffer_store_dword v88, off, s[0:3], 0 offset:100
	s_and_saveexec_b64 s[4:5], vcc
	s_cbranch_execz .LBB42_249
; %bb.248:
	buffer_load_dword v88, off, s[0:3], 0 offset:88
	buffer_load_dword v89, off, s[0:3], 0 offset:92
	v_mov_b32_e32 v90, 0
	buffer_store_dword v90, off, s[0:3], 0 offset:88
	buffer_store_dword v90, off, s[0:3], 0 offset:92
	s_waitcnt vmcnt(2)
	ds_write_b64 v87, v[88:89]
.LBB42_249:
	s_or_b64 exec, exec, s[4:5]
	s_waitcnt lgkmcnt(0)
	; wave barrier
	buffer_load_dword v151, off, s[0:3], 0 offset:100
	buffer_load_dword v152, off, s[0:3], 0 offset:108
	;; [unrolled: 1-line block ×56, first 2 shown]
	v_mov_b32_e32 v88, 0
	ds_read_b128 v[89:92], v88 offset:448
	buffer_load_dword v207, off, s[0:3], 0 offset:312
	buffer_load_dword v208, off, s[0:3], 0 offset:316
	;; [unrolled: 1-line block ×4, first 2 shown]
	ds_read_b128 v[93:96], v88 offset:464
	ds_read_b128 v[97:100], v88 offset:480
	;; [unrolled: 1-line block ×3, first 2 shown]
	v_cmp_lt_u32_e32 vcc, 10, v0
	s_waitcnt vmcnt(59) lgkmcnt(3)
	v_mul_f32_e32 v105, v89, v151
	s_waitcnt vmcnt(58)
	v_mul_f32_e32 v106, v91, v152
	s_waitcnt vmcnt(57) lgkmcnt(2)
	v_mul_f32_e32 v107, v93, v153
	s_waitcnt vmcnt(56)
	v_mul_f32_e32 v108, v95, v154
	s_waitcnt vmcnt(55) lgkmcnt(1)
	v_mul_f32_e32 v109, v97, v155
	s_waitcnt vmcnt(54)
	v_mul_f32_e32 v110, v99, v156
	s_waitcnt vmcnt(53) lgkmcnt(0)
	v_mul_f32_e32 v111, v101, v157
	s_waitcnt vmcnt(52)
	v_mul_f32_e32 v112, v103, v158
	s_waitcnt vmcnt(51)
	v_fmac_f32_e32 v105, v90, v159
	s_waitcnt vmcnt(50)
	v_fmac_f32_e32 v106, v92, v160
	v_add_f32_e32 v105, 0, v105
	s_waitcnt vmcnt(49)
	v_fmac_f32_e32 v107, v94, v161
	v_add_f32_e32 v105, v105, v106
	;; [unrolled: 3-line block ×6, first 2 shown]
	v_add_f32_e32 v109, v105, v111
	ds_read_b128 v[105:108], v88 offset:512
	buffer_load_dword v211, off, s[0:3], 0 offset:332
	buffer_load_dword v212, off, s[0:3], 0 offset:328
	;; [unrolled: 1-line block ×4, first 2 shown]
	s_waitcnt vmcnt(48)
	v_fmac_f32_e32 v112, v104, v166
	v_add_f32_e32 v113, v109, v112
	ds_read_b128 v[109:112], v88 offset:528
	s_waitcnt vmcnt(47) lgkmcnt(1)
	v_mul_f32_e32 v114, v105, v167
	v_mul_f32_e32 v90, v90, v151
	s_waitcnt vmcnt(46)
	v_fmac_f32_e32 v114, v106, v168
	v_fma_f32 v89, v89, v159, -v90
	v_mul_f32_e32 v90, v92, v152
	v_add_f32_e32 v113, v113, v114
	s_waitcnt vmcnt(45)
	v_mul_f32_e32 v114, v107, v169
	v_add_f32_e32 v89, 0, v89
	v_fma_f32 v90, v91, v160, -v90
	s_waitcnt vmcnt(44)
	v_fmac_f32_e32 v114, v108, v170
	v_add_f32_e32 v89, v89, v90
	v_mul_f32_e32 v90, v94, v153
	v_add_f32_e32 v113, v113, v114
	s_waitcnt vmcnt(42) lgkmcnt(0)
	v_mul_f32_e32 v114, v109, v172
	v_fma_f32 v90, v93, v161, -v90
	v_fmac_f32_e32 v114, v110, v171
	v_add_f32_e32 v89, v89, v90
	v_mul_f32_e32 v90, v96, v154
	v_add_f32_e32 v117, v113, v114
	ds_read_b128 v[113:116], v88 offset:544
	v_fma_f32 v90, v95, v162, -v90
	v_add_f32_e32 v89, v89, v90
	v_mul_f32_e32 v90, v98, v155
	s_waitcnt vmcnt(39)
	v_mul_f32_e32 v118, v111, v175
	v_fma_f32 v90, v97, v163, -v90
	s_waitcnt vmcnt(38)
	v_fmac_f32_e32 v118, v112, v176
	v_add_f32_e32 v89, v89, v90
	v_mul_f32_e32 v90, v100, v156
	v_add_f32_e32 v121, v117, v118
	ds_read_b128 v[117:120], v88 offset:560
	v_fma_f32 v90, v99, v164, -v90
	s_waitcnt vmcnt(36) lgkmcnt(1)
	v_mul_f32_e32 v122, v113, v178
	v_add_f32_e32 v89, v89, v90
	v_mul_f32_e32 v90, v102, v157
	v_fmac_f32_e32 v122, v114, v177
	v_fma_f32 v90, v101, v165, -v90
	v_add_f32_e32 v121, v121, v122
	s_waitcnt vmcnt(34)
	v_mul_f32_e32 v122, v115, v180
	v_add_f32_e32 v89, v89, v90
	v_mul_f32_e32 v90, v104, v158
	v_fmac_f32_e32 v122, v116, v179
	v_fma_f32 v90, v103, v166, -v90
	v_add_f32_e32 v121, v121, v122
	s_waitcnt vmcnt(32) lgkmcnt(0)
	v_mul_f32_e32 v122, v117, v182
	v_add_f32_e32 v89, v89, v90
	v_mul_f32_e32 v90, v106, v167
	v_fmac_f32_e32 v122, v118, v181
	v_fma_f32 v90, v105, v168, -v90
	v_add_f32_e32 v125, v121, v122
	ds_read_b128 v[121:124], v88 offset:576
	v_add_f32_e32 v89, v89, v90
	v_mul_f32_e32 v90, v108, v169
	v_fma_f32 v90, v107, v170, -v90
	s_waitcnt vmcnt(30)
	v_mul_f32_e32 v126, v119, v184
	v_add_f32_e32 v89, v89, v90
	v_mul_f32_e32 v90, v110, v172
	v_fmac_f32_e32 v126, v120, v183
	v_fma_f32 v90, v109, v171, -v90
	v_add_f32_e32 v129, v125, v126
	ds_read_b128 v[125:128], v88 offset:592
	v_add_f32_e32 v89, v89, v90
	v_mul_f32_e32 v90, v112, v175
	s_waitcnt vmcnt(28) lgkmcnt(1)
	v_mul_f32_e32 v130, v121, v186
	v_fma_f32 v90, v111, v176, -v90
	v_fmac_f32_e32 v130, v122, v185
	v_add_f32_e32 v89, v89, v90
	v_mul_f32_e32 v90, v114, v178
	v_add_f32_e32 v129, v129, v130
	s_waitcnt vmcnt(26)
	v_mul_f32_e32 v130, v123, v188
	v_fma_f32 v90, v113, v177, -v90
	v_fmac_f32_e32 v130, v124, v187
	v_add_f32_e32 v89, v89, v90
	v_mul_f32_e32 v90, v116, v180
	v_add_f32_e32 v129, v129, v130
	s_waitcnt vmcnt(24) lgkmcnt(0)
	v_mul_f32_e32 v130, v125, v190
	v_fma_f32 v90, v115, v179, -v90
	v_fmac_f32_e32 v130, v126, v189
	v_add_f32_e32 v89, v89, v90
	v_mul_f32_e32 v90, v118, v182
	v_add_f32_e32 v133, v129, v130
	ds_read_b128 v[129:132], v88 offset:608
	v_fma_f32 v90, v117, v181, -v90
	v_add_f32_e32 v89, v89, v90
	v_mul_f32_e32 v90, v120, v184
	s_waitcnt vmcnt(22)
	v_mul_f32_e32 v134, v127, v192
	v_fma_f32 v90, v119, v183, -v90
	v_fmac_f32_e32 v134, v128, v191
	v_add_f32_e32 v89, v89, v90
	v_mul_f32_e32 v90, v122, v186
	v_add_f32_e32 v137, v133, v134
	ds_read_b128 v[133:136], v88 offset:624
	v_fma_f32 v90, v121, v185, -v90
	s_waitcnt vmcnt(20) lgkmcnt(1)
	v_mul_f32_e32 v138, v129, v194
	v_add_f32_e32 v89, v89, v90
	v_mul_f32_e32 v90, v124, v188
	v_fmac_f32_e32 v138, v130, v193
	v_fma_f32 v90, v123, v187, -v90
	v_add_f32_e32 v137, v137, v138
	s_waitcnt vmcnt(18)
	v_mul_f32_e32 v138, v131, v196
	v_add_f32_e32 v89, v89, v90
	v_mul_f32_e32 v90, v126, v190
	v_fmac_f32_e32 v138, v132, v195
	v_fma_f32 v90, v125, v189, -v90
	v_add_f32_e32 v137, v137, v138
	s_waitcnt vmcnt(16) lgkmcnt(0)
	v_mul_f32_e32 v138, v133, v198
	v_add_f32_e32 v89, v89, v90
	v_mul_f32_e32 v90, v128, v192
	v_fmac_f32_e32 v138, v134, v197
	v_fma_f32 v90, v127, v191, -v90
	v_add_f32_e32 v141, v137, v138
	ds_read_b128 v[137:140], v88 offset:640
	v_add_f32_e32 v89, v89, v90
	v_mul_f32_e32 v90, v130, v194
	v_fma_f32 v90, v129, v193, -v90
	s_waitcnt vmcnt(14)
	v_mul_f32_e32 v142, v135, v200
	v_add_f32_e32 v89, v89, v90
	v_mul_f32_e32 v90, v132, v196
	v_fmac_f32_e32 v142, v136, v199
	v_fma_f32 v90, v131, v195, -v90
	v_add_f32_e32 v145, v141, v142
	ds_read_b128 v[141:144], v88 offset:656
	v_add_f32_e32 v89, v89, v90
	v_mul_f32_e32 v90, v134, v198
	s_waitcnt vmcnt(12) lgkmcnt(1)
	v_mul_f32_e32 v146, v137, v202
	v_fma_f32 v90, v133, v197, -v90
	v_fmac_f32_e32 v146, v138, v201
	v_add_f32_e32 v89, v89, v90
	v_mul_f32_e32 v90, v136, v200
	v_add_f32_e32 v145, v145, v146
	s_waitcnt vmcnt(10)
	v_mul_f32_e32 v146, v139, v204
	v_fma_f32 v90, v135, v199, -v90
	v_fmac_f32_e32 v146, v140, v203
	v_add_f32_e32 v89, v89, v90
	v_mul_f32_e32 v90, v138, v202
	v_add_f32_e32 v145, v145, v146
	s_waitcnt vmcnt(8) lgkmcnt(0)
	v_mul_f32_e32 v146, v141, v206
	v_fma_f32 v90, v137, v201, -v90
	v_fmac_f32_e32 v146, v142, v205
	v_add_f32_e32 v89, v89, v90
	v_mul_f32_e32 v90, v140, v204
	v_add_f32_e32 v149, v145, v146
	ds_read_b128 v[145:148], v88 offset:672
	v_fma_f32 v90, v139, v203, -v90
	v_add_f32_e32 v89, v89, v90
	v_mul_f32_e32 v90, v142, v206
	s_waitcnt vmcnt(6)
	v_mul_f32_e32 v150, v143, v208
	v_fma_f32 v90, v141, v205, -v90
	v_fmac_f32_e32 v150, v144, v207
	v_add_f32_e32 v89, v89, v90
	v_mul_f32_e32 v90, v144, v208
	v_add_f32_e32 v215, v149, v150
	ds_read_b64 v[149:150], v88 offset:688
	v_fma_f32 v90, v143, v207, -v90
	v_add_f32_e32 v89, v89, v90
	s_waitcnt vmcnt(4) lgkmcnt(1)
	v_mul_f32_e32 v90, v146, v210
	v_mul_f32_e32 v216, v145, v210
	v_fma_f32 v90, v145, v209, -v90
	v_fmac_f32_e32 v216, v146, v209
	v_add_f32_e32 v89, v89, v90
	s_waitcnt vmcnt(3)
	v_mul_f32_e32 v90, v148, v211
	v_add_f32_e32 v215, v215, v216
	v_mul_f32_e32 v216, v147, v211
	s_waitcnt vmcnt(2)
	v_fma_f32 v90, v147, v212, -v90
	v_fmac_f32_e32 v216, v148, v212
	v_add_f32_e32 v89, v89, v90
	s_waitcnt vmcnt(0) lgkmcnt(0)
	v_mul_f32_e32 v90, v150, v214
	v_add_f32_e32 v215, v215, v216
	v_mul_f32_e32 v216, v149, v214
	v_fma_f32 v90, v149, v213, -v90
	v_fmac_f32_e32 v216, v150, v213
	v_add_f32_e32 v89, v89, v90
	v_add_f32_e32 v215, v215, v216
	v_sub_f32_e32 v89, v173, v89
	v_sub_f32_e32 v90, v174, v215
	buffer_store_dword v89, off, s[0:3], 0 offset:88
	buffer_store_dword v90, off, s[0:3], 0 offset:92
	s_and_saveexec_b64 s[4:5], vcc
	s_cbranch_execz .LBB42_251
; %bb.250:
	buffer_load_dword v89, off, s[0:3], 0 offset:80
	buffer_load_dword v90, off, s[0:3], 0 offset:84
	s_waitcnt vmcnt(0)
	ds_write_b64 v87, v[89:90]
	buffer_store_dword v88, off, s[0:3], 0 offset:80
	buffer_store_dword v88, off, s[0:3], 0 offset:84
.LBB42_251:
	s_or_b64 exec, exec, s[4:5]
	s_waitcnt lgkmcnt(0)
	; wave barrier
	buffer_load_dword v153, off, s[0:3], 0 offset:92
	buffer_load_dword v154, off, s[0:3], 0 offset:100
	buffer_load_dword v155, off, s[0:3], 0 offset:108
	buffer_load_dword v156, off, s[0:3], 0 offset:116
	buffer_load_dword v157, off, s[0:3], 0 offset:124
	buffer_load_dword v158, off, s[0:3], 0 offset:132
	buffer_load_dword v159, off, s[0:3], 0 offset:140
	buffer_load_dword v160, off, s[0:3], 0 offset:148
	buffer_load_dword v161, off, s[0:3], 0 offset:88
	buffer_load_dword v162, off, s[0:3], 0 offset:96
	buffer_load_dword v163, off, s[0:3], 0 offset:104
	buffer_load_dword v164, off, s[0:3], 0 offset:112
	buffer_load_dword v165, off, s[0:3], 0 offset:120
	buffer_load_dword v166, off, s[0:3], 0 offset:128
	buffer_load_dword v167, off, s[0:3], 0 offset:136
	buffer_load_dword v168, off, s[0:3], 0 offset:144
	buffer_load_dword v169, off, s[0:3], 0 offset:156
	buffer_load_dword v170, off, s[0:3], 0 offset:152
	buffer_load_dword v171, off, s[0:3], 0 offset:160
	buffer_load_dword v172, off, s[0:3], 0 offset:164
	buffer_load_dword v173, off, s[0:3], 0 offset:80
	buffer_load_dword v174, off, s[0:3], 0 offset:84
	buffer_load_dword v175, off, s[0:3], 0 offset:172
	buffer_load_dword v176, off, s[0:3], 0 offset:168
	buffer_load_dword v177, off, s[0:3], 0 offset:176
	buffer_load_dword v178, off, s[0:3], 0 offset:180
	ds_read2_b64 v[89:92], v88 offset0:55 offset1:56
	ds_read2_b64 v[93:96], v88 offset0:57 offset1:58
	;; [unrolled: 1-line block ×4, first 2 shown]
	buffer_load_dword v179, off, s[0:3], 0 offset:188
	buffer_load_dword v180, off, s[0:3], 0 offset:184
	;; [unrolled: 1-line block ×34, first 2 shown]
	v_cmp_lt_u32_e32 vcc, 9, v0
	s_waitcnt vmcnt(59) lgkmcnt(3)
	v_mul_f32_e32 v105, v89, v153
	s_waitcnt vmcnt(58)
	v_mul_f32_e32 v106, v91, v154
	s_waitcnt vmcnt(57) lgkmcnt(2)
	v_mul_f32_e32 v107, v93, v155
	s_waitcnt vmcnt(56)
	v_mul_f32_e32 v108, v95, v156
	;; [unrolled: 4-line block ×4, first 2 shown]
	s_waitcnt vmcnt(51)
	v_fmac_f32_e32 v105, v90, v161
	s_waitcnt vmcnt(50)
	v_fmac_f32_e32 v106, v92, v162
	v_add_f32_e32 v105, 0, v105
	s_waitcnt vmcnt(49)
	v_fmac_f32_e32 v107, v94, v163
	v_add_f32_e32 v105, v105, v106
	;; [unrolled: 3-line block ×7, first 2 shown]
	v_add_f32_e32 v113, v105, v112
	ds_read2_b64 v[105:108], v88 offset0:63 offset1:64
	buffer_load_dword v213, off, s[0:3], 0 offset:324
	buffer_load_dword v214, off, s[0:3], 0 offset:320
	;; [unrolled: 1-line block ×4, first 2 shown]
	ds_read2_b64 v[109:112], v88 offset0:65 offset1:66
	buffer_load_dword v217, off, s[0:3], 0 offset:336
	buffer_load_dword v218, off, s[0:3], 0 offset:340
	v_mul_f32_e32 v90, v90, v153
	s_waitcnt vmcnt(49) lgkmcnt(1)
	v_mul_f32_e32 v114, v105, v169
	s_waitcnt vmcnt(48)
	v_fmac_f32_e32 v114, v106, v170
	v_fma_f32 v89, v89, v161, -v90
	v_mul_f32_e32 v90, v92, v154
	v_add_f32_e32 v113, v113, v114
	s_waitcnt vmcnt(46)
	v_mul_f32_e32 v114, v107, v172
	v_add_f32_e32 v89, 0, v89
	v_fma_f32 v90, v91, v162, -v90
	v_fmac_f32_e32 v114, v108, v171
	v_add_f32_e32 v89, v89, v90
	v_mul_f32_e32 v90, v94, v155
	v_add_f32_e32 v113, v113, v114
	s_waitcnt vmcnt(43) lgkmcnt(0)
	v_mul_f32_e32 v114, v109, v175
	v_fma_f32 v90, v93, v163, -v90
	s_waitcnt vmcnt(42)
	v_fmac_f32_e32 v114, v110, v176
	v_add_f32_e32 v89, v89, v90
	v_mul_f32_e32 v90, v96, v156
	v_add_f32_e32 v117, v113, v114
	ds_read2_b64 v[113:116], v88 offset0:67 offset1:68
	v_fma_f32 v90, v95, v164, -v90
	v_add_f32_e32 v89, v89, v90
	v_mul_f32_e32 v90, v98, v157
	s_waitcnt vmcnt(40)
	v_mul_f32_e32 v118, v111, v178
	v_fma_f32 v90, v97, v165, -v90
	v_fmac_f32_e32 v118, v112, v177
	v_add_f32_e32 v89, v89, v90
	v_mul_f32_e32 v90, v100, v158
	v_add_f32_e32 v121, v117, v118
	ds_read2_b64 v[117:120], v88 offset0:69 offset1:70
	v_fma_f32 v90, v99, v166, -v90
	s_waitcnt vmcnt(39) lgkmcnt(1)
	v_mul_f32_e32 v122, v113, v179
	v_add_f32_e32 v89, v89, v90
	v_mul_f32_e32 v90, v102, v159
	s_waitcnt vmcnt(38)
	v_fmac_f32_e32 v122, v114, v180
	v_fma_f32 v90, v101, v167, -v90
	v_add_f32_e32 v121, v121, v122
	s_waitcnt vmcnt(36)
	v_mul_f32_e32 v122, v115, v182
	v_add_f32_e32 v89, v89, v90
	v_mul_f32_e32 v90, v104, v160
	v_fmac_f32_e32 v122, v116, v181
	v_fma_f32 v90, v103, v168, -v90
	v_add_f32_e32 v121, v121, v122
	s_waitcnt vmcnt(34) lgkmcnt(0)
	v_mul_f32_e32 v122, v117, v184
	v_add_f32_e32 v89, v89, v90
	v_mul_f32_e32 v90, v106, v169
	v_fmac_f32_e32 v122, v118, v183
	v_fma_f32 v90, v105, v170, -v90
	v_add_f32_e32 v125, v121, v122
	ds_read2_b64 v[121:124], v88 offset0:71 offset1:72
	v_add_f32_e32 v89, v89, v90
	v_mul_f32_e32 v90, v108, v172
	v_fma_f32 v90, v107, v171, -v90
	s_waitcnt vmcnt(32)
	v_mul_f32_e32 v126, v119, v186
	v_add_f32_e32 v89, v89, v90
	v_mul_f32_e32 v90, v110, v175
	v_fmac_f32_e32 v126, v120, v185
	v_fma_f32 v90, v109, v176, -v90
	v_add_f32_e32 v129, v125, v126
	ds_read2_b64 v[125:128], v88 offset0:73 offset1:74
	v_add_f32_e32 v89, v89, v90
	v_mul_f32_e32 v90, v112, v178
	s_waitcnt vmcnt(30) lgkmcnt(1)
	v_mul_f32_e32 v130, v121, v188
	v_fma_f32 v90, v111, v177, -v90
	v_fmac_f32_e32 v130, v122, v187
	v_add_f32_e32 v89, v89, v90
	v_mul_f32_e32 v90, v114, v179
	v_add_f32_e32 v129, v129, v130
	s_waitcnt vmcnt(28)
	v_mul_f32_e32 v130, v123, v190
	v_fma_f32 v90, v113, v180, -v90
	v_fmac_f32_e32 v130, v124, v189
	v_add_f32_e32 v89, v89, v90
	v_mul_f32_e32 v90, v116, v182
	v_add_f32_e32 v129, v129, v130
	s_waitcnt vmcnt(26) lgkmcnt(0)
	v_mul_f32_e32 v130, v125, v192
	v_fma_f32 v90, v115, v181, -v90
	v_fmac_f32_e32 v130, v126, v191
	v_add_f32_e32 v89, v89, v90
	v_mul_f32_e32 v90, v118, v184
	v_add_f32_e32 v133, v129, v130
	ds_read2_b64 v[129:132], v88 offset0:75 offset1:76
	v_fma_f32 v90, v117, v183, -v90
	v_add_f32_e32 v89, v89, v90
	v_mul_f32_e32 v90, v120, v186
	s_waitcnt vmcnt(24)
	v_mul_f32_e32 v134, v127, v194
	v_fma_f32 v90, v119, v185, -v90
	v_fmac_f32_e32 v134, v128, v193
	v_add_f32_e32 v89, v89, v90
	v_mul_f32_e32 v90, v122, v188
	v_add_f32_e32 v137, v133, v134
	ds_read2_b64 v[133:136], v88 offset0:77 offset1:78
	v_fma_f32 v90, v121, v187, -v90
	s_waitcnt vmcnt(22) lgkmcnt(1)
	v_mul_f32_e32 v138, v129, v196
	v_add_f32_e32 v89, v89, v90
	v_mul_f32_e32 v90, v124, v190
	v_fmac_f32_e32 v138, v130, v195
	v_fma_f32 v90, v123, v189, -v90
	v_add_f32_e32 v137, v137, v138
	s_waitcnt vmcnt(20)
	v_mul_f32_e32 v138, v131, v198
	v_add_f32_e32 v89, v89, v90
	v_mul_f32_e32 v90, v126, v192
	v_fmac_f32_e32 v138, v132, v197
	v_fma_f32 v90, v125, v191, -v90
	v_add_f32_e32 v137, v137, v138
	s_waitcnt vmcnt(18) lgkmcnt(0)
	v_mul_f32_e32 v138, v133, v200
	v_add_f32_e32 v89, v89, v90
	v_mul_f32_e32 v90, v128, v194
	v_fmac_f32_e32 v138, v134, v199
	v_fma_f32 v90, v127, v193, -v90
	v_add_f32_e32 v141, v137, v138
	ds_read2_b64 v[137:140], v88 offset0:79 offset1:80
	v_add_f32_e32 v89, v89, v90
	v_mul_f32_e32 v90, v130, v196
	v_fma_f32 v90, v129, v195, -v90
	s_waitcnt vmcnt(16)
	v_mul_f32_e32 v142, v135, v202
	v_add_f32_e32 v89, v89, v90
	v_mul_f32_e32 v90, v132, v198
	v_fmac_f32_e32 v142, v136, v201
	v_fma_f32 v90, v131, v197, -v90
	v_add_f32_e32 v145, v141, v142
	ds_read2_b64 v[141:144], v88 offset0:81 offset1:82
	v_add_f32_e32 v89, v89, v90
	v_mul_f32_e32 v90, v134, v200
	s_waitcnt vmcnt(14) lgkmcnt(1)
	v_mul_f32_e32 v146, v137, v204
	v_fma_f32 v90, v133, v199, -v90
	v_fmac_f32_e32 v146, v138, v203
	v_add_f32_e32 v89, v89, v90
	v_mul_f32_e32 v90, v136, v202
	v_add_f32_e32 v145, v145, v146
	s_waitcnt vmcnt(12)
	v_mul_f32_e32 v146, v139, v206
	v_fma_f32 v90, v135, v201, -v90
	v_fmac_f32_e32 v146, v140, v205
	v_add_f32_e32 v89, v89, v90
	v_mul_f32_e32 v90, v138, v204
	v_add_f32_e32 v145, v145, v146
	s_waitcnt vmcnt(10) lgkmcnt(0)
	v_mul_f32_e32 v146, v141, v208
	v_fma_f32 v90, v137, v203, -v90
	v_fmac_f32_e32 v146, v142, v207
	v_add_f32_e32 v89, v89, v90
	v_mul_f32_e32 v90, v140, v206
	v_add_f32_e32 v149, v145, v146
	ds_read2_b64 v[145:148], v88 offset0:83 offset1:84
	v_fma_f32 v90, v139, v205, -v90
	v_add_f32_e32 v89, v89, v90
	v_mul_f32_e32 v90, v142, v208
	s_waitcnt vmcnt(8)
	v_mul_f32_e32 v150, v143, v210
	v_fma_f32 v90, v141, v207, -v90
	v_fmac_f32_e32 v150, v144, v209
	v_add_f32_e32 v89, v89, v90
	v_mul_f32_e32 v90, v144, v210
	v_add_f32_e32 v219, v149, v150
	ds_read2_b64 v[149:152], v88 offset0:85 offset1:86
	v_fma_f32 v90, v143, v209, -v90
	v_add_f32_e32 v89, v89, v90
	s_waitcnt vmcnt(6) lgkmcnt(1)
	v_mul_f32_e32 v90, v146, v212
	v_mul_f32_e32 v88, v145, v212
	v_fma_f32 v90, v145, v211, -v90
	v_fmac_f32_e32 v88, v146, v211
	v_add_f32_e32 v89, v89, v90
	s_waitcnt vmcnt(5)
	v_mul_f32_e32 v90, v148, v213
	v_add_f32_e32 v88, v219, v88
	v_mul_f32_e32 v219, v147, v213
	s_waitcnt vmcnt(4)
	v_fma_f32 v90, v147, v214, -v90
	v_fmac_f32_e32 v219, v148, v214
	v_add_f32_e32 v89, v89, v90
	s_waitcnt vmcnt(2) lgkmcnt(0)
	v_mul_f32_e32 v90, v150, v216
	v_add_f32_e32 v88, v88, v219
	v_mul_f32_e32 v219, v149, v216
	v_fma_f32 v90, v149, v215, -v90
	v_fmac_f32_e32 v219, v150, v215
	v_add_f32_e32 v89, v89, v90
	s_waitcnt vmcnt(0)
	v_mul_f32_e32 v90, v152, v218
	v_add_f32_e32 v88, v88, v219
	v_mul_f32_e32 v219, v151, v218
	v_fma_f32 v90, v151, v217, -v90
	v_fmac_f32_e32 v219, v152, v217
	v_add_f32_e32 v89, v89, v90
	v_add_f32_e32 v88, v88, v219
	v_sub_f32_e32 v89, v173, v89
	v_sub_f32_e32 v88, v174, v88
	buffer_store_dword v89, off, s[0:3], 0 offset:80
	buffer_store_dword v88, off, s[0:3], 0 offset:84
	s_and_saveexec_b64 s[4:5], vcc
	s_cbranch_execz .LBB42_253
; %bb.252:
	buffer_load_dword v88, off, s[0:3], 0 offset:72
	buffer_load_dword v89, off, s[0:3], 0 offset:76
	v_mov_b32_e32 v90, 0
	buffer_store_dword v90, off, s[0:3], 0 offset:72
	buffer_store_dword v90, off, s[0:3], 0 offset:76
	s_waitcnt vmcnt(2)
	ds_write_b64 v87, v[88:89]
.LBB42_253:
	s_or_b64 exec, exec, s[4:5]
	s_waitcnt lgkmcnt(0)
	; wave barrier
	buffer_load_dword v155, off, s[0:3], 0 offset:84
	buffer_load_dword v156, off, s[0:3], 0 offset:92
	;; [unrolled: 1-line block ×58, first 2 shown]
	v_mov_b32_e32 v88, 0
	ds_read_b128 v[89:92], v88 offset:432
	ds_read_b128 v[93:96], v88 offset:448
	;; [unrolled: 1-line block ×5, first 2 shown]
	buffer_load_dword v213, off, s[0:3], 0 offset:304
	buffer_load_dword v214, off, s[0:3], 0 offset:308
	v_cmp_lt_u32_e32 vcc, 8, v0
	s_waitcnt vmcnt(59) lgkmcnt(4)
	v_mul_f32_e32 v109, v89, v155
	s_waitcnt vmcnt(58)
	v_mul_f32_e32 v110, v91, v156
	s_waitcnt vmcnt(57) lgkmcnt(3)
	v_mul_f32_e32 v111, v93, v157
	s_waitcnt vmcnt(56)
	v_mul_f32_e32 v112, v95, v158
	;; [unrolled: 4-line block ×4, first 2 shown]
	s_waitcnt vmcnt(51)
	v_fmac_f32_e32 v109, v90, v163
	s_waitcnt vmcnt(50)
	v_fmac_f32_e32 v110, v92, v164
	v_add_f32_e32 v109, 0, v109
	s_waitcnt vmcnt(49)
	v_fmac_f32_e32 v111, v94, v165
	v_add_f32_e32 v109, v109, v110
	s_waitcnt vmcnt(48)
	v_fmac_f32_e32 v112, v96, v166
	v_add_f32_e32 v109, v109, v111
	s_waitcnt vmcnt(47)
	v_fmac_f32_e32 v113, v98, v167
	v_add_f32_e32 v109, v109, v112
	s_waitcnt vmcnt(46)
	v_fmac_f32_e32 v114, v100, v168
	v_add_f32_e32 v109, v109, v113
	s_waitcnt vmcnt(45)
	v_fmac_f32_e32 v115, v102, v169
	v_add_f32_e32 v109, v109, v114
	s_waitcnt vmcnt(44)
	v_fmac_f32_e32 v116, v104, v170
	v_add_f32_e32 v109, v109, v115
	v_add_f32_e32 v113, v109, v116
	ds_read_b128 v[109:112], v88 offset:512
	buffer_load_dword v215, off, s[0:3], 0 offset:316
	buffer_load_dword v216, off, s[0:3], 0 offset:312
	;; [unrolled: 1-line block ×8, first 2 shown]
	s_waitcnt vmcnt(51) lgkmcnt(1)
	v_mul_f32_e32 v114, v105, v171
	s_waitcnt vmcnt(50)
	v_fmac_f32_e32 v114, v106, v172
	v_mul_f32_e32 v90, v90, v155
	v_add_f32_e32 v113, v113, v114
	s_waitcnt vmcnt(49)
	v_mul_f32_e32 v114, v107, v173
	v_fma_f32 v89, v89, v163, -v90
	v_mul_f32_e32 v90, v92, v156
	s_waitcnt vmcnt(46)
	v_fmac_f32_e32 v114, v108, v176
	v_add_f32_e32 v89, 0, v89
	v_fma_f32 v90, v91, v164, -v90
	v_add_f32_e32 v113, v113, v114
	s_waitcnt vmcnt(44) lgkmcnt(0)
	v_mul_f32_e32 v114, v109, v178
	v_add_f32_e32 v89, v89, v90
	v_mul_f32_e32 v90, v94, v157
	v_fmac_f32_e32 v114, v110, v177
	v_fma_f32 v90, v93, v165, -v90
	v_add_f32_e32 v117, v113, v114
	ds_read_b128 v[113:116], v88 offset:528
	v_add_f32_e32 v89, v89, v90
	v_mul_f32_e32 v90, v96, v158
	v_fma_f32 v90, v95, v166, -v90
	s_waitcnt vmcnt(42)
	v_mul_f32_e32 v118, v111, v180
	v_add_f32_e32 v89, v89, v90
	v_mul_f32_e32 v90, v98, v159
	v_fmac_f32_e32 v118, v112, v179
	v_fma_f32 v90, v97, v167, -v90
	v_add_f32_e32 v121, v117, v118
	ds_read_b128 v[117:120], v88 offset:544
	v_add_f32_e32 v89, v89, v90
	v_mul_f32_e32 v90, v100, v160
	s_waitcnt vmcnt(40) lgkmcnt(1)
	v_mul_f32_e32 v122, v113, v182
	v_fma_f32 v90, v99, v168, -v90
	v_fmac_f32_e32 v122, v114, v181
	v_add_f32_e32 v89, v89, v90
	v_mul_f32_e32 v90, v102, v161
	v_add_f32_e32 v121, v121, v122
	s_waitcnt vmcnt(38)
	v_mul_f32_e32 v122, v115, v184
	v_fma_f32 v90, v101, v169, -v90
	v_fmac_f32_e32 v122, v116, v183
	v_add_f32_e32 v89, v89, v90
	v_mul_f32_e32 v90, v104, v162
	v_add_f32_e32 v121, v121, v122
	s_waitcnt vmcnt(36) lgkmcnt(0)
	v_mul_f32_e32 v122, v117, v186
	v_fma_f32 v90, v103, v170, -v90
	v_fmac_f32_e32 v122, v118, v185
	v_add_f32_e32 v89, v89, v90
	v_mul_f32_e32 v90, v106, v171
	v_add_f32_e32 v125, v121, v122
	ds_read_b128 v[121:124], v88 offset:560
	v_fma_f32 v90, v105, v172, -v90
	v_add_f32_e32 v89, v89, v90
	v_mul_f32_e32 v90, v108, v173
	s_waitcnt vmcnt(34)
	v_mul_f32_e32 v126, v119, v188
	v_fma_f32 v90, v107, v176, -v90
	v_fmac_f32_e32 v126, v120, v187
	v_add_f32_e32 v89, v89, v90
	v_mul_f32_e32 v90, v110, v178
	v_add_f32_e32 v129, v125, v126
	ds_read_b128 v[125:128], v88 offset:576
	v_fma_f32 v90, v109, v177, -v90
	s_waitcnt vmcnt(32) lgkmcnt(1)
	v_mul_f32_e32 v130, v121, v190
	v_add_f32_e32 v89, v89, v90
	v_mul_f32_e32 v90, v112, v180
	v_fmac_f32_e32 v130, v122, v189
	v_fma_f32 v90, v111, v179, -v90
	v_add_f32_e32 v129, v129, v130
	s_waitcnt vmcnt(30)
	v_mul_f32_e32 v130, v123, v192
	v_add_f32_e32 v89, v89, v90
	v_mul_f32_e32 v90, v114, v182
	v_fmac_f32_e32 v130, v124, v191
	v_fma_f32 v90, v113, v181, -v90
	v_add_f32_e32 v129, v129, v130
	s_waitcnt vmcnt(28) lgkmcnt(0)
	v_mul_f32_e32 v130, v125, v194
	v_add_f32_e32 v89, v89, v90
	v_mul_f32_e32 v90, v116, v184
	v_fmac_f32_e32 v130, v126, v193
	v_fma_f32 v90, v115, v183, -v90
	v_add_f32_e32 v133, v129, v130
	ds_read_b128 v[129:132], v88 offset:592
	v_add_f32_e32 v89, v89, v90
	v_mul_f32_e32 v90, v118, v186
	v_fma_f32 v90, v117, v185, -v90
	s_waitcnt vmcnt(26)
	v_mul_f32_e32 v134, v127, v196
	v_add_f32_e32 v89, v89, v90
	v_mul_f32_e32 v90, v120, v188
	v_fmac_f32_e32 v134, v128, v195
	v_fma_f32 v90, v119, v187, -v90
	v_add_f32_e32 v137, v133, v134
	ds_read_b128 v[133:136], v88 offset:608
	v_add_f32_e32 v89, v89, v90
	v_mul_f32_e32 v90, v122, v190
	s_waitcnt vmcnt(24) lgkmcnt(1)
	v_mul_f32_e32 v138, v129, v198
	v_fma_f32 v90, v121, v189, -v90
	v_fmac_f32_e32 v138, v130, v197
	v_add_f32_e32 v89, v89, v90
	v_mul_f32_e32 v90, v124, v192
	v_add_f32_e32 v137, v137, v138
	s_waitcnt vmcnt(22)
	v_mul_f32_e32 v138, v131, v200
	v_fma_f32 v90, v123, v191, -v90
	v_fmac_f32_e32 v138, v132, v199
	v_add_f32_e32 v89, v89, v90
	v_mul_f32_e32 v90, v126, v194
	v_add_f32_e32 v137, v137, v138
	s_waitcnt vmcnt(20) lgkmcnt(0)
	v_mul_f32_e32 v138, v133, v202
	v_fma_f32 v90, v125, v193, -v90
	v_fmac_f32_e32 v138, v134, v201
	v_add_f32_e32 v89, v89, v90
	v_mul_f32_e32 v90, v128, v196
	v_add_f32_e32 v141, v137, v138
	ds_read_b128 v[137:140], v88 offset:624
	v_fma_f32 v90, v127, v195, -v90
	v_add_f32_e32 v89, v89, v90
	v_mul_f32_e32 v90, v130, v198
	s_waitcnt vmcnt(18)
	v_mul_f32_e32 v142, v135, v204
	v_fma_f32 v90, v129, v197, -v90
	v_fmac_f32_e32 v142, v136, v203
	v_add_f32_e32 v89, v89, v90
	v_mul_f32_e32 v90, v132, v200
	v_add_f32_e32 v145, v141, v142
	ds_read_b128 v[141:144], v88 offset:640
	v_fma_f32 v90, v131, v199, -v90
	s_waitcnt vmcnt(16) lgkmcnt(1)
	v_mul_f32_e32 v146, v137, v206
	v_add_f32_e32 v89, v89, v90
	v_mul_f32_e32 v90, v134, v202
	v_fmac_f32_e32 v146, v138, v205
	v_fma_f32 v90, v133, v201, -v90
	v_add_f32_e32 v145, v145, v146
	s_waitcnt vmcnt(14)
	v_mul_f32_e32 v146, v139, v208
	v_add_f32_e32 v89, v89, v90
	v_mul_f32_e32 v90, v136, v204
	v_fmac_f32_e32 v146, v140, v207
	v_fma_f32 v90, v135, v203, -v90
	v_add_f32_e32 v145, v145, v146
	s_waitcnt vmcnt(12) lgkmcnt(0)
	v_mul_f32_e32 v146, v141, v210
	v_add_f32_e32 v89, v89, v90
	v_mul_f32_e32 v90, v138, v206
	v_fmac_f32_e32 v146, v142, v209
	v_fma_f32 v90, v137, v205, -v90
	v_add_f32_e32 v149, v145, v146
	ds_read_b128 v[145:148], v88 offset:656
	v_add_f32_e32 v89, v89, v90
	v_mul_f32_e32 v90, v140, v208
	v_fma_f32 v90, v139, v207, -v90
	v_add_f32_e32 v89, v89, v90
	v_mul_f32_e32 v90, v142, v210
	s_waitcnt vmcnt(10)
	v_mul_f32_e32 v150, v143, v212
	v_fma_f32 v90, v141, v209, -v90
	v_fmac_f32_e32 v150, v144, v211
	v_add_f32_e32 v89, v89, v90
	v_mul_f32_e32 v90, v144, v212
	v_add_f32_e32 v153, v149, v150
	ds_read_b128 v[149:152], v88 offset:672
	s_waitcnt vmcnt(8) lgkmcnt(1)
	v_mul_f32_e32 v154, v145, v214
	v_fma_f32 v90, v143, v211, -v90
	v_fmac_f32_e32 v154, v146, v213
	v_add_f32_e32 v89, v89, v90
	v_mul_f32_e32 v90, v146, v214
	v_add_f32_e32 v153, v153, v154
	s_waitcnt vmcnt(7)
	v_mul_f32_e32 v154, v147, v215
	v_fma_f32 v90, v145, v213, -v90
	s_waitcnt vmcnt(6)
	v_fmac_f32_e32 v154, v148, v216
	v_add_f32_e32 v89, v89, v90
	v_mul_f32_e32 v90, v148, v215
	v_add_f32_e32 v223, v153, v154
	ds_read_b64 v[153:154], v88 offset:688
	v_fma_f32 v90, v147, v216, -v90
	v_add_f32_e32 v89, v89, v90
	s_waitcnt vmcnt(4) lgkmcnt(1)
	v_mul_f32_e32 v90, v150, v218
	v_mul_f32_e32 v224, v149, v218
	v_fma_f32 v90, v149, v217, -v90
	v_fmac_f32_e32 v224, v150, v217
	v_add_f32_e32 v89, v89, v90
	s_waitcnt vmcnt(3)
	v_mul_f32_e32 v90, v152, v219
	v_add_f32_e32 v223, v223, v224
	v_mul_f32_e32 v224, v151, v219
	s_waitcnt vmcnt(2)
	v_fma_f32 v90, v151, v220, -v90
	v_fmac_f32_e32 v224, v152, v220
	v_add_f32_e32 v89, v89, v90
	s_waitcnt vmcnt(0) lgkmcnt(0)
	v_mul_f32_e32 v90, v154, v222
	v_add_f32_e32 v223, v223, v224
	v_mul_f32_e32 v224, v153, v222
	v_fma_f32 v90, v153, v221, -v90
	v_fmac_f32_e32 v224, v154, v221
	v_add_f32_e32 v89, v89, v90
	v_add_f32_e32 v223, v223, v224
	v_sub_f32_e32 v89, v174, v89
	v_sub_f32_e32 v90, v175, v223
	buffer_store_dword v89, off, s[0:3], 0 offset:72
	buffer_store_dword v90, off, s[0:3], 0 offset:76
	s_and_saveexec_b64 s[4:5], vcc
	s_cbranch_execz .LBB42_255
; %bb.254:
	buffer_load_dword v89, off, s[0:3], 0 offset:64
	buffer_load_dword v90, off, s[0:3], 0 offset:68
	s_waitcnt vmcnt(0)
	ds_write_b64 v87, v[89:90]
	buffer_store_dword v88, off, s[0:3], 0 offset:64
	buffer_store_dword v88, off, s[0:3], 0 offset:68
.LBB42_255:
	s_or_b64 exec, exec, s[4:5]
	s_waitcnt lgkmcnt(0)
	; wave barrier
	buffer_load_dword v157, off, s[0:3], 0 offset:76
	buffer_load_dword v158, off, s[0:3], 0 offset:84
	;; [unrolled: 1-line block ×24, first 2 shown]
	ds_read2_b64 v[89:92], v88 offset0:53 offset1:54
	ds_read2_b64 v[93:96], v88 offset0:55 offset1:56
	;; [unrolled: 1-line block ×6, first 2 shown]
	buffer_load_dword v181, off, s[0:3], 0 offset:164
	buffer_load_dword v182, off, s[0:3], 0 offset:160
	;; [unrolled: 1-line block ×46, first 2 shown]
	v_cmp_lt_u32_e32 vcc, 7, v0
	s_waitcnt vmcnt(62) lgkmcnt(5)
	v_mul_f32_e32 v113, v89, v157
	v_mul_f32_e32 v114, v91, v158
	s_waitcnt lgkmcnt(4)
	v_mul_f32_e32 v115, v93, v159
	v_mul_f32_e32 v116, v95, v160
	s_waitcnt lgkmcnt(3)
	;; [unrolled: 3-line block ×3, first 2 shown]
	v_mul_f32_e32 v119, v101, v163
	v_mul_f32_e32 v120, v103, v164
	s_waitcnt vmcnt(61)
	v_fmac_f32_e32 v113, v90, v165
	s_waitcnt vmcnt(60)
	v_fmac_f32_e32 v114, v92, v166
	v_add_f32_e32 v113, 0, v113
	s_waitcnt vmcnt(59)
	v_fmac_f32_e32 v115, v94, v167
	v_add_f32_e32 v113, v113, v114
	;; [unrolled: 3-line block ×7, first 2 shown]
	s_waitcnt vmcnt(53) lgkmcnt(1)
	v_mul_f32_e32 v114, v105, v173
	v_add_f32_e32 v113, v113, v120
	s_waitcnt vmcnt(52)
	v_fmac_f32_e32 v114, v106, v174
	v_mul_f32_e32 v90, v90, v157
	v_add_f32_e32 v113, v113, v114
	s_waitcnt vmcnt(51)
	v_mul_f32_e32 v114, v107, v175
	v_fma_f32 v89, v89, v165, -v90
	v_mul_f32_e32 v90, v92, v158
	s_waitcnt vmcnt(50)
	v_fmac_f32_e32 v114, v108, v176
	v_add_f32_e32 v89, 0, v89
	v_fma_f32 v90, v91, v166, -v90
	v_add_f32_e32 v113, v113, v114
	s_waitcnt vmcnt(47) lgkmcnt(0)
	v_mul_f32_e32 v114, v109, v179
	v_add_f32_e32 v89, v89, v90
	v_mul_f32_e32 v90, v94, v159
	s_waitcnt vmcnt(46)
	v_fmac_f32_e32 v114, v110, v180
	v_fma_f32 v90, v93, v167, -v90
	v_add_f32_e32 v117, v113, v114
	ds_read2_b64 v[113:116], v88 offset0:65 offset1:66
	v_add_f32_e32 v89, v89, v90
	v_mul_f32_e32 v90, v96, v160
	v_fma_f32 v90, v95, v168, -v90
	s_waitcnt vmcnt(45)
	v_mul_f32_e32 v118, v111, v181
	v_add_f32_e32 v89, v89, v90
	v_mul_f32_e32 v90, v98, v161
	s_waitcnt vmcnt(44)
	v_fmac_f32_e32 v118, v112, v182
	v_fma_f32 v90, v97, v169, -v90
	v_add_f32_e32 v121, v117, v118
	ds_read2_b64 v[117:120], v88 offset0:67 offset1:68
	v_add_f32_e32 v89, v89, v90
	v_mul_f32_e32 v90, v100, v162
	s_waitcnt vmcnt(42) lgkmcnt(1)
	v_mul_f32_e32 v122, v113, v184
	v_fma_f32 v90, v99, v170, -v90
	v_fmac_f32_e32 v122, v114, v183
	v_add_f32_e32 v89, v89, v90
	v_mul_f32_e32 v90, v102, v163
	v_add_f32_e32 v121, v121, v122
	s_waitcnt vmcnt(40)
	v_mul_f32_e32 v122, v115, v186
	v_fma_f32 v90, v101, v171, -v90
	v_fmac_f32_e32 v122, v116, v185
	v_add_f32_e32 v89, v89, v90
	v_mul_f32_e32 v90, v104, v164
	v_add_f32_e32 v121, v121, v122
	s_waitcnt vmcnt(38) lgkmcnt(0)
	v_mul_f32_e32 v122, v117, v188
	v_fma_f32 v90, v103, v172, -v90
	v_fmac_f32_e32 v122, v118, v187
	v_add_f32_e32 v89, v89, v90
	v_mul_f32_e32 v90, v106, v173
	v_add_f32_e32 v125, v121, v122
	ds_read2_b64 v[121:124], v88 offset0:69 offset1:70
	v_fma_f32 v90, v105, v174, -v90
	v_add_f32_e32 v89, v89, v90
	v_mul_f32_e32 v90, v108, v175
	s_waitcnt vmcnt(36)
	v_mul_f32_e32 v126, v119, v190
	v_fma_f32 v90, v107, v176, -v90
	v_fmac_f32_e32 v126, v120, v189
	v_add_f32_e32 v89, v89, v90
	v_mul_f32_e32 v90, v110, v179
	v_add_f32_e32 v129, v125, v126
	ds_read2_b64 v[125:128], v88 offset0:71 offset1:72
	v_fma_f32 v90, v109, v180, -v90
	s_waitcnt vmcnt(34) lgkmcnt(1)
	v_mul_f32_e32 v130, v121, v192
	v_add_f32_e32 v89, v89, v90
	v_mul_f32_e32 v90, v112, v181
	v_fmac_f32_e32 v130, v122, v191
	v_fma_f32 v90, v111, v182, -v90
	v_add_f32_e32 v129, v129, v130
	s_waitcnt vmcnt(32)
	v_mul_f32_e32 v130, v123, v194
	v_add_f32_e32 v89, v89, v90
	v_mul_f32_e32 v90, v114, v184
	v_fmac_f32_e32 v130, v124, v193
	v_fma_f32 v90, v113, v183, -v90
	v_add_f32_e32 v129, v129, v130
	s_waitcnt vmcnt(30) lgkmcnt(0)
	v_mul_f32_e32 v130, v125, v196
	v_add_f32_e32 v89, v89, v90
	v_mul_f32_e32 v90, v116, v186
	v_fmac_f32_e32 v130, v126, v195
	v_fma_f32 v90, v115, v185, -v90
	v_add_f32_e32 v133, v129, v130
	ds_read2_b64 v[129:132], v88 offset0:73 offset1:74
	v_add_f32_e32 v89, v89, v90
	v_mul_f32_e32 v90, v118, v188
	v_fma_f32 v90, v117, v187, -v90
	s_waitcnt vmcnt(28)
	v_mul_f32_e32 v134, v127, v198
	v_add_f32_e32 v89, v89, v90
	v_mul_f32_e32 v90, v120, v190
	v_fmac_f32_e32 v134, v128, v197
	v_fma_f32 v90, v119, v189, -v90
	v_add_f32_e32 v137, v133, v134
	ds_read2_b64 v[133:136], v88 offset0:75 offset1:76
	v_add_f32_e32 v89, v89, v90
	v_mul_f32_e32 v90, v122, v192
	s_waitcnt vmcnt(26) lgkmcnt(1)
	v_mul_f32_e32 v138, v129, v200
	v_fma_f32 v90, v121, v191, -v90
	v_fmac_f32_e32 v138, v130, v199
	v_add_f32_e32 v89, v89, v90
	v_mul_f32_e32 v90, v124, v194
	v_add_f32_e32 v137, v137, v138
	s_waitcnt vmcnt(24)
	v_mul_f32_e32 v138, v131, v202
	v_fma_f32 v90, v123, v193, -v90
	v_fmac_f32_e32 v138, v132, v201
	v_add_f32_e32 v89, v89, v90
	v_mul_f32_e32 v90, v126, v196
	v_add_f32_e32 v137, v137, v138
	s_waitcnt vmcnt(22) lgkmcnt(0)
	v_mul_f32_e32 v138, v133, v204
	v_fma_f32 v90, v125, v195, -v90
	v_fmac_f32_e32 v138, v134, v203
	v_add_f32_e32 v89, v89, v90
	v_mul_f32_e32 v90, v128, v198
	v_add_f32_e32 v141, v137, v138
	ds_read2_b64 v[137:140], v88 offset0:77 offset1:78
	v_fma_f32 v90, v127, v197, -v90
	v_add_f32_e32 v89, v89, v90
	v_mul_f32_e32 v90, v130, v200
	s_waitcnt vmcnt(20)
	v_mul_f32_e32 v142, v135, v206
	v_fma_f32 v90, v129, v199, -v90
	v_fmac_f32_e32 v142, v136, v205
	v_add_f32_e32 v89, v89, v90
	v_mul_f32_e32 v90, v132, v202
	v_add_f32_e32 v145, v141, v142
	ds_read2_b64 v[141:144], v88 offset0:79 offset1:80
	v_fma_f32 v90, v131, v201, -v90
	s_waitcnt vmcnt(18) lgkmcnt(1)
	v_mul_f32_e32 v146, v137, v208
	v_add_f32_e32 v89, v89, v90
	v_mul_f32_e32 v90, v134, v204
	v_fmac_f32_e32 v146, v138, v207
	v_fma_f32 v90, v133, v203, -v90
	v_add_f32_e32 v145, v145, v146
	s_waitcnt vmcnt(16)
	v_mul_f32_e32 v146, v139, v210
	v_add_f32_e32 v89, v89, v90
	v_mul_f32_e32 v90, v136, v206
	v_fmac_f32_e32 v146, v140, v209
	v_fma_f32 v90, v135, v205, -v90
	v_add_f32_e32 v145, v145, v146
	s_waitcnt vmcnt(14) lgkmcnt(0)
	v_mul_f32_e32 v146, v141, v212
	v_add_f32_e32 v89, v89, v90
	v_mul_f32_e32 v90, v138, v208
	v_fmac_f32_e32 v146, v142, v211
	v_fma_f32 v90, v137, v207, -v90
	v_add_f32_e32 v149, v145, v146
	ds_read2_b64 v[145:148], v88 offset0:81 offset1:82
	v_add_f32_e32 v89, v89, v90
	v_mul_f32_e32 v90, v140, v210
	v_fma_f32 v90, v139, v209, -v90
	v_add_f32_e32 v89, v89, v90
	v_mul_f32_e32 v90, v142, v212
	s_waitcnt vmcnt(12)
	v_mul_f32_e32 v150, v143, v214
	v_fma_f32 v90, v141, v211, -v90
	v_fmac_f32_e32 v150, v144, v213
	v_add_f32_e32 v89, v89, v90
	v_mul_f32_e32 v90, v144, v214
	v_add_f32_e32 v153, v149, v150
	ds_read2_b64 v[149:152], v88 offset0:83 offset1:84
	s_waitcnt vmcnt(10) lgkmcnt(1)
	v_mul_f32_e32 v154, v145, v216
	v_fma_f32 v90, v143, v213, -v90
	v_fmac_f32_e32 v154, v146, v215
	v_add_f32_e32 v89, v89, v90
	v_mul_f32_e32 v90, v146, v216
	v_add_f32_e32 v153, v153, v154
	s_waitcnt vmcnt(9)
	v_mul_f32_e32 v154, v147, v217
	v_fma_f32 v90, v145, v215, -v90
	s_waitcnt vmcnt(8)
	v_fmac_f32_e32 v154, v148, v218
	v_add_f32_e32 v89, v89, v90
	v_mul_f32_e32 v90, v148, v217
	v_add_f32_e32 v227, v153, v154
	ds_read2_b64 v[153:156], v88 offset0:85 offset1:86
	v_fma_f32 v90, v147, v218, -v90
	v_add_f32_e32 v89, v89, v90
	s_waitcnt vmcnt(6) lgkmcnt(1)
	v_mul_f32_e32 v90, v150, v220
	v_mul_f32_e32 v228, v149, v220
	v_fma_f32 v90, v149, v219, -v90
	v_fmac_f32_e32 v228, v150, v219
	v_add_f32_e32 v89, v89, v90
	s_waitcnt vmcnt(4)
	v_mul_f32_e32 v90, v152, v222
	v_add_f32_e32 v88, v227, v228
	v_mul_f32_e32 v227, v151, v222
	v_fma_f32 v90, v151, v221, -v90
	v_fmac_f32_e32 v227, v152, v221
	v_add_f32_e32 v89, v89, v90
	s_waitcnt vmcnt(3) lgkmcnt(0)
	v_mul_f32_e32 v90, v154, v223
	v_add_f32_e32 v88, v88, v227
	v_mul_f32_e32 v227, v153, v223
	s_waitcnt vmcnt(2)
	v_fma_f32 v90, v153, v224, -v90
	v_fmac_f32_e32 v227, v154, v224
	v_add_f32_e32 v89, v89, v90
	s_waitcnt vmcnt(0)
	v_mul_f32_e32 v90, v156, v226
	v_add_f32_e32 v88, v88, v227
	v_mul_f32_e32 v227, v155, v226
	v_fma_f32 v90, v155, v225, -v90
	v_fmac_f32_e32 v227, v156, v225
	v_add_f32_e32 v89, v89, v90
	v_add_f32_e32 v88, v88, v227
	v_sub_f32_e32 v89, v177, v89
	v_sub_f32_e32 v88, v178, v88
	buffer_store_dword v89, off, s[0:3], 0 offset:64
	buffer_store_dword v88, off, s[0:3], 0 offset:68
	s_and_saveexec_b64 s[4:5], vcc
	s_cbranch_execz .LBB42_257
; %bb.256:
	buffer_load_dword v88, off, s[0:3], 0 offset:56
	buffer_load_dword v89, off, s[0:3], 0 offset:60
	v_mov_b32_e32 v90, 0
	buffer_store_dword v90, off, s[0:3], 0 offset:56
	buffer_store_dword v90, off, s[0:3], 0 offset:60
	s_waitcnt vmcnt(2)
	ds_write_b64 v87, v[88:89]
.LBB42_257:
	s_or_b64 exec, exec, s[4:5]
	s_waitcnt lgkmcnt(0)
	; wave barrier
	buffer_load_dword v159, off, s[0:3], 0 offset:68
	buffer_load_dword v160, off, s[0:3], 0 offset:76
	;; [unrolled: 1-line block ×56, first 2 shown]
	v_mov_b32_e32 v88, 0
	ds_read_b128 v[89:92], v88 offset:416
	ds_read_b128 v[93:96], v88 offset:432
	;; [unrolled: 1-line block ×6, first 2 shown]
	buffer_load_dword v215, off, s[0:3], 0 offset:280
	buffer_load_dword v216, off, s[0:3], 0 offset:284
	;; [unrolled: 1-line block ×12, first 2 shown]
	v_cmp_lt_u32_e32 vcc, 6, v0
	s_waitcnt vmcnt(62) lgkmcnt(5)
	v_mul_f32_e32 v113, v89, v159
	v_mul_f32_e32 v114, v91, v160
	s_waitcnt lgkmcnt(4)
	v_mul_f32_e32 v115, v93, v161
	v_mul_f32_e32 v116, v95, v162
	s_waitcnt lgkmcnt(3)
	v_mul_f32_e32 v117, v97, v163
	v_mul_f32_e32 v118, v99, v164
	s_waitcnt vmcnt(61) lgkmcnt(2)
	v_mul_f32_e32 v119, v101, v165
	s_waitcnt vmcnt(60)
	v_mul_f32_e32 v120, v103, v166
	s_waitcnt vmcnt(59) lgkmcnt(1)
	v_mul_f32_e32 v121, v105, v167
	s_waitcnt vmcnt(58)
	v_fmac_f32_e32 v113, v90, v168
	s_waitcnt vmcnt(57)
	v_fmac_f32_e32 v114, v92, v169
	v_add_f32_e32 v113, 0, v113
	s_waitcnt vmcnt(56)
	v_fmac_f32_e32 v115, v94, v170
	v_add_f32_e32 v113, v113, v114
	;; [unrolled: 3-line block ×7, first 2 shown]
	v_add_f32_e32 v113, v113, v120
	s_waitcnt vmcnt(50)
	v_fmac_f32_e32 v121, v106, v176
	s_waitcnt vmcnt(49)
	v_mul_f32_e32 v114, v107, v177
	v_add_f32_e32 v113, v113, v121
	s_waitcnt vmcnt(48)
	v_fmac_f32_e32 v114, v108, v178
	v_add_f32_e32 v113, v113, v114
	s_waitcnt vmcnt(47) lgkmcnt(0)
	v_mul_f32_e32 v114, v109, v179
	s_waitcnt vmcnt(44)
	v_fmac_f32_e32 v114, v110, v182
	v_add_f32_e32 v117, v113, v114
	ds_read_b128 v[113:116], v88 offset:512
	buffer_load_dword v227, off, s[0:3], 0 offset:332
	buffer_load_dword v228, off, s[0:3], 0 offset:328
	buffer_load_dword v229, off, s[0:3], 0 offset:336
	buffer_load_dword v230, off, s[0:3], 0 offset:340
	v_mul_f32_e32 v90, v90, v159
	v_fma_f32 v89, v89, v168, -v90
	v_mul_f32_e32 v90, v92, v160
	v_add_f32_e32 v89, 0, v89
	v_fma_f32 v90, v91, v169, -v90
	v_add_f32_e32 v89, v89, v90
	v_mul_f32_e32 v90, v94, v161
	v_fma_f32 v90, v93, v170, -v90
	s_waitcnt vmcnt(46)
	v_mul_f32_e32 v118, v111, v184
	v_add_f32_e32 v89, v89, v90
	v_mul_f32_e32 v90, v96, v162
	v_fmac_f32_e32 v118, v112, v183
	v_fma_f32 v90, v95, v171, -v90
	v_add_f32_e32 v121, v117, v118
	ds_read_b128 v[117:120], v88 offset:528
	v_add_f32_e32 v89, v89, v90
	v_mul_f32_e32 v90, v98, v163
	s_waitcnt vmcnt(44) lgkmcnt(1)
	v_mul_f32_e32 v122, v113, v186
	v_fma_f32 v90, v97, v172, -v90
	v_fmac_f32_e32 v122, v114, v185
	v_add_f32_e32 v89, v89, v90
	v_mul_f32_e32 v90, v100, v164
	v_add_f32_e32 v121, v121, v122
	s_waitcnt vmcnt(42)
	v_mul_f32_e32 v122, v115, v188
	v_fma_f32 v90, v99, v173, -v90
	v_fmac_f32_e32 v122, v116, v187
	v_add_f32_e32 v89, v89, v90
	v_mul_f32_e32 v90, v102, v165
	v_add_f32_e32 v121, v121, v122
	s_waitcnt vmcnt(40) lgkmcnt(0)
	v_mul_f32_e32 v122, v117, v190
	v_fma_f32 v90, v101, v174, -v90
	v_fmac_f32_e32 v122, v118, v189
	v_add_f32_e32 v89, v89, v90
	v_mul_f32_e32 v90, v104, v166
	v_add_f32_e32 v125, v121, v122
	ds_read_b128 v[121:124], v88 offset:544
	v_fma_f32 v90, v103, v175, -v90
	v_add_f32_e32 v89, v89, v90
	v_mul_f32_e32 v90, v106, v167
	s_waitcnt vmcnt(38)
	v_mul_f32_e32 v126, v119, v192
	v_fma_f32 v90, v105, v176, -v90
	v_fmac_f32_e32 v126, v120, v191
	v_add_f32_e32 v89, v89, v90
	v_mul_f32_e32 v90, v108, v177
	v_add_f32_e32 v129, v125, v126
	ds_read_b128 v[125:128], v88 offset:560
	v_fma_f32 v90, v107, v178, -v90
	s_waitcnt vmcnt(36) lgkmcnt(1)
	v_mul_f32_e32 v130, v121, v194
	v_add_f32_e32 v89, v89, v90
	v_mul_f32_e32 v90, v110, v179
	v_fmac_f32_e32 v130, v122, v193
	v_fma_f32 v90, v109, v182, -v90
	v_add_f32_e32 v129, v129, v130
	s_waitcnt vmcnt(34)
	v_mul_f32_e32 v130, v123, v196
	v_add_f32_e32 v89, v89, v90
	v_mul_f32_e32 v90, v112, v184
	v_fmac_f32_e32 v130, v124, v195
	v_fma_f32 v90, v111, v183, -v90
	v_add_f32_e32 v129, v129, v130
	s_waitcnt vmcnt(32) lgkmcnt(0)
	v_mul_f32_e32 v130, v125, v198
	v_add_f32_e32 v89, v89, v90
	v_mul_f32_e32 v90, v114, v186
	v_fmac_f32_e32 v130, v126, v197
	v_fma_f32 v90, v113, v185, -v90
	v_add_f32_e32 v133, v129, v130
	ds_read_b128 v[129:132], v88 offset:576
	v_add_f32_e32 v89, v89, v90
	v_mul_f32_e32 v90, v116, v188
	v_fma_f32 v90, v115, v187, -v90
	s_waitcnt vmcnt(30)
	v_mul_f32_e32 v134, v127, v200
	v_add_f32_e32 v89, v89, v90
	v_mul_f32_e32 v90, v118, v190
	v_fmac_f32_e32 v134, v128, v199
	v_fma_f32 v90, v117, v189, -v90
	v_add_f32_e32 v137, v133, v134
	ds_read_b128 v[133:136], v88 offset:592
	v_add_f32_e32 v89, v89, v90
	v_mul_f32_e32 v90, v120, v192
	s_waitcnt vmcnt(28) lgkmcnt(1)
	v_mul_f32_e32 v138, v129, v202
	v_fma_f32 v90, v119, v191, -v90
	v_fmac_f32_e32 v138, v130, v201
	v_add_f32_e32 v89, v89, v90
	v_mul_f32_e32 v90, v122, v194
	v_add_f32_e32 v137, v137, v138
	s_waitcnt vmcnt(26)
	v_mul_f32_e32 v138, v131, v204
	v_fma_f32 v90, v121, v193, -v90
	v_fmac_f32_e32 v138, v132, v203
	v_add_f32_e32 v89, v89, v90
	v_mul_f32_e32 v90, v124, v196
	v_add_f32_e32 v137, v137, v138
	s_waitcnt vmcnt(24) lgkmcnt(0)
	v_mul_f32_e32 v138, v133, v206
	v_fma_f32 v90, v123, v195, -v90
	v_fmac_f32_e32 v138, v134, v205
	v_add_f32_e32 v89, v89, v90
	v_mul_f32_e32 v90, v126, v198
	v_add_f32_e32 v141, v137, v138
	ds_read_b128 v[137:140], v88 offset:608
	v_fma_f32 v90, v125, v197, -v90
	v_add_f32_e32 v89, v89, v90
	v_mul_f32_e32 v90, v128, v200
	s_waitcnt vmcnt(22)
	v_mul_f32_e32 v142, v135, v208
	v_fma_f32 v90, v127, v199, -v90
	v_fmac_f32_e32 v142, v136, v207
	v_add_f32_e32 v89, v89, v90
	v_mul_f32_e32 v90, v130, v202
	v_add_f32_e32 v145, v141, v142
	ds_read_b128 v[141:144], v88 offset:624
	v_fma_f32 v90, v129, v201, -v90
	s_waitcnt vmcnt(20) lgkmcnt(1)
	v_mul_f32_e32 v146, v137, v210
	v_add_f32_e32 v89, v89, v90
	v_mul_f32_e32 v90, v132, v204
	v_fmac_f32_e32 v146, v138, v209
	v_fma_f32 v90, v131, v203, -v90
	v_add_f32_e32 v145, v145, v146
	s_waitcnt vmcnt(18)
	v_mul_f32_e32 v146, v139, v212
	v_add_f32_e32 v89, v89, v90
	v_mul_f32_e32 v90, v134, v206
	v_fmac_f32_e32 v146, v140, v211
	v_fma_f32 v90, v133, v205, -v90
	v_add_f32_e32 v145, v145, v146
	s_waitcnt vmcnt(16) lgkmcnt(0)
	v_mul_f32_e32 v146, v141, v214
	v_add_f32_e32 v89, v89, v90
	v_mul_f32_e32 v90, v136, v208
	v_fmac_f32_e32 v146, v142, v213
	v_fma_f32 v90, v135, v207, -v90
	v_add_f32_e32 v149, v145, v146
	ds_read_b128 v[145:148], v88 offset:640
	v_add_f32_e32 v89, v89, v90
	v_mul_f32_e32 v90, v138, v210
	v_fma_f32 v90, v137, v209, -v90
	s_waitcnt vmcnt(14)
	v_mul_f32_e32 v150, v143, v216
	v_add_f32_e32 v89, v89, v90
	v_mul_f32_e32 v90, v140, v212
	v_fmac_f32_e32 v150, v144, v215
	v_fma_f32 v90, v139, v211, -v90
	v_add_f32_e32 v153, v149, v150
	ds_read_b128 v[149:152], v88 offset:656
	v_add_f32_e32 v89, v89, v90
	v_mul_f32_e32 v90, v142, v214
	s_waitcnt vmcnt(12) lgkmcnt(1)
	v_mul_f32_e32 v154, v145, v218
	v_fma_f32 v90, v141, v213, -v90
	v_fmac_f32_e32 v154, v146, v217
	v_add_f32_e32 v89, v89, v90
	v_mul_f32_e32 v90, v144, v216
	v_add_f32_e32 v153, v153, v154
	s_waitcnt vmcnt(11)
	v_mul_f32_e32 v154, v147, v219
	v_fma_f32 v90, v143, v215, -v90
	s_waitcnt vmcnt(10)
	v_fmac_f32_e32 v154, v148, v220
	v_add_f32_e32 v89, v89, v90
	v_mul_f32_e32 v90, v146, v218
	v_add_f32_e32 v153, v153, v154
	s_waitcnt vmcnt(8) lgkmcnt(0)
	v_mul_f32_e32 v154, v149, v222
	v_fma_f32 v90, v145, v217, -v90
	v_fmac_f32_e32 v154, v150, v221
	v_add_f32_e32 v89, v89, v90
	v_mul_f32_e32 v90, v148, v219
	v_add_f32_e32 v157, v153, v154
	ds_read_b128 v[153:156], v88 offset:672
	v_fma_f32 v90, v147, v220, -v90
	v_add_f32_e32 v89, v89, v90
	v_mul_f32_e32 v90, v150, v222
	s_waitcnt vmcnt(6)
	v_mul_f32_e32 v158, v151, v224
	v_fma_f32 v90, v149, v221, -v90
	v_fmac_f32_e32 v158, v152, v223
	v_add_f32_e32 v89, v89, v90
	v_mul_f32_e32 v90, v152, v224
	v_add_f32_e32 v231, v157, v158
	ds_read_b64 v[157:158], v88 offset:688
	v_fma_f32 v90, v151, v223, -v90
	v_add_f32_e32 v89, v89, v90
	s_waitcnt vmcnt(4) lgkmcnt(1)
	v_mul_f32_e32 v90, v154, v226
	v_mul_f32_e32 v232, v153, v226
	v_fma_f32 v90, v153, v225, -v90
	v_fmac_f32_e32 v232, v154, v225
	v_add_f32_e32 v89, v89, v90
	s_waitcnt vmcnt(3)
	v_mul_f32_e32 v90, v156, v227
	v_add_f32_e32 v231, v231, v232
	v_mul_f32_e32 v232, v155, v227
	s_waitcnt vmcnt(2)
	v_fma_f32 v90, v155, v228, -v90
	v_fmac_f32_e32 v232, v156, v228
	v_add_f32_e32 v89, v89, v90
	s_waitcnt vmcnt(0) lgkmcnt(0)
	v_mul_f32_e32 v90, v158, v230
	v_add_f32_e32 v231, v231, v232
	v_mul_f32_e32 v232, v157, v230
	v_fma_f32 v90, v157, v229, -v90
	v_fmac_f32_e32 v232, v158, v229
	v_add_f32_e32 v89, v89, v90
	v_add_f32_e32 v231, v231, v232
	v_sub_f32_e32 v89, v180, v89
	v_sub_f32_e32 v90, v181, v231
	buffer_store_dword v89, off, s[0:3], 0 offset:56
	buffer_store_dword v90, off, s[0:3], 0 offset:60
	s_and_saveexec_b64 s[4:5], vcc
	s_cbranch_execz .LBB42_259
; %bb.258:
	buffer_load_dword v89, off, s[0:3], 0 offset:48
	buffer_load_dword v90, off, s[0:3], 0 offset:52
	s_waitcnt vmcnt(0)
	ds_write_b64 v87, v[89:90]
	buffer_store_dword v88, off, s[0:3], 0 offset:48
	buffer_store_dword v88, off, s[0:3], 0 offset:52
.LBB42_259:
	s_or_b64 exec, exec, s[4:5]
	s_waitcnt lgkmcnt(0)
	; wave barrier
	buffer_load_dword v161, off, s[0:3], 0 offset:60
	buffer_load_dword v162, off, s[0:3], 0 offset:68
	;; [unrolled: 1-line block ×26, first 2 shown]
	ds_read2_b64 v[89:92], v88 offset0:51 offset1:52
	ds_read2_b64 v[93:96], v88 offset0:53 offset1:54
	;; [unrolled: 1-line block ×6, first 2 shown]
	buffer_load_dword v187, off, s[0:3], 0 offset:152
	buffer_load_dword v188, off, s[0:3], 0 offset:156
	;; [unrolled: 1-line block ×42, first 2 shown]
	v_cmp_lt_u32_e32 vcc, 5, v0
	s_waitcnt vmcnt(62) lgkmcnt(5)
	v_mul_f32_e32 v113, v89, v161
	v_mul_f32_e32 v114, v91, v162
	s_waitcnt lgkmcnt(4)
	v_mul_f32_e32 v115, v93, v163
	v_mul_f32_e32 v116, v95, v164
	s_waitcnt lgkmcnt(3)
	v_mul_f32_e32 v117, v97, v165
	v_mul_f32_e32 v118, v99, v166
	s_waitcnt vmcnt(61) lgkmcnt(2)
	v_mul_f32_e32 v119, v101, v167
	s_waitcnt vmcnt(60)
	v_mul_f32_e32 v120, v103, v168
	s_waitcnt vmcnt(59) lgkmcnt(1)
	v_mul_f32_e32 v121, v105, v169
	s_waitcnt vmcnt(58)
	v_fmac_f32_e32 v113, v90, v170
	s_waitcnt vmcnt(57)
	v_fmac_f32_e32 v114, v92, v171
	v_add_f32_e32 v113, 0, v113
	s_waitcnt vmcnt(56)
	v_fmac_f32_e32 v115, v94, v172
	v_add_f32_e32 v113, v113, v114
	;; [unrolled: 3-line block ×8, first 2 shown]
	s_waitcnt vmcnt(49)
	v_mul_f32_e32 v114, v107, v179
	v_add_f32_e32 v113, v113, v121
	s_waitcnt vmcnt(48)
	v_fmac_f32_e32 v114, v108, v180
	v_add_f32_e32 v113, v113, v114
	s_waitcnt vmcnt(47) lgkmcnt(0)
	v_mul_f32_e32 v114, v109, v181
	s_waitcnt vmcnt(46)
	v_fmac_f32_e32 v114, v110, v182
	v_add_f32_e32 v113, v113, v114
	s_waitcnt vmcnt(42)
	v_mul_f32_e32 v114, v111, v186
	v_fmac_f32_e32 v114, v112, v185
	v_add_f32_e32 v121, v113, v114
	ds_read2_b64 v[113:116], v88 offset0:63 offset1:64
	buffer_load_dword v229, off, s[0:3], 0 offset:324
	buffer_load_dword v230, off, s[0:3], 0 offset:320
	;; [unrolled: 1-line block ×4, first 2 shown]
	ds_read2_b64 v[117:120], v88 offset0:65 offset1:66
	buffer_load_dword v233, off, s[0:3], 0 offset:336
	buffer_load_dword v234, off, s[0:3], 0 offset:340
	v_mul_f32_e32 v90, v90, v161
	v_fma_f32 v89, v89, v170, -v90
	v_mul_f32_e32 v90, v92, v162
	v_add_f32_e32 v89, 0, v89
	v_fma_f32 v90, v91, v171, -v90
	v_add_f32_e32 v89, v89, v90
	v_mul_f32_e32 v90, v94, v163
	v_fma_f32 v90, v93, v172, -v90
	v_add_f32_e32 v89, v89, v90
	v_mul_f32_e32 v90, v96, v164
	;; [unrolled: 3-line block ×3, first 2 shown]
	s_waitcnt vmcnt(46) lgkmcnt(1)
	v_mul_f32_e32 v122, v113, v188
	v_fma_f32 v90, v97, v174, -v90
	v_fmac_f32_e32 v122, v114, v187
	v_add_f32_e32 v89, v89, v90
	v_mul_f32_e32 v90, v100, v166
	v_add_f32_e32 v121, v121, v122
	s_waitcnt vmcnt(44)
	v_mul_f32_e32 v122, v115, v190
	v_fma_f32 v90, v99, v175, -v90
	v_fmac_f32_e32 v122, v116, v189
	v_add_f32_e32 v89, v89, v90
	v_mul_f32_e32 v90, v102, v167
	v_add_f32_e32 v121, v121, v122
	s_waitcnt vmcnt(42) lgkmcnt(0)
	v_mul_f32_e32 v122, v117, v192
	v_fma_f32 v90, v101, v176, -v90
	v_fmac_f32_e32 v122, v118, v191
	v_add_f32_e32 v89, v89, v90
	v_mul_f32_e32 v90, v104, v168
	v_add_f32_e32 v125, v121, v122
	ds_read2_b64 v[121:124], v88 offset0:67 offset1:68
	v_fma_f32 v90, v103, v177, -v90
	v_add_f32_e32 v89, v89, v90
	v_mul_f32_e32 v90, v106, v169
	s_waitcnt vmcnt(40)
	v_mul_f32_e32 v126, v119, v194
	v_fma_f32 v90, v105, v178, -v90
	v_fmac_f32_e32 v126, v120, v193
	v_add_f32_e32 v89, v89, v90
	v_mul_f32_e32 v90, v108, v179
	v_add_f32_e32 v129, v125, v126
	ds_read2_b64 v[125:128], v88 offset0:69 offset1:70
	v_fma_f32 v90, v107, v180, -v90
	s_waitcnt vmcnt(38) lgkmcnt(1)
	v_mul_f32_e32 v130, v121, v196
	v_add_f32_e32 v89, v89, v90
	v_mul_f32_e32 v90, v110, v181
	v_fmac_f32_e32 v130, v122, v195
	v_fma_f32 v90, v109, v182, -v90
	v_add_f32_e32 v129, v129, v130
	s_waitcnt vmcnt(36)
	v_mul_f32_e32 v130, v123, v198
	v_add_f32_e32 v89, v89, v90
	v_mul_f32_e32 v90, v112, v186
	v_fmac_f32_e32 v130, v124, v197
	v_fma_f32 v90, v111, v185, -v90
	v_add_f32_e32 v129, v129, v130
	s_waitcnt vmcnt(34) lgkmcnt(0)
	v_mul_f32_e32 v130, v125, v200
	v_add_f32_e32 v89, v89, v90
	v_mul_f32_e32 v90, v114, v188
	v_fmac_f32_e32 v130, v126, v199
	v_fma_f32 v90, v113, v187, -v90
	v_add_f32_e32 v133, v129, v130
	ds_read2_b64 v[129:132], v88 offset0:71 offset1:72
	v_add_f32_e32 v89, v89, v90
	v_mul_f32_e32 v90, v116, v190
	v_fma_f32 v90, v115, v189, -v90
	s_waitcnt vmcnt(32)
	v_mul_f32_e32 v134, v127, v202
	v_add_f32_e32 v89, v89, v90
	v_mul_f32_e32 v90, v118, v192
	v_fmac_f32_e32 v134, v128, v201
	v_fma_f32 v90, v117, v191, -v90
	v_add_f32_e32 v137, v133, v134
	ds_read2_b64 v[133:136], v88 offset0:73 offset1:74
	v_add_f32_e32 v89, v89, v90
	v_mul_f32_e32 v90, v120, v194
	s_waitcnt vmcnt(30) lgkmcnt(1)
	v_mul_f32_e32 v138, v129, v204
	v_fma_f32 v90, v119, v193, -v90
	v_fmac_f32_e32 v138, v130, v203
	v_add_f32_e32 v89, v89, v90
	v_mul_f32_e32 v90, v122, v196
	v_add_f32_e32 v137, v137, v138
	s_waitcnt vmcnt(28)
	v_mul_f32_e32 v138, v131, v206
	v_fma_f32 v90, v121, v195, -v90
	v_fmac_f32_e32 v138, v132, v205
	v_add_f32_e32 v89, v89, v90
	v_mul_f32_e32 v90, v124, v198
	v_add_f32_e32 v137, v137, v138
	s_waitcnt vmcnt(26) lgkmcnt(0)
	v_mul_f32_e32 v138, v133, v208
	v_fma_f32 v90, v123, v197, -v90
	v_fmac_f32_e32 v138, v134, v207
	v_add_f32_e32 v89, v89, v90
	v_mul_f32_e32 v90, v126, v200
	v_add_f32_e32 v141, v137, v138
	ds_read2_b64 v[137:140], v88 offset0:75 offset1:76
	v_fma_f32 v90, v125, v199, -v90
	v_add_f32_e32 v89, v89, v90
	v_mul_f32_e32 v90, v128, v202
	s_waitcnt vmcnt(24)
	v_mul_f32_e32 v142, v135, v210
	v_fma_f32 v90, v127, v201, -v90
	v_fmac_f32_e32 v142, v136, v209
	v_add_f32_e32 v89, v89, v90
	v_mul_f32_e32 v90, v130, v204
	v_add_f32_e32 v145, v141, v142
	ds_read2_b64 v[141:144], v88 offset0:77 offset1:78
	v_fma_f32 v90, v129, v203, -v90
	s_waitcnt vmcnt(22) lgkmcnt(1)
	v_mul_f32_e32 v146, v137, v212
	v_add_f32_e32 v89, v89, v90
	v_mul_f32_e32 v90, v132, v206
	v_fmac_f32_e32 v146, v138, v211
	v_fma_f32 v90, v131, v205, -v90
	v_add_f32_e32 v145, v145, v146
	s_waitcnt vmcnt(20)
	v_mul_f32_e32 v146, v139, v214
	v_add_f32_e32 v89, v89, v90
	v_mul_f32_e32 v90, v134, v208
	v_fmac_f32_e32 v146, v140, v213
	v_fma_f32 v90, v133, v207, -v90
	v_add_f32_e32 v145, v145, v146
	s_waitcnt vmcnt(18) lgkmcnt(0)
	v_mul_f32_e32 v146, v141, v216
	v_add_f32_e32 v89, v89, v90
	v_mul_f32_e32 v90, v136, v210
	v_fmac_f32_e32 v146, v142, v215
	v_fma_f32 v90, v135, v209, -v90
	v_add_f32_e32 v149, v145, v146
	ds_read2_b64 v[145:148], v88 offset0:79 offset1:80
	v_add_f32_e32 v89, v89, v90
	v_mul_f32_e32 v90, v138, v212
	v_fma_f32 v90, v137, v211, -v90
	s_waitcnt vmcnt(16)
	v_mul_f32_e32 v150, v143, v218
	v_add_f32_e32 v89, v89, v90
	v_mul_f32_e32 v90, v140, v214
	v_fmac_f32_e32 v150, v144, v217
	v_fma_f32 v90, v139, v213, -v90
	v_add_f32_e32 v153, v149, v150
	ds_read2_b64 v[149:152], v88 offset0:81 offset1:82
	v_add_f32_e32 v89, v89, v90
	v_mul_f32_e32 v90, v142, v216
	s_waitcnt vmcnt(14) lgkmcnt(1)
	v_mul_f32_e32 v154, v145, v220
	v_fma_f32 v90, v141, v215, -v90
	v_fmac_f32_e32 v154, v146, v219
	v_add_f32_e32 v89, v89, v90
	v_mul_f32_e32 v90, v144, v218
	v_add_f32_e32 v153, v153, v154
	s_waitcnt vmcnt(13)
	v_mul_f32_e32 v154, v147, v221
	v_fma_f32 v90, v143, v217, -v90
	s_waitcnt vmcnt(12)
	v_fmac_f32_e32 v154, v148, v222
	v_add_f32_e32 v89, v89, v90
	v_mul_f32_e32 v90, v146, v220
	v_add_f32_e32 v153, v153, v154
	s_waitcnt vmcnt(10) lgkmcnt(0)
	v_mul_f32_e32 v154, v149, v224
	v_fma_f32 v90, v145, v219, -v90
	v_fmac_f32_e32 v154, v150, v223
	v_add_f32_e32 v89, v89, v90
	v_mul_f32_e32 v90, v148, v221
	v_add_f32_e32 v157, v153, v154
	ds_read2_b64 v[153:156], v88 offset0:83 offset1:84
	v_fma_f32 v90, v147, v222, -v90
	v_add_f32_e32 v89, v89, v90
	v_mul_f32_e32 v90, v150, v224
	s_waitcnt vmcnt(8)
	v_mul_f32_e32 v158, v151, v226
	v_fma_f32 v90, v149, v223, -v90
	v_fmac_f32_e32 v158, v152, v225
	v_add_f32_e32 v89, v89, v90
	v_mul_f32_e32 v90, v152, v226
	v_add_f32_e32 v235, v157, v158
	ds_read2_b64 v[157:160], v88 offset0:85 offset1:86
	v_fma_f32 v90, v151, v225, -v90
	v_add_f32_e32 v89, v89, v90
	s_waitcnt vmcnt(6) lgkmcnt(1)
	v_mul_f32_e32 v90, v154, v228
	v_mul_f32_e32 v88, v153, v228
	v_fma_f32 v90, v153, v227, -v90
	v_fmac_f32_e32 v88, v154, v227
	v_add_f32_e32 v89, v89, v90
	s_waitcnt vmcnt(5)
	v_mul_f32_e32 v90, v156, v229
	v_add_f32_e32 v88, v235, v88
	v_mul_f32_e32 v235, v155, v229
	s_waitcnt vmcnt(4)
	v_fma_f32 v90, v155, v230, -v90
	v_fmac_f32_e32 v235, v156, v230
	v_add_f32_e32 v89, v89, v90
	s_waitcnt vmcnt(2) lgkmcnt(0)
	v_mul_f32_e32 v90, v158, v232
	v_add_f32_e32 v88, v88, v235
	v_mul_f32_e32 v235, v157, v232
	v_fma_f32 v90, v157, v231, -v90
	v_fmac_f32_e32 v235, v158, v231
	v_add_f32_e32 v89, v89, v90
	s_waitcnt vmcnt(0)
	v_mul_f32_e32 v90, v160, v234
	v_add_f32_e32 v88, v88, v235
	v_mul_f32_e32 v235, v159, v234
	v_fma_f32 v90, v159, v233, -v90
	v_fmac_f32_e32 v235, v160, v233
	v_add_f32_e32 v89, v89, v90
	v_add_f32_e32 v88, v88, v235
	v_sub_f32_e32 v89, v183, v89
	v_sub_f32_e32 v88, v184, v88
	buffer_store_dword v89, off, s[0:3], 0 offset:48
	buffer_store_dword v88, off, s[0:3], 0 offset:52
	s_and_saveexec_b64 s[4:5], vcc
	s_cbranch_execz .LBB42_261
; %bb.260:
	buffer_load_dword v88, off, s[0:3], 0 offset:40
	buffer_load_dword v89, off, s[0:3], 0 offset:44
	v_mov_b32_e32 v90, 0
	buffer_store_dword v90, off, s[0:3], 0 offset:40
	buffer_store_dword v90, off, s[0:3], 0 offset:44
	s_waitcnt vmcnt(2)
	ds_write_b64 v87, v[88:89]
.LBB42_261:
	s_or_b64 exec, exec, s[4:5]
	s_waitcnt lgkmcnt(0)
	; wave barrier
	buffer_load_dword v163, off, s[0:3], 0 offset:52
	buffer_load_dword v164, off, s[0:3], 0 offset:60
	;; [unrolled: 1-line block ×52, first 2 shown]
	v_mov_b32_e32 v88, 0
	ds_read_b128 v[89:92], v88 offset:400
	ds_read_b128 v[93:96], v88 offset:416
	ds_read_b128 v[97:100], v88 offset:432
	ds_read_b128 v[101:104], v88 offset:448
	ds_read_b128 v[105:108], v88 offset:464
	ds_read_b128 v[109:112], v88 offset:480
	buffer_load_dword v215, off, s[0:3], 0 offset:252
	buffer_load_dword v216, off, s[0:3], 0 offset:248
	;; [unrolled: 1-line block ×14, first 2 shown]
	v_cmp_lt_u32_e32 vcc, 4, v0
	s_waitcnt vmcnt(62) lgkmcnt(5)
	v_mul_f32_e32 v113, v89, v163
	v_mul_f32_e32 v114, v91, v164
	s_waitcnt lgkmcnt(4)
	v_mul_f32_e32 v115, v93, v165
	v_mul_f32_e32 v116, v95, v166
	s_waitcnt vmcnt(61) lgkmcnt(3)
	v_mul_f32_e32 v117, v97, v167
	s_waitcnt vmcnt(60)
	v_mul_f32_e32 v118, v99, v168
	s_waitcnt vmcnt(59) lgkmcnt(2)
	v_mul_f32_e32 v119, v101, v169
	s_waitcnt vmcnt(58)
	;; [unrolled: 4-line block ×3, first 2 shown]
	v_fmac_f32_e32 v113, v90, v172
	s_waitcnt vmcnt(55)
	v_fmac_f32_e32 v114, v92, v173
	v_add_f32_e32 v113, 0, v113
	s_waitcnt vmcnt(54)
	v_fmac_f32_e32 v115, v94, v174
	v_add_f32_e32 v113, v113, v114
	;; [unrolled: 3-line block ×8, first 2 shown]
	s_waitcnt vmcnt(47)
	v_mul_f32_e32 v114, v107, v181
	v_add_f32_e32 v113, v113, v121
	s_waitcnt vmcnt(46)
	v_fmac_f32_e32 v114, v108, v182
	v_add_f32_e32 v113, v113, v114
	s_waitcnt vmcnt(45) lgkmcnt(0)
	v_mul_f32_e32 v114, v109, v183
	s_waitcnt vmcnt(44)
	v_fmac_f32_e32 v114, v110, v184
	v_add_f32_e32 v117, v113, v114
	ds_read_b128 v[113:116], v88 offset:496
	buffer_load_dword v229, off, s[0:3], 0 offset:304
	buffer_load_dword v230, off, s[0:3], 0 offset:308
	s_waitcnt vmcnt(43)
	v_mul_f32_e32 v118, v111, v187
	s_waitcnt vmcnt(42)
	v_fmac_f32_e32 v118, v112, v188
	v_add_f32_e32 v121, v117, v118
	ds_read_b128 v[117:120], v88 offset:512
	buffer_load_dword v231, off, s[0:3], 0 offset:316
	buffer_load_dword v232, off, s[0:3], 0 offset:312
	;; [unrolled: 1-line block ×8, first 2 shown]
	v_mul_f32_e32 v90, v90, v163
	v_fma_f32 v89, v89, v172, -v90
	v_mul_f32_e32 v90, v92, v164
	v_add_f32_e32 v89, 0, v89
	v_fma_f32 v90, v91, v173, -v90
	v_add_f32_e32 v89, v89, v90
	v_mul_f32_e32 v90, v94, v165
	v_fma_f32 v90, v93, v174, -v90
	v_add_f32_e32 v89, v89, v90
	v_mul_f32_e32 v90, v96, v166
	v_fma_f32 v90, v95, v175, -v90
	s_waitcnt vmcnt(48) lgkmcnt(1)
	v_mul_f32_e32 v122, v113, v190
	v_add_f32_e32 v89, v89, v90
	v_mul_f32_e32 v90, v98, v167
	v_fmac_f32_e32 v122, v114, v189
	v_fma_f32 v90, v97, v176, -v90
	v_add_f32_e32 v121, v121, v122
	s_waitcnt vmcnt(46)
	v_mul_f32_e32 v122, v115, v192
	v_add_f32_e32 v89, v89, v90
	v_mul_f32_e32 v90, v100, v168
	v_fmac_f32_e32 v122, v116, v191
	v_fma_f32 v90, v99, v177, -v90
	v_add_f32_e32 v121, v121, v122
	s_waitcnt vmcnt(44) lgkmcnt(0)
	v_mul_f32_e32 v122, v117, v194
	v_add_f32_e32 v89, v89, v90
	v_mul_f32_e32 v90, v102, v169
	v_fmac_f32_e32 v122, v118, v193
	v_fma_f32 v90, v101, v178, -v90
	v_add_f32_e32 v125, v121, v122
	ds_read_b128 v[121:124], v88 offset:528
	v_add_f32_e32 v89, v89, v90
	v_mul_f32_e32 v90, v104, v170
	v_fma_f32 v90, v103, v179, -v90
	s_waitcnt vmcnt(42)
	v_mul_f32_e32 v126, v119, v196
	v_add_f32_e32 v89, v89, v90
	v_mul_f32_e32 v90, v106, v171
	v_fmac_f32_e32 v126, v120, v195
	v_fma_f32 v90, v105, v180, -v90
	v_add_f32_e32 v129, v125, v126
	ds_read_b128 v[125:128], v88 offset:544
	v_add_f32_e32 v89, v89, v90
	v_mul_f32_e32 v90, v108, v181
	s_waitcnt vmcnt(40) lgkmcnt(1)
	v_mul_f32_e32 v130, v121, v198
	v_fma_f32 v90, v107, v182, -v90
	v_fmac_f32_e32 v130, v122, v197
	v_add_f32_e32 v89, v89, v90
	v_mul_f32_e32 v90, v110, v183
	v_add_f32_e32 v129, v129, v130
	s_waitcnt vmcnt(38)
	v_mul_f32_e32 v130, v123, v200
	v_fma_f32 v90, v109, v184, -v90
	v_fmac_f32_e32 v130, v124, v199
	v_add_f32_e32 v89, v89, v90
	v_mul_f32_e32 v90, v112, v187
	v_add_f32_e32 v129, v129, v130
	s_waitcnt vmcnt(36) lgkmcnt(0)
	v_mul_f32_e32 v130, v125, v202
	v_fma_f32 v90, v111, v188, -v90
	v_fmac_f32_e32 v130, v126, v201
	v_add_f32_e32 v89, v89, v90
	v_mul_f32_e32 v90, v114, v190
	v_add_f32_e32 v133, v129, v130
	ds_read_b128 v[129:132], v88 offset:560
	v_fma_f32 v90, v113, v189, -v90
	v_add_f32_e32 v89, v89, v90
	v_mul_f32_e32 v90, v116, v192
	s_waitcnt vmcnt(34)
	v_mul_f32_e32 v134, v127, v204
	v_fma_f32 v90, v115, v191, -v90
	v_fmac_f32_e32 v134, v128, v203
	v_add_f32_e32 v89, v89, v90
	v_mul_f32_e32 v90, v118, v194
	v_add_f32_e32 v137, v133, v134
	ds_read_b128 v[133:136], v88 offset:576
	v_fma_f32 v90, v117, v193, -v90
	s_waitcnt vmcnt(32) lgkmcnt(1)
	v_mul_f32_e32 v138, v129, v206
	v_add_f32_e32 v89, v89, v90
	v_mul_f32_e32 v90, v120, v196
	v_fmac_f32_e32 v138, v130, v205
	v_fma_f32 v90, v119, v195, -v90
	v_add_f32_e32 v137, v137, v138
	s_waitcnt vmcnt(30)
	v_mul_f32_e32 v138, v131, v208
	v_add_f32_e32 v89, v89, v90
	v_mul_f32_e32 v90, v122, v198
	v_fmac_f32_e32 v138, v132, v207
	v_fma_f32 v90, v121, v197, -v90
	v_add_f32_e32 v137, v137, v138
	s_waitcnt vmcnt(28) lgkmcnt(0)
	v_mul_f32_e32 v138, v133, v210
	v_add_f32_e32 v89, v89, v90
	v_mul_f32_e32 v90, v124, v200
	v_fmac_f32_e32 v138, v134, v209
	v_fma_f32 v90, v123, v199, -v90
	v_add_f32_e32 v141, v137, v138
	ds_read_b128 v[137:140], v88 offset:592
	v_add_f32_e32 v89, v89, v90
	v_mul_f32_e32 v90, v126, v202
	v_fma_f32 v90, v125, v201, -v90
	s_waitcnt vmcnt(26)
	v_mul_f32_e32 v142, v135, v212
	v_add_f32_e32 v89, v89, v90
	v_mul_f32_e32 v90, v128, v204
	v_fmac_f32_e32 v142, v136, v211
	v_fma_f32 v90, v127, v203, -v90
	v_add_f32_e32 v145, v141, v142
	ds_read_b128 v[141:144], v88 offset:608
	v_add_f32_e32 v89, v89, v90
	v_mul_f32_e32 v90, v130, v206
	s_waitcnt vmcnt(24) lgkmcnt(1)
	v_mul_f32_e32 v146, v137, v214
	v_fma_f32 v90, v129, v205, -v90
	v_fmac_f32_e32 v146, v138, v213
	v_add_f32_e32 v89, v89, v90
	v_mul_f32_e32 v90, v132, v208
	v_add_f32_e32 v145, v145, v146
	s_waitcnt vmcnt(23)
	v_mul_f32_e32 v146, v139, v215
	v_fma_f32 v90, v131, v207, -v90
	s_waitcnt vmcnt(22)
	v_fmac_f32_e32 v146, v140, v216
	v_add_f32_e32 v89, v89, v90
	v_mul_f32_e32 v90, v134, v210
	v_add_f32_e32 v145, v145, v146
	s_waitcnt vmcnt(20) lgkmcnt(0)
	v_mul_f32_e32 v146, v141, v218
	v_fma_f32 v90, v133, v209, -v90
	v_fmac_f32_e32 v146, v142, v217
	v_add_f32_e32 v89, v89, v90
	v_mul_f32_e32 v90, v136, v212
	v_add_f32_e32 v149, v145, v146
	ds_read_b128 v[145:148], v88 offset:624
	v_fma_f32 v90, v135, v211, -v90
	v_add_f32_e32 v89, v89, v90
	v_mul_f32_e32 v90, v138, v214
	s_waitcnt vmcnt(18)
	v_mul_f32_e32 v150, v143, v220
	v_fma_f32 v90, v137, v213, -v90
	v_fmac_f32_e32 v150, v144, v219
	v_add_f32_e32 v89, v89, v90
	v_mul_f32_e32 v90, v140, v215
	v_add_f32_e32 v153, v149, v150
	ds_read_b128 v[149:152], v88 offset:640
	v_fma_f32 v90, v139, v216, -v90
	s_waitcnt vmcnt(16) lgkmcnt(1)
	v_mul_f32_e32 v154, v145, v222
	v_add_f32_e32 v89, v89, v90
	v_mul_f32_e32 v90, v142, v218
	v_fmac_f32_e32 v154, v146, v221
	v_fma_f32 v90, v141, v217, -v90
	v_add_f32_e32 v153, v153, v154
	s_waitcnt vmcnt(15)
	v_mul_f32_e32 v154, v147, v223
	v_add_f32_e32 v89, v89, v90
	v_mul_f32_e32 v90, v144, v220
	s_waitcnt vmcnt(14)
	v_fmac_f32_e32 v154, v148, v224
	v_fma_f32 v90, v143, v219, -v90
	v_add_f32_e32 v153, v153, v154
	s_waitcnt vmcnt(12) lgkmcnt(0)
	v_mul_f32_e32 v154, v149, v226
	v_add_f32_e32 v89, v89, v90
	v_mul_f32_e32 v90, v146, v222
	v_fmac_f32_e32 v154, v150, v225
	v_fma_f32 v90, v145, v221, -v90
	v_add_f32_e32 v157, v153, v154
	ds_read_b128 v[153:156], v88 offset:656
	v_add_f32_e32 v89, v89, v90
	v_mul_f32_e32 v90, v148, v223
	v_fma_f32 v90, v147, v224, -v90
	v_add_f32_e32 v89, v89, v90
	v_mul_f32_e32 v90, v150, v226
	s_waitcnt vmcnt(10)
	v_mul_f32_e32 v158, v151, v228
	v_fma_f32 v90, v149, v225, -v90
	v_fmac_f32_e32 v158, v152, v227
	v_add_f32_e32 v89, v89, v90
	v_mul_f32_e32 v90, v152, v228
	v_add_f32_e32 v161, v157, v158
	ds_read_b128 v[157:160], v88 offset:672
	s_waitcnt vmcnt(8) lgkmcnt(1)
	v_mul_f32_e32 v162, v153, v230
	v_fma_f32 v90, v151, v227, -v90
	v_fmac_f32_e32 v162, v154, v229
	v_add_f32_e32 v89, v89, v90
	v_mul_f32_e32 v90, v154, v230
	v_add_f32_e32 v161, v161, v162
	s_waitcnt vmcnt(7)
	v_mul_f32_e32 v162, v155, v231
	v_fma_f32 v90, v153, v229, -v90
	s_waitcnt vmcnt(6)
	v_fmac_f32_e32 v162, v156, v232
	v_add_f32_e32 v89, v89, v90
	v_mul_f32_e32 v90, v156, v231
	v_add_f32_e32 v239, v161, v162
	ds_read_b64 v[161:162], v88 offset:688
	v_fma_f32 v90, v155, v232, -v90
	v_add_f32_e32 v89, v89, v90
	s_waitcnt vmcnt(4) lgkmcnt(1)
	v_mul_f32_e32 v90, v158, v234
	v_mul_f32_e32 v240, v157, v234
	v_fma_f32 v90, v157, v233, -v90
	v_fmac_f32_e32 v240, v158, v233
	v_add_f32_e32 v89, v89, v90
	s_waitcnt vmcnt(3)
	v_mul_f32_e32 v90, v160, v235
	v_add_f32_e32 v239, v239, v240
	v_mul_f32_e32 v240, v159, v235
	s_waitcnt vmcnt(2)
	v_fma_f32 v90, v159, v236, -v90
	v_fmac_f32_e32 v240, v160, v236
	v_add_f32_e32 v89, v89, v90
	s_waitcnt vmcnt(0) lgkmcnt(0)
	v_mul_f32_e32 v90, v162, v238
	v_add_f32_e32 v239, v239, v240
	v_mul_f32_e32 v240, v161, v238
	v_fma_f32 v90, v161, v237, -v90
	v_fmac_f32_e32 v240, v162, v237
	v_add_f32_e32 v89, v89, v90
	v_add_f32_e32 v239, v239, v240
	v_sub_f32_e32 v89, v185, v89
	v_sub_f32_e32 v90, v186, v239
	buffer_store_dword v89, off, s[0:3], 0 offset:40
	buffer_store_dword v90, off, s[0:3], 0 offset:44
	s_and_saveexec_b64 s[4:5], vcc
	s_cbranch_execz .LBB42_263
; %bb.262:
	buffer_load_dword v89, off, s[0:3], 0 offset:32
	buffer_load_dword v90, off, s[0:3], 0 offset:36
	s_waitcnt vmcnt(0)
	ds_write_b64 v87, v[89:90]
	buffer_store_dword v88, off, s[0:3], 0 offset:32
	buffer_store_dword v88, off, s[0:3], 0 offset:36
.LBB42_263:
	s_or_b64 exec, exec, s[4:5]
	s_waitcnt lgkmcnt(0)
	; wave barrier
	buffer_load_dword v165, off, s[0:3], 0 offset:44
	buffer_load_dword v166, off, s[0:3], 0 offset:52
	;; [unrolled: 1-line block ×26, first 2 shown]
	ds_read2_b64 v[89:92], v88 offset0:49 offset1:50
	ds_read2_b64 v[93:96], v88 offset0:51 offset1:52
	;; [unrolled: 1-line block ×4, first 2 shown]
	buffer_load_dword v191, off, s[0:3], 0 offset:140
	ds_read2_b64 v[105:108], v88 offset0:57 offset1:58
	ds_read2_b64 v[109:112], v88 offset0:59 offset1:60
	buffer_load_dword v192, off, s[0:3], 0 offset:136
	buffer_load_dword v193, off, s[0:3], 0 offset:144
	;; [unrolled: 1-line block ×37, first 2 shown]
	v_cmp_lt_u32_e32 vcc, 3, v0
	s_waitcnt vmcnt(62) lgkmcnt(5)
	v_mul_f32_e32 v113, v89, v165
	v_mul_f32_e32 v114, v91, v166
	s_waitcnt vmcnt(61) lgkmcnt(4)
	v_mul_f32_e32 v115, v93, v167
	s_waitcnt vmcnt(60)
	v_mul_f32_e32 v116, v95, v168
	s_waitcnt vmcnt(59) lgkmcnt(3)
	v_mul_f32_e32 v117, v97, v169
	s_waitcnt vmcnt(58)
	;; [unrolled: 4-line block ×4, first 2 shown]
	v_mul_f32_e32 v122, v107, v174
	s_waitcnt vmcnt(53)
	v_fmac_f32_e32 v113, v90, v175
	s_waitcnt vmcnt(52)
	v_fmac_f32_e32 v114, v92, v176
	v_add_f32_e32 v113, 0, v113
	s_waitcnt vmcnt(51)
	v_fmac_f32_e32 v115, v94, v177
	v_add_f32_e32 v113, v113, v114
	;; [unrolled: 3-line block ×9, first 2 shown]
	s_waitcnt vmcnt(43) lgkmcnt(0)
	v_mul_f32_e32 v114, v109, v185
	v_add_f32_e32 v113, v113, v122
	s_waitcnt vmcnt(42)
	v_fmac_f32_e32 v114, v110, v186
	v_add_f32_e32 v117, v113, v114
	s_waitcnt vmcnt(41)
	v_mul_f32_e32 v118, v111, v187
	ds_read2_b64 v[113:116], v88 offset0:61 offset1:62
	buffer_load_dword v229, off, s[0:3], 0 offset:288
	buffer_load_dword v230, off, s[0:3], 0 offset:292
	s_waitcnt vmcnt(42)
	v_fmac_f32_e32 v118, v112, v188
	v_add_f32_e32 v121, v117, v118
	ds_read2_b64 v[117:120], v88 offset0:63 offset1:64
	buffer_load_dword v231, off, s[0:3], 0 offset:296
	buffer_load_dword v232, off, s[0:3], 0 offset:300
	;; [unrolled: 1-line block ×12, first 2 shown]
	v_mul_f32_e32 v90, v90, v165
	v_fma_f32 v89, v89, v175, -v90
	v_mul_f32_e32 v90, v92, v166
	v_add_f32_e32 v89, 0, v89
	v_fma_f32 v90, v91, v176, -v90
	v_add_f32_e32 v89, v89, v90
	v_mul_f32_e32 v90, v94, v167
	v_fma_f32 v90, v93, v177, -v90
	v_add_f32_e32 v89, v89, v90
	v_mul_f32_e32 v90, v96, v168
	v_fma_f32 v90, v95, v178, -v90
	s_waitcnt vmcnt(51) lgkmcnt(1)
	v_mul_f32_e32 v122, v113, v191
	v_add_f32_e32 v89, v89, v90
	v_mul_f32_e32 v90, v98, v169
	s_waitcnt vmcnt(50)
	v_fmac_f32_e32 v122, v114, v192
	v_fma_f32 v90, v97, v179, -v90
	v_add_f32_e32 v121, v121, v122
	s_waitcnt vmcnt(48)
	v_mul_f32_e32 v122, v115, v194
	v_add_f32_e32 v89, v89, v90
	v_mul_f32_e32 v90, v100, v170
	v_fmac_f32_e32 v122, v116, v193
	v_fma_f32 v90, v99, v180, -v90
	v_add_f32_e32 v121, v121, v122
	s_waitcnt vmcnt(46) lgkmcnt(0)
	v_mul_f32_e32 v122, v117, v196
	v_add_f32_e32 v89, v89, v90
	v_mul_f32_e32 v90, v102, v171
	v_fmac_f32_e32 v122, v118, v195
	v_fma_f32 v90, v101, v181, -v90
	v_add_f32_e32 v125, v121, v122
	ds_read2_b64 v[121:124], v88 offset0:65 offset1:66
	v_add_f32_e32 v89, v89, v90
	v_mul_f32_e32 v90, v104, v172
	v_fma_f32 v90, v103, v182, -v90
	s_waitcnt vmcnt(44)
	v_mul_f32_e32 v126, v119, v198
	v_add_f32_e32 v89, v89, v90
	v_mul_f32_e32 v90, v106, v173
	v_fmac_f32_e32 v126, v120, v197
	v_fma_f32 v90, v105, v183, -v90
	v_add_f32_e32 v129, v125, v126
	ds_read2_b64 v[125:128], v88 offset0:67 offset1:68
	v_add_f32_e32 v89, v89, v90
	v_mul_f32_e32 v90, v108, v174
	s_waitcnt vmcnt(42) lgkmcnt(1)
	v_mul_f32_e32 v130, v121, v200
	v_fma_f32 v90, v107, v184, -v90
	v_fmac_f32_e32 v130, v122, v199
	v_add_f32_e32 v89, v89, v90
	v_mul_f32_e32 v90, v110, v185
	v_add_f32_e32 v129, v129, v130
	s_waitcnt vmcnt(40)
	v_mul_f32_e32 v130, v123, v202
	v_fma_f32 v90, v109, v186, -v90
	v_fmac_f32_e32 v130, v124, v201
	v_add_f32_e32 v89, v89, v90
	v_mul_f32_e32 v90, v112, v187
	v_add_f32_e32 v129, v129, v130
	s_waitcnt vmcnt(38) lgkmcnt(0)
	v_mul_f32_e32 v130, v125, v204
	v_fma_f32 v90, v111, v188, -v90
	v_fmac_f32_e32 v130, v126, v203
	v_add_f32_e32 v89, v89, v90
	v_mul_f32_e32 v90, v114, v191
	v_add_f32_e32 v133, v129, v130
	ds_read2_b64 v[129:132], v88 offset0:69 offset1:70
	v_fma_f32 v90, v113, v192, -v90
	v_add_f32_e32 v89, v89, v90
	v_mul_f32_e32 v90, v116, v194
	s_waitcnt vmcnt(36)
	v_mul_f32_e32 v134, v127, v206
	v_fma_f32 v90, v115, v193, -v90
	v_fmac_f32_e32 v134, v128, v205
	v_add_f32_e32 v89, v89, v90
	v_mul_f32_e32 v90, v118, v196
	v_add_f32_e32 v137, v133, v134
	ds_read2_b64 v[133:136], v88 offset0:71 offset1:72
	v_fma_f32 v90, v117, v195, -v90
	s_waitcnt vmcnt(34) lgkmcnt(1)
	v_mul_f32_e32 v138, v129, v208
	v_add_f32_e32 v89, v89, v90
	v_mul_f32_e32 v90, v120, v198
	v_fmac_f32_e32 v138, v130, v207
	v_fma_f32 v90, v119, v197, -v90
	v_add_f32_e32 v137, v137, v138
	s_waitcnt vmcnt(32)
	v_mul_f32_e32 v138, v131, v210
	v_add_f32_e32 v89, v89, v90
	v_mul_f32_e32 v90, v122, v200
	v_fmac_f32_e32 v138, v132, v209
	v_fma_f32 v90, v121, v199, -v90
	v_add_f32_e32 v137, v137, v138
	s_waitcnt vmcnt(30) lgkmcnt(0)
	v_mul_f32_e32 v138, v133, v212
	v_add_f32_e32 v89, v89, v90
	v_mul_f32_e32 v90, v124, v202
	v_fmac_f32_e32 v138, v134, v211
	v_fma_f32 v90, v123, v201, -v90
	v_add_f32_e32 v141, v137, v138
	ds_read2_b64 v[137:140], v88 offset0:73 offset1:74
	v_add_f32_e32 v89, v89, v90
	v_mul_f32_e32 v90, v126, v204
	v_fma_f32 v90, v125, v203, -v90
	s_waitcnt vmcnt(28)
	v_mul_f32_e32 v142, v135, v214
	v_add_f32_e32 v89, v89, v90
	v_mul_f32_e32 v90, v128, v206
	v_fmac_f32_e32 v142, v136, v213
	v_fma_f32 v90, v127, v205, -v90
	v_add_f32_e32 v145, v141, v142
	ds_read2_b64 v[141:144], v88 offset0:75 offset1:76
	v_add_f32_e32 v89, v89, v90
	v_mul_f32_e32 v90, v130, v208
	s_waitcnt vmcnt(26) lgkmcnt(1)
	v_mul_f32_e32 v146, v137, v216
	v_fma_f32 v90, v129, v207, -v90
	v_fmac_f32_e32 v146, v138, v215
	v_add_f32_e32 v89, v89, v90
	v_mul_f32_e32 v90, v132, v210
	v_add_f32_e32 v145, v145, v146
	s_waitcnt vmcnt(25)
	v_mul_f32_e32 v146, v139, v217
	v_fma_f32 v90, v131, v209, -v90
	s_waitcnt vmcnt(24)
	v_fmac_f32_e32 v146, v140, v218
	v_add_f32_e32 v89, v89, v90
	v_mul_f32_e32 v90, v134, v212
	v_add_f32_e32 v145, v145, v146
	s_waitcnt vmcnt(22) lgkmcnt(0)
	v_mul_f32_e32 v146, v141, v220
	v_fma_f32 v90, v133, v211, -v90
	v_fmac_f32_e32 v146, v142, v219
	v_add_f32_e32 v89, v89, v90
	v_mul_f32_e32 v90, v136, v214
	v_add_f32_e32 v149, v145, v146
	ds_read2_b64 v[145:148], v88 offset0:77 offset1:78
	v_fma_f32 v90, v135, v213, -v90
	v_add_f32_e32 v89, v89, v90
	v_mul_f32_e32 v90, v138, v216
	s_waitcnt vmcnt(20)
	v_mul_f32_e32 v150, v143, v222
	v_fma_f32 v90, v137, v215, -v90
	v_fmac_f32_e32 v150, v144, v221
	v_add_f32_e32 v89, v89, v90
	v_mul_f32_e32 v90, v140, v217
	v_add_f32_e32 v153, v149, v150
	ds_read2_b64 v[149:152], v88 offset0:79 offset1:80
	v_fma_f32 v90, v139, v218, -v90
	s_waitcnt vmcnt(18) lgkmcnt(1)
	v_mul_f32_e32 v154, v145, v224
	v_add_f32_e32 v89, v89, v90
	v_mul_f32_e32 v90, v142, v220
	v_fmac_f32_e32 v154, v146, v223
	v_fma_f32 v90, v141, v219, -v90
	v_add_f32_e32 v153, v153, v154
	s_waitcnt vmcnt(17)
	v_mul_f32_e32 v154, v147, v225
	v_add_f32_e32 v89, v89, v90
	v_mul_f32_e32 v90, v144, v222
	s_waitcnt vmcnt(16)
	v_fmac_f32_e32 v154, v148, v226
	v_fma_f32 v90, v143, v221, -v90
	v_add_f32_e32 v153, v153, v154
	s_waitcnt vmcnt(14) lgkmcnt(0)
	v_mul_f32_e32 v154, v149, v228
	v_add_f32_e32 v89, v89, v90
	v_mul_f32_e32 v90, v146, v224
	v_fmac_f32_e32 v154, v150, v227
	v_fma_f32 v90, v145, v223, -v90
	v_add_f32_e32 v157, v153, v154
	ds_read2_b64 v[153:156], v88 offset0:81 offset1:82
	v_add_f32_e32 v89, v89, v90
	v_mul_f32_e32 v90, v148, v225
	v_fma_f32 v90, v147, v226, -v90
	v_add_f32_e32 v89, v89, v90
	v_mul_f32_e32 v90, v150, v228
	s_waitcnt vmcnt(12)
	v_mul_f32_e32 v158, v151, v230
	v_fma_f32 v90, v149, v227, -v90
	v_fmac_f32_e32 v158, v152, v229
	v_add_f32_e32 v89, v89, v90
	v_mul_f32_e32 v90, v152, v230
	v_add_f32_e32 v161, v157, v158
	ds_read2_b64 v[157:160], v88 offset0:83 offset1:84
	s_waitcnt vmcnt(10) lgkmcnt(1)
	v_mul_f32_e32 v162, v153, v232
	v_fma_f32 v90, v151, v229, -v90
	v_fmac_f32_e32 v162, v154, v231
	v_add_f32_e32 v89, v89, v90
	v_mul_f32_e32 v90, v154, v232
	v_add_f32_e32 v161, v161, v162
	s_waitcnt vmcnt(9)
	v_mul_f32_e32 v162, v155, v233
	v_fma_f32 v90, v153, v231, -v90
	s_waitcnt vmcnt(8)
	v_fmac_f32_e32 v162, v156, v234
	v_add_f32_e32 v89, v89, v90
	v_mul_f32_e32 v90, v156, v233
	v_add_f32_e32 v243, v161, v162
	ds_read2_b64 v[161:164], v88 offset0:85 offset1:86
	v_fma_f32 v90, v155, v234, -v90
	v_add_f32_e32 v89, v89, v90
	s_waitcnt vmcnt(6) lgkmcnt(1)
	v_mul_f32_e32 v90, v158, v236
	v_mul_f32_e32 v244, v157, v236
	v_fma_f32 v90, v157, v235, -v90
	v_fmac_f32_e32 v244, v158, v235
	v_add_f32_e32 v89, v89, v90
	s_waitcnt vmcnt(4)
	v_mul_f32_e32 v90, v160, v238
	v_add_f32_e32 v88, v243, v244
	v_mul_f32_e32 v243, v159, v238
	v_fma_f32 v90, v159, v237, -v90
	v_fmac_f32_e32 v243, v160, v237
	v_add_f32_e32 v89, v89, v90
	s_waitcnt vmcnt(3) lgkmcnt(0)
	v_mul_f32_e32 v90, v162, v239
	v_add_f32_e32 v88, v88, v243
	v_mul_f32_e32 v243, v161, v239
	s_waitcnt vmcnt(2)
	v_fma_f32 v90, v161, v240, -v90
	v_fmac_f32_e32 v243, v162, v240
	v_add_f32_e32 v89, v89, v90
	s_waitcnt vmcnt(0)
	v_mul_f32_e32 v90, v164, v242
	v_add_f32_e32 v88, v88, v243
	v_mul_f32_e32 v243, v163, v242
	v_fma_f32 v90, v163, v241, -v90
	v_fmac_f32_e32 v243, v164, v241
	v_add_f32_e32 v89, v89, v90
	v_add_f32_e32 v88, v88, v243
	v_sub_f32_e32 v89, v189, v89
	v_sub_f32_e32 v88, v190, v88
	buffer_store_dword v89, off, s[0:3], 0 offset:32
	buffer_store_dword v88, off, s[0:3], 0 offset:36
	s_and_saveexec_b64 s[4:5], vcc
	s_cbranch_execz .LBB42_265
; %bb.264:
	buffer_load_dword v88, off, s[0:3], 0 offset:24
	buffer_load_dword v89, off, s[0:3], 0 offset:28
	v_mov_b32_e32 v90, 0
	buffer_store_dword v90, off, s[0:3], 0 offset:24
	buffer_store_dword v90, off, s[0:3], 0 offset:28
	s_waitcnt vmcnt(2)
	ds_write_b64 v87, v[88:89]
.LBB42_265:
	s_or_b64 exec, exec, s[4:5]
	s_waitcnt lgkmcnt(0)
	; wave barrier
	buffer_load_dword v167, off, s[0:3], 0 offset:36
	buffer_load_dword v168, off, s[0:3], 0 offset:44
	;; [unrolled: 1-line block ×52, first 2 shown]
	v_mov_b32_e32 v88, 0
	ds_read_b128 v[89:92], v88 offset:384
	ds_read_b128 v[93:96], v88 offset:400
	;; [unrolled: 1-line block ×6, first 2 shown]
	buffer_load_dword v219, off, s[0:3], 0 offset:236
	buffer_load_dword v220, off, s[0:3], 0 offset:232
	buffer_load_dword v221, off, s[0:3], 0 offset:240
	buffer_load_dword v222, off, s[0:3], 0 offset:244
	buffer_load_dword v223, off, s[0:3], 0 offset:248
	buffer_load_dword v224, off, s[0:3], 0 offset:252
	buffer_load_dword v225, off, s[0:3], 0 offset:256
	buffer_load_dword v226, off, s[0:3], 0 offset:260
	v_cmp_lt_u32_e32 vcc, 2, v0
	s_waitcnt vmcnt(59) lgkmcnt(5)
	v_mul_f32_e32 v113, v89, v167
	s_waitcnt vmcnt(58)
	v_mul_f32_e32 v114, v91, v168
	s_waitcnt vmcnt(57) lgkmcnt(4)
	v_mul_f32_e32 v115, v93, v169
	s_waitcnt vmcnt(56)
	v_mul_f32_e32 v116, v95, v170
	;; [unrolled: 4-line block ×5, first 2 shown]
	s_waitcnt vmcnt(49) lgkmcnt(0)
	v_mul_f32_e32 v123, v109, v177
	s_waitcnt vmcnt(48)
	v_fmac_f32_e32 v113, v90, v178
	s_waitcnt vmcnt(47)
	v_fmac_f32_e32 v114, v92, v179
	v_add_f32_e32 v113, 0, v113
	s_waitcnt vmcnt(46)
	v_fmac_f32_e32 v115, v94, v180
	v_add_f32_e32 v113, v113, v114
	;; [unrolled: 3-line block ×9, first 2 shown]
	v_add_f32_e32 v113, v113, v122
	s_waitcnt vmcnt(38)
	v_fmac_f32_e32 v123, v110, v188
	s_waitcnt vmcnt(37)
	v_mul_f32_e32 v114, v111, v189
	v_add_f32_e32 v113, v113, v123
	s_waitcnt vmcnt(36)
	v_fmac_f32_e32 v114, v112, v190
	v_add_f32_e32 v121, v113, v114
	ds_read_b128 v[113:116], v88 offset:480
	buffer_load_dword v227, off, s[0:3], 0 offset:268
	buffer_load_dword v228, off, s[0:3], 0 offset:264
	;; [unrolled: 1-line block ×4, first 2 shown]
	ds_read_b128 v[117:120], v88 offset:496
	buffer_load_dword v231, off, s[0:3], 0 offset:280
	buffer_load_dword v232, off, s[0:3], 0 offset:284
	;; [unrolled: 1-line block ×10, first 2 shown]
	s_waitcnt vmcnt(46) lgkmcnt(1)
	v_mul_f32_e32 v122, v113, v194
	v_fmac_f32_e32 v122, v114, v193
	v_add_f32_e32 v121, v121, v122
	s_waitcnt vmcnt(44)
	v_mul_f32_e32 v122, v115, v196
	buffer_load_dword v241, off, s[0:3], 0 offset:320
	buffer_load_dword v242, off, s[0:3], 0 offset:324
	v_fmac_f32_e32 v122, v116, v195
	v_add_f32_e32 v121, v121, v122
	s_waitcnt vmcnt(44) lgkmcnt(0)
	v_mul_f32_e32 v122, v117, v198
	v_fmac_f32_e32 v122, v118, v197
	v_add_f32_e32 v125, v121, v122
	ds_read_b128 v[121:124], v88 offset:512
	buffer_load_dword v243, off, s[0:3], 0 offset:332
	buffer_load_dword v244, off, s[0:3], 0 offset:328
	;; [unrolled: 1-line block ×4, first 2 shown]
	v_mul_f32_e32 v90, v90, v167
	v_fma_f32 v89, v89, v178, -v90
	v_mul_f32_e32 v90, v92, v168
	v_add_f32_e32 v89, 0, v89
	v_fma_f32 v90, v91, v179, -v90
	v_add_f32_e32 v89, v89, v90
	v_mul_f32_e32 v90, v94, v169
	v_fma_f32 v90, v93, v180, -v90
	v_add_f32_e32 v89, v89, v90
	v_mul_f32_e32 v90, v96, v170
	;; [unrolled: 3-line block ×5, first 2 shown]
	v_fma_f32 v90, v101, v184, -v90
	s_waitcnt vmcnt(46)
	v_mul_f32_e32 v126, v119, v200
	v_add_f32_e32 v89, v89, v90
	v_mul_f32_e32 v90, v104, v174
	v_fmac_f32_e32 v126, v120, v199
	v_fma_f32 v90, v103, v185, -v90
	v_add_f32_e32 v129, v125, v126
	ds_read_b128 v[125:128], v88 offset:528
	v_add_f32_e32 v89, v89, v90
	v_mul_f32_e32 v90, v106, v175
	s_waitcnt vmcnt(44) lgkmcnt(1)
	v_mul_f32_e32 v130, v121, v202
	v_fma_f32 v90, v105, v186, -v90
	v_fmac_f32_e32 v130, v122, v201
	v_add_f32_e32 v89, v89, v90
	v_mul_f32_e32 v90, v108, v176
	v_add_f32_e32 v129, v129, v130
	s_waitcnt vmcnt(42)
	v_mul_f32_e32 v130, v123, v204
	v_fma_f32 v90, v107, v187, -v90
	v_fmac_f32_e32 v130, v124, v203
	v_add_f32_e32 v89, v89, v90
	v_mul_f32_e32 v90, v110, v177
	v_add_f32_e32 v129, v129, v130
	s_waitcnt vmcnt(40) lgkmcnt(0)
	v_mul_f32_e32 v130, v125, v206
	v_fma_f32 v90, v109, v188, -v90
	v_fmac_f32_e32 v130, v126, v205
	v_add_f32_e32 v89, v89, v90
	v_mul_f32_e32 v90, v112, v189
	v_add_f32_e32 v133, v129, v130
	ds_read_b128 v[129:132], v88 offset:544
	v_fma_f32 v90, v111, v190, -v90
	v_add_f32_e32 v89, v89, v90
	v_mul_f32_e32 v90, v114, v194
	s_waitcnt vmcnt(38)
	v_mul_f32_e32 v134, v127, v208
	v_fma_f32 v90, v113, v193, -v90
	v_fmac_f32_e32 v134, v128, v207
	v_add_f32_e32 v89, v89, v90
	v_mul_f32_e32 v90, v116, v196
	v_add_f32_e32 v137, v133, v134
	ds_read_b128 v[133:136], v88 offset:560
	v_fma_f32 v90, v115, v195, -v90
	s_waitcnt vmcnt(36) lgkmcnt(1)
	v_mul_f32_e32 v138, v129, v210
	v_add_f32_e32 v89, v89, v90
	v_mul_f32_e32 v90, v118, v198
	v_fmac_f32_e32 v138, v130, v209
	v_fma_f32 v90, v117, v197, -v90
	v_add_f32_e32 v137, v137, v138
	s_waitcnt vmcnt(34)
	v_mul_f32_e32 v138, v131, v212
	v_add_f32_e32 v89, v89, v90
	v_mul_f32_e32 v90, v120, v200
	v_fmac_f32_e32 v138, v132, v211
	v_fma_f32 v90, v119, v199, -v90
	v_add_f32_e32 v137, v137, v138
	s_waitcnt vmcnt(32) lgkmcnt(0)
	v_mul_f32_e32 v138, v133, v214
	v_add_f32_e32 v89, v89, v90
	v_mul_f32_e32 v90, v122, v202
	v_fmac_f32_e32 v138, v134, v213
	v_fma_f32 v90, v121, v201, -v90
	v_add_f32_e32 v141, v137, v138
	ds_read_b128 v[137:140], v88 offset:576
	v_add_f32_e32 v89, v89, v90
	v_mul_f32_e32 v90, v124, v204
	v_fma_f32 v90, v123, v203, -v90
	s_waitcnt vmcnt(30)
	v_mul_f32_e32 v142, v135, v216
	v_add_f32_e32 v89, v89, v90
	v_mul_f32_e32 v90, v126, v206
	v_fmac_f32_e32 v142, v136, v215
	v_fma_f32 v90, v125, v205, -v90
	v_add_f32_e32 v145, v141, v142
	ds_read_b128 v[141:144], v88 offset:592
	v_add_f32_e32 v89, v89, v90
	v_mul_f32_e32 v90, v128, v208
	s_waitcnt vmcnt(28) lgkmcnt(1)
	v_mul_f32_e32 v146, v137, v218
	v_fma_f32 v90, v127, v207, -v90
	v_fmac_f32_e32 v146, v138, v217
	v_add_f32_e32 v89, v89, v90
	v_mul_f32_e32 v90, v130, v210
	v_add_f32_e32 v145, v145, v146
	s_waitcnt vmcnt(27)
	v_mul_f32_e32 v146, v139, v219
	v_fma_f32 v90, v129, v209, -v90
	s_waitcnt vmcnt(26)
	v_fmac_f32_e32 v146, v140, v220
	v_add_f32_e32 v89, v89, v90
	v_mul_f32_e32 v90, v132, v212
	v_add_f32_e32 v145, v145, v146
	s_waitcnt vmcnt(24) lgkmcnt(0)
	v_mul_f32_e32 v146, v141, v222
	v_fma_f32 v90, v131, v211, -v90
	v_fmac_f32_e32 v146, v142, v221
	v_add_f32_e32 v89, v89, v90
	v_mul_f32_e32 v90, v134, v214
	v_add_f32_e32 v149, v145, v146
	ds_read_b128 v[145:148], v88 offset:608
	v_fma_f32 v90, v133, v213, -v90
	v_add_f32_e32 v89, v89, v90
	v_mul_f32_e32 v90, v136, v216
	s_waitcnt vmcnt(22)
	v_mul_f32_e32 v150, v143, v224
	v_fma_f32 v90, v135, v215, -v90
	v_fmac_f32_e32 v150, v144, v223
	v_add_f32_e32 v89, v89, v90
	v_mul_f32_e32 v90, v138, v218
	v_add_f32_e32 v153, v149, v150
	ds_read_b128 v[149:152], v88 offset:624
	v_fma_f32 v90, v137, v217, -v90
	s_waitcnt vmcnt(20) lgkmcnt(1)
	v_mul_f32_e32 v154, v145, v226
	v_add_f32_e32 v89, v89, v90
	v_mul_f32_e32 v90, v140, v219
	v_fmac_f32_e32 v154, v146, v225
	v_fma_f32 v90, v139, v220, -v90
	v_add_f32_e32 v153, v153, v154
	s_waitcnt vmcnt(19)
	v_mul_f32_e32 v154, v147, v227
	v_add_f32_e32 v89, v89, v90
	v_mul_f32_e32 v90, v142, v222
	s_waitcnt vmcnt(18)
	v_fmac_f32_e32 v154, v148, v228
	v_fma_f32 v90, v141, v221, -v90
	v_add_f32_e32 v153, v153, v154
	s_waitcnt vmcnt(16) lgkmcnt(0)
	v_mul_f32_e32 v154, v149, v230
	v_add_f32_e32 v89, v89, v90
	v_mul_f32_e32 v90, v144, v224
	v_fmac_f32_e32 v154, v150, v229
	v_fma_f32 v90, v143, v223, -v90
	v_add_f32_e32 v157, v153, v154
	ds_read_b128 v[153:156], v88 offset:640
	v_add_f32_e32 v89, v89, v90
	v_mul_f32_e32 v90, v146, v226
	v_fma_f32 v90, v145, v225, -v90
	s_waitcnt vmcnt(14)
	v_mul_f32_e32 v158, v151, v232
	v_add_f32_e32 v89, v89, v90
	v_mul_f32_e32 v90, v148, v227
	v_fmac_f32_e32 v158, v152, v231
	v_fma_f32 v90, v147, v228, -v90
	v_add_f32_e32 v161, v157, v158
	ds_read_b128 v[157:160], v88 offset:656
	v_add_f32_e32 v89, v89, v90
	v_mul_f32_e32 v90, v150, v230
	s_waitcnt vmcnt(12) lgkmcnt(1)
	v_mul_f32_e32 v162, v153, v234
	v_fma_f32 v90, v149, v229, -v90
	v_fmac_f32_e32 v162, v154, v233
	v_add_f32_e32 v89, v89, v90
	v_mul_f32_e32 v90, v152, v232
	v_add_f32_e32 v161, v161, v162
	s_waitcnt vmcnt(11)
	v_mul_f32_e32 v162, v155, v235
	v_fma_f32 v90, v151, v231, -v90
	s_waitcnt vmcnt(10)
	v_fmac_f32_e32 v162, v156, v236
	v_add_f32_e32 v89, v89, v90
	v_mul_f32_e32 v90, v154, v234
	v_add_f32_e32 v161, v161, v162
	s_waitcnt vmcnt(8) lgkmcnt(0)
	v_mul_f32_e32 v162, v157, v238
	v_fma_f32 v90, v153, v233, -v90
	v_fmac_f32_e32 v162, v158, v237
	v_add_f32_e32 v89, v89, v90
	v_mul_f32_e32 v90, v156, v235
	v_add_f32_e32 v165, v161, v162
	ds_read_b128 v[161:164], v88 offset:672
	v_fma_f32 v90, v155, v236, -v90
	v_add_f32_e32 v89, v89, v90
	v_mul_f32_e32 v90, v158, v238
	s_waitcnt vmcnt(6)
	v_mul_f32_e32 v166, v159, v240
	v_fma_f32 v90, v157, v237, -v90
	v_fmac_f32_e32 v166, v160, v239
	v_add_f32_e32 v89, v89, v90
	v_mul_f32_e32 v90, v160, v240
	v_add_f32_e32 v247, v165, v166
	ds_read_b64 v[165:166], v88 offset:688
	v_fma_f32 v90, v159, v239, -v90
	v_add_f32_e32 v89, v89, v90
	s_waitcnt vmcnt(4) lgkmcnt(1)
	v_mul_f32_e32 v90, v162, v242
	v_mul_f32_e32 v248, v161, v242
	v_fma_f32 v90, v161, v241, -v90
	v_fmac_f32_e32 v248, v162, v241
	v_add_f32_e32 v89, v89, v90
	s_waitcnt vmcnt(3)
	v_mul_f32_e32 v90, v164, v243
	v_add_f32_e32 v247, v247, v248
	v_mul_f32_e32 v248, v163, v243
	s_waitcnt vmcnt(2)
	v_fma_f32 v90, v163, v244, -v90
	v_fmac_f32_e32 v248, v164, v244
	v_add_f32_e32 v89, v89, v90
	s_waitcnt vmcnt(0) lgkmcnt(0)
	v_mul_f32_e32 v90, v166, v246
	v_add_f32_e32 v247, v247, v248
	v_mul_f32_e32 v248, v165, v246
	v_fma_f32 v90, v165, v245, -v90
	v_fmac_f32_e32 v248, v166, v245
	v_add_f32_e32 v89, v89, v90
	v_add_f32_e32 v247, v247, v248
	v_sub_f32_e32 v89, v191, v89
	v_sub_f32_e32 v90, v192, v247
	buffer_store_dword v89, off, s[0:3], 0 offset:24
	buffer_store_dword v90, off, s[0:3], 0 offset:28
	s_and_saveexec_b64 s[4:5], vcc
	s_cbranch_execz .LBB42_267
; %bb.266:
	buffer_load_dword v89, off, s[0:3], 0 offset:16
	buffer_load_dword v90, off, s[0:3], 0 offset:20
	s_waitcnt vmcnt(0)
	ds_write_b64 v87, v[89:90]
	buffer_store_dword v88, off, s[0:3], 0 offset:16
	buffer_store_dword v88, off, s[0:3], 0 offset:20
.LBB42_267:
	s_or_b64 exec, exec, s[4:5]
	s_waitcnt lgkmcnt(0)
	; wave barrier
	buffer_load_dword v169, off, s[0:3], 0 offset:28
	buffer_load_dword v170, off, s[0:3], 0 offset:36
	;; [unrolled: 1-line block ×28, first 2 shown]
	ds_read2_b64 v[89:92], v88 offset0:47 offset1:48
	ds_read2_b64 v[93:96], v88 offset0:49 offset1:50
	;; [unrolled: 1-line block ×4, first 2 shown]
	buffer_load_dword v197, off, s[0:3], 0 offset:128
	buffer_load_dword v198, off, s[0:3], 0 offset:132
	ds_read2_b64 v[105:108], v88 offset0:55 offset1:56
	ds_read2_b64 v[109:112], v88 offset0:57 offset1:58
	buffer_load_dword v199, off, s[0:3], 0 offset:136
	buffer_load_dword v200, off, s[0:3], 0 offset:140
	;; [unrolled: 1-line block ×28, first 2 shown]
	v_cmp_lt_u32_e32 vcc, 1, v0
	s_waitcnt vmcnt(57) lgkmcnt(5)
	v_mul_f32_e32 v113, v89, v169
	s_waitcnt vmcnt(56)
	v_mul_f32_e32 v114, v91, v170
	s_waitcnt vmcnt(55) lgkmcnt(4)
	v_mul_f32_e32 v115, v93, v171
	s_waitcnt vmcnt(54)
	v_mul_f32_e32 v116, v95, v172
	;; [unrolled: 4-line block ×5, first 2 shown]
	s_waitcnt vmcnt(47) lgkmcnt(0)
	v_mul_f32_e32 v123, v109, v179
	s_waitcnt vmcnt(46)
	v_fmac_f32_e32 v113, v90, v180
	s_waitcnt vmcnt(45)
	v_fmac_f32_e32 v114, v92, v181
	v_add_f32_e32 v113, 0, v113
	s_waitcnt vmcnt(44)
	v_fmac_f32_e32 v115, v94, v182
	v_add_f32_e32 v113, v113, v114
	;; [unrolled: 3-line block ×10, first 2 shown]
	v_add_f32_e32 v117, v113, v123
	ds_read2_b64 v[113:116], v88 offset0:59 offset1:60
	buffer_load_dword v227, off, s[0:3], 0 offset:248
	buffer_load_dword v228, off, s[0:3], 0 offset:252
	s_waitcnt vmcnt(37)
	v_mul_f32_e32 v118, v111, v191
	s_waitcnt vmcnt(36)
	v_fmac_f32_e32 v118, v112, v192
	v_add_f32_e32 v121, v117, v118
	ds_read2_b64 v[117:120], v88 offset0:61 offset1:62
	buffer_load_dword v229, off, s[0:3], 0 offset:260
	buffer_load_dword v230, off, s[0:3], 0 offset:256
	;; [unrolled: 1-line block ×12, first 2 shown]
	s_waitcnt vmcnt(47) lgkmcnt(1)
	v_mul_f32_e32 v122, v113, v193
	s_waitcnt vmcnt(44)
	v_fmac_f32_e32 v122, v114, v196
	buffer_load_dword v241, off, s[0:3], 0 offset:304
	buffer_load_dword v242, off, s[0:3], 0 offset:308
	v_add_f32_e32 v121, v121, v122
	s_waitcnt vmcnt(44)
	v_mul_f32_e32 v122, v115, v198
	v_fmac_f32_e32 v122, v116, v197
	v_add_f32_e32 v121, v121, v122
	s_waitcnt vmcnt(42) lgkmcnt(0)
	v_mul_f32_e32 v122, v117, v200
	buffer_load_dword v243, off, s[0:3], 0 offset:312
	buffer_load_dword v244, off, s[0:3], 0 offset:316
	v_fmac_f32_e32 v122, v118, v199
	v_add_f32_e32 v121, v121, v122
	s_waitcnt vmcnt(42)
	v_mul_f32_e32 v122, v119, v202
	v_fmac_f32_e32 v122, v120, v201
	v_add_f32_e32 v129, v121, v122
	ds_read2_b64 v[121:124], v88 offset0:63 offset1:64
	buffer_load_dword v245, off, s[0:3], 0 offset:324
	buffer_load_dword v246, off, s[0:3], 0 offset:320
	buffer_load_dword v247, off, s[0:3], 0 offset:328
	buffer_load_dword v248, off, s[0:3], 0 offset:332
	ds_read2_b64 v[125:128], v88 offset0:65 offset1:66
	buffer_load_dword v249, off, s[0:3], 0 offset:336
	buffer_load_dword v250, off, s[0:3], 0 offset:340
	v_mul_f32_e32 v90, v90, v169
	v_fma_f32 v89, v89, v180, -v90
	v_mul_f32_e32 v90, v92, v170
	v_add_f32_e32 v89, 0, v89
	v_fma_f32 v90, v91, v181, -v90
	v_add_f32_e32 v89, v89, v90
	v_mul_f32_e32 v90, v94, v171
	v_fma_f32 v90, v93, v182, -v90
	v_add_f32_e32 v89, v89, v90
	v_mul_f32_e32 v90, v96, v172
	;; [unrolled: 3-line block ×7, first 2 shown]
	s_waitcnt vmcnt(46) lgkmcnt(1)
	v_mul_f32_e32 v130, v121, v204
	v_fma_f32 v90, v105, v188, -v90
	v_fmac_f32_e32 v130, v122, v203
	v_add_f32_e32 v89, v89, v90
	v_mul_f32_e32 v90, v108, v178
	v_add_f32_e32 v129, v129, v130
	s_waitcnt vmcnt(44)
	v_mul_f32_e32 v130, v123, v206
	v_fma_f32 v90, v107, v189, -v90
	v_fmac_f32_e32 v130, v124, v205
	v_add_f32_e32 v89, v89, v90
	v_mul_f32_e32 v90, v110, v179
	v_add_f32_e32 v129, v129, v130
	s_waitcnt vmcnt(42) lgkmcnt(0)
	v_mul_f32_e32 v130, v125, v208
	v_fma_f32 v90, v109, v190, -v90
	v_fmac_f32_e32 v130, v126, v207
	v_add_f32_e32 v89, v89, v90
	v_mul_f32_e32 v90, v112, v191
	v_add_f32_e32 v133, v129, v130
	ds_read2_b64 v[129:132], v88 offset0:67 offset1:68
	v_fma_f32 v90, v111, v192, -v90
	v_add_f32_e32 v89, v89, v90
	v_mul_f32_e32 v90, v114, v193
	s_waitcnt vmcnt(40)
	v_mul_f32_e32 v134, v127, v210
	v_fma_f32 v90, v113, v196, -v90
	v_fmac_f32_e32 v134, v128, v209
	v_add_f32_e32 v89, v89, v90
	v_mul_f32_e32 v90, v116, v198
	v_add_f32_e32 v137, v133, v134
	ds_read2_b64 v[133:136], v88 offset0:69 offset1:70
	v_fma_f32 v90, v115, v197, -v90
	s_waitcnt vmcnt(38) lgkmcnt(1)
	v_mul_f32_e32 v138, v129, v212
	v_add_f32_e32 v89, v89, v90
	v_mul_f32_e32 v90, v118, v200
	v_fmac_f32_e32 v138, v130, v211
	v_fma_f32 v90, v117, v199, -v90
	v_add_f32_e32 v137, v137, v138
	s_waitcnt vmcnt(36)
	v_mul_f32_e32 v138, v131, v214
	v_add_f32_e32 v89, v89, v90
	v_mul_f32_e32 v90, v120, v202
	v_fmac_f32_e32 v138, v132, v213
	v_fma_f32 v90, v119, v201, -v90
	v_add_f32_e32 v137, v137, v138
	s_waitcnt vmcnt(34) lgkmcnt(0)
	v_mul_f32_e32 v138, v133, v216
	v_add_f32_e32 v89, v89, v90
	v_mul_f32_e32 v90, v122, v204
	v_fmac_f32_e32 v138, v134, v215
	v_fma_f32 v90, v121, v203, -v90
	v_add_f32_e32 v141, v137, v138
	ds_read2_b64 v[137:140], v88 offset0:71 offset1:72
	v_add_f32_e32 v89, v89, v90
	v_mul_f32_e32 v90, v124, v206
	v_fma_f32 v90, v123, v205, -v90
	s_waitcnt vmcnt(32)
	v_mul_f32_e32 v142, v135, v218
	v_add_f32_e32 v89, v89, v90
	v_mul_f32_e32 v90, v126, v208
	v_fmac_f32_e32 v142, v136, v217
	v_fma_f32 v90, v125, v207, -v90
	v_add_f32_e32 v145, v141, v142
	ds_read2_b64 v[141:144], v88 offset0:73 offset1:74
	v_add_f32_e32 v89, v89, v90
	v_mul_f32_e32 v90, v128, v210
	s_waitcnt vmcnt(30) lgkmcnt(1)
	v_mul_f32_e32 v146, v137, v220
	v_fma_f32 v90, v127, v209, -v90
	v_fmac_f32_e32 v146, v138, v219
	v_add_f32_e32 v89, v89, v90
	v_mul_f32_e32 v90, v130, v212
	v_add_f32_e32 v145, v145, v146
	s_waitcnt vmcnt(29)
	v_mul_f32_e32 v146, v139, v221
	v_fma_f32 v90, v129, v211, -v90
	s_waitcnt vmcnt(28)
	v_fmac_f32_e32 v146, v140, v222
	v_add_f32_e32 v89, v89, v90
	v_mul_f32_e32 v90, v132, v214
	v_add_f32_e32 v145, v145, v146
	s_waitcnt vmcnt(26) lgkmcnt(0)
	v_mul_f32_e32 v146, v141, v224
	v_fma_f32 v90, v131, v213, -v90
	v_fmac_f32_e32 v146, v142, v223
	v_add_f32_e32 v89, v89, v90
	v_mul_f32_e32 v90, v134, v216
	v_add_f32_e32 v149, v145, v146
	ds_read2_b64 v[145:148], v88 offset0:75 offset1:76
	v_fma_f32 v90, v133, v215, -v90
	v_add_f32_e32 v89, v89, v90
	v_mul_f32_e32 v90, v136, v218
	s_waitcnt vmcnt(24)
	v_mul_f32_e32 v150, v143, v226
	v_fma_f32 v90, v135, v217, -v90
	v_fmac_f32_e32 v150, v144, v225
	v_add_f32_e32 v89, v89, v90
	v_mul_f32_e32 v90, v138, v220
	v_add_f32_e32 v153, v149, v150
	ds_read2_b64 v[149:152], v88 offset0:77 offset1:78
	v_fma_f32 v90, v137, v219, -v90
	s_waitcnt vmcnt(22) lgkmcnt(1)
	v_mul_f32_e32 v154, v145, v228
	v_add_f32_e32 v89, v89, v90
	v_mul_f32_e32 v90, v140, v221
	v_fmac_f32_e32 v154, v146, v227
	v_fma_f32 v90, v139, v222, -v90
	v_add_f32_e32 v153, v153, v154
	s_waitcnt vmcnt(21)
	v_mul_f32_e32 v154, v147, v229
	v_add_f32_e32 v89, v89, v90
	v_mul_f32_e32 v90, v142, v224
	s_waitcnt vmcnt(20)
	v_fmac_f32_e32 v154, v148, v230
	v_fma_f32 v90, v141, v223, -v90
	v_add_f32_e32 v153, v153, v154
	s_waitcnt vmcnt(18) lgkmcnt(0)
	v_mul_f32_e32 v154, v149, v232
	v_add_f32_e32 v89, v89, v90
	v_mul_f32_e32 v90, v144, v226
	v_fmac_f32_e32 v154, v150, v231
	v_fma_f32 v90, v143, v225, -v90
	v_add_f32_e32 v157, v153, v154
	ds_read2_b64 v[153:156], v88 offset0:79 offset1:80
	v_add_f32_e32 v89, v89, v90
	v_mul_f32_e32 v90, v146, v228
	v_fma_f32 v90, v145, v227, -v90
	s_waitcnt vmcnt(16)
	v_mul_f32_e32 v158, v151, v234
	v_add_f32_e32 v89, v89, v90
	v_mul_f32_e32 v90, v148, v229
	v_fmac_f32_e32 v158, v152, v233
	v_fma_f32 v90, v147, v230, -v90
	v_add_f32_e32 v161, v157, v158
	ds_read2_b64 v[157:160], v88 offset0:81 offset1:82
	v_add_f32_e32 v89, v89, v90
	v_mul_f32_e32 v90, v150, v232
	s_waitcnt vmcnt(14) lgkmcnt(1)
	v_mul_f32_e32 v162, v153, v236
	v_fma_f32 v90, v149, v231, -v90
	v_fmac_f32_e32 v162, v154, v235
	v_add_f32_e32 v89, v89, v90
	v_mul_f32_e32 v90, v152, v234
	v_add_f32_e32 v161, v161, v162
	s_waitcnt vmcnt(13)
	v_mul_f32_e32 v162, v155, v237
	v_fma_f32 v90, v151, v233, -v90
	s_waitcnt vmcnt(12)
	v_fmac_f32_e32 v162, v156, v238
	v_add_f32_e32 v89, v89, v90
	v_mul_f32_e32 v90, v154, v236
	v_add_f32_e32 v161, v161, v162
	s_waitcnt vmcnt(10) lgkmcnt(0)
	v_mul_f32_e32 v162, v157, v240
	v_fma_f32 v90, v153, v235, -v90
	v_fmac_f32_e32 v162, v158, v239
	v_add_f32_e32 v89, v89, v90
	v_mul_f32_e32 v90, v156, v237
	v_add_f32_e32 v165, v161, v162
	ds_read2_b64 v[161:164], v88 offset0:83 offset1:84
	v_fma_f32 v90, v155, v238, -v90
	v_add_f32_e32 v89, v89, v90
	v_mul_f32_e32 v90, v158, v240
	s_waitcnt vmcnt(8)
	v_mul_f32_e32 v166, v159, v242
	v_fma_f32 v90, v157, v239, -v90
	v_fmac_f32_e32 v166, v160, v241
	v_add_f32_e32 v89, v89, v90
	v_mul_f32_e32 v90, v160, v242
	v_add_f32_e32 v251, v165, v166
	ds_read2_b64 v[165:168], v88 offset0:85 offset1:86
	v_fma_f32 v90, v159, v241, -v90
	v_add_f32_e32 v89, v89, v90
	s_waitcnt vmcnt(6) lgkmcnt(1)
	v_mul_f32_e32 v90, v162, v244
	v_mul_f32_e32 v88, v161, v244
	v_fma_f32 v90, v161, v243, -v90
	v_fmac_f32_e32 v88, v162, v243
	v_add_f32_e32 v89, v89, v90
	s_waitcnt vmcnt(5)
	v_mul_f32_e32 v90, v164, v245
	v_add_f32_e32 v88, v251, v88
	v_mul_f32_e32 v251, v163, v245
	s_waitcnt vmcnt(4)
	v_fma_f32 v90, v163, v246, -v90
	v_fmac_f32_e32 v251, v164, v246
	v_add_f32_e32 v89, v89, v90
	s_waitcnt vmcnt(2) lgkmcnt(0)
	v_mul_f32_e32 v90, v166, v248
	v_add_f32_e32 v88, v88, v251
	v_mul_f32_e32 v251, v165, v248
	v_fma_f32 v90, v165, v247, -v90
	v_fmac_f32_e32 v251, v166, v247
	v_add_f32_e32 v89, v89, v90
	s_waitcnt vmcnt(0)
	v_mul_f32_e32 v90, v168, v250
	v_add_f32_e32 v88, v88, v251
	v_mul_f32_e32 v251, v167, v250
	v_fma_f32 v90, v167, v249, -v90
	v_fmac_f32_e32 v251, v168, v249
	v_add_f32_e32 v89, v89, v90
	v_add_f32_e32 v88, v88, v251
	v_sub_f32_e32 v89, v194, v89
	v_sub_f32_e32 v88, v195, v88
	buffer_store_dword v89, off, s[0:3], 0 offset:16
	buffer_store_dword v88, off, s[0:3], 0 offset:20
	s_and_saveexec_b64 s[4:5], vcc
	s_cbranch_execz .LBB42_269
; %bb.268:
	buffer_load_dword v88, off, s[0:3], 0 offset:8
	buffer_load_dword v89, off, s[0:3], 0 offset:12
	v_mov_b32_e32 v90, 0
	buffer_store_dword v90, off, s[0:3], 0 offset:8
	buffer_store_dword v90, off, s[0:3], 0 offset:12
	s_waitcnt vmcnt(2)
	ds_write_b64 v87, v[88:89]
.LBB42_269:
	s_or_b64 exec, exec, s[4:5]
	s_waitcnt lgkmcnt(0)
	; wave barrier
	buffer_load_dword v97, off, s[0:3], 0 offset:20
	buffer_load_dword v96, off, s[0:3], 0 offset:28
	buffer_load_dword v95, off, s[0:3], 0 offset:36
	buffer_load_dword v94, off, s[0:3], 0 offset:44
	buffer_load_dword v93, off, s[0:3], 0 offset:52
	buffer_load_dword v92, off, s[0:3], 0 offset:60
	buffer_load_dword v91, off, s[0:3], 0 offset:68
	buffer_load_dword v180, off, s[0:3], 0 offset:76
	buffer_load_dword v181, off, s[0:3], 0 offset:84
	buffer_load_dword v182, off, s[0:3], 0 offset:92
	buffer_load_dword v183, off, s[0:3], 0 offset:100
	buffer_load_dword v184, off, s[0:3], 0 offset:32
	buffer_load_dword v185, off, s[0:3], 0 offset:24
	buffer_load_dword v186, off, s[0:3], 0 offset:16
	buffer_load_dword v187, off, s[0:3], 0 offset:64
	buffer_load_dword v188, off, s[0:3], 0 offset:56
	buffer_load_dword v189, off, s[0:3], 0 offset:48
	buffer_load_dword v190, off, s[0:3], 0 offset:40
	buffer_load_dword v191, off, s[0:3], 0 offset:96
	buffer_load_dword v192, off, s[0:3], 0 offset:88
	buffer_load_dword v193, off, s[0:3], 0 offset:80
	buffer_load_dword v194, off, s[0:3], 0 offset:72
	buffer_load_dword v195, off, s[0:3], 0 offset:108
	buffer_load_dword v196, off, s[0:3], 0 offset:120
	buffer_load_dword v197, off, s[0:3], 0 offset:124
	buffer_load_dword v198, off, s[0:3], 0 offset:128
	buffer_load_dword v199, off, s[0:3], 0 offset:132
	buffer_load_dword v200, off, s[0:3], 0 offset:112
	buffer_load_dword v201, off, s[0:3], 0 offset:104
	buffer_load_dword v202, off, s[0:3], 0 offset:116
	buffer_load_dword v89, off, s[0:3], 0 offset:8
	buffer_load_dword v90, off, s[0:3], 0 offset:12
	buffer_load_dword v203, off, s[0:3], 0 offset:136
	buffer_load_dword v204, off, s[0:3], 0 offset:140
	buffer_load_dword v205, off, s[0:3], 0 offset:144
	buffer_load_dword v206, off, s[0:3], 0 offset:148
	buffer_load_dword v207, off, s[0:3], 0 offset:152
	buffer_load_dword v208, off, s[0:3], 0 offset:156
	buffer_load_dword v209, off, s[0:3], 0 offset:160
	buffer_load_dword v210, off, s[0:3], 0 offset:164
	buffer_load_dword v211, off, s[0:3], 0 offset:168
	buffer_load_dword v212, off, s[0:3], 0 offset:172
	buffer_load_dword v213, off, s[0:3], 0 offset:176
	buffer_load_dword v214, off, s[0:3], 0 offset:180
	buffer_load_dword v215, off, s[0:3], 0 offset:184
	buffer_load_dword v216, off, s[0:3], 0 offset:188
	buffer_load_dword v217, off, s[0:3], 0 offset:192
	buffer_load_dword v218, off, s[0:3], 0 offset:196
	buffer_load_dword v219, off, s[0:3], 0 offset:200
	buffer_load_dword v220, off, s[0:3], 0 offset:204
	v_mov_b32_e32 v88, 0
	ds_read_b128 v[98:101], v88 offset:368
	ds_read_b128 v[102:105], v88 offset:384
	;; [unrolled: 1-line block ×6, first 2 shown]
	buffer_load_dword v221, off, s[0:3], 0 offset:208
	buffer_load_dword v222, off, s[0:3], 0 offset:212
	buffer_load_dword v223, off, s[0:3], 0 offset:220
	buffer_load_dword v224, off, s[0:3], 0 offset:224
	buffer_load_dword v225, off, s[0:3], 0 offset:228
	buffer_load_dword v226, off, s[0:3], 0 offset:216
	v_cmp_ne_u32_e32 vcc, 0, v0
	s_waitcnt vmcnt(55) lgkmcnt(5)
	v_mul_f32_e32 v122, v98, v97
	s_waitcnt vmcnt(54)
	v_mul_f32_e32 v123, v100, v96
	s_waitcnt vmcnt(53) lgkmcnt(4)
	v_mul_f32_e32 v124, v102, v95
	s_waitcnt vmcnt(52)
	v_mul_f32_e32 v125, v104, v94
	;; [unrolled: 4-line block ×5, first 2 shown]
	s_waitcnt vmcnt(45) lgkmcnt(0)
	v_mul_f32_e32 v132, v118, v183
	s_waitcnt vmcnt(44)
	v_fmac_f32_e32 v124, v103, v184
	s_waitcnt vmcnt(43)
	v_fmac_f32_e32 v123, v101, v185
	;; [unrolled: 2-line block ×3, first 2 shown]
	v_add_f32_e32 v122, 0, v122
	v_add_f32_e32 v122, v122, v123
	;; [unrolled: 1-line block ×3, first 2 shown]
	s_waitcnt vmcnt(38)
	v_fmac_f32_e32 v125, v105, v190
	v_fmac_f32_e32 v126, v107, v189
	v_add_f32_e32 v122, v122, v125
	v_fmac_f32_e32 v127, v109, v188
	v_add_f32_e32 v122, v122, v126
	;; [unrolled: 2-line block ×3, first 2 shown]
	s_waitcnt vmcnt(34)
	v_fmac_f32_e32 v129, v113, v194
	v_add_f32_e32 v122, v122, v128
	v_fmac_f32_e32 v130, v115, v193
	v_add_f32_e32 v122, v122, v129
	;; [unrolled: 2-line block ×4, first 2 shown]
	v_add_f32_e32 v126, v122, v132
	ds_read_b128 v[122:125], v88 offset:464
	buffer_load_dword v227, off, s[0:3], 0 offset:232
	buffer_load_dword v228, off, s[0:3], 0 offset:236
	s_waitcnt vmcnt(35)
	v_mul_f32_e32 v127, v120, v195
	s_waitcnt vmcnt(29)
	v_fmac_f32_e32 v127, v121, v201
	v_add_f32_e32 v130, v126, v127
	ds_read_b128 v[126:129], v88 offset:480
	buffer_load_dword v229, off, s[0:3], 0 offset:240
	buffer_load_dword v230, off, s[0:3], 0 offset:244
	;; [unrolled: 1-line block ×14, first 2 shown]
	s_waitcnt vmcnt(42) lgkmcnt(1)
	v_mul_f32_e32 v131, v122, v202
	v_fmac_f32_e32 v131, v123, v200
	buffer_load_dword v243, off, s[0:3], 0 offset:296
	buffer_load_dword v244, off, s[0:3], 0 offset:300
	v_add_f32_e32 v130, v130, v131
	v_mul_f32_e32 v131, v124, v197
	v_fmac_f32_e32 v131, v125, v196
	v_add_f32_e32 v130, v130, v131
	s_waitcnt lgkmcnt(0)
	v_mul_f32_e32 v131, v126, v199
	v_fmac_f32_e32 v131, v127, v198
	v_add_f32_e32 v134, v130, v131
	ds_read_b128 v[130:133], v88 offset:496
	buffer_load_dword v245, off, s[0:3], 0 offset:304
	buffer_load_dword v246, off, s[0:3], 0 offset:308
	;; [unrolled: 1-line block ×6, first 2 shown]
	s_waitcnt vmcnt(46)
	v_mul_f32_e32 v135, v128, v204
	v_fmac_f32_e32 v135, v129, v203
	v_add_f32_e32 v138, v134, v135
	ds_read_b128 v[134:137], v88 offset:512
	buffer_load_dword v251, off, s[0:3], 0 offset:332
	buffer_load_dword v252, off, s[0:3], 0 offset:336
	;; [unrolled: 1-line block ×4, first 2 shown]
	s_waitcnt vmcnt(48) lgkmcnt(1)
	v_mul_f32_e32 v139, v130, v206
	v_fmac_f32_e32 v139, v131, v205
	v_add_f32_e32 v138, v138, v139
	s_waitcnt vmcnt(46)
	v_mul_f32_e32 v139, v132, v208
	v_fmac_f32_e32 v139, v133, v207
	v_add_f32_e32 v138, v138, v139
	s_waitcnt vmcnt(44) lgkmcnt(0)
	v_mul_f32_e32 v139, v134, v210
	v_fmac_f32_e32 v139, v135, v209
	v_add_f32_e32 v142, v138, v139
	ds_read_b128 v[138:141], v88 offset:528
	s_waitcnt vmcnt(42)
	v_mul_f32_e32 v143, v136, v212
	v_fmac_f32_e32 v143, v137, v211
	v_add_f32_e32 v146, v142, v143
	ds_read_b128 v[142:145], v88 offset:544
	s_waitcnt vmcnt(40) lgkmcnt(1)
	v_mul_f32_e32 v147, v138, v214
	v_fmac_f32_e32 v147, v139, v213
	v_add_f32_e32 v146, v146, v147
	s_waitcnt vmcnt(38)
	v_mul_f32_e32 v147, v140, v216
	v_fmac_f32_e32 v147, v141, v215
	v_add_f32_e32 v146, v146, v147
	s_waitcnt vmcnt(36) lgkmcnt(0)
	v_mul_f32_e32 v147, v142, v218
	v_fmac_f32_e32 v147, v143, v217
	v_add_f32_e32 v150, v146, v147
	ds_read_b128 v[146:149], v88 offset:560
	s_waitcnt vmcnt(34)
	v_mul_f32_e32 v151, v144, v220
	v_fmac_f32_e32 v151, v145, v219
	v_add_f32_e32 v154, v150, v151
	ds_read_b128 v[150:153], v88 offset:576
	s_waitcnt vmcnt(32) lgkmcnt(1)
	v_mul_f32_e32 v155, v146, v222
	v_fmac_f32_e32 v155, v147, v221
	v_add_f32_e32 v154, v154, v155
	s_waitcnt vmcnt(31)
	v_mul_f32_e32 v155, v148, v223
	s_waitcnt vmcnt(28)
	v_fmac_f32_e32 v155, v149, v226
	v_add_f32_e32 v154, v154, v155
	s_waitcnt lgkmcnt(0)
	v_mul_f32_e32 v155, v150, v225
	v_fmac_f32_e32 v155, v151, v224
	v_add_f32_e32 v158, v154, v155
	ds_read_b128 v[154:157], v88 offset:592
	v_mul_f32_e32 v96, v101, v96
	v_fma_f32 v96, v100, v185, -v96
	v_mul_f32_e32 v95, v103, v95
	v_fma_f32 v95, v102, v184, -v95
	;; [unrolled: 2-line block ×6, first 2 shown]
	s_waitcnt vmcnt(26)
	v_mul_f32_e32 v159, v152, v228
	v_fmac_f32_e32 v159, v153, v227
	v_add_f32_e32 v162, v158, v159
	ds_read_b128 v[158:161], v88 offset:608
	s_waitcnt vmcnt(24) lgkmcnt(1)
	v_mul_f32_e32 v163, v154, v230
	v_fmac_f32_e32 v163, v155, v229
	v_add_f32_e32 v162, v162, v163
	s_waitcnt vmcnt(23)
	v_mul_f32_e32 v163, v156, v231
	s_waitcnt vmcnt(20)
	v_fmac_f32_e32 v163, v157, v234
	v_add_f32_e32 v162, v162, v163
	s_waitcnt lgkmcnt(0)
	v_mul_f32_e32 v163, v158, v233
	v_fmac_f32_e32 v163, v159, v232
	v_add_f32_e32 v166, v162, v163
	ds_read_b128 v[162:165], v88 offset:624
	s_waitcnt vmcnt(18)
	v_mul_f32_e32 v167, v160, v236
	v_fmac_f32_e32 v167, v161, v235
	v_add_f32_e32 v170, v166, v167
	ds_read_b128 v[166:169], v88 offset:640
	s_waitcnt vmcnt(16) lgkmcnt(1)
	v_mul_f32_e32 v171, v162, v238
	v_fmac_f32_e32 v171, v163, v237
	v_add_f32_e32 v170, v170, v171
	s_waitcnt vmcnt(15)
	v_mul_f32_e32 v171, v164, v239
	s_waitcnt vmcnt(12)
	v_fmac_f32_e32 v171, v165, v242
	v_add_f32_e32 v170, v170, v171
	s_waitcnt lgkmcnt(0)
	v_mul_f32_e32 v171, v166, v241
	v_fmac_f32_e32 v171, v167, v240
	v_add_f32_e32 v174, v170, v171
	ds_read_b128 v[170:173], v88 offset:656
	s_waitcnt vmcnt(10)
	v_mul_f32_e32 v175, v168, v244
	v_fmac_f32_e32 v175, v169, v243
	v_add_f32_e32 v178, v174, v175
	ds_read_b128 v[174:177], v88 offset:672
	s_waitcnt vmcnt(8) lgkmcnt(1)
	v_mul_f32_e32 v179, v170, v246
	v_fmac_f32_e32 v179, v171, v245
	v_add_f32_e32 v178, v178, v179
	s_waitcnt vmcnt(7)
	v_mul_f32_e32 v179, v172, v247
	s_waitcnt vmcnt(4)
	v_fmac_f32_e32 v179, v173, v250
	v_add_f32_e32 v255, v178, v179
	ds_read_b64 v[178:179], v88 offset:688
	s_waitcnt lgkmcnt(1)
	v_mul_f32_e32 v1, v174, v249
	v_fmac_f32_e32 v1, v175, v248
	s_waitcnt vmcnt(3)
	v_mul_f32_e32 v2, v176, v251
	v_add_f32_e32 v1, v255, v1
	s_waitcnt vmcnt(0)
	v_fmac_f32_e32 v2, v177, v254
	v_add_f32_e32 v1, v1, v2
	s_waitcnt lgkmcnt(0)
	v_mul_f32_e32 v2, v178, v253
	v_fmac_f32_e32 v2, v179, v252
	v_add_f32_e32 v1, v1, v2
	v_mul_f32_e32 v2, v99, v97
	v_fma_f32 v2, v98, v186, -v2
	v_add_f32_e32 v2, 0, v2
	v_add_f32_e32 v2, v2, v96
	;; [unrolled: 1-line block ×7, first 2 shown]
	v_mul_f32_e32 v91, v113, v180
	v_fma_f32 v91, v112, v194, -v91
	v_add_f32_e32 v2, v2, v91
	v_mul_f32_e32 v91, v115, v181
	v_fma_f32 v91, v114, v193, -v91
	v_add_f32_e32 v2, v2, v91
	;; [unrolled: 3-line block ×34, first 2 shown]
	v_sub_f32_e32 v2, v89, v2
	v_sub_f32_e32 v1, v90, v1
	buffer_store_dword v2, off, s[0:3], 0 offset:8
	buffer_store_dword v1, off, s[0:3], 0 offset:12
	s_and_saveexec_b64 s[4:5], vcc
	s_cbranch_execz .LBB42_271
; %bb.270:
	buffer_load_dword v89, off, s[0:3], 0
	buffer_load_dword v90, off, s[0:3], 0 offset:4
	s_waitcnt vmcnt(0)
	ds_write_b64 v87, v[89:90]
	buffer_store_dword v88, off, s[0:3], 0
	buffer_store_dword v88, off, s[0:3], 0 offset:4
.LBB42_271:
	s_or_b64 exec, exec, s[4:5]
	s_waitcnt lgkmcnt(0)
	; wave barrier
	buffer_load_dword v0, off, s[0:3], 0 offset:12
	buffer_load_dword v1, off, s[0:3], 0 offset:20
	;; [unrolled: 1-line block ×30, first 2 shown]
	buffer_load_dword v199, off, s[0:3], 0
	buffer_load_dword v200, off, s[0:3], 0 offset:4
	ds_read2_b64 v[89:92], v88 offset0:45 offset1:46
	ds_read2_b64 v[93:96], v88 offset0:47 offset1:48
	;; [unrolled: 1-line block ×6, first 2 shown]
	buffer_load_dword v201, off, s[0:3], 0 offset:128
	buffer_load_dword v202, off, s[0:3], 0 offset:132
	;; [unrolled: 1-line block ×18, first 2 shown]
	s_and_b64 vcc, exec, s[22:23]
	s_waitcnt vmcnt(49) lgkmcnt(5)
	v_mul_f32_e32 v113, v89, v0
	s_waitcnt vmcnt(48)
	v_mul_f32_e32 v114, v91, v1
	s_waitcnt vmcnt(47) lgkmcnt(4)
	v_mul_f32_e32 v115, v93, v2
	s_waitcnt vmcnt(46)
	v_mul_f32_e32 v116, v95, v87
	;; [unrolled: 4-line block ×6, first 2 shown]
	s_waitcnt vmcnt(37)
	v_fmac_f32_e32 v115, v94, v181
	s_waitcnt vmcnt(36)
	v_fmac_f32_e32 v114, v92, v182
	;; [unrolled: 2-line block ×3, first 2 shown]
	v_add_f32_e32 v113, 0, v113
	v_add_f32_e32 v113, v113, v114
	;; [unrolled: 1-line block ×3, first 2 shown]
	s_waitcnt vmcnt(31)
	v_fmac_f32_e32 v116, v96, v187
	v_fmac_f32_e32 v117, v98, v186
	v_add_f32_e32 v113, v113, v116
	v_fmac_f32_e32 v118, v100, v185
	v_add_f32_e32 v113, v113, v117
	;; [unrolled: 2-line block ×3, first 2 shown]
	s_waitcnt vmcnt(27)
	v_fmac_f32_e32 v120, v104, v191
	v_add_f32_e32 v113, v113, v119
	v_fmac_f32_e32 v121, v106, v190
	v_add_f32_e32 v113, v113, v120
	v_fmac_f32_e32 v122, v108, v189
	v_add_f32_e32 v113, v113, v121
	v_add_f32_e32 v117, v113, v122
	ds_read2_b64 v[113:116], v88 offset0:57 offset1:58
	buffer_load_dword v219, off, s[0:3], 0 offset:200
	buffer_load_dword v220, off, s[0:3], 0 offset:204
	;; [unrolled: 1-line block ×6, first 2 shown]
	v_fmac_f32_e32 v123, v110, v188
	s_waitcnt vmcnt(27)
	v_fmac_f32_e32 v124, v112, v197
	v_add_f32_e32 v117, v117, v123
	v_add_f32_e32 v121, v117, v124
	ds_read2_b64 v[117:120], v88 offset0:59 offset1:60
	buffer_load_dword v225, off, s[0:3], 0 offset:224
	buffer_load_dword v226, off, s[0:3], 0 offset:228
	;; [unrolled: 1-line block ×10, first 2 shown]
	s_waitcnt vmcnt(36) lgkmcnt(1)
	v_mul_f32_e32 v122, v113, v198
	buffer_load_dword v235, off, s[0:3], 0 offset:264
	buffer_load_dword v236, off, s[0:3], 0 offset:268
	buffer_load_dword v237, off, s[0:3], 0 offset:276
	buffer_load_dword v238, off, s[0:3], 0 offset:280
	buffer_load_dword v239, off, s[0:3], 0 offset:284
	buffer_load_dword v240, off, s[0:3], 0 offset:272
	v_fmac_f32_e32 v122, v114, v196
	v_add_f32_e32 v121, v121, v122
	v_mul_f32_e32 v122, v115, v193
	v_fmac_f32_e32 v122, v116, v192
	v_add_f32_e32 v121, v121, v122
	s_waitcnt lgkmcnt(0)
	v_mul_f32_e32 v122, v117, v195
	v_fmac_f32_e32 v122, v118, v194
	v_add_f32_e32 v125, v121, v122
	ds_read2_b64 v[121:124], v88 offset0:61 offset1:62
	buffer_load_dword v241, off, s[0:3], 0 offset:288
	buffer_load_dword v242, off, s[0:3], 0 offset:292
	s_waitcnt vmcnt(40)
	v_mul_f32_e32 v126, v119, v202
	v_fmac_f32_e32 v126, v120, v201
	v_add_f32_e32 v129, v125, v126
	ds_read2_b64 v[125:128], v88 offset0:63 offset1:64
	buffer_load_dword v243, off, s[0:3], 0 offset:296
	buffer_load_dword v244, off, s[0:3], 0 offset:300
	;; [unrolled: 1-line block ×12, first 2 shown]
	v_mul_f32_e32 v0, v90, v0
	v_fma_f32 v0, v89, v183, -v0
	v_mul_f32_e32 v1, v92, v1
	v_add_f32_e32 v0, 0, v0
	v_fma_f32 v1, v91, v182, -v1
	v_add_f32_e32 v0, v0, v1
	v_mul_f32_e32 v1, v94, v2
	v_fma_f32 v1, v93, v181, -v1
	v_add_f32_e32 v0, v0, v1
	v_mul_f32_e32 v1, v96, v87
	;; [unrolled: 3-line block ×6, first 2 shown]
	v_fma_f32 v1, v103, v191, -v1
	s_waitcnt vmcnt(50) lgkmcnt(1)
	v_mul_f32_e32 v130, v121, v204
	v_add_f32_e32 v0, v0, v1
	v_mul_f32_e32 v1, v106, v177
	v_fmac_f32_e32 v130, v122, v203
	v_fma_f32 v1, v105, v190, -v1
	v_add_f32_e32 v129, v129, v130
	s_waitcnt vmcnt(48)
	v_mul_f32_e32 v130, v123, v206
	v_add_f32_e32 v0, v0, v1
	v_mul_f32_e32 v1, v108, v178
	v_fmac_f32_e32 v130, v124, v205
	v_fma_f32 v1, v107, v189, -v1
	v_add_f32_e32 v129, v129, v130
	s_waitcnt vmcnt(46) lgkmcnt(0)
	v_mul_f32_e32 v130, v125, v208
	v_add_f32_e32 v0, v0, v1
	v_mul_f32_e32 v1, v110, v179
	v_fmac_f32_e32 v130, v126, v207
	v_fma_f32 v1, v109, v188, -v1
	v_add_f32_e32 v133, v129, v130
	ds_read2_b64 v[129:132], v88 offset0:65 offset1:66
	v_add_f32_e32 v0, v0, v1
	v_mul_f32_e32 v1, v112, v180
	v_fma_f32 v1, v111, v197, -v1
	s_waitcnt vmcnt(44)
	v_mul_f32_e32 v134, v127, v210
	v_add_f32_e32 v0, v0, v1
	v_mul_f32_e32 v1, v114, v198
	v_fmac_f32_e32 v134, v128, v209
	v_fma_f32 v1, v113, v196, -v1
	v_add_f32_e32 v137, v133, v134
	ds_read2_b64 v[133:136], v88 offset0:67 offset1:68
	v_add_f32_e32 v0, v0, v1
	v_mul_f32_e32 v1, v116, v193
	s_waitcnt vmcnt(42) lgkmcnt(1)
	v_mul_f32_e32 v138, v129, v212
	v_fma_f32 v1, v115, v192, -v1
	v_fmac_f32_e32 v138, v130, v211
	v_add_f32_e32 v0, v0, v1
	v_mul_f32_e32 v1, v118, v195
	v_add_f32_e32 v137, v137, v138
	s_waitcnt vmcnt(40)
	v_mul_f32_e32 v138, v131, v214
	v_fma_f32 v1, v117, v194, -v1
	v_fmac_f32_e32 v138, v132, v213
	v_add_f32_e32 v0, v0, v1
	v_mul_f32_e32 v1, v120, v202
	v_add_f32_e32 v137, v137, v138
	s_waitcnt vmcnt(38) lgkmcnt(0)
	v_mul_f32_e32 v138, v133, v216
	v_fma_f32 v1, v119, v201, -v1
	v_fmac_f32_e32 v138, v134, v215
	v_add_f32_e32 v0, v0, v1
	v_mul_f32_e32 v1, v122, v204
	v_add_f32_e32 v141, v137, v138
	ds_read2_b64 v[137:140], v88 offset0:69 offset1:70
	v_fma_f32 v1, v121, v203, -v1
	v_add_f32_e32 v0, v0, v1
	v_mul_f32_e32 v1, v124, v206
	s_waitcnt vmcnt(36)
	v_mul_f32_e32 v142, v135, v218
	v_fma_f32 v1, v123, v205, -v1
	v_fmac_f32_e32 v142, v136, v217
	v_add_f32_e32 v0, v0, v1
	v_mul_f32_e32 v1, v126, v208
	v_add_f32_e32 v145, v141, v142
	ds_read2_b64 v[141:144], v88 offset0:71 offset1:72
	v_fma_f32 v1, v125, v207, -v1
	s_waitcnt vmcnt(34) lgkmcnt(1)
	v_mul_f32_e32 v146, v137, v220
	v_add_f32_e32 v0, v0, v1
	v_mul_f32_e32 v1, v128, v210
	v_fmac_f32_e32 v146, v138, v219
	v_fma_f32 v1, v127, v209, -v1
	v_add_f32_e32 v145, v145, v146
	s_waitcnt vmcnt(33)
	v_mul_f32_e32 v146, v139, v221
	v_add_f32_e32 v0, v0, v1
	v_mul_f32_e32 v1, v130, v212
	s_waitcnt vmcnt(30)
	v_fmac_f32_e32 v146, v140, v224
	v_fma_f32 v1, v129, v211, -v1
	v_add_f32_e32 v145, v145, v146
	s_waitcnt lgkmcnt(0)
	v_mul_f32_e32 v146, v141, v223
	v_add_f32_e32 v0, v0, v1
	v_mul_f32_e32 v1, v132, v214
	v_fmac_f32_e32 v146, v142, v222
	v_fma_f32 v1, v131, v213, -v1
	v_add_f32_e32 v149, v145, v146
	ds_read2_b64 v[145:148], v88 offset0:73 offset1:74
	v_add_f32_e32 v0, v0, v1
	v_mul_f32_e32 v1, v134, v216
	v_fma_f32 v1, v133, v215, -v1
	s_waitcnt vmcnt(28)
	v_mul_f32_e32 v150, v143, v226
	v_add_f32_e32 v0, v0, v1
	v_mul_f32_e32 v1, v136, v218
	v_fmac_f32_e32 v150, v144, v225
	v_fma_f32 v1, v135, v217, -v1
	v_add_f32_e32 v153, v149, v150
	ds_read2_b64 v[149:152], v88 offset0:75 offset1:76
	v_add_f32_e32 v0, v0, v1
	v_mul_f32_e32 v1, v138, v220
	s_waitcnt vmcnt(26) lgkmcnt(1)
	v_mul_f32_e32 v154, v145, v228
	v_fma_f32 v1, v137, v219, -v1
	v_fmac_f32_e32 v154, v146, v227
	v_add_f32_e32 v0, v0, v1
	v_mul_f32_e32 v1, v140, v221
	v_add_f32_e32 v153, v153, v154
	s_waitcnt vmcnt(25)
	v_mul_f32_e32 v154, v147, v229
	v_fma_f32 v1, v139, v224, -v1
	s_waitcnt vmcnt(22)
	v_fmac_f32_e32 v154, v148, v232
	v_add_f32_e32 v0, v0, v1
	v_mul_f32_e32 v1, v142, v223
	v_add_f32_e32 v153, v153, v154
	s_waitcnt lgkmcnt(0)
	v_mul_f32_e32 v154, v149, v231
	v_fma_f32 v1, v141, v222, -v1
	v_fmac_f32_e32 v154, v150, v230
	v_add_f32_e32 v0, v0, v1
	v_mul_f32_e32 v1, v144, v226
	v_add_f32_e32 v157, v153, v154
	ds_read2_b64 v[153:156], v88 offset0:77 offset1:78
	v_fma_f32 v1, v143, v225, -v1
	v_add_f32_e32 v0, v0, v1
	v_mul_f32_e32 v1, v146, v228
	s_waitcnt vmcnt(20)
	v_mul_f32_e32 v158, v151, v234
	v_fma_f32 v1, v145, v227, -v1
	v_fmac_f32_e32 v158, v152, v233
	v_add_f32_e32 v0, v0, v1
	v_mul_f32_e32 v1, v148, v229
	v_add_f32_e32 v161, v157, v158
	ds_read2_b64 v[157:160], v88 offset0:79 offset1:80
	v_fma_f32 v1, v147, v232, -v1
	s_waitcnt vmcnt(18) lgkmcnt(1)
	v_mul_f32_e32 v162, v153, v236
	v_add_f32_e32 v0, v0, v1
	v_mul_f32_e32 v1, v150, v231
	v_fmac_f32_e32 v162, v154, v235
	v_fma_f32 v1, v149, v230, -v1
	v_add_f32_e32 v161, v161, v162
	s_waitcnt vmcnt(17)
	v_mul_f32_e32 v162, v155, v237
	v_add_f32_e32 v0, v0, v1
	v_mul_f32_e32 v1, v152, v234
	s_waitcnt vmcnt(14)
	v_fmac_f32_e32 v162, v156, v240
	v_fma_f32 v1, v151, v233, -v1
	v_add_f32_e32 v161, v161, v162
	s_waitcnt lgkmcnt(0)
	v_mul_f32_e32 v162, v157, v239
	v_add_f32_e32 v0, v0, v1
	v_mul_f32_e32 v1, v154, v236
	v_fmac_f32_e32 v162, v158, v238
	v_fma_f32 v1, v153, v235, -v1
	v_add_f32_e32 v165, v161, v162
	ds_read2_b64 v[161:164], v88 offset0:81 offset1:82
	v_add_f32_e32 v0, v0, v1
	v_mul_f32_e32 v1, v156, v237
	v_fma_f32 v1, v155, v240, -v1
	v_add_f32_e32 v0, v0, v1
	v_mul_f32_e32 v1, v158, v239
	s_waitcnt vmcnt(12)
	v_mul_f32_e32 v166, v159, v242
	v_fma_f32 v1, v157, v238, -v1
	v_fmac_f32_e32 v166, v160, v241
	v_add_f32_e32 v0, v0, v1
	v_mul_f32_e32 v1, v160, v242
	v_add_f32_e32 v169, v165, v166
	ds_read2_b64 v[165:168], v88 offset0:83 offset1:84
	s_waitcnt vmcnt(10) lgkmcnt(1)
	v_mul_f32_e32 v170, v161, v244
	v_fma_f32 v1, v159, v241, -v1
	v_fmac_f32_e32 v170, v162, v243
	v_add_f32_e32 v0, v0, v1
	v_mul_f32_e32 v1, v162, v244
	v_add_f32_e32 v169, v169, v170
	s_waitcnt vmcnt(9)
	v_mul_f32_e32 v170, v163, v245
	v_fma_f32 v1, v161, v243, -v1
	s_waitcnt vmcnt(6)
	v_fmac_f32_e32 v170, v164, v248
	v_add_f32_e32 v0, v0, v1
	v_mul_f32_e32 v1, v164, v245
	v_add_f32_e32 v255, v169, v170
	ds_read2_b64 v[169:172], v88 offset0:85 offset1:86
	v_fma_f32 v1, v163, v248, -v1
	v_add_f32_e32 v0, v0, v1
	s_waitcnt lgkmcnt(1)
	v_mul_f32_e32 v1, v166, v247
	v_fma_f32 v1, v165, v246, -v1
	v_mul_f32_e32 v3, v165, v247
	v_add_f32_e32 v0, v0, v1
	s_waitcnt vmcnt(4)
	v_mul_f32_e32 v1, v168, v250
	v_fmac_f32_e32 v3, v166, v246
	v_mul_f32_e32 v4, v167, v250
	v_fma_f32 v1, v167, v249, -v1
	v_add_f32_e32 v3, v255, v3
	v_fmac_f32_e32 v4, v168, v249
	v_add_f32_e32 v0, v0, v1
	s_waitcnt vmcnt(3) lgkmcnt(0)
	v_mul_f32_e32 v1, v170, v251
	v_add_f32_e32 v3, v3, v4
	v_mul_f32_e32 v4, v169, v251
	s_waitcnt vmcnt(0)
	v_fma_f32 v1, v169, v254, -v1
	v_fmac_f32_e32 v4, v170, v254
	v_add_f32_e32 v0, v0, v1
	v_mul_f32_e32 v1, v172, v253
	v_add_f32_e32 v3, v3, v4
	v_mul_f32_e32 v4, v171, v253
	v_fma_f32 v1, v171, v252, -v1
	v_fmac_f32_e32 v4, v172, v252
	v_add_f32_e32 v0, v0, v1
	v_add_f32_e32 v3, v3, v4
	v_sub_f32_e32 v0, v199, v0
	v_sub_f32_e32 v1, v200, v3
	buffer_store_dword v0, off, s[0:3], 0
	buffer_store_dword v1, off, s[0:3], 0 offset:4
	s_cbranch_vccz .LBB42_356
; %bb.272:
	v_mov_b32_e32 v0, 0
	global_load_dword v87, v0, s[20:21] offset:164
	s_waitcnt vmcnt(0)
	v_add_u32_e32 v87, -1, v87
	v_cmp_ne_u32_e32 vcc, 41, v87
	s_cbranch_vccz .LBB42_274
; %bb.273:
	v_lshlrev_b32_e32 v1, 3, v87
	buffer_load_dword v2, v1, s[0:3], 0 offen
	buffer_load_dword v3, v1, s[0:3], 0 offen offset:4
	buffer_load_dword v4, off, s[0:3], 0 offset:328
	buffer_load_dword v87, off, s[0:3], 0 offset:332
	s_waitcnt vmcnt(3)
	buffer_store_dword v2, off, s[0:3], 0 offset:328
	s_waitcnt vmcnt(3)
	buffer_store_dword v3, off, s[0:3], 0 offset:332
	s_waitcnt vmcnt(3)
	buffer_store_dword v4, v1, s[0:3], 0 offen
	s_waitcnt vmcnt(3)
	buffer_store_dword v87, v1, s[0:3], 0 offen offset:4
.LBB42_274:
	global_load_dword v0, v0, s[20:21] offset:160
	s_waitcnt vmcnt(0)
	v_add_u32_e32 v0, -1, v0
	v_cmp_eq_u32_e32 vcc, 40, v0
	s_cbranch_vccnz .LBB42_276
; %bb.275:
	v_lshlrev_b32_e32 v0, 3, v0
	buffer_load_dword v1, v0, s[0:3], 0 offen
	buffer_load_dword v2, v0, s[0:3], 0 offen offset:4
	buffer_load_dword v3, off, s[0:3], 0 offset:324
	buffer_load_dword v4, off, s[0:3], 0 offset:320
	s_waitcnt vmcnt(3)
	buffer_store_dword v1, off, s[0:3], 0 offset:320
	s_waitcnt vmcnt(3)
	buffer_store_dword v2, off, s[0:3], 0 offset:324
	s_waitcnt vmcnt(3)
	buffer_store_dword v3, v0, s[0:3], 0 offen offset:4
	s_waitcnt vmcnt(3)
	buffer_store_dword v4, v0, s[0:3], 0 offen
.LBB42_276:
	v_mov_b32_e32 v0, 0
	global_load_dword v1, v0, s[20:21] offset:156
	s_waitcnt vmcnt(0)
	v_add_u32_e32 v87, -1, v1
	v_cmp_eq_u32_e32 vcc, 39, v87
	s_cbranch_vccnz .LBB42_278
; %bb.277:
	v_lshlrev_b32_e32 v1, 3, v87
	buffer_load_dword v2, v1, s[0:3], 0 offen
	buffer_load_dword v3, v1, s[0:3], 0 offen offset:4
	buffer_load_dword v4, off, s[0:3], 0 offset:312
	buffer_load_dword v87, off, s[0:3], 0 offset:316
	s_waitcnt vmcnt(3)
	buffer_store_dword v2, off, s[0:3], 0 offset:312
	s_waitcnt vmcnt(3)
	buffer_store_dword v3, off, s[0:3], 0 offset:316
	s_waitcnt vmcnt(3)
	buffer_store_dword v4, v1, s[0:3], 0 offen
	s_waitcnt vmcnt(3)
	buffer_store_dword v87, v1, s[0:3], 0 offen offset:4
.LBB42_278:
	global_load_dword v0, v0, s[20:21] offset:152
	s_waitcnt vmcnt(0)
	v_add_u32_e32 v0, -1, v0
	v_cmp_eq_u32_e32 vcc, 38, v0
	s_cbranch_vccnz .LBB42_280
; %bb.279:
	v_lshlrev_b32_e32 v0, 3, v0
	buffer_load_dword v1, v0, s[0:3], 0 offen
	buffer_load_dword v2, v0, s[0:3], 0 offen offset:4
	buffer_load_dword v3, off, s[0:3], 0 offset:308
	buffer_load_dword v4, off, s[0:3], 0 offset:304
	s_waitcnt vmcnt(3)
	buffer_store_dword v1, off, s[0:3], 0 offset:304
	s_waitcnt vmcnt(3)
	buffer_store_dword v2, off, s[0:3], 0 offset:308
	s_waitcnt vmcnt(3)
	buffer_store_dword v3, v0, s[0:3], 0 offen offset:4
	s_waitcnt vmcnt(3)
	buffer_store_dword v4, v0, s[0:3], 0 offen
.LBB42_280:
	v_mov_b32_e32 v0, 0
	global_load_dword v1, v0, s[20:21] offset:148
	s_waitcnt vmcnt(0)
	v_add_u32_e32 v87, -1, v1
	v_cmp_eq_u32_e32 vcc, 37, v87
	s_cbranch_vccnz .LBB42_282
; %bb.281:
	v_lshlrev_b32_e32 v1, 3, v87
	buffer_load_dword v2, v1, s[0:3], 0 offen
	buffer_load_dword v3, v1, s[0:3], 0 offen offset:4
	buffer_load_dword v4, off, s[0:3], 0 offset:296
	buffer_load_dword v87, off, s[0:3], 0 offset:300
	s_waitcnt vmcnt(3)
	buffer_store_dword v2, off, s[0:3], 0 offset:296
	s_waitcnt vmcnt(3)
	buffer_store_dword v3, off, s[0:3], 0 offset:300
	s_waitcnt vmcnt(3)
	buffer_store_dword v4, v1, s[0:3], 0 offen
	s_waitcnt vmcnt(3)
	buffer_store_dword v87, v1, s[0:3], 0 offen offset:4
.LBB42_282:
	;; [unrolled: 41-line block ×20, first 2 shown]
	global_load_dword v0, v0, s[20:21]
	s_waitcnt vmcnt(0)
	v_add_u32_e32 v0, -1, v0
	v_cmp_eq_u32_e32 vcc, 0, v0
	s_cbranch_vccnz .LBB42_356
; %bb.355:
	v_lshlrev_b32_e32 v0, 3, v0
	buffer_load_dword v1, v0, s[0:3], 0 offen
	buffer_load_dword v2, v0, s[0:3], 0 offen offset:4
	buffer_load_dword v3, off, s[0:3], 0 offset:4
	buffer_load_dword v4, off, s[0:3], 0
	s_waitcnt vmcnt(3)
	buffer_store_dword v1, off, s[0:3], 0
	s_waitcnt vmcnt(3)
	buffer_store_dword v2, off, s[0:3], 0 offset:4
	s_waitcnt vmcnt(3)
	buffer_store_dword v3, v0, s[0:3], 0 offen offset:4
	s_waitcnt vmcnt(3)
	buffer_store_dword v4, v0, s[0:3], 0 offen
.LBB42_356:
	buffer_load_dword v87, off, s[0:3], 0
	buffer_load_dword v88, off, s[0:3], 0 offset:4
	buffer_load_dword v89, off, s[0:3], 0 offset:8
	;; [unrolled: 1-line block ×85, first 2 shown]
	s_waitcnt vmcnt(62)
	global_store_dwordx2 v[75:76], v[87:88], off
	global_store_dwordx2 v[77:78], v[89:90], off
	buffer_load_dword v0, off, s[0:3], 0 offset:344 ; 4-byte Folded Reload
	buffer_load_dword v1, off, s[0:3], 0 offset:348 ; 4-byte Folded Reload
	s_waitcnt vmcnt(0)
	global_store_dwordx2 v[0:1], v[91:92], off
	buffer_load_dword v0, off, s[0:3], 0 offset:352 ; 4-byte Folded Reload
	s_nop 0
	buffer_load_dword v1, off, s[0:3], 0 offset:356 ; 4-byte Folded Reload
	s_waitcnt vmcnt(0)
	global_store_dwordx2 v[0:1], v[93:94], off
	global_store_dwordx2 v[5:6], v[95:96], off
	;; [unrolled: 1-line block ×40, first 2 shown]
	s_endpgm
	.section	.rodata,"a",@progbits
	.p2align	6, 0x0
	.amdhsa_kernel _ZN9rocsolver6v33100L18getri_kernel_smallILi43E19rocblas_complex_numIfEPS3_EEvT1_iilPiilS6_bb
		.amdhsa_group_segment_fixed_size 696
		.amdhsa_private_segment_fixed_size 368
		.amdhsa_kernarg_size 60
		.amdhsa_user_sgpr_count 6
		.amdhsa_user_sgpr_private_segment_buffer 1
		.amdhsa_user_sgpr_dispatch_ptr 0
		.amdhsa_user_sgpr_queue_ptr 0
		.amdhsa_user_sgpr_kernarg_segment_ptr 1
		.amdhsa_user_sgpr_dispatch_id 0
		.amdhsa_user_sgpr_flat_scratch_init 0
		.amdhsa_user_sgpr_private_segment_size 0
		.amdhsa_uses_dynamic_stack 0
		.amdhsa_system_sgpr_private_segment_wavefront_offset 1
		.amdhsa_system_sgpr_workgroup_id_x 1
		.amdhsa_system_sgpr_workgroup_id_y 0
		.amdhsa_system_sgpr_workgroup_id_z 0
		.amdhsa_system_sgpr_workgroup_info 0
		.amdhsa_system_vgpr_workitem_id 0
		.amdhsa_next_free_vgpr 256
		.amdhsa_next_free_sgpr 24
		.amdhsa_reserve_vcc 1
		.amdhsa_reserve_flat_scratch 0
		.amdhsa_float_round_mode_32 0
		.amdhsa_float_round_mode_16_64 0
		.amdhsa_float_denorm_mode_32 3
		.amdhsa_float_denorm_mode_16_64 3
		.amdhsa_dx10_clamp 1
		.amdhsa_ieee_mode 1
		.amdhsa_fp16_overflow 0
		.amdhsa_exception_fp_ieee_invalid_op 0
		.amdhsa_exception_fp_denorm_src 0
		.amdhsa_exception_fp_ieee_div_zero 0
		.amdhsa_exception_fp_ieee_overflow 0
		.amdhsa_exception_fp_ieee_underflow 0
		.amdhsa_exception_fp_ieee_inexact 0
		.amdhsa_exception_int_div_zero 0
	.end_amdhsa_kernel
	.section	.text._ZN9rocsolver6v33100L18getri_kernel_smallILi43E19rocblas_complex_numIfEPS3_EEvT1_iilPiilS6_bb,"axG",@progbits,_ZN9rocsolver6v33100L18getri_kernel_smallILi43E19rocblas_complex_numIfEPS3_EEvT1_iilPiilS6_bb,comdat
.Lfunc_end42:
	.size	_ZN9rocsolver6v33100L18getri_kernel_smallILi43E19rocblas_complex_numIfEPS3_EEvT1_iilPiilS6_bb, .Lfunc_end42-_ZN9rocsolver6v33100L18getri_kernel_smallILi43E19rocblas_complex_numIfEPS3_EEvT1_iilPiilS6_bb
                                        ; -- End function
	.set _ZN9rocsolver6v33100L18getri_kernel_smallILi43E19rocblas_complex_numIfEPS3_EEvT1_iilPiilS6_bb.num_vgpr, 256
	.set _ZN9rocsolver6v33100L18getri_kernel_smallILi43E19rocblas_complex_numIfEPS3_EEvT1_iilPiilS6_bb.num_agpr, 0
	.set _ZN9rocsolver6v33100L18getri_kernel_smallILi43E19rocblas_complex_numIfEPS3_EEvT1_iilPiilS6_bb.numbered_sgpr, 24
	.set _ZN9rocsolver6v33100L18getri_kernel_smallILi43E19rocblas_complex_numIfEPS3_EEvT1_iilPiilS6_bb.num_named_barrier, 0
	.set _ZN9rocsolver6v33100L18getri_kernel_smallILi43E19rocblas_complex_numIfEPS3_EEvT1_iilPiilS6_bb.private_seg_size, 368
	.set _ZN9rocsolver6v33100L18getri_kernel_smallILi43E19rocblas_complex_numIfEPS3_EEvT1_iilPiilS6_bb.uses_vcc, 1
	.set _ZN9rocsolver6v33100L18getri_kernel_smallILi43E19rocblas_complex_numIfEPS3_EEvT1_iilPiilS6_bb.uses_flat_scratch, 0
	.set _ZN9rocsolver6v33100L18getri_kernel_smallILi43E19rocblas_complex_numIfEPS3_EEvT1_iilPiilS6_bb.has_dyn_sized_stack, 0
	.set _ZN9rocsolver6v33100L18getri_kernel_smallILi43E19rocblas_complex_numIfEPS3_EEvT1_iilPiilS6_bb.has_recursion, 0
	.set _ZN9rocsolver6v33100L18getri_kernel_smallILi43E19rocblas_complex_numIfEPS3_EEvT1_iilPiilS6_bb.has_indirect_call, 0
	.section	.AMDGPU.csdata,"",@progbits
; Kernel info:
; codeLenInByte = 72016
; TotalNumSgprs: 28
; NumVgprs: 256
; ScratchSize: 368
; MemoryBound: 0
; FloatMode: 240
; IeeeMode: 1
; LDSByteSize: 696 bytes/workgroup (compile time only)
; SGPRBlocks: 3
; VGPRBlocks: 63
; NumSGPRsForWavesPerEU: 28
; NumVGPRsForWavesPerEU: 256
; Occupancy: 1
; WaveLimiterHint : 1
; COMPUTE_PGM_RSRC2:SCRATCH_EN: 1
; COMPUTE_PGM_RSRC2:USER_SGPR: 6
; COMPUTE_PGM_RSRC2:TRAP_HANDLER: 0
; COMPUTE_PGM_RSRC2:TGID_X_EN: 1
; COMPUTE_PGM_RSRC2:TGID_Y_EN: 0
; COMPUTE_PGM_RSRC2:TGID_Z_EN: 0
; COMPUTE_PGM_RSRC2:TIDIG_COMP_CNT: 0
	.section	.text._ZN9rocsolver6v33100L18getri_kernel_smallILi44E19rocblas_complex_numIfEPS3_EEvT1_iilPiilS6_bb,"axG",@progbits,_ZN9rocsolver6v33100L18getri_kernel_smallILi44E19rocblas_complex_numIfEPS3_EEvT1_iilPiilS6_bb,comdat
	.globl	_ZN9rocsolver6v33100L18getri_kernel_smallILi44E19rocblas_complex_numIfEPS3_EEvT1_iilPiilS6_bb ; -- Begin function _ZN9rocsolver6v33100L18getri_kernel_smallILi44E19rocblas_complex_numIfEPS3_EEvT1_iilPiilS6_bb
	.p2align	8
	.type	_ZN9rocsolver6v33100L18getri_kernel_smallILi44E19rocblas_complex_numIfEPS3_EEvT1_iilPiilS6_bb,@function
_ZN9rocsolver6v33100L18getri_kernel_smallILi44E19rocblas_complex_numIfEPS3_EEvT1_iilPiilS6_bb: ; @_ZN9rocsolver6v33100L18getri_kernel_smallILi44E19rocblas_complex_numIfEPS3_EEvT1_iilPiilS6_bb
; %bb.0:
	s_add_u32 s0, s0, s7
	s_addc_u32 s1, s1, 0
	v_cmp_gt_u32_e32 vcc, 44, v0
	s_and_saveexec_b64 s[8:9], vcc
	s_cbranch_execz .LBB43_190
; %bb.1:
	s_load_dword s12, s[4:5], 0x38
	s_load_dwordx4 s[16:19], s[4:5], 0x10
	s_load_dwordx4 s[8:11], s[4:5], 0x28
                                        ; implicit-def: $sgpr20_sgpr21
	s_waitcnt lgkmcnt(0)
	s_bitcmp1_b32 s12, 8
	s_cselect_b64 s[22:23], -1, 0
	s_ashr_i32 s7, s6, 31
	s_bfe_u32 s12, s12, 0x10008
	s_cmp_eq_u32 s12, 0
	s_cbranch_scc1 .LBB43_3
; %bb.2:
	s_load_dword s12, s[4:5], 0x20
	s_mul_i32 s13, s8, s7
	s_mul_hi_u32 s14, s8, s6
	s_mul_i32 s9, s9, s6
	s_add_i32 s14, s14, s13
	s_add_i32 s9, s14, s9
	s_mul_i32 s8, s8, s6
	s_waitcnt lgkmcnt(0)
	s_ashr_i32 s13, s12, 31
	s_lshl_b64 s[8:9], s[8:9], 2
	s_add_u32 s14, s18, s8
	s_addc_u32 s15, s19, s9
	s_lshl_b64 s[8:9], s[12:13], 2
	s_add_u32 s20, s14, s8
	s_addc_u32 s21, s15, s9
.LBB43_3:
	s_load_dwordx4 s[12:15], s[4:5], 0x0
	s_load_dword s8, s[4:5], 0x38
	s_mul_i32 s9, s16, s7
	s_mul_hi_u32 s18, s16, s6
	s_add_i32 s9, s18, s9
	s_waitcnt lgkmcnt(0)
	s_ashr_i32 s5, s14, 31
	s_mov_b32 s4, s14
	s_mul_i32 s14, s17, s6
	s_add_i32 s17, s9, s14
	s_mul_i32 s16, s16, s6
	s_lshl_b64 s[16:17], s[16:17], 3
	s_add_u32 s9, s12, s16
	s_addc_u32 s12, s13, s17
	s_lshl_b64 s[4:5], s[4:5], 3
	s_add_u32 s4, s9, s4
	s_addc_u32 s5, s12, s5
	s_add_i32 s9, s15, s15
	v_add_u32_e32 v3, s9, v0
	v_ashrrev_i32_e32 v4, 31, v3
	v_lshlrev_b64 v[1:2], 3, v[3:4]
	v_add_u32_e32 v5, s15, v3
	v_mov_b32_e32 v4, s5
	v_add_co_u32_e32 v1, vcc, s4, v1
	v_ashrrev_i32_e32 v6, 31, v5
	v_addc_co_u32_e32 v2, vcc, v4, v2, vcc
	v_lshlrev_b64 v[3:4], 3, v[5:6]
	v_add_u32_e32 v7, s15, v5
	v_mov_b32_e32 v6, s5
	v_add_co_u32_e32 v3, vcc, s4, v3
	v_ashrrev_i32_e32 v8, 31, v7
	v_addc_co_u32_e32 v4, vcc, v6, v4, vcc
	;; [unrolled: 6-line block ×8, first 2 shown]
	v_lshlrev_b64 v[17:18], 3, v[19:20]
	v_mov_b32_e32 v21, s5
	v_add_co_u32_e32 v17, vcc, s4, v17
	v_addc_co_u32_e32 v18, vcc, v21, v18, vcc
	v_add_u32_e32 v21, s15, v19
	v_ashrrev_i32_e32 v22, 31, v21
	v_lshlrev_b64 v[19:20], 3, v[21:22]
	v_mov_b32_e32 v23, s5
	v_add_co_u32_e32 v19, vcc, s4, v19
	v_addc_co_u32_e32 v20, vcc, v23, v20, vcc
	v_add_u32_e32 v23, s15, v21
	v_ashrrev_i32_e32 v24, 31, v23
	;; [unrolled: 6-line block ×28, first 2 shown]
	v_lshlrev_b64 v[73:74], 3, v[75:76]
	v_mov_b32_e32 v77, s5
	v_add_co_u32_e32 v73, vcc, s4, v73
	v_addc_co_u32_e32 v74, vcc, v77, v74, vcc
	v_lshlrev_b32_e32 v91, 3, v0
	v_mov_b32_e32 v76, s5
	v_add_co_u32_e32 v77, vcc, s4, v91
	s_ashr_i32 s13, s15, 31
	s_mov_b32 s12, s15
	v_addc_co_u32_e32 v78, vcc, 0, v76, vcc
	s_lshl_b64 s[12:13], s[12:13], 3
	v_mov_b32_e32 v76, s13
	v_add_co_u32_e32 v79, vcc, s12, v77
	v_addc_co_u32_e32 v80, vcc, v78, v76, vcc
	global_load_dwordx2 v[89:90], v91, s[4:5]
	global_load_dwordx2 v[92:93], v[79:80], off
	s_nop 0
	buffer_store_dword v1, off, s[0:3], 0 offset:352 ; 4-byte Folded Spill
	s_nop 0
	buffer_store_dword v2, off, s[0:3], 0 offset:356 ; 4-byte Folded Spill
	v_add_u32_e32 v81, s15, v75
	v_ashrrev_i32_e32 v82, 31, v81
	v_lshlrev_b64 v[75:76], 3, v[81:82]
	v_mov_b32_e32 v83, s5
	v_add_co_u32_e32 v75, vcc, s4, v75
	v_addc_co_u32_e32 v76, vcc, v83, v76, vcc
	v_add_u32_e32 v83, s15, v81
	v_ashrrev_i32_e32 v84, 31, v83
	v_lshlrev_b64 v[81:82], 3, v[83:84]
	v_mov_b32_e32 v85, s5
	v_add_co_u32_e32 v81, vcc, s4, v81
	v_addc_co_u32_e32 v82, vcc, v85, v82, vcc
	;; [unrolled: 6-line block ×5, first 2 shown]
	s_bitcmp0_b32 s8, 0
	s_mov_b64 s[8:9], -1
	global_load_dwordx2 v[94:95], v[1:2], off
	s_nop 0
	buffer_store_dword v3, off, s[0:3], 0 offset:360 ; 4-byte Folded Spill
	s_nop 0
	buffer_store_dword v4, off, s[0:3], 0 offset:364 ; 4-byte Folded Spill
	global_load_dwordx2 v[96:97], v[3:4], off
	s_nop 0
	buffer_store_dword v5, off, s[0:3], 0 offset:368 ; 4-byte Folded Spill
	s_nop 0
	buffer_store_dword v6, off, s[0:3], 0 offset:372 ; 4-byte Folded Spill
	;; [unrolled: 5-line block ×4, first 2 shown]
	global_load_dwordx2 v[104:105], v[11:12], off
	global_load_dwordx2 v[102:103], v[9:10], off
	;; [unrolled: 1-line block ×35, first 2 shown]
	s_waitcnt vmcnt(50)
	buffer_store_dword v90, off, s[0:3], 0 offset:4
	buffer_store_dword v89, off, s[0:3], 0
	global_load_dwordx2 v[89:90], v[73:74], off
	s_waitcnt vmcnt(52)
	buffer_store_dword v93, off, s[0:3], 0 offset:12
	buffer_store_dword v92, off, s[0:3], 0 offset:8
	global_load_dwordx2 v[92:93], v[81:82], off
	s_waitcnt vmcnt(52)
	buffer_store_dword v95, off, s[0:3], 0 offset:20
	buffer_store_dword v94, off, s[0:3], 0 offset:16
	;; [unrolled: 4-line block ×3, first 2 shown]
	s_waitcnt vmcnt(51)
	buffer_store_dword v99, off, s[0:3], 0 offset:36
	buffer_store_dword v98, off, s[0:3], 0 offset:32
	s_waitcnt vmcnt(50)
	buffer_store_dword v101, off, s[0:3], 0 offset:44
	buffer_store_dword v100, off, s[0:3], 0 offset:40
	;; [unrolled: 3-line block ×3, first 2 shown]
	buffer_store_dword v105, off, s[0:3], 0 offset:60
	buffer_store_dword v104, off, s[0:3], 0 offset:56
	s_waitcnt vmcnt(51)
	buffer_store_dword v107, off, s[0:3], 0 offset:68
	buffer_store_dword v106, off, s[0:3], 0 offset:64
	s_waitcnt vmcnt(52)
	;; [unrolled: 3-line block ×13, first 2 shown]
	buffer_store_dword v131, off, s[0:3], 0 offset:164
	buffer_store_dword v130, off, s[0:3], 0 offset:160
	;; [unrolled: 1-line block ×4, first 2 shown]
	s_waitcnt vmcnt(62)
	buffer_store_dword v134, off, s[0:3], 0 offset:176
	buffer_store_dword v135, off, s[0:3], 0 offset:180
	;; [unrolled: 1-line block ×8, first 2 shown]
	s_waitcnt vmcnt(62)
	buffer_store_dword v143, off, s[0:3], 0 offset:212
	buffer_store_dword v142, off, s[0:3], 0 offset:208
	;; [unrolled: 1-line block ×16, first 2 shown]
	s_waitcnt vmcnt(62)
	buffer_store_dword v158, off, s[0:3], 0 offset:272
	buffer_store_dword v159, off, s[0:3], 0 offset:276
	;; [unrolled: 1-line block ×20, first 2 shown]
	s_cbranch_scc1 .LBB43_188
; %bb.4:
	v_cmp_eq_u32_e64 s[4:5], 0, v0
	s_and_saveexec_b64 s[8:9], s[4:5]
; %bb.5:
	v_mov_b32_e32 v89, 0
	ds_write_b32 v89, v89 offset:704
; %bb.6:
	s_or_b64 exec, exec, s[8:9]
	v_mov_b32_e32 v89, 0
	v_lshl_add_u32 v93, v0, 3, v89
	s_waitcnt lgkmcnt(0)
	; wave barrier
	buffer_load_dword v89, v93, s[0:3], 0 offen
	buffer_load_dword v90, v93, s[0:3], 0 offen offset:4
	s_waitcnt vmcnt(1)
	v_cmp_eq_f32_e32 vcc, 0, v89
	s_waitcnt vmcnt(0)
	v_cmp_eq_f32_e64 s[8:9], 0, v90
	s_and_b64 s[8:9], vcc, s[8:9]
	s_and_saveexec_b64 s[12:13], s[8:9]
	s_cbranch_execz .LBB43_10
; %bb.7:
	v_mov_b32_e32 v89, 0
	ds_read_b32 v92, v89 offset:704
	v_add_u32_e32 v90, 1, v0
	s_waitcnt lgkmcnt(0)
	v_readfirstlane_b32 s8, v92
	s_cmp_eq_u32 s8, 0
	s_cselect_b64 s[14:15], -1, 0
	v_cmp_gt_i32_e32 vcc, s8, v90
	s_or_b64 s[14:15], s[14:15], vcc
	s_and_b64 exec, exec, s[14:15]
	s_cbranch_execz .LBB43_10
; %bb.8:
	s_mov_b64 s[14:15], 0
	v_mov_b32_e32 v92, s8
.LBB43_9:                               ; =>This Inner Loop Header: Depth=1
	ds_cmpst_rtn_b32 v92, v89, v92, v90 offset:704
	s_waitcnt lgkmcnt(0)
	v_cmp_ne_u32_e32 vcc, 0, v92
	v_cmp_le_i32_e64 s[8:9], v92, v90
	s_and_b64 s[8:9], vcc, s[8:9]
	s_and_b64 s[8:9], exec, s[8:9]
	s_or_b64 s[14:15], s[8:9], s[14:15]
	s_andn2_b64 exec, exec, s[14:15]
	s_cbranch_execnz .LBB43_9
.LBB43_10:
	s_or_b64 exec, exec, s[12:13]
	v_mov_b32_e32 v90, 0
	; wave barrier
	ds_read_b32 v89, v90 offset:704
	s_and_saveexec_b64 s[8:9], s[4:5]
	s_cbranch_execz .LBB43_12
; %bb.11:
	s_lshl_b64 s[12:13], s[6:7], 2
	s_add_u32 s12, s10, s12
	s_addc_u32 s13, s11, s13
	s_waitcnt lgkmcnt(0)
	global_store_dword v90, v89, s[12:13]
.LBB43_12:
	s_or_b64 exec, exec, s[8:9]
	s_waitcnt lgkmcnt(0)
	v_cmp_ne_u32_e32 vcc, 0, v89
	s_mov_b64 s[8:9], 0
	s_cbranch_vccnz .LBB43_188
; %bb.13:
	buffer_load_dword v90, v93, s[0:3], 0 offen
	buffer_load_dword v92, v93, s[0:3], 0 offen offset:4
                                        ; implicit-def: $vgpr95
                                        ; implicit-def: $vgpr94
                                        ; implicit-def: $vgpr89
	s_waitcnt vmcnt(0)
	v_cmp_ngt_f32_e64 s[8:9], |v90|, |v92|
	s_and_saveexec_b64 s[12:13], s[8:9]
	s_xor_b64 s[8:9], exec, s[12:13]
	s_cbranch_execz .LBB43_15
; %bb.14:
	v_div_scale_f32 v89, s[12:13], v92, v92, v90
	v_div_scale_f32 v94, vcc, v90, v92, v90
	v_rcp_f32_e32 v95, v89
	v_fma_f32 v96, -v89, v95, 1.0
	v_fmac_f32_e32 v95, v96, v95
	v_mul_f32_e32 v96, v94, v95
	v_fma_f32 v97, -v89, v96, v94
	v_fmac_f32_e32 v96, v97, v95
	v_fma_f32 v89, -v89, v96, v94
	v_div_fmas_f32 v89, v89, v95, v96
	v_div_fixup_f32 v89, v89, v92, v90
	v_fmac_f32_e32 v92, v90, v89
	v_div_scale_f32 v90, s[12:13], v92, v92, 1.0
	v_div_scale_f32 v94, vcc, 1.0, v92, 1.0
	v_rcp_f32_e32 v95, v90
	v_fma_f32 v96, -v90, v95, 1.0
	v_fmac_f32_e32 v95, v96, v95
	v_mul_f32_e32 v96, v94, v95
	v_fma_f32 v97, -v90, v96, v94
	v_fmac_f32_e32 v96, v97, v95
	v_fma_f32 v90, -v90, v96, v94
	v_div_fmas_f32 v90, v90, v95, v96
	v_div_fixup_f32 v90, v90, v92, 1.0
	v_mul_f32_e32 v95, v89, v90
	v_xor_b32_e32 v94, 0x80000000, v90
	v_xor_b32_e32 v89, 0x80000000, v95
                                        ; implicit-def: $vgpr90
                                        ; implicit-def: $vgpr92
.LBB43_15:
	s_andn2_saveexec_b64 s[8:9], s[8:9]
	s_cbranch_execz .LBB43_17
; %bb.16:
	v_div_scale_f32 v89, s[12:13], v90, v90, v92
	v_div_scale_f32 v94, vcc, v92, v90, v92
	v_rcp_f32_e32 v95, v89
	v_fma_f32 v96, -v89, v95, 1.0
	v_fmac_f32_e32 v95, v96, v95
	v_mul_f32_e32 v96, v94, v95
	v_fma_f32 v97, -v89, v96, v94
	v_fmac_f32_e32 v96, v97, v95
	v_fma_f32 v89, -v89, v96, v94
	v_div_fmas_f32 v89, v89, v95, v96
	v_div_fixup_f32 v94, v89, v90, v92
	v_fmac_f32_e32 v90, v92, v94
	v_div_scale_f32 v89, s[12:13], v90, v90, 1.0
	v_div_scale_f32 v92, vcc, 1.0, v90, 1.0
	v_rcp_f32_e32 v95, v89
	v_fma_f32 v96, -v89, v95, 1.0
	v_fmac_f32_e32 v95, v96, v95
	v_mul_f32_e32 v96, v92, v95
	v_fma_f32 v97, -v89, v96, v92
	v_fmac_f32_e32 v96, v97, v95
	v_fma_f32 v89, -v89, v96, v92
	v_div_fmas_f32 v89, v89, v95, v96
	v_div_fixup_f32 v95, v89, v90, 1.0
	v_xor_b32_e32 v89, 0x80000000, v95
	v_mul_f32_e64 v94, v94, -v95
.LBB43_17:
	s_or_b64 exec, exec, s[8:9]
	buffer_store_dword v95, v93, s[0:3], 0 offen
	buffer_store_dword v94, v93, s[0:3], 0 offen offset:4
	buffer_load_dword v96, off, s[0:3], 0 offset:12
	s_nop 0
	buffer_load_dword v95, off, s[0:3], 0 offset:8
	v_xor_b32_e32 v90, 0x80000000, v94
	v_add_u32_e32 v92, 0x160, v91
	s_waitcnt vmcnt(0)
	ds_write2_b64 v91, v[89:90], v[95:96] offset1:44
	s_waitcnt lgkmcnt(0)
	; wave barrier
	s_and_saveexec_b64 s[8:9], s[4:5]
	s_cbranch_execz .LBB43_19
; %bb.18:
	buffer_load_dword v96, v93, s[0:3], 0 offen offset:4
	buffer_load_dword v97, v93, s[0:3], 0 offen
	ds_read_b64 v[89:90], v92
	v_mov_b32_e32 v94, 0
	ds_read_b64 v[94:95], v94 offset:8
	s_waitcnt vmcnt(1) lgkmcnt(1)
	v_mul_f32_e32 v98, v90, v96
	v_mul_f32_e32 v96, v89, v96
	s_waitcnt vmcnt(0)
	v_fmac_f32_e32 v96, v90, v97
	v_fma_f32 v89, v89, v97, -v98
	v_add_f32_e32 v90, 0, v96
	v_add_f32_e32 v89, 0, v89
	s_waitcnt lgkmcnt(0)
	v_mul_f32_e32 v96, v90, v95
	v_mul_f32_e32 v95, v89, v95
	v_fma_f32 v89, v89, v94, -v96
	v_fmac_f32_e32 v95, v90, v94
	buffer_store_dword v89, off, s[0:3], 0 offset:8
	buffer_store_dword v95, off, s[0:3], 0 offset:12
.LBB43_19:
	s_or_b64 exec, exec, s[8:9]
	; wave barrier
	buffer_load_dword v89, off, s[0:3], 0 offset:16
	buffer_load_dword v90, off, s[0:3], 0 offset:20
	v_cmp_gt_u32_e32 vcc, 2, v0
	s_waitcnt vmcnt(0)
	ds_write_b64 v92, v[89:90]
	s_waitcnt lgkmcnt(0)
	; wave barrier
	s_and_saveexec_b64 s[8:9], vcc
	s_cbranch_execz .LBB43_23
; %bb.20:
	buffer_load_dword v94, v93, s[0:3], 0 offen offset:4
	buffer_load_dword v95, v93, s[0:3], 0 offen
	ds_read_b64 v[89:90], v92
	s_waitcnt vmcnt(1) lgkmcnt(0)
	v_mul_f32_e32 v93, v90, v94
	v_mul_f32_e32 v94, v89, v94
	s_waitcnt vmcnt(0)
	v_fma_f32 v89, v89, v95, -v93
	v_fmac_f32_e32 v94, v90, v95
	v_add_f32_e32 v90, 0, v89
	v_add_f32_e32 v89, 0, v94
	s_and_saveexec_b64 s[12:13], s[4:5]
	s_cbranch_execz .LBB43_22
; %bb.21:
	buffer_load_dword v95, off, s[0:3], 0 offset:12
	buffer_load_dword v96, off, s[0:3], 0 offset:8
	v_mov_b32_e32 v93, 0
	ds_read_b64 v[93:94], v93 offset:360
	s_waitcnt vmcnt(1) lgkmcnt(0)
	v_mul_f32_e32 v97, v93, v95
	v_mul_f32_e32 v95, v94, v95
	s_waitcnt vmcnt(0)
	v_fmac_f32_e32 v97, v94, v96
	v_fma_f32 v93, v93, v96, -v95
	v_add_f32_e32 v89, v89, v97
	v_add_f32_e32 v90, v90, v93
.LBB43_22:
	s_or_b64 exec, exec, s[12:13]
	v_mov_b32_e32 v93, 0
	ds_read_b64 v[93:94], v93 offset:16
	s_waitcnt lgkmcnt(0)
	v_mul_f32_e32 v95, v89, v94
	v_mul_f32_e32 v94, v90, v94
	v_fma_f32 v90, v90, v93, -v95
	v_fmac_f32_e32 v94, v89, v93
	buffer_store_dword v90, off, s[0:3], 0 offset:16
	buffer_store_dword v94, off, s[0:3], 0 offset:20
.LBB43_23:
	s_or_b64 exec, exec, s[8:9]
	; wave barrier
	buffer_load_dword v89, off, s[0:3], 0 offset:24
	buffer_load_dword v90, off, s[0:3], 0 offset:28
	v_cmp_gt_u32_e32 vcc, 3, v0
	s_waitcnt vmcnt(0)
	ds_write_b64 v92, v[89:90]
	v_add_u32_e32 v89, -1, v0
	s_waitcnt lgkmcnt(0)
	; wave barrier
	s_and_saveexec_b64 s[4:5], vcc
	s_cbranch_execz .LBB43_27
; %bb.24:
	v_add_u32_e32 v93, -1, v0
	v_add_u32_e32 v94, 0x160, v91
	v_mov_b32_e32 v95, v91
	v_mov_b32_e32 v90, 0
	s_mov_b64 s[8:9], 0
	v_mov_b32_e32 v96, 0
.LBB43_25:                              ; =>This Inner Loop Header: Depth=1
	buffer_load_dword v99, v95, s[0:3], 0 offen offset:4
	buffer_load_dword v100, v95, s[0:3], 0 offen
	ds_read_b64 v[97:98], v94
	v_add_u32_e32 v93, 1, v93
	v_cmp_lt_u32_e32 vcc, 1, v93
	v_add_u32_e32 v94, 8, v94
	v_add_u32_e32 v95, 8, v95
	s_or_b64 s[8:9], vcc, s[8:9]
	s_waitcnt vmcnt(1) lgkmcnt(0)
	v_mul_f32_e32 v101, v98, v99
	v_mul_f32_e32 v99, v97, v99
	s_waitcnt vmcnt(0)
	v_fma_f32 v97, v97, v100, -v101
	v_fmac_f32_e32 v99, v98, v100
	v_add_f32_e32 v96, v96, v97
	v_add_f32_e32 v90, v90, v99
	s_andn2_b64 exec, exec, s[8:9]
	s_cbranch_execnz .LBB43_25
; %bb.26:
	s_or_b64 exec, exec, s[8:9]
	v_mov_b32_e32 v93, 0
	ds_read_b64 v[93:94], v93 offset:24
	s_waitcnt lgkmcnt(0)
	v_mul_f32_e32 v95, v90, v94
	v_mul_f32_e32 v94, v96, v94
	v_fma_f32 v95, v96, v93, -v95
	v_fmac_f32_e32 v94, v90, v93
	buffer_store_dword v95, off, s[0:3], 0 offset:24
	buffer_store_dword v94, off, s[0:3], 0 offset:28
.LBB43_27:
	s_or_b64 exec, exec, s[4:5]
	; wave barrier
	buffer_load_dword v93, off, s[0:3], 0 offset:32
	buffer_load_dword v94, off, s[0:3], 0 offset:36
	v_cmp_gt_u32_e32 vcc, 4, v0
	s_waitcnt vmcnt(0)
	ds_write_b64 v92, v[93:94]
	s_waitcnt lgkmcnt(0)
	; wave barrier
	s_and_saveexec_b64 s[4:5], vcc
	s_cbranch_execz .LBB43_31
; %bb.28:
	v_add_u32_e32 v93, -1, v0
	v_add_u32_e32 v94, 0x160, v91
	v_mov_b32_e32 v95, v91
	v_mov_b32_e32 v90, 0
	s_mov_b64 s[8:9], 0
	v_mov_b32_e32 v96, 0
.LBB43_29:                              ; =>This Inner Loop Header: Depth=1
	buffer_load_dword v99, v95, s[0:3], 0 offen offset:4
	buffer_load_dword v100, v95, s[0:3], 0 offen
	ds_read_b64 v[97:98], v94
	v_add_u32_e32 v93, 1, v93
	v_cmp_lt_u32_e32 vcc, 2, v93
	v_add_u32_e32 v94, 8, v94
	v_add_u32_e32 v95, 8, v95
	s_or_b64 s[8:9], vcc, s[8:9]
	s_waitcnt vmcnt(1) lgkmcnt(0)
	v_mul_f32_e32 v101, v98, v99
	v_mul_f32_e32 v99, v97, v99
	s_waitcnt vmcnt(0)
	v_fma_f32 v97, v97, v100, -v101
	v_fmac_f32_e32 v99, v98, v100
	v_add_f32_e32 v96, v96, v97
	v_add_f32_e32 v90, v90, v99
	s_andn2_b64 exec, exec, s[8:9]
	s_cbranch_execnz .LBB43_29
; %bb.30:
	s_or_b64 exec, exec, s[8:9]
	v_mov_b32_e32 v93, 0
	ds_read_b64 v[93:94], v93 offset:32
	s_waitcnt lgkmcnt(0)
	v_mul_f32_e32 v95, v90, v94
	v_mul_f32_e32 v94, v96, v94
	v_fma_f32 v95, v96, v93, -v95
	v_fmac_f32_e32 v94, v90, v93
	buffer_store_dword v95, off, s[0:3], 0 offset:32
	buffer_store_dword v94, off, s[0:3], 0 offset:36
.LBB43_31:
	s_or_b64 exec, exec, s[4:5]
	; wave barrier
	buffer_load_dword v93, off, s[0:3], 0 offset:40
	buffer_load_dword v94, off, s[0:3], 0 offset:44
	v_cmp_gt_u32_e32 vcc, 5, v0
	s_waitcnt vmcnt(0)
	ds_write_b64 v92, v[93:94]
	s_waitcnt lgkmcnt(0)
	; wave barrier
	s_and_saveexec_b64 s[4:5], vcc
	s_cbranch_execz .LBB43_35
; %bb.32:
	v_add_u32_e32 v93, -1, v0
	v_add_u32_e32 v94, 0x160, v91
	v_mov_b32_e32 v95, v91
	v_mov_b32_e32 v90, 0
	s_mov_b64 s[8:9], 0
	v_mov_b32_e32 v96, 0
.LBB43_33:                              ; =>This Inner Loop Header: Depth=1
	buffer_load_dword v99, v95, s[0:3], 0 offen offset:4
	buffer_load_dword v100, v95, s[0:3], 0 offen
	ds_read_b64 v[97:98], v94
	v_add_u32_e32 v93, 1, v93
	v_cmp_lt_u32_e32 vcc, 3, v93
	v_add_u32_e32 v94, 8, v94
	v_add_u32_e32 v95, 8, v95
	s_or_b64 s[8:9], vcc, s[8:9]
	s_waitcnt vmcnt(1) lgkmcnt(0)
	v_mul_f32_e32 v101, v98, v99
	v_mul_f32_e32 v99, v97, v99
	s_waitcnt vmcnt(0)
	v_fma_f32 v97, v97, v100, -v101
	v_fmac_f32_e32 v99, v98, v100
	v_add_f32_e32 v96, v96, v97
	v_add_f32_e32 v90, v90, v99
	s_andn2_b64 exec, exec, s[8:9]
	s_cbranch_execnz .LBB43_33
; %bb.34:
	s_or_b64 exec, exec, s[8:9]
	v_mov_b32_e32 v93, 0
	ds_read_b64 v[93:94], v93 offset:40
	s_waitcnt lgkmcnt(0)
	v_mul_f32_e32 v95, v90, v94
	v_mul_f32_e32 v94, v96, v94
	v_fma_f32 v95, v96, v93, -v95
	v_fmac_f32_e32 v94, v90, v93
	buffer_store_dword v95, off, s[0:3], 0 offset:40
	buffer_store_dword v94, off, s[0:3], 0 offset:44
.LBB43_35:
	s_or_b64 exec, exec, s[4:5]
	; wave barrier
	buffer_load_dword v93, off, s[0:3], 0 offset:48
	buffer_load_dword v94, off, s[0:3], 0 offset:52
	v_cmp_gt_u32_e32 vcc, 6, v0
	s_waitcnt vmcnt(0)
	ds_write_b64 v92, v[93:94]
	s_waitcnt lgkmcnt(0)
	; wave barrier
	s_and_saveexec_b64 s[4:5], vcc
	s_cbranch_execz .LBB43_39
; %bb.36:
	v_add_u32_e32 v93, -1, v0
	v_add_u32_e32 v94, 0x160, v91
	v_mov_b32_e32 v95, v91
	v_mov_b32_e32 v90, 0
	s_mov_b64 s[8:9], 0
	v_mov_b32_e32 v96, 0
.LBB43_37:                              ; =>This Inner Loop Header: Depth=1
	buffer_load_dword v99, v95, s[0:3], 0 offen offset:4
	buffer_load_dword v100, v95, s[0:3], 0 offen
	ds_read_b64 v[97:98], v94
	v_add_u32_e32 v93, 1, v93
	v_cmp_lt_u32_e32 vcc, 4, v93
	v_add_u32_e32 v94, 8, v94
	v_add_u32_e32 v95, 8, v95
	s_or_b64 s[8:9], vcc, s[8:9]
	s_waitcnt vmcnt(1) lgkmcnt(0)
	v_mul_f32_e32 v101, v98, v99
	v_mul_f32_e32 v99, v97, v99
	s_waitcnt vmcnt(0)
	v_fma_f32 v97, v97, v100, -v101
	v_fmac_f32_e32 v99, v98, v100
	v_add_f32_e32 v96, v96, v97
	v_add_f32_e32 v90, v90, v99
	s_andn2_b64 exec, exec, s[8:9]
	s_cbranch_execnz .LBB43_37
; %bb.38:
	s_or_b64 exec, exec, s[8:9]
	v_mov_b32_e32 v93, 0
	ds_read_b64 v[93:94], v93 offset:48
	s_waitcnt lgkmcnt(0)
	v_mul_f32_e32 v95, v90, v94
	v_mul_f32_e32 v94, v96, v94
	v_fma_f32 v95, v96, v93, -v95
	v_fmac_f32_e32 v94, v90, v93
	buffer_store_dword v95, off, s[0:3], 0 offset:48
	buffer_store_dword v94, off, s[0:3], 0 offset:52
.LBB43_39:
	s_or_b64 exec, exec, s[4:5]
	; wave barrier
	buffer_load_dword v93, off, s[0:3], 0 offset:56
	buffer_load_dword v94, off, s[0:3], 0 offset:60
	v_cmp_gt_u32_e32 vcc, 7, v0
	s_waitcnt vmcnt(0)
	ds_write_b64 v92, v[93:94]
	s_waitcnt lgkmcnt(0)
	; wave barrier
	s_and_saveexec_b64 s[4:5], vcc
	s_cbranch_execz .LBB43_43
; %bb.40:
	v_add_u32_e32 v93, -1, v0
	v_add_u32_e32 v94, 0x160, v91
	v_mov_b32_e32 v95, v91
	v_mov_b32_e32 v90, 0
	s_mov_b64 s[8:9], 0
	v_mov_b32_e32 v96, 0
.LBB43_41:                              ; =>This Inner Loop Header: Depth=1
	buffer_load_dword v99, v95, s[0:3], 0 offen offset:4
	buffer_load_dword v100, v95, s[0:3], 0 offen
	ds_read_b64 v[97:98], v94
	v_add_u32_e32 v93, 1, v93
	v_cmp_lt_u32_e32 vcc, 5, v93
	v_add_u32_e32 v94, 8, v94
	v_add_u32_e32 v95, 8, v95
	s_or_b64 s[8:9], vcc, s[8:9]
	s_waitcnt vmcnt(1) lgkmcnt(0)
	v_mul_f32_e32 v101, v98, v99
	v_mul_f32_e32 v99, v97, v99
	s_waitcnt vmcnt(0)
	v_fma_f32 v97, v97, v100, -v101
	v_fmac_f32_e32 v99, v98, v100
	v_add_f32_e32 v96, v96, v97
	v_add_f32_e32 v90, v90, v99
	s_andn2_b64 exec, exec, s[8:9]
	s_cbranch_execnz .LBB43_41
; %bb.42:
	s_or_b64 exec, exec, s[8:9]
	v_mov_b32_e32 v93, 0
	ds_read_b64 v[93:94], v93 offset:56
	s_waitcnt lgkmcnt(0)
	v_mul_f32_e32 v95, v90, v94
	v_mul_f32_e32 v94, v96, v94
	v_fma_f32 v95, v96, v93, -v95
	v_fmac_f32_e32 v94, v90, v93
	buffer_store_dword v95, off, s[0:3], 0 offset:56
	buffer_store_dword v94, off, s[0:3], 0 offset:60
.LBB43_43:
	s_or_b64 exec, exec, s[4:5]
	; wave barrier
	buffer_load_dword v93, off, s[0:3], 0 offset:64
	buffer_load_dword v94, off, s[0:3], 0 offset:68
	v_cmp_gt_u32_e32 vcc, 8, v0
	s_waitcnt vmcnt(0)
	ds_write_b64 v92, v[93:94]
	s_waitcnt lgkmcnt(0)
	; wave barrier
	s_and_saveexec_b64 s[4:5], vcc
	s_cbranch_execz .LBB43_47
; %bb.44:
	v_add_u32_e32 v93, -1, v0
	v_add_u32_e32 v94, 0x160, v91
	v_mov_b32_e32 v95, v91
	v_mov_b32_e32 v90, 0
	s_mov_b64 s[8:9], 0
	v_mov_b32_e32 v96, 0
.LBB43_45:                              ; =>This Inner Loop Header: Depth=1
	buffer_load_dword v99, v95, s[0:3], 0 offen offset:4
	buffer_load_dword v100, v95, s[0:3], 0 offen
	ds_read_b64 v[97:98], v94
	v_add_u32_e32 v93, 1, v93
	v_cmp_lt_u32_e32 vcc, 6, v93
	v_add_u32_e32 v94, 8, v94
	v_add_u32_e32 v95, 8, v95
	s_or_b64 s[8:9], vcc, s[8:9]
	s_waitcnt vmcnt(1) lgkmcnt(0)
	v_mul_f32_e32 v101, v98, v99
	v_mul_f32_e32 v99, v97, v99
	s_waitcnt vmcnt(0)
	v_fma_f32 v97, v97, v100, -v101
	v_fmac_f32_e32 v99, v98, v100
	v_add_f32_e32 v96, v96, v97
	v_add_f32_e32 v90, v90, v99
	s_andn2_b64 exec, exec, s[8:9]
	s_cbranch_execnz .LBB43_45
; %bb.46:
	s_or_b64 exec, exec, s[8:9]
	v_mov_b32_e32 v93, 0
	ds_read_b64 v[93:94], v93 offset:64
	s_waitcnt lgkmcnt(0)
	v_mul_f32_e32 v95, v90, v94
	v_mul_f32_e32 v94, v96, v94
	v_fma_f32 v95, v96, v93, -v95
	v_fmac_f32_e32 v94, v90, v93
	buffer_store_dword v95, off, s[0:3], 0 offset:64
	buffer_store_dword v94, off, s[0:3], 0 offset:68
.LBB43_47:
	s_or_b64 exec, exec, s[4:5]
	; wave barrier
	buffer_load_dword v93, off, s[0:3], 0 offset:72
	buffer_load_dword v94, off, s[0:3], 0 offset:76
	v_cmp_gt_u32_e32 vcc, 9, v0
	s_waitcnt vmcnt(0)
	ds_write_b64 v92, v[93:94]
	s_waitcnt lgkmcnt(0)
	; wave barrier
	s_and_saveexec_b64 s[4:5], vcc
	s_cbranch_execz .LBB43_51
; %bb.48:
	v_add_u32_e32 v93, -1, v0
	v_add_u32_e32 v94, 0x160, v91
	v_mov_b32_e32 v95, v91
	v_mov_b32_e32 v90, 0
	s_mov_b64 s[8:9], 0
	v_mov_b32_e32 v96, 0
.LBB43_49:                              ; =>This Inner Loop Header: Depth=1
	buffer_load_dword v99, v95, s[0:3], 0 offen offset:4
	buffer_load_dword v100, v95, s[0:3], 0 offen
	ds_read_b64 v[97:98], v94
	v_add_u32_e32 v93, 1, v93
	v_cmp_lt_u32_e32 vcc, 7, v93
	v_add_u32_e32 v94, 8, v94
	v_add_u32_e32 v95, 8, v95
	s_or_b64 s[8:9], vcc, s[8:9]
	s_waitcnt vmcnt(1) lgkmcnt(0)
	v_mul_f32_e32 v101, v98, v99
	v_mul_f32_e32 v99, v97, v99
	s_waitcnt vmcnt(0)
	v_fma_f32 v97, v97, v100, -v101
	v_fmac_f32_e32 v99, v98, v100
	v_add_f32_e32 v96, v96, v97
	v_add_f32_e32 v90, v90, v99
	s_andn2_b64 exec, exec, s[8:9]
	s_cbranch_execnz .LBB43_49
; %bb.50:
	s_or_b64 exec, exec, s[8:9]
	v_mov_b32_e32 v93, 0
	ds_read_b64 v[93:94], v93 offset:72
	s_waitcnt lgkmcnt(0)
	v_mul_f32_e32 v95, v90, v94
	v_mul_f32_e32 v94, v96, v94
	v_fma_f32 v95, v96, v93, -v95
	v_fmac_f32_e32 v94, v90, v93
	buffer_store_dword v95, off, s[0:3], 0 offset:72
	buffer_store_dword v94, off, s[0:3], 0 offset:76
.LBB43_51:
	s_or_b64 exec, exec, s[4:5]
	; wave barrier
	buffer_load_dword v93, off, s[0:3], 0 offset:80
	buffer_load_dword v94, off, s[0:3], 0 offset:84
	v_cmp_gt_u32_e32 vcc, 10, v0
	s_waitcnt vmcnt(0)
	ds_write_b64 v92, v[93:94]
	s_waitcnt lgkmcnt(0)
	; wave barrier
	s_and_saveexec_b64 s[4:5], vcc
	s_cbranch_execz .LBB43_55
; %bb.52:
	v_add_u32_e32 v93, -1, v0
	v_add_u32_e32 v94, 0x160, v91
	v_mov_b32_e32 v95, v91
	v_mov_b32_e32 v90, 0
	s_mov_b64 s[8:9], 0
	v_mov_b32_e32 v96, 0
.LBB43_53:                              ; =>This Inner Loop Header: Depth=1
	buffer_load_dword v99, v95, s[0:3], 0 offen offset:4
	buffer_load_dword v100, v95, s[0:3], 0 offen
	ds_read_b64 v[97:98], v94
	v_add_u32_e32 v93, 1, v93
	v_cmp_lt_u32_e32 vcc, 8, v93
	v_add_u32_e32 v94, 8, v94
	v_add_u32_e32 v95, 8, v95
	s_or_b64 s[8:9], vcc, s[8:9]
	s_waitcnt vmcnt(1) lgkmcnt(0)
	v_mul_f32_e32 v101, v98, v99
	v_mul_f32_e32 v99, v97, v99
	s_waitcnt vmcnt(0)
	v_fma_f32 v97, v97, v100, -v101
	v_fmac_f32_e32 v99, v98, v100
	v_add_f32_e32 v96, v96, v97
	v_add_f32_e32 v90, v90, v99
	s_andn2_b64 exec, exec, s[8:9]
	s_cbranch_execnz .LBB43_53
; %bb.54:
	s_or_b64 exec, exec, s[8:9]
	v_mov_b32_e32 v93, 0
	ds_read_b64 v[93:94], v93 offset:80
	s_waitcnt lgkmcnt(0)
	v_mul_f32_e32 v95, v90, v94
	v_mul_f32_e32 v94, v96, v94
	v_fma_f32 v95, v96, v93, -v95
	v_fmac_f32_e32 v94, v90, v93
	buffer_store_dword v95, off, s[0:3], 0 offset:80
	buffer_store_dword v94, off, s[0:3], 0 offset:84
.LBB43_55:
	s_or_b64 exec, exec, s[4:5]
	; wave barrier
	buffer_load_dword v93, off, s[0:3], 0 offset:88
	buffer_load_dword v94, off, s[0:3], 0 offset:92
	v_cmp_gt_u32_e32 vcc, 11, v0
	s_waitcnt vmcnt(0)
	ds_write_b64 v92, v[93:94]
	s_waitcnt lgkmcnt(0)
	; wave barrier
	s_and_saveexec_b64 s[4:5], vcc
	s_cbranch_execz .LBB43_59
; %bb.56:
	v_add_u32_e32 v93, -1, v0
	v_add_u32_e32 v94, 0x160, v91
	v_mov_b32_e32 v95, v91
	v_mov_b32_e32 v90, 0
	s_mov_b64 s[8:9], 0
	v_mov_b32_e32 v96, 0
.LBB43_57:                              ; =>This Inner Loop Header: Depth=1
	buffer_load_dword v99, v95, s[0:3], 0 offen offset:4
	buffer_load_dword v100, v95, s[0:3], 0 offen
	ds_read_b64 v[97:98], v94
	v_add_u32_e32 v93, 1, v93
	v_cmp_lt_u32_e32 vcc, 9, v93
	v_add_u32_e32 v94, 8, v94
	v_add_u32_e32 v95, 8, v95
	s_or_b64 s[8:9], vcc, s[8:9]
	s_waitcnt vmcnt(1) lgkmcnt(0)
	v_mul_f32_e32 v101, v98, v99
	v_mul_f32_e32 v99, v97, v99
	s_waitcnt vmcnt(0)
	v_fma_f32 v97, v97, v100, -v101
	v_fmac_f32_e32 v99, v98, v100
	v_add_f32_e32 v96, v96, v97
	v_add_f32_e32 v90, v90, v99
	s_andn2_b64 exec, exec, s[8:9]
	s_cbranch_execnz .LBB43_57
; %bb.58:
	s_or_b64 exec, exec, s[8:9]
	v_mov_b32_e32 v93, 0
	ds_read_b64 v[93:94], v93 offset:88
	s_waitcnt lgkmcnt(0)
	v_mul_f32_e32 v95, v90, v94
	v_mul_f32_e32 v94, v96, v94
	v_fma_f32 v95, v96, v93, -v95
	v_fmac_f32_e32 v94, v90, v93
	buffer_store_dword v95, off, s[0:3], 0 offset:88
	buffer_store_dword v94, off, s[0:3], 0 offset:92
.LBB43_59:
	s_or_b64 exec, exec, s[4:5]
	; wave barrier
	buffer_load_dword v93, off, s[0:3], 0 offset:96
	buffer_load_dword v94, off, s[0:3], 0 offset:100
	v_cmp_gt_u32_e32 vcc, 12, v0
	s_waitcnt vmcnt(0)
	ds_write_b64 v92, v[93:94]
	s_waitcnt lgkmcnt(0)
	; wave barrier
	s_and_saveexec_b64 s[4:5], vcc
	s_cbranch_execz .LBB43_63
; %bb.60:
	v_add_u32_e32 v93, -1, v0
	v_add_u32_e32 v94, 0x160, v91
	v_mov_b32_e32 v95, v91
	v_mov_b32_e32 v90, 0
	s_mov_b64 s[8:9], 0
	v_mov_b32_e32 v96, 0
.LBB43_61:                              ; =>This Inner Loop Header: Depth=1
	buffer_load_dword v99, v95, s[0:3], 0 offen offset:4
	buffer_load_dword v100, v95, s[0:3], 0 offen
	ds_read_b64 v[97:98], v94
	v_add_u32_e32 v93, 1, v93
	v_cmp_lt_u32_e32 vcc, 10, v93
	v_add_u32_e32 v94, 8, v94
	v_add_u32_e32 v95, 8, v95
	s_or_b64 s[8:9], vcc, s[8:9]
	s_waitcnt vmcnt(1) lgkmcnt(0)
	v_mul_f32_e32 v101, v98, v99
	v_mul_f32_e32 v99, v97, v99
	s_waitcnt vmcnt(0)
	v_fma_f32 v97, v97, v100, -v101
	v_fmac_f32_e32 v99, v98, v100
	v_add_f32_e32 v96, v96, v97
	v_add_f32_e32 v90, v90, v99
	s_andn2_b64 exec, exec, s[8:9]
	s_cbranch_execnz .LBB43_61
; %bb.62:
	s_or_b64 exec, exec, s[8:9]
	v_mov_b32_e32 v93, 0
	ds_read_b64 v[93:94], v93 offset:96
	s_waitcnt lgkmcnt(0)
	v_mul_f32_e32 v95, v90, v94
	v_mul_f32_e32 v94, v96, v94
	v_fma_f32 v95, v96, v93, -v95
	v_fmac_f32_e32 v94, v90, v93
	buffer_store_dword v95, off, s[0:3], 0 offset:96
	buffer_store_dword v94, off, s[0:3], 0 offset:100
.LBB43_63:
	s_or_b64 exec, exec, s[4:5]
	; wave barrier
	buffer_load_dword v93, off, s[0:3], 0 offset:104
	buffer_load_dword v94, off, s[0:3], 0 offset:108
	v_cmp_gt_u32_e32 vcc, 13, v0
	s_waitcnt vmcnt(0)
	ds_write_b64 v92, v[93:94]
	s_waitcnt lgkmcnt(0)
	; wave barrier
	s_and_saveexec_b64 s[4:5], vcc
	s_cbranch_execz .LBB43_67
; %bb.64:
	v_add_u32_e32 v93, -1, v0
	v_add_u32_e32 v94, 0x160, v91
	v_mov_b32_e32 v95, v91
	v_mov_b32_e32 v90, 0
	s_mov_b64 s[8:9], 0
	v_mov_b32_e32 v96, 0
.LBB43_65:                              ; =>This Inner Loop Header: Depth=1
	buffer_load_dword v99, v95, s[0:3], 0 offen offset:4
	buffer_load_dword v100, v95, s[0:3], 0 offen
	ds_read_b64 v[97:98], v94
	v_add_u32_e32 v93, 1, v93
	v_cmp_lt_u32_e32 vcc, 11, v93
	v_add_u32_e32 v94, 8, v94
	v_add_u32_e32 v95, 8, v95
	s_or_b64 s[8:9], vcc, s[8:9]
	s_waitcnt vmcnt(1) lgkmcnt(0)
	v_mul_f32_e32 v101, v98, v99
	v_mul_f32_e32 v99, v97, v99
	s_waitcnt vmcnt(0)
	v_fma_f32 v97, v97, v100, -v101
	v_fmac_f32_e32 v99, v98, v100
	v_add_f32_e32 v96, v96, v97
	v_add_f32_e32 v90, v90, v99
	s_andn2_b64 exec, exec, s[8:9]
	s_cbranch_execnz .LBB43_65
; %bb.66:
	s_or_b64 exec, exec, s[8:9]
	v_mov_b32_e32 v93, 0
	ds_read_b64 v[93:94], v93 offset:104
	s_waitcnt lgkmcnt(0)
	v_mul_f32_e32 v95, v90, v94
	v_mul_f32_e32 v94, v96, v94
	v_fma_f32 v95, v96, v93, -v95
	v_fmac_f32_e32 v94, v90, v93
	buffer_store_dword v95, off, s[0:3], 0 offset:104
	buffer_store_dword v94, off, s[0:3], 0 offset:108
.LBB43_67:
	s_or_b64 exec, exec, s[4:5]
	; wave barrier
	buffer_load_dword v93, off, s[0:3], 0 offset:112
	buffer_load_dword v94, off, s[0:3], 0 offset:116
	v_cmp_gt_u32_e32 vcc, 14, v0
	s_waitcnt vmcnt(0)
	ds_write_b64 v92, v[93:94]
	s_waitcnt lgkmcnt(0)
	; wave barrier
	s_and_saveexec_b64 s[4:5], vcc
	s_cbranch_execz .LBB43_71
; %bb.68:
	v_add_u32_e32 v93, -1, v0
	v_add_u32_e32 v94, 0x160, v91
	v_mov_b32_e32 v95, v91
	v_mov_b32_e32 v90, 0
	s_mov_b64 s[8:9], 0
	v_mov_b32_e32 v96, 0
.LBB43_69:                              ; =>This Inner Loop Header: Depth=1
	buffer_load_dword v99, v95, s[0:3], 0 offen offset:4
	buffer_load_dword v100, v95, s[0:3], 0 offen
	ds_read_b64 v[97:98], v94
	v_add_u32_e32 v93, 1, v93
	v_cmp_lt_u32_e32 vcc, 12, v93
	v_add_u32_e32 v94, 8, v94
	v_add_u32_e32 v95, 8, v95
	s_or_b64 s[8:9], vcc, s[8:9]
	s_waitcnt vmcnt(1) lgkmcnt(0)
	v_mul_f32_e32 v101, v98, v99
	v_mul_f32_e32 v99, v97, v99
	s_waitcnt vmcnt(0)
	v_fma_f32 v97, v97, v100, -v101
	v_fmac_f32_e32 v99, v98, v100
	v_add_f32_e32 v96, v96, v97
	v_add_f32_e32 v90, v90, v99
	s_andn2_b64 exec, exec, s[8:9]
	s_cbranch_execnz .LBB43_69
; %bb.70:
	s_or_b64 exec, exec, s[8:9]
	v_mov_b32_e32 v93, 0
	ds_read_b64 v[93:94], v93 offset:112
	s_waitcnt lgkmcnt(0)
	v_mul_f32_e32 v95, v90, v94
	v_mul_f32_e32 v94, v96, v94
	v_fma_f32 v95, v96, v93, -v95
	v_fmac_f32_e32 v94, v90, v93
	buffer_store_dword v95, off, s[0:3], 0 offset:112
	buffer_store_dword v94, off, s[0:3], 0 offset:116
.LBB43_71:
	s_or_b64 exec, exec, s[4:5]
	; wave barrier
	buffer_load_dword v93, off, s[0:3], 0 offset:120
	buffer_load_dword v94, off, s[0:3], 0 offset:124
	v_cmp_gt_u32_e32 vcc, 15, v0
	s_waitcnt vmcnt(0)
	ds_write_b64 v92, v[93:94]
	s_waitcnt lgkmcnt(0)
	; wave barrier
	s_and_saveexec_b64 s[4:5], vcc
	s_cbranch_execz .LBB43_75
; %bb.72:
	v_add_u32_e32 v93, -1, v0
	v_add_u32_e32 v94, 0x160, v91
	v_mov_b32_e32 v95, v91
	v_mov_b32_e32 v90, 0
	s_mov_b64 s[8:9], 0
	v_mov_b32_e32 v96, 0
.LBB43_73:                              ; =>This Inner Loop Header: Depth=1
	buffer_load_dword v99, v95, s[0:3], 0 offen offset:4
	buffer_load_dword v100, v95, s[0:3], 0 offen
	ds_read_b64 v[97:98], v94
	v_add_u32_e32 v93, 1, v93
	v_cmp_lt_u32_e32 vcc, 13, v93
	v_add_u32_e32 v94, 8, v94
	v_add_u32_e32 v95, 8, v95
	s_or_b64 s[8:9], vcc, s[8:9]
	s_waitcnt vmcnt(1) lgkmcnt(0)
	v_mul_f32_e32 v101, v98, v99
	v_mul_f32_e32 v99, v97, v99
	s_waitcnt vmcnt(0)
	v_fma_f32 v97, v97, v100, -v101
	v_fmac_f32_e32 v99, v98, v100
	v_add_f32_e32 v96, v96, v97
	v_add_f32_e32 v90, v90, v99
	s_andn2_b64 exec, exec, s[8:9]
	s_cbranch_execnz .LBB43_73
; %bb.74:
	s_or_b64 exec, exec, s[8:9]
	v_mov_b32_e32 v93, 0
	ds_read_b64 v[93:94], v93 offset:120
	s_waitcnt lgkmcnt(0)
	v_mul_f32_e32 v95, v90, v94
	v_mul_f32_e32 v94, v96, v94
	v_fma_f32 v95, v96, v93, -v95
	v_fmac_f32_e32 v94, v90, v93
	buffer_store_dword v95, off, s[0:3], 0 offset:120
	buffer_store_dword v94, off, s[0:3], 0 offset:124
.LBB43_75:
	s_or_b64 exec, exec, s[4:5]
	; wave barrier
	buffer_load_dword v93, off, s[0:3], 0 offset:128
	buffer_load_dword v94, off, s[0:3], 0 offset:132
	v_cmp_gt_u32_e32 vcc, 16, v0
	s_waitcnt vmcnt(0)
	ds_write_b64 v92, v[93:94]
	s_waitcnt lgkmcnt(0)
	; wave barrier
	s_and_saveexec_b64 s[4:5], vcc
	s_cbranch_execz .LBB43_79
; %bb.76:
	v_add_u32_e32 v93, -1, v0
	v_add_u32_e32 v94, 0x160, v91
	v_mov_b32_e32 v95, v91
	v_mov_b32_e32 v90, 0
	s_mov_b64 s[8:9], 0
	v_mov_b32_e32 v96, 0
.LBB43_77:                              ; =>This Inner Loop Header: Depth=1
	buffer_load_dword v99, v95, s[0:3], 0 offen offset:4
	buffer_load_dword v100, v95, s[0:3], 0 offen
	ds_read_b64 v[97:98], v94
	v_add_u32_e32 v93, 1, v93
	v_cmp_lt_u32_e32 vcc, 14, v93
	v_add_u32_e32 v94, 8, v94
	v_add_u32_e32 v95, 8, v95
	s_or_b64 s[8:9], vcc, s[8:9]
	s_waitcnt vmcnt(1) lgkmcnt(0)
	v_mul_f32_e32 v101, v98, v99
	v_mul_f32_e32 v99, v97, v99
	s_waitcnt vmcnt(0)
	v_fma_f32 v97, v97, v100, -v101
	v_fmac_f32_e32 v99, v98, v100
	v_add_f32_e32 v96, v96, v97
	v_add_f32_e32 v90, v90, v99
	s_andn2_b64 exec, exec, s[8:9]
	s_cbranch_execnz .LBB43_77
; %bb.78:
	s_or_b64 exec, exec, s[8:9]
	v_mov_b32_e32 v93, 0
	ds_read_b64 v[93:94], v93 offset:128
	s_waitcnt lgkmcnt(0)
	v_mul_f32_e32 v95, v90, v94
	v_mul_f32_e32 v94, v96, v94
	v_fma_f32 v95, v96, v93, -v95
	v_fmac_f32_e32 v94, v90, v93
	buffer_store_dword v95, off, s[0:3], 0 offset:128
	buffer_store_dword v94, off, s[0:3], 0 offset:132
.LBB43_79:
	s_or_b64 exec, exec, s[4:5]
	; wave barrier
	buffer_load_dword v93, off, s[0:3], 0 offset:136
	buffer_load_dword v94, off, s[0:3], 0 offset:140
	v_cmp_gt_u32_e32 vcc, 17, v0
	s_waitcnt vmcnt(0)
	ds_write_b64 v92, v[93:94]
	s_waitcnt lgkmcnt(0)
	; wave barrier
	s_and_saveexec_b64 s[4:5], vcc
	s_cbranch_execz .LBB43_83
; %bb.80:
	v_add_u32_e32 v93, -1, v0
	v_add_u32_e32 v94, 0x160, v91
	v_mov_b32_e32 v95, v91
	v_mov_b32_e32 v90, 0
	s_mov_b64 s[8:9], 0
	v_mov_b32_e32 v96, 0
.LBB43_81:                              ; =>This Inner Loop Header: Depth=1
	buffer_load_dword v99, v95, s[0:3], 0 offen offset:4
	buffer_load_dword v100, v95, s[0:3], 0 offen
	ds_read_b64 v[97:98], v94
	v_add_u32_e32 v93, 1, v93
	v_cmp_lt_u32_e32 vcc, 15, v93
	v_add_u32_e32 v94, 8, v94
	v_add_u32_e32 v95, 8, v95
	s_or_b64 s[8:9], vcc, s[8:9]
	s_waitcnt vmcnt(1) lgkmcnt(0)
	v_mul_f32_e32 v101, v98, v99
	v_mul_f32_e32 v99, v97, v99
	s_waitcnt vmcnt(0)
	v_fma_f32 v97, v97, v100, -v101
	v_fmac_f32_e32 v99, v98, v100
	v_add_f32_e32 v96, v96, v97
	v_add_f32_e32 v90, v90, v99
	s_andn2_b64 exec, exec, s[8:9]
	s_cbranch_execnz .LBB43_81
; %bb.82:
	s_or_b64 exec, exec, s[8:9]
	v_mov_b32_e32 v93, 0
	ds_read_b64 v[93:94], v93 offset:136
	s_waitcnt lgkmcnt(0)
	v_mul_f32_e32 v95, v90, v94
	v_mul_f32_e32 v94, v96, v94
	v_fma_f32 v95, v96, v93, -v95
	v_fmac_f32_e32 v94, v90, v93
	buffer_store_dword v95, off, s[0:3], 0 offset:136
	buffer_store_dword v94, off, s[0:3], 0 offset:140
.LBB43_83:
	s_or_b64 exec, exec, s[4:5]
	; wave barrier
	buffer_load_dword v93, off, s[0:3], 0 offset:144
	buffer_load_dword v94, off, s[0:3], 0 offset:148
	v_cmp_gt_u32_e32 vcc, 18, v0
	s_waitcnt vmcnt(0)
	ds_write_b64 v92, v[93:94]
	s_waitcnt lgkmcnt(0)
	; wave barrier
	s_and_saveexec_b64 s[4:5], vcc
	s_cbranch_execz .LBB43_87
; %bb.84:
	v_add_u32_e32 v93, -1, v0
	v_add_u32_e32 v94, 0x160, v91
	v_mov_b32_e32 v95, v91
	v_mov_b32_e32 v90, 0
	s_mov_b64 s[8:9], 0
	v_mov_b32_e32 v96, 0
.LBB43_85:                              ; =>This Inner Loop Header: Depth=1
	buffer_load_dword v99, v95, s[0:3], 0 offen offset:4
	buffer_load_dword v100, v95, s[0:3], 0 offen
	ds_read_b64 v[97:98], v94
	v_add_u32_e32 v93, 1, v93
	v_cmp_lt_u32_e32 vcc, 16, v93
	v_add_u32_e32 v94, 8, v94
	v_add_u32_e32 v95, 8, v95
	s_or_b64 s[8:9], vcc, s[8:9]
	s_waitcnt vmcnt(1) lgkmcnt(0)
	v_mul_f32_e32 v101, v98, v99
	v_mul_f32_e32 v99, v97, v99
	s_waitcnt vmcnt(0)
	v_fma_f32 v97, v97, v100, -v101
	v_fmac_f32_e32 v99, v98, v100
	v_add_f32_e32 v96, v96, v97
	v_add_f32_e32 v90, v90, v99
	s_andn2_b64 exec, exec, s[8:9]
	s_cbranch_execnz .LBB43_85
; %bb.86:
	s_or_b64 exec, exec, s[8:9]
	v_mov_b32_e32 v93, 0
	ds_read_b64 v[93:94], v93 offset:144
	s_waitcnt lgkmcnt(0)
	v_mul_f32_e32 v95, v90, v94
	v_mul_f32_e32 v94, v96, v94
	v_fma_f32 v95, v96, v93, -v95
	v_fmac_f32_e32 v94, v90, v93
	buffer_store_dword v95, off, s[0:3], 0 offset:144
	buffer_store_dword v94, off, s[0:3], 0 offset:148
.LBB43_87:
	s_or_b64 exec, exec, s[4:5]
	; wave barrier
	buffer_load_dword v93, off, s[0:3], 0 offset:152
	buffer_load_dword v94, off, s[0:3], 0 offset:156
	v_cmp_gt_u32_e32 vcc, 19, v0
	s_waitcnt vmcnt(0)
	ds_write_b64 v92, v[93:94]
	s_waitcnt lgkmcnt(0)
	; wave barrier
	s_and_saveexec_b64 s[4:5], vcc
	s_cbranch_execz .LBB43_91
; %bb.88:
	v_add_u32_e32 v93, -1, v0
	v_add_u32_e32 v94, 0x160, v91
	v_mov_b32_e32 v95, v91
	v_mov_b32_e32 v90, 0
	s_mov_b64 s[8:9], 0
	v_mov_b32_e32 v96, 0
.LBB43_89:                              ; =>This Inner Loop Header: Depth=1
	buffer_load_dword v99, v95, s[0:3], 0 offen offset:4
	buffer_load_dword v100, v95, s[0:3], 0 offen
	ds_read_b64 v[97:98], v94
	v_add_u32_e32 v93, 1, v93
	v_cmp_lt_u32_e32 vcc, 17, v93
	v_add_u32_e32 v94, 8, v94
	v_add_u32_e32 v95, 8, v95
	s_or_b64 s[8:9], vcc, s[8:9]
	s_waitcnt vmcnt(1) lgkmcnt(0)
	v_mul_f32_e32 v101, v98, v99
	v_mul_f32_e32 v99, v97, v99
	s_waitcnt vmcnt(0)
	v_fma_f32 v97, v97, v100, -v101
	v_fmac_f32_e32 v99, v98, v100
	v_add_f32_e32 v96, v96, v97
	v_add_f32_e32 v90, v90, v99
	s_andn2_b64 exec, exec, s[8:9]
	s_cbranch_execnz .LBB43_89
; %bb.90:
	s_or_b64 exec, exec, s[8:9]
	v_mov_b32_e32 v93, 0
	ds_read_b64 v[93:94], v93 offset:152
	s_waitcnt lgkmcnt(0)
	v_mul_f32_e32 v95, v90, v94
	v_mul_f32_e32 v94, v96, v94
	v_fma_f32 v95, v96, v93, -v95
	v_fmac_f32_e32 v94, v90, v93
	buffer_store_dword v95, off, s[0:3], 0 offset:152
	buffer_store_dword v94, off, s[0:3], 0 offset:156
.LBB43_91:
	s_or_b64 exec, exec, s[4:5]
	; wave barrier
	buffer_load_dword v93, off, s[0:3], 0 offset:160
	buffer_load_dword v94, off, s[0:3], 0 offset:164
	v_cmp_gt_u32_e32 vcc, 20, v0
	s_waitcnt vmcnt(0)
	ds_write_b64 v92, v[93:94]
	s_waitcnt lgkmcnt(0)
	; wave barrier
	s_and_saveexec_b64 s[4:5], vcc
	s_cbranch_execz .LBB43_95
; %bb.92:
	v_add_u32_e32 v93, -1, v0
	v_add_u32_e32 v94, 0x160, v91
	v_mov_b32_e32 v95, v91
	v_mov_b32_e32 v90, 0
	s_mov_b64 s[8:9], 0
	v_mov_b32_e32 v96, 0
.LBB43_93:                              ; =>This Inner Loop Header: Depth=1
	buffer_load_dword v99, v95, s[0:3], 0 offen offset:4
	buffer_load_dword v100, v95, s[0:3], 0 offen
	ds_read_b64 v[97:98], v94
	v_add_u32_e32 v93, 1, v93
	v_cmp_lt_u32_e32 vcc, 18, v93
	v_add_u32_e32 v94, 8, v94
	v_add_u32_e32 v95, 8, v95
	s_or_b64 s[8:9], vcc, s[8:9]
	s_waitcnt vmcnt(1) lgkmcnt(0)
	v_mul_f32_e32 v101, v98, v99
	v_mul_f32_e32 v99, v97, v99
	s_waitcnt vmcnt(0)
	v_fma_f32 v97, v97, v100, -v101
	v_fmac_f32_e32 v99, v98, v100
	v_add_f32_e32 v96, v96, v97
	v_add_f32_e32 v90, v90, v99
	s_andn2_b64 exec, exec, s[8:9]
	s_cbranch_execnz .LBB43_93
; %bb.94:
	s_or_b64 exec, exec, s[8:9]
	v_mov_b32_e32 v93, 0
	ds_read_b64 v[93:94], v93 offset:160
	s_waitcnt lgkmcnt(0)
	v_mul_f32_e32 v95, v90, v94
	v_mul_f32_e32 v94, v96, v94
	v_fma_f32 v95, v96, v93, -v95
	v_fmac_f32_e32 v94, v90, v93
	buffer_store_dword v95, off, s[0:3], 0 offset:160
	buffer_store_dword v94, off, s[0:3], 0 offset:164
.LBB43_95:
	s_or_b64 exec, exec, s[4:5]
	; wave barrier
	buffer_load_dword v93, off, s[0:3], 0 offset:168
	buffer_load_dword v94, off, s[0:3], 0 offset:172
	v_cmp_gt_u32_e32 vcc, 21, v0
	s_waitcnt vmcnt(0)
	ds_write_b64 v92, v[93:94]
	s_waitcnt lgkmcnt(0)
	; wave barrier
	s_and_saveexec_b64 s[4:5], vcc
	s_cbranch_execz .LBB43_99
; %bb.96:
	v_add_u32_e32 v93, -1, v0
	v_add_u32_e32 v94, 0x160, v91
	v_mov_b32_e32 v95, v91
	v_mov_b32_e32 v90, 0
	s_mov_b64 s[8:9], 0
	v_mov_b32_e32 v96, 0
.LBB43_97:                              ; =>This Inner Loop Header: Depth=1
	buffer_load_dword v99, v95, s[0:3], 0 offen offset:4
	buffer_load_dword v100, v95, s[0:3], 0 offen
	ds_read_b64 v[97:98], v94
	v_add_u32_e32 v93, 1, v93
	v_cmp_lt_u32_e32 vcc, 19, v93
	v_add_u32_e32 v94, 8, v94
	v_add_u32_e32 v95, 8, v95
	s_or_b64 s[8:9], vcc, s[8:9]
	s_waitcnt vmcnt(1) lgkmcnt(0)
	v_mul_f32_e32 v101, v98, v99
	v_mul_f32_e32 v99, v97, v99
	s_waitcnt vmcnt(0)
	v_fma_f32 v97, v97, v100, -v101
	v_fmac_f32_e32 v99, v98, v100
	v_add_f32_e32 v96, v96, v97
	v_add_f32_e32 v90, v90, v99
	s_andn2_b64 exec, exec, s[8:9]
	s_cbranch_execnz .LBB43_97
; %bb.98:
	s_or_b64 exec, exec, s[8:9]
	v_mov_b32_e32 v93, 0
	ds_read_b64 v[93:94], v93 offset:168
	s_waitcnt lgkmcnt(0)
	v_mul_f32_e32 v95, v90, v94
	v_mul_f32_e32 v94, v96, v94
	v_fma_f32 v95, v96, v93, -v95
	v_fmac_f32_e32 v94, v90, v93
	buffer_store_dword v95, off, s[0:3], 0 offset:168
	buffer_store_dword v94, off, s[0:3], 0 offset:172
.LBB43_99:
	s_or_b64 exec, exec, s[4:5]
	; wave barrier
	buffer_load_dword v93, off, s[0:3], 0 offset:176
	buffer_load_dword v94, off, s[0:3], 0 offset:180
	v_cmp_gt_u32_e32 vcc, 22, v0
	s_waitcnt vmcnt(0)
	ds_write_b64 v92, v[93:94]
	s_waitcnt lgkmcnt(0)
	; wave barrier
	s_and_saveexec_b64 s[4:5], vcc
	s_cbranch_execz .LBB43_103
; %bb.100:
	v_add_u32_e32 v93, -1, v0
	v_add_u32_e32 v94, 0x160, v91
	v_mov_b32_e32 v95, v91
	v_mov_b32_e32 v90, 0
	s_mov_b64 s[8:9], 0
	v_mov_b32_e32 v96, 0
.LBB43_101:                             ; =>This Inner Loop Header: Depth=1
	buffer_load_dword v99, v95, s[0:3], 0 offen offset:4
	buffer_load_dword v100, v95, s[0:3], 0 offen
	ds_read_b64 v[97:98], v94
	v_add_u32_e32 v93, 1, v93
	v_cmp_lt_u32_e32 vcc, 20, v93
	v_add_u32_e32 v94, 8, v94
	v_add_u32_e32 v95, 8, v95
	s_or_b64 s[8:9], vcc, s[8:9]
	s_waitcnt vmcnt(1) lgkmcnt(0)
	v_mul_f32_e32 v101, v98, v99
	v_mul_f32_e32 v99, v97, v99
	s_waitcnt vmcnt(0)
	v_fma_f32 v97, v97, v100, -v101
	v_fmac_f32_e32 v99, v98, v100
	v_add_f32_e32 v96, v96, v97
	v_add_f32_e32 v90, v90, v99
	s_andn2_b64 exec, exec, s[8:9]
	s_cbranch_execnz .LBB43_101
; %bb.102:
	s_or_b64 exec, exec, s[8:9]
	v_mov_b32_e32 v93, 0
	ds_read_b64 v[93:94], v93 offset:176
	s_waitcnt lgkmcnt(0)
	v_mul_f32_e32 v95, v90, v94
	v_mul_f32_e32 v94, v96, v94
	v_fma_f32 v95, v96, v93, -v95
	v_fmac_f32_e32 v94, v90, v93
	buffer_store_dword v95, off, s[0:3], 0 offset:176
	buffer_store_dword v94, off, s[0:3], 0 offset:180
.LBB43_103:
	s_or_b64 exec, exec, s[4:5]
	; wave barrier
	buffer_load_dword v93, off, s[0:3], 0 offset:184
	buffer_load_dword v94, off, s[0:3], 0 offset:188
	v_cmp_gt_u32_e32 vcc, 23, v0
	s_waitcnt vmcnt(0)
	ds_write_b64 v92, v[93:94]
	s_waitcnt lgkmcnt(0)
	; wave barrier
	s_and_saveexec_b64 s[4:5], vcc
	s_cbranch_execz .LBB43_107
; %bb.104:
	v_add_u32_e32 v93, -1, v0
	v_add_u32_e32 v94, 0x160, v91
	v_mov_b32_e32 v95, v91
	v_mov_b32_e32 v90, 0
	s_mov_b64 s[8:9], 0
	v_mov_b32_e32 v96, 0
.LBB43_105:                             ; =>This Inner Loop Header: Depth=1
	buffer_load_dword v99, v95, s[0:3], 0 offen offset:4
	buffer_load_dword v100, v95, s[0:3], 0 offen
	ds_read_b64 v[97:98], v94
	v_add_u32_e32 v93, 1, v93
	v_cmp_lt_u32_e32 vcc, 21, v93
	v_add_u32_e32 v94, 8, v94
	v_add_u32_e32 v95, 8, v95
	s_or_b64 s[8:9], vcc, s[8:9]
	s_waitcnt vmcnt(1) lgkmcnt(0)
	v_mul_f32_e32 v101, v98, v99
	v_mul_f32_e32 v99, v97, v99
	s_waitcnt vmcnt(0)
	v_fma_f32 v97, v97, v100, -v101
	v_fmac_f32_e32 v99, v98, v100
	v_add_f32_e32 v96, v96, v97
	v_add_f32_e32 v90, v90, v99
	s_andn2_b64 exec, exec, s[8:9]
	s_cbranch_execnz .LBB43_105
; %bb.106:
	s_or_b64 exec, exec, s[8:9]
	v_mov_b32_e32 v93, 0
	ds_read_b64 v[93:94], v93 offset:184
	s_waitcnt lgkmcnt(0)
	v_mul_f32_e32 v95, v90, v94
	v_mul_f32_e32 v94, v96, v94
	v_fma_f32 v95, v96, v93, -v95
	v_fmac_f32_e32 v94, v90, v93
	buffer_store_dword v95, off, s[0:3], 0 offset:184
	buffer_store_dword v94, off, s[0:3], 0 offset:188
.LBB43_107:
	s_or_b64 exec, exec, s[4:5]
	; wave barrier
	buffer_load_dword v93, off, s[0:3], 0 offset:192
	buffer_load_dword v94, off, s[0:3], 0 offset:196
	v_cmp_gt_u32_e32 vcc, 24, v0
	s_waitcnt vmcnt(0)
	ds_write_b64 v92, v[93:94]
	;; [unrolled: 49-line block ×20, first 2 shown]
	s_waitcnt lgkmcnt(0)
	; wave barrier
	s_and_saveexec_b64 s[4:5], vcc
	s_cbranch_execz .LBB43_183
; %bb.180:
	v_add_u32_e32 v93, -1, v0
	v_add_u32_e32 v94, 0x160, v91
	v_mov_b32_e32 v95, v91
	v_mov_b32_e32 v90, 0
	s_mov_b64 s[8:9], 0
	v_mov_b32_e32 v96, 0
.LBB43_181:                             ; =>This Inner Loop Header: Depth=1
	buffer_load_dword v99, v95, s[0:3], 0 offen offset:4
	buffer_load_dword v100, v95, s[0:3], 0 offen
	ds_read_b64 v[97:98], v94
	v_add_u32_e32 v93, 1, v93
	v_cmp_lt_u32_e32 vcc, 40, v93
	v_add_u32_e32 v94, 8, v94
	v_add_u32_e32 v95, 8, v95
	s_or_b64 s[8:9], vcc, s[8:9]
	s_waitcnt vmcnt(1) lgkmcnt(0)
	v_mul_f32_e32 v101, v98, v99
	v_mul_f32_e32 v99, v97, v99
	s_waitcnt vmcnt(0)
	v_fma_f32 v97, v97, v100, -v101
	v_fmac_f32_e32 v99, v98, v100
	v_add_f32_e32 v96, v96, v97
	v_add_f32_e32 v90, v90, v99
	s_andn2_b64 exec, exec, s[8:9]
	s_cbranch_execnz .LBB43_181
; %bb.182:
	s_or_b64 exec, exec, s[8:9]
	v_mov_b32_e32 v93, 0
	ds_read_b64 v[93:94], v93 offset:336
	s_waitcnt lgkmcnt(0)
	v_mul_f32_e32 v95, v90, v94
	v_mul_f32_e32 v94, v96, v94
	v_fma_f32 v95, v96, v93, -v95
	v_fmac_f32_e32 v94, v90, v93
	buffer_store_dword v95, off, s[0:3], 0 offset:336
	buffer_store_dword v94, off, s[0:3], 0 offset:340
.LBB43_183:
	s_or_b64 exec, exec, s[4:5]
	; wave barrier
	buffer_load_dword v93, off, s[0:3], 0 offset:344
	buffer_load_dword v94, off, s[0:3], 0 offset:348
	v_cmp_ne_u32_e32 vcc, 43, v0
	s_waitcnt vmcnt(0)
	ds_write_b64 v92, v[93:94]
	s_waitcnt lgkmcnt(0)
	; wave barrier
	s_and_saveexec_b64 s[4:5], vcc
	s_cbranch_execz .LBB43_187
; %bb.184:
	v_add_u32_e32 v92, 0x160, v91
	v_mov_b32_e32 v90, 0
	s_mov_b64 s[8:9], 0
	v_mov_b32_e32 v93, 0
.LBB43_185:                             ; =>This Inner Loop Header: Depth=1
	buffer_load_dword v96, v91, s[0:3], 0 offen offset:4
	buffer_load_dword v97, v91, s[0:3], 0 offen
	ds_read_b64 v[94:95], v92
	v_add_u32_e32 v89, 1, v89
	v_cmp_lt_u32_e32 vcc, 41, v89
	v_add_u32_e32 v92, 8, v92
	v_add_u32_e32 v91, 8, v91
	s_or_b64 s[8:9], vcc, s[8:9]
	s_waitcnt vmcnt(1) lgkmcnt(0)
	v_mul_f32_e32 v98, v95, v96
	v_mul_f32_e32 v96, v94, v96
	s_waitcnt vmcnt(0)
	v_fma_f32 v94, v94, v97, -v98
	v_fmac_f32_e32 v96, v95, v97
	v_add_f32_e32 v93, v93, v94
	v_add_f32_e32 v90, v90, v96
	s_andn2_b64 exec, exec, s[8:9]
	s_cbranch_execnz .LBB43_185
; %bb.186:
	s_or_b64 exec, exec, s[8:9]
	v_mov_b32_e32 v89, 0
	ds_read_b64 v[91:92], v89 offset:344
	s_waitcnt lgkmcnt(0)
	v_mul_f32_e32 v89, v90, v92
	v_mul_f32_e32 v92, v93, v92
	v_fma_f32 v89, v93, v91, -v89
	v_fmac_f32_e32 v92, v90, v91
	buffer_store_dword v89, off, s[0:3], 0 offset:344
	buffer_store_dword v92, off, s[0:3], 0 offset:348
.LBB43_187:
	s_or_b64 exec, exec, s[4:5]
	s_mov_b64 s[8:9], -1
	; wave barrier
.LBB43_188:
	s_and_b64 vcc, exec, s[8:9]
	s_cbranch_vccz .LBB43_190
; %bb.189:
	s_lshl_b64 s[4:5], s[6:7], 2
	s_add_u32 s4, s10, s4
	s_addc_u32 s5, s11, s5
	v_mov_b32_e32 v89, 0
	global_load_dword v89, v89, s[4:5]
	s_waitcnt vmcnt(0)
	v_cmp_ne_u32_e32 vcc, 0, v89
	s_cbranch_vccz .LBB43_191
.LBB43_190:
	s_endpgm
.LBB43_191:
	v_mov_b32_e32 v89, 0x160
	v_lshl_add_u32 v89, v0, 3, v89
	v_cmp_eq_u32_e32 vcc, 43, v0
	s_and_saveexec_b64 s[4:5], vcc
	s_cbranch_execz .LBB43_193
; %bb.192:
	buffer_load_dword v90, off, s[0:3], 0 offset:336
	buffer_load_dword v91, off, s[0:3], 0 offset:340
	v_mov_b32_e32 v92, 0
	buffer_store_dword v92, off, s[0:3], 0 offset:336
	buffer_store_dword v92, off, s[0:3], 0 offset:340
	s_waitcnt vmcnt(2)
	ds_write_b64 v89, v[90:91]
.LBB43_193:
	s_or_b64 exec, exec, s[4:5]
	s_waitcnt lgkmcnt(0)
	; wave barrier
	buffer_load_dword v93, off, s[0:3], 0 offset:348
	buffer_load_dword v94, off, s[0:3], 0 offset:344
	;; [unrolled: 1-line block ×4, first 2 shown]
	v_mov_b32_e32 v90, 0
	ds_read_b64 v[91:92], v90 offset:696
	v_cmp_lt_u32_e32 vcc, 41, v0
	s_waitcnt vmcnt(3) lgkmcnt(0)
	v_mul_f32_e32 v97, v91, v93
	v_mul_f32_e32 v93, v92, v93
	s_waitcnt vmcnt(2)
	v_fma_f32 v91, v91, v94, -v93
	v_fmac_f32_e32 v97, v92, v94
	v_add_f32_e32 v91, 0, v91
	v_add_f32_e32 v92, 0, v97
	s_waitcnt vmcnt(1)
	v_sub_f32_e32 v91, v95, v91
	s_waitcnt vmcnt(0)
	v_sub_f32_e32 v92, v96, v92
	buffer_store_dword v91, off, s[0:3], 0 offset:336
	buffer_store_dword v92, off, s[0:3], 0 offset:340
	s_and_saveexec_b64 s[4:5], vcc
	s_cbranch_execz .LBB43_195
; %bb.194:
	buffer_load_dword v91, off, s[0:3], 0 offset:328
	buffer_load_dword v92, off, s[0:3], 0 offset:332
	s_waitcnt vmcnt(0)
	ds_write_b64 v89, v[91:92]
	buffer_store_dword v90, off, s[0:3], 0 offset:328
	buffer_store_dword v90, off, s[0:3], 0 offset:332
.LBB43_195:
	s_or_b64 exec, exec, s[4:5]
	s_waitcnt lgkmcnt(0)
	; wave barrier
	buffer_load_dword v94, off, s[0:3], 0 offset:340
	buffer_load_dword v95, off, s[0:3], 0 offset:348
	;; [unrolled: 1-line block ×6, first 2 shown]
	ds_read_b128 v[90:93], v90 offset:688
	v_cmp_lt_u32_e32 vcc, 40, v0
	s_waitcnt vmcnt(5) lgkmcnt(0)
	v_mul_f32_e32 v100, v90, v94
	v_mul_f32_e32 v94, v91, v94
	s_waitcnt vmcnt(4)
	v_mul_f32_e32 v101, v92, v95
	v_mul_f32_e32 v95, v93, v95
	s_waitcnt vmcnt(3)
	v_fma_f32 v90, v90, v96, -v94
	v_fmac_f32_e32 v100, v91, v96
	s_waitcnt vmcnt(2)
	v_fma_f32 v91, v92, v97, -v95
	v_add_f32_e32 v90, 0, v90
	v_fmac_f32_e32 v101, v93, v97
	v_add_f32_e32 v92, 0, v100
	v_add_f32_e32 v90, v90, v91
	v_add_f32_e32 v92, v92, v101
	s_waitcnt vmcnt(1)
	v_sub_f32_e32 v90, v98, v90
	s_waitcnt vmcnt(0)
	v_sub_f32_e32 v91, v99, v92
	buffer_store_dword v90, off, s[0:3], 0 offset:328
	buffer_store_dword v91, off, s[0:3], 0 offset:332
	s_and_saveexec_b64 s[4:5], vcc
	s_cbranch_execz .LBB43_197
; %bb.196:
	buffer_load_dword v90, off, s[0:3], 0 offset:320
	buffer_load_dword v91, off, s[0:3], 0 offset:324
	v_mov_b32_e32 v92, 0
	buffer_store_dword v92, off, s[0:3], 0 offset:320
	buffer_store_dword v92, off, s[0:3], 0 offset:324
	s_waitcnt vmcnt(2)
	ds_write_b64 v89, v[90:91]
.LBB43_197:
	s_or_b64 exec, exec, s[4:5]
	s_waitcnt lgkmcnt(0)
	; wave barrier
	buffer_load_dword v97, off, s[0:3], 0 offset:332
	buffer_load_dword v98, off, s[0:3], 0 offset:340
	;; [unrolled: 1-line block ×8, first 2 shown]
	v_mov_b32_e32 v90, 0
	ds_read2_b64 v[91:94], v90 offset0:85 offset1:86
	ds_read_b64 v[95:96], v90 offset:696
	v_cmp_lt_u32_e32 vcc, 39, v0
	s_waitcnt vmcnt(7) lgkmcnt(1)
	v_mul_f32_e32 v105, v91, v97
	v_mul_f32_e32 v97, v92, v97
	s_waitcnt vmcnt(6)
	v_mul_f32_e32 v106, v93, v98
	v_mul_f32_e32 v98, v94, v98
	s_waitcnt vmcnt(4)
	v_fma_f32 v91, v91, v100, -v97
	s_waitcnt lgkmcnt(0)
	v_mul_f32_e32 v107, v95, v99
	v_mul_f32_e32 v99, v96, v99
	v_fmac_f32_e32 v105, v92, v100
	s_waitcnt vmcnt(3)
	v_fma_f32 v92, v93, v101, -v98
	v_add_f32_e32 v91, 0, v91
	v_fmac_f32_e32 v106, v94, v101
	s_waitcnt vmcnt(2)
	v_fma_f32 v93, v95, v102, -v99
	v_add_f32_e32 v94, 0, v105
	v_add_f32_e32 v91, v91, v92
	v_fmac_f32_e32 v107, v96, v102
	v_add_f32_e32 v94, v94, v106
	v_add_f32_e32 v91, v91, v93
	;; [unrolled: 1-line block ×3, first 2 shown]
	s_waitcnt vmcnt(1)
	v_sub_f32_e32 v91, v103, v91
	s_waitcnt vmcnt(0)
	v_sub_f32_e32 v92, v104, v92
	buffer_store_dword v91, off, s[0:3], 0 offset:320
	buffer_store_dword v92, off, s[0:3], 0 offset:324
	s_and_saveexec_b64 s[4:5], vcc
	s_cbranch_execz .LBB43_199
; %bb.198:
	buffer_load_dword v91, off, s[0:3], 0 offset:312
	buffer_load_dword v92, off, s[0:3], 0 offset:316
	s_waitcnt vmcnt(0)
	ds_write_b64 v89, v[91:92]
	buffer_store_dword v90, off, s[0:3], 0 offset:312
	buffer_store_dword v90, off, s[0:3], 0 offset:316
.LBB43_199:
	s_or_b64 exec, exec, s[4:5]
	s_waitcnt lgkmcnt(0)
	; wave barrier
	buffer_load_dword v99, off, s[0:3], 0 offset:324
	buffer_load_dword v100, off, s[0:3], 0 offset:332
	;; [unrolled: 1-line block ×10, first 2 shown]
	ds_read_b128 v[91:94], v90 offset:672
	ds_read_b128 v[95:98], v90 offset:688
	v_cmp_lt_u32_e32 vcc, 38, v0
	s_waitcnt vmcnt(9) lgkmcnt(1)
	v_mul_f32_e32 v90, v91, v99
	v_mul_f32_e32 v99, v92, v99
	s_waitcnt vmcnt(8)
	v_mul_f32_e32 v109, v93, v100
	v_mul_f32_e32 v100, v94, v100
	s_waitcnt vmcnt(5)
	v_fma_f32 v91, v91, v103, -v99
	s_waitcnt lgkmcnt(0)
	v_mul_f32_e32 v110, v95, v101
	v_mul_f32_e32 v101, v96, v101
	v_fmac_f32_e32 v90, v92, v103
	s_waitcnt vmcnt(4)
	v_fma_f32 v92, v93, v104, -v100
	v_add_f32_e32 v91, 0, v91
	v_mul_f32_e32 v111, v97, v102
	v_mul_f32_e32 v102, v98, v102
	v_fmac_f32_e32 v109, v94, v104
	s_waitcnt vmcnt(3)
	v_fma_f32 v93, v95, v105, -v101
	v_add_f32_e32 v90, 0, v90
	v_add_f32_e32 v91, v91, v92
	v_fmac_f32_e32 v110, v96, v105
	s_waitcnt vmcnt(2)
	v_fma_f32 v94, v97, v106, -v102
	v_add_f32_e32 v90, v90, v109
	v_add_f32_e32 v91, v91, v93
	v_fmac_f32_e32 v111, v98, v106
	v_add_f32_e32 v90, v90, v110
	v_add_f32_e32 v91, v91, v94
	;; [unrolled: 1-line block ×3, first 2 shown]
	s_waitcnt vmcnt(1)
	v_sub_f32_e32 v91, v107, v91
	s_waitcnt vmcnt(0)
	v_sub_f32_e32 v90, v108, v90
	buffer_store_dword v91, off, s[0:3], 0 offset:312
	buffer_store_dword v90, off, s[0:3], 0 offset:316
	s_and_saveexec_b64 s[4:5], vcc
	s_cbranch_execz .LBB43_201
; %bb.200:
	buffer_load_dword v90, off, s[0:3], 0 offset:304
	buffer_load_dword v91, off, s[0:3], 0 offset:308
	v_mov_b32_e32 v92, 0
	buffer_store_dword v92, off, s[0:3], 0 offset:304
	buffer_store_dword v92, off, s[0:3], 0 offset:308
	s_waitcnt vmcnt(2)
	ds_write_b64 v89, v[90:91]
.LBB43_201:
	s_or_b64 exec, exec, s[4:5]
	s_waitcnt lgkmcnt(0)
	; wave barrier
	buffer_load_dword v101, off, s[0:3], 0 offset:316
	buffer_load_dword v102, off, s[0:3], 0 offset:324
	;; [unrolled: 1-line block ×12, first 2 shown]
	v_mov_b32_e32 v90, 0
	ds_read2_b64 v[91:94], v90 offset0:83 offset1:84
	ds_read2_b64 v[95:98], v90 offset0:85 offset1:86
	ds_read_b64 v[99:100], v90 offset:696
	v_cmp_lt_u32_e32 vcc, 37, v0
	s_waitcnt vmcnt(11) lgkmcnt(2)
	v_mul_f32_e32 v113, v91, v101
	v_mul_f32_e32 v101, v92, v101
	s_waitcnt vmcnt(10)
	v_mul_f32_e32 v114, v93, v102
	v_mul_f32_e32 v102, v94, v102
	s_waitcnt vmcnt(9) lgkmcnt(1)
	v_mul_f32_e32 v115, v95, v103
	s_waitcnt vmcnt(6)
	v_fma_f32 v91, v91, v106, -v101
	v_mul_f32_e32 v103, v96, v103
	v_fmac_f32_e32 v113, v92, v106
	s_waitcnt vmcnt(5)
	v_fma_f32 v92, v93, v107, -v102
	v_add_f32_e32 v91, 0, v91
	v_mul_f32_e32 v116, v97, v104
	v_mul_f32_e32 v104, v98, v104
	v_fmac_f32_e32 v114, v94, v107
	s_waitcnt vmcnt(4)
	v_fmac_f32_e32 v115, v96, v108
	v_fma_f32 v93, v95, v108, -v103
	v_add_f32_e32 v96, 0, v113
	v_add_f32_e32 v91, v91, v92
	s_waitcnt lgkmcnt(0)
	v_mul_f32_e32 v117, v99, v105
	v_mul_f32_e32 v105, v100, v105
	s_waitcnt vmcnt(3)
	v_fma_f32 v94, v97, v109, -v104
	v_add_f32_e32 v96, v96, v114
	v_add_f32_e32 v91, v91, v93
	v_fmac_f32_e32 v116, v98, v109
	s_waitcnt vmcnt(2)
	v_fma_f32 v95, v99, v110, -v105
	v_add_f32_e32 v92, v96, v115
	v_add_f32_e32 v91, v91, v94
	v_fmac_f32_e32 v117, v100, v110
	v_add_f32_e32 v92, v92, v116
	v_add_f32_e32 v91, v91, v95
	;; [unrolled: 1-line block ×3, first 2 shown]
	s_waitcnt vmcnt(1)
	v_sub_f32_e32 v91, v111, v91
	s_waitcnt vmcnt(0)
	v_sub_f32_e32 v92, v112, v92
	buffer_store_dword v91, off, s[0:3], 0 offset:304
	buffer_store_dword v92, off, s[0:3], 0 offset:308
	s_and_saveexec_b64 s[4:5], vcc
	s_cbranch_execz .LBB43_203
; %bb.202:
	buffer_load_dword v91, off, s[0:3], 0 offset:296
	buffer_load_dword v92, off, s[0:3], 0 offset:300
	s_waitcnt vmcnt(0)
	ds_write_b64 v89, v[91:92]
	buffer_store_dword v90, off, s[0:3], 0 offset:296
	buffer_store_dword v90, off, s[0:3], 0 offset:300
.LBB43_203:
	s_or_b64 exec, exec, s[4:5]
	s_waitcnt lgkmcnt(0)
	; wave barrier
	buffer_load_dword v103, off, s[0:3], 0 offset:308
	buffer_load_dword v104, off, s[0:3], 0 offset:316
	;; [unrolled: 1-line block ×14, first 2 shown]
	ds_read_b128 v[91:94], v90 offset:656
	ds_read_b128 v[95:98], v90 offset:672
	;; [unrolled: 1-line block ×3, first 2 shown]
	v_cmp_lt_u32_e32 vcc, 36, v0
	s_waitcnt vmcnt(13) lgkmcnt(2)
	v_mul_f32_e32 v90, v91, v103
	v_mul_f32_e32 v103, v92, v103
	s_waitcnt vmcnt(12)
	v_mul_f32_e32 v117, v93, v104
	v_mul_f32_e32 v104, v94, v104
	s_waitcnt vmcnt(11) lgkmcnt(1)
	v_mul_f32_e32 v118, v95, v105
	v_mul_f32_e32 v105, v96, v105
	s_waitcnt vmcnt(7)
	v_fma_f32 v91, v91, v109, -v103
	v_fmac_f32_e32 v90, v92, v109
	s_waitcnt vmcnt(6)
	v_fma_f32 v92, v93, v110, -v104
	v_add_f32_e32 v91, 0, v91
	v_mul_f32_e32 v119, v97, v106
	v_mul_f32_e32 v106, v98, v106
	v_fmac_f32_e32 v117, v94, v110
	s_waitcnt vmcnt(5)
	v_fma_f32 v93, v95, v111, -v105
	v_add_f32_e32 v90, 0, v90
	v_add_f32_e32 v91, v91, v92
	s_waitcnt lgkmcnt(0)
	v_mul_f32_e32 v120, v99, v107
	v_mul_f32_e32 v107, v100, v107
	v_fmac_f32_e32 v118, v96, v111
	s_waitcnt vmcnt(4)
	v_fma_f32 v94, v97, v112, -v106
	v_add_f32_e32 v90, v90, v117
	v_add_f32_e32 v91, v91, v93
	v_mul_f32_e32 v121, v101, v108
	v_mul_f32_e32 v108, v102, v108
	v_fmac_f32_e32 v119, v98, v112
	s_waitcnt vmcnt(3)
	v_fma_f32 v95, v99, v113, -v107
	v_add_f32_e32 v90, v90, v118
	v_add_f32_e32 v91, v91, v94
	v_fmac_f32_e32 v120, v100, v113
	s_waitcnt vmcnt(2)
	v_fma_f32 v96, v101, v114, -v108
	v_add_f32_e32 v90, v90, v119
	v_add_f32_e32 v91, v91, v95
	v_fmac_f32_e32 v121, v102, v114
	v_add_f32_e32 v90, v90, v120
	v_add_f32_e32 v91, v91, v96
	;; [unrolled: 1-line block ×3, first 2 shown]
	s_waitcnt vmcnt(1)
	v_sub_f32_e32 v91, v115, v91
	s_waitcnt vmcnt(0)
	v_sub_f32_e32 v90, v116, v90
	buffer_store_dword v91, off, s[0:3], 0 offset:296
	buffer_store_dword v90, off, s[0:3], 0 offset:300
	s_and_saveexec_b64 s[4:5], vcc
	s_cbranch_execz .LBB43_205
; %bb.204:
	buffer_load_dword v90, off, s[0:3], 0 offset:288
	buffer_load_dword v91, off, s[0:3], 0 offset:292
	v_mov_b32_e32 v92, 0
	buffer_store_dword v92, off, s[0:3], 0 offset:288
	buffer_store_dword v92, off, s[0:3], 0 offset:292
	s_waitcnt vmcnt(2)
	ds_write_b64 v89, v[90:91]
.LBB43_205:
	s_or_b64 exec, exec, s[4:5]
	v_mov_b32_e32 v90, 0
	s_waitcnt lgkmcnt(0)
	; wave barrier
	ds_read2_b64 v[91:94], v90 offset0:81 offset1:82
	buffer_load_dword v105, off, s[0:3], 0 offset:288
	buffer_load_dword v106, off, s[0:3], 0 offset:292
	;; [unrolled: 1-line block ×16, first 2 shown]
	v_cmp_lt_u32_e32 vcc, 35, v0
	s_waitcnt vmcnt(12) lgkmcnt(0)
	v_mul_f32_e32 v95, v91, v108
	v_fmac_f32_e32 v95, v92, v107
	s_waitcnt vmcnt(10)
	v_mul_f32_e32 v96, v93, v110
	v_add_f32_e32 v95, 0, v95
	v_fmac_f32_e32 v96, v94, v109
	v_add_f32_e32 v99, v95, v96
	ds_read2_b64 v[95:98], v90 offset0:83 offset1:84
	v_mul_f32_e32 v92, v92, v108
	v_fma_f32 v91, v91, v107, -v92
	v_mul_f32_e32 v92, v94, v110
	v_add_f32_e32 v91, 0, v91
	s_waitcnt vmcnt(8) lgkmcnt(0)
	v_mul_f32_e32 v100, v95, v112
	v_fmac_f32_e32 v100, v96, v111
	v_add_f32_e32 v99, v99, v100
	s_waitcnt vmcnt(6)
	v_mul_f32_e32 v100, v97, v114
	v_fmac_f32_e32 v100, v98, v113
	v_add_f32_e32 v103, v99, v100
	ds_read2_b64 v[99:102], v90 offset0:85 offset1:86
	v_fma_f32 v92, v93, v109, -v92
	v_add_f32_e32 v91, v91, v92
	v_mul_f32_e32 v92, v96, v112
	v_fma_f32 v92, v95, v111, -v92
	s_waitcnt vmcnt(4) lgkmcnt(0)
	v_mul_f32_e32 v104, v99, v116
	v_fmac_f32_e32 v104, v100, v115
	v_add_f32_e32 v103, v103, v104
	s_waitcnt vmcnt(2)
	v_mul_f32_e32 v104, v101, v118
	v_fmac_f32_e32 v104, v102, v117
	v_add_f32_e32 v91, v91, v92
	v_mul_f32_e32 v92, v98, v114
	v_add_f32_e32 v121, v103, v104
	ds_read_b64 v[103:104], v90 offset:696
	v_fma_f32 v92, v97, v113, -v92
	v_add_f32_e32 v91, v91, v92
	v_mul_f32_e32 v92, v100, v116
	v_fma_f32 v92, v99, v115, -v92
	v_add_f32_e32 v91, v91, v92
	v_mul_f32_e32 v92, v102, v118
	v_fma_f32 v92, v101, v117, -v92
	v_add_f32_e32 v91, v91, v92
	s_waitcnt vmcnt(0) lgkmcnt(0)
	v_mul_f32_e32 v92, v104, v120
	v_mul_f32_e32 v122, v103, v120
	v_fma_f32 v92, v103, v119, -v92
	v_fmac_f32_e32 v122, v104, v119
	v_add_f32_e32 v91, v91, v92
	v_add_f32_e32 v121, v121, v122
	v_sub_f32_e32 v91, v105, v91
	v_sub_f32_e32 v92, v106, v121
	buffer_store_dword v91, off, s[0:3], 0 offset:288
	buffer_store_dword v92, off, s[0:3], 0 offset:292
	s_and_saveexec_b64 s[4:5], vcc
	s_cbranch_execz .LBB43_207
; %bb.206:
	buffer_load_dword v91, off, s[0:3], 0 offset:280
	buffer_load_dword v92, off, s[0:3], 0 offset:284
	s_waitcnt vmcnt(0)
	ds_write_b64 v89, v[91:92]
	buffer_store_dword v90, off, s[0:3], 0 offset:280
	buffer_store_dword v90, off, s[0:3], 0 offset:284
.LBB43_207:
	s_or_b64 exec, exec, s[4:5]
	s_waitcnt lgkmcnt(0)
	; wave barrier
	ds_read_b128 v[91:94], v90 offset:640
	ds_read_b128 v[95:98], v90 offset:656
	;; [unrolled: 1-line block ×4, first 2 shown]
	buffer_load_dword v90, off, s[0:3], 0 offset:280
	buffer_load_dword v107, off, s[0:3], 0 offset:284
	;; [unrolled: 1-line block ×16, first 2 shown]
	v_cmp_lt_u32_e32 vcc, 34, v0
	s_waitcnt vmcnt(12) lgkmcnt(3)
	v_mul_f32_e32 v122, v91, v109
	v_fmac_f32_e32 v122, v92, v108
	s_waitcnt vmcnt(10)
	v_mul_f32_e32 v123, v93, v111
	v_add_f32_e32 v122, 0, v122
	v_fmac_f32_e32 v123, v94, v110
	v_add_f32_e32 v122, v122, v123
	s_waitcnt vmcnt(8) lgkmcnt(2)
	v_mul_f32_e32 v123, v95, v113
	v_fmac_f32_e32 v123, v96, v112
	v_add_f32_e32 v122, v122, v123
	s_waitcnt vmcnt(6)
	v_mul_f32_e32 v123, v97, v115
	v_fmac_f32_e32 v123, v98, v114
	v_add_f32_e32 v122, v122, v123
	s_waitcnt vmcnt(4) lgkmcnt(1)
	v_mul_f32_e32 v123, v99, v117
	v_fmac_f32_e32 v123, v100, v116
	v_add_f32_e32 v122, v122, v123
	s_waitcnt vmcnt(2)
	v_mul_f32_e32 v123, v101, v119
	v_fmac_f32_e32 v123, v102, v118
	v_add_f32_e32 v122, v122, v123
	s_waitcnt vmcnt(0) lgkmcnt(0)
	v_mul_f32_e32 v123, v103, v121
	v_fmac_f32_e32 v123, v104, v120
	v_add_f32_e32 v122, v122, v123
	buffer_load_dword v123, off, s[0:3], 0 offset:344
	buffer_load_dword v124, off, s[0:3], 0 offset:348
	v_mul_f32_e32 v92, v92, v109
	v_fma_f32 v91, v91, v108, -v92
	v_mul_f32_e32 v92, v94, v111
	v_add_f32_e32 v91, 0, v91
	v_fma_f32 v92, v93, v110, -v92
	v_add_f32_e32 v91, v91, v92
	v_mul_f32_e32 v92, v96, v113
	v_fma_f32 v92, v95, v112, -v92
	v_add_f32_e32 v91, v91, v92
	v_mul_f32_e32 v92, v98, v115
	;; [unrolled: 3-line block ×5, first 2 shown]
	v_fma_f32 v92, v103, v120, -v92
	v_add_f32_e32 v91, v91, v92
	s_waitcnt vmcnt(0)
	v_mul_f32_e32 v92, v106, v124
	v_mul_f32_e32 v125, v105, v124
	v_fma_f32 v92, v105, v123, -v92
	v_fmac_f32_e32 v125, v106, v123
	v_add_f32_e32 v91, v91, v92
	v_add_f32_e32 v122, v122, v125
	v_sub_f32_e32 v90, v90, v91
	v_sub_f32_e32 v91, v107, v122
	buffer_store_dword v90, off, s[0:3], 0 offset:280
	buffer_store_dword v91, off, s[0:3], 0 offset:284
	s_and_saveexec_b64 s[4:5], vcc
	s_cbranch_execz .LBB43_209
; %bb.208:
	buffer_load_dword v90, off, s[0:3], 0 offset:272
	buffer_load_dword v91, off, s[0:3], 0 offset:276
	v_mov_b32_e32 v92, 0
	buffer_store_dword v92, off, s[0:3], 0 offset:272
	buffer_store_dword v92, off, s[0:3], 0 offset:276
	s_waitcnt vmcnt(2)
	ds_write_b64 v89, v[90:91]
.LBB43_209:
	s_or_b64 exec, exec, s[4:5]
	s_waitcnt lgkmcnt(0)
	; wave barrier
	buffer_load_dword v109, off, s[0:3], 0 offset:284
	buffer_load_dword v110, off, s[0:3], 0 offset:292
	;; [unrolled: 1-line block ×20, first 2 shown]
	v_mov_b32_e32 v90, 0
	ds_read2_b64 v[91:94], v90 offset0:79 offset1:80
	ds_read2_b64 v[95:98], v90 offset0:81 offset1:82
	;; [unrolled: 1-line block ×4, first 2 shown]
	ds_read_b64 v[107:108], v90 offset:696
	v_cmp_lt_u32_e32 vcc, 33, v0
	s_waitcnt vmcnt(19) lgkmcnt(4)
	v_mul_f32_e32 v129, v91, v109
	v_mul_f32_e32 v109, v92, v109
	s_waitcnt vmcnt(18)
	v_mul_f32_e32 v130, v93, v110
	v_mul_f32_e32 v110, v94, v110
	s_waitcnt vmcnt(17) lgkmcnt(3)
	v_mul_f32_e32 v131, v95, v111
	s_waitcnt vmcnt(15) lgkmcnt(2)
	v_mul_f32_e32 v133, v99, v113
	v_mul_f32_e32 v111, v96, v111
	;; [unrolled: 1-line block ×4, first 2 shown]
	s_waitcnt vmcnt(10)
	v_fma_f32 v91, v91, v118, -v109
	v_fmac_f32_e32 v129, v92, v118
	s_waitcnt vmcnt(9)
	v_fma_f32 v92, v93, v119, -v110
	v_add_f32_e32 v91, 0, v91
	v_mul_f32_e32 v113, v100, v113
	v_fmac_f32_e32 v130, v94, v119
	s_waitcnt vmcnt(6)
	v_fmac_f32_e32 v133, v100, v122
	v_fma_f32 v93, v95, v120, -v111
	v_add_f32_e32 v100, 0, v129
	v_add_f32_e32 v91, v91, v92
	v_fmac_f32_e32 v131, v96, v120
	v_fma_f32 v94, v97, v121, -v112
	v_add_f32_e32 v100, v100, v130
	v_add_f32_e32 v91, v91, v93
	v_mul_f32_e32 v134, v101, v114
	v_mul_f32_e32 v114, v102, v114
	v_fmac_f32_e32 v132, v98, v121
	v_fma_f32 v95, v99, v122, -v113
	v_add_f32_e32 v92, v100, v131
	v_add_f32_e32 v91, v91, v94
	s_waitcnt lgkmcnt(1)
	v_mul_f32_e32 v135, v103, v115
	v_mul_f32_e32 v115, v104, v115
	s_waitcnt vmcnt(5)
	v_fma_f32 v96, v101, v123, -v114
	v_add_f32_e32 v92, v92, v132
	v_add_f32_e32 v91, v91, v95
	v_mul_f32_e32 v136, v105, v116
	v_mul_f32_e32 v116, v106, v116
	v_fmac_f32_e32 v134, v102, v123
	s_waitcnt vmcnt(4)
	v_fma_f32 v97, v103, v124, -v115
	v_add_f32_e32 v92, v92, v133
	v_add_f32_e32 v91, v91, v96
	s_waitcnt lgkmcnt(0)
	v_mul_f32_e32 v137, v107, v117
	v_mul_f32_e32 v117, v108, v117
	v_fmac_f32_e32 v135, v104, v124
	s_waitcnt vmcnt(3)
	v_fma_f32 v98, v105, v125, -v116
	v_add_f32_e32 v92, v92, v134
	v_add_f32_e32 v91, v91, v97
	v_fmac_f32_e32 v136, v106, v125
	s_waitcnt vmcnt(2)
	v_fma_f32 v99, v107, v126, -v117
	v_add_f32_e32 v92, v92, v135
	v_add_f32_e32 v91, v91, v98
	v_fmac_f32_e32 v137, v108, v126
	v_add_f32_e32 v92, v92, v136
	v_add_f32_e32 v91, v91, v99
	;; [unrolled: 1-line block ×3, first 2 shown]
	s_waitcnt vmcnt(1)
	v_sub_f32_e32 v91, v127, v91
	s_waitcnt vmcnt(0)
	v_sub_f32_e32 v92, v128, v92
	buffer_store_dword v91, off, s[0:3], 0 offset:272
	buffer_store_dword v92, off, s[0:3], 0 offset:276
	s_and_saveexec_b64 s[4:5], vcc
	s_cbranch_execz .LBB43_211
; %bb.210:
	buffer_load_dword v91, off, s[0:3], 0 offset:264
	buffer_load_dword v92, off, s[0:3], 0 offset:268
	s_waitcnt vmcnt(0)
	ds_write_b64 v89, v[91:92]
	buffer_store_dword v90, off, s[0:3], 0 offset:264
	buffer_store_dword v90, off, s[0:3], 0 offset:268
.LBB43_211:
	s_or_b64 exec, exec, s[4:5]
	s_waitcnt lgkmcnt(0)
	; wave barrier
	buffer_load_dword v111, off, s[0:3], 0 offset:276
	buffer_load_dword v112, off, s[0:3], 0 offset:284
	;; [unrolled: 1-line block ×22, first 2 shown]
	ds_read_b128 v[91:94], v90 offset:624
	ds_read_b128 v[95:98], v90 offset:640
	;; [unrolled: 1-line block ×5, first 2 shown]
	v_cmp_lt_u32_e32 vcc, 32, v0
	s_waitcnt vmcnt(21) lgkmcnt(4)
	v_mul_f32_e32 v90, v91, v111
	v_mul_f32_e32 v111, v92, v111
	s_waitcnt vmcnt(20)
	v_mul_f32_e32 v133, v93, v112
	v_mul_f32_e32 v112, v94, v112
	s_waitcnt vmcnt(19) lgkmcnt(3)
	v_mul_f32_e32 v134, v95, v113
	v_mul_f32_e32 v113, v96, v113
	s_waitcnt vmcnt(18)
	v_mul_f32_e32 v135, v97, v114
	v_mul_f32_e32 v114, v98, v114
	s_waitcnt vmcnt(17) lgkmcnt(2)
	v_mul_f32_e32 v136, v99, v115
	v_mul_f32_e32 v115, v100, v115
	s_waitcnt vmcnt(11)
	v_fma_f32 v91, v91, v121, -v111
	v_fmac_f32_e32 v90, v92, v121
	s_waitcnt vmcnt(10)
	v_fma_f32 v92, v93, v122, -v112
	v_add_f32_e32 v91, 0, v91
	v_fmac_f32_e32 v133, v94, v122
	s_waitcnt vmcnt(9)
	v_fma_f32 v93, v95, v123, -v113
	v_add_f32_e32 v90, 0, v90
	v_add_f32_e32 v91, v91, v92
	v_fmac_f32_e32 v134, v96, v123
	s_waitcnt vmcnt(8)
	v_fma_f32 v94, v97, v124, -v114
	v_add_f32_e32 v90, v90, v133
	v_add_f32_e32 v91, v91, v93
	v_mul_f32_e32 v137, v101, v116
	v_mul_f32_e32 v116, v102, v116
	v_fmac_f32_e32 v135, v98, v124
	s_waitcnt vmcnt(7)
	v_fma_f32 v95, v99, v125, -v115
	v_add_f32_e32 v90, v90, v134
	v_add_f32_e32 v91, v91, v94
	s_waitcnt lgkmcnt(1)
	v_mul_f32_e32 v138, v103, v117
	v_mul_f32_e32 v117, v104, v117
	v_fmac_f32_e32 v136, v100, v125
	s_waitcnt vmcnt(6)
	v_fma_f32 v96, v101, v126, -v116
	v_add_f32_e32 v90, v90, v135
	v_add_f32_e32 v91, v91, v95
	v_mul_f32_e32 v139, v105, v118
	v_mul_f32_e32 v118, v106, v118
	v_fmac_f32_e32 v137, v102, v126
	s_waitcnt vmcnt(5)
	v_fma_f32 v97, v103, v127, -v117
	v_add_f32_e32 v90, v90, v136
	v_add_f32_e32 v91, v91, v96
	s_waitcnt lgkmcnt(0)
	v_mul_f32_e32 v140, v107, v119
	v_mul_f32_e32 v119, v108, v119
	v_fmac_f32_e32 v138, v104, v127
	s_waitcnt vmcnt(4)
	v_fma_f32 v98, v105, v128, -v118
	v_add_f32_e32 v90, v90, v137
	v_add_f32_e32 v91, v91, v97
	v_mul_f32_e32 v141, v109, v120
	v_mul_f32_e32 v120, v110, v120
	v_fmac_f32_e32 v139, v106, v128
	s_waitcnt vmcnt(3)
	v_fma_f32 v99, v107, v129, -v119
	v_add_f32_e32 v90, v90, v138
	v_add_f32_e32 v91, v91, v98
	v_fmac_f32_e32 v140, v108, v129
	s_waitcnt vmcnt(2)
	v_fma_f32 v100, v109, v130, -v120
	v_add_f32_e32 v90, v90, v139
	v_add_f32_e32 v91, v91, v99
	v_fmac_f32_e32 v141, v110, v130
	v_add_f32_e32 v90, v90, v140
	v_add_f32_e32 v91, v91, v100
	;; [unrolled: 1-line block ×3, first 2 shown]
	s_waitcnt vmcnt(1)
	v_sub_f32_e32 v91, v131, v91
	s_waitcnt vmcnt(0)
	v_sub_f32_e32 v90, v132, v90
	buffer_store_dword v91, off, s[0:3], 0 offset:264
	buffer_store_dword v90, off, s[0:3], 0 offset:268
	s_and_saveexec_b64 s[4:5], vcc
	s_cbranch_execz .LBB43_213
; %bb.212:
	buffer_load_dword v90, off, s[0:3], 0 offset:256
	buffer_load_dword v91, off, s[0:3], 0 offset:260
	v_mov_b32_e32 v92, 0
	buffer_store_dword v92, off, s[0:3], 0 offset:256
	buffer_store_dword v92, off, s[0:3], 0 offset:260
	s_waitcnt vmcnt(2)
	ds_write_b64 v89, v[90:91]
.LBB43_213:
	s_or_b64 exec, exec, s[4:5]
	s_waitcnt lgkmcnt(0)
	; wave barrier
	buffer_load_dword v113, off, s[0:3], 0 offset:268
	buffer_load_dword v114, off, s[0:3], 0 offset:276
	buffer_load_dword v115, off, s[0:3], 0 offset:284
	buffer_load_dword v116, off, s[0:3], 0 offset:292
	buffer_load_dword v117, off, s[0:3], 0 offset:300
	buffer_load_dword v118, off, s[0:3], 0 offset:308
	buffer_load_dword v119, off, s[0:3], 0 offset:316
	buffer_load_dword v120, off, s[0:3], 0 offset:324
	buffer_load_dword v121, off, s[0:3], 0 offset:332
	buffer_load_dword v122, off, s[0:3], 0 offset:340
	buffer_load_dword v123, off, s[0:3], 0 offset:348
	buffer_load_dword v124, off, s[0:3], 0 offset:264
	buffer_load_dword v125, off, s[0:3], 0 offset:272
	buffer_load_dword v126, off, s[0:3], 0 offset:280
	buffer_load_dword v127, off, s[0:3], 0 offset:288
	buffer_load_dword v128, off, s[0:3], 0 offset:296
	buffer_load_dword v129, off, s[0:3], 0 offset:304
	buffer_load_dword v130, off, s[0:3], 0 offset:312
	buffer_load_dword v131, off, s[0:3], 0 offset:320
	buffer_load_dword v132, off, s[0:3], 0 offset:328
	buffer_load_dword v133, off, s[0:3], 0 offset:336
	buffer_load_dword v134, off, s[0:3], 0 offset:344
	buffer_load_dword v135, off, s[0:3], 0 offset:256
	buffer_load_dword v136, off, s[0:3], 0 offset:260
	v_mov_b32_e32 v90, 0
	ds_read2_b64 v[91:94], v90 offset0:77 offset1:78
	ds_read2_b64 v[95:98], v90 offset0:79 offset1:80
	;; [unrolled: 1-line block ×5, first 2 shown]
	ds_read_b64 v[111:112], v90 offset:696
	v_cmp_lt_u32_e32 vcc, 31, v0
	s_waitcnt vmcnt(23) lgkmcnt(5)
	v_mul_f32_e32 v137, v91, v113
	v_mul_f32_e32 v113, v92, v113
	s_waitcnt vmcnt(22)
	v_mul_f32_e32 v138, v93, v114
	v_mul_f32_e32 v114, v94, v114
	s_waitcnt vmcnt(21) lgkmcnt(4)
	v_mul_f32_e32 v139, v95, v115
	v_mul_f32_e32 v115, v96, v115
	s_waitcnt vmcnt(20)
	v_mul_f32_e32 v140, v97, v116
	s_waitcnt vmcnt(19) lgkmcnt(3)
	v_mul_f32_e32 v141, v99, v117
	v_mul_f32_e32 v116, v98, v116
	;; [unrolled: 1-line block ×3, first 2 shown]
	s_waitcnt vmcnt(18)
	v_mul_f32_e32 v142, v101, v118
	s_waitcnt vmcnt(12)
	v_fma_f32 v91, v91, v124, -v113
	v_fmac_f32_e32 v137, v92, v124
	s_waitcnt vmcnt(11)
	v_fma_f32 v92, v93, v125, -v114
	v_add_f32_e32 v91, 0, v91
	s_waitcnt vmcnt(10)
	v_fma_f32 v93, v95, v126, -v115
	v_add_f32_e32 v91, v91, v92
	v_fmac_f32_e32 v138, v94, v125
	s_waitcnt vmcnt(8)
	v_fmac_f32_e32 v141, v100, v128
	v_fma_f32 v94, v97, v127, -v116
	v_add_f32_e32 v100, 0, v137
	v_add_f32_e32 v91, v91, v93
	v_mul_f32_e32 v118, v102, v118
	v_fmac_f32_e32 v139, v96, v126
	v_fma_f32 v95, v99, v128, -v117
	v_add_f32_e32 v100, v100, v138
	v_add_f32_e32 v91, v91, v94
	s_waitcnt lgkmcnt(2)
	v_mul_f32_e32 v143, v103, v119
	v_mul_f32_e32 v119, v104, v119
	v_fmac_f32_e32 v140, v98, v127
	s_waitcnt vmcnt(7)
	v_fma_f32 v96, v101, v129, -v118
	v_add_f32_e32 v92, v100, v139
	v_add_f32_e32 v91, v91, v95
	v_mul_f32_e32 v144, v105, v120
	v_mul_f32_e32 v120, v106, v120
	s_waitcnt vmcnt(6)
	v_fma_f32 v97, v103, v130, -v119
	v_add_f32_e32 v92, v92, v140
	v_add_f32_e32 v91, v91, v96
	s_waitcnt lgkmcnt(1)
	v_mul_f32_e32 v145, v107, v121
	v_mul_f32_e32 v121, v108, v121
	v_fmac_f32_e32 v142, v102, v129
	s_waitcnt vmcnt(5)
	v_fma_f32 v98, v105, v131, -v120
	v_add_f32_e32 v92, v92, v141
	v_add_f32_e32 v91, v91, v97
	v_fmac_f32_e32 v143, v104, v130
	s_waitcnt vmcnt(4)
	v_fma_f32 v99, v107, v132, -v121
	v_add_f32_e32 v92, v92, v142
	v_add_f32_e32 v91, v91, v98
	v_mul_f32_e32 v93, v110, v122
	v_fmac_f32_e32 v144, v106, v131
	v_add_f32_e32 v92, v92, v143
	v_add_f32_e32 v91, v91, v99
	s_waitcnt vmcnt(3)
	v_fma_f32 v93, v109, v133, -v93
	v_mul_f32_e32 v146, v109, v122
	v_fmac_f32_e32 v145, v108, v132
	v_add_f32_e32 v92, v92, v144
	v_add_f32_e32 v91, v91, v93
	s_waitcnt lgkmcnt(0)
	v_mul_f32_e32 v93, v112, v123
	v_mul_f32_e32 v147, v111, v123
	v_fmac_f32_e32 v146, v110, v133
	v_add_f32_e32 v92, v92, v145
	s_waitcnt vmcnt(2)
	v_fma_f32 v93, v111, v134, -v93
	v_fmac_f32_e32 v147, v112, v134
	v_add_f32_e32 v92, v92, v146
	v_add_f32_e32 v91, v91, v93
	;; [unrolled: 1-line block ×3, first 2 shown]
	s_waitcnt vmcnt(1)
	v_sub_f32_e32 v91, v135, v91
	s_waitcnt vmcnt(0)
	v_sub_f32_e32 v92, v136, v92
	buffer_store_dword v91, off, s[0:3], 0 offset:256
	buffer_store_dword v92, off, s[0:3], 0 offset:260
	s_and_saveexec_b64 s[4:5], vcc
	s_cbranch_execz .LBB43_215
; %bb.214:
	buffer_load_dword v91, off, s[0:3], 0 offset:248
	buffer_load_dword v92, off, s[0:3], 0 offset:252
	s_waitcnt vmcnt(0)
	ds_write_b64 v89, v[91:92]
	buffer_store_dword v90, off, s[0:3], 0 offset:248
	buffer_store_dword v90, off, s[0:3], 0 offset:252
.LBB43_215:
	s_or_b64 exec, exec, s[4:5]
	s_waitcnt lgkmcnt(0)
	; wave barrier
	buffer_load_dword v115, off, s[0:3], 0 offset:260
	buffer_load_dword v116, off, s[0:3], 0 offset:268
	buffer_load_dword v117, off, s[0:3], 0 offset:276
	buffer_load_dword v118, off, s[0:3], 0 offset:284
	buffer_load_dword v119, off, s[0:3], 0 offset:292
	buffer_load_dword v120, off, s[0:3], 0 offset:300
	buffer_load_dword v121, off, s[0:3], 0 offset:308
	buffer_load_dword v122, off, s[0:3], 0 offset:316
	buffer_load_dword v123, off, s[0:3], 0 offset:324
	buffer_load_dword v124, off, s[0:3], 0 offset:332
	buffer_load_dword v125, off, s[0:3], 0 offset:340
	buffer_load_dword v126, off, s[0:3], 0 offset:348
	buffer_load_dword v127, off, s[0:3], 0 offset:256
	buffer_load_dword v128, off, s[0:3], 0 offset:264
	buffer_load_dword v129, off, s[0:3], 0 offset:272
	buffer_load_dword v130, off, s[0:3], 0 offset:280
	buffer_load_dword v131, off, s[0:3], 0 offset:288
	buffer_load_dword v132, off, s[0:3], 0 offset:296
	buffer_load_dword v133, off, s[0:3], 0 offset:304
	buffer_load_dword v134, off, s[0:3], 0 offset:312
	buffer_load_dword v135, off, s[0:3], 0 offset:320
	buffer_load_dword v136, off, s[0:3], 0 offset:328
	buffer_load_dword v137, off, s[0:3], 0 offset:336
	buffer_load_dword v138, off, s[0:3], 0 offset:344
	buffer_load_dword v139, off, s[0:3], 0 offset:248
	buffer_load_dword v140, off, s[0:3], 0 offset:252
	ds_read_b128 v[91:94], v90 offset:608
	ds_read_b128 v[95:98], v90 offset:624
	;; [unrolled: 1-line block ×6, first 2 shown]
	v_cmp_lt_u32_e32 vcc, 30, v0
	s_waitcnt vmcnt(25) lgkmcnt(5)
	v_mul_f32_e32 v90, v91, v115
	v_mul_f32_e32 v115, v92, v115
	s_waitcnt vmcnt(24)
	v_mul_f32_e32 v141, v93, v116
	v_mul_f32_e32 v116, v94, v116
	s_waitcnt vmcnt(23) lgkmcnt(4)
	v_mul_f32_e32 v142, v95, v117
	v_mul_f32_e32 v117, v96, v117
	s_waitcnt vmcnt(22)
	v_mul_f32_e32 v143, v97, v118
	v_mul_f32_e32 v118, v98, v118
	;; [unrolled: 6-line block ×3, first 2 shown]
	s_waitcnt vmcnt(13)
	v_fma_f32 v91, v91, v127, -v115
	v_fmac_f32_e32 v90, v92, v127
	s_waitcnt vmcnt(12)
	v_fma_f32 v92, v93, v128, -v116
	v_add_f32_e32 v91, 0, v91
	s_waitcnt vmcnt(11)
	v_fma_f32 v93, v95, v129, -v117
	v_add_f32_e32 v91, v91, v92
	v_fmac_f32_e32 v141, v94, v128
	s_waitcnt vmcnt(10)
	v_fma_f32 v94, v97, v130, -v118
	v_add_f32_e32 v91, v91, v93
	s_waitcnt vmcnt(9)
	v_fma_f32 v95, v99, v131, -v119
	v_add_f32_e32 v91, v91, v94
	s_waitcnt lgkmcnt(2)
	v_mul_f32_e32 v146, v103, v121
	v_mul_f32_e32 v121, v104, v121
	v_fmac_f32_e32 v142, v96, v129
	s_waitcnt vmcnt(8)
	v_fma_f32 v96, v101, v132, -v120
	v_add_f32_e32 v90, 0, v90
	v_add_f32_e32 v91, v91, v95
	v_mul_f32_e32 v147, v105, v122
	v_mul_f32_e32 v122, v106, v122
	s_waitcnt vmcnt(7)
	v_fma_f32 v97, v103, v133, -v121
	v_add_f32_e32 v90, v90, v141
	v_add_f32_e32 v91, v91, v96
	v_fmac_f32_e32 v143, v98, v130
	s_waitcnt vmcnt(6)
	v_fma_f32 v98, v105, v134, -v122
	v_add_f32_e32 v90, v90, v142
	v_add_f32_e32 v91, v91, v97
	s_waitcnt lgkmcnt(1)
	v_mul_f32_e32 v92, v108, v123
	v_fmac_f32_e32 v144, v100, v131
	v_add_f32_e32 v90, v90, v143
	v_add_f32_e32 v91, v91, v98
	s_waitcnt vmcnt(5)
	v_fma_f32 v92, v107, v135, -v92
	v_fmac_f32_e32 v145, v102, v132
	v_add_f32_e32 v90, v90, v144
	v_add_f32_e32 v91, v91, v92
	v_mul_f32_e32 v92, v110, v124
	v_fmac_f32_e32 v146, v104, v133
	v_add_f32_e32 v90, v90, v145
	s_waitcnt vmcnt(4)
	v_fma_f32 v92, v109, v136, -v92
	v_mul_f32_e32 v148, v107, v123
	v_fmac_f32_e32 v147, v106, v134
	v_add_f32_e32 v90, v90, v146
	v_add_f32_e32 v91, v91, v92
	s_waitcnt lgkmcnt(0)
	v_mul_f32_e32 v92, v112, v125
	v_mul_f32_e32 v149, v109, v124
	v_fmac_f32_e32 v148, v108, v135
	v_add_f32_e32 v90, v90, v147
	s_waitcnt vmcnt(3)
	v_fma_f32 v92, v111, v137, -v92
	v_mul_f32_e32 v150, v111, v125
	v_fmac_f32_e32 v149, v110, v136
	v_add_f32_e32 v90, v90, v148
	v_add_f32_e32 v91, v91, v92
	v_mul_f32_e32 v92, v114, v126
	v_mul_f32_e32 v151, v113, v126
	v_fmac_f32_e32 v150, v112, v137
	v_add_f32_e32 v90, v90, v149
	s_waitcnt vmcnt(2)
	v_fma_f32 v92, v113, v138, -v92
	v_fmac_f32_e32 v151, v114, v138
	v_add_f32_e32 v90, v90, v150
	v_add_f32_e32 v91, v91, v92
	;; [unrolled: 1-line block ×3, first 2 shown]
	s_waitcnt vmcnt(1)
	v_sub_f32_e32 v91, v139, v91
	s_waitcnt vmcnt(0)
	v_sub_f32_e32 v90, v140, v90
	buffer_store_dword v91, off, s[0:3], 0 offset:248
	buffer_store_dword v90, off, s[0:3], 0 offset:252
	s_and_saveexec_b64 s[4:5], vcc
	s_cbranch_execz .LBB43_217
; %bb.216:
	buffer_load_dword v90, off, s[0:3], 0 offset:240
	buffer_load_dword v91, off, s[0:3], 0 offset:244
	v_mov_b32_e32 v92, 0
	buffer_store_dword v92, off, s[0:3], 0 offset:240
	buffer_store_dword v92, off, s[0:3], 0 offset:244
	s_waitcnt vmcnt(2)
	ds_write_b64 v89, v[90:91]
.LBB43_217:
	s_or_b64 exec, exec, s[4:5]
	s_waitcnt lgkmcnt(0)
	; wave barrier
	buffer_load_dword v117, off, s[0:3], 0 offset:252
	buffer_load_dword v118, off, s[0:3], 0 offset:260
	;; [unrolled: 1-line block ×28, first 2 shown]
	v_mov_b32_e32 v90, 0
	ds_read2_b64 v[91:94], v90 offset0:75 offset1:76
	ds_read2_b64 v[95:98], v90 offset0:77 offset1:78
	;; [unrolled: 1-line block ×6, first 2 shown]
	ds_read_b64 v[115:116], v90 offset:696
	v_cmp_lt_u32_e32 vcc, 29, v0
	s_waitcnt vmcnt(27) lgkmcnt(6)
	v_mul_f32_e32 v145, v91, v117
	v_mul_f32_e32 v117, v92, v117
	s_waitcnt vmcnt(26)
	v_mul_f32_e32 v146, v93, v118
	v_mul_f32_e32 v118, v94, v118
	s_waitcnt vmcnt(25) lgkmcnt(5)
	v_mul_f32_e32 v147, v95, v119
	v_mul_f32_e32 v119, v96, v119
	s_waitcnt vmcnt(24)
	v_mul_f32_e32 v148, v97, v120
	v_mul_f32_e32 v120, v98, v120
	;; [unrolled: 6-line block ×3, first 2 shown]
	s_waitcnt vmcnt(21) lgkmcnt(3)
	v_mul_f32_e32 v151, v103, v123
	s_waitcnt vmcnt(14)
	v_fma_f32 v91, v91, v130, -v117
	v_fmac_f32_e32 v145, v92, v130
	s_waitcnt vmcnt(13)
	v_fma_f32 v92, v93, v131, -v118
	v_add_f32_e32 v91, 0, v91
	s_waitcnt vmcnt(12)
	v_fma_f32 v93, v95, v132, -v119
	v_add_f32_e32 v91, v91, v92
	v_fmac_f32_e32 v146, v94, v131
	s_waitcnt vmcnt(11)
	v_fma_f32 v94, v97, v133, -v120
	v_add_f32_e32 v91, v91, v93
	s_waitcnt vmcnt(10)
	v_fma_f32 v95, v99, v134, -v121
	v_add_f32_e32 v91, v91, v94
	v_fmac_f32_e32 v147, v96, v132
	s_waitcnt vmcnt(9)
	v_fma_f32 v96, v101, v135, -v122
	v_add_f32_e32 v91, v91, v95
	v_mul_f32_e32 v93, v104, v123
	v_add_f32_e32 v91, v91, v96
	s_waitcnt vmcnt(8)
	v_fma_f32 v93, v103, v136, -v93
	v_add_f32_e32 v91, v91, v93
	v_mul_f32_e32 v93, v106, v124
	v_add_f32_e32 v97, 0, v145
	s_waitcnt vmcnt(7)
	v_fma_f32 v93, v105, v137, -v93
	v_add_f32_e32 v97, v97, v146
	v_add_f32_e32 v91, v91, v93
	s_waitcnt lgkmcnt(2)
	v_mul_f32_e32 v93, v108, v125
	v_fmac_f32_e32 v148, v98, v133
	v_add_f32_e32 v92, v97, v147
	s_waitcnt vmcnt(6)
	v_fma_f32 v93, v107, v138, -v93
	v_fmac_f32_e32 v149, v100, v134
	v_add_f32_e32 v92, v92, v148
	v_add_f32_e32 v91, v91, v93
	v_mul_f32_e32 v93, v110, v126
	v_fmac_f32_e32 v150, v102, v135
	v_add_f32_e32 v92, v92, v149
	s_waitcnt vmcnt(5)
	v_fma_f32 v93, v109, v139, -v93
	v_mul_f32_e32 v152, v105, v124
	v_fmac_f32_e32 v151, v104, v136
	v_add_f32_e32 v92, v92, v150
	v_add_f32_e32 v91, v91, v93
	s_waitcnt lgkmcnt(1)
	v_mul_f32_e32 v93, v112, v127
	v_mul_f32_e32 v153, v107, v125
	v_fmac_f32_e32 v152, v106, v137
	v_add_f32_e32 v92, v92, v151
	s_waitcnt vmcnt(4)
	v_fma_f32 v93, v111, v140, -v93
	v_mul_f32_e32 v154, v109, v126
	v_fmac_f32_e32 v153, v108, v138
	v_add_f32_e32 v92, v92, v152
	v_add_f32_e32 v91, v91, v93
	v_mul_f32_e32 v93, v114, v128
	v_mul_f32_e32 v155, v111, v127
	v_fmac_f32_e32 v154, v110, v139
	v_add_f32_e32 v92, v92, v153
	s_waitcnt vmcnt(3)
	v_fma_f32 v93, v113, v141, -v93
	v_mul_f32_e32 v156, v113, v128
	v_fmac_f32_e32 v155, v112, v140
	v_add_f32_e32 v92, v92, v154
	v_add_f32_e32 v91, v91, v93
	s_waitcnt lgkmcnt(0)
	v_mul_f32_e32 v93, v116, v129
	v_mul_f32_e32 v157, v115, v129
	v_fmac_f32_e32 v156, v114, v141
	v_add_f32_e32 v92, v92, v155
	s_waitcnt vmcnt(2)
	v_fma_f32 v93, v115, v142, -v93
	v_fmac_f32_e32 v157, v116, v142
	v_add_f32_e32 v92, v92, v156
	v_add_f32_e32 v91, v91, v93
	;; [unrolled: 1-line block ×3, first 2 shown]
	s_waitcnt vmcnt(1)
	v_sub_f32_e32 v91, v143, v91
	s_waitcnt vmcnt(0)
	v_sub_f32_e32 v92, v144, v92
	buffer_store_dword v91, off, s[0:3], 0 offset:240
	buffer_store_dword v92, off, s[0:3], 0 offset:244
	s_and_saveexec_b64 s[4:5], vcc
	s_cbranch_execz .LBB43_219
; %bb.218:
	buffer_load_dword v91, off, s[0:3], 0 offset:232
	buffer_load_dword v92, off, s[0:3], 0 offset:236
	s_waitcnt vmcnt(0)
	ds_write_b64 v89, v[91:92]
	buffer_store_dword v90, off, s[0:3], 0 offset:232
	buffer_store_dword v90, off, s[0:3], 0 offset:236
.LBB43_219:
	s_or_b64 exec, exec, s[4:5]
	s_waitcnt lgkmcnt(0)
	; wave barrier
	buffer_load_dword v119, off, s[0:3], 0 offset:244
	buffer_load_dword v120, off, s[0:3], 0 offset:252
	;; [unrolled: 1-line block ×30, first 2 shown]
	ds_read_b128 v[91:94], v90 offset:592
	ds_read_b128 v[95:98], v90 offset:608
	;; [unrolled: 1-line block ×7, first 2 shown]
	v_cmp_lt_u32_e32 vcc, 28, v0
	s_waitcnt vmcnt(29) lgkmcnt(6)
	v_mul_f32_e32 v90, v91, v119
	v_mul_f32_e32 v119, v92, v119
	s_waitcnt vmcnt(28)
	v_mul_f32_e32 v149, v93, v120
	v_mul_f32_e32 v120, v94, v120
	s_waitcnt vmcnt(27) lgkmcnt(5)
	v_mul_f32_e32 v150, v95, v121
	v_mul_f32_e32 v121, v96, v121
	s_waitcnt vmcnt(26)
	v_mul_f32_e32 v151, v97, v122
	v_mul_f32_e32 v122, v98, v122
	s_waitcnt vmcnt(25) lgkmcnt(4)
	v_mul_f32_e32 v152, v99, v123
	v_mul_f32_e32 v123, v100, v123
	s_waitcnt vmcnt(24)
	v_mul_f32_e32 v153, v101, v124
	s_waitcnt vmcnt(23) lgkmcnt(3)
	v_mul_f32_e32 v154, v103, v125
	s_waitcnt vmcnt(22)
	v_mul_f32_e32 v155, v105, v126
	s_waitcnt vmcnt(21) lgkmcnt(2)
	v_mul_f32_e32 v156, v107, v127
	s_waitcnt vmcnt(15)
	v_fma_f32 v91, v91, v133, -v119
	v_fmac_f32_e32 v90, v92, v133
	s_waitcnt vmcnt(14)
	v_fma_f32 v92, v93, v134, -v120
	v_add_f32_e32 v91, 0, v91
	s_waitcnt vmcnt(13)
	v_fma_f32 v93, v95, v135, -v121
	v_add_f32_e32 v91, v91, v92
	v_fmac_f32_e32 v149, v94, v134
	s_waitcnt vmcnt(12)
	v_fma_f32 v94, v97, v136, -v122
	v_add_f32_e32 v91, v91, v93
	s_waitcnt vmcnt(11)
	v_fma_f32 v95, v99, v137, -v123
	v_add_f32_e32 v91, v91, v94
	v_mul_f32_e32 v92, v102, v124
	v_add_f32_e32 v91, v91, v95
	s_waitcnt vmcnt(10)
	v_fma_f32 v92, v101, v138, -v92
	v_add_f32_e32 v91, v91, v92
	v_mul_f32_e32 v92, v104, v125
	s_waitcnt vmcnt(9)
	v_fma_f32 v92, v103, v139, -v92
	v_add_f32_e32 v91, v91, v92
	v_mul_f32_e32 v92, v106, v126
	s_waitcnt vmcnt(8)
	v_fma_f32 v92, v105, v140, -v92
	v_add_f32_e32 v90, 0, v90
	v_add_f32_e32 v91, v91, v92
	v_mul_f32_e32 v92, v108, v127
	v_fmac_f32_e32 v150, v96, v135
	v_add_f32_e32 v90, v90, v149
	s_waitcnt vmcnt(7)
	v_fma_f32 v92, v107, v141, -v92
	v_fmac_f32_e32 v151, v98, v136
	v_add_f32_e32 v90, v90, v150
	v_add_f32_e32 v91, v91, v92
	v_mul_f32_e32 v92, v110, v128
	v_fmac_f32_e32 v152, v100, v137
	v_add_f32_e32 v90, v90, v151
	s_waitcnt vmcnt(6)
	v_fma_f32 v92, v109, v142, -v92
	v_fmac_f32_e32 v153, v102, v138
	v_add_f32_e32 v90, v90, v152
	v_add_f32_e32 v91, v91, v92
	s_waitcnt lgkmcnt(1)
	v_mul_f32_e32 v92, v112, v129
	v_fmac_f32_e32 v154, v104, v139
	v_add_f32_e32 v90, v90, v153
	s_waitcnt vmcnt(5)
	v_fma_f32 v92, v111, v143, -v92
	v_fmac_f32_e32 v155, v106, v140
	v_add_f32_e32 v90, v90, v154
	v_add_f32_e32 v91, v91, v92
	v_mul_f32_e32 v92, v114, v130
	v_mul_f32_e32 v157, v109, v128
	v_fmac_f32_e32 v156, v108, v141
	v_add_f32_e32 v90, v90, v155
	s_waitcnt vmcnt(4)
	v_fma_f32 v92, v113, v144, -v92
	v_mul_f32_e32 v158, v111, v129
	v_fmac_f32_e32 v157, v110, v142
	v_add_f32_e32 v90, v90, v156
	v_add_f32_e32 v91, v91, v92
	s_waitcnt lgkmcnt(0)
	v_mul_f32_e32 v92, v116, v131
	v_mul_f32_e32 v159, v113, v130
	v_fmac_f32_e32 v158, v112, v143
	v_add_f32_e32 v90, v90, v157
	s_waitcnt vmcnt(3)
	v_fma_f32 v92, v115, v145, -v92
	v_mul_f32_e32 v160, v115, v131
	v_fmac_f32_e32 v159, v114, v144
	v_add_f32_e32 v90, v90, v158
	v_add_f32_e32 v91, v91, v92
	v_mul_f32_e32 v92, v118, v132
	v_mul_f32_e32 v161, v117, v132
	v_fmac_f32_e32 v160, v116, v145
	v_add_f32_e32 v90, v90, v159
	s_waitcnt vmcnt(2)
	v_fma_f32 v92, v117, v146, -v92
	v_fmac_f32_e32 v161, v118, v146
	v_add_f32_e32 v90, v90, v160
	v_add_f32_e32 v91, v91, v92
	;; [unrolled: 1-line block ×3, first 2 shown]
	s_waitcnt vmcnt(1)
	v_sub_f32_e32 v91, v147, v91
	s_waitcnt vmcnt(0)
	v_sub_f32_e32 v90, v148, v90
	buffer_store_dword v91, off, s[0:3], 0 offset:232
	buffer_store_dword v90, off, s[0:3], 0 offset:236
	s_and_saveexec_b64 s[4:5], vcc
	s_cbranch_execz .LBB43_221
; %bb.220:
	buffer_load_dword v90, off, s[0:3], 0 offset:224
	buffer_load_dword v91, off, s[0:3], 0 offset:228
	v_mov_b32_e32 v92, 0
	buffer_store_dword v92, off, s[0:3], 0 offset:224
	buffer_store_dword v92, off, s[0:3], 0 offset:228
	s_waitcnt vmcnt(2)
	ds_write_b64 v89, v[90:91]
.LBB43_221:
	s_or_b64 exec, exec, s[4:5]
	s_waitcnt lgkmcnt(0)
	; wave barrier
	buffer_load_dword v121, off, s[0:3], 0 offset:236
	buffer_load_dword v122, off, s[0:3], 0 offset:244
	;; [unrolled: 1-line block ×32, first 2 shown]
	v_mov_b32_e32 v90, 0
	ds_read2_b64 v[91:94], v90 offset0:73 offset1:74
	ds_read2_b64 v[95:98], v90 offset0:75 offset1:76
	ds_read2_b64 v[99:102], v90 offset0:77 offset1:78
	ds_read2_b64 v[103:106], v90 offset0:79 offset1:80
	ds_read2_b64 v[107:110], v90 offset0:81 offset1:82
	ds_read2_b64 v[111:114], v90 offset0:83 offset1:84
	ds_read2_b64 v[115:118], v90 offset0:85 offset1:86
	ds_read_b64 v[119:120], v90 offset:696
	v_cmp_lt_u32_e32 vcc, 27, v0
	s_waitcnt vmcnt(31) lgkmcnt(7)
	v_mul_f32_e32 v153, v91, v121
	v_mul_f32_e32 v121, v92, v121
	s_waitcnt vmcnt(30)
	v_mul_f32_e32 v154, v93, v122
	v_mul_f32_e32 v122, v94, v122
	s_waitcnt vmcnt(29) lgkmcnt(6)
	v_mul_f32_e32 v155, v95, v123
	v_mul_f32_e32 v123, v96, v123
	s_waitcnt vmcnt(28)
	v_mul_f32_e32 v156, v97, v124
	s_waitcnt vmcnt(27) lgkmcnt(5)
	v_mul_f32_e32 v157, v99, v125
	s_waitcnt vmcnt(26)
	v_mul_f32_e32 v158, v101, v126
	s_waitcnt vmcnt(25) lgkmcnt(4)
	v_mul_f32_e32 v159, v103, v127
	s_waitcnt vmcnt(24)
	v_mul_f32_e32 v160, v105, v128
	s_waitcnt vmcnt(23) lgkmcnt(3)
	v_mul_f32_e32 v161, v107, v129
	s_waitcnt vmcnt(22)
	v_mul_f32_e32 v162, v109, v130
	s_waitcnt vmcnt(21) lgkmcnt(2)
	v_mul_f32_e32 v163, v111, v131
	s_waitcnt vmcnt(20)
	v_mul_f32_e32 v164, v113, v132
	s_waitcnt vmcnt(16)
	v_fma_f32 v91, v91, v136, -v121
	v_fmac_f32_e32 v153, v92, v136
	s_waitcnt vmcnt(15)
	v_fma_f32 v92, v93, v137, -v122
	v_add_f32_e32 v91, 0, v91
	s_waitcnt vmcnt(14)
	v_fma_f32 v93, v95, v138, -v123
	v_add_f32_e32 v91, v91, v92
	v_add_f32_e32 v91, v91, v93
	v_mul_f32_e32 v93, v98, v124
	s_waitcnt vmcnt(13)
	v_fma_f32 v93, v97, v139, -v93
	v_add_f32_e32 v91, v91, v93
	v_mul_f32_e32 v93, v100, v125
	s_waitcnt vmcnt(12)
	v_fma_f32 v93, v99, v140, -v93
	;; [unrolled: 4-line block ×5, first 2 shown]
	v_add_f32_e32 v91, v91, v93
	v_mul_f32_e32 v93, v108, v129
	v_fmac_f32_e32 v154, v94, v137
	v_add_f32_e32 v94, 0, v153
	s_waitcnt vmcnt(8)
	v_fma_f32 v93, v107, v144, -v93
	v_fmac_f32_e32 v155, v96, v138
	v_add_f32_e32 v94, v94, v154
	v_add_f32_e32 v91, v91, v93
	v_mul_f32_e32 v93, v110, v130
	v_fmac_f32_e32 v156, v98, v139
	v_add_f32_e32 v92, v94, v155
	s_waitcnt vmcnt(7)
	v_fma_f32 v93, v109, v145, -v93
	v_fmac_f32_e32 v157, v100, v140
	v_add_f32_e32 v92, v92, v156
	;; [unrolled: 8-line block ×4, first 2 shown]
	v_add_f32_e32 v91, v91, v93
	s_waitcnt lgkmcnt(1)
	v_mul_f32_e32 v93, v116, v133
	v_fmac_f32_e32 v162, v110, v145
	v_add_f32_e32 v92, v92, v161
	s_waitcnt vmcnt(4)
	v_fma_f32 v93, v115, v148, -v93
	v_fmac_f32_e32 v163, v112, v146
	v_add_f32_e32 v92, v92, v162
	v_add_f32_e32 v91, v91, v93
	v_mul_f32_e32 v93, v118, v134
	v_mul_f32_e32 v165, v115, v133
	v_fmac_f32_e32 v164, v114, v147
	v_add_f32_e32 v92, v92, v163
	s_waitcnt vmcnt(3)
	v_fma_f32 v93, v117, v149, -v93
	v_mul_f32_e32 v166, v117, v134
	v_fmac_f32_e32 v165, v116, v148
	v_add_f32_e32 v92, v92, v164
	v_add_f32_e32 v91, v91, v93
	s_waitcnt lgkmcnt(0)
	v_mul_f32_e32 v93, v120, v135
	v_mul_f32_e32 v167, v119, v135
	v_fmac_f32_e32 v166, v118, v149
	v_add_f32_e32 v92, v92, v165
	s_waitcnt vmcnt(2)
	v_fma_f32 v93, v119, v150, -v93
	v_fmac_f32_e32 v167, v120, v150
	v_add_f32_e32 v92, v92, v166
	v_add_f32_e32 v91, v91, v93
	v_add_f32_e32 v92, v92, v167
	s_waitcnt vmcnt(1)
	v_sub_f32_e32 v91, v151, v91
	s_waitcnt vmcnt(0)
	v_sub_f32_e32 v92, v152, v92
	buffer_store_dword v91, off, s[0:3], 0 offset:224
	buffer_store_dword v92, off, s[0:3], 0 offset:228
	s_and_saveexec_b64 s[4:5], vcc
	s_cbranch_execz .LBB43_223
; %bb.222:
	buffer_load_dword v91, off, s[0:3], 0 offset:216
	buffer_load_dword v92, off, s[0:3], 0 offset:220
	s_waitcnt vmcnt(0)
	ds_write_b64 v89, v[91:92]
	buffer_store_dword v90, off, s[0:3], 0 offset:216
	buffer_store_dword v90, off, s[0:3], 0 offset:220
.LBB43_223:
	s_or_b64 exec, exec, s[4:5]
	s_waitcnt lgkmcnt(0)
	; wave barrier
	buffer_load_dword v123, off, s[0:3], 0 offset:228
	buffer_load_dword v124, off, s[0:3], 0 offset:236
	;; [unrolled: 1-line block ×34, first 2 shown]
	ds_read_b128 v[91:94], v90 offset:576
	ds_read_b128 v[95:98], v90 offset:592
	;; [unrolled: 1-line block ×8, first 2 shown]
	v_cmp_lt_u32_e32 vcc, 26, v0
	s_waitcnt vmcnt(33) lgkmcnt(7)
	v_mul_f32_e32 v90, v91, v123
	v_mul_f32_e32 v123, v92, v123
	s_waitcnt vmcnt(32)
	v_mul_f32_e32 v157, v93, v124
	v_mul_f32_e32 v124, v94, v124
	s_waitcnt vmcnt(31) lgkmcnt(6)
	v_mul_f32_e32 v158, v95, v125
	s_waitcnt vmcnt(30)
	v_mul_f32_e32 v159, v97, v126
	s_waitcnt vmcnt(29) lgkmcnt(5)
	v_mul_f32_e32 v160, v99, v127
	s_waitcnt vmcnt(28)
	;; [unrolled: 4-line block ×6, first 2 shown]
	v_mul_f32_e32 v169, v117, v136
	s_waitcnt vmcnt(17)
	v_fma_f32 v91, v91, v139, -v123
	v_fmac_f32_e32 v90, v92, v139
	s_waitcnt vmcnt(16)
	v_fma_f32 v92, v93, v140, -v124
	v_add_f32_e32 v91, 0, v91
	v_add_f32_e32 v91, v91, v92
	v_mul_f32_e32 v92, v96, v125
	s_waitcnt vmcnt(15)
	v_fma_f32 v92, v95, v141, -v92
	v_add_f32_e32 v91, v91, v92
	v_mul_f32_e32 v92, v98, v126
	s_waitcnt vmcnt(14)
	v_fma_f32 v92, v97, v142, -v92
	;; [unrolled: 4-line block ×7, first 2 shown]
	v_fmac_f32_e32 v157, v94, v140
	v_add_f32_e32 v90, 0, v90
	v_add_f32_e32 v91, v91, v92
	v_mul_f32_e32 v92, v110, v132
	v_fmac_f32_e32 v158, v96, v141
	v_add_f32_e32 v90, v90, v157
	s_waitcnt vmcnt(8)
	v_fma_f32 v92, v109, v148, -v92
	v_fmac_f32_e32 v159, v98, v142
	v_add_f32_e32 v90, v90, v158
	v_add_f32_e32 v91, v91, v92
	v_mul_f32_e32 v92, v112, v133
	v_fmac_f32_e32 v160, v100, v143
	v_add_f32_e32 v90, v90, v159
	s_waitcnt vmcnt(7)
	v_fma_f32 v92, v111, v149, -v92
	v_fmac_f32_e32 v161, v102, v144
	v_add_f32_e32 v90, v90, v160
	v_add_f32_e32 v91, v91, v92
	v_mul_f32_e32 v92, v114, v134
	v_fmac_f32_e32 v162, v104, v145
	v_add_f32_e32 v90, v90, v161
	s_waitcnt vmcnt(6)
	v_fma_f32 v92, v113, v150, -v92
	v_fmac_f32_e32 v163, v106, v146
	v_add_f32_e32 v90, v90, v162
	v_add_f32_e32 v91, v91, v92
	v_mul_f32_e32 v92, v116, v135
	v_fmac_f32_e32 v164, v108, v147
	v_add_f32_e32 v90, v90, v163
	s_waitcnt vmcnt(5)
	v_fma_f32 v92, v115, v151, -v92
	v_fmac_f32_e32 v165, v110, v148
	v_add_f32_e32 v90, v90, v164
	v_add_f32_e32 v91, v91, v92
	v_mul_f32_e32 v92, v118, v136
	v_fmac_f32_e32 v166, v112, v149
	v_add_f32_e32 v90, v90, v165
	s_waitcnt vmcnt(4)
	v_fma_f32 v92, v117, v152, -v92
	v_fmac_f32_e32 v167, v114, v150
	v_add_f32_e32 v90, v90, v166
	v_add_f32_e32 v91, v91, v92
	s_waitcnt lgkmcnt(0)
	v_mul_f32_e32 v92, v120, v137
	v_fmac_f32_e32 v168, v116, v151
	v_add_f32_e32 v90, v90, v167
	s_waitcnt vmcnt(3)
	v_fma_f32 v92, v119, v153, -v92
	v_mul_f32_e32 v170, v119, v137
	v_fmac_f32_e32 v169, v118, v152
	v_add_f32_e32 v90, v90, v168
	v_add_f32_e32 v91, v91, v92
	v_mul_f32_e32 v92, v122, v138
	v_mul_f32_e32 v171, v121, v138
	v_fmac_f32_e32 v170, v120, v153
	v_add_f32_e32 v90, v90, v169
	s_waitcnt vmcnt(2)
	v_fma_f32 v92, v121, v154, -v92
	v_fmac_f32_e32 v171, v122, v154
	v_add_f32_e32 v90, v90, v170
	v_add_f32_e32 v91, v91, v92
	;; [unrolled: 1-line block ×3, first 2 shown]
	s_waitcnt vmcnt(1)
	v_sub_f32_e32 v91, v155, v91
	s_waitcnt vmcnt(0)
	v_sub_f32_e32 v90, v156, v90
	buffer_store_dword v91, off, s[0:3], 0 offset:216
	buffer_store_dword v90, off, s[0:3], 0 offset:220
	s_and_saveexec_b64 s[4:5], vcc
	s_cbranch_execz .LBB43_225
; %bb.224:
	buffer_load_dword v90, off, s[0:3], 0 offset:208
	buffer_load_dword v91, off, s[0:3], 0 offset:212
	v_mov_b32_e32 v92, 0
	buffer_store_dword v92, off, s[0:3], 0 offset:208
	buffer_store_dword v92, off, s[0:3], 0 offset:212
	s_waitcnt vmcnt(2)
	ds_write_b64 v89, v[90:91]
.LBB43_225:
	s_or_b64 exec, exec, s[4:5]
	s_waitcnt lgkmcnt(0)
	; wave barrier
	buffer_load_dword v125, off, s[0:3], 0 offset:220
	buffer_load_dword v126, off, s[0:3], 0 offset:228
	;; [unrolled: 1-line block ×36, first 2 shown]
	v_mov_b32_e32 v90, 0
	ds_read2_b64 v[91:94], v90 offset0:71 offset1:72
	ds_read2_b64 v[95:98], v90 offset0:73 offset1:74
	;; [unrolled: 1-line block ×8, first 2 shown]
	ds_read_b64 v[123:124], v90 offset:696
	v_cmp_lt_u32_e32 vcc, 25, v0
	s_waitcnt vmcnt(35) lgkmcnt(8)
	v_mul_f32_e32 v161, v91, v125
	s_waitcnt vmcnt(34)
	v_mul_f32_e32 v162, v93, v126
	s_waitcnt vmcnt(33) lgkmcnt(7)
	v_mul_f32_e32 v163, v95, v127
	s_waitcnt vmcnt(32)
	v_mul_f32_e32 v164, v97, v128
	;; [unrolled: 4-line block ×8, first 2 shown]
	s_waitcnt vmcnt(19) lgkmcnt(0)
	v_mul_f32_e32 v177, v123, v141
	s_waitcnt vmcnt(18)
	v_fmac_f32_e32 v161, v92, v142
	v_mul_f32_e32 v92, v92, v125
	v_fma_f32 v91, v91, v142, -v92
	v_mul_f32_e32 v92, v94, v126
	v_add_f32_e32 v91, 0, v91
	s_waitcnt vmcnt(17)
	v_fma_f32 v92, v93, v143, -v92
	v_add_f32_e32 v91, v91, v92
	v_mul_f32_e32 v92, v96, v127
	s_waitcnt vmcnt(16)
	v_fma_f32 v92, v95, v144, -v92
	v_add_f32_e32 v91, v91, v92
	v_mul_f32_e32 v92, v98, v128
	;; [unrolled: 4-line block ×8, first 2 shown]
	v_fmac_f32_e32 v162, v94, v143
	v_add_f32_e32 v161, 0, v161
	s_waitcnt vmcnt(9)
	v_fma_f32 v92, v109, v151, -v92
	v_fmac_f32_e32 v163, v96, v144
	v_add_f32_e32 v161, v161, v162
	v_add_f32_e32 v91, v91, v92
	v_mul_f32_e32 v92, v112, v135
	v_fmac_f32_e32 v164, v98, v145
	v_add_f32_e32 v161, v161, v163
	s_waitcnt vmcnt(8)
	v_fma_f32 v92, v111, v152, -v92
	v_fmac_f32_e32 v165, v100, v146
	v_add_f32_e32 v161, v161, v164
	v_add_f32_e32 v91, v91, v92
	v_mul_f32_e32 v92, v114, v136
	;; [unrolled: 8-line block ×7, first 2 shown]
	v_fmac_f32_e32 v176, v122, v157
	v_add_f32_e32 v161, v161, v175
	s_waitcnt vmcnt(2)
	v_fma_f32 v92, v123, v158, -v92
	v_fmac_f32_e32 v177, v124, v158
	v_add_f32_e32 v161, v161, v176
	v_add_f32_e32 v91, v91, v92
	;; [unrolled: 1-line block ×3, first 2 shown]
	s_waitcnt vmcnt(1)
	v_sub_f32_e32 v91, v159, v91
	s_waitcnt vmcnt(0)
	v_sub_f32_e32 v92, v160, v161
	buffer_store_dword v91, off, s[0:3], 0 offset:208
	buffer_store_dword v92, off, s[0:3], 0 offset:212
	s_and_saveexec_b64 s[4:5], vcc
	s_cbranch_execz .LBB43_227
; %bb.226:
	buffer_load_dword v91, off, s[0:3], 0 offset:200
	buffer_load_dword v92, off, s[0:3], 0 offset:204
	s_waitcnt vmcnt(0)
	ds_write_b64 v89, v[91:92]
	buffer_store_dword v90, off, s[0:3], 0 offset:200
	buffer_store_dword v90, off, s[0:3], 0 offset:204
.LBB43_227:
	s_or_b64 exec, exec, s[4:5]
	s_waitcnt lgkmcnt(0)
	; wave barrier
	buffer_load_dword v127, off, s[0:3], 0 offset:212
	buffer_load_dword v128, off, s[0:3], 0 offset:220
	;; [unrolled: 1-line block ×38, first 2 shown]
	ds_read_b128 v[91:94], v90 offset:560
	ds_read_b128 v[95:98], v90 offset:576
	;; [unrolled: 1-line block ×9, first 2 shown]
	v_cmp_lt_u32_e32 vcc, 24, v0
	s_waitcnt vmcnt(37) lgkmcnt(8)
	v_mul_f32_e32 v90, v91, v127
	s_waitcnt vmcnt(36)
	v_mul_f32_e32 v165, v93, v128
	s_waitcnt vmcnt(35) lgkmcnt(7)
	v_mul_f32_e32 v166, v95, v129
	s_waitcnt vmcnt(34)
	v_mul_f32_e32 v167, v97, v130
	;; [unrolled: 4-line block ×8, first 2 shown]
	s_waitcnt vmcnt(21) lgkmcnt(0)
	v_mul_f32_e32 v180, v123, v143
	s_waitcnt vmcnt(20)
	v_fmac_f32_e32 v90, v92, v144
	v_mul_f32_e32 v92, v92, v127
	v_fma_f32 v91, v91, v144, -v92
	v_mul_f32_e32 v92, v94, v128
	v_add_f32_e32 v91, 0, v91
	s_waitcnt vmcnt(19)
	v_fma_f32 v92, v93, v145, -v92
	v_add_f32_e32 v91, v91, v92
	v_mul_f32_e32 v92, v96, v129
	s_waitcnt vmcnt(18)
	v_fma_f32 v92, v95, v146, -v92
	v_add_f32_e32 v91, v91, v92
	v_mul_f32_e32 v92, v98, v130
	;; [unrolled: 4-line block ×8, first 2 shown]
	s_waitcnt vmcnt(11)
	v_fma_f32 v92, v109, v153, -v92
	v_fmac_f32_e32 v165, v94, v145
	v_add_f32_e32 v90, 0, v90
	v_add_f32_e32 v91, v91, v92
	v_mul_f32_e32 v92, v112, v137
	v_fmac_f32_e32 v166, v96, v146
	v_add_f32_e32 v90, v90, v165
	s_waitcnt vmcnt(10)
	v_fma_f32 v92, v111, v154, -v92
	v_fmac_f32_e32 v167, v98, v147
	v_add_f32_e32 v90, v90, v166
	v_add_f32_e32 v91, v91, v92
	v_mul_f32_e32 v92, v114, v138
	v_fmac_f32_e32 v168, v100, v148
	v_add_f32_e32 v90, v90, v167
	;; [unrolled: 8-line block ×7, first 2 shown]
	s_waitcnt vmcnt(4)
	v_fma_f32 v92, v123, v160, -v92
	v_fmac_f32_e32 v179, v122, v159
	v_add_f32_e32 v90, v90, v178
	v_add_f32_e32 v91, v91, v92
	s_waitcnt vmcnt(3)
	v_mul_f32_e32 v92, v126, v161
	v_add_f32_e32 v90, v90, v179
	v_fmac_f32_e32 v180, v124, v160
	v_mul_f32_e32 v165, v125, v161
	s_waitcnt vmcnt(2)
	v_fma_f32 v92, v125, v162, -v92
	v_add_f32_e32 v90, v90, v180
	v_fmac_f32_e32 v165, v126, v162
	v_add_f32_e32 v91, v91, v92
	v_add_f32_e32 v90, v90, v165
	s_waitcnt vmcnt(1)
	v_sub_f32_e32 v91, v163, v91
	s_waitcnt vmcnt(0)
	v_sub_f32_e32 v90, v164, v90
	buffer_store_dword v91, off, s[0:3], 0 offset:200
	buffer_store_dword v90, off, s[0:3], 0 offset:204
	s_and_saveexec_b64 s[4:5], vcc
	s_cbranch_execz .LBB43_229
; %bb.228:
	buffer_load_dword v90, off, s[0:3], 0 offset:192
	buffer_load_dword v91, off, s[0:3], 0 offset:196
	v_mov_b32_e32 v92, 0
	buffer_store_dword v92, off, s[0:3], 0 offset:192
	buffer_store_dword v92, off, s[0:3], 0 offset:196
	s_waitcnt vmcnt(2)
	ds_write_b64 v89, v[90:91]
.LBB43_229:
	s_or_b64 exec, exec, s[4:5]
	s_waitcnt lgkmcnt(0)
	; wave barrier
	buffer_load_dword v129, off, s[0:3], 0 offset:204
	buffer_load_dword v130, off, s[0:3], 0 offset:212
	;; [unrolled: 1-line block ×40, first 2 shown]
	v_mov_b32_e32 v90, 0
	ds_read2_b64 v[91:94], v90 offset0:69 offset1:70
	ds_read2_b64 v[95:98], v90 offset0:71 offset1:72
	;; [unrolled: 1-line block ×9, first 2 shown]
	v_cmp_lt_u32_e32 vcc, 23, v0
	s_waitcnt vmcnt(39) lgkmcnt(8)
	v_mul_f32_e32 v127, v91, v129
	s_waitcnt vmcnt(38)
	v_mul_f32_e32 v128, v93, v130
	s_waitcnt vmcnt(37) lgkmcnt(7)
	v_mul_f32_e32 v169, v95, v131
	s_waitcnt vmcnt(36)
	v_mul_f32_e32 v170, v97, v132
	;; [unrolled: 4-line block ×7, first 2 shown]
	s_waitcnt vmcnt(25) lgkmcnt(1)
	v_mul_f32_e32 v181, v119, v143
	s_waitcnt vmcnt(24)
	v_fmac_f32_e32 v127, v92, v144
	v_mul_f32_e32 v92, v92, v129
	v_fma_f32 v91, v91, v144, -v92
	v_mul_f32_e32 v92, v94, v130
	v_add_f32_e32 v91, 0, v91
	s_waitcnt vmcnt(23)
	v_fma_f32 v92, v93, v145, -v92
	v_add_f32_e32 v91, v91, v92
	v_mul_f32_e32 v92, v96, v131
	s_waitcnt vmcnt(22)
	v_fma_f32 v92, v95, v146, -v92
	v_add_f32_e32 v91, v91, v92
	v_mul_f32_e32 v92, v98, v132
	;; [unrolled: 4-line block ×6, first 2 shown]
	s_waitcnt vmcnt(17)
	v_fma_f32 v92, v105, v151, -v92
	v_fmac_f32_e32 v128, v94, v145
	v_add_f32_e32 v127, 0, v127
	v_add_f32_e32 v91, v91, v92
	v_mul_f32_e32 v92, v108, v137
	v_fmac_f32_e32 v169, v96, v146
	v_add_f32_e32 v127, v127, v128
	s_waitcnt vmcnt(16)
	v_fma_f32 v92, v107, v152, -v92
	v_fmac_f32_e32 v170, v98, v147
	v_add_f32_e32 v127, v127, v169
	v_add_f32_e32 v91, v91, v92
	v_mul_f32_e32 v92, v110, v138
	v_fmac_f32_e32 v171, v100, v148
	v_add_f32_e32 v127, v127, v170
	;; [unrolled: 8-line block ×6, first 2 shown]
	s_waitcnt vmcnt(11)
	v_fma_f32 v92, v117, v157, -v92
	v_fmac_f32_e32 v180, v118, v157
	v_add_f32_e32 v127, v127, v179
	v_add_f32_e32 v91, v91, v92
	v_mul_f32_e32 v92, v120, v143
	s_waitcnt vmcnt(10)
	v_fmac_f32_e32 v181, v120, v158
	v_add_f32_e32 v127, v127, v180
	s_waitcnt vmcnt(9)
	v_mul_f32_e32 v128, v121, v159
	v_fma_f32 v92, v119, v158, -v92
	v_add_f32_e32 v127, v127, v181
	s_waitcnt vmcnt(8)
	v_fmac_f32_e32 v128, v122, v160
	v_add_f32_e32 v91, v91, v92
	v_mul_f32_e32 v92, v122, v159
	v_add_f32_e32 v169, v127, v128
	ds_read_b64 v[127:128], v90 offset:696
	v_fma_f32 v92, v121, v160, -v92
	v_add_f32_e32 v91, v91, v92
	s_waitcnt vmcnt(7) lgkmcnt(1)
	v_mul_f32_e32 v92, v124, v161
	v_mul_f32_e32 v170, v123, v161
	s_waitcnt vmcnt(6)
	v_fma_f32 v92, v123, v162, -v92
	v_fmac_f32_e32 v170, v124, v162
	v_add_f32_e32 v91, v91, v92
	s_waitcnt vmcnt(5)
	v_mul_f32_e32 v92, v126, v163
	v_add_f32_e32 v169, v169, v170
	v_mul_f32_e32 v170, v125, v163
	s_waitcnt vmcnt(4)
	v_fma_f32 v92, v125, v164, -v92
	v_fmac_f32_e32 v170, v126, v164
	v_add_f32_e32 v91, v91, v92
	s_waitcnt vmcnt(3) lgkmcnt(0)
	v_mul_f32_e32 v92, v128, v165
	v_add_f32_e32 v169, v169, v170
	v_mul_f32_e32 v170, v127, v165
	s_waitcnt vmcnt(2)
	v_fma_f32 v92, v127, v166, -v92
	v_fmac_f32_e32 v170, v128, v166
	v_add_f32_e32 v91, v91, v92
	v_add_f32_e32 v169, v169, v170
	s_waitcnt vmcnt(1)
	v_sub_f32_e32 v91, v167, v91
	s_waitcnt vmcnt(0)
	v_sub_f32_e32 v92, v168, v169
	buffer_store_dword v91, off, s[0:3], 0 offset:192
	buffer_store_dword v92, off, s[0:3], 0 offset:196
	s_and_saveexec_b64 s[4:5], vcc
	s_cbranch_execz .LBB43_231
; %bb.230:
	buffer_load_dword v91, off, s[0:3], 0 offset:184
	buffer_load_dword v92, off, s[0:3], 0 offset:188
	s_waitcnt vmcnt(0)
	ds_write_b64 v89, v[91:92]
	buffer_store_dword v90, off, s[0:3], 0 offset:184
	buffer_store_dword v90, off, s[0:3], 0 offset:188
.LBB43_231:
	s_or_b64 exec, exec, s[4:5]
	s_waitcnt lgkmcnt(0)
	; wave barrier
	buffer_load_dword v131, off, s[0:3], 0 offset:196
	buffer_load_dword v132, off, s[0:3], 0 offset:204
	;; [unrolled: 1-line block ×42, first 2 shown]
	ds_read_b128 v[91:94], v90 offset:544
	ds_read_b128 v[95:98], v90 offset:560
	ds_read_b128 v[99:102], v90 offset:576
	ds_read_b128 v[103:106], v90 offset:592
	ds_read_b128 v[107:110], v90 offset:608
	ds_read_b128 v[111:114], v90 offset:624
	ds_read_b128 v[115:118], v90 offset:640
	ds_read_b128 v[119:122], v90 offset:656
	v_cmp_lt_u32_e32 vcc, 22, v0
	s_waitcnt vmcnt(41) lgkmcnt(7)
	v_mul_f32_e32 v123, v91, v131
	s_waitcnt vmcnt(40)
	v_mul_f32_e32 v124, v93, v132
	s_waitcnt vmcnt(39) lgkmcnt(6)
	v_mul_f32_e32 v125, v95, v133
	s_waitcnt vmcnt(38)
	v_mul_f32_e32 v126, v97, v134
	;; [unrolled: 4-line block ×7, first 2 shown]
	s_waitcnt vmcnt(27) lgkmcnt(0)
	v_mul_f32_e32 v179, v119, v145
	s_waitcnt vmcnt(26)
	v_fmac_f32_e32 v123, v92, v146
	v_mul_f32_e32 v92, v92, v131
	v_fma_f32 v91, v91, v146, -v92
	v_mul_f32_e32 v92, v94, v132
	v_add_f32_e32 v91, 0, v91
	s_waitcnt vmcnt(25)
	v_fma_f32 v92, v93, v147, -v92
	v_add_f32_e32 v91, v91, v92
	v_mul_f32_e32 v92, v96, v133
	s_waitcnt vmcnt(24)
	v_fma_f32 v92, v95, v148, -v92
	v_add_f32_e32 v91, v91, v92
	v_mul_f32_e32 v92, v98, v134
	;; [unrolled: 4-line block ×5, first 2 shown]
	v_fmac_f32_e32 v124, v94, v147
	v_add_f32_e32 v123, 0, v123
	s_waitcnt vmcnt(20)
	v_fma_f32 v92, v103, v152, -v92
	v_fmac_f32_e32 v125, v96, v148
	v_add_f32_e32 v123, v123, v124
	v_add_f32_e32 v91, v91, v92
	v_mul_f32_e32 v92, v106, v138
	v_fmac_f32_e32 v126, v98, v149
	v_add_f32_e32 v123, v123, v125
	s_waitcnt vmcnt(19)
	v_fma_f32 v92, v105, v153, -v92
	v_fmac_f32_e32 v127, v100, v150
	v_add_f32_e32 v123, v123, v126
	v_add_f32_e32 v91, v91, v92
	v_mul_f32_e32 v92, v108, v139
	;; [unrolled: 8-line block ×5, first 2 shown]
	s_waitcnt vmcnt(15)
	v_fmac_f32_e32 v176, v114, v157
	v_add_f32_e32 v123, v123, v175
	v_fma_f32 v92, v113, v157, -v92
	s_waitcnt vmcnt(14)
	v_fmac_f32_e32 v177, v116, v158
	v_add_f32_e32 v123, v123, v176
	v_add_f32_e32 v91, v91, v92
	v_mul_f32_e32 v92, v116, v143
	s_waitcnt vmcnt(13)
	v_fmac_f32_e32 v178, v118, v159
	v_add_f32_e32 v123, v123, v177
	v_fma_f32 v92, v115, v158, -v92
	s_waitcnt vmcnt(12)
	v_fmac_f32_e32 v179, v120, v160
	v_add_f32_e32 v123, v123, v178
	v_add_f32_e32 v91, v91, v92
	v_mul_f32_e32 v92, v118, v144
	v_add_f32_e32 v127, v123, v179
	ds_read_b128 v[123:126], v90 offset:672
	v_fma_f32 v92, v117, v159, -v92
	v_add_f32_e32 v91, v91, v92
	v_mul_f32_e32 v92, v120, v145
	s_waitcnt vmcnt(11)
	v_mul_f32_e32 v128, v121, v161
	v_fma_f32 v92, v119, v160, -v92
	s_waitcnt vmcnt(10)
	v_fmac_f32_e32 v128, v122, v162
	v_add_f32_e32 v91, v91, v92
	v_mul_f32_e32 v92, v122, v161
	v_add_f32_e32 v173, v127, v128
	ds_read_b128 v[127:130], v90 offset:688
	v_fma_f32 v92, v121, v162, -v92
	v_add_f32_e32 v91, v91, v92
	s_waitcnt vmcnt(9) lgkmcnt(1)
	v_mul_f32_e32 v92, v124, v163
	v_mul_f32_e32 v90, v123, v163
	s_waitcnt vmcnt(8)
	v_fma_f32 v92, v123, v164, -v92
	v_fmac_f32_e32 v90, v124, v164
	v_add_f32_e32 v91, v91, v92
	s_waitcnt vmcnt(7)
	v_mul_f32_e32 v92, v126, v165
	v_add_f32_e32 v90, v173, v90
	v_mul_f32_e32 v173, v125, v165
	s_waitcnt vmcnt(6)
	v_fma_f32 v92, v125, v166, -v92
	v_fmac_f32_e32 v173, v126, v166
	v_add_f32_e32 v91, v91, v92
	s_waitcnt vmcnt(5) lgkmcnt(0)
	v_mul_f32_e32 v92, v128, v167
	v_add_f32_e32 v90, v90, v173
	v_mul_f32_e32 v173, v127, v167
	s_waitcnt vmcnt(4)
	v_fma_f32 v92, v127, v168, -v92
	v_fmac_f32_e32 v173, v128, v168
	v_add_f32_e32 v91, v91, v92
	s_waitcnt vmcnt(3)
	v_mul_f32_e32 v92, v130, v169
	v_add_f32_e32 v90, v90, v173
	v_mul_f32_e32 v173, v129, v169
	s_waitcnt vmcnt(2)
	v_fma_f32 v92, v129, v170, -v92
	v_fmac_f32_e32 v173, v130, v170
	v_add_f32_e32 v91, v91, v92
	v_add_f32_e32 v90, v90, v173
	s_waitcnt vmcnt(1)
	v_sub_f32_e32 v91, v171, v91
	s_waitcnt vmcnt(0)
	v_sub_f32_e32 v90, v172, v90
	buffer_store_dword v91, off, s[0:3], 0 offset:184
	buffer_store_dword v90, off, s[0:3], 0 offset:188
	s_and_saveexec_b64 s[4:5], vcc
	s_cbranch_execz .LBB43_233
; %bb.232:
	buffer_load_dword v90, off, s[0:3], 0 offset:176
	buffer_load_dword v91, off, s[0:3], 0 offset:180
	v_mov_b32_e32 v92, 0
	buffer_store_dword v92, off, s[0:3], 0 offset:176
	buffer_store_dword v92, off, s[0:3], 0 offset:180
	s_waitcnt vmcnt(2)
	ds_write_b64 v89, v[90:91]
.LBB43_233:
	s_or_b64 exec, exec, s[4:5]
	s_waitcnt lgkmcnt(0)
	; wave barrier
	buffer_load_dword v133, off, s[0:3], 0 offset:188
	buffer_load_dword v134, off, s[0:3], 0 offset:196
	;; [unrolled: 1-line block ×44, first 2 shown]
	v_mov_b32_e32 v90, 0
	ds_read2_b64 v[91:94], v90 offset0:67 offset1:68
	ds_read2_b64 v[95:98], v90 offset0:69 offset1:70
	;; [unrolled: 1-line block ×8, first 2 shown]
	v_cmp_lt_u32_e32 vcc, 21, v0
	s_waitcnt vmcnt(43) lgkmcnt(7)
	v_mul_f32_e32 v123, v91, v133
	s_waitcnt vmcnt(42)
	v_mul_f32_e32 v124, v93, v134
	s_waitcnt vmcnt(41) lgkmcnt(6)
	v_mul_f32_e32 v125, v95, v135
	s_waitcnt vmcnt(40)
	v_mul_f32_e32 v126, v97, v136
	;; [unrolled: 4-line block ×7, first 2 shown]
	s_waitcnt vmcnt(29)
	v_fmac_f32_e32 v123, v92, v147
	v_mul_f32_e32 v92, v92, v133
	v_fma_f32 v91, v91, v147, -v92
	v_mul_f32_e32 v92, v94, v134
	v_add_f32_e32 v91, 0, v91
	s_waitcnt vmcnt(28)
	v_fma_f32 v92, v93, v148, -v92
	v_add_f32_e32 v91, v91, v92
	v_mul_f32_e32 v92, v96, v135
	s_waitcnt vmcnt(27)
	v_fma_f32 v92, v95, v149, -v92
	v_add_f32_e32 v91, v91, v92
	v_mul_f32_e32 v92, v98, v136
	;; [unrolled: 4-line block ×4, first 2 shown]
	s_waitcnt vmcnt(24)
	v_fma_f32 v92, v101, v152, -v92
	v_fmac_f32_e32 v124, v94, v148
	v_add_f32_e32 v123, 0, v123
	v_add_f32_e32 v91, v91, v92
	v_mul_f32_e32 v92, v104, v139
	v_fmac_f32_e32 v125, v96, v149
	v_add_f32_e32 v123, v123, v124
	s_waitcnt vmcnt(23)
	v_fma_f32 v92, v103, v153, -v92
	v_fmac_f32_e32 v126, v98, v150
	v_add_f32_e32 v123, v123, v125
	v_add_f32_e32 v91, v91, v92
	v_mul_f32_e32 v92, v106, v140
	v_fmac_f32_e32 v127, v100, v151
	v_add_f32_e32 v123, v123, v126
	;; [unrolled: 8-line block ×4, first 2 shown]
	s_waitcnt vmcnt(20)
	v_fma_f32 v92, v109, v156, -v92
	v_fmac_f32_e32 v132, v110, v156
	v_add_f32_e32 v123, v123, v131
	v_add_f32_e32 v91, v91, v92
	v_mul_f32_e32 v92, v112, v143
	s_waitcnt vmcnt(19)
	v_fmac_f32_e32 v177, v112, v157
	v_add_f32_e32 v123, v123, v132
	v_fma_f32 v92, v111, v157, -v92
	s_waitcnt vmcnt(18)
	v_fmac_f32_e32 v178, v114, v158
	v_add_f32_e32 v123, v123, v177
	v_add_f32_e32 v91, v91, v92
	v_mul_f32_e32 v92, v114, v144
	s_waitcnt vmcnt(17)
	v_fmac_f32_e32 v179, v116, v159
	v_add_f32_e32 v123, v123, v178
	v_fma_f32 v92, v113, v158, -v92
	v_add_f32_e32 v123, v123, v179
	s_waitcnt vmcnt(16)
	v_fmac_f32_e32 v180, v118, v160
	s_waitcnt vmcnt(15) lgkmcnt(0)
	v_mul_f32_e32 v124, v119, v161
	v_add_f32_e32 v91, v91, v92
	v_mul_f32_e32 v92, v116, v145
	v_add_f32_e32 v123, v123, v180
	s_waitcnt vmcnt(14)
	v_fmac_f32_e32 v124, v120, v162
	v_fma_f32 v92, v115, v159, -v92
	v_add_f32_e32 v127, v123, v124
	ds_read2_b64 v[123:126], v90 offset0:83 offset1:84
	v_add_f32_e32 v91, v91, v92
	v_mul_f32_e32 v92, v118, v146
	v_fma_f32 v92, v117, v160, -v92
	v_add_f32_e32 v91, v91, v92
	v_mul_f32_e32 v92, v120, v161
	s_waitcnt vmcnt(13)
	v_mul_f32_e32 v128, v121, v163
	v_fma_f32 v92, v119, v162, -v92
	s_waitcnt vmcnt(12)
	v_fmac_f32_e32 v128, v122, v164
	v_add_f32_e32 v91, v91, v92
	v_mul_f32_e32 v92, v122, v163
	v_add_f32_e32 v131, v127, v128
	ds_read2_b64 v[127:130], v90 offset0:85 offset1:86
	s_waitcnt vmcnt(11) lgkmcnt(1)
	v_mul_f32_e32 v132, v123, v165
	v_fma_f32 v92, v121, v164, -v92
	s_waitcnt vmcnt(10)
	v_fmac_f32_e32 v132, v124, v166
	v_add_f32_e32 v91, v91, v92
	v_mul_f32_e32 v92, v124, v165
	v_add_f32_e32 v131, v131, v132
	s_waitcnt vmcnt(9)
	v_mul_f32_e32 v132, v125, v167
	v_fma_f32 v92, v123, v166, -v92
	s_waitcnt vmcnt(8)
	v_fmac_f32_e32 v132, v126, v168
	v_add_f32_e32 v91, v91, v92
	v_mul_f32_e32 v92, v126, v167
	v_add_f32_e32 v177, v131, v132
	ds_read_b64 v[131:132], v90 offset:696
	v_fma_f32 v92, v125, v168, -v92
	v_add_f32_e32 v91, v91, v92
	s_waitcnt vmcnt(7) lgkmcnt(1)
	v_mul_f32_e32 v92, v128, v169
	v_mul_f32_e32 v178, v127, v169
	s_waitcnt vmcnt(6)
	v_fma_f32 v92, v127, v170, -v92
	v_fmac_f32_e32 v178, v128, v170
	v_add_f32_e32 v91, v91, v92
	s_waitcnt vmcnt(5)
	v_mul_f32_e32 v92, v130, v171
	v_add_f32_e32 v177, v177, v178
	v_mul_f32_e32 v178, v129, v171
	s_waitcnt vmcnt(4)
	v_fma_f32 v92, v129, v172, -v92
	v_fmac_f32_e32 v178, v130, v172
	v_add_f32_e32 v91, v91, v92
	s_waitcnt vmcnt(3) lgkmcnt(0)
	v_mul_f32_e32 v92, v132, v173
	v_add_f32_e32 v177, v177, v178
	v_mul_f32_e32 v178, v131, v173
	s_waitcnt vmcnt(2)
	v_fma_f32 v92, v131, v174, -v92
	v_fmac_f32_e32 v178, v132, v174
	v_add_f32_e32 v91, v91, v92
	v_add_f32_e32 v177, v177, v178
	s_waitcnt vmcnt(1)
	v_sub_f32_e32 v91, v175, v91
	s_waitcnt vmcnt(0)
	v_sub_f32_e32 v92, v176, v177
	buffer_store_dword v91, off, s[0:3], 0 offset:176
	buffer_store_dword v92, off, s[0:3], 0 offset:180
	s_and_saveexec_b64 s[4:5], vcc
	s_cbranch_execz .LBB43_235
; %bb.234:
	buffer_load_dword v91, off, s[0:3], 0 offset:168
	buffer_load_dword v92, off, s[0:3], 0 offset:172
	s_waitcnt vmcnt(0)
	ds_write_b64 v89, v[91:92]
	buffer_store_dword v90, off, s[0:3], 0 offset:168
	buffer_store_dword v90, off, s[0:3], 0 offset:172
.LBB43_235:
	s_or_b64 exec, exec, s[4:5]
	s_waitcnt lgkmcnt(0)
	; wave barrier
	buffer_load_dword v135, off, s[0:3], 0 offset:180
	buffer_load_dword v136, off, s[0:3], 0 offset:188
	;; [unrolled: 1-line block ×46, first 2 shown]
	ds_read_b128 v[91:94], v90 offset:528
	ds_read_b128 v[95:98], v90 offset:544
	;; [unrolled: 1-line block ×8, first 2 shown]
	v_cmp_lt_u32_e32 vcc, 20, v0
	s_waitcnt vmcnt(45) lgkmcnt(7)
	v_mul_f32_e32 v123, v91, v135
	s_waitcnt vmcnt(44)
	v_mul_f32_e32 v124, v93, v136
	s_waitcnt vmcnt(43) lgkmcnt(6)
	v_mul_f32_e32 v125, v95, v137
	s_waitcnt vmcnt(42)
	v_mul_f32_e32 v126, v97, v138
	;; [unrolled: 4-line block ×6, first 2 shown]
	s_waitcnt vmcnt(33) lgkmcnt(1)
	v_mul_f32_e32 v181, v115, v147
	s_waitcnt vmcnt(32)
	v_fmac_f32_e32 v123, v92, v148
	v_mul_f32_e32 v92, v92, v135
	v_fma_f32 v91, v91, v148, -v92
	v_mul_f32_e32 v92, v94, v136
	v_add_f32_e32 v91, 0, v91
	s_waitcnt vmcnt(31)
	v_fma_f32 v92, v93, v149, -v92
	v_add_f32_e32 v91, v91, v92
	v_mul_f32_e32 v92, v96, v137
	s_waitcnt vmcnt(30)
	v_fma_f32 v92, v95, v150, -v92
	v_add_f32_e32 v91, v91, v92
	v_mul_f32_e32 v92, v98, v138
	;; [unrolled: 4-line block ×4, first 2 shown]
	v_fmac_f32_e32 v124, v94, v149
	v_add_f32_e32 v123, 0, v123
	s_waitcnt vmcnt(27)
	v_fma_f32 v92, v101, v153, -v92
	v_fmac_f32_e32 v125, v96, v150
	v_add_f32_e32 v123, v123, v124
	v_add_f32_e32 v91, v91, v92
	v_mul_f32_e32 v92, v104, v141
	v_fmac_f32_e32 v126, v98, v151
	v_add_f32_e32 v123, v123, v125
	s_waitcnt vmcnt(26)
	v_fma_f32 v92, v103, v154, -v92
	v_fmac_f32_e32 v127, v100, v152
	v_add_f32_e32 v123, v123, v126
	v_add_f32_e32 v91, v91, v92
	v_mul_f32_e32 v92, v106, v142
	v_fmac_f32_e32 v128, v102, v153
	v_add_f32_e32 v123, v123, v127
	s_waitcnt vmcnt(25)
	v_fma_f32 v92, v105, v155, -v92
	v_fmac_f32_e32 v129, v104, v154
	v_add_f32_e32 v123, v123, v128
	v_add_f32_e32 v91, v91, v92
	v_mul_f32_e32 v92, v108, v143
	v_fmac_f32_e32 v130, v106, v155
	v_add_f32_e32 v123, v123, v129
	s_waitcnt vmcnt(24)
	v_fma_f32 v92, v107, v156, -v92
	v_fmac_f32_e32 v131, v108, v156
	v_add_f32_e32 v123, v123, v130
	v_add_f32_e32 v91, v91, v92
	v_mul_f32_e32 v92, v110, v144
	s_waitcnt vmcnt(23)
	v_fmac_f32_e32 v132, v110, v157
	v_add_f32_e32 v123, v123, v131
	v_fma_f32 v92, v109, v157, -v92
	s_waitcnt vmcnt(22)
	v_fmac_f32_e32 v133, v112, v158
	v_add_f32_e32 v123, v123, v132
	v_add_f32_e32 v91, v91, v92
	v_mul_f32_e32 v92, v112, v145
	s_waitcnt vmcnt(21)
	v_fmac_f32_e32 v134, v114, v159
	v_add_f32_e32 v123, v123, v133
	v_fma_f32 v92, v111, v158, -v92
	s_waitcnt vmcnt(20)
	v_fmac_f32_e32 v181, v116, v160
	v_add_f32_e32 v123, v123, v134
	s_waitcnt vmcnt(19)
	v_mul_f32_e32 v124, v117, v161
	v_add_f32_e32 v91, v91, v92
	v_mul_f32_e32 v92, v114, v146
	v_add_f32_e32 v123, v123, v181
	s_waitcnt vmcnt(18)
	v_fmac_f32_e32 v124, v118, v162
	v_fma_f32 v92, v113, v159, -v92
	v_add_f32_e32 v123, v123, v124
	s_waitcnt vmcnt(17) lgkmcnt(0)
	v_mul_f32_e32 v124, v119, v163
	v_add_f32_e32 v91, v91, v92
	v_mul_f32_e32 v92, v116, v147
	s_waitcnt vmcnt(16)
	v_fmac_f32_e32 v124, v120, v164
	v_fma_f32 v92, v115, v160, -v92
	v_add_f32_e32 v127, v123, v124
	ds_read_b128 v[123:126], v90 offset:656
	v_add_f32_e32 v91, v91, v92
	v_mul_f32_e32 v92, v118, v161
	v_fma_f32 v92, v117, v162, -v92
	v_add_f32_e32 v91, v91, v92
	v_mul_f32_e32 v92, v120, v163
	s_waitcnt vmcnt(15)
	v_mul_f32_e32 v128, v121, v165
	v_fma_f32 v92, v119, v164, -v92
	s_waitcnt vmcnt(14)
	v_fmac_f32_e32 v128, v122, v166
	v_add_f32_e32 v91, v91, v92
	v_mul_f32_e32 v92, v122, v165
	v_add_f32_e32 v131, v127, v128
	ds_read_b128 v[127:130], v90 offset:672
	s_waitcnt vmcnt(13) lgkmcnt(1)
	v_mul_f32_e32 v132, v123, v167
	v_fma_f32 v92, v121, v166, -v92
	s_waitcnt vmcnt(12)
	v_fmac_f32_e32 v132, v124, v168
	v_add_f32_e32 v91, v91, v92
	v_mul_f32_e32 v92, v124, v167
	v_add_f32_e32 v131, v131, v132
	s_waitcnt vmcnt(11)
	v_mul_f32_e32 v132, v125, v169
	v_fma_f32 v92, v123, v168, -v92
	s_waitcnt vmcnt(10)
	v_fmac_f32_e32 v132, v126, v170
	v_add_f32_e32 v91, v91, v92
	v_mul_f32_e32 v92, v126, v169
	v_add_f32_e32 v181, v131, v132
	ds_read_b128 v[131:134], v90 offset:688
	v_fma_f32 v92, v125, v170, -v92
	v_add_f32_e32 v91, v91, v92
	s_waitcnt vmcnt(9) lgkmcnt(1)
	v_mul_f32_e32 v92, v128, v171
	v_mul_f32_e32 v182, v127, v171
	s_waitcnt vmcnt(8)
	v_fma_f32 v92, v127, v172, -v92
	v_fmac_f32_e32 v182, v128, v172
	v_add_f32_e32 v91, v91, v92
	s_waitcnt vmcnt(7)
	v_mul_f32_e32 v92, v130, v173
	v_add_f32_e32 v90, v181, v182
	v_mul_f32_e32 v181, v129, v173
	s_waitcnt vmcnt(6)
	v_fma_f32 v92, v129, v174, -v92
	v_fmac_f32_e32 v181, v130, v174
	v_add_f32_e32 v91, v91, v92
	s_waitcnt vmcnt(5) lgkmcnt(0)
	v_mul_f32_e32 v92, v132, v175
	v_add_f32_e32 v90, v90, v181
	v_mul_f32_e32 v181, v131, v175
	s_waitcnt vmcnt(4)
	v_fma_f32 v92, v131, v176, -v92
	v_fmac_f32_e32 v181, v132, v176
	v_add_f32_e32 v91, v91, v92
	s_waitcnt vmcnt(3)
	v_mul_f32_e32 v92, v134, v177
	v_add_f32_e32 v90, v90, v181
	v_mul_f32_e32 v181, v133, v177
	s_waitcnt vmcnt(2)
	v_fma_f32 v92, v133, v178, -v92
	v_fmac_f32_e32 v181, v134, v178
	v_add_f32_e32 v91, v91, v92
	v_add_f32_e32 v90, v90, v181
	s_waitcnt vmcnt(1)
	v_sub_f32_e32 v91, v179, v91
	s_waitcnt vmcnt(0)
	v_sub_f32_e32 v90, v180, v90
	buffer_store_dword v91, off, s[0:3], 0 offset:168
	buffer_store_dword v90, off, s[0:3], 0 offset:172
	s_and_saveexec_b64 s[4:5], vcc
	s_cbranch_execz .LBB43_237
; %bb.236:
	buffer_load_dword v90, off, s[0:3], 0 offset:160
	buffer_load_dword v91, off, s[0:3], 0 offset:164
	v_mov_b32_e32 v92, 0
	buffer_store_dword v92, off, s[0:3], 0 offset:160
	buffer_store_dword v92, off, s[0:3], 0 offset:164
	s_waitcnt vmcnt(2)
	ds_write_b64 v89, v[90:91]
.LBB43_237:
	s_or_b64 exec, exec, s[4:5]
	s_waitcnt lgkmcnt(0)
	; wave barrier
	buffer_load_dword v137, off, s[0:3], 0 offset:172
	buffer_load_dword v138, off, s[0:3], 0 offset:180
	;; [unrolled: 1-line block ×48, first 2 shown]
	v_mov_b32_e32 v90, 0
	ds_read2_b64 v[91:94], v90 offset0:65 offset1:66
	ds_read2_b64 v[95:98], v90 offset0:67 offset1:68
	;; [unrolled: 1-line block ×7, first 2 shown]
	v_cmp_lt_u32_e32 vcc, 19, v0
	s_waitcnt vmcnt(47) lgkmcnt(6)
	v_mul_f32_e32 v119, v91, v137
	s_waitcnt vmcnt(46)
	v_mul_f32_e32 v120, v93, v138
	s_waitcnt vmcnt(45) lgkmcnt(5)
	v_mul_f32_e32 v121, v95, v139
	s_waitcnt vmcnt(44)
	v_mul_f32_e32 v122, v97, v140
	;; [unrolled: 4-line block ×6, first 2 shown]
	s_waitcnt vmcnt(35)
	v_fmac_f32_e32 v119, v92, v149
	v_mul_f32_e32 v92, v92, v137
	v_fma_f32 v91, v91, v149, -v92
	v_mul_f32_e32 v92, v94, v138
	v_add_f32_e32 v91, 0, v91
	s_waitcnt vmcnt(34)
	v_fma_f32 v92, v93, v150, -v92
	v_add_f32_e32 v91, v91, v92
	v_mul_f32_e32 v92, v96, v139
	s_waitcnt vmcnt(33)
	v_fma_f32 v92, v95, v151, -v92
	v_fmac_f32_e32 v120, v94, v150
	v_add_f32_e32 v119, 0, v119
	v_add_f32_e32 v91, v91, v92
	v_mul_f32_e32 v92, v98, v140
	v_fmac_f32_e32 v121, v96, v151
	v_add_f32_e32 v119, v119, v120
	s_waitcnt vmcnt(32)
	v_fma_f32 v92, v97, v152, -v92
	v_fmac_f32_e32 v122, v98, v152
	v_add_f32_e32 v119, v119, v121
	v_add_f32_e32 v91, v91, v92
	v_mul_f32_e32 v92, v100, v141
	s_waitcnt vmcnt(31)
	v_fmac_f32_e32 v123, v100, v153
	v_add_f32_e32 v119, v119, v122
	v_fma_f32 v92, v99, v153, -v92
	s_waitcnt vmcnt(30)
	v_fmac_f32_e32 v124, v102, v154
	v_add_f32_e32 v119, v119, v123
	v_add_f32_e32 v91, v91, v92
	v_mul_f32_e32 v92, v102, v142
	s_waitcnt vmcnt(29)
	v_fmac_f32_e32 v125, v104, v155
	v_add_f32_e32 v119, v119, v124
	v_fma_f32 v92, v101, v154, -v92
	s_waitcnt vmcnt(28)
	;; [unrolled: 9-line block ×4, first 2 shown]
	v_fmac_f32_e32 v130, v114, v160
	v_add_f32_e32 v119, v119, v129
	v_add_f32_e32 v91, v91, v92
	v_mul_f32_e32 v92, v108, v145
	v_add_f32_e32 v123, v119, v130
	ds_read2_b64 v[119:122], v90 offset0:79 offset1:80
	v_fma_f32 v92, v107, v157, -v92
	s_waitcnt vmcnt(23) lgkmcnt(1)
	v_mul_f32_e32 v124, v115, v161
	v_add_f32_e32 v91, v91, v92
	v_mul_f32_e32 v92, v110, v146
	s_waitcnt vmcnt(22)
	v_fmac_f32_e32 v124, v116, v162
	v_fma_f32 v92, v109, v158, -v92
	v_add_f32_e32 v123, v123, v124
	s_waitcnt vmcnt(21)
	v_mul_f32_e32 v124, v117, v163
	v_add_f32_e32 v91, v91, v92
	v_mul_f32_e32 v92, v112, v147
	s_waitcnt vmcnt(20)
	v_fmac_f32_e32 v124, v118, v164
	v_fma_f32 v92, v111, v159, -v92
	v_add_f32_e32 v123, v123, v124
	s_waitcnt vmcnt(19) lgkmcnt(0)
	v_mul_f32_e32 v124, v119, v165
	v_add_f32_e32 v91, v91, v92
	v_mul_f32_e32 v92, v114, v148
	s_waitcnt vmcnt(18)
	v_fmac_f32_e32 v124, v120, v166
	v_fma_f32 v92, v113, v160, -v92
	v_add_f32_e32 v127, v123, v124
	ds_read2_b64 v[123:126], v90 offset0:81 offset1:82
	v_add_f32_e32 v91, v91, v92
	v_mul_f32_e32 v92, v116, v161
	v_fma_f32 v92, v115, v162, -v92
	s_waitcnt vmcnt(17)
	v_mul_f32_e32 v128, v121, v167
	v_add_f32_e32 v91, v91, v92
	v_mul_f32_e32 v92, v118, v163
	s_waitcnt vmcnt(16)
	v_fmac_f32_e32 v128, v122, v168
	v_fma_f32 v92, v117, v164, -v92
	v_add_f32_e32 v131, v127, v128
	ds_read2_b64 v[127:130], v90 offset0:83 offset1:84
	v_add_f32_e32 v91, v91, v92
	v_mul_f32_e32 v92, v120, v165
	s_waitcnt vmcnt(15) lgkmcnt(1)
	v_mul_f32_e32 v132, v123, v169
	v_fma_f32 v92, v119, v166, -v92
	s_waitcnt vmcnt(14)
	v_fmac_f32_e32 v132, v124, v170
	v_add_f32_e32 v91, v91, v92
	v_mul_f32_e32 v92, v122, v167
	v_add_f32_e32 v131, v131, v132
	s_waitcnt vmcnt(13)
	v_mul_f32_e32 v132, v125, v171
	v_fma_f32 v92, v121, v168, -v92
	s_waitcnt vmcnt(12)
	v_fmac_f32_e32 v132, v126, v172
	v_add_f32_e32 v91, v91, v92
	v_mul_f32_e32 v92, v124, v169
	v_add_f32_e32 v131, v131, v132
	s_waitcnt vmcnt(11) lgkmcnt(0)
	v_mul_f32_e32 v132, v127, v173
	v_fma_f32 v92, v123, v170, -v92
	s_waitcnt vmcnt(10)
	v_fmac_f32_e32 v132, v128, v174
	v_add_f32_e32 v91, v91, v92
	v_mul_f32_e32 v92, v126, v171
	v_add_f32_e32 v135, v131, v132
	ds_read2_b64 v[131:134], v90 offset0:85 offset1:86
	v_fma_f32 v92, v125, v172, -v92
	v_add_f32_e32 v91, v91, v92
	v_mul_f32_e32 v92, v128, v173
	s_waitcnt vmcnt(9)
	v_mul_f32_e32 v136, v129, v175
	v_fma_f32 v92, v127, v174, -v92
	s_waitcnt vmcnt(8)
	v_fmac_f32_e32 v136, v130, v176
	v_add_f32_e32 v91, v91, v92
	v_mul_f32_e32 v92, v130, v175
	v_add_f32_e32 v185, v135, v136
	ds_read_b64 v[135:136], v90 offset:696
	v_fma_f32 v92, v129, v176, -v92
	v_add_f32_e32 v91, v91, v92
	s_waitcnt vmcnt(6) lgkmcnt(1)
	v_mul_f32_e32 v92, v132, v178
	v_mul_f32_e32 v186, v131, v178
	v_fma_f32 v92, v131, v177, -v92
	v_fmac_f32_e32 v186, v132, v177
	v_add_f32_e32 v91, v91, v92
	s_waitcnt vmcnt(3)
	v_mul_f32_e32 v92, v134, v181
	v_add_f32_e32 v185, v185, v186
	v_mul_f32_e32 v186, v133, v181
	s_waitcnt vmcnt(2)
	v_fma_f32 v92, v133, v182, -v92
	v_fmac_f32_e32 v186, v134, v182
	v_add_f32_e32 v91, v91, v92
	s_waitcnt vmcnt(0) lgkmcnt(0)
	v_mul_f32_e32 v92, v136, v184
	v_add_f32_e32 v185, v185, v186
	v_mul_f32_e32 v186, v135, v184
	v_fma_f32 v92, v135, v183, -v92
	v_fmac_f32_e32 v186, v136, v183
	v_add_f32_e32 v91, v91, v92
	v_add_f32_e32 v185, v185, v186
	v_sub_f32_e32 v91, v179, v91
	v_sub_f32_e32 v92, v180, v185
	buffer_store_dword v91, off, s[0:3], 0 offset:160
	buffer_store_dword v92, off, s[0:3], 0 offset:164
	s_and_saveexec_b64 s[4:5], vcc
	s_cbranch_execz .LBB43_239
; %bb.238:
	buffer_load_dword v91, off, s[0:3], 0 offset:152
	buffer_load_dword v92, off, s[0:3], 0 offset:156
	s_waitcnt vmcnt(0)
	ds_write_b64 v89, v[91:92]
	buffer_store_dword v90, off, s[0:3], 0 offset:152
	buffer_store_dword v90, off, s[0:3], 0 offset:156
.LBB43_239:
	s_or_b64 exec, exec, s[4:5]
	s_waitcnt lgkmcnt(0)
	; wave barrier
	buffer_load_dword v139, off, s[0:3], 0 offset:164
	buffer_load_dword v140, off, s[0:3], 0 offset:172
	;; [unrolled: 1-line block ×48, first 2 shown]
	ds_read_b128 v[91:94], v90 offset:512
	ds_read_b128 v[95:98], v90 offset:528
	buffer_load_dword v187, off, s[0:3], 0 offset:344
	buffer_load_dword v188, off, s[0:3], 0 offset:348
	ds_read_b128 v[99:102], v90 offset:544
	ds_read_b128 v[103:106], v90 offset:560
	;; [unrolled: 1-line block ×5, first 2 shown]
	v_cmp_lt_u32_e32 vcc, 18, v0
	s_waitcnt vmcnt(49) lgkmcnt(6)
	v_mul_f32_e32 v119, v91, v139
	s_waitcnt vmcnt(48)
	v_mul_f32_e32 v120, v93, v140
	s_waitcnt vmcnt(47) lgkmcnt(5)
	v_mul_f32_e32 v121, v95, v141
	s_waitcnt vmcnt(46)
	v_mul_f32_e32 v122, v97, v142
	;; [unrolled: 4-line block ×6, first 2 shown]
	s_waitcnt vmcnt(37)
	v_fmac_f32_e32 v119, v92, v151
	v_mul_f32_e32 v92, v92, v139
	v_fma_f32 v91, v91, v151, -v92
	v_mul_f32_e32 v92, v94, v140
	v_add_f32_e32 v91, 0, v91
	s_waitcnt vmcnt(36)
	v_fma_f32 v92, v93, v152, -v92
	v_add_f32_e32 v91, v91, v92
	v_mul_f32_e32 v92, v96, v141
	s_waitcnt vmcnt(35)
	v_fma_f32 v92, v95, v153, -v92
	v_fmac_f32_e32 v120, v94, v152
	v_add_f32_e32 v119, 0, v119
	v_add_f32_e32 v91, v91, v92
	v_mul_f32_e32 v92, v98, v142
	v_fmac_f32_e32 v121, v96, v153
	v_add_f32_e32 v119, v119, v120
	s_waitcnt vmcnt(34)
	v_fma_f32 v92, v97, v154, -v92
	v_fmac_f32_e32 v122, v98, v154
	v_add_f32_e32 v119, v119, v121
	v_add_f32_e32 v91, v91, v92
	v_mul_f32_e32 v92, v100, v143
	s_waitcnt vmcnt(33)
	v_fmac_f32_e32 v123, v100, v155
	v_add_f32_e32 v119, v119, v122
	v_fma_f32 v92, v99, v155, -v92
	s_waitcnt vmcnt(32)
	v_fmac_f32_e32 v124, v102, v156
	v_add_f32_e32 v119, v119, v123
	v_add_f32_e32 v91, v91, v92
	v_mul_f32_e32 v92, v102, v144
	s_waitcnt vmcnt(31)
	v_fmac_f32_e32 v125, v104, v157
	v_add_f32_e32 v119, v119, v124
	v_fma_f32 v92, v101, v156, -v92
	s_waitcnt vmcnt(30)
	;; [unrolled: 9-line block ×3, first 2 shown]
	v_fmac_f32_e32 v128, v110, v160
	v_add_f32_e32 v119, v119, v127
	v_add_f32_e32 v91, v91, v92
	v_mul_f32_e32 v92, v106, v146
	s_waitcnt vmcnt(27)
	v_fmac_f32_e32 v129, v112, v161
	v_add_f32_e32 v119, v119, v128
	v_fma_f32 v92, v105, v158, -v92
	v_add_f32_e32 v119, v119, v129
	s_waitcnt vmcnt(26)
	v_fmac_f32_e32 v130, v114, v162
	v_add_f32_e32 v91, v91, v92
	v_mul_f32_e32 v92, v108, v147
	v_add_f32_e32 v123, v119, v130
	ds_read_b128 v[119:122], v90 offset:624
	v_fma_f32 v92, v107, v159, -v92
	s_waitcnt vmcnt(25) lgkmcnt(1)
	v_mul_f32_e32 v124, v115, v163
	v_add_f32_e32 v91, v91, v92
	v_mul_f32_e32 v92, v110, v148
	s_waitcnt vmcnt(24)
	v_fmac_f32_e32 v124, v116, v164
	v_fma_f32 v92, v109, v160, -v92
	v_add_f32_e32 v123, v123, v124
	s_waitcnt vmcnt(23)
	v_mul_f32_e32 v124, v117, v165
	v_add_f32_e32 v91, v91, v92
	v_mul_f32_e32 v92, v112, v149
	s_waitcnt vmcnt(22)
	v_fmac_f32_e32 v124, v118, v166
	v_fma_f32 v92, v111, v161, -v92
	v_add_f32_e32 v123, v123, v124
	s_waitcnt vmcnt(21) lgkmcnt(0)
	v_mul_f32_e32 v124, v119, v167
	v_add_f32_e32 v91, v91, v92
	v_mul_f32_e32 v92, v114, v150
	s_waitcnt vmcnt(20)
	v_fmac_f32_e32 v124, v120, v168
	v_fma_f32 v92, v113, v162, -v92
	v_add_f32_e32 v127, v123, v124
	ds_read_b128 v[123:126], v90 offset:640
	v_add_f32_e32 v91, v91, v92
	v_mul_f32_e32 v92, v116, v163
	v_fma_f32 v92, v115, v164, -v92
	s_waitcnt vmcnt(19)
	v_mul_f32_e32 v128, v121, v169
	v_add_f32_e32 v91, v91, v92
	v_mul_f32_e32 v92, v118, v165
	s_waitcnt vmcnt(18)
	v_fmac_f32_e32 v128, v122, v170
	v_fma_f32 v92, v117, v166, -v92
	v_add_f32_e32 v131, v127, v128
	ds_read_b128 v[127:130], v90 offset:656
	v_add_f32_e32 v91, v91, v92
	v_mul_f32_e32 v92, v120, v167
	s_waitcnt vmcnt(17) lgkmcnt(1)
	v_mul_f32_e32 v132, v123, v171
	v_fma_f32 v92, v119, v168, -v92
	s_waitcnt vmcnt(16)
	v_fmac_f32_e32 v132, v124, v172
	v_add_f32_e32 v91, v91, v92
	v_mul_f32_e32 v92, v122, v169
	v_add_f32_e32 v131, v131, v132
	s_waitcnt vmcnt(15)
	v_mul_f32_e32 v132, v125, v173
	v_fma_f32 v92, v121, v170, -v92
	s_waitcnt vmcnt(14)
	v_fmac_f32_e32 v132, v126, v174
	v_add_f32_e32 v91, v91, v92
	v_mul_f32_e32 v92, v124, v171
	v_add_f32_e32 v131, v131, v132
	s_waitcnt vmcnt(13) lgkmcnt(0)
	v_mul_f32_e32 v132, v127, v175
	v_fma_f32 v92, v123, v172, -v92
	s_waitcnt vmcnt(12)
	v_fmac_f32_e32 v132, v128, v176
	v_add_f32_e32 v91, v91, v92
	v_mul_f32_e32 v92, v126, v173
	v_add_f32_e32 v135, v131, v132
	ds_read_b128 v[131:134], v90 offset:672
	v_fma_f32 v92, v125, v174, -v92
	v_add_f32_e32 v91, v91, v92
	v_mul_f32_e32 v92, v128, v175
	s_waitcnt vmcnt(11)
	v_mul_f32_e32 v136, v129, v177
	v_fma_f32 v92, v127, v176, -v92
	s_waitcnt vmcnt(10)
	v_fmac_f32_e32 v136, v130, v178
	v_add_f32_e32 v91, v91, v92
	v_mul_f32_e32 v92, v130, v177
	v_add_f32_e32 v189, v135, v136
	ds_read_b128 v[135:138], v90 offset:688
	v_fma_f32 v92, v129, v178, -v92
	v_add_f32_e32 v91, v91, v92
	s_waitcnt vmcnt(7) lgkmcnt(1)
	v_mul_f32_e32 v92, v132, v181
	v_mul_f32_e32 v90, v131, v181
	s_waitcnt vmcnt(6)
	v_fma_f32 v92, v131, v182, -v92
	v_fmac_f32_e32 v90, v132, v182
	v_add_f32_e32 v91, v91, v92
	s_waitcnt vmcnt(4)
	v_mul_f32_e32 v92, v134, v184
	v_add_f32_e32 v90, v189, v90
	v_mul_f32_e32 v189, v133, v184
	v_fma_f32 v92, v133, v183, -v92
	v_fmac_f32_e32 v189, v134, v183
	v_add_f32_e32 v91, v91, v92
	s_waitcnt vmcnt(2) lgkmcnt(0)
	v_mul_f32_e32 v92, v136, v186
	v_add_f32_e32 v90, v90, v189
	v_mul_f32_e32 v189, v135, v186
	v_fma_f32 v92, v135, v185, -v92
	v_fmac_f32_e32 v189, v136, v185
	v_add_f32_e32 v91, v91, v92
	s_waitcnt vmcnt(0)
	v_mul_f32_e32 v92, v138, v188
	v_add_f32_e32 v90, v90, v189
	v_mul_f32_e32 v189, v137, v188
	v_fma_f32 v92, v137, v187, -v92
	v_fmac_f32_e32 v189, v138, v187
	v_add_f32_e32 v91, v91, v92
	v_add_f32_e32 v90, v90, v189
	v_sub_f32_e32 v91, v179, v91
	v_sub_f32_e32 v90, v180, v90
	buffer_store_dword v91, off, s[0:3], 0 offset:152
	buffer_store_dword v90, off, s[0:3], 0 offset:156
	s_and_saveexec_b64 s[4:5], vcc
	s_cbranch_execz .LBB43_241
; %bb.240:
	buffer_load_dword v90, off, s[0:3], 0 offset:144
	buffer_load_dword v91, off, s[0:3], 0 offset:148
	v_mov_b32_e32 v92, 0
	buffer_store_dword v92, off, s[0:3], 0 offset:144
	buffer_store_dword v92, off, s[0:3], 0 offset:148
	s_waitcnt vmcnt(2)
	ds_write_b64 v89, v[90:91]
.LBB43_241:
	s_or_b64 exec, exec, s[4:5]
	s_waitcnt lgkmcnt(0)
	; wave barrier
	buffer_load_dword v141, off, s[0:3], 0 offset:156
	buffer_load_dword v142, off, s[0:3], 0 offset:164
	;; [unrolled: 1-line block ×52, first 2 shown]
	v_mov_b32_e32 v90, 0
	ds_read2_b64 v[91:94], v90 offset0:63 offset1:64
	ds_read2_b64 v[95:98], v90 offset0:65 offset1:66
	;; [unrolled: 1-line block ×6, first 2 shown]
	v_cmp_lt_u32_e32 vcc, 17, v0
	s_waitcnt vmcnt(51) lgkmcnt(5)
	v_mul_f32_e32 v115, v91, v141
	s_waitcnt vmcnt(50)
	v_mul_f32_e32 v116, v93, v142
	s_waitcnt vmcnt(49) lgkmcnt(4)
	v_mul_f32_e32 v117, v95, v143
	s_waitcnt vmcnt(48)
	v_mul_f32_e32 v118, v97, v144
	;; [unrolled: 4-line block ×5, first 2 shown]
	s_waitcnt vmcnt(41) lgkmcnt(0)
	v_mul_f32_e32 v125, v111, v151
	s_waitcnt vmcnt(40)
	v_fmac_f32_e32 v115, v92, v152
	v_mul_f32_e32 v92, v92, v141
	s_waitcnt vmcnt(39)
	v_fmac_f32_e32 v116, v94, v153
	v_add_f32_e32 v115, 0, v115
	v_fma_f32 v91, v91, v152, -v92
	v_mul_f32_e32 v92, v94, v142
	s_waitcnt vmcnt(38)
	v_fmac_f32_e32 v117, v96, v154
	v_add_f32_e32 v115, v115, v116
	v_add_f32_e32 v91, 0, v91
	v_fma_f32 v92, v93, v153, -v92
	s_waitcnt vmcnt(37)
	v_fmac_f32_e32 v118, v98, v155
	v_add_f32_e32 v115, v115, v117
	v_add_f32_e32 v91, v91, v92
	v_mul_f32_e32 v92, v96, v143
	s_waitcnt vmcnt(36)
	v_fmac_f32_e32 v119, v100, v156
	v_add_f32_e32 v115, v115, v118
	v_fma_f32 v92, v95, v154, -v92
	s_waitcnt vmcnt(35)
	v_fmac_f32_e32 v120, v102, v157
	v_add_f32_e32 v115, v115, v119
	v_add_f32_e32 v91, v91, v92
	v_mul_f32_e32 v92, v98, v144
	s_waitcnt vmcnt(34)
	v_fmac_f32_e32 v121, v104, v158
	;; [unrolled: 9-line block ×3, first 2 shown]
	v_add_f32_e32 v115, v115, v122
	v_fma_f32 v92, v99, v156, -v92
	s_waitcnt vmcnt(31)
	v_fmac_f32_e32 v124, v110, v161
	v_add_f32_e32 v115, v115, v123
	v_add_f32_e32 v91, v91, v92
	v_mul_f32_e32 v92, v102, v146
	v_add_f32_e32 v115, v115, v124
	s_waitcnt vmcnt(30)
	v_fmac_f32_e32 v125, v112, v162
	v_fma_f32 v92, v101, v157, -v92
	v_add_f32_e32 v119, v115, v125
	ds_read2_b64 v[115:118], v90 offset0:75 offset1:76
	v_add_f32_e32 v91, v91, v92
	v_mul_f32_e32 v92, v104, v147
	v_fma_f32 v92, v103, v158, -v92
	s_waitcnt vmcnt(29)
	v_mul_f32_e32 v120, v113, v163
	v_add_f32_e32 v91, v91, v92
	v_mul_f32_e32 v92, v106, v148
	s_waitcnt vmcnt(28)
	v_fmac_f32_e32 v120, v114, v164
	v_fma_f32 v92, v105, v159, -v92
	v_add_f32_e32 v123, v119, v120
	ds_read2_b64 v[119:122], v90 offset0:77 offset1:78
	v_add_f32_e32 v91, v91, v92
	v_mul_f32_e32 v92, v108, v149
	s_waitcnt vmcnt(27) lgkmcnt(1)
	v_mul_f32_e32 v124, v115, v165
	v_fma_f32 v92, v107, v160, -v92
	s_waitcnt vmcnt(26)
	v_fmac_f32_e32 v124, v116, v166
	v_add_f32_e32 v91, v91, v92
	v_mul_f32_e32 v92, v110, v150
	v_add_f32_e32 v123, v123, v124
	s_waitcnt vmcnt(25)
	v_mul_f32_e32 v124, v117, v167
	v_fma_f32 v92, v109, v161, -v92
	s_waitcnt vmcnt(24)
	v_fmac_f32_e32 v124, v118, v168
	v_add_f32_e32 v91, v91, v92
	v_mul_f32_e32 v92, v112, v151
	v_add_f32_e32 v123, v123, v124
	s_waitcnt vmcnt(23) lgkmcnt(0)
	v_mul_f32_e32 v124, v119, v169
	v_fma_f32 v92, v111, v162, -v92
	s_waitcnt vmcnt(22)
	v_fmac_f32_e32 v124, v120, v170
	v_add_f32_e32 v91, v91, v92
	v_mul_f32_e32 v92, v114, v163
	v_add_f32_e32 v127, v123, v124
	ds_read2_b64 v[123:126], v90 offset0:79 offset1:80
	v_fma_f32 v92, v113, v164, -v92
	v_add_f32_e32 v91, v91, v92
	v_mul_f32_e32 v92, v116, v165
	s_waitcnt vmcnt(21)
	v_mul_f32_e32 v128, v121, v171
	v_fma_f32 v92, v115, v166, -v92
	s_waitcnt vmcnt(20)
	v_fmac_f32_e32 v128, v122, v172
	v_add_f32_e32 v91, v91, v92
	v_mul_f32_e32 v92, v118, v167
	v_add_f32_e32 v131, v127, v128
	ds_read2_b64 v[127:130], v90 offset0:81 offset1:82
	v_fma_f32 v92, v117, v168, -v92
	s_waitcnt vmcnt(19) lgkmcnt(1)
	v_mul_f32_e32 v132, v123, v173
	v_add_f32_e32 v91, v91, v92
	v_mul_f32_e32 v92, v120, v169
	s_waitcnt vmcnt(18)
	v_fmac_f32_e32 v132, v124, v174
	v_fma_f32 v92, v119, v170, -v92
	v_add_f32_e32 v131, v131, v132
	s_waitcnt vmcnt(17)
	v_mul_f32_e32 v132, v125, v175
	v_add_f32_e32 v91, v91, v92
	v_mul_f32_e32 v92, v122, v171
	s_waitcnt vmcnt(16)
	v_fmac_f32_e32 v132, v126, v176
	v_fma_f32 v92, v121, v172, -v92
	v_add_f32_e32 v131, v131, v132
	s_waitcnt vmcnt(14) lgkmcnt(0)
	v_mul_f32_e32 v132, v127, v178
	v_add_f32_e32 v91, v91, v92
	v_mul_f32_e32 v92, v124, v173
	v_fmac_f32_e32 v132, v128, v177
	v_fma_f32 v92, v123, v174, -v92
	v_add_f32_e32 v135, v131, v132
	ds_read2_b64 v[131:134], v90 offset0:83 offset1:84
	v_add_f32_e32 v91, v91, v92
	v_mul_f32_e32 v92, v126, v175
	v_fma_f32 v92, v125, v176, -v92
	v_add_f32_e32 v91, v91, v92
	v_mul_f32_e32 v92, v128, v178
	s_waitcnt vmcnt(11)
	v_mul_f32_e32 v136, v129, v181
	v_fma_f32 v92, v127, v177, -v92
	s_waitcnt vmcnt(10)
	v_fmac_f32_e32 v136, v130, v182
	v_add_f32_e32 v91, v91, v92
	v_mul_f32_e32 v92, v130, v181
	v_add_f32_e32 v139, v135, v136
	ds_read2_b64 v[135:138], v90 offset0:85 offset1:86
	s_waitcnt vmcnt(8) lgkmcnt(1)
	v_mul_f32_e32 v140, v131, v184
	v_fma_f32 v92, v129, v182, -v92
	v_fmac_f32_e32 v140, v132, v183
	v_add_f32_e32 v91, v91, v92
	v_mul_f32_e32 v92, v132, v184
	v_add_f32_e32 v139, v139, v140
	s_waitcnt vmcnt(6)
	v_mul_f32_e32 v140, v133, v186
	v_fma_f32 v92, v131, v183, -v92
	v_fmac_f32_e32 v140, v134, v185
	v_add_f32_e32 v91, v91, v92
	v_mul_f32_e32 v92, v134, v186
	v_add_f32_e32 v193, v139, v140
	ds_read_b64 v[139:140], v90 offset:696
	v_fma_f32 v92, v133, v185, -v92
	v_add_f32_e32 v91, v91, v92
	s_waitcnt vmcnt(4) lgkmcnt(1)
	v_mul_f32_e32 v92, v136, v188
	v_mul_f32_e32 v194, v135, v188
	v_fma_f32 v92, v135, v187, -v92
	v_fmac_f32_e32 v194, v136, v187
	v_add_f32_e32 v91, v91, v92
	s_waitcnt vmcnt(2)
	v_mul_f32_e32 v92, v138, v190
	v_add_f32_e32 v193, v193, v194
	v_mul_f32_e32 v194, v137, v190
	v_fma_f32 v92, v137, v189, -v92
	v_fmac_f32_e32 v194, v138, v189
	v_add_f32_e32 v91, v91, v92
	s_waitcnt vmcnt(0) lgkmcnt(0)
	v_mul_f32_e32 v92, v140, v192
	v_add_f32_e32 v193, v193, v194
	v_mul_f32_e32 v194, v139, v192
	v_fma_f32 v92, v139, v191, -v92
	v_fmac_f32_e32 v194, v140, v191
	v_add_f32_e32 v91, v91, v92
	v_add_f32_e32 v193, v193, v194
	v_sub_f32_e32 v91, v179, v91
	v_sub_f32_e32 v92, v180, v193
	buffer_store_dword v91, off, s[0:3], 0 offset:144
	buffer_store_dword v92, off, s[0:3], 0 offset:148
	s_and_saveexec_b64 s[4:5], vcc
	s_cbranch_execz .LBB43_243
; %bb.242:
	buffer_load_dword v91, off, s[0:3], 0 offset:136
	buffer_load_dword v92, off, s[0:3], 0 offset:140
	s_waitcnt vmcnt(0)
	ds_write_b64 v89, v[91:92]
	buffer_store_dword v90, off, s[0:3], 0 offset:136
	buffer_store_dword v90, off, s[0:3], 0 offset:140
.LBB43_243:
	s_or_b64 exec, exec, s[4:5]
	s_waitcnt lgkmcnt(0)
	; wave barrier
	buffer_load_dword v143, off, s[0:3], 0 offset:148
	buffer_load_dword v144, off, s[0:3], 0 offset:156
	;; [unrolled: 1-line block ×42, first 2 shown]
	ds_read_b128 v[91:94], v90 offset:496
	ds_read_b128 v[95:98], v90 offset:512
	;; [unrolled: 1-line block ×4, first 2 shown]
	buffer_load_dword v185, off, s[0:3], 0 offset:308
	buffer_load_dword v186, off, s[0:3], 0 offset:304
	;; [unrolled: 1-line block ×6, first 2 shown]
	ds_read_b128 v[107:110], v90 offset:560
	ds_read_b128 v[111:114], v90 offset:576
	buffer_load_dword v191, off, s[0:3], 0 offset:328
	buffer_load_dword v192, off, s[0:3], 0 offset:332
	;; [unrolled: 1-line block ×6, first 2 shown]
	v_cmp_lt_u32_e32 vcc, 16, v0
	s_waitcnt vmcnt(53) lgkmcnt(5)
	v_mul_f32_e32 v115, v91, v143
	s_waitcnt vmcnt(52)
	v_mul_f32_e32 v116, v93, v144
	s_waitcnt vmcnt(51) lgkmcnt(4)
	v_mul_f32_e32 v117, v95, v145
	s_waitcnt vmcnt(50)
	v_mul_f32_e32 v118, v97, v146
	;; [unrolled: 4-line block ×5, first 2 shown]
	s_waitcnt vmcnt(43)
	v_fmac_f32_e32 v115, v92, v153
	v_mul_f32_e32 v92, v92, v143
	s_waitcnt vmcnt(42)
	v_fmac_f32_e32 v116, v94, v154
	v_add_f32_e32 v115, 0, v115
	v_fma_f32 v91, v91, v153, -v92
	v_mul_f32_e32 v92, v94, v144
	s_waitcnt vmcnt(41)
	v_fmac_f32_e32 v117, v96, v155
	v_add_f32_e32 v115, v115, v116
	v_add_f32_e32 v91, 0, v91
	v_fma_f32 v92, v93, v154, -v92
	s_waitcnt vmcnt(40)
	v_fmac_f32_e32 v118, v98, v156
	v_add_f32_e32 v115, v115, v117
	v_add_f32_e32 v91, v91, v92
	v_mul_f32_e32 v92, v96, v145
	s_waitcnt vmcnt(39)
	v_fmac_f32_e32 v119, v100, v157
	v_add_f32_e32 v115, v115, v118
	v_fma_f32 v92, v95, v155, -v92
	s_waitcnt vmcnt(38)
	v_fmac_f32_e32 v120, v102, v158
	v_add_f32_e32 v115, v115, v119
	v_add_f32_e32 v91, v91, v92
	v_mul_f32_e32 v92, v98, v146
	s_waitcnt vmcnt(37)
	v_fmac_f32_e32 v121, v104, v159
	;; [unrolled: 9-line block ×3, first 2 shown]
	v_add_f32_e32 v115, v115, v122
	v_fma_f32 v92, v99, v157, -v92
	s_waitcnt vmcnt(34)
	v_fmac_f32_e32 v124, v110, v162
	v_add_f32_e32 v115, v115, v123
	s_waitcnt vmcnt(33) lgkmcnt(0)
	v_mul_f32_e32 v116, v111, v163
	v_add_f32_e32 v91, v91, v92
	v_mul_f32_e32 v92, v102, v148
	v_add_f32_e32 v115, v115, v124
	s_waitcnt vmcnt(32)
	v_fmac_f32_e32 v116, v112, v164
	v_fma_f32 v92, v101, v158, -v92
	v_add_f32_e32 v119, v115, v116
	ds_read_b128 v[115:118], v90 offset:592
	v_add_f32_e32 v91, v91, v92
	v_mul_f32_e32 v92, v104, v149
	v_fma_f32 v92, v103, v159, -v92
	s_waitcnt vmcnt(31)
	v_mul_f32_e32 v120, v113, v165
	v_add_f32_e32 v91, v91, v92
	v_mul_f32_e32 v92, v106, v150
	s_waitcnt vmcnt(30)
	v_fmac_f32_e32 v120, v114, v166
	v_fma_f32 v92, v105, v160, -v92
	v_add_f32_e32 v123, v119, v120
	ds_read_b128 v[119:122], v90 offset:608
	v_add_f32_e32 v91, v91, v92
	v_mul_f32_e32 v92, v108, v151
	s_waitcnt vmcnt(29) lgkmcnt(1)
	v_mul_f32_e32 v124, v115, v167
	v_fma_f32 v92, v107, v161, -v92
	s_waitcnt vmcnt(28)
	v_fmac_f32_e32 v124, v116, v168
	v_add_f32_e32 v91, v91, v92
	v_mul_f32_e32 v92, v110, v152
	v_add_f32_e32 v123, v123, v124
	s_waitcnt vmcnt(27)
	v_mul_f32_e32 v124, v117, v169
	v_fma_f32 v92, v109, v162, -v92
	s_waitcnt vmcnt(26)
	v_fmac_f32_e32 v124, v118, v170
	v_add_f32_e32 v91, v91, v92
	v_mul_f32_e32 v92, v112, v163
	v_add_f32_e32 v123, v123, v124
	s_waitcnt vmcnt(25) lgkmcnt(0)
	v_mul_f32_e32 v124, v119, v171
	v_fma_f32 v92, v111, v164, -v92
	s_waitcnt vmcnt(24)
	v_fmac_f32_e32 v124, v120, v172
	v_add_f32_e32 v91, v91, v92
	v_mul_f32_e32 v92, v114, v165
	v_add_f32_e32 v127, v123, v124
	ds_read_b128 v[123:126], v90 offset:624
	v_fma_f32 v92, v113, v166, -v92
	v_add_f32_e32 v91, v91, v92
	v_mul_f32_e32 v92, v116, v167
	s_waitcnt vmcnt(23)
	v_mul_f32_e32 v128, v121, v173
	v_fma_f32 v92, v115, v168, -v92
	s_waitcnt vmcnt(22)
	v_fmac_f32_e32 v128, v122, v174
	v_add_f32_e32 v91, v91, v92
	v_mul_f32_e32 v92, v118, v169
	v_add_f32_e32 v131, v127, v128
	ds_read_b128 v[127:130], v90 offset:640
	v_fma_f32 v92, v117, v170, -v92
	s_waitcnt vmcnt(21) lgkmcnt(1)
	v_mul_f32_e32 v132, v123, v175
	v_add_f32_e32 v91, v91, v92
	v_mul_f32_e32 v92, v120, v171
	s_waitcnt vmcnt(20)
	v_fmac_f32_e32 v132, v124, v176
	v_fma_f32 v92, v119, v172, -v92
	v_add_f32_e32 v131, v131, v132
	s_waitcnt vmcnt(18)
	v_mul_f32_e32 v132, v125, v178
	v_add_f32_e32 v91, v91, v92
	v_mul_f32_e32 v92, v122, v173
	v_fmac_f32_e32 v132, v126, v177
	v_fma_f32 v92, v121, v174, -v92
	v_add_f32_e32 v131, v131, v132
	s_waitcnt vmcnt(15) lgkmcnt(0)
	v_mul_f32_e32 v132, v127, v181
	v_add_f32_e32 v91, v91, v92
	v_mul_f32_e32 v92, v124, v175
	s_waitcnt vmcnt(14)
	v_fmac_f32_e32 v132, v128, v182
	v_fma_f32 v92, v123, v176, -v92
	v_add_f32_e32 v135, v131, v132
	ds_read_b128 v[131:134], v90 offset:656
	v_add_f32_e32 v91, v91, v92
	v_mul_f32_e32 v92, v126, v178
	v_fma_f32 v92, v125, v177, -v92
	v_add_f32_e32 v91, v91, v92
	v_mul_f32_e32 v92, v128, v181
	s_waitcnt vmcnt(12)
	v_mul_f32_e32 v136, v129, v184
	v_fma_f32 v92, v127, v182, -v92
	v_fmac_f32_e32 v136, v130, v183
	v_add_f32_e32 v91, v91, v92
	v_mul_f32_e32 v92, v130, v184
	v_add_f32_e32 v139, v135, v136
	ds_read_b128 v[135:138], v90 offset:672
	s_waitcnt vmcnt(11) lgkmcnt(1)
	v_mul_f32_e32 v140, v131, v185
	v_fma_f32 v92, v129, v183, -v92
	s_waitcnt vmcnt(10)
	v_fmac_f32_e32 v140, v132, v186
	v_add_f32_e32 v91, v91, v92
	v_mul_f32_e32 v92, v132, v185
	v_add_f32_e32 v139, v139, v140
	s_waitcnt vmcnt(8)
	v_mul_f32_e32 v140, v133, v188
	v_fma_f32 v92, v131, v186, -v92
	v_fmac_f32_e32 v140, v134, v187
	v_add_f32_e32 v91, v91, v92
	v_mul_f32_e32 v92, v134, v188
	v_add_f32_e32 v197, v139, v140
	ds_read_b128 v[139:142], v90 offset:688
	v_fma_f32 v92, v133, v187, -v92
	v_add_f32_e32 v91, v91, v92
	s_waitcnt vmcnt(6) lgkmcnt(1)
	v_mul_f32_e32 v92, v136, v190
	v_mul_f32_e32 v198, v135, v190
	v_fma_f32 v92, v135, v189, -v92
	v_fmac_f32_e32 v198, v136, v189
	v_add_f32_e32 v91, v91, v92
	s_waitcnt vmcnt(4)
	v_mul_f32_e32 v92, v138, v192
	v_add_f32_e32 v90, v197, v198
	v_mul_f32_e32 v197, v137, v192
	v_fma_f32 v92, v137, v191, -v92
	v_fmac_f32_e32 v197, v138, v191
	v_add_f32_e32 v91, v91, v92
	s_waitcnt vmcnt(2) lgkmcnt(0)
	v_mul_f32_e32 v92, v140, v194
	v_add_f32_e32 v90, v90, v197
	v_mul_f32_e32 v197, v139, v194
	v_fma_f32 v92, v139, v193, -v92
	v_fmac_f32_e32 v197, v140, v193
	v_add_f32_e32 v91, v91, v92
	s_waitcnt vmcnt(0)
	v_mul_f32_e32 v92, v142, v196
	v_add_f32_e32 v90, v90, v197
	v_mul_f32_e32 v197, v141, v196
	v_fma_f32 v92, v141, v195, -v92
	v_fmac_f32_e32 v197, v142, v195
	v_add_f32_e32 v91, v91, v92
	v_add_f32_e32 v90, v90, v197
	v_sub_f32_e32 v91, v179, v91
	v_sub_f32_e32 v90, v180, v90
	buffer_store_dword v91, off, s[0:3], 0 offset:136
	buffer_store_dword v90, off, s[0:3], 0 offset:140
	s_and_saveexec_b64 s[4:5], vcc
	s_cbranch_execz .LBB43_245
; %bb.244:
	buffer_load_dword v90, off, s[0:3], 0 offset:128
	buffer_load_dword v91, off, s[0:3], 0 offset:132
	v_mov_b32_e32 v92, 0
	buffer_store_dword v92, off, s[0:3], 0 offset:128
	buffer_store_dword v92, off, s[0:3], 0 offset:132
	s_waitcnt vmcnt(2)
	ds_write_b64 v89, v[90:91]
.LBB43_245:
	s_or_b64 exec, exec, s[4:5]
	s_waitcnt lgkmcnt(0)
	; wave barrier
	buffer_load_dword v145, off, s[0:3], 0 offset:140
	buffer_load_dword v146, off, s[0:3], 0 offset:148
	;; [unrolled: 1-line block ×56, first 2 shown]
	v_mov_b32_e32 v90, 0
	ds_read2_b64 v[91:94], v90 offset0:61 offset1:62
	ds_read2_b64 v[95:98], v90 offset0:63 offset1:64
	;; [unrolled: 1-line block ×6, first 2 shown]
	v_cmp_lt_u32_e32 vcc, 15, v0
	s_waitcnt vmcnt(55) lgkmcnt(5)
	v_mul_f32_e32 v115, v91, v145
	s_waitcnt vmcnt(54)
	v_mul_f32_e32 v116, v93, v146
	s_waitcnt vmcnt(53) lgkmcnt(4)
	v_mul_f32_e32 v117, v95, v147
	s_waitcnt vmcnt(52)
	v_mul_f32_e32 v118, v97, v148
	;; [unrolled: 4-line block ×4, first 2 shown]
	s_waitcnt vmcnt(47) lgkmcnt(1)
	v_mul_f32_e32 v123, v107, v153
	s_waitcnt vmcnt(46)
	v_fmac_f32_e32 v115, v92, v154
	s_waitcnt vmcnt(45)
	v_fmac_f32_e32 v116, v94, v155
	v_add_f32_e32 v115, 0, v115
	s_waitcnt vmcnt(44)
	v_fmac_f32_e32 v117, v96, v156
	v_add_f32_e32 v115, v115, v116
	;; [unrolled: 3-line block ×3, first 2 shown]
	v_mul_f32_e32 v92, v92, v145
	s_waitcnt vmcnt(42)
	v_fmac_f32_e32 v119, v100, v158
	v_add_f32_e32 v115, v115, v118
	v_fma_f32 v91, v91, v154, -v92
	v_mul_f32_e32 v92, v94, v146
	s_waitcnt vmcnt(41)
	v_fmac_f32_e32 v120, v102, v159
	v_add_f32_e32 v115, v115, v119
	v_add_f32_e32 v91, 0, v91
	v_fma_f32 v92, v93, v155, -v92
	s_waitcnt vmcnt(40)
	v_fmac_f32_e32 v121, v104, v160
	v_add_f32_e32 v115, v115, v120
	v_add_f32_e32 v91, v91, v92
	v_mul_f32_e32 v92, v96, v147
	s_waitcnt vmcnt(39)
	v_fmac_f32_e32 v122, v106, v161
	v_add_f32_e32 v115, v115, v121
	v_fma_f32 v92, v95, v156, -v92
	v_add_f32_e32 v115, v115, v122
	s_waitcnt vmcnt(38)
	v_fmac_f32_e32 v123, v108, v162
	s_waitcnt vmcnt(37)
	v_mul_f32_e32 v116, v109, v163
	v_add_f32_e32 v91, v91, v92
	v_mul_f32_e32 v92, v98, v148
	v_add_f32_e32 v115, v115, v123
	s_waitcnt vmcnt(36)
	v_fmac_f32_e32 v116, v110, v164
	v_fma_f32 v92, v97, v157, -v92
	v_add_f32_e32 v115, v115, v116
	s_waitcnt vmcnt(35) lgkmcnt(0)
	v_mul_f32_e32 v116, v111, v165
	v_add_f32_e32 v91, v91, v92
	v_mul_f32_e32 v92, v100, v149
	s_waitcnt vmcnt(34)
	v_fmac_f32_e32 v116, v112, v166
	v_fma_f32 v92, v99, v158, -v92
	v_add_f32_e32 v119, v115, v116
	ds_read2_b64 v[115:118], v90 offset0:73 offset1:74
	v_add_f32_e32 v91, v91, v92
	v_mul_f32_e32 v92, v102, v150
	v_fma_f32 v92, v101, v159, -v92
	s_waitcnt vmcnt(33)
	v_mul_f32_e32 v120, v113, v167
	v_add_f32_e32 v91, v91, v92
	v_mul_f32_e32 v92, v104, v151
	s_waitcnt vmcnt(32)
	v_fmac_f32_e32 v120, v114, v168
	v_fma_f32 v92, v103, v160, -v92
	v_add_f32_e32 v123, v119, v120
	ds_read2_b64 v[119:122], v90 offset0:75 offset1:76
	v_add_f32_e32 v91, v91, v92
	v_mul_f32_e32 v92, v106, v152
	s_waitcnt vmcnt(31) lgkmcnt(1)
	v_mul_f32_e32 v124, v115, v169
	v_fma_f32 v92, v105, v161, -v92
	s_waitcnt vmcnt(30)
	v_fmac_f32_e32 v124, v116, v170
	v_add_f32_e32 v91, v91, v92
	v_mul_f32_e32 v92, v108, v153
	v_add_f32_e32 v123, v123, v124
	s_waitcnt vmcnt(29)
	v_mul_f32_e32 v124, v117, v171
	v_fma_f32 v92, v107, v162, -v92
	s_waitcnt vmcnt(28)
	v_fmac_f32_e32 v124, v118, v172
	v_add_f32_e32 v91, v91, v92
	v_mul_f32_e32 v92, v110, v163
	v_add_f32_e32 v123, v123, v124
	s_waitcnt vmcnt(27) lgkmcnt(0)
	v_mul_f32_e32 v124, v119, v173
	v_fma_f32 v92, v109, v164, -v92
	s_waitcnt vmcnt(26)
	v_fmac_f32_e32 v124, v120, v174
	v_add_f32_e32 v91, v91, v92
	v_mul_f32_e32 v92, v112, v165
	v_add_f32_e32 v127, v123, v124
	ds_read2_b64 v[123:126], v90 offset0:77 offset1:78
	v_fma_f32 v92, v111, v166, -v92
	v_add_f32_e32 v91, v91, v92
	v_mul_f32_e32 v92, v114, v167
	s_waitcnt vmcnt(24)
	v_mul_f32_e32 v128, v121, v176
	v_fma_f32 v92, v113, v168, -v92
	v_fmac_f32_e32 v128, v122, v175
	v_add_f32_e32 v91, v91, v92
	v_mul_f32_e32 v92, v116, v169
	v_add_f32_e32 v131, v127, v128
	ds_read2_b64 v[127:130], v90 offset0:79 offset1:80
	v_fma_f32 v92, v115, v170, -v92
	s_waitcnt vmcnt(21) lgkmcnt(1)
	v_mul_f32_e32 v132, v123, v179
	v_add_f32_e32 v91, v91, v92
	v_mul_f32_e32 v92, v118, v171
	s_waitcnt vmcnt(20)
	v_fmac_f32_e32 v132, v124, v180
	v_fma_f32 v92, v117, v172, -v92
	v_add_f32_e32 v131, v131, v132
	s_waitcnt vmcnt(18)
	v_mul_f32_e32 v132, v125, v182
	v_add_f32_e32 v91, v91, v92
	v_mul_f32_e32 v92, v120, v173
	v_fmac_f32_e32 v132, v126, v181
	v_fma_f32 v92, v119, v174, -v92
	v_add_f32_e32 v131, v131, v132
	s_waitcnt vmcnt(16) lgkmcnt(0)
	v_mul_f32_e32 v132, v127, v184
	v_add_f32_e32 v91, v91, v92
	v_mul_f32_e32 v92, v122, v176
	v_fmac_f32_e32 v132, v128, v183
	v_fma_f32 v92, v121, v175, -v92
	v_add_f32_e32 v135, v131, v132
	ds_read2_b64 v[131:134], v90 offset0:81 offset1:82
	v_add_f32_e32 v91, v91, v92
	v_mul_f32_e32 v92, v124, v179
	v_fma_f32 v92, v123, v180, -v92
	s_waitcnt vmcnt(14)
	v_mul_f32_e32 v136, v129, v186
	v_add_f32_e32 v91, v91, v92
	v_mul_f32_e32 v92, v126, v182
	v_fmac_f32_e32 v136, v130, v185
	v_fma_f32 v92, v125, v181, -v92
	v_add_f32_e32 v139, v135, v136
	ds_read2_b64 v[135:138], v90 offset0:83 offset1:84
	v_add_f32_e32 v91, v91, v92
	v_mul_f32_e32 v92, v128, v184
	s_waitcnt vmcnt(12) lgkmcnt(1)
	v_mul_f32_e32 v140, v131, v188
	v_fma_f32 v92, v127, v183, -v92
	v_fmac_f32_e32 v140, v132, v187
	v_add_f32_e32 v91, v91, v92
	v_mul_f32_e32 v92, v130, v186
	v_add_f32_e32 v139, v139, v140
	s_waitcnt vmcnt(10)
	v_mul_f32_e32 v140, v133, v190
	v_fma_f32 v92, v129, v185, -v92
	v_fmac_f32_e32 v140, v134, v189
	v_add_f32_e32 v91, v91, v92
	v_mul_f32_e32 v92, v132, v188
	v_add_f32_e32 v139, v139, v140
	s_waitcnt vmcnt(8) lgkmcnt(0)
	v_mul_f32_e32 v140, v135, v192
	v_fma_f32 v92, v131, v187, -v92
	v_fmac_f32_e32 v140, v136, v191
	v_add_f32_e32 v91, v91, v92
	v_mul_f32_e32 v92, v134, v190
	v_add_f32_e32 v143, v139, v140
	ds_read2_b64 v[139:142], v90 offset0:85 offset1:86
	v_fma_f32 v92, v133, v189, -v92
	v_add_f32_e32 v91, v91, v92
	v_mul_f32_e32 v92, v136, v192
	s_waitcnt vmcnt(6)
	v_mul_f32_e32 v144, v137, v194
	v_fma_f32 v92, v135, v191, -v92
	v_fmac_f32_e32 v144, v138, v193
	v_add_f32_e32 v91, v91, v92
	v_mul_f32_e32 v92, v138, v194
	v_add_f32_e32 v201, v143, v144
	ds_read_b64 v[143:144], v90 offset:696
	v_fma_f32 v92, v137, v193, -v92
	v_add_f32_e32 v91, v91, v92
	s_waitcnt vmcnt(4) lgkmcnt(1)
	v_mul_f32_e32 v92, v140, v196
	v_mul_f32_e32 v202, v139, v196
	v_fma_f32 v92, v139, v195, -v92
	v_fmac_f32_e32 v202, v140, v195
	v_add_f32_e32 v91, v91, v92
	s_waitcnt vmcnt(2)
	v_mul_f32_e32 v92, v142, v198
	v_add_f32_e32 v201, v201, v202
	v_mul_f32_e32 v202, v141, v198
	v_fma_f32 v92, v141, v197, -v92
	v_fmac_f32_e32 v202, v142, v197
	v_add_f32_e32 v91, v91, v92
	s_waitcnt vmcnt(0) lgkmcnt(0)
	v_mul_f32_e32 v92, v144, v200
	v_add_f32_e32 v201, v201, v202
	v_mul_f32_e32 v202, v143, v200
	v_fma_f32 v92, v143, v199, -v92
	v_fmac_f32_e32 v202, v144, v199
	v_add_f32_e32 v91, v91, v92
	v_add_f32_e32 v201, v201, v202
	v_sub_f32_e32 v91, v177, v91
	v_sub_f32_e32 v92, v178, v201
	buffer_store_dword v91, off, s[0:3], 0 offset:128
	buffer_store_dword v92, off, s[0:3], 0 offset:132
	s_and_saveexec_b64 s[4:5], vcc
	s_cbranch_execz .LBB43_247
; %bb.246:
	buffer_load_dword v91, off, s[0:3], 0 offset:120
	buffer_load_dword v92, off, s[0:3], 0 offset:124
	s_waitcnt vmcnt(0)
	ds_write_b64 v89, v[91:92]
	buffer_store_dword v90, off, s[0:3], 0 offset:120
	buffer_store_dword v90, off, s[0:3], 0 offset:124
.LBB43_247:
	s_or_b64 exec, exec, s[4:5]
	s_waitcnt lgkmcnt(0)
	; wave barrier
	buffer_load_dword v147, off, s[0:3], 0 offset:132
	buffer_load_dword v148, off, s[0:3], 0 offset:140
	;; [unrolled: 1-line block ×34, first 2 shown]
	ds_read_b128 v[91:94], v90 offset:480
	ds_read_b128 v[95:98], v90 offset:496
	buffer_load_dword v181, off, s[0:3], 0 offset:260
	buffer_load_dword v182, off, s[0:3], 0 offset:256
	;; [unrolled: 1-line block ×6, first 2 shown]
	ds_read_b128 v[99:102], v90 offset:512
	ds_read_b128 v[103:106], v90 offset:528
	;; [unrolled: 1-line block ×4, first 2 shown]
	buffer_load_dword v187, off, s[0:3], 0 offset:284
	buffer_load_dword v188, off, s[0:3], 0 offset:280
	;; [unrolled: 1-line block ×18, first 2 shown]
	v_cmp_lt_u32_e32 vcc, 14, v0
	s_waitcnt vmcnt(57) lgkmcnt(5)
	v_mul_f32_e32 v115, v91, v147
	s_waitcnt vmcnt(56)
	v_mul_f32_e32 v116, v93, v148
	s_waitcnt vmcnt(55) lgkmcnt(4)
	v_mul_f32_e32 v117, v95, v149
	s_waitcnt vmcnt(54)
	v_mul_f32_e32 v118, v97, v150
	;; [unrolled: 4-line block ×4, first 2 shown]
	s_waitcnt vmcnt(49)
	v_fmac_f32_e32 v115, v92, v155
	s_waitcnt vmcnt(48)
	v_fmac_f32_e32 v116, v94, v156
	v_add_f32_e32 v115, 0, v115
	s_waitcnt vmcnt(47)
	v_fmac_f32_e32 v117, v96, v157
	v_add_f32_e32 v115, v115, v116
	;; [unrolled: 3-line block ×4, first 2 shown]
	v_mul_f32_e32 v92, v92, v147
	s_waitcnt vmcnt(44)
	v_fmac_f32_e32 v120, v102, v160
	v_add_f32_e32 v115, v115, v119
	v_fma_f32 v91, v91, v155, -v92
	v_mul_f32_e32 v92, v94, v148
	s_waitcnt vmcnt(43)
	v_fmac_f32_e32 v121, v104, v161
	v_add_f32_e32 v115, v115, v120
	v_add_f32_e32 v91, 0, v91
	v_fma_f32 v92, v93, v156, -v92
	s_waitcnt vmcnt(42)
	v_fmac_f32_e32 v122, v106, v162
	v_add_f32_e32 v115, v115, v121
	s_waitcnt vmcnt(41) lgkmcnt(1)
	v_mul_f32_e32 v116, v107, v163
	v_add_f32_e32 v91, v91, v92
	v_mul_f32_e32 v92, v96, v149
	v_add_f32_e32 v115, v115, v122
	s_waitcnt vmcnt(40)
	v_fmac_f32_e32 v116, v108, v164
	v_fma_f32 v92, v95, v157, -v92
	v_add_f32_e32 v115, v115, v116
	s_waitcnt vmcnt(39)
	v_mul_f32_e32 v116, v109, v165
	v_add_f32_e32 v91, v91, v92
	v_mul_f32_e32 v92, v98, v150
	s_waitcnt vmcnt(38)
	v_fmac_f32_e32 v116, v110, v166
	v_fma_f32 v92, v97, v158, -v92
	v_add_f32_e32 v115, v115, v116
	s_waitcnt vmcnt(37) lgkmcnt(0)
	v_mul_f32_e32 v116, v111, v167
	v_add_f32_e32 v91, v91, v92
	v_mul_f32_e32 v92, v100, v151
	s_waitcnt vmcnt(36)
	v_fmac_f32_e32 v116, v112, v168
	v_fma_f32 v92, v99, v159, -v92
	v_add_f32_e32 v119, v115, v116
	ds_read_b128 v[115:118], v90 offset:576
	v_add_f32_e32 v91, v91, v92
	v_mul_f32_e32 v92, v102, v152
	v_fma_f32 v92, v101, v160, -v92
	s_waitcnt vmcnt(35)
	v_mul_f32_e32 v120, v113, v169
	v_add_f32_e32 v91, v91, v92
	v_mul_f32_e32 v92, v104, v153
	s_waitcnt vmcnt(34)
	v_fmac_f32_e32 v120, v114, v170
	v_fma_f32 v92, v103, v161, -v92
	v_add_f32_e32 v123, v119, v120
	ds_read_b128 v[119:122], v90 offset:592
	v_add_f32_e32 v91, v91, v92
	v_mul_f32_e32 v92, v106, v154
	s_waitcnt vmcnt(33) lgkmcnt(1)
	v_mul_f32_e32 v124, v115, v171
	v_fma_f32 v92, v105, v162, -v92
	s_waitcnt vmcnt(32)
	v_fmac_f32_e32 v124, v116, v172
	v_add_f32_e32 v91, v91, v92
	v_mul_f32_e32 v92, v108, v163
	v_add_f32_e32 v123, v123, v124
	s_waitcnt vmcnt(31)
	v_mul_f32_e32 v124, v117, v173
	v_fma_f32 v92, v107, v164, -v92
	s_waitcnt vmcnt(30)
	v_fmac_f32_e32 v124, v118, v174
	v_add_f32_e32 v91, v91, v92
	v_mul_f32_e32 v92, v110, v165
	v_add_f32_e32 v123, v123, v124
	s_waitcnt vmcnt(29) lgkmcnt(0)
	v_mul_f32_e32 v124, v119, v175
	v_fma_f32 v92, v109, v166, -v92
	s_waitcnt vmcnt(28)
	v_fmac_f32_e32 v124, v120, v176
	v_add_f32_e32 v91, v91, v92
	v_mul_f32_e32 v92, v112, v167
	v_add_f32_e32 v127, v123, v124
	ds_read_b128 v[123:126], v90 offset:608
	v_fma_f32 v92, v111, v168, -v92
	v_add_f32_e32 v91, v91, v92
	v_mul_f32_e32 v92, v114, v169
	s_waitcnt vmcnt(25)
	v_mul_f32_e32 v128, v121, v179
	v_fma_f32 v92, v113, v170, -v92
	s_waitcnt vmcnt(24)
	v_fmac_f32_e32 v128, v122, v180
	v_add_f32_e32 v91, v91, v92
	v_mul_f32_e32 v92, v116, v171
	v_add_f32_e32 v131, v127, v128
	ds_read_b128 v[127:130], v90 offset:624
	v_fma_f32 v92, v115, v172, -v92
	s_waitcnt vmcnt(23) lgkmcnt(1)
	v_mul_f32_e32 v132, v123, v181
	v_add_f32_e32 v91, v91, v92
	v_mul_f32_e32 v92, v118, v173
	s_waitcnt vmcnt(22)
	v_fmac_f32_e32 v132, v124, v182
	v_fma_f32 v92, v117, v174, -v92
	v_add_f32_e32 v131, v131, v132
	s_waitcnt vmcnt(20)
	v_mul_f32_e32 v132, v125, v184
	v_add_f32_e32 v91, v91, v92
	v_mul_f32_e32 v92, v120, v175
	v_fmac_f32_e32 v132, v126, v183
	v_fma_f32 v92, v119, v176, -v92
	v_add_f32_e32 v131, v131, v132
	s_waitcnt vmcnt(18) lgkmcnt(0)
	v_mul_f32_e32 v132, v127, v186
	v_add_f32_e32 v91, v91, v92
	v_mul_f32_e32 v92, v122, v179
	v_fmac_f32_e32 v132, v128, v185
	v_fma_f32 v92, v121, v180, -v92
	v_add_f32_e32 v135, v131, v132
	ds_read_b128 v[131:134], v90 offset:640
	v_add_f32_e32 v91, v91, v92
	v_mul_f32_e32 v92, v124, v181
	v_fma_f32 v92, v123, v182, -v92
	s_waitcnt vmcnt(17)
	v_mul_f32_e32 v136, v129, v187
	v_add_f32_e32 v91, v91, v92
	v_mul_f32_e32 v92, v126, v184
	s_waitcnt vmcnt(16)
	v_fmac_f32_e32 v136, v130, v188
	v_fma_f32 v92, v125, v183, -v92
	v_add_f32_e32 v139, v135, v136
	ds_read_b128 v[135:138], v90 offset:656
	v_add_f32_e32 v91, v91, v92
	v_mul_f32_e32 v92, v128, v186
	s_waitcnt vmcnt(14) lgkmcnt(1)
	v_mul_f32_e32 v140, v131, v190
	v_fma_f32 v92, v127, v185, -v92
	v_fmac_f32_e32 v140, v132, v189
	v_add_f32_e32 v91, v91, v92
	v_mul_f32_e32 v92, v130, v187
	v_add_f32_e32 v139, v139, v140
	s_waitcnt vmcnt(12)
	v_mul_f32_e32 v140, v133, v192
	v_fma_f32 v92, v129, v188, -v92
	v_fmac_f32_e32 v140, v134, v191
	v_add_f32_e32 v91, v91, v92
	v_mul_f32_e32 v92, v132, v190
	v_add_f32_e32 v139, v139, v140
	s_waitcnt vmcnt(10) lgkmcnt(0)
	v_mul_f32_e32 v140, v135, v194
	v_fma_f32 v92, v131, v189, -v92
	v_fmac_f32_e32 v140, v136, v193
	v_add_f32_e32 v91, v91, v92
	v_mul_f32_e32 v92, v134, v192
	v_add_f32_e32 v143, v139, v140
	ds_read_b128 v[139:142], v90 offset:672
	v_fma_f32 v92, v133, v191, -v92
	v_add_f32_e32 v91, v91, v92
	v_mul_f32_e32 v92, v136, v194
	s_waitcnt vmcnt(8)
	v_mul_f32_e32 v144, v137, v196
	v_fma_f32 v92, v135, v193, -v92
	v_fmac_f32_e32 v144, v138, v195
	v_add_f32_e32 v91, v91, v92
	v_mul_f32_e32 v92, v138, v196
	v_add_f32_e32 v205, v143, v144
	ds_read_b128 v[143:146], v90 offset:688
	v_fma_f32 v92, v137, v195, -v92
	v_add_f32_e32 v91, v91, v92
	s_waitcnt vmcnt(6) lgkmcnt(1)
	v_mul_f32_e32 v92, v140, v198
	v_mul_f32_e32 v90, v139, v198
	v_fma_f32 v92, v139, v197, -v92
	v_fmac_f32_e32 v90, v140, v197
	v_add_f32_e32 v91, v91, v92
	s_waitcnt vmcnt(4)
	v_mul_f32_e32 v92, v142, v200
	v_add_f32_e32 v90, v205, v90
	v_mul_f32_e32 v205, v141, v200
	v_fma_f32 v92, v141, v199, -v92
	v_fmac_f32_e32 v205, v142, v199
	v_add_f32_e32 v91, v91, v92
	s_waitcnt vmcnt(2) lgkmcnt(0)
	v_mul_f32_e32 v92, v144, v202
	v_add_f32_e32 v90, v90, v205
	v_mul_f32_e32 v205, v143, v202
	v_fma_f32 v92, v143, v201, -v92
	v_fmac_f32_e32 v205, v144, v201
	v_add_f32_e32 v91, v91, v92
	s_waitcnt vmcnt(0)
	v_mul_f32_e32 v92, v146, v204
	v_add_f32_e32 v90, v90, v205
	v_mul_f32_e32 v205, v145, v204
	v_fma_f32 v92, v145, v203, -v92
	v_fmac_f32_e32 v205, v146, v203
	v_add_f32_e32 v91, v91, v92
	v_add_f32_e32 v90, v90, v205
	v_sub_f32_e32 v91, v177, v91
	v_sub_f32_e32 v90, v178, v90
	buffer_store_dword v91, off, s[0:3], 0 offset:120
	buffer_store_dword v90, off, s[0:3], 0 offset:124
	s_and_saveexec_b64 s[4:5], vcc
	s_cbranch_execz .LBB43_249
; %bb.248:
	buffer_load_dword v90, off, s[0:3], 0 offset:112
	buffer_load_dword v91, off, s[0:3], 0 offset:116
	v_mov_b32_e32 v92, 0
	buffer_store_dword v92, off, s[0:3], 0 offset:112
	buffer_store_dword v92, off, s[0:3], 0 offset:116
	s_waitcnt vmcnt(2)
	ds_write_b64 v89, v[90:91]
.LBB43_249:
	s_or_b64 exec, exec, s[4:5]
	s_waitcnt lgkmcnt(0)
	; wave barrier
	buffer_load_dword v149, off, s[0:3], 0 offset:124
	buffer_load_dword v150, off, s[0:3], 0 offset:132
	;; [unrolled: 1-line block ×60, first 2 shown]
	v_mov_b32_e32 v90, 0
	ds_read2_b64 v[91:94], v90 offset0:59 offset1:60
	ds_read2_b64 v[95:98], v90 offset0:61 offset1:62
	;; [unrolled: 1-line block ×5, first 2 shown]
	v_cmp_lt_u32_e32 vcc, 13, v0
	s_waitcnt vmcnt(59) lgkmcnt(4)
	v_mul_f32_e32 v111, v91, v149
	s_waitcnt vmcnt(58)
	v_mul_f32_e32 v112, v93, v150
	s_waitcnt vmcnt(57) lgkmcnt(3)
	v_mul_f32_e32 v113, v95, v151
	s_waitcnt vmcnt(56)
	v_mul_f32_e32 v114, v97, v152
	;; [unrolled: 4-line block ×3, first 2 shown]
	s_waitcnt vmcnt(53) lgkmcnt(1)
	v_mul_f32_e32 v117, v103, v155
	s_waitcnt vmcnt(52)
	v_fmac_f32_e32 v111, v92, v156
	s_waitcnt vmcnt(51)
	v_fmac_f32_e32 v112, v94, v157
	v_add_f32_e32 v111, 0, v111
	s_waitcnt vmcnt(50)
	v_fmac_f32_e32 v113, v96, v158
	v_add_f32_e32 v111, v111, v112
	;; [unrolled: 3-line block ×6, first 2 shown]
	s_waitcnt vmcnt(45)
	v_mul_f32_e32 v112, v105, v163
	v_add_f32_e32 v111, v111, v117
	s_waitcnt vmcnt(44)
	v_fmac_f32_e32 v112, v106, v164
	v_mul_f32_e32 v92, v92, v149
	v_add_f32_e32 v115, v111, v112
	ds_read2_b64 v[111:114], v90 offset0:69 offset1:70
	v_fma_f32 v91, v91, v156, -v92
	v_mul_f32_e32 v92, v94, v150
	s_waitcnt vmcnt(43) lgkmcnt(1)
	v_mul_f32_e32 v116, v107, v165
	v_add_f32_e32 v91, 0, v91
	v_fma_f32 v92, v93, v157, -v92
	s_waitcnt vmcnt(42)
	v_fmac_f32_e32 v116, v108, v166
	v_add_f32_e32 v91, v91, v92
	v_mul_f32_e32 v92, v96, v151
	v_add_f32_e32 v115, v115, v116
	s_waitcnt vmcnt(41)
	v_mul_f32_e32 v116, v109, v167
	v_fma_f32 v92, v95, v158, -v92
	s_waitcnt vmcnt(40)
	v_fmac_f32_e32 v116, v110, v168
	v_add_f32_e32 v91, v91, v92
	v_mul_f32_e32 v92, v98, v152
	v_add_f32_e32 v115, v115, v116
	s_waitcnt vmcnt(39) lgkmcnt(0)
	v_mul_f32_e32 v116, v111, v169
	v_fma_f32 v92, v97, v159, -v92
	s_waitcnt vmcnt(38)
	v_fmac_f32_e32 v116, v112, v170
	v_add_f32_e32 v91, v91, v92
	v_mul_f32_e32 v92, v100, v153
	v_add_f32_e32 v119, v115, v116
	ds_read2_b64 v[115:118], v90 offset0:71 offset1:72
	v_fma_f32 v92, v99, v160, -v92
	v_add_f32_e32 v91, v91, v92
	v_mul_f32_e32 v92, v102, v154
	s_waitcnt vmcnt(37)
	v_mul_f32_e32 v120, v113, v171
	v_fma_f32 v92, v101, v161, -v92
	s_waitcnt vmcnt(36)
	v_fmac_f32_e32 v120, v114, v172
	v_add_f32_e32 v91, v91, v92
	v_mul_f32_e32 v92, v104, v155
	v_add_f32_e32 v123, v119, v120
	ds_read2_b64 v[119:122], v90 offset0:73 offset1:74
	v_fma_f32 v92, v103, v162, -v92
	s_waitcnt vmcnt(34) lgkmcnt(1)
	v_mul_f32_e32 v124, v115, v174
	v_add_f32_e32 v91, v91, v92
	v_mul_f32_e32 v92, v106, v163
	v_fmac_f32_e32 v124, v116, v173
	v_fma_f32 v92, v105, v164, -v92
	v_add_f32_e32 v123, v123, v124
	s_waitcnt vmcnt(31)
	v_mul_f32_e32 v124, v117, v177
	v_add_f32_e32 v91, v91, v92
	v_mul_f32_e32 v92, v108, v165
	s_waitcnt vmcnt(30)
	v_fmac_f32_e32 v124, v118, v178
	v_fma_f32 v92, v107, v166, -v92
	v_add_f32_e32 v123, v123, v124
	s_waitcnt vmcnt(28) lgkmcnt(0)
	v_mul_f32_e32 v124, v119, v180
	v_add_f32_e32 v91, v91, v92
	v_mul_f32_e32 v92, v110, v167
	v_fmac_f32_e32 v124, v120, v179
	v_fma_f32 v92, v109, v168, -v92
	v_add_f32_e32 v127, v123, v124
	ds_read2_b64 v[123:126], v90 offset0:75 offset1:76
	v_add_f32_e32 v91, v91, v92
	v_mul_f32_e32 v92, v112, v169
	v_fma_f32 v92, v111, v170, -v92
	s_waitcnt vmcnt(26)
	v_mul_f32_e32 v128, v121, v182
	v_add_f32_e32 v91, v91, v92
	v_mul_f32_e32 v92, v114, v171
	v_fmac_f32_e32 v128, v122, v181
	v_fma_f32 v92, v113, v172, -v92
	v_add_f32_e32 v131, v127, v128
	ds_read2_b64 v[127:130], v90 offset0:77 offset1:78
	v_add_f32_e32 v91, v91, v92
	v_mul_f32_e32 v92, v116, v174
	s_waitcnt vmcnt(24) lgkmcnt(1)
	v_mul_f32_e32 v132, v123, v184
	v_fma_f32 v92, v115, v173, -v92
	v_fmac_f32_e32 v132, v124, v183
	v_add_f32_e32 v91, v91, v92
	v_mul_f32_e32 v92, v118, v177
	v_add_f32_e32 v131, v131, v132
	s_waitcnt vmcnt(22)
	v_mul_f32_e32 v132, v125, v186
	v_fma_f32 v92, v117, v178, -v92
	v_fmac_f32_e32 v132, v126, v185
	v_add_f32_e32 v91, v91, v92
	v_mul_f32_e32 v92, v120, v180
	v_add_f32_e32 v131, v131, v132
	s_waitcnt vmcnt(20) lgkmcnt(0)
	v_mul_f32_e32 v132, v127, v188
	v_fma_f32 v92, v119, v179, -v92
	v_fmac_f32_e32 v132, v128, v187
	v_add_f32_e32 v91, v91, v92
	v_mul_f32_e32 v92, v122, v182
	v_add_f32_e32 v135, v131, v132
	ds_read2_b64 v[131:134], v90 offset0:79 offset1:80
	v_fma_f32 v92, v121, v181, -v92
	v_add_f32_e32 v91, v91, v92
	v_mul_f32_e32 v92, v124, v184
	s_waitcnt vmcnt(18)
	v_mul_f32_e32 v136, v129, v190
	v_fma_f32 v92, v123, v183, -v92
	v_fmac_f32_e32 v136, v130, v189
	v_add_f32_e32 v91, v91, v92
	v_mul_f32_e32 v92, v126, v186
	v_add_f32_e32 v139, v135, v136
	ds_read2_b64 v[135:138], v90 offset0:81 offset1:82
	v_fma_f32 v92, v125, v185, -v92
	s_waitcnt vmcnt(16) lgkmcnt(1)
	v_mul_f32_e32 v140, v131, v192
	v_add_f32_e32 v91, v91, v92
	v_mul_f32_e32 v92, v128, v188
	v_fmac_f32_e32 v140, v132, v191
	v_fma_f32 v92, v127, v187, -v92
	v_add_f32_e32 v139, v139, v140
	s_waitcnt vmcnt(14)
	v_mul_f32_e32 v140, v133, v194
	v_add_f32_e32 v91, v91, v92
	v_mul_f32_e32 v92, v130, v190
	v_fmac_f32_e32 v140, v134, v193
	v_fma_f32 v92, v129, v189, -v92
	v_add_f32_e32 v139, v139, v140
	s_waitcnt vmcnt(12) lgkmcnt(0)
	v_mul_f32_e32 v140, v135, v196
	v_add_f32_e32 v91, v91, v92
	v_mul_f32_e32 v92, v132, v192
	v_fmac_f32_e32 v140, v136, v195
	v_fma_f32 v92, v131, v191, -v92
	v_add_f32_e32 v143, v139, v140
	ds_read2_b64 v[139:142], v90 offset0:83 offset1:84
	v_add_f32_e32 v91, v91, v92
	v_mul_f32_e32 v92, v134, v194
	v_fma_f32 v92, v133, v193, -v92
	v_add_f32_e32 v91, v91, v92
	v_mul_f32_e32 v92, v136, v196
	s_waitcnt vmcnt(10)
	v_mul_f32_e32 v144, v137, v198
	v_fma_f32 v92, v135, v195, -v92
	v_fmac_f32_e32 v144, v138, v197
	v_add_f32_e32 v91, v91, v92
	v_mul_f32_e32 v92, v138, v198
	v_add_f32_e32 v147, v143, v144
	ds_read2_b64 v[143:146], v90 offset0:85 offset1:86
	s_waitcnt vmcnt(8) lgkmcnt(1)
	v_mul_f32_e32 v148, v139, v200
	v_fma_f32 v92, v137, v197, -v92
	v_fmac_f32_e32 v148, v140, v199
	v_add_f32_e32 v91, v91, v92
	v_mul_f32_e32 v92, v140, v200
	v_add_f32_e32 v147, v147, v148
	s_waitcnt vmcnt(6)
	v_mul_f32_e32 v148, v141, v202
	v_fma_f32 v92, v139, v199, -v92
	v_fmac_f32_e32 v148, v142, v201
	v_add_f32_e32 v91, v91, v92
	v_mul_f32_e32 v92, v142, v202
	v_add_f32_e32 v209, v147, v148
	ds_read_b64 v[147:148], v90 offset:696
	v_fma_f32 v92, v141, v201, -v92
	v_add_f32_e32 v91, v91, v92
	s_waitcnt vmcnt(4) lgkmcnt(1)
	v_mul_f32_e32 v92, v144, v204
	v_mul_f32_e32 v210, v143, v204
	v_fma_f32 v92, v143, v203, -v92
	v_fmac_f32_e32 v210, v144, v203
	v_add_f32_e32 v91, v91, v92
	s_waitcnt vmcnt(2)
	v_mul_f32_e32 v92, v146, v206
	v_add_f32_e32 v209, v209, v210
	v_mul_f32_e32 v210, v145, v206
	v_fma_f32 v92, v145, v205, -v92
	v_fmac_f32_e32 v210, v146, v205
	v_add_f32_e32 v91, v91, v92
	s_waitcnt vmcnt(0) lgkmcnt(0)
	v_mul_f32_e32 v92, v148, v208
	v_add_f32_e32 v209, v209, v210
	v_mul_f32_e32 v210, v147, v208
	v_fma_f32 v92, v147, v207, -v92
	v_fmac_f32_e32 v210, v148, v207
	v_add_f32_e32 v91, v91, v92
	v_add_f32_e32 v209, v209, v210
	v_sub_f32_e32 v91, v175, v91
	v_sub_f32_e32 v92, v176, v209
	buffer_store_dword v91, off, s[0:3], 0 offset:112
	buffer_store_dword v92, off, s[0:3], 0 offset:116
	s_and_saveexec_b64 s[4:5], vcc
	s_cbranch_execz .LBB43_251
; %bb.250:
	buffer_load_dword v91, off, s[0:3], 0 offset:104
	buffer_load_dword v92, off, s[0:3], 0 offset:108
	s_waitcnt vmcnt(0)
	ds_write_b64 v89, v[91:92]
	buffer_store_dword v90, off, s[0:3], 0 offset:104
	buffer_store_dword v90, off, s[0:3], 0 offset:108
.LBB43_251:
	s_or_b64 exec, exec, s[4:5]
	s_waitcnt lgkmcnt(0)
	; wave barrier
	buffer_load_dword v151, off, s[0:3], 0 offset:116
	buffer_load_dword v152, off, s[0:3], 0 offset:124
	;; [unrolled: 1-line block ×32, first 2 shown]
	ds_read_b128 v[91:94], v90 offset:464
	ds_read_b128 v[95:98], v90 offset:480
	;; [unrolled: 1-line block ×4, first 2 shown]
	buffer_load_dword v183, off, s[0:3], 0 offset:236
	buffer_load_dword v184, off, s[0:3], 0 offset:232
	;; [unrolled: 1-line block ×30, first 2 shown]
	v_cmp_lt_u32_e32 vcc, 12, v0
	s_waitcnt vmcnt(61) lgkmcnt(3)
	v_mul_f32_e32 v107, v91, v151
	s_waitcnt vmcnt(60)
	v_mul_f32_e32 v108, v93, v152
	s_waitcnt vmcnt(59) lgkmcnt(2)
	v_mul_f32_e32 v109, v95, v153
	s_waitcnt vmcnt(58)
	v_mul_f32_e32 v110, v97, v154
	;; [unrolled: 4-line block ×3, first 2 shown]
	s_waitcnt vmcnt(55) lgkmcnt(0)
	v_mul_f32_e32 v113, v103, v157
	s_waitcnt vmcnt(54)
	v_fmac_f32_e32 v107, v92, v158
	s_waitcnt vmcnt(53)
	v_fmac_f32_e32 v108, v94, v159
	v_add_f32_e32 v107, 0, v107
	s_waitcnt vmcnt(52)
	v_fmac_f32_e32 v109, v96, v160
	v_add_f32_e32 v107, v107, v108
	;; [unrolled: 3-line block ×6, first 2 shown]
	v_add_f32_e32 v111, v107, v113
	ds_read_b128 v[107:110], v90 offset:528
	s_waitcnt vmcnt(47)
	v_mul_f32_e32 v112, v105, v165
	s_waitcnt vmcnt(46)
	v_fmac_f32_e32 v112, v106, v166
	v_mul_f32_e32 v92, v92, v151
	v_add_f32_e32 v115, v111, v112
	ds_read_b128 v[111:114], v90 offset:544
	v_fma_f32 v91, v91, v158, -v92
	v_mul_f32_e32 v92, v94, v152
	s_waitcnt vmcnt(45) lgkmcnt(1)
	v_mul_f32_e32 v116, v107, v167
	v_add_f32_e32 v91, 0, v91
	v_fma_f32 v92, v93, v159, -v92
	s_waitcnt vmcnt(44)
	v_fmac_f32_e32 v116, v108, v168
	v_add_f32_e32 v91, v91, v92
	v_mul_f32_e32 v92, v96, v153
	v_add_f32_e32 v115, v115, v116
	s_waitcnt vmcnt(43)
	v_mul_f32_e32 v116, v109, v169
	v_fma_f32 v92, v95, v160, -v92
	s_waitcnt vmcnt(42)
	v_fmac_f32_e32 v116, v110, v170
	v_add_f32_e32 v91, v91, v92
	v_mul_f32_e32 v92, v98, v154
	v_add_f32_e32 v115, v115, v116
	s_waitcnt vmcnt(41) lgkmcnt(0)
	v_mul_f32_e32 v116, v111, v171
	v_fma_f32 v92, v97, v161, -v92
	s_waitcnt vmcnt(40)
	v_fmac_f32_e32 v116, v112, v172
	v_add_f32_e32 v91, v91, v92
	v_mul_f32_e32 v92, v100, v155
	v_add_f32_e32 v119, v115, v116
	ds_read_b128 v[115:118], v90 offset:560
	v_fma_f32 v92, v99, v162, -v92
	v_add_f32_e32 v91, v91, v92
	v_mul_f32_e32 v92, v102, v156
	s_waitcnt vmcnt(39)
	v_mul_f32_e32 v120, v113, v173
	v_fma_f32 v92, v101, v163, -v92
	s_waitcnt vmcnt(38)
	v_fmac_f32_e32 v120, v114, v174
	v_add_f32_e32 v91, v91, v92
	v_mul_f32_e32 v92, v104, v157
	v_add_f32_e32 v123, v119, v120
	ds_read_b128 v[119:122], v90 offset:576
	v_fma_f32 v92, v103, v164, -v92
	s_waitcnt vmcnt(35) lgkmcnt(1)
	v_mul_f32_e32 v124, v115, v177
	v_add_f32_e32 v91, v91, v92
	v_mul_f32_e32 v92, v106, v165
	s_waitcnt vmcnt(34)
	v_fmac_f32_e32 v124, v116, v178
	v_fma_f32 v92, v105, v166, -v92
	v_add_f32_e32 v123, v123, v124
	s_waitcnt vmcnt(32)
	v_mul_f32_e32 v124, v117, v180
	v_add_f32_e32 v91, v91, v92
	v_mul_f32_e32 v92, v108, v167
	v_fmac_f32_e32 v124, v118, v179
	v_fma_f32 v92, v107, v168, -v92
	v_add_f32_e32 v123, v123, v124
	s_waitcnt vmcnt(30) lgkmcnt(0)
	v_mul_f32_e32 v124, v119, v182
	v_add_f32_e32 v91, v91, v92
	v_mul_f32_e32 v92, v110, v169
	v_fmac_f32_e32 v124, v120, v181
	v_fma_f32 v92, v109, v170, -v92
	v_add_f32_e32 v127, v123, v124
	ds_read_b128 v[123:126], v90 offset:592
	v_add_f32_e32 v91, v91, v92
	v_mul_f32_e32 v92, v112, v171
	v_fma_f32 v92, v111, v172, -v92
	s_waitcnt vmcnt(29)
	v_mul_f32_e32 v128, v121, v183
	v_add_f32_e32 v91, v91, v92
	v_mul_f32_e32 v92, v114, v173
	s_waitcnt vmcnt(28)
	v_fmac_f32_e32 v128, v122, v184
	v_fma_f32 v92, v113, v174, -v92
	v_add_f32_e32 v131, v127, v128
	ds_read_b128 v[127:130], v90 offset:608
	v_add_f32_e32 v91, v91, v92
	v_mul_f32_e32 v92, v116, v177
	s_waitcnt vmcnt(26) lgkmcnt(1)
	v_mul_f32_e32 v132, v123, v186
	v_fma_f32 v92, v115, v178, -v92
	v_fmac_f32_e32 v132, v124, v185
	v_add_f32_e32 v91, v91, v92
	v_mul_f32_e32 v92, v118, v180
	v_add_f32_e32 v131, v131, v132
	s_waitcnt vmcnt(24)
	v_mul_f32_e32 v132, v125, v188
	v_fma_f32 v92, v117, v179, -v92
	v_fmac_f32_e32 v132, v126, v187
	v_add_f32_e32 v91, v91, v92
	v_mul_f32_e32 v92, v120, v182
	v_add_f32_e32 v131, v131, v132
	s_waitcnt vmcnt(22) lgkmcnt(0)
	v_mul_f32_e32 v132, v127, v190
	v_fma_f32 v92, v119, v181, -v92
	v_fmac_f32_e32 v132, v128, v189
	v_add_f32_e32 v91, v91, v92
	v_mul_f32_e32 v92, v122, v183
	v_add_f32_e32 v135, v131, v132
	ds_read_b128 v[131:134], v90 offset:624
	v_fma_f32 v92, v121, v184, -v92
	v_add_f32_e32 v91, v91, v92
	v_mul_f32_e32 v92, v124, v186
	s_waitcnt vmcnt(20)
	v_mul_f32_e32 v136, v129, v192
	v_fma_f32 v92, v123, v185, -v92
	v_fmac_f32_e32 v136, v130, v191
	v_add_f32_e32 v91, v91, v92
	v_mul_f32_e32 v92, v126, v188
	v_add_f32_e32 v139, v135, v136
	ds_read_b128 v[135:138], v90 offset:640
	v_fma_f32 v92, v125, v187, -v92
	s_waitcnt vmcnt(18) lgkmcnt(1)
	v_mul_f32_e32 v140, v131, v194
	v_add_f32_e32 v91, v91, v92
	v_mul_f32_e32 v92, v128, v190
	v_fmac_f32_e32 v140, v132, v193
	v_fma_f32 v92, v127, v189, -v92
	v_add_f32_e32 v139, v139, v140
	s_waitcnt vmcnt(16)
	v_mul_f32_e32 v140, v133, v196
	v_add_f32_e32 v91, v91, v92
	v_mul_f32_e32 v92, v130, v192
	v_fmac_f32_e32 v140, v134, v195
	v_fma_f32 v92, v129, v191, -v92
	v_add_f32_e32 v139, v139, v140
	s_waitcnt vmcnt(14) lgkmcnt(0)
	v_mul_f32_e32 v140, v135, v198
	v_add_f32_e32 v91, v91, v92
	v_mul_f32_e32 v92, v132, v194
	v_fmac_f32_e32 v140, v136, v197
	v_fma_f32 v92, v131, v193, -v92
	v_add_f32_e32 v143, v139, v140
	ds_read_b128 v[139:142], v90 offset:656
	v_add_f32_e32 v91, v91, v92
	v_mul_f32_e32 v92, v134, v196
	v_fma_f32 v92, v133, v195, -v92
	v_add_f32_e32 v91, v91, v92
	v_mul_f32_e32 v92, v136, v198
	s_waitcnt vmcnt(12)
	v_mul_f32_e32 v144, v137, v200
	v_fma_f32 v92, v135, v197, -v92
	v_fmac_f32_e32 v144, v138, v199
	v_add_f32_e32 v91, v91, v92
	v_mul_f32_e32 v92, v138, v200
	v_add_f32_e32 v147, v143, v144
	ds_read_b128 v[143:146], v90 offset:672
	s_waitcnt vmcnt(10) lgkmcnt(1)
	v_mul_f32_e32 v148, v139, v202
	v_fma_f32 v92, v137, v199, -v92
	v_fmac_f32_e32 v148, v140, v201
	v_add_f32_e32 v91, v91, v92
	v_mul_f32_e32 v92, v140, v202
	v_add_f32_e32 v147, v147, v148
	s_waitcnt vmcnt(8)
	v_mul_f32_e32 v148, v141, v204
	v_fma_f32 v92, v139, v201, -v92
	v_fmac_f32_e32 v148, v142, v203
	v_add_f32_e32 v91, v91, v92
	v_mul_f32_e32 v92, v142, v204
	v_add_f32_e32 v213, v147, v148
	ds_read_b128 v[147:150], v90 offset:688
	v_fma_f32 v92, v141, v203, -v92
	v_add_f32_e32 v91, v91, v92
	s_waitcnt vmcnt(6) lgkmcnt(1)
	v_mul_f32_e32 v92, v144, v206
	v_mul_f32_e32 v214, v143, v206
	v_fma_f32 v92, v143, v205, -v92
	v_fmac_f32_e32 v214, v144, v205
	v_add_f32_e32 v91, v91, v92
	s_waitcnt vmcnt(4)
	v_mul_f32_e32 v92, v146, v208
	v_add_f32_e32 v90, v213, v214
	v_mul_f32_e32 v213, v145, v208
	v_fma_f32 v92, v145, v207, -v92
	v_fmac_f32_e32 v213, v146, v207
	v_add_f32_e32 v91, v91, v92
	s_waitcnt vmcnt(2) lgkmcnt(0)
	v_mul_f32_e32 v92, v148, v210
	v_add_f32_e32 v90, v90, v213
	v_mul_f32_e32 v213, v147, v210
	v_fma_f32 v92, v147, v209, -v92
	v_fmac_f32_e32 v213, v148, v209
	v_add_f32_e32 v91, v91, v92
	s_waitcnt vmcnt(0)
	v_mul_f32_e32 v92, v150, v212
	v_add_f32_e32 v90, v90, v213
	v_mul_f32_e32 v213, v149, v212
	v_fma_f32 v92, v149, v211, -v92
	v_fmac_f32_e32 v213, v150, v211
	v_add_f32_e32 v91, v91, v92
	v_add_f32_e32 v90, v90, v213
	v_sub_f32_e32 v91, v175, v91
	v_sub_f32_e32 v90, v176, v90
	buffer_store_dword v91, off, s[0:3], 0 offset:104
	buffer_store_dword v90, off, s[0:3], 0 offset:108
	s_and_saveexec_b64 s[4:5], vcc
	s_cbranch_execz .LBB43_253
; %bb.252:
	buffer_load_dword v90, off, s[0:3], 0 offset:96
	buffer_load_dword v91, off, s[0:3], 0 offset:100
	v_mov_b32_e32 v92, 0
	buffer_store_dword v92, off, s[0:3], 0 offset:96
	buffer_store_dword v92, off, s[0:3], 0 offset:100
	s_waitcnt vmcnt(2)
	ds_write_b64 v89, v[90:91]
.LBB43_253:
	s_or_b64 exec, exec, s[4:5]
	s_waitcnt lgkmcnt(0)
	; wave barrier
	buffer_load_dword v153, off, s[0:3], 0 offset:108
	buffer_load_dword v154, off, s[0:3], 0 offset:116
	;; [unrolled: 1-line block ×56, first 2 shown]
	v_mov_b32_e32 v90, 0
	ds_read2_b64 v[91:94], v90 offset0:57 offset1:58
	buffer_load_dword v209, off, s[0:3], 0 offset:320
	buffer_load_dword v210, off, s[0:3], 0 offset:324
	;; [unrolled: 1-line block ×4, first 2 shown]
	ds_read2_b64 v[95:98], v90 offset0:59 offset1:60
	ds_read2_b64 v[99:102], v90 offset0:61 offset1:62
	;; [unrolled: 1-line block ×3, first 2 shown]
	v_cmp_lt_u32_e32 vcc, 11, v0
	s_waitcnt vmcnt(59) lgkmcnt(3)
	v_mul_f32_e32 v107, v91, v153
	s_waitcnt vmcnt(58)
	v_mul_f32_e32 v108, v93, v154
	s_waitcnt vmcnt(57) lgkmcnt(2)
	v_mul_f32_e32 v109, v95, v155
	s_waitcnt vmcnt(56)
	v_mul_f32_e32 v110, v97, v156
	;; [unrolled: 4-line block ×4, first 2 shown]
	s_waitcnt vmcnt(51)
	v_fmac_f32_e32 v107, v92, v161
	s_waitcnt vmcnt(50)
	v_fmac_f32_e32 v108, v94, v162
	v_add_f32_e32 v107, 0, v107
	s_waitcnt vmcnt(49)
	v_fmac_f32_e32 v109, v96, v163
	v_add_f32_e32 v107, v107, v108
	;; [unrolled: 3-line block ×6, first 2 shown]
	v_add_f32_e32 v111, v107, v113
	ds_read2_b64 v[107:110], v90 offset0:65 offset1:66
	buffer_load_dword v213, off, s[0:3], 0 offset:340
	buffer_load_dword v214, off, s[0:3], 0 offset:336
	;; [unrolled: 1-line block ×4, first 2 shown]
	s_waitcnt vmcnt(48)
	v_fmac_f32_e32 v114, v106, v168
	v_add_f32_e32 v115, v111, v114
	ds_read2_b64 v[111:114], v90 offset0:67 offset1:68
	s_waitcnt vmcnt(47) lgkmcnt(1)
	v_mul_f32_e32 v116, v107, v169
	v_mul_f32_e32 v92, v92, v153
	s_waitcnt vmcnt(46)
	v_fmac_f32_e32 v116, v108, v170
	v_fma_f32 v91, v91, v161, -v92
	v_mul_f32_e32 v92, v94, v154
	v_add_f32_e32 v115, v115, v116
	s_waitcnt vmcnt(45)
	v_mul_f32_e32 v116, v109, v171
	v_add_f32_e32 v91, 0, v91
	v_fma_f32 v92, v93, v162, -v92
	s_waitcnt vmcnt(44)
	v_fmac_f32_e32 v116, v110, v172
	v_add_f32_e32 v91, v91, v92
	v_mul_f32_e32 v92, v96, v155
	v_add_f32_e32 v115, v115, v116
	s_waitcnt vmcnt(42) lgkmcnt(0)
	v_mul_f32_e32 v116, v111, v174
	v_fma_f32 v92, v95, v163, -v92
	v_fmac_f32_e32 v116, v112, v173
	v_add_f32_e32 v91, v91, v92
	v_mul_f32_e32 v92, v98, v156
	v_add_f32_e32 v119, v115, v116
	ds_read2_b64 v[115:118], v90 offset0:69 offset1:70
	v_fma_f32 v92, v97, v164, -v92
	v_add_f32_e32 v91, v91, v92
	v_mul_f32_e32 v92, v100, v157
	s_waitcnt vmcnt(39)
	v_mul_f32_e32 v120, v113, v177
	v_fma_f32 v92, v99, v165, -v92
	s_waitcnt vmcnt(38)
	v_fmac_f32_e32 v120, v114, v178
	v_add_f32_e32 v91, v91, v92
	v_mul_f32_e32 v92, v102, v158
	v_add_f32_e32 v123, v119, v120
	ds_read2_b64 v[119:122], v90 offset0:71 offset1:72
	v_fma_f32 v92, v101, v166, -v92
	s_waitcnt vmcnt(36) lgkmcnt(1)
	v_mul_f32_e32 v124, v115, v180
	v_add_f32_e32 v91, v91, v92
	v_mul_f32_e32 v92, v104, v159
	v_fmac_f32_e32 v124, v116, v179
	v_fma_f32 v92, v103, v167, -v92
	v_add_f32_e32 v123, v123, v124
	s_waitcnt vmcnt(34)
	v_mul_f32_e32 v124, v117, v182
	v_add_f32_e32 v91, v91, v92
	v_mul_f32_e32 v92, v106, v160
	v_fmac_f32_e32 v124, v118, v181
	v_fma_f32 v92, v105, v168, -v92
	v_add_f32_e32 v123, v123, v124
	s_waitcnt vmcnt(32) lgkmcnt(0)
	v_mul_f32_e32 v124, v119, v184
	v_add_f32_e32 v91, v91, v92
	v_mul_f32_e32 v92, v108, v169
	v_fmac_f32_e32 v124, v120, v183
	v_fma_f32 v92, v107, v170, -v92
	v_add_f32_e32 v127, v123, v124
	ds_read2_b64 v[123:126], v90 offset0:73 offset1:74
	v_add_f32_e32 v91, v91, v92
	v_mul_f32_e32 v92, v110, v171
	v_fma_f32 v92, v109, v172, -v92
	s_waitcnt vmcnt(30)
	v_mul_f32_e32 v128, v121, v186
	v_add_f32_e32 v91, v91, v92
	v_mul_f32_e32 v92, v112, v174
	v_fmac_f32_e32 v128, v122, v185
	v_fma_f32 v92, v111, v173, -v92
	v_add_f32_e32 v131, v127, v128
	ds_read2_b64 v[127:130], v90 offset0:75 offset1:76
	v_add_f32_e32 v91, v91, v92
	v_mul_f32_e32 v92, v114, v177
	s_waitcnt vmcnt(28) lgkmcnt(1)
	v_mul_f32_e32 v132, v123, v188
	v_fma_f32 v92, v113, v178, -v92
	v_fmac_f32_e32 v132, v124, v187
	v_add_f32_e32 v91, v91, v92
	v_mul_f32_e32 v92, v116, v180
	v_add_f32_e32 v131, v131, v132
	s_waitcnt vmcnt(26)
	v_mul_f32_e32 v132, v125, v190
	v_fma_f32 v92, v115, v179, -v92
	v_fmac_f32_e32 v132, v126, v189
	v_add_f32_e32 v91, v91, v92
	v_mul_f32_e32 v92, v118, v182
	v_add_f32_e32 v131, v131, v132
	s_waitcnt vmcnt(24) lgkmcnt(0)
	v_mul_f32_e32 v132, v127, v192
	v_fma_f32 v92, v117, v181, -v92
	v_fmac_f32_e32 v132, v128, v191
	v_add_f32_e32 v91, v91, v92
	v_mul_f32_e32 v92, v120, v184
	v_add_f32_e32 v135, v131, v132
	ds_read2_b64 v[131:134], v90 offset0:77 offset1:78
	v_fma_f32 v92, v119, v183, -v92
	v_add_f32_e32 v91, v91, v92
	v_mul_f32_e32 v92, v122, v186
	s_waitcnt vmcnt(22)
	v_mul_f32_e32 v136, v129, v194
	v_fma_f32 v92, v121, v185, -v92
	v_fmac_f32_e32 v136, v130, v193
	v_add_f32_e32 v91, v91, v92
	v_mul_f32_e32 v92, v124, v188
	v_add_f32_e32 v139, v135, v136
	ds_read2_b64 v[135:138], v90 offset0:79 offset1:80
	v_fma_f32 v92, v123, v187, -v92
	s_waitcnt vmcnt(20) lgkmcnt(1)
	v_mul_f32_e32 v140, v131, v196
	v_add_f32_e32 v91, v91, v92
	v_mul_f32_e32 v92, v126, v190
	v_fmac_f32_e32 v140, v132, v195
	v_fma_f32 v92, v125, v189, -v92
	v_add_f32_e32 v139, v139, v140
	s_waitcnt vmcnt(18)
	v_mul_f32_e32 v140, v133, v198
	v_add_f32_e32 v91, v91, v92
	v_mul_f32_e32 v92, v128, v192
	v_fmac_f32_e32 v140, v134, v197
	v_fma_f32 v92, v127, v191, -v92
	v_add_f32_e32 v139, v139, v140
	s_waitcnt vmcnt(16) lgkmcnt(0)
	v_mul_f32_e32 v140, v135, v200
	v_add_f32_e32 v91, v91, v92
	v_mul_f32_e32 v92, v130, v194
	v_fmac_f32_e32 v140, v136, v199
	v_fma_f32 v92, v129, v193, -v92
	v_add_f32_e32 v143, v139, v140
	ds_read2_b64 v[139:142], v90 offset0:81 offset1:82
	v_add_f32_e32 v91, v91, v92
	v_mul_f32_e32 v92, v132, v196
	v_fma_f32 v92, v131, v195, -v92
	s_waitcnt vmcnt(14)
	v_mul_f32_e32 v144, v137, v202
	v_add_f32_e32 v91, v91, v92
	v_mul_f32_e32 v92, v134, v198
	v_fmac_f32_e32 v144, v138, v201
	v_fma_f32 v92, v133, v197, -v92
	v_add_f32_e32 v147, v143, v144
	ds_read2_b64 v[143:146], v90 offset0:83 offset1:84
	v_add_f32_e32 v91, v91, v92
	v_mul_f32_e32 v92, v136, v200
	s_waitcnt vmcnt(12) lgkmcnt(1)
	v_mul_f32_e32 v148, v139, v204
	v_fma_f32 v92, v135, v199, -v92
	v_fmac_f32_e32 v148, v140, v203
	v_add_f32_e32 v91, v91, v92
	v_mul_f32_e32 v92, v138, v202
	v_add_f32_e32 v147, v147, v148
	s_waitcnt vmcnt(10)
	v_mul_f32_e32 v148, v141, v206
	v_fma_f32 v92, v137, v201, -v92
	v_fmac_f32_e32 v148, v142, v205
	v_add_f32_e32 v91, v91, v92
	v_mul_f32_e32 v92, v140, v204
	v_add_f32_e32 v147, v147, v148
	s_waitcnt vmcnt(8) lgkmcnt(0)
	v_mul_f32_e32 v148, v143, v208
	v_fma_f32 v92, v139, v203, -v92
	v_fmac_f32_e32 v148, v144, v207
	v_add_f32_e32 v91, v91, v92
	v_mul_f32_e32 v92, v142, v206
	v_add_f32_e32 v151, v147, v148
	ds_read2_b64 v[147:150], v90 offset0:85 offset1:86
	v_fma_f32 v92, v141, v205, -v92
	v_add_f32_e32 v91, v91, v92
	v_mul_f32_e32 v92, v144, v208
	s_waitcnt vmcnt(6)
	v_mul_f32_e32 v152, v145, v210
	v_fma_f32 v92, v143, v207, -v92
	v_fmac_f32_e32 v152, v146, v209
	v_add_f32_e32 v91, v91, v92
	v_mul_f32_e32 v92, v146, v210
	v_add_f32_e32 v217, v151, v152
	ds_read_b64 v[151:152], v90 offset:696
	v_fma_f32 v92, v145, v209, -v92
	v_add_f32_e32 v91, v91, v92
	s_waitcnt vmcnt(4) lgkmcnt(1)
	v_mul_f32_e32 v92, v148, v212
	v_mul_f32_e32 v218, v147, v212
	v_fma_f32 v92, v147, v211, -v92
	v_fmac_f32_e32 v218, v148, v211
	v_add_f32_e32 v91, v91, v92
	s_waitcnt vmcnt(3)
	v_mul_f32_e32 v92, v150, v213
	v_add_f32_e32 v217, v217, v218
	v_mul_f32_e32 v218, v149, v213
	s_waitcnt vmcnt(2)
	v_fma_f32 v92, v149, v214, -v92
	v_fmac_f32_e32 v218, v150, v214
	v_add_f32_e32 v91, v91, v92
	s_waitcnt vmcnt(0) lgkmcnt(0)
	v_mul_f32_e32 v92, v152, v216
	v_add_f32_e32 v217, v217, v218
	v_mul_f32_e32 v218, v151, v216
	v_fma_f32 v92, v151, v215, -v92
	v_fmac_f32_e32 v218, v152, v215
	v_add_f32_e32 v91, v91, v92
	v_add_f32_e32 v217, v217, v218
	v_sub_f32_e32 v91, v175, v91
	v_sub_f32_e32 v92, v176, v217
	buffer_store_dword v91, off, s[0:3], 0 offset:96
	buffer_store_dword v92, off, s[0:3], 0 offset:100
	s_and_saveexec_b64 s[4:5], vcc
	s_cbranch_execz .LBB43_255
; %bb.254:
	buffer_load_dword v91, off, s[0:3], 0 offset:88
	buffer_load_dword v92, off, s[0:3], 0 offset:92
	s_waitcnt vmcnt(0)
	ds_write_b64 v89, v[91:92]
	buffer_store_dword v90, off, s[0:3], 0 offset:88
	buffer_store_dword v90, off, s[0:3], 0 offset:92
.LBB43_255:
	s_or_b64 exec, exec, s[4:5]
	s_waitcnt lgkmcnt(0)
	; wave barrier
	buffer_load_dword v155, off, s[0:3], 0 offset:100
	buffer_load_dword v156, off, s[0:3], 0 offset:108
	;; [unrolled: 1-line block ×26, first 2 shown]
	ds_read_b128 v[91:94], v90 offset:448
	ds_read_b128 v[95:98], v90 offset:464
	;; [unrolled: 1-line block ×4, first 2 shown]
	buffer_load_dword v181, off, s[0:3], 0 offset:196
	buffer_load_dword v182, off, s[0:3], 0 offset:192
	;; [unrolled: 1-line block ×34, first 2 shown]
	v_cmp_lt_u32_e32 vcc, 10, v0
	s_waitcnt vmcnt(59) lgkmcnt(3)
	v_mul_f32_e32 v107, v91, v155
	s_waitcnt vmcnt(58)
	v_mul_f32_e32 v108, v93, v156
	s_waitcnt vmcnt(57) lgkmcnt(2)
	v_mul_f32_e32 v109, v95, v157
	s_waitcnt vmcnt(56)
	v_mul_f32_e32 v110, v97, v158
	;; [unrolled: 4-line block ×4, first 2 shown]
	s_waitcnt vmcnt(51)
	v_fmac_f32_e32 v107, v92, v163
	s_waitcnt vmcnt(50)
	v_fmac_f32_e32 v108, v94, v164
	v_add_f32_e32 v107, 0, v107
	s_waitcnt vmcnt(49)
	v_fmac_f32_e32 v109, v96, v165
	v_add_f32_e32 v107, v107, v108
	;; [unrolled: 3-line block ×7, first 2 shown]
	v_add_f32_e32 v115, v107, v114
	ds_read_b128 v[107:110], v90 offset:512
	buffer_load_dword v215, off, s[0:3], 0 offset:332
	buffer_load_dword v216, off, s[0:3], 0 offset:328
	;; [unrolled: 1-line block ×4, first 2 shown]
	ds_read_b128 v[111:114], v90 offset:528
	buffer_load_dword v219, off, s[0:3], 0 offset:344
	buffer_load_dword v220, off, s[0:3], 0 offset:348
	v_mul_f32_e32 v92, v92, v155
	s_waitcnt vmcnt(49) lgkmcnt(1)
	v_mul_f32_e32 v116, v107, v171
	s_waitcnt vmcnt(48)
	v_fmac_f32_e32 v116, v108, v172
	v_fma_f32 v91, v91, v163, -v92
	v_mul_f32_e32 v92, v94, v156
	v_add_f32_e32 v115, v115, v116
	s_waitcnt vmcnt(46)
	v_mul_f32_e32 v116, v109, v174
	v_add_f32_e32 v91, 0, v91
	v_fma_f32 v92, v93, v164, -v92
	v_fmac_f32_e32 v116, v110, v173
	v_add_f32_e32 v91, v91, v92
	v_mul_f32_e32 v92, v96, v157
	v_add_f32_e32 v115, v115, v116
	s_waitcnt vmcnt(43) lgkmcnt(0)
	v_mul_f32_e32 v116, v111, v177
	v_fma_f32 v92, v95, v165, -v92
	s_waitcnt vmcnt(42)
	v_fmac_f32_e32 v116, v112, v178
	v_add_f32_e32 v91, v91, v92
	v_mul_f32_e32 v92, v98, v158
	v_add_f32_e32 v119, v115, v116
	ds_read_b128 v[115:118], v90 offset:544
	v_fma_f32 v92, v97, v166, -v92
	v_add_f32_e32 v91, v91, v92
	v_mul_f32_e32 v92, v100, v159
	s_waitcnt vmcnt(40)
	v_mul_f32_e32 v120, v113, v180
	v_fma_f32 v92, v99, v167, -v92
	v_fmac_f32_e32 v120, v114, v179
	v_add_f32_e32 v91, v91, v92
	v_mul_f32_e32 v92, v102, v160
	v_add_f32_e32 v123, v119, v120
	ds_read_b128 v[119:122], v90 offset:560
	v_fma_f32 v92, v101, v168, -v92
	s_waitcnt vmcnt(39) lgkmcnt(1)
	v_mul_f32_e32 v124, v115, v181
	v_add_f32_e32 v91, v91, v92
	v_mul_f32_e32 v92, v104, v161
	s_waitcnt vmcnt(38)
	v_fmac_f32_e32 v124, v116, v182
	v_fma_f32 v92, v103, v169, -v92
	v_add_f32_e32 v123, v123, v124
	s_waitcnt vmcnt(36)
	v_mul_f32_e32 v124, v117, v184
	v_add_f32_e32 v91, v91, v92
	v_mul_f32_e32 v92, v106, v162
	v_fmac_f32_e32 v124, v118, v183
	v_fma_f32 v92, v105, v170, -v92
	v_add_f32_e32 v123, v123, v124
	s_waitcnt vmcnt(34) lgkmcnt(0)
	v_mul_f32_e32 v124, v119, v186
	v_add_f32_e32 v91, v91, v92
	v_mul_f32_e32 v92, v108, v171
	v_fmac_f32_e32 v124, v120, v185
	v_fma_f32 v92, v107, v172, -v92
	v_add_f32_e32 v127, v123, v124
	ds_read_b128 v[123:126], v90 offset:576
	v_add_f32_e32 v91, v91, v92
	v_mul_f32_e32 v92, v110, v174
	v_fma_f32 v92, v109, v173, -v92
	s_waitcnt vmcnt(32)
	v_mul_f32_e32 v128, v121, v188
	v_add_f32_e32 v91, v91, v92
	v_mul_f32_e32 v92, v112, v177
	v_fmac_f32_e32 v128, v122, v187
	v_fma_f32 v92, v111, v178, -v92
	v_add_f32_e32 v131, v127, v128
	ds_read_b128 v[127:130], v90 offset:592
	v_add_f32_e32 v91, v91, v92
	v_mul_f32_e32 v92, v114, v180
	s_waitcnt vmcnt(30) lgkmcnt(1)
	v_mul_f32_e32 v132, v123, v190
	v_fma_f32 v92, v113, v179, -v92
	v_fmac_f32_e32 v132, v124, v189
	v_add_f32_e32 v91, v91, v92
	v_mul_f32_e32 v92, v116, v181
	v_add_f32_e32 v131, v131, v132
	s_waitcnt vmcnt(28)
	v_mul_f32_e32 v132, v125, v192
	v_fma_f32 v92, v115, v182, -v92
	v_fmac_f32_e32 v132, v126, v191
	v_add_f32_e32 v91, v91, v92
	v_mul_f32_e32 v92, v118, v184
	v_add_f32_e32 v131, v131, v132
	s_waitcnt vmcnt(26) lgkmcnt(0)
	v_mul_f32_e32 v132, v127, v194
	v_fma_f32 v92, v117, v183, -v92
	v_fmac_f32_e32 v132, v128, v193
	v_add_f32_e32 v91, v91, v92
	v_mul_f32_e32 v92, v120, v186
	v_add_f32_e32 v135, v131, v132
	ds_read_b128 v[131:134], v90 offset:608
	v_fma_f32 v92, v119, v185, -v92
	v_add_f32_e32 v91, v91, v92
	v_mul_f32_e32 v92, v122, v188
	s_waitcnt vmcnt(24)
	v_mul_f32_e32 v136, v129, v196
	v_fma_f32 v92, v121, v187, -v92
	v_fmac_f32_e32 v136, v130, v195
	v_add_f32_e32 v91, v91, v92
	v_mul_f32_e32 v92, v124, v190
	v_add_f32_e32 v139, v135, v136
	ds_read_b128 v[135:138], v90 offset:624
	v_fma_f32 v92, v123, v189, -v92
	s_waitcnt vmcnt(22) lgkmcnt(1)
	v_mul_f32_e32 v140, v131, v198
	v_add_f32_e32 v91, v91, v92
	v_mul_f32_e32 v92, v126, v192
	v_fmac_f32_e32 v140, v132, v197
	v_fma_f32 v92, v125, v191, -v92
	v_add_f32_e32 v139, v139, v140
	s_waitcnt vmcnt(20)
	v_mul_f32_e32 v140, v133, v200
	v_add_f32_e32 v91, v91, v92
	v_mul_f32_e32 v92, v128, v194
	v_fmac_f32_e32 v140, v134, v199
	v_fma_f32 v92, v127, v193, -v92
	v_add_f32_e32 v139, v139, v140
	s_waitcnt vmcnt(18) lgkmcnt(0)
	v_mul_f32_e32 v140, v135, v202
	v_add_f32_e32 v91, v91, v92
	v_mul_f32_e32 v92, v130, v196
	v_fmac_f32_e32 v140, v136, v201
	v_fma_f32 v92, v129, v195, -v92
	v_add_f32_e32 v143, v139, v140
	ds_read_b128 v[139:142], v90 offset:640
	v_add_f32_e32 v91, v91, v92
	v_mul_f32_e32 v92, v132, v198
	v_fma_f32 v92, v131, v197, -v92
	s_waitcnt vmcnt(16)
	v_mul_f32_e32 v144, v137, v204
	v_add_f32_e32 v91, v91, v92
	v_mul_f32_e32 v92, v134, v200
	v_fmac_f32_e32 v144, v138, v203
	v_fma_f32 v92, v133, v199, -v92
	v_add_f32_e32 v147, v143, v144
	ds_read_b128 v[143:146], v90 offset:656
	v_add_f32_e32 v91, v91, v92
	v_mul_f32_e32 v92, v136, v202
	s_waitcnt vmcnt(14) lgkmcnt(1)
	v_mul_f32_e32 v148, v139, v206
	v_fma_f32 v92, v135, v201, -v92
	v_fmac_f32_e32 v148, v140, v205
	v_add_f32_e32 v91, v91, v92
	v_mul_f32_e32 v92, v138, v204
	v_add_f32_e32 v147, v147, v148
	s_waitcnt vmcnt(12)
	v_mul_f32_e32 v148, v141, v208
	v_fma_f32 v92, v137, v203, -v92
	v_fmac_f32_e32 v148, v142, v207
	v_add_f32_e32 v91, v91, v92
	v_mul_f32_e32 v92, v140, v206
	v_add_f32_e32 v147, v147, v148
	s_waitcnt vmcnt(10) lgkmcnt(0)
	v_mul_f32_e32 v148, v143, v210
	v_fma_f32 v92, v139, v205, -v92
	v_fmac_f32_e32 v148, v144, v209
	v_add_f32_e32 v91, v91, v92
	v_mul_f32_e32 v92, v142, v208
	v_add_f32_e32 v151, v147, v148
	ds_read_b128 v[147:150], v90 offset:672
	v_fma_f32 v92, v141, v207, -v92
	v_add_f32_e32 v91, v91, v92
	v_mul_f32_e32 v92, v144, v210
	s_waitcnt vmcnt(8)
	v_mul_f32_e32 v152, v145, v212
	v_fma_f32 v92, v143, v209, -v92
	v_fmac_f32_e32 v152, v146, v211
	v_add_f32_e32 v91, v91, v92
	v_mul_f32_e32 v92, v146, v212
	v_add_f32_e32 v221, v151, v152
	ds_read_b128 v[151:154], v90 offset:688
	v_fma_f32 v92, v145, v211, -v92
	v_add_f32_e32 v91, v91, v92
	s_waitcnt vmcnt(6) lgkmcnt(1)
	v_mul_f32_e32 v92, v148, v214
	v_mul_f32_e32 v90, v147, v214
	v_fma_f32 v92, v147, v213, -v92
	v_fmac_f32_e32 v90, v148, v213
	v_add_f32_e32 v91, v91, v92
	s_waitcnt vmcnt(5)
	v_mul_f32_e32 v92, v150, v215
	v_add_f32_e32 v90, v221, v90
	v_mul_f32_e32 v221, v149, v215
	s_waitcnt vmcnt(4)
	v_fma_f32 v92, v149, v216, -v92
	v_fmac_f32_e32 v221, v150, v216
	v_add_f32_e32 v91, v91, v92
	s_waitcnt vmcnt(2) lgkmcnt(0)
	v_mul_f32_e32 v92, v152, v218
	v_add_f32_e32 v90, v90, v221
	v_mul_f32_e32 v221, v151, v218
	v_fma_f32 v92, v151, v217, -v92
	v_fmac_f32_e32 v221, v152, v217
	v_add_f32_e32 v91, v91, v92
	s_waitcnt vmcnt(0)
	v_mul_f32_e32 v92, v154, v220
	v_add_f32_e32 v90, v90, v221
	v_mul_f32_e32 v221, v153, v220
	v_fma_f32 v92, v153, v219, -v92
	v_fmac_f32_e32 v221, v154, v219
	v_add_f32_e32 v91, v91, v92
	v_add_f32_e32 v90, v90, v221
	v_sub_f32_e32 v91, v175, v91
	v_sub_f32_e32 v90, v176, v90
	buffer_store_dword v91, off, s[0:3], 0 offset:88
	buffer_store_dword v90, off, s[0:3], 0 offset:92
	s_and_saveexec_b64 s[4:5], vcc
	s_cbranch_execz .LBB43_257
; %bb.256:
	buffer_load_dword v90, off, s[0:3], 0 offset:80
	buffer_load_dword v91, off, s[0:3], 0 offset:84
	v_mov_b32_e32 v92, 0
	buffer_store_dword v92, off, s[0:3], 0 offset:80
	buffer_store_dword v92, off, s[0:3], 0 offset:84
	s_waitcnt vmcnt(2)
	ds_write_b64 v89, v[90:91]
.LBB43_257:
	s_or_b64 exec, exec, s[4:5]
	s_waitcnt lgkmcnt(0)
	; wave barrier
	buffer_load_dword v157, off, s[0:3], 0 offset:92
	buffer_load_dword v158, off, s[0:3], 0 offset:100
	;; [unrolled: 1-line block ×58, first 2 shown]
	v_mov_b32_e32 v90, 0
	ds_read2_b64 v[91:94], v90 offset0:55 offset1:56
	ds_read2_b64 v[95:98], v90 offset0:57 offset1:58
	;; [unrolled: 1-line block ×5, first 2 shown]
	buffer_load_dword v215, off, s[0:3], 0 offset:312
	buffer_load_dword v216, off, s[0:3], 0 offset:316
	v_cmp_lt_u32_e32 vcc, 9, v0
	s_waitcnt vmcnt(59) lgkmcnt(4)
	v_mul_f32_e32 v111, v91, v157
	s_waitcnt vmcnt(58)
	v_mul_f32_e32 v112, v93, v158
	s_waitcnt vmcnt(57) lgkmcnt(3)
	v_mul_f32_e32 v113, v95, v159
	s_waitcnt vmcnt(56)
	v_mul_f32_e32 v114, v97, v160
	;; [unrolled: 4-line block ×4, first 2 shown]
	s_waitcnt vmcnt(51)
	v_fmac_f32_e32 v111, v92, v165
	s_waitcnt vmcnt(50)
	v_fmac_f32_e32 v112, v94, v166
	v_add_f32_e32 v111, 0, v111
	s_waitcnt vmcnt(49)
	v_fmac_f32_e32 v113, v96, v167
	v_add_f32_e32 v111, v111, v112
	;; [unrolled: 3-line block ×7, first 2 shown]
	v_add_f32_e32 v115, v111, v118
	ds_read2_b64 v[111:114], v90 offset0:65 offset1:66
	buffer_load_dword v217, off, s[0:3], 0 offset:324
	buffer_load_dword v218, off, s[0:3], 0 offset:320
	;; [unrolled: 1-line block ×8, first 2 shown]
	s_waitcnt vmcnt(51) lgkmcnt(1)
	v_mul_f32_e32 v116, v107, v173
	s_waitcnt vmcnt(50)
	v_fmac_f32_e32 v116, v108, v174
	v_mul_f32_e32 v92, v92, v157
	v_add_f32_e32 v115, v115, v116
	s_waitcnt vmcnt(49)
	v_mul_f32_e32 v116, v109, v175
	v_fma_f32 v91, v91, v165, -v92
	v_mul_f32_e32 v92, v94, v158
	s_waitcnt vmcnt(46)
	v_fmac_f32_e32 v116, v110, v178
	v_add_f32_e32 v91, 0, v91
	v_fma_f32 v92, v93, v166, -v92
	v_add_f32_e32 v115, v115, v116
	s_waitcnt vmcnt(44) lgkmcnt(0)
	v_mul_f32_e32 v116, v111, v180
	v_add_f32_e32 v91, v91, v92
	v_mul_f32_e32 v92, v96, v159
	v_fmac_f32_e32 v116, v112, v179
	v_fma_f32 v92, v95, v167, -v92
	v_add_f32_e32 v119, v115, v116
	ds_read2_b64 v[115:118], v90 offset0:67 offset1:68
	v_add_f32_e32 v91, v91, v92
	v_mul_f32_e32 v92, v98, v160
	v_fma_f32 v92, v97, v168, -v92
	s_waitcnt vmcnt(42)
	v_mul_f32_e32 v120, v113, v182
	v_add_f32_e32 v91, v91, v92
	v_mul_f32_e32 v92, v100, v161
	v_fmac_f32_e32 v120, v114, v181
	v_fma_f32 v92, v99, v169, -v92
	v_add_f32_e32 v123, v119, v120
	ds_read2_b64 v[119:122], v90 offset0:69 offset1:70
	v_add_f32_e32 v91, v91, v92
	v_mul_f32_e32 v92, v102, v162
	s_waitcnt vmcnt(40) lgkmcnt(1)
	v_mul_f32_e32 v124, v115, v184
	v_fma_f32 v92, v101, v170, -v92
	v_fmac_f32_e32 v124, v116, v183
	v_add_f32_e32 v91, v91, v92
	v_mul_f32_e32 v92, v104, v163
	v_add_f32_e32 v123, v123, v124
	s_waitcnt vmcnt(38)
	v_mul_f32_e32 v124, v117, v186
	v_fma_f32 v92, v103, v171, -v92
	v_fmac_f32_e32 v124, v118, v185
	v_add_f32_e32 v91, v91, v92
	v_mul_f32_e32 v92, v106, v164
	v_add_f32_e32 v123, v123, v124
	s_waitcnt vmcnt(36) lgkmcnt(0)
	v_mul_f32_e32 v124, v119, v188
	v_fma_f32 v92, v105, v172, -v92
	v_fmac_f32_e32 v124, v120, v187
	v_add_f32_e32 v91, v91, v92
	v_mul_f32_e32 v92, v108, v173
	v_add_f32_e32 v127, v123, v124
	ds_read2_b64 v[123:126], v90 offset0:71 offset1:72
	v_fma_f32 v92, v107, v174, -v92
	v_add_f32_e32 v91, v91, v92
	v_mul_f32_e32 v92, v110, v175
	s_waitcnt vmcnt(34)
	v_mul_f32_e32 v128, v121, v190
	v_fma_f32 v92, v109, v178, -v92
	v_fmac_f32_e32 v128, v122, v189
	v_add_f32_e32 v91, v91, v92
	v_mul_f32_e32 v92, v112, v180
	v_add_f32_e32 v131, v127, v128
	ds_read2_b64 v[127:130], v90 offset0:73 offset1:74
	v_fma_f32 v92, v111, v179, -v92
	s_waitcnt vmcnt(32) lgkmcnt(1)
	v_mul_f32_e32 v132, v123, v192
	v_add_f32_e32 v91, v91, v92
	v_mul_f32_e32 v92, v114, v182
	v_fmac_f32_e32 v132, v124, v191
	v_fma_f32 v92, v113, v181, -v92
	v_add_f32_e32 v131, v131, v132
	s_waitcnt vmcnt(30)
	v_mul_f32_e32 v132, v125, v194
	v_add_f32_e32 v91, v91, v92
	v_mul_f32_e32 v92, v116, v184
	v_fmac_f32_e32 v132, v126, v193
	v_fma_f32 v92, v115, v183, -v92
	v_add_f32_e32 v131, v131, v132
	s_waitcnt vmcnt(28) lgkmcnt(0)
	v_mul_f32_e32 v132, v127, v196
	v_add_f32_e32 v91, v91, v92
	v_mul_f32_e32 v92, v118, v186
	v_fmac_f32_e32 v132, v128, v195
	v_fma_f32 v92, v117, v185, -v92
	v_add_f32_e32 v135, v131, v132
	ds_read2_b64 v[131:134], v90 offset0:75 offset1:76
	v_add_f32_e32 v91, v91, v92
	v_mul_f32_e32 v92, v120, v188
	v_fma_f32 v92, v119, v187, -v92
	s_waitcnt vmcnt(26)
	v_mul_f32_e32 v136, v129, v198
	v_add_f32_e32 v91, v91, v92
	v_mul_f32_e32 v92, v122, v190
	v_fmac_f32_e32 v136, v130, v197
	v_fma_f32 v92, v121, v189, -v92
	v_add_f32_e32 v139, v135, v136
	ds_read2_b64 v[135:138], v90 offset0:77 offset1:78
	v_add_f32_e32 v91, v91, v92
	v_mul_f32_e32 v92, v124, v192
	s_waitcnt vmcnt(24) lgkmcnt(1)
	v_mul_f32_e32 v140, v131, v200
	v_fma_f32 v92, v123, v191, -v92
	v_fmac_f32_e32 v140, v132, v199
	v_add_f32_e32 v91, v91, v92
	v_mul_f32_e32 v92, v126, v194
	v_add_f32_e32 v139, v139, v140
	s_waitcnt vmcnt(22)
	v_mul_f32_e32 v140, v133, v202
	v_fma_f32 v92, v125, v193, -v92
	v_fmac_f32_e32 v140, v134, v201
	v_add_f32_e32 v91, v91, v92
	v_mul_f32_e32 v92, v128, v196
	v_add_f32_e32 v139, v139, v140
	s_waitcnt vmcnt(20) lgkmcnt(0)
	v_mul_f32_e32 v140, v135, v204
	v_fma_f32 v92, v127, v195, -v92
	v_fmac_f32_e32 v140, v136, v203
	v_add_f32_e32 v91, v91, v92
	v_mul_f32_e32 v92, v130, v198
	v_add_f32_e32 v143, v139, v140
	ds_read2_b64 v[139:142], v90 offset0:79 offset1:80
	v_fma_f32 v92, v129, v197, -v92
	v_add_f32_e32 v91, v91, v92
	v_mul_f32_e32 v92, v132, v200
	s_waitcnt vmcnt(18)
	v_mul_f32_e32 v144, v137, v206
	v_fma_f32 v92, v131, v199, -v92
	v_fmac_f32_e32 v144, v138, v205
	v_add_f32_e32 v91, v91, v92
	v_mul_f32_e32 v92, v134, v202
	v_add_f32_e32 v147, v143, v144
	ds_read2_b64 v[143:146], v90 offset0:81 offset1:82
	v_fma_f32 v92, v133, v201, -v92
	s_waitcnt vmcnt(16) lgkmcnt(1)
	v_mul_f32_e32 v148, v139, v208
	v_add_f32_e32 v91, v91, v92
	v_mul_f32_e32 v92, v136, v204
	v_fmac_f32_e32 v148, v140, v207
	v_fma_f32 v92, v135, v203, -v92
	v_add_f32_e32 v147, v147, v148
	s_waitcnt vmcnt(14)
	v_mul_f32_e32 v148, v141, v210
	v_add_f32_e32 v91, v91, v92
	v_mul_f32_e32 v92, v138, v206
	v_fmac_f32_e32 v148, v142, v209
	v_fma_f32 v92, v137, v205, -v92
	v_add_f32_e32 v147, v147, v148
	s_waitcnt vmcnt(12) lgkmcnt(0)
	v_mul_f32_e32 v148, v143, v212
	v_add_f32_e32 v91, v91, v92
	v_mul_f32_e32 v92, v140, v208
	v_fmac_f32_e32 v148, v144, v211
	v_fma_f32 v92, v139, v207, -v92
	v_add_f32_e32 v151, v147, v148
	ds_read2_b64 v[147:150], v90 offset0:83 offset1:84
	v_add_f32_e32 v91, v91, v92
	v_mul_f32_e32 v92, v142, v210
	v_fma_f32 v92, v141, v209, -v92
	v_add_f32_e32 v91, v91, v92
	v_mul_f32_e32 v92, v144, v212
	s_waitcnt vmcnt(10)
	v_mul_f32_e32 v152, v145, v214
	v_fma_f32 v92, v143, v211, -v92
	v_fmac_f32_e32 v152, v146, v213
	v_add_f32_e32 v91, v91, v92
	v_mul_f32_e32 v92, v146, v214
	v_add_f32_e32 v155, v151, v152
	ds_read2_b64 v[151:154], v90 offset0:85 offset1:86
	s_waitcnt vmcnt(8) lgkmcnt(1)
	v_mul_f32_e32 v156, v147, v216
	v_fma_f32 v92, v145, v213, -v92
	v_fmac_f32_e32 v156, v148, v215
	v_add_f32_e32 v91, v91, v92
	v_mul_f32_e32 v92, v148, v216
	v_add_f32_e32 v155, v155, v156
	s_waitcnt vmcnt(7)
	v_mul_f32_e32 v156, v149, v217
	v_fma_f32 v92, v147, v215, -v92
	s_waitcnt vmcnt(6)
	v_fmac_f32_e32 v156, v150, v218
	v_add_f32_e32 v91, v91, v92
	v_mul_f32_e32 v92, v150, v217
	v_add_f32_e32 v225, v155, v156
	ds_read_b64 v[155:156], v90 offset:696
	v_fma_f32 v92, v149, v218, -v92
	v_add_f32_e32 v91, v91, v92
	s_waitcnt vmcnt(4) lgkmcnt(1)
	v_mul_f32_e32 v92, v152, v220
	v_mul_f32_e32 v226, v151, v220
	v_fma_f32 v92, v151, v219, -v92
	v_fmac_f32_e32 v226, v152, v219
	v_add_f32_e32 v91, v91, v92
	s_waitcnt vmcnt(3)
	v_mul_f32_e32 v92, v154, v221
	v_add_f32_e32 v225, v225, v226
	v_mul_f32_e32 v226, v153, v221
	s_waitcnt vmcnt(2)
	v_fma_f32 v92, v153, v222, -v92
	v_fmac_f32_e32 v226, v154, v222
	v_add_f32_e32 v91, v91, v92
	s_waitcnt vmcnt(0) lgkmcnt(0)
	v_mul_f32_e32 v92, v156, v224
	v_add_f32_e32 v225, v225, v226
	v_mul_f32_e32 v226, v155, v224
	v_fma_f32 v92, v155, v223, -v92
	v_fmac_f32_e32 v226, v156, v223
	v_add_f32_e32 v91, v91, v92
	v_add_f32_e32 v225, v225, v226
	v_sub_f32_e32 v91, v176, v91
	v_sub_f32_e32 v92, v177, v225
	buffer_store_dword v91, off, s[0:3], 0 offset:80
	buffer_store_dword v92, off, s[0:3], 0 offset:84
	s_and_saveexec_b64 s[4:5], vcc
	s_cbranch_execz .LBB43_259
; %bb.258:
	buffer_load_dword v91, off, s[0:3], 0 offset:72
	buffer_load_dword v92, off, s[0:3], 0 offset:76
	s_waitcnt vmcnt(0)
	ds_write_b64 v89, v[91:92]
	buffer_store_dword v90, off, s[0:3], 0 offset:72
	buffer_store_dword v90, off, s[0:3], 0 offset:76
.LBB43_259:
	s_or_b64 exec, exec, s[4:5]
	s_waitcnt lgkmcnt(0)
	; wave barrier
	buffer_load_dword v159, off, s[0:3], 0 offset:84
	buffer_load_dword v160, off, s[0:3], 0 offset:92
	;; [unrolled: 1-line block ×24, first 2 shown]
	ds_read_b128 v[91:94], v90 offset:432
	ds_read_b128 v[95:98], v90 offset:448
	;; [unrolled: 1-line block ×6, first 2 shown]
	buffer_load_dword v183, off, s[0:3], 0 offset:172
	buffer_load_dword v184, off, s[0:3], 0 offset:168
	;; [unrolled: 1-line block ×46, first 2 shown]
	v_cmp_lt_u32_e32 vcc, 8, v0
	s_waitcnt vmcnt(62) lgkmcnt(5)
	v_mul_f32_e32 v115, v91, v159
	v_mul_f32_e32 v116, v93, v160
	s_waitcnt lgkmcnt(4)
	v_mul_f32_e32 v117, v95, v161
	v_mul_f32_e32 v118, v97, v162
	s_waitcnt lgkmcnt(3)
	;; [unrolled: 3-line block ×3, first 2 shown]
	v_mul_f32_e32 v121, v103, v165
	v_mul_f32_e32 v122, v105, v166
	s_waitcnt vmcnt(61)
	v_fmac_f32_e32 v115, v92, v167
	s_waitcnt vmcnt(60)
	v_fmac_f32_e32 v116, v94, v168
	v_add_f32_e32 v115, 0, v115
	s_waitcnt vmcnt(59)
	v_fmac_f32_e32 v117, v96, v169
	v_add_f32_e32 v115, v115, v116
	;; [unrolled: 3-line block ×7, first 2 shown]
	s_waitcnt vmcnt(53) lgkmcnt(1)
	v_mul_f32_e32 v116, v107, v175
	v_add_f32_e32 v115, v115, v122
	s_waitcnt vmcnt(52)
	v_fmac_f32_e32 v116, v108, v176
	v_mul_f32_e32 v92, v92, v159
	v_add_f32_e32 v115, v115, v116
	s_waitcnt vmcnt(51)
	v_mul_f32_e32 v116, v109, v177
	v_fma_f32 v91, v91, v167, -v92
	v_mul_f32_e32 v92, v94, v160
	s_waitcnt vmcnt(50)
	v_fmac_f32_e32 v116, v110, v178
	v_add_f32_e32 v91, 0, v91
	v_fma_f32 v92, v93, v168, -v92
	v_add_f32_e32 v115, v115, v116
	s_waitcnt vmcnt(47) lgkmcnt(0)
	v_mul_f32_e32 v116, v111, v181
	v_add_f32_e32 v91, v91, v92
	v_mul_f32_e32 v92, v96, v161
	s_waitcnt vmcnt(46)
	v_fmac_f32_e32 v116, v112, v182
	v_fma_f32 v92, v95, v169, -v92
	v_add_f32_e32 v119, v115, v116
	ds_read_b128 v[115:118], v90 offset:528
	v_add_f32_e32 v91, v91, v92
	v_mul_f32_e32 v92, v98, v162
	v_fma_f32 v92, v97, v170, -v92
	s_waitcnt vmcnt(45)
	v_mul_f32_e32 v120, v113, v183
	v_add_f32_e32 v91, v91, v92
	v_mul_f32_e32 v92, v100, v163
	s_waitcnt vmcnt(44)
	v_fmac_f32_e32 v120, v114, v184
	v_fma_f32 v92, v99, v171, -v92
	v_add_f32_e32 v123, v119, v120
	ds_read_b128 v[119:122], v90 offset:544
	v_add_f32_e32 v91, v91, v92
	v_mul_f32_e32 v92, v102, v164
	s_waitcnt vmcnt(42) lgkmcnt(1)
	v_mul_f32_e32 v124, v115, v186
	v_fma_f32 v92, v101, v172, -v92
	v_fmac_f32_e32 v124, v116, v185
	v_add_f32_e32 v91, v91, v92
	v_mul_f32_e32 v92, v104, v165
	v_add_f32_e32 v123, v123, v124
	s_waitcnt vmcnt(40)
	v_mul_f32_e32 v124, v117, v188
	v_fma_f32 v92, v103, v173, -v92
	v_fmac_f32_e32 v124, v118, v187
	v_add_f32_e32 v91, v91, v92
	v_mul_f32_e32 v92, v106, v166
	v_add_f32_e32 v123, v123, v124
	s_waitcnt vmcnt(38) lgkmcnt(0)
	v_mul_f32_e32 v124, v119, v190
	v_fma_f32 v92, v105, v174, -v92
	v_fmac_f32_e32 v124, v120, v189
	v_add_f32_e32 v91, v91, v92
	v_mul_f32_e32 v92, v108, v175
	v_add_f32_e32 v127, v123, v124
	ds_read_b128 v[123:126], v90 offset:560
	v_fma_f32 v92, v107, v176, -v92
	v_add_f32_e32 v91, v91, v92
	v_mul_f32_e32 v92, v110, v177
	s_waitcnt vmcnt(36)
	v_mul_f32_e32 v128, v121, v192
	v_fma_f32 v92, v109, v178, -v92
	v_fmac_f32_e32 v128, v122, v191
	v_add_f32_e32 v91, v91, v92
	v_mul_f32_e32 v92, v112, v181
	v_add_f32_e32 v131, v127, v128
	ds_read_b128 v[127:130], v90 offset:576
	v_fma_f32 v92, v111, v182, -v92
	s_waitcnt vmcnt(34) lgkmcnt(1)
	v_mul_f32_e32 v132, v123, v194
	v_add_f32_e32 v91, v91, v92
	v_mul_f32_e32 v92, v114, v183
	v_fmac_f32_e32 v132, v124, v193
	v_fma_f32 v92, v113, v184, -v92
	v_add_f32_e32 v131, v131, v132
	s_waitcnt vmcnt(32)
	v_mul_f32_e32 v132, v125, v196
	v_add_f32_e32 v91, v91, v92
	v_mul_f32_e32 v92, v116, v186
	v_fmac_f32_e32 v132, v126, v195
	v_fma_f32 v92, v115, v185, -v92
	v_add_f32_e32 v131, v131, v132
	s_waitcnt vmcnt(30) lgkmcnt(0)
	v_mul_f32_e32 v132, v127, v198
	v_add_f32_e32 v91, v91, v92
	v_mul_f32_e32 v92, v118, v188
	v_fmac_f32_e32 v132, v128, v197
	v_fma_f32 v92, v117, v187, -v92
	v_add_f32_e32 v135, v131, v132
	ds_read_b128 v[131:134], v90 offset:592
	v_add_f32_e32 v91, v91, v92
	v_mul_f32_e32 v92, v120, v190
	v_fma_f32 v92, v119, v189, -v92
	s_waitcnt vmcnt(28)
	v_mul_f32_e32 v136, v129, v200
	v_add_f32_e32 v91, v91, v92
	v_mul_f32_e32 v92, v122, v192
	v_fmac_f32_e32 v136, v130, v199
	v_fma_f32 v92, v121, v191, -v92
	v_add_f32_e32 v139, v135, v136
	ds_read_b128 v[135:138], v90 offset:608
	v_add_f32_e32 v91, v91, v92
	v_mul_f32_e32 v92, v124, v194
	s_waitcnt vmcnt(26) lgkmcnt(1)
	v_mul_f32_e32 v140, v131, v202
	v_fma_f32 v92, v123, v193, -v92
	v_fmac_f32_e32 v140, v132, v201
	v_add_f32_e32 v91, v91, v92
	v_mul_f32_e32 v92, v126, v196
	v_add_f32_e32 v139, v139, v140
	s_waitcnt vmcnt(24)
	v_mul_f32_e32 v140, v133, v204
	v_fma_f32 v92, v125, v195, -v92
	v_fmac_f32_e32 v140, v134, v203
	v_add_f32_e32 v91, v91, v92
	v_mul_f32_e32 v92, v128, v198
	v_add_f32_e32 v139, v139, v140
	s_waitcnt vmcnt(22) lgkmcnt(0)
	v_mul_f32_e32 v140, v135, v206
	v_fma_f32 v92, v127, v197, -v92
	v_fmac_f32_e32 v140, v136, v205
	v_add_f32_e32 v91, v91, v92
	v_mul_f32_e32 v92, v130, v200
	v_add_f32_e32 v143, v139, v140
	ds_read_b128 v[139:142], v90 offset:624
	v_fma_f32 v92, v129, v199, -v92
	v_add_f32_e32 v91, v91, v92
	v_mul_f32_e32 v92, v132, v202
	s_waitcnt vmcnt(20)
	v_mul_f32_e32 v144, v137, v208
	v_fma_f32 v92, v131, v201, -v92
	v_fmac_f32_e32 v144, v138, v207
	v_add_f32_e32 v91, v91, v92
	v_mul_f32_e32 v92, v134, v204
	v_add_f32_e32 v147, v143, v144
	ds_read_b128 v[143:146], v90 offset:640
	v_fma_f32 v92, v133, v203, -v92
	s_waitcnt vmcnt(18) lgkmcnt(1)
	v_mul_f32_e32 v148, v139, v210
	v_add_f32_e32 v91, v91, v92
	v_mul_f32_e32 v92, v136, v206
	v_fmac_f32_e32 v148, v140, v209
	v_fma_f32 v92, v135, v205, -v92
	v_add_f32_e32 v147, v147, v148
	s_waitcnt vmcnt(16)
	v_mul_f32_e32 v148, v141, v212
	v_add_f32_e32 v91, v91, v92
	v_mul_f32_e32 v92, v138, v208
	v_fmac_f32_e32 v148, v142, v211
	v_fma_f32 v92, v137, v207, -v92
	v_add_f32_e32 v147, v147, v148
	s_waitcnt vmcnt(14) lgkmcnt(0)
	v_mul_f32_e32 v148, v143, v214
	v_add_f32_e32 v91, v91, v92
	v_mul_f32_e32 v92, v140, v210
	v_fmac_f32_e32 v148, v144, v213
	v_fma_f32 v92, v139, v209, -v92
	v_add_f32_e32 v151, v147, v148
	ds_read_b128 v[147:150], v90 offset:656
	v_add_f32_e32 v91, v91, v92
	v_mul_f32_e32 v92, v142, v212
	v_fma_f32 v92, v141, v211, -v92
	v_add_f32_e32 v91, v91, v92
	v_mul_f32_e32 v92, v144, v214
	s_waitcnt vmcnt(12)
	v_mul_f32_e32 v152, v145, v216
	v_fma_f32 v92, v143, v213, -v92
	v_fmac_f32_e32 v152, v146, v215
	v_add_f32_e32 v91, v91, v92
	v_mul_f32_e32 v92, v146, v216
	v_add_f32_e32 v155, v151, v152
	ds_read_b128 v[151:154], v90 offset:672
	s_waitcnt vmcnt(10) lgkmcnt(1)
	v_mul_f32_e32 v156, v147, v218
	v_fma_f32 v92, v145, v215, -v92
	v_fmac_f32_e32 v156, v148, v217
	v_add_f32_e32 v91, v91, v92
	v_mul_f32_e32 v92, v148, v218
	v_add_f32_e32 v155, v155, v156
	s_waitcnt vmcnt(9)
	v_mul_f32_e32 v156, v149, v219
	v_fma_f32 v92, v147, v217, -v92
	s_waitcnt vmcnt(8)
	v_fmac_f32_e32 v156, v150, v220
	v_add_f32_e32 v91, v91, v92
	v_mul_f32_e32 v92, v150, v219
	v_add_f32_e32 v229, v155, v156
	ds_read_b128 v[155:158], v90 offset:688
	v_fma_f32 v92, v149, v220, -v92
	v_add_f32_e32 v91, v91, v92
	s_waitcnt vmcnt(6) lgkmcnt(1)
	v_mul_f32_e32 v92, v152, v222
	v_mul_f32_e32 v230, v151, v222
	v_fma_f32 v92, v151, v221, -v92
	v_fmac_f32_e32 v230, v152, v221
	v_add_f32_e32 v91, v91, v92
	s_waitcnt vmcnt(4)
	v_mul_f32_e32 v92, v154, v224
	v_add_f32_e32 v90, v229, v230
	v_mul_f32_e32 v229, v153, v224
	v_fma_f32 v92, v153, v223, -v92
	v_fmac_f32_e32 v229, v154, v223
	v_add_f32_e32 v91, v91, v92
	s_waitcnt vmcnt(3) lgkmcnt(0)
	v_mul_f32_e32 v92, v156, v225
	v_add_f32_e32 v90, v90, v229
	v_mul_f32_e32 v229, v155, v225
	s_waitcnt vmcnt(2)
	v_fma_f32 v92, v155, v226, -v92
	v_fmac_f32_e32 v229, v156, v226
	v_add_f32_e32 v91, v91, v92
	s_waitcnt vmcnt(0)
	v_mul_f32_e32 v92, v158, v228
	v_add_f32_e32 v90, v90, v229
	v_mul_f32_e32 v229, v157, v228
	v_fma_f32 v92, v157, v227, -v92
	v_fmac_f32_e32 v229, v158, v227
	v_add_f32_e32 v91, v91, v92
	v_add_f32_e32 v90, v90, v229
	v_sub_f32_e32 v91, v179, v91
	v_sub_f32_e32 v90, v180, v90
	buffer_store_dword v91, off, s[0:3], 0 offset:72
	buffer_store_dword v90, off, s[0:3], 0 offset:76
	s_and_saveexec_b64 s[4:5], vcc
	s_cbranch_execz .LBB43_261
; %bb.260:
	buffer_load_dword v90, off, s[0:3], 0 offset:64
	buffer_load_dword v91, off, s[0:3], 0 offset:68
	v_mov_b32_e32 v92, 0
	buffer_store_dword v92, off, s[0:3], 0 offset:64
	buffer_store_dword v92, off, s[0:3], 0 offset:68
	s_waitcnt vmcnt(2)
	ds_write_b64 v89, v[90:91]
.LBB43_261:
	s_or_b64 exec, exec, s[4:5]
	s_waitcnt lgkmcnt(0)
	; wave barrier
	buffer_load_dword v161, off, s[0:3], 0 offset:76
	buffer_load_dword v162, off, s[0:3], 0 offset:84
	buffer_load_dword v163, off, s[0:3], 0 offset:92
	buffer_load_dword v164, off, s[0:3], 0 offset:100
	buffer_load_dword v165, off, s[0:3], 0 offset:108
	buffer_load_dword v166, off, s[0:3], 0 offset:116
	buffer_load_dword v167, off, s[0:3], 0 offset:124
	buffer_load_dword v168, off, s[0:3], 0 offset:132
	buffer_load_dword v169, off, s[0:3], 0 offset:140
	buffer_load_dword v170, off, s[0:3], 0 offset:72
	buffer_load_dword v171, off, s[0:3], 0 offset:80
	buffer_load_dword v172, off, s[0:3], 0 offset:88
	buffer_load_dword v173, off, s[0:3], 0 offset:96
	buffer_load_dword v174, off, s[0:3], 0 offset:104
	buffer_load_dword v175, off, s[0:3], 0 offset:112
	buffer_load_dword v176, off, s[0:3], 0 offset:120
	buffer_load_dword v177, off, s[0:3], 0 offset:128
	buffer_load_dword v178, off, s[0:3], 0 offset:136
	buffer_load_dword v179, off, s[0:3], 0 offset:148
	buffer_load_dword v180, off, s[0:3], 0 offset:144
	buffer_load_dword v181, off, s[0:3], 0 offset:156
	buffer_load_dword v182, off, s[0:3], 0 offset:64
	buffer_load_dword v183, off, s[0:3], 0 offset:68
	buffer_load_dword v184, off, s[0:3], 0 offset:152
	buffer_load_dword v185, off, s[0:3], 0 offset:160
	buffer_load_dword v186, off, s[0:3], 0 offset:164
	buffer_load_dword v187, off, s[0:3], 0 offset:168
	buffer_load_dword v188, off, s[0:3], 0 offset:172
	buffer_load_dword v189, off, s[0:3], 0 offset:176
	buffer_load_dword v190, off, s[0:3], 0 offset:180
	buffer_load_dword v191, off, s[0:3], 0 offset:184
	buffer_load_dword v192, off, s[0:3], 0 offset:188
	buffer_load_dword v193, off, s[0:3], 0 offset:192
	buffer_load_dword v194, off, s[0:3], 0 offset:196
	buffer_load_dword v195, off, s[0:3], 0 offset:200
	buffer_load_dword v196, off, s[0:3], 0 offset:204
	buffer_load_dword v197, off, s[0:3], 0 offset:208
	buffer_load_dword v198, off, s[0:3], 0 offset:212
	buffer_load_dword v199, off, s[0:3], 0 offset:216
	buffer_load_dword v200, off, s[0:3], 0 offset:220
	buffer_load_dword v201, off, s[0:3], 0 offset:224
	buffer_load_dword v202, off, s[0:3], 0 offset:228
	buffer_load_dword v203, off, s[0:3], 0 offset:232
	buffer_load_dword v204, off, s[0:3], 0 offset:236
	buffer_load_dword v205, off, s[0:3], 0 offset:240
	buffer_load_dword v206, off, s[0:3], 0 offset:244
	buffer_load_dword v207, off, s[0:3], 0 offset:248
	buffer_load_dword v208, off, s[0:3], 0 offset:252
	buffer_load_dword v209, off, s[0:3], 0 offset:256
	buffer_load_dword v210, off, s[0:3], 0 offset:260
	buffer_load_dword v211, off, s[0:3], 0 offset:264
	buffer_load_dword v212, off, s[0:3], 0 offset:268
	buffer_load_dword v213, off, s[0:3], 0 offset:272
	buffer_load_dword v214, off, s[0:3], 0 offset:276
	buffer_load_dword v215, off, s[0:3], 0 offset:280
	buffer_load_dword v216, off, s[0:3], 0 offset:284
	v_mov_b32_e32 v90, 0
	ds_read2_b64 v[91:94], v90 offset0:53 offset1:54
	ds_read2_b64 v[95:98], v90 offset0:55 offset1:56
	ds_read2_b64 v[99:102], v90 offset0:57 offset1:58
	ds_read2_b64 v[103:106], v90 offset0:59 offset1:60
	ds_read2_b64 v[107:110], v90 offset0:61 offset1:62
	ds_read2_b64 v[111:114], v90 offset0:63 offset1:64
	buffer_load_dword v217, off, s[0:3], 0 offset:288
	buffer_load_dword v218, off, s[0:3], 0 offset:292
	;; [unrolled: 1-line block ×12, first 2 shown]
	v_cmp_lt_u32_e32 vcc, 7, v0
	s_waitcnt vmcnt(62) lgkmcnt(5)
	v_mul_f32_e32 v115, v91, v161
	v_mul_f32_e32 v116, v93, v162
	s_waitcnt lgkmcnt(4)
	v_mul_f32_e32 v117, v95, v163
	v_mul_f32_e32 v118, v97, v164
	s_waitcnt lgkmcnt(3)
	v_mul_f32_e32 v119, v99, v165
	v_mul_f32_e32 v120, v101, v166
	s_waitcnt vmcnt(61) lgkmcnt(2)
	v_mul_f32_e32 v121, v103, v167
	s_waitcnt vmcnt(60)
	v_mul_f32_e32 v122, v105, v168
	s_waitcnt vmcnt(59) lgkmcnt(1)
	v_mul_f32_e32 v123, v107, v169
	s_waitcnt vmcnt(58)
	v_fmac_f32_e32 v115, v92, v170
	s_waitcnt vmcnt(57)
	v_fmac_f32_e32 v116, v94, v171
	v_add_f32_e32 v115, 0, v115
	s_waitcnt vmcnt(56)
	v_fmac_f32_e32 v117, v96, v172
	v_add_f32_e32 v115, v115, v116
	;; [unrolled: 3-line block ×7, first 2 shown]
	v_add_f32_e32 v115, v115, v122
	s_waitcnt vmcnt(50)
	v_fmac_f32_e32 v123, v108, v178
	s_waitcnt vmcnt(49)
	v_mul_f32_e32 v116, v109, v179
	v_add_f32_e32 v115, v115, v123
	s_waitcnt vmcnt(48)
	v_fmac_f32_e32 v116, v110, v180
	v_add_f32_e32 v115, v115, v116
	s_waitcnt vmcnt(47) lgkmcnt(0)
	v_mul_f32_e32 v116, v111, v181
	s_waitcnt vmcnt(44)
	v_fmac_f32_e32 v116, v112, v184
	v_add_f32_e32 v119, v115, v116
	ds_read2_b64 v[115:118], v90 offset0:65 offset1:66
	buffer_load_dword v229, off, s[0:3], 0 offset:340
	buffer_load_dword v230, off, s[0:3], 0 offset:336
	;; [unrolled: 1-line block ×4, first 2 shown]
	v_mul_f32_e32 v92, v92, v161
	v_fma_f32 v91, v91, v170, -v92
	v_mul_f32_e32 v92, v94, v162
	v_add_f32_e32 v91, 0, v91
	v_fma_f32 v92, v93, v171, -v92
	v_add_f32_e32 v91, v91, v92
	v_mul_f32_e32 v92, v96, v163
	v_fma_f32 v92, v95, v172, -v92
	s_waitcnt vmcnt(46)
	v_mul_f32_e32 v120, v113, v186
	v_add_f32_e32 v91, v91, v92
	v_mul_f32_e32 v92, v98, v164
	v_fmac_f32_e32 v120, v114, v185
	v_fma_f32 v92, v97, v173, -v92
	v_add_f32_e32 v123, v119, v120
	ds_read2_b64 v[119:122], v90 offset0:67 offset1:68
	v_add_f32_e32 v91, v91, v92
	v_mul_f32_e32 v92, v100, v165
	s_waitcnt vmcnt(44) lgkmcnt(1)
	v_mul_f32_e32 v124, v115, v188
	v_fma_f32 v92, v99, v174, -v92
	v_fmac_f32_e32 v124, v116, v187
	v_add_f32_e32 v91, v91, v92
	v_mul_f32_e32 v92, v102, v166
	v_add_f32_e32 v123, v123, v124
	s_waitcnt vmcnt(42)
	v_mul_f32_e32 v124, v117, v190
	v_fma_f32 v92, v101, v175, -v92
	v_fmac_f32_e32 v124, v118, v189
	v_add_f32_e32 v91, v91, v92
	v_mul_f32_e32 v92, v104, v167
	v_add_f32_e32 v123, v123, v124
	s_waitcnt vmcnt(40) lgkmcnt(0)
	v_mul_f32_e32 v124, v119, v192
	v_fma_f32 v92, v103, v176, -v92
	v_fmac_f32_e32 v124, v120, v191
	v_add_f32_e32 v91, v91, v92
	v_mul_f32_e32 v92, v106, v168
	v_add_f32_e32 v127, v123, v124
	ds_read2_b64 v[123:126], v90 offset0:69 offset1:70
	v_fma_f32 v92, v105, v177, -v92
	v_add_f32_e32 v91, v91, v92
	v_mul_f32_e32 v92, v108, v169
	s_waitcnt vmcnt(38)
	v_mul_f32_e32 v128, v121, v194
	v_fma_f32 v92, v107, v178, -v92
	v_fmac_f32_e32 v128, v122, v193
	v_add_f32_e32 v91, v91, v92
	v_mul_f32_e32 v92, v110, v179
	v_add_f32_e32 v131, v127, v128
	ds_read2_b64 v[127:130], v90 offset0:71 offset1:72
	v_fma_f32 v92, v109, v180, -v92
	s_waitcnt vmcnt(36) lgkmcnt(1)
	v_mul_f32_e32 v132, v123, v196
	v_add_f32_e32 v91, v91, v92
	v_mul_f32_e32 v92, v112, v181
	v_fmac_f32_e32 v132, v124, v195
	v_fma_f32 v92, v111, v184, -v92
	v_add_f32_e32 v131, v131, v132
	s_waitcnt vmcnt(34)
	v_mul_f32_e32 v132, v125, v198
	v_add_f32_e32 v91, v91, v92
	v_mul_f32_e32 v92, v114, v186
	v_fmac_f32_e32 v132, v126, v197
	v_fma_f32 v92, v113, v185, -v92
	v_add_f32_e32 v131, v131, v132
	s_waitcnt vmcnt(32) lgkmcnt(0)
	v_mul_f32_e32 v132, v127, v200
	v_add_f32_e32 v91, v91, v92
	v_mul_f32_e32 v92, v116, v188
	v_fmac_f32_e32 v132, v128, v199
	v_fma_f32 v92, v115, v187, -v92
	v_add_f32_e32 v135, v131, v132
	ds_read2_b64 v[131:134], v90 offset0:73 offset1:74
	v_add_f32_e32 v91, v91, v92
	v_mul_f32_e32 v92, v118, v190
	v_fma_f32 v92, v117, v189, -v92
	s_waitcnt vmcnt(30)
	v_mul_f32_e32 v136, v129, v202
	v_add_f32_e32 v91, v91, v92
	v_mul_f32_e32 v92, v120, v192
	v_fmac_f32_e32 v136, v130, v201
	v_fma_f32 v92, v119, v191, -v92
	v_add_f32_e32 v139, v135, v136
	ds_read2_b64 v[135:138], v90 offset0:75 offset1:76
	v_add_f32_e32 v91, v91, v92
	v_mul_f32_e32 v92, v122, v194
	s_waitcnt vmcnt(28) lgkmcnt(1)
	v_mul_f32_e32 v140, v131, v204
	v_fma_f32 v92, v121, v193, -v92
	v_fmac_f32_e32 v140, v132, v203
	v_add_f32_e32 v91, v91, v92
	v_mul_f32_e32 v92, v124, v196
	v_add_f32_e32 v139, v139, v140
	s_waitcnt vmcnt(26)
	v_mul_f32_e32 v140, v133, v206
	v_fma_f32 v92, v123, v195, -v92
	v_fmac_f32_e32 v140, v134, v205
	v_add_f32_e32 v91, v91, v92
	v_mul_f32_e32 v92, v126, v198
	v_add_f32_e32 v139, v139, v140
	s_waitcnt vmcnt(24) lgkmcnt(0)
	v_mul_f32_e32 v140, v135, v208
	v_fma_f32 v92, v125, v197, -v92
	v_fmac_f32_e32 v140, v136, v207
	v_add_f32_e32 v91, v91, v92
	v_mul_f32_e32 v92, v128, v200
	v_add_f32_e32 v143, v139, v140
	ds_read2_b64 v[139:142], v90 offset0:77 offset1:78
	v_fma_f32 v92, v127, v199, -v92
	v_add_f32_e32 v91, v91, v92
	v_mul_f32_e32 v92, v130, v202
	s_waitcnt vmcnt(22)
	v_mul_f32_e32 v144, v137, v210
	v_fma_f32 v92, v129, v201, -v92
	v_fmac_f32_e32 v144, v138, v209
	v_add_f32_e32 v91, v91, v92
	v_mul_f32_e32 v92, v132, v204
	v_add_f32_e32 v147, v143, v144
	ds_read2_b64 v[143:146], v90 offset0:79 offset1:80
	v_fma_f32 v92, v131, v203, -v92
	s_waitcnt vmcnt(20) lgkmcnt(1)
	v_mul_f32_e32 v148, v139, v212
	v_add_f32_e32 v91, v91, v92
	v_mul_f32_e32 v92, v134, v206
	v_fmac_f32_e32 v148, v140, v211
	v_fma_f32 v92, v133, v205, -v92
	v_add_f32_e32 v147, v147, v148
	s_waitcnt vmcnt(18)
	v_mul_f32_e32 v148, v141, v214
	v_add_f32_e32 v91, v91, v92
	v_mul_f32_e32 v92, v136, v208
	v_fmac_f32_e32 v148, v142, v213
	v_fma_f32 v92, v135, v207, -v92
	v_add_f32_e32 v147, v147, v148
	s_waitcnt vmcnt(16) lgkmcnt(0)
	v_mul_f32_e32 v148, v143, v216
	v_add_f32_e32 v91, v91, v92
	v_mul_f32_e32 v92, v138, v210
	v_fmac_f32_e32 v148, v144, v215
	v_fma_f32 v92, v137, v209, -v92
	v_add_f32_e32 v151, v147, v148
	ds_read2_b64 v[147:150], v90 offset0:81 offset1:82
	v_add_f32_e32 v91, v91, v92
	v_mul_f32_e32 v92, v140, v212
	v_fma_f32 v92, v139, v211, -v92
	s_waitcnt vmcnt(14)
	v_mul_f32_e32 v152, v145, v218
	v_add_f32_e32 v91, v91, v92
	v_mul_f32_e32 v92, v142, v214
	v_fmac_f32_e32 v152, v146, v217
	v_fma_f32 v92, v141, v213, -v92
	v_add_f32_e32 v155, v151, v152
	ds_read2_b64 v[151:154], v90 offset0:83 offset1:84
	v_add_f32_e32 v91, v91, v92
	v_mul_f32_e32 v92, v144, v216
	s_waitcnt vmcnt(12) lgkmcnt(1)
	v_mul_f32_e32 v156, v147, v220
	v_fma_f32 v92, v143, v215, -v92
	v_fmac_f32_e32 v156, v148, v219
	v_add_f32_e32 v91, v91, v92
	v_mul_f32_e32 v92, v146, v218
	v_add_f32_e32 v155, v155, v156
	s_waitcnt vmcnt(11)
	v_mul_f32_e32 v156, v149, v221
	v_fma_f32 v92, v145, v217, -v92
	s_waitcnt vmcnt(10)
	v_fmac_f32_e32 v156, v150, v222
	v_add_f32_e32 v91, v91, v92
	v_mul_f32_e32 v92, v148, v220
	v_add_f32_e32 v155, v155, v156
	s_waitcnt vmcnt(8) lgkmcnt(0)
	v_mul_f32_e32 v156, v151, v224
	v_fma_f32 v92, v147, v219, -v92
	v_fmac_f32_e32 v156, v152, v223
	v_add_f32_e32 v91, v91, v92
	v_mul_f32_e32 v92, v150, v221
	v_add_f32_e32 v159, v155, v156
	ds_read2_b64 v[155:158], v90 offset0:85 offset1:86
	v_fma_f32 v92, v149, v222, -v92
	v_add_f32_e32 v91, v91, v92
	v_mul_f32_e32 v92, v152, v224
	s_waitcnt vmcnt(6)
	v_mul_f32_e32 v160, v153, v226
	v_fma_f32 v92, v151, v223, -v92
	v_fmac_f32_e32 v160, v154, v225
	v_add_f32_e32 v91, v91, v92
	v_mul_f32_e32 v92, v154, v226
	v_add_f32_e32 v233, v159, v160
	ds_read_b64 v[159:160], v90 offset:696
	v_fma_f32 v92, v153, v225, -v92
	v_add_f32_e32 v91, v91, v92
	s_waitcnt vmcnt(4) lgkmcnt(1)
	v_mul_f32_e32 v92, v156, v228
	v_mul_f32_e32 v234, v155, v228
	v_fma_f32 v92, v155, v227, -v92
	v_fmac_f32_e32 v234, v156, v227
	v_add_f32_e32 v91, v91, v92
	s_waitcnt vmcnt(3)
	v_mul_f32_e32 v92, v158, v229
	v_add_f32_e32 v233, v233, v234
	v_mul_f32_e32 v234, v157, v229
	s_waitcnt vmcnt(2)
	v_fma_f32 v92, v157, v230, -v92
	v_fmac_f32_e32 v234, v158, v230
	v_add_f32_e32 v91, v91, v92
	s_waitcnt vmcnt(0) lgkmcnt(0)
	v_mul_f32_e32 v92, v160, v232
	v_add_f32_e32 v233, v233, v234
	v_mul_f32_e32 v234, v159, v232
	v_fma_f32 v92, v159, v231, -v92
	v_fmac_f32_e32 v234, v160, v231
	v_add_f32_e32 v91, v91, v92
	v_add_f32_e32 v233, v233, v234
	v_sub_f32_e32 v91, v182, v91
	v_sub_f32_e32 v92, v183, v233
	buffer_store_dword v91, off, s[0:3], 0 offset:64
	buffer_store_dword v92, off, s[0:3], 0 offset:68
	s_and_saveexec_b64 s[4:5], vcc
	s_cbranch_execz .LBB43_263
; %bb.262:
	buffer_load_dword v91, off, s[0:3], 0 offset:56
	buffer_load_dword v92, off, s[0:3], 0 offset:60
	s_waitcnt vmcnt(0)
	ds_write_b64 v89, v[91:92]
	buffer_store_dword v90, off, s[0:3], 0 offset:56
	buffer_store_dword v90, off, s[0:3], 0 offset:60
.LBB43_263:
	s_or_b64 exec, exec, s[4:5]
	s_waitcnt lgkmcnt(0)
	; wave barrier
	buffer_load_dword v163, off, s[0:3], 0 offset:68
	buffer_load_dword v164, off, s[0:3], 0 offset:76
	;; [unrolled: 1-line block ×26, first 2 shown]
	ds_read_b128 v[91:94], v90 offset:416
	ds_read_b128 v[95:98], v90 offset:432
	;; [unrolled: 1-line block ×6, first 2 shown]
	buffer_load_dword v189, off, s[0:3], 0 offset:160
	buffer_load_dword v190, off, s[0:3], 0 offset:164
	;; [unrolled: 1-line block ×42, first 2 shown]
	v_cmp_lt_u32_e32 vcc, 6, v0
	s_waitcnt vmcnt(62) lgkmcnt(5)
	v_mul_f32_e32 v115, v91, v163
	v_mul_f32_e32 v116, v93, v164
	s_waitcnt lgkmcnt(4)
	v_mul_f32_e32 v117, v95, v165
	v_mul_f32_e32 v118, v97, v166
	s_waitcnt lgkmcnt(3)
	v_mul_f32_e32 v119, v99, v167
	v_mul_f32_e32 v120, v101, v168
	s_waitcnt vmcnt(61) lgkmcnt(2)
	v_mul_f32_e32 v121, v103, v169
	s_waitcnt vmcnt(60)
	v_mul_f32_e32 v122, v105, v170
	s_waitcnt vmcnt(59) lgkmcnt(1)
	v_mul_f32_e32 v123, v107, v171
	s_waitcnt vmcnt(58)
	v_fmac_f32_e32 v115, v92, v172
	s_waitcnt vmcnt(57)
	v_fmac_f32_e32 v116, v94, v173
	v_add_f32_e32 v115, 0, v115
	s_waitcnt vmcnt(56)
	v_fmac_f32_e32 v117, v96, v174
	v_add_f32_e32 v115, v115, v116
	;; [unrolled: 3-line block ×8, first 2 shown]
	s_waitcnt vmcnt(49)
	v_mul_f32_e32 v116, v109, v181
	v_add_f32_e32 v115, v115, v123
	s_waitcnt vmcnt(48)
	v_fmac_f32_e32 v116, v110, v182
	v_add_f32_e32 v115, v115, v116
	s_waitcnt vmcnt(47) lgkmcnt(0)
	v_mul_f32_e32 v116, v111, v183
	s_waitcnt vmcnt(46)
	v_fmac_f32_e32 v116, v112, v184
	v_add_f32_e32 v115, v115, v116
	s_waitcnt vmcnt(42)
	v_mul_f32_e32 v116, v113, v188
	v_fmac_f32_e32 v116, v114, v187
	v_add_f32_e32 v123, v115, v116
	ds_read_b128 v[115:118], v90 offset:512
	buffer_load_dword v231, off, s[0:3], 0 offset:332
	buffer_load_dword v232, off, s[0:3], 0 offset:328
	;; [unrolled: 1-line block ×4, first 2 shown]
	ds_read_b128 v[119:122], v90 offset:528
	buffer_load_dword v235, off, s[0:3], 0 offset:344
	buffer_load_dword v236, off, s[0:3], 0 offset:348
	v_mul_f32_e32 v92, v92, v163
	v_fma_f32 v91, v91, v172, -v92
	v_mul_f32_e32 v92, v94, v164
	v_add_f32_e32 v91, 0, v91
	v_fma_f32 v92, v93, v173, -v92
	v_add_f32_e32 v91, v91, v92
	v_mul_f32_e32 v92, v96, v165
	v_fma_f32 v92, v95, v174, -v92
	v_add_f32_e32 v91, v91, v92
	v_mul_f32_e32 v92, v98, v166
	;; [unrolled: 3-line block ×3, first 2 shown]
	s_waitcnt vmcnt(46) lgkmcnt(1)
	v_mul_f32_e32 v124, v115, v190
	v_fma_f32 v92, v99, v176, -v92
	v_fmac_f32_e32 v124, v116, v189
	v_add_f32_e32 v91, v91, v92
	v_mul_f32_e32 v92, v102, v168
	v_add_f32_e32 v123, v123, v124
	s_waitcnt vmcnt(44)
	v_mul_f32_e32 v124, v117, v192
	v_fma_f32 v92, v101, v177, -v92
	v_fmac_f32_e32 v124, v118, v191
	v_add_f32_e32 v91, v91, v92
	v_mul_f32_e32 v92, v104, v169
	v_add_f32_e32 v123, v123, v124
	s_waitcnt vmcnt(42) lgkmcnt(0)
	v_mul_f32_e32 v124, v119, v194
	v_fma_f32 v92, v103, v178, -v92
	v_fmac_f32_e32 v124, v120, v193
	v_add_f32_e32 v91, v91, v92
	v_mul_f32_e32 v92, v106, v170
	v_add_f32_e32 v127, v123, v124
	ds_read_b128 v[123:126], v90 offset:544
	v_fma_f32 v92, v105, v179, -v92
	v_add_f32_e32 v91, v91, v92
	v_mul_f32_e32 v92, v108, v171
	s_waitcnt vmcnt(40)
	v_mul_f32_e32 v128, v121, v196
	v_fma_f32 v92, v107, v180, -v92
	v_fmac_f32_e32 v128, v122, v195
	v_add_f32_e32 v91, v91, v92
	v_mul_f32_e32 v92, v110, v181
	v_add_f32_e32 v131, v127, v128
	ds_read_b128 v[127:130], v90 offset:560
	v_fma_f32 v92, v109, v182, -v92
	s_waitcnt vmcnt(38) lgkmcnt(1)
	v_mul_f32_e32 v132, v123, v198
	v_add_f32_e32 v91, v91, v92
	v_mul_f32_e32 v92, v112, v183
	v_fmac_f32_e32 v132, v124, v197
	v_fma_f32 v92, v111, v184, -v92
	v_add_f32_e32 v131, v131, v132
	s_waitcnt vmcnt(36)
	v_mul_f32_e32 v132, v125, v200
	v_add_f32_e32 v91, v91, v92
	v_mul_f32_e32 v92, v114, v188
	v_fmac_f32_e32 v132, v126, v199
	v_fma_f32 v92, v113, v187, -v92
	v_add_f32_e32 v131, v131, v132
	s_waitcnt vmcnt(34) lgkmcnt(0)
	v_mul_f32_e32 v132, v127, v202
	v_add_f32_e32 v91, v91, v92
	v_mul_f32_e32 v92, v116, v190
	v_fmac_f32_e32 v132, v128, v201
	v_fma_f32 v92, v115, v189, -v92
	v_add_f32_e32 v135, v131, v132
	ds_read_b128 v[131:134], v90 offset:576
	v_add_f32_e32 v91, v91, v92
	v_mul_f32_e32 v92, v118, v192
	v_fma_f32 v92, v117, v191, -v92
	s_waitcnt vmcnt(32)
	v_mul_f32_e32 v136, v129, v204
	v_add_f32_e32 v91, v91, v92
	v_mul_f32_e32 v92, v120, v194
	v_fmac_f32_e32 v136, v130, v203
	v_fma_f32 v92, v119, v193, -v92
	v_add_f32_e32 v139, v135, v136
	ds_read_b128 v[135:138], v90 offset:592
	v_add_f32_e32 v91, v91, v92
	v_mul_f32_e32 v92, v122, v196
	s_waitcnt vmcnt(30) lgkmcnt(1)
	v_mul_f32_e32 v140, v131, v206
	v_fma_f32 v92, v121, v195, -v92
	v_fmac_f32_e32 v140, v132, v205
	v_add_f32_e32 v91, v91, v92
	v_mul_f32_e32 v92, v124, v198
	v_add_f32_e32 v139, v139, v140
	s_waitcnt vmcnt(28)
	v_mul_f32_e32 v140, v133, v208
	v_fma_f32 v92, v123, v197, -v92
	v_fmac_f32_e32 v140, v134, v207
	v_add_f32_e32 v91, v91, v92
	v_mul_f32_e32 v92, v126, v200
	v_add_f32_e32 v139, v139, v140
	s_waitcnt vmcnt(26) lgkmcnt(0)
	v_mul_f32_e32 v140, v135, v210
	v_fma_f32 v92, v125, v199, -v92
	v_fmac_f32_e32 v140, v136, v209
	v_add_f32_e32 v91, v91, v92
	v_mul_f32_e32 v92, v128, v202
	v_add_f32_e32 v143, v139, v140
	ds_read_b128 v[139:142], v90 offset:608
	v_fma_f32 v92, v127, v201, -v92
	v_add_f32_e32 v91, v91, v92
	v_mul_f32_e32 v92, v130, v204
	s_waitcnt vmcnt(24)
	v_mul_f32_e32 v144, v137, v212
	v_fma_f32 v92, v129, v203, -v92
	v_fmac_f32_e32 v144, v138, v211
	v_add_f32_e32 v91, v91, v92
	v_mul_f32_e32 v92, v132, v206
	v_add_f32_e32 v147, v143, v144
	ds_read_b128 v[143:146], v90 offset:624
	v_fma_f32 v92, v131, v205, -v92
	s_waitcnt vmcnt(22) lgkmcnt(1)
	v_mul_f32_e32 v148, v139, v214
	v_add_f32_e32 v91, v91, v92
	v_mul_f32_e32 v92, v134, v208
	v_fmac_f32_e32 v148, v140, v213
	v_fma_f32 v92, v133, v207, -v92
	v_add_f32_e32 v147, v147, v148
	s_waitcnt vmcnt(20)
	v_mul_f32_e32 v148, v141, v216
	v_add_f32_e32 v91, v91, v92
	v_mul_f32_e32 v92, v136, v210
	v_fmac_f32_e32 v148, v142, v215
	v_fma_f32 v92, v135, v209, -v92
	v_add_f32_e32 v147, v147, v148
	s_waitcnt vmcnt(18) lgkmcnt(0)
	v_mul_f32_e32 v148, v143, v218
	v_add_f32_e32 v91, v91, v92
	v_mul_f32_e32 v92, v138, v212
	v_fmac_f32_e32 v148, v144, v217
	v_fma_f32 v92, v137, v211, -v92
	v_add_f32_e32 v151, v147, v148
	ds_read_b128 v[147:150], v90 offset:640
	v_add_f32_e32 v91, v91, v92
	v_mul_f32_e32 v92, v140, v214
	v_fma_f32 v92, v139, v213, -v92
	s_waitcnt vmcnt(16)
	v_mul_f32_e32 v152, v145, v220
	v_add_f32_e32 v91, v91, v92
	v_mul_f32_e32 v92, v142, v216
	v_fmac_f32_e32 v152, v146, v219
	v_fma_f32 v92, v141, v215, -v92
	v_add_f32_e32 v155, v151, v152
	ds_read_b128 v[151:154], v90 offset:656
	v_add_f32_e32 v91, v91, v92
	v_mul_f32_e32 v92, v144, v218
	s_waitcnt vmcnt(14) lgkmcnt(1)
	v_mul_f32_e32 v156, v147, v222
	v_fma_f32 v92, v143, v217, -v92
	v_fmac_f32_e32 v156, v148, v221
	v_add_f32_e32 v91, v91, v92
	v_mul_f32_e32 v92, v146, v220
	v_add_f32_e32 v155, v155, v156
	s_waitcnt vmcnt(13)
	v_mul_f32_e32 v156, v149, v223
	v_fma_f32 v92, v145, v219, -v92
	s_waitcnt vmcnt(12)
	v_fmac_f32_e32 v156, v150, v224
	v_add_f32_e32 v91, v91, v92
	v_mul_f32_e32 v92, v148, v222
	v_add_f32_e32 v155, v155, v156
	s_waitcnt vmcnt(10) lgkmcnt(0)
	v_mul_f32_e32 v156, v151, v226
	v_fma_f32 v92, v147, v221, -v92
	v_fmac_f32_e32 v156, v152, v225
	v_add_f32_e32 v91, v91, v92
	v_mul_f32_e32 v92, v150, v223
	v_add_f32_e32 v159, v155, v156
	ds_read_b128 v[155:158], v90 offset:672
	v_fma_f32 v92, v149, v224, -v92
	v_add_f32_e32 v91, v91, v92
	v_mul_f32_e32 v92, v152, v226
	s_waitcnt vmcnt(8)
	v_mul_f32_e32 v160, v153, v228
	v_fma_f32 v92, v151, v225, -v92
	v_fmac_f32_e32 v160, v154, v227
	v_add_f32_e32 v91, v91, v92
	v_mul_f32_e32 v92, v154, v228
	v_add_f32_e32 v237, v159, v160
	ds_read_b128 v[159:162], v90 offset:688
	v_fma_f32 v92, v153, v227, -v92
	v_add_f32_e32 v91, v91, v92
	s_waitcnt vmcnt(6) lgkmcnt(1)
	v_mul_f32_e32 v92, v156, v230
	v_mul_f32_e32 v90, v155, v230
	v_fma_f32 v92, v155, v229, -v92
	v_fmac_f32_e32 v90, v156, v229
	v_add_f32_e32 v91, v91, v92
	s_waitcnt vmcnt(5)
	v_mul_f32_e32 v92, v158, v231
	v_add_f32_e32 v90, v237, v90
	v_mul_f32_e32 v237, v157, v231
	s_waitcnt vmcnt(4)
	v_fma_f32 v92, v157, v232, -v92
	v_fmac_f32_e32 v237, v158, v232
	v_add_f32_e32 v91, v91, v92
	s_waitcnt vmcnt(2) lgkmcnt(0)
	v_mul_f32_e32 v92, v160, v234
	v_add_f32_e32 v90, v90, v237
	v_mul_f32_e32 v237, v159, v234
	v_fma_f32 v92, v159, v233, -v92
	v_fmac_f32_e32 v237, v160, v233
	v_add_f32_e32 v91, v91, v92
	s_waitcnt vmcnt(0)
	v_mul_f32_e32 v92, v162, v236
	v_add_f32_e32 v90, v90, v237
	v_mul_f32_e32 v237, v161, v236
	v_fma_f32 v92, v161, v235, -v92
	v_fmac_f32_e32 v237, v162, v235
	v_add_f32_e32 v91, v91, v92
	v_add_f32_e32 v90, v90, v237
	v_sub_f32_e32 v91, v185, v91
	v_sub_f32_e32 v90, v186, v90
	buffer_store_dword v91, off, s[0:3], 0 offset:56
	buffer_store_dword v90, off, s[0:3], 0 offset:60
	s_and_saveexec_b64 s[4:5], vcc
	s_cbranch_execz .LBB43_265
; %bb.264:
	buffer_load_dword v90, off, s[0:3], 0 offset:48
	buffer_load_dword v91, off, s[0:3], 0 offset:52
	v_mov_b32_e32 v92, 0
	buffer_store_dword v92, off, s[0:3], 0 offset:48
	buffer_store_dword v92, off, s[0:3], 0 offset:52
	s_waitcnt vmcnt(2)
	ds_write_b64 v89, v[90:91]
.LBB43_265:
	s_or_b64 exec, exec, s[4:5]
	s_waitcnt lgkmcnt(0)
	; wave barrier
	buffer_load_dword v165, off, s[0:3], 0 offset:60
	buffer_load_dword v166, off, s[0:3], 0 offset:68
	buffer_load_dword v167, off, s[0:3], 0 offset:76
	buffer_load_dword v168, off, s[0:3], 0 offset:84
	buffer_load_dword v169, off, s[0:3], 0 offset:92
	buffer_load_dword v170, off, s[0:3], 0 offset:100
	buffer_load_dword v171, off, s[0:3], 0 offset:108
	buffer_load_dword v172, off, s[0:3], 0 offset:116
	buffer_load_dword v173, off, s[0:3], 0 offset:124
	buffer_load_dword v174, off, s[0:3], 0 offset:56
	buffer_load_dword v175, off, s[0:3], 0 offset:64
	buffer_load_dword v176, off, s[0:3], 0 offset:72
	buffer_load_dword v177, off, s[0:3], 0 offset:80
	buffer_load_dword v178, off, s[0:3], 0 offset:88
	buffer_load_dword v179, off, s[0:3], 0 offset:96
	buffer_load_dword v180, off, s[0:3], 0 offset:104
	buffer_load_dword v181, off, s[0:3], 0 offset:112
	buffer_load_dword v182, off, s[0:3], 0 offset:120
	buffer_load_dword v183, off, s[0:3], 0 offset:132
	buffer_load_dword v184, off, s[0:3], 0 offset:128
	buffer_load_dword v185, off, s[0:3], 0 offset:140
	buffer_load_dword v186, off, s[0:3], 0 offset:136
	buffer_load_dword v187, off, s[0:3], 0 offset:48
	buffer_load_dword v188, off, s[0:3], 0 offset:52
	buffer_load_dword v189, off, s[0:3], 0 offset:148
	buffer_load_dword v190, off, s[0:3], 0 offset:144
	buffer_load_dword v191, off, s[0:3], 0 offset:152
	buffer_load_dword v192, off, s[0:3], 0 offset:156
	buffer_load_dword v193, off, s[0:3], 0 offset:160
	buffer_load_dword v194, off, s[0:3], 0 offset:164
	buffer_load_dword v195, off, s[0:3], 0 offset:168
	buffer_load_dword v196, off, s[0:3], 0 offset:172
	buffer_load_dword v197, off, s[0:3], 0 offset:176
	buffer_load_dword v198, off, s[0:3], 0 offset:180
	buffer_load_dword v199, off, s[0:3], 0 offset:184
	buffer_load_dword v200, off, s[0:3], 0 offset:188
	buffer_load_dword v201, off, s[0:3], 0 offset:192
	buffer_load_dword v202, off, s[0:3], 0 offset:196
	buffer_load_dword v203, off, s[0:3], 0 offset:200
	buffer_load_dword v204, off, s[0:3], 0 offset:204
	buffer_load_dword v205, off, s[0:3], 0 offset:208
	buffer_load_dword v206, off, s[0:3], 0 offset:212
	buffer_load_dword v207, off, s[0:3], 0 offset:216
	buffer_load_dword v208, off, s[0:3], 0 offset:220
	buffer_load_dword v209, off, s[0:3], 0 offset:224
	buffer_load_dword v210, off, s[0:3], 0 offset:228
	buffer_load_dword v211, off, s[0:3], 0 offset:232
	buffer_load_dword v212, off, s[0:3], 0 offset:236
	buffer_load_dword v213, off, s[0:3], 0 offset:240
	buffer_load_dword v214, off, s[0:3], 0 offset:244
	buffer_load_dword v215, off, s[0:3], 0 offset:248
	buffer_load_dword v216, off, s[0:3], 0 offset:252
	v_mov_b32_e32 v90, 0
	ds_read2_b64 v[91:94], v90 offset0:51 offset1:52
	ds_read2_b64 v[95:98], v90 offset0:53 offset1:54
	;; [unrolled: 1-line block ×6, first 2 shown]
	buffer_load_dword v217, off, s[0:3], 0 offset:260
	buffer_load_dword v218, off, s[0:3], 0 offset:256
	;; [unrolled: 1-line block ×14, first 2 shown]
	v_cmp_lt_u32_e32 vcc, 5, v0
	s_waitcnt vmcnt(62) lgkmcnt(5)
	v_mul_f32_e32 v115, v91, v165
	v_mul_f32_e32 v116, v93, v166
	s_waitcnt lgkmcnt(4)
	v_mul_f32_e32 v117, v95, v167
	v_mul_f32_e32 v118, v97, v168
	s_waitcnt vmcnt(61) lgkmcnt(3)
	v_mul_f32_e32 v119, v99, v169
	s_waitcnt vmcnt(60)
	v_mul_f32_e32 v120, v101, v170
	s_waitcnt vmcnt(59) lgkmcnt(2)
	v_mul_f32_e32 v121, v103, v171
	s_waitcnt vmcnt(58)
	;; [unrolled: 4-line block ×3, first 2 shown]
	v_fmac_f32_e32 v115, v92, v174
	s_waitcnt vmcnt(55)
	v_fmac_f32_e32 v116, v94, v175
	v_add_f32_e32 v115, 0, v115
	s_waitcnt vmcnt(54)
	v_fmac_f32_e32 v117, v96, v176
	v_add_f32_e32 v115, v115, v116
	;; [unrolled: 3-line block ×8, first 2 shown]
	s_waitcnt vmcnt(47)
	v_mul_f32_e32 v116, v109, v183
	v_add_f32_e32 v115, v115, v123
	s_waitcnt vmcnt(46)
	v_fmac_f32_e32 v116, v110, v184
	v_add_f32_e32 v115, v115, v116
	s_waitcnt vmcnt(45) lgkmcnt(0)
	v_mul_f32_e32 v116, v111, v185
	s_waitcnt vmcnt(44)
	v_fmac_f32_e32 v116, v112, v186
	v_add_f32_e32 v119, v115, v116
	ds_read2_b64 v[115:118], v90 offset0:63 offset1:64
	buffer_load_dword v231, off, s[0:3], 0 offset:312
	buffer_load_dword v232, off, s[0:3], 0 offset:316
	s_waitcnt vmcnt(43)
	v_mul_f32_e32 v120, v113, v189
	s_waitcnt vmcnt(42)
	v_fmac_f32_e32 v120, v114, v190
	v_add_f32_e32 v123, v119, v120
	ds_read2_b64 v[119:122], v90 offset0:65 offset1:66
	buffer_load_dword v233, off, s[0:3], 0 offset:324
	buffer_load_dword v234, off, s[0:3], 0 offset:320
	;; [unrolled: 1-line block ×8, first 2 shown]
	v_mul_f32_e32 v92, v92, v165
	v_fma_f32 v91, v91, v174, -v92
	v_mul_f32_e32 v92, v94, v166
	v_add_f32_e32 v91, 0, v91
	v_fma_f32 v92, v93, v175, -v92
	v_add_f32_e32 v91, v91, v92
	v_mul_f32_e32 v92, v96, v167
	v_fma_f32 v92, v95, v176, -v92
	v_add_f32_e32 v91, v91, v92
	v_mul_f32_e32 v92, v98, v168
	v_fma_f32 v92, v97, v177, -v92
	s_waitcnt vmcnt(48) lgkmcnt(1)
	v_mul_f32_e32 v124, v115, v192
	v_add_f32_e32 v91, v91, v92
	v_mul_f32_e32 v92, v100, v169
	v_fmac_f32_e32 v124, v116, v191
	v_fma_f32 v92, v99, v178, -v92
	v_add_f32_e32 v123, v123, v124
	s_waitcnt vmcnt(46)
	v_mul_f32_e32 v124, v117, v194
	v_add_f32_e32 v91, v91, v92
	v_mul_f32_e32 v92, v102, v170
	v_fmac_f32_e32 v124, v118, v193
	v_fma_f32 v92, v101, v179, -v92
	v_add_f32_e32 v123, v123, v124
	s_waitcnt vmcnt(44) lgkmcnt(0)
	v_mul_f32_e32 v124, v119, v196
	v_add_f32_e32 v91, v91, v92
	v_mul_f32_e32 v92, v104, v171
	v_fmac_f32_e32 v124, v120, v195
	v_fma_f32 v92, v103, v180, -v92
	v_add_f32_e32 v127, v123, v124
	ds_read2_b64 v[123:126], v90 offset0:67 offset1:68
	v_add_f32_e32 v91, v91, v92
	v_mul_f32_e32 v92, v106, v172
	v_fma_f32 v92, v105, v181, -v92
	s_waitcnt vmcnt(42)
	v_mul_f32_e32 v128, v121, v198
	v_add_f32_e32 v91, v91, v92
	v_mul_f32_e32 v92, v108, v173
	v_fmac_f32_e32 v128, v122, v197
	v_fma_f32 v92, v107, v182, -v92
	v_add_f32_e32 v131, v127, v128
	ds_read2_b64 v[127:130], v90 offset0:69 offset1:70
	v_add_f32_e32 v91, v91, v92
	v_mul_f32_e32 v92, v110, v183
	s_waitcnt vmcnt(40) lgkmcnt(1)
	v_mul_f32_e32 v132, v123, v200
	v_fma_f32 v92, v109, v184, -v92
	v_fmac_f32_e32 v132, v124, v199
	v_add_f32_e32 v91, v91, v92
	v_mul_f32_e32 v92, v112, v185
	v_add_f32_e32 v131, v131, v132
	s_waitcnt vmcnt(38)
	v_mul_f32_e32 v132, v125, v202
	v_fma_f32 v92, v111, v186, -v92
	v_fmac_f32_e32 v132, v126, v201
	v_add_f32_e32 v91, v91, v92
	v_mul_f32_e32 v92, v114, v189
	v_add_f32_e32 v131, v131, v132
	s_waitcnt vmcnt(36) lgkmcnt(0)
	v_mul_f32_e32 v132, v127, v204
	v_fma_f32 v92, v113, v190, -v92
	v_fmac_f32_e32 v132, v128, v203
	v_add_f32_e32 v91, v91, v92
	v_mul_f32_e32 v92, v116, v192
	v_add_f32_e32 v135, v131, v132
	ds_read2_b64 v[131:134], v90 offset0:71 offset1:72
	v_fma_f32 v92, v115, v191, -v92
	v_add_f32_e32 v91, v91, v92
	v_mul_f32_e32 v92, v118, v194
	s_waitcnt vmcnt(34)
	v_mul_f32_e32 v136, v129, v206
	v_fma_f32 v92, v117, v193, -v92
	v_fmac_f32_e32 v136, v130, v205
	v_add_f32_e32 v91, v91, v92
	v_mul_f32_e32 v92, v120, v196
	v_add_f32_e32 v139, v135, v136
	ds_read2_b64 v[135:138], v90 offset0:73 offset1:74
	v_fma_f32 v92, v119, v195, -v92
	s_waitcnt vmcnt(32) lgkmcnt(1)
	v_mul_f32_e32 v140, v131, v208
	v_add_f32_e32 v91, v91, v92
	v_mul_f32_e32 v92, v122, v198
	v_fmac_f32_e32 v140, v132, v207
	v_fma_f32 v92, v121, v197, -v92
	v_add_f32_e32 v139, v139, v140
	s_waitcnt vmcnt(30)
	v_mul_f32_e32 v140, v133, v210
	v_add_f32_e32 v91, v91, v92
	v_mul_f32_e32 v92, v124, v200
	v_fmac_f32_e32 v140, v134, v209
	v_fma_f32 v92, v123, v199, -v92
	v_add_f32_e32 v139, v139, v140
	s_waitcnt vmcnt(28) lgkmcnt(0)
	v_mul_f32_e32 v140, v135, v212
	v_add_f32_e32 v91, v91, v92
	v_mul_f32_e32 v92, v126, v202
	v_fmac_f32_e32 v140, v136, v211
	v_fma_f32 v92, v125, v201, -v92
	v_add_f32_e32 v143, v139, v140
	ds_read2_b64 v[139:142], v90 offset0:75 offset1:76
	v_add_f32_e32 v91, v91, v92
	v_mul_f32_e32 v92, v128, v204
	v_fma_f32 v92, v127, v203, -v92
	s_waitcnt vmcnt(26)
	v_mul_f32_e32 v144, v137, v214
	v_add_f32_e32 v91, v91, v92
	v_mul_f32_e32 v92, v130, v206
	v_fmac_f32_e32 v144, v138, v213
	v_fma_f32 v92, v129, v205, -v92
	v_add_f32_e32 v147, v143, v144
	ds_read2_b64 v[143:146], v90 offset0:77 offset1:78
	v_add_f32_e32 v91, v91, v92
	v_mul_f32_e32 v92, v132, v208
	s_waitcnt vmcnt(24) lgkmcnt(1)
	v_mul_f32_e32 v148, v139, v216
	v_fma_f32 v92, v131, v207, -v92
	v_fmac_f32_e32 v148, v140, v215
	v_add_f32_e32 v91, v91, v92
	v_mul_f32_e32 v92, v134, v210
	v_add_f32_e32 v147, v147, v148
	s_waitcnt vmcnt(23)
	v_mul_f32_e32 v148, v141, v217
	v_fma_f32 v92, v133, v209, -v92
	s_waitcnt vmcnt(22)
	v_fmac_f32_e32 v148, v142, v218
	v_add_f32_e32 v91, v91, v92
	v_mul_f32_e32 v92, v136, v212
	v_add_f32_e32 v147, v147, v148
	s_waitcnt vmcnt(20) lgkmcnt(0)
	v_mul_f32_e32 v148, v143, v220
	v_fma_f32 v92, v135, v211, -v92
	v_fmac_f32_e32 v148, v144, v219
	v_add_f32_e32 v91, v91, v92
	v_mul_f32_e32 v92, v138, v214
	v_add_f32_e32 v151, v147, v148
	ds_read2_b64 v[147:150], v90 offset0:79 offset1:80
	v_fma_f32 v92, v137, v213, -v92
	v_add_f32_e32 v91, v91, v92
	v_mul_f32_e32 v92, v140, v216
	s_waitcnt vmcnt(18)
	v_mul_f32_e32 v152, v145, v222
	v_fma_f32 v92, v139, v215, -v92
	v_fmac_f32_e32 v152, v146, v221
	v_add_f32_e32 v91, v91, v92
	v_mul_f32_e32 v92, v142, v217
	v_add_f32_e32 v155, v151, v152
	ds_read2_b64 v[151:154], v90 offset0:81 offset1:82
	v_fma_f32 v92, v141, v218, -v92
	s_waitcnt vmcnt(16) lgkmcnt(1)
	v_mul_f32_e32 v156, v147, v224
	v_add_f32_e32 v91, v91, v92
	v_mul_f32_e32 v92, v144, v220
	v_fmac_f32_e32 v156, v148, v223
	v_fma_f32 v92, v143, v219, -v92
	v_add_f32_e32 v155, v155, v156
	s_waitcnt vmcnt(15)
	v_mul_f32_e32 v156, v149, v225
	v_add_f32_e32 v91, v91, v92
	v_mul_f32_e32 v92, v146, v222
	s_waitcnt vmcnt(14)
	v_fmac_f32_e32 v156, v150, v226
	v_fma_f32 v92, v145, v221, -v92
	v_add_f32_e32 v155, v155, v156
	s_waitcnt vmcnt(12) lgkmcnt(0)
	v_mul_f32_e32 v156, v151, v228
	v_add_f32_e32 v91, v91, v92
	v_mul_f32_e32 v92, v148, v224
	v_fmac_f32_e32 v156, v152, v227
	v_fma_f32 v92, v147, v223, -v92
	v_add_f32_e32 v159, v155, v156
	ds_read2_b64 v[155:158], v90 offset0:83 offset1:84
	v_add_f32_e32 v91, v91, v92
	v_mul_f32_e32 v92, v150, v225
	v_fma_f32 v92, v149, v226, -v92
	v_add_f32_e32 v91, v91, v92
	v_mul_f32_e32 v92, v152, v228
	s_waitcnt vmcnt(10)
	v_mul_f32_e32 v160, v153, v230
	v_fma_f32 v92, v151, v227, -v92
	v_fmac_f32_e32 v160, v154, v229
	v_add_f32_e32 v91, v91, v92
	v_mul_f32_e32 v92, v154, v230
	v_add_f32_e32 v163, v159, v160
	ds_read2_b64 v[159:162], v90 offset0:85 offset1:86
	s_waitcnt vmcnt(8) lgkmcnt(1)
	v_mul_f32_e32 v164, v155, v232
	v_fma_f32 v92, v153, v229, -v92
	v_fmac_f32_e32 v164, v156, v231
	v_add_f32_e32 v91, v91, v92
	v_mul_f32_e32 v92, v156, v232
	v_add_f32_e32 v163, v163, v164
	s_waitcnt vmcnt(7)
	v_mul_f32_e32 v164, v157, v233
	v_fma_f32 v92, v155, v231, -v92
	s_waitcnt vmcnt(6)
	v_fmac_f32_e32 v164, v158, v234
	v_add_f32_e32 v91, v91, v92
	v_mul_f32_e32 v92, v158, v233
	v_add_f32_e32 v241, v163, v164
	ds_read_b64 v[163:164], v90 offset:696
	v_fma_f32 v92, v157, v234, -v92
	v_add_f32_e32 v91, v91, v92
	s_waitcnt vmcnt(4) lgkmcnt(1)
	v_mul_f32_e32 v92, v160, v236
	v_mul_f32_e32 v242, v159, v236
	v_fma_f32 v92, v159, v235, -v92
	v_fmac_f32_e32 v242, v160, v235
	v_add_f32_e32 v91, v91, v92
	s_waitcnt vmcnt(3)
	v_mul_f32_e32 v92, v162, v237
	v_add_f32_e32 v241, v241, v242
	v_mul_f32_e32 v242, v161, v237
	s_waitcnt vmcnt(2)
	v_fma_f32 v92, v161, v238, -v92
	v_fmac_f32_e32 v242, v162, v238
	v_add_f32_e32 v91, v91, v92
	s_waitcnt vmcnt(0) lgkmcnt(0)
	v_mul_f32_e32 v92, v164, v240
	v_add_f32_e32 v241, v241, v242
	v_mul_f32_e32 v242, v163, v240
	v_fma_f32 v92, v163, v239, -v92
	v_fmac_f32_e32 v242, v164, v239
	v_add_f32_e32 v91, v91, v92
	v_add_f32_e32 v241, v241, v242
	v_sub_f32_e32 v91, v187, v91
	v_sub_f32_e32 v92, v188, v241
	buffer_store_dword v91, off, s[0:3], 0 offset:48
	buffer_store_dword v92, off, s[0:3], 0 offset:52
	s_and_saveexec_b64 s[4:5], vcc
	s_cbranch_execz .LBB43_267
; %bb.266:
	buffer_load_dword v91, off, s[0:3], 0 offset:40
	buffer_load_dword v92, off, s[0:3], 0 offset:44
	s_waitcnt vmcnt(0)
	ds_write_b64 v89, v[91:92]
	buffer_store_dword v90, off, s[0:3], 0 offset:40
	buffer_store_dword v90, off, s[0:3], 0 offset:44
.LBB43_267:
	s_or_b64 exec, exec, s[4:5]
	s_waitcnt lgkmcnt(0)
	; wave barrier
	buffer_load_dword v167, off, s[0:3], 0 offset:52
	buffer_load_dword v168, off, s[0:3], 0 offset:60
	;; [unrolled: 1-line block ×26, first 2 shown]
	ds_read_b128 v[91:94], v90 offset:400
	ds_read_b128 v[95:98], v90 offset:416
	ds_read_b128 v[99:102], v90 offset:432
	ds_read_b128 v[103:106], v90 offset:448
	buffer_load_dword v193, off, s[0:3], 0 offset:148
	ds_read_b128 v[107:110], v90 offset:464
	ds_read_b128 v[111:114], v90 offset:480
	buffer_load_dword v194, off, s[0:3], 0 offset:144
	buffer_load_dword v195, off, s[0:3], 0 offset:152
	;; [unrolled: 1-line block ×37, first 2 shown]
	v_cmp_lt_u32_e32 vcc, 4, v0
	s_waitcnt vmcnt(62) lgkmcnt(5)
	v_mul_f32_e32 v115, v91, v167
	v_mul_f32_e32 v116, v93, v168
	s_waitcnt vmcnt(61) lgkmcnt(4)
	v_mul_f32_e32 v117, v95, v169
	s_waitcnt vmcnt(60)
	v_mul_f32_e32 v118, v97, v170
	s_waitcnt vmcnt(59) lgkmcnt(3)
	v_mul_f32_e32 v119, v99, v171
	s_waitcnt vmcnt(58)
	;; [unrolled: 4-line block ×4, first 2 shown]
	v_mul_f32_e32 v124, v109, v176
	s_waitcnt vmcnt(53)
	v_fmac_f32_e32 v115, v92, v177
	s_waitcnt vmcnt(52)
	v_fmac_f32_e32 v116, v94, v178
	v_add_f32_e32 v115, 0, v115
	s_waitcnt vmcnt(51)
	v_fmac_f32_e32 v117, v96, v179
	v_add_f32_e32 v115, v115, v116
	;; [unrolled: 3-line block ×9, first 2 shown]
	s_waitcnt vmcnt(43) lgkmcnt(0)
	v_mul_f32_e32 v116, v111, v187
	v_add_f32_e32 v115, v115, v124
	s_waitcnt vmcnt(42)
	v_fmac_f32_e32 v116, v112, v188
	v_add_f32_e32 v119, v115, v116
	s_waitcnt vmcnt(41)
	v_mul_f32_e32 v120, v113, v189
	ds_read_b128 v[115:118], v90 offset:496
	buffer_load_dword v231, off, s[0:3], 0 offset:296
	buffer_load_dword v232, off, s[0:3], 0 offset:300
	s_waitcnt vmcnt(42)
	v_fmac_f32_e32 v120, v114, v190
	v_add_f32_e32 v123, v119, v120
	ds_read_b128 v[119:122], v90 offset:512
	buffer_load_dword v233, off, s[0:3], 0 offset:304
	buffer_load_dword v234, off, s[0:3], 0 offset:308
	;; [unrolled: 1-line block ×12, first 2 shown]
	v_mul_f32_e32 v92, v92, v167
	v_fma_f32 v91, v91, v177, -v92
	v_mul_f32_e32 v92, v94, v168
	v_add_f32_e32 v91, 0, v91
	v_fma_f32 v92, v93, v178, -v92
	v_add_f32_e32 v91, v91, v92
	v_mul_f32_e32 v92, v96, v169
	v_fma_f32 v92, v95, v179, -v92
	v_add_f32_e32 v91, v91, v92
	v_mul_f32_e32 v92, v98, v170
	v_fma_f32 v92, v97, v180, -v92
	s_waitcnt vmcnt(51) lgkmcnt(1)
	v_mul_f32_e32 v124, v115, v193
	v_add_f32_e32 v91, v91, v92
	v_mul_f32_e32 v92, v100, v171
	s_waitcnt vmcnt(50)
	v_fmac_f32_e32 v124, v116, v194
	v_fma_f32 v92, v99, v181, -v92
	v_add_f32_e32 v123, v123, v124
	s_waitcnt vmcnt(48)
	v_mul_f32_e32 v124, v117, v196
	v_add_f32_e32 v91, v91, v92
	v_mul_f32_e32 v92, v102, v172
	v_fmac_f32_e32 v124, v118, v195
	v_fma_f32 v92, v101, v182, -v92
	v_add_f32_e32 v123, v123, v124
	s_waitcnt vmcnt(46) lgkmcnt(0)
	v_mul_f32_e32 v124, v119, v198
	v_add_f32_e32 v91, v91, v92
	v_mul_f32_e32 v92, v104, v173
	v_fmac_f32_e32 v124, v120, v197
	v_fma_f32 v92, v103, v183, -v92
	v_add_f32_e32 v127, v123, v124
	ds_read_b128 v[123:126], v90 offset:528
	v_add_f32_e32 v91, v91, v92
	v_mul_f32_e32 v92, v106, v174
	v_fma_f32 v92, v105, v184, -v92
	s_waitcnt vmcnt(44)
	v_mul_f32_e32 v128, v121, v200
	v_add_f32_e32 v91, v91, v92
	v_mul_f32_e32 v92, v108, v175
	v_fmac_f32_e32 v128, v122, v199
	v_fma_f32 v92, v107, v185, -v92
	v_add_f32_e32 v131, v127, v128
	ds_read_b128 v[127:130], v90 offset:544
	v_add_f32_e32 v91, v91, v92
	v_mul_f32_e32 v92, v110, v176
	s_waitcnt vmcnt(42) lgkmcnt(1)
	v_mul_f32_e32 v132, v123, v202
	v_fma_f32 v92, v109, v186, -v92
	v_fmac_f32_e32 v132, v124, v201
	v_add_f32_e32 v91, v91, v92
	v_mul_f32_e32 v92, v112, v187
	v_add_f32_e32 v131, v131, v132
	s_waitcnt vmcnt(40)
	v_mul_f32_e32 v132, v125, v204
	v_fma_f32 v92, v111, v188, -v92
	v_fmac_f32_e32 v132, v126, v203
	v_add_f32_e32 v91, v91, v92
	v_mul_f32_e32 v92, v114, v189
	v_add_f32_e32 v131, v131, v132
	s_waitcnt vmcnt(38) lgkmcnt(0)
	v_mul_f32_e32 v132, v127, v206
	v_fma_f32 v92, v113, v190, -v92
	v_fmac_f32_e32 v132, v128, v205
	v_add_f32_e32 v91, v91, v92
	v_mul_f32_e32 v92, v116, v193
	v_add_f32_e32 v135, v131, v132
	ds_read_b128 v[131:134], v90 offset:560
	v_fma_f32 v92, v115, v194, -v92
	v_add_f32_e32 v91, v91, v92
	v_mul_f32_e32 v92, v118, v196
	s_waitcnt vmcnt(36)
	v_mul_f32_e32 v136, v129, v208
	v_fma_f32 v92, v117, v195, -v92
	v_fmac_f32_e32 v136, v130, v207
	v_add_f32_e32 v91, v91, v92
	v_mul_f32_e32 v92, v120, v198
	v_add_f32_e32 v139, v135, v136
	ds_read_b128 v[135:138], v90 offset:576
	v_fma_f32 v92, v119, v197, -v92
	s_waitcnt vmcnt(34) lgkmcnt(1)
	v_mul_f32_e32 v140, v131, v210
	v_add_f32_e32 v91, v91, v92
	v_mul_f32_e32 v92, v122, v200
	v_fmac_f32_e32 v140, v132, v209
	v_fma_f32 v92, v121, v199, -v92
	v_add_f32_e32 v139, v139, v140
	s_waitcnt vmcnt(32)
	v_mul_f32_e32 v140, v133, v212
	v_add_f32_e32 v91, v91, v92
	v_mul_f32_e32 v92, v124, v202
	v_fmac_f32_e32 v140, v134, v211
	v_fma_f32 v92, v123, v201, -v92
	v_add_f32_e32 v139, v139, v140
	s_waitcnt vmcnt(30) lgkmcnt(0)
	v_mul_f32_e32 v140, v135, v214
	v_add_f32_e32 v91, v91, v92
	v_mul_f32_e32 v92, v126, v204
	v_fmac_f32_e32 v140, v136, v213
	v_fma_f32 v92, v125, v203, -v92
	v_add_f32_e32 v143, v139, v140
	ds_read_b128 v[139:142], v90 offset:592
	v_add_f32_e32 v91, v91, v92
	v_mul_f32_e32 v92, v128, v206
	v_fma_f32 v92, v127, v205, -v92
	s_waitcnt vmcnt(28)
	v_mul_f32_e32 v144, v137, v216
	v_add_f32_e32 v91, v91, v92
	v_mul_f32_e32 v92, v130, v208
	v_fmac_f32_e32 v144, v138, v215
	v_fma_f32 v92, v129, v207, -v92
	v_add_f32_e32 v147, v143, v144
	ds_read_b128 v[143:146], v90 offset:608
	v_add_f32_e32 v91, v91, v92
	v_mul_f32_e32 v92, v132, v210
	s_waitcnt vmcnt(26) lgkmcnt(1)
	v_mul_f32_e32 v148, v139, v218
	v_fma_f32 v92, v131, v209, -v92
	v_fmac_f32_e32 v148, v140, v217
	v_add_f32_e32 v91, v91, v92
	v_mul_f32_e32 v92, v134, v212
	v_add_f32_e32 v147, v147, v148
	s_waitcnt vmcnt(25)
	v_mul_f32_e32 v148, v141, v219
	v_fma_f32 v92, v133, v211, -v92
	s_waitcnt vmcnt(24)
	v_fmac_f32_e32 v148, v142, v220
	v_add_f32_e32 v91, v91, v92
	v_mul_f32_e32 v92, v136, v214
	v_add_f32_e32 v147, v147, v148
	s_waitcnt vmcnt(22) lgkmcnt(0)
	v_mul_f32_e32 v148, v143, v222
	v_fma_f32 v92, v135, v213, -v92
	v_fmac_f32_e32 v148, v144, v221
	v_add_f32_e32 v91, v91, v92
	v_mul_f32_e32 v92, v138, v216
	v_add_f32_e32 v151, v147, v148
	ds_read_b128 v[147:150], v90 offset:624
	v_fma_f32 v92, v137, v215, -v92
	v_add_f32_e32 v91, v91, v92
	v_mul_f32_e32 v92, v140, v218
	s_waitcnt vmcnt(20)
	v_mul_f32_e32 v152, v145, v224
	v_fma_f32 v92, v139, v217, -v92
	v_fmac_f32_e32 v152, v146, v223
	v_add_f32_e32 v91, v91, v92
	v_mul_f32_e32 v92, v142, v219
	v_add_f32_e32 v155, v151, v152
	ds_read_b128 v[151:154], v90 offset:640
	v_fma_f32 v92, v141, v220, -v92
	s_waitcnt vmcnt(18) lgkmcnt(1)
	v_mul_f32_e32 v156, v147, v226
	v_add_f32_e32 v91, v91, v92
	v_mul_f32_e32 v92, v144, v222
	v_fmac_f32_e32 v156, v148, v225
	v_fma_f32 v92, v143, v221, -v92
	v_add_f32_e32 v155, v155, v156
	s_waitcnt vmcnt(17)
	v_mul_f32_e32 v156, v149, v227
	v_add_f32_e32 v91, v91, v92
	v_mul_f32_e32 v92, v146, v224
	s_waitcnt vmcnt(16)
	v_fmac_f32_e32 v156, v150, v228
	v_fma_f32 v92, v145, v223, -v92
	v_add_f32_e32 v155, v155, v156
	s_waitcnt vmcnt(14) lgkmcnt(0)
	v_mul_f32_e32 v156, v151, v230
	v_add_f32_e32 v91, v91, v92
	v_mul_f32_e32 v92, v148, v226
	v_fmac_f32_e32 v156, v152, v229
	v_fma_f32 v92, v147, v225, -v92
	v_add_f32_e32 v159, v155, v156
	ds_read_b128 v[155:158], v90 offset:656
	v_add_f32_e32 v91, v91, v92
	v_mul_f32_e32 v92, v150, v227
	v_fma_f32 v92, v149, v228, -v92
	v_add_f32_e32 v91, v91, v92
	v_mul_f32_e32 v92, v152, v230
	s_waitcnt vmcnt(12)
	v_mul_f32_e32 v160, v153, v232
	v_fma_f32 v92, v151, v229, -v92
	v_fmac_f32_e32 v160, v154, v231
	v_add_f32_e32 v91, v91, v92
	v_mul_f32_e32 v92, v154, v232
	v_add_f32_e32 v163, v159, v160
	ds_read_b128 v[159:162], v90 offset:672
	s_waitcnt vmcnt(10) lgkmcnt(1)
	v_mul_f32_e32 v164, v155, v234
	v_fma_f32 v92, v153, v231, -v92
	v_fmac_f32_e32 v164, v156, v233
	v_add_f32_e32 v91, v91, v92
	v_mul_f32_e32 v92, v156, v234
	v_add_f32_e32 v163, v163, v164
	s_waitcnt vmcnt(9)
	v_mul_f32_e32 v164, v157, v235
	v_fma_f32 v92, v155, v233, -v92
	s_waitcnt vmcnt(8)
	v_fmac_f32_e32 v164, v158, v236
	v_add_f32_e32 v91, v91, v92
	v_mul_f32_e32 v92, v158, v235
	v_add_f32_e32 v245, v163, v164
	ds_read_b128 v[163:166], v90 offset:688
	v_fma_f32 v92, v157, v236, -v92
	v_add_f32_e32 v91, v91, v92
	s_waitcnt vmcnt(6) lgkmcnt(1)
	v_mul_f32_e32 v92, v160, v238
	v_mul_f32_e32 v246, v159, v238
	v_fma_f32 v92, v159, v237, -v92
	v_fmac_f32_e32 v246, v160, v237
	v_add_f32_e32 v91, v91, v92
	s_waitcnt vmcnt(4)
	v_mul_f32_e32 v92, v162, v240
	v_add_f32_e32 v90, v245, v246
	v_mul_f32_e32 v245, v161, v240
	v_fma_f32 v92, v161, v239, -v92
	v_fmac_f32_e32 v245, v162, v239
	v_add_f32_e32 v91, v91, v92
	s_waitcnt vmcnt(3) lgkmcnt(0)
	v_mul_f32_e32 v92, v164, v241
	v_add_f32_e32 v90, v90, v245
	v_mul_f32_e32 v245, v163, v241
	s_waitcnt vmcnt(2)
	v_fma_f32 v92, v163, v242, -v92
	v_fmac_f32_e32 v245, v164, v242
	v_add_f32_e32 v91, v91, v92
	s_waitcnt vmcnt(0)
	v_mul_f32_e32 v92, v166, v244
	v_add_f32_e32 v90, v90, v245
	v_mul_f32_e32 v245, v165, v244
	v_fma_f32 v92, v165, v243, -v92
	v_fmac_f32_e32 v245, v166, v243
	v_add_f32_e32 v91, v91, v92
	v_add_f32_e32 v90, v90, v245
	v_sub_f32_e32 v91, v191, v91
	v_sub_f32_e32 v90, v192, v90
	buffer_store_dword v91, off, s[0:3], 0 offset:40
	buffer_store_dword v90, off, s[0:3], 0 offset:44
	s_and_saveexec_b64 s[4:5], vcc
	s_cbranch_execz .LBB43_269
; %bb.268:
	buffer_load_dword v90, off, s[0:3], 0 offset:32
	buffer_load_dword v91, off, s[0:3], 0 offset:36
	v_mov_b32_e32 v92, 0
	buffer_store_dword v92, off, s[0:3], 0 offset:32
	buffer_store_dword v92, off, s[0:3], 0 offset:36
	s_waitcnt vmcnt(2)
	ds_write_b64 v89, v[90:91]
.LBB43_269:
	s_or_b64 exec, exec, s[4:5]
	s_waitcnt lgkmcnt(0)
	; wave barrier
	buffer_load_dword v169, off, s[0:3], 0 offset:44
	buffer_load_dword v170, off, s[0:3], 0 offset:52
	;; [unrolled: 1-line block ×52, first 2 shown]
	v_mov_b32_e32 v90, 0
	ds_read2_b64 v[91:94], v90 offset0:49 offset1:50
	ds_read2_b64 v[95:98], v90 offset0:51 offset1:52
	;; [unrolled: 1-line block ×6, first 2 shown]
	buffer_load_dword v221, off, s[0:3], 0 offset:244
	buffer_load_dword v222, off, s[0:3], 0 offset:240
	;; [unrolled: 1-line block ×8, first 2 shown]
	v_cmp_lt_u32_e32 vcc, 3, v0
	s_waitcnt vmcnt(59) lgkmcnt(5)
	v_mul_f32_e32 v115, v91, v169
	s_waitcnt vmcnt(58)
	v_mul_f32_e32 v116, v93, v170
	s_waitcnt vmcnt(57) lgkmcnt(4)
	v_mul_f32_e32 v117, v95, v171
	s_waitcnt vmcnt(56)
	v_mul_f32_e32 v118, v97, v172
	;; [unrolled: 4-line block ×5, first 2 shown]
	s_waitcnt vmcnt(49) lgkmcnt(0)
	v_mul_f32_e32 v125, v111, v179
	s_waitcnt vmcnt(48)
	v_fmac_f32_e32 v115, v92, v180
	s_waitcnt vmcnt(47)
	v_fmac_f32_e32 v116, v94, v181
	v_add_f32_e32 v115, 0, v115
	s_waitcnt vmcnt(46)
	v_fmac_f32_e32 v117, v96, v182
	v_add_f32_e32 v115, v115, v116
	;; [unrolled: 3-line block ×9, first 2 shown]
	v_add_f32_e32 v115, v115, v124
	s_waitcnt vmcnt(38)
	v_fmac_f32_e32 v125, v112, v190
	s_waitcnt vmcnt(37)
	v_mul_f32_e32 v116, v113, v191
	v_add_f32_e32 v115, v115, v125
	s_waitcnt vmcnt(36)
	v_fmac_f32_e32 v116, v114, v192
	v_add_f32_e32 v123, v115, v116
	ds_read2_b64 v[115:118], v90 offset0:61 offset1:62
	buffer_load_dword v229, off, s[0:3], 0 offset:276
	buffer_load_dword v230, off, s[0:3], 0 offset:272
	;; [unrolled: 1-line block ×4, first 2 shown]
	ds_read2_b64 v[119:122], v90 offset0:63 offset1:64
	buffer_load_dword v233, off, s[0:3], 0 offset:288
	buffer_load_dword v234, off, s[0:3], 0 offset:292
	;; [unrolled: 1-line block ×10, first 2 shown]
	s_waitcnt vmcnt(46) lgkmcnt(1)
	v_mul_f32_e32 v124, v115, v196
	v_fmac_f32_e32 v124, v116, v195
	v_add_f32_e32 v123, v123, v124
	s_waitcnt vmcnt(44)
	v_mul_f32_e32 v124, v117, v198
	buffer_load_dword v243, off, s[0:3], 0 offset:328
	buffer_load_dword v244, off, s[0:3], 0 offset:332
	v_fmac_f32_e32 v124, v118, v197
	v_add_f32_e32 v123, v123, v124
	s_waitcnt vmcnt(44) lgkmcnt(0)
	v_mul_f32_e32 v124, v119, v200
	v_fmac_f32_e32 v124, v120, v199
	v_add_f32_e32 v127, v123, v124
	ds_read2_b64 v[123:126], v90 offset0:65 offset1:66
	buffer_load_dword v245, off, s[0:3], 0 offset:340
	buffer_load_dword v246, off, s[0:3], 0 offset:336
	;; [unrolled: 1-line block ×4, first 2 shown]
	v_mul_f32_e32 v92, v92, v169
	v_fma_f32 v91, v91, v180, -v92
	v_mul_f32_e32 v92, v94, v170
	v_add_f32_e32 v91, 0, v91
	v_fma_f32 v92, v93, v181, -v92
	v_add_f32_e32 v91, v91, v92
	v_mul_f32_e32 v92, v96, v171
	v_fma_f32 v92, v95, v182, -v92
	v_add_f32_e32 v91, v91, v92
	v_mul_f32_e32 v92, v98, v172
	;; [unrolled: 3-line block ×5, first 2 shown]
	v_fma_f32 v92, v103, v186, -v92
	s_waitcnt vmcnt(46)
	v_mul_f32_e32 v128, v121, v202
	v_add_f32_e32 v91, v91, v92
	v_mul_f32_e32 v92, v106, v176
	v_fmac_f32_e32 v128, v122, v201
	v_fma_f32 v92, v105, v187, -v92
	v_add_f32_e32 v131, v127, v128
	ds_read2_b64 v[127:130], v90 offset0:67 offset1:68
	v_add_f32_e32 v91, v91, v92
	v_mul_f32_e32 v92, v108, v177
	s_waitcnt vmcnt(44) lgkmcnt(1)
	v_mul_f32_e32 v132, v123, v204
	v_fma_f32 v92, v107, v188, -v92
	v_fmac_f32_e32 v132, v124, v203
	v_add_f32_e32 v91, v91, v92
	v_mul_f32_e32 v92, v110, v178
	v_add_f32_e32 v131, v131, v132
	s_waitcnt vmcnt(42)
	v_mul_f32_e32 v132, v125, v206
	v_fma_f32 v92, v109, v189, -v92
	v_fmac_f32_e32 v132, v126, v205
	v_add_f32_e32 v91, v91, v92
	v_mul_f32_e32 v92, v112, v179
	v_add_f32_e32 v131, v131, v132
	s_waitcnt vmcnt(40) lgkmcnt(0)
	v_mul_f32_e32 v132, v127, v208
	v_fma_f32 v92, v111, v190, -v92
	v_fmac_f32_e32 v132, v128, v207
	v_add_f32_e32 v91, v91, v92
	v_mul_f32_e32 v92, v114, v191
	v_add_f32_e32 v135, v131, v132
	ds_read2_b64 v[131:134], v90 offset0:69 offset1:70
	v_fma_f32 v92, v113, v192, -v92
	v_add_f32_e32 v91, v91, v92
	v_mul_f32_e32 v92, v116, v196
	s_waitcnt vmcnt(38)
	v_mul_f32_e32 v136, v129, v210
	v_fma_f32 v92, v115, v195, -v92
	v_fmac_f32_e32 v136, v130, v209
	v_add_f32_e32 v91, v91, v92
	v_mul_f32_e32 v92, v118, v198
	v_add_f32_e32 v139, v135, v136
	ds_read2_b64 v[135:138], v90 offset0:71 offset1:72
	v_fma_f32 v92, v117, v197, -v92
	s_waitcnt vmcnt(36) lgkmcnt(1)
	v_mul_f32_e32 v140, v131, v212
	v_add_f32_e32 v91, v91, v92
	v_mul_f32_e32 v92, v120, v200
	v_fmac_f32_e32 v140, v132, v211
	v_fma_f32 v92, v119, v199, -v92
	v_add_f32_e32 v139, v139, v140
	s_waitcnt vmcnt(34)
	v_mul_f32_e32 v140, v133, v214
	v_add_f32_e32 v91, v91, v92
	v_mul_f32_e32 v92, v122, v202
	v_fmac_f32_e32 v140, v134, v213
	v_fma_f32 v92, v121, v201, -v92
	v_add_f32_e32 v139, v139, v140
	s_waitcnt vmcnt(32) lgkmcnt(0)
	v_mul_f32_e32 v140, v135, v216
	v_add_f32_e32 v91, v91, v92
	v_mul_f32_e32 v92, v124, v204
	v_fmac_f32_e32 v140, v136, v215
	v_fma_f32 v92, v123, v203, -v92
	v_add_f32_e32 v143, v139, v140
	ds_read2_b64 v[139:142], v90 offset0:73 offset1:74
	v_add_f32_e32 v91, v91, v92
	v_mul_f32_e32 v92, v126, v206
	v_fma_f32 v92, v125, v205, -v92
	s_waitcnt vmcnt(30)
	v_mul_f32_e32 v144, v137, v218
	v_add_f32_e32 v91, v91, v92
	v_mul_f32_e32 v92, v128, v208
	v_fmac_f32_e32 v144, v138, v217
	v_fma_f32 v92, v127, v207, -v92
	v_add_f32_e32 v147, v143, v144
	ds_read2_b64 v[143:146], v90 offset0:75 offset1:76
	v_add_f32_e32 v91, v91, v92
	v_mul_f32_e32 v92, v130, v210
	s_waitcnt vmcnt(28) lgkmcnt(1)
	v_mul_f32_e32 v148, v139, v220
	v_fma_f32 v92, v129, v209, -v92
	v_fmac_f32_e32 v148, v140, v219
	v_add_f32_e32 v91, v91, v92
	v_mul_f32_e32 v92, v132, v212
	v_add_f32_e32 v147, v147, v148
	s_waitcnt vmcnt(27)
	v_mul_f32_e32 v148, v141, v221
	v_fma_f32 v92, v131, v211, -v92
	s_waitcnt vmcnt(26)
	v_fmac_f32_e32 v148, v142, v222
	v_add_f32_e32 v91, v91, v92
	v_mul_f32_e32 v92, v134, v214
	v_add_f32_e32 v147, v147, v148
	s_waitcnt vmcnt(24) lgkmcnt(0)
	v_mul_f32_e32 v148, v143, v224
	v_fma_f32 v92, v133, v213, -v92
	v_fmac_f32_e32 v148, v144, v223
	v_add_f32_e32 v91, v91, v92
	v_mul_f32_e32 v92, v136, v216
	v_add_f32_e32 v151, v147, v148
	ds_read2_b64 v[147:150], v90 offset0:77 offset1:78
	v_fma_f32 v92, v135, v215, -v92
	v_add_f32_e32 v91, v91, v92
	v_mul_f32_e32 v92, v138, v218
	s_waitcnt vmcnt(22)
	v_mul_f32_e32 v152, v145, v226
	v_fma_f32 v92, v137, v217, -v92
	v_fmac_f32_e32 v152, v146, v225
	v_add_f32_e32 v91, v91, v92
	v_mul_f32_e32 v92, v140, v220
	v_add_f32_e32 v155, v151, v152
	ds_read2_b64 v[151:154], v90 offset0:79 offset1:80
	v_fma_f32 v92, v139, v219, -v92
	s_waitcnt vmcnt(20) lgkmcnt(1)
	v_mul_f32_e32 v156, v147, v228
	v_add_f32_e32 v91, v91, v92
	v_mul_f32_e32 v92, v142, v221
	v_fmac_f32_e32 v156, v148, v227
	v_fma_f32 v92, v141, v222, -v92
	v_add_f32_e32 v155, v155, v156
	s_waitcnt vmcnt(19)
	v_mul_f32_e32 v156, v149, v229
	v_add_f32_e32 v91, v91, v92
	v_mul_f32_e32 v92, v144, v224
	s_waitcnt vmcnt(18)
	v_fmac_f32_e32 v156, v150, v230
	v_fma_f32 v92, v143, v223, -v92
	v_add_f32_e32 v155, v155, v156
	s_waitcnt vmcnt(16) lgkmcnt(0)
	v_mul_f32_e32 v156, v151, v232
	v_add_f32_e32 v91, v91, v92
	v_mul_f32_e32 v92, v146, v226
	v_fmac_f32_e32 v156, v152, v231
	v_fma_f32 v92, v145, v225, -v92
	v_add_f32_e32 v159, v155, v156
	ds_read2_b64 v[155:158], v90 offset0:81 offset1:82
	v_add_f32_e32 v91, v91, v92
	v_mul_f32_e32 v92, v148, v228
	v_fma_f32 v92, v147, v227, -v92
	s_waitcnt vmcnt(14)
	v_mul_f32_e32 v160, v153, v234
	v_add_f32_e32 v91, v91, v92
	v_mul_f32_e32 v92, v150, v229
	v_fmac_f32_e32 v160, v154, v233
	v_fma_f32 v92, v149, v230, -v92
	v_add_f32_e32 v163, v159, v160
	ds_read2_b64 v[159:162], v90 offset0:83 offset1:84
	v_add_f32_e32 v91, v91, v92
	v_mul_f32_e32 v92, v152, v232
	s_waitcnt vmcnt(12) lgkmcnt(1)
	v_mul_f32_e32 v164, v155, v236
	v_fma_f32 v92, v151, v231, -v92
	v_fmac_f32_e32 v164, v156, v235
	v_add_f32_e32 v91, v91, v92
	v_mul_f32_e32 v92, v154, v234
	v_add_f32_e32 v163, v163, v164
	s_waitcnt vmcnt(11)
	v_mul_f32_e32 v164, v157, v237
	v_fma_f32 v92, v153, v233, -v92
	s_waitcnt vmcnt(10)
	v_fmac_f32_e32 v164, v158, v238
	v_add_f32_e32 v91, v91, v92
	v_mul_f32_e32 v92, v156, v236
	v_add_f32_e32 v163, v163, v164
	s_waitcnt vmcnt(8) lgkmcnt(0)
	v_mul_f32_e32 v164, v159, v240
	v_fma_f32 v92, v155, v235, -v92
	v_fmac_f32_e32 v164, v160, v239
	v_add_f32_e32 v91, v91, v92
	v_mul_f32_e32 v92, v158, v237
	v_add_f32_e32 v167, v163, v164
	ds_read2_b64 v[163:166], v90 offset0:85 offset1:86
	v_fma_f32 v92, v157, v238, -v92
	v_add_f32_e32 v91, v91, v92
	v_mul_f32_e32 v92, v160, v240
	s_waitcnt vmcnt(6)
	v_mul_f32_e32 v168, v161, v242
	v_fma_f32 v92, v159, v239, -v92
	v_fmac_f32_e32 v168, v162, v241
	v_add_f32_e32 v91, v91, v92
	v_mul_f32_e32 v92, v162, v242
	v_add_f32_e32 v249, v167, v168
	ds_read_b64 v[167:168], v90 offset:696
	v_fma_f32 v92, v161, v241, -v92
	v_add_f32_e32 v91, v91, v92
	s_waitcnt vmcnt(4) lgkmcnt(1)
	v_mul_f32_e32 v92, v164, v244
	v_mul_f32_e32 v250, v163, v244
	v_fma_f32 v92, v163, v243, -v92
	v_fmac_f32_e32 v250, v164, v243
	v_add_f32_e32 v91, v91, v92
	s_waitcnt vmcnt(3)
	v_mul_f32_e32 v92, v166, v245
	v_add_f32_e32 v249, v249, v250
	v_mul_f32_e32 v250, v165, v245
	s_waitcnt vmcnt(2)
	v_fma_f32 v92, v165, v246, -v92
	v_fmac_f32_e32 v250, v166, v246
	v_add_f32_e32 v91, v91, v92
	s_waitcnt vmcnt(0) lgkmcnt(0)
	v_mul_f32_e32 v92, v168, v248
	v_add_f32_e32 v249, v249, v250
	v_mul_f32_e32 v250, v167, v248
	v_fma_f32 v92, v167, v247, -v92
	v_fmac_f32_e32 v250, v168, v247
	v_add_f32_e32 v91, v91, v92
	v_add_f32_e32 v249, v249, v250
	v_sub_f32_e32 v91, v193, v91
	v_sub_f32_e32 v92, v194, v249
	buffer_store_dword v91, off, s[0:3], 0 offset:32
	buffer_store_dword v92, off, s[0:3], 0 offset:36
	s_and_saveexec_b64 s[4:5], vcc
	s_cbranch_execz .LBB43_271
; %bb.270:
	buffer_load_dword v91, off, s[0:3], 0 offset:24
	buffer_load_dword v92, off, s[0:3], 0 offset:28
	s_waitcnt vmcnt(0)
	ds_write_b64 v89, v[91:92]
	buffer_store_dword v90, off, s[0:3], 0 offset:24
	buffer_store_dword v90, off, s[0:3], 0 offset:28
.LBB43_271:
	s_or_b64 exec, exec, s[4:5]
	s_waitcnt lgkmcnt(0)
	; wave barrier
	buffer_load_dword v171, off, s[0:3], 0 offset:36
	buffer_load_dword v172, off, s[0:3], 0 offset:44
	;; [unrolled: 1-line block ×28, first 2 shown]
	ds_read_b128 v[91:94], v90 offset:384
	ds_read_b128 v[95:98], v90 offset:400
	;; [unrolled: 1-line block ×4, first 2 shown]
	buffer_load_dword v199, off, s[0:3], 0 offset:136
	buffer_load_dword v200, off, s[0:3], 0 offset:140
	ds_read_b128 v[107:110], v90 offset:448
	ds_read_b128 v[111:114], v90 offset:464
	buffer_load_dword v201, off, s[0:3], 0 offset:144
	buffer_load_dword v202, off, s[0:3], 0 offset:148
	buffer_load_dword v203, off, s[0:3], 0 offset:152
	buffer_load_dword v204, off, s[0:3], 0 offset:156
	buffer_load_dword v205, off, s[0:3], 0 offset:160
	buffer_load_dword v206, off, s[0:3], 0 offset:164
	buffer_load_dword v207, off, s[0:3], 0 offset:168
	buffer_load_dword v208, off, s[0:3], 0 offset:172
	buffer_load_dword v209, off, s[0:3], 0 offset:176
	buffer_load_dword v210, off, s[0:3], 0 offset:180
	buffer_load_dword v211, off, s[0:3], 0 offset:184
	buffer_load_dword v212, off, s[0:3], 0 offset:188
	buffer_load_dword v213, off, s[0:3], 0 offset:192
	buffer_load_dword v214, off, s[0:3], 0 offset:196
	buffer_load_dword v215, off, s[0:3], 0 offset:200
	buffer_load_dword v216, off, s[0:3], 0 offset:204
	buffer_load_dword v217, off, s[0:3], 0 offset:208
	buffer_load_dword v218, off, s[0:3], 0 offset:212
	buffer_load_dword v219, off, s[0:3], 0 offset:216
	buffer_load_dword v220, off, s[0:3], 0 offset:220
	buffer_load_dword v221, off, s[0:3], 0 offset:224
	buffer_load_dword v222, off, s[0:3], 0 offset:228
	buffer_load_dword v223, off, s[0:3], 0 offset:236
	buffer_load_dword v224, off, s[0:3], 0 offset:232
	buffer_load_dword v225, off, s[0:3], 0 offset:240
	buffer_load_dword v226, off, s[0:3], 0 offset:244
	buffer_load_dword v227, off, s[0:3], 0 offset:248
	buffer_load_dword v228, off, s[0:3], 0 offset:252
	v_cmp_lt_u32_e32 vcc, 2, v0
	s_waitcnt vmcnt(57) lgkmcnt(5)
	v_mul_f32_e32 v115, v91, v171
	s_waitcnt vmcnt(56)
	v_mul_f32_e32 v116, v93, v172
	s_waitcnt vmcnt(55) lgkmcnt(4)
	v_mul_f32_e32 v117, v95, v173
	s_waitcnt vmcnt(54)
	v_mul_f32_e32 v118, v97, v174
	;; [unrolled: 4-line block ×5, first 2 shown]
	s_waitcnt vmcnt(47) lgkmcnt(0)
	v_mul_f32_e32 v125, v111, v181
	s_waitcnt vmcnt(46)
	v_fmac_f32_e32 v115, v92, v182
	s_waitcnt vmcnt(45)
	v_fmac_f32_e32 v116, v94, v183
	v_add_f32_e32 v115, 0, v115
	s_waitcnt vmcnt(44)
	v_fmac_f32_e32 v117, v96, v184
	v_add_f32_e32 v115, v115, v116
	;; [unrolled: 3-line block ×10, first 2 shown]
	v_add_f32_e32 v119, v115, v125
	ds_read_b128 v[115:118], v90 offset:480
	buffer_load_dword v229, off, s[0:3], 0 offset:256
	buffer_load_dword v230, off, s[0:3], 0 offset:260
	s_waitcnt vmcnt(37)
	v_mul_f32_e32 v120, v113, v193
	s_waitcnt vmcnt(36)
	v_fmac_f32_e32 v120, v114, v194
	v_add_f32_e32 v123, v119, v120
	ds_read_b128 v[119:122], v90 offset:496
	buffer_load_dword v231, off, s[0:3], 0 offset:268
	buffer_load_dword v232, off, s[0:3], 0 offset:264
	buffer_load_dword v233, off, s[0:3], 0 offset:272
	buffer_load_dword v234, off, s[0:3], 0 offset:276
	buffer_load_dword v235, off, s[0:3], 0 offset:280
	buffer_load_dword v236, off, s[0:3], 0 offset:284
	buffer_load_dword v237, off, s[0:3], 0 offset:288
	buffer_load_dword v238, off, s[0:3], 0 offset:292
	buffer_load_dword v239, off, s[0:3], 0 offset:300
	buffer_load_dword v240, off, s[0:3], 0 offset:296
	buffer_load_dword v241, off, s[0:3], 0 offset:304
	buffer_load_dword v242, off, s[0:3], 0 offset:308
	s_waitcnt vmcnt(47) lgkmcnt(1)
	v_mul_f32_e32 v124, v115, v195
	s_waitcnt vmcnt(44)
	v_fmac_f32_e32 v124, v116, v198
	buffer_load_dword v243, off, s[0:3], 0 offset:312
	buffer_load_dword v244, off, s[0:3], 0 offset:316
	v_add_f32_e32 v123, v123, v124
	s_waitcnt vmcnt(44)
	v_mul_f32_e32 v124, v117, v200
	v_fmac_f32_e32 v124, v118, v199
	v_add_f32_e32 v123, v123, v124
	s_waitcnt vmcnt(42) lgkmcnt(0)
	v_mul_f32_e32 v124, v119, v202
	buffer_load_dword v245, off, s[0:3], 0 offset:320
	buffer_load_dword v246, off, s[0:3], 0 offset:324
	v_fmac_f32_e32 v124, v120, v201
	v_add_f32_e32 v123, v123, v124
	s_waitcnt vmcnt(42)
	v_mul_f32_e32 v124, v121, v204
	v_fmac_f32_e32 v124, v122, v203
	v_add_f32_e32 v131, v123, v124
	ds_read_b128 v[123:126], v90 offset:512
	buffer_load_dword v247, off, s[0:3], 0 offset:332
	buffer_load_dword v248, off, s[0:3], 0 offset:328
	;; [unrolled: 1-line block ×4, first 2 shown]
	ds_read_b128 v[127:130], v90 offset:528
	buffer_load_dword v251, off, s[0:3], 0 offset:344
	buffer_load_dword v252, off, s[0:3], 0 offset:348
	v_mul_f32_e32 v92, v92, v171
	v_fma_f32 v91, v91, v182, -v92
	v_mul_f32_e32 v92, v94, v172
	v_add_f32_e32 v91, 0, v91
	v_fma_f32 v92, v93, v183, -v92
	v_add_f32_e32 v91, v91, v92
	v_mul_f32_e32 v92, v96, v173
	v_fma_f32 v92, v95, v184, -v92
	v_add_f32_e32 v91, v91, v92
	v_mul_f32_e32 v92, v98, v174
	;; [unrolled: 3-line block ×7, first 2 shown]
	s_waitcnt vmcnt(46) lgkmcnt(1)
	v_mul_f32_e32 v132, v123, v206
	v_fma_f32 v92, v107, v190, -v92
	v_fmac_f32_e32 v132, v124, v205
	v_add_f32_e32 v91, v91, v92
	v_mul_f32_e32 v92, v110, v180
	v_add_f32_e32 v131, v131, v132
	s_waitcnt vmcnt(44)
	v_mul_f32_e32 v132, v125, v208
	v_fma_f32 v92, v109, v191, -v92
	v_fmac_f32_e32 v132, v126, v207
	v_add_f32_e32 v91, v91, v92
	v_mul_f32_e32 v92, v112, v181
	v_add_f32_e32 v131, v131, v132
	s_waitcnt vmcnt(42) lgkmcnt(0)
	v_mul_f32_e32 v132, v127, v210
	v_fma_f32 v92, v111, v192, -v92
	v_fmac_f32_e32 v132, v128, v209
	v_add_f32_e32 v91, v91, v92
	v_mul_f32_e32 v92, v114, v193
	v_add_f32_e32 v135, v131, v132
	ds_read_b128 v[131:134], v90 offset:544
	v_fma_f32 v92, v113, v194, -v92
	v_add_f32_e32 v91, v91, v92
	v_mul_f32_e32 v92, v116, v195
	s_waitcnt vmcnt(40)
	v_mul_f32_e32 v136, v129, v212
	v_fma_f32 v92, v115, v198, -v92
	v_fmac_f32_e32 v136, v130, v211
	v_add_f32_e32 v91, v91, v92
	v_mul_f32_e32 v92, v118, v200
	v_add_f32_e32 v139, v135, v136
	ds_read_b128 v[135:138], v90 offset:560
	v_fma_f32 v92, v117, v199, -v92
	s_waitcnt vmcnt(38) lgkmcnt(1)
	v_mul_f32_e32 v140, v131, v214
	v_add_f32_e32 v91, v91, v92
	v_mul_f32_e32 v92, v120, v202
	v_fmac_f32_e32 v140, v132, v213
	v_fma_f32 v92, v119, v201, -v92
	v_add_f32_e32 v139, v139, v140
	s_waitcnt vmcnt(36)
	v_mul_f32_e32 v140, v133, v216
	v_add_f32_e32 v91, v91, v92
	v_mul_f32_e32 v92, v122, v204
	v_fmac_f32_e32 v140, v134, v215
	v_fma_f32 v92, v121, v203, -v92
	v_add_f32_e32 v139, v139, v140
	s_waitcnt vmcnt(34) lgkmcnt(0)
	v_mul_f32_e32 v140, v135, v218
	v_add_f32_e32 v91, v91, v92
	v_mul_f32_e32 v92, v124, v206
	v_fmac_f32_e32 v140, v136, v217
	v_fma_f32 v92, v123, v205, -v92
	v_add_f32_e32 v143, v139, v140
	ds_read_b128 v[139:142], v90 offset:576
	v_add_f32_e32 v91, v91, v92
	v_mul_f32_e32 v92, v126, v208
	v_fma_f32 v92, v125, v207, -v92
	s_waitcnt vmcnt(32)
	v_mul_f32_e32 v144, v137, v220
	v_add_f32_e32 v91, v91, v92
	v_mul_f32_e32 v92, v128, v210
	v_fmac_f32_e32 v144, v138, v219
	v_fma_f32 v92, v127, v209, -v92
	v_add_f32_e32 v147, v143, v144
	ds_read_b128 v[143:146], v90 offset:592
	v_add_f32_e32 v91, v91, v92
	v_mul_f32_e32 v92, v130, v212
	s_waitcnt vmcnt(30) lgkmcnt(1)
	v_mul_f32_e32 v148, v139, v222
	v_fma_f32 v92, v129, v211, -v92
	v_fmac_f32_e32 v148, v140, v221
	v_add_f32_e32 v91, v91, v92
	v_mul_f32_e32 v92, v132, v214
	v_add_f32_e32 v147, v147, v148
	s_waitcnt vmcnt(29)
	v_mul_f32_e32 v148, v141, v223
	v_fma_f32 v92, v131, v213, -v92
	s_waitcnt vmcnt(28)
	v_fmac_f32_e32 v148, v142, v224
	v_add_f32_e32 v91, v91, v92
	v_mul_f32_e32 v92, v134, v216
	v_add_f32_e32 v147, v147, v148
	s_waitcnt vmcnt(26) lgkmcnt(0)
	v_mul_f32_e32 v148, v143, v226
	v_fma_f32 v92, v133, v215, -v92
	v_fmac_f32_e32 v148, v144, v225
	v_add_f32_e32 v91, v91, v92
	v_mul_f32_e32 v92, v136, v218
	v_add_f32_e32 v151, v147, v148
	ds_read_b128 v[147:150], v90 offset:608
	v_fma_f32 v92, v135, v217, -v92
	v_add_f32_e32 v91, v91, v92
	v_mul_f32_e32 v92, v138, v220
	s_waitcnt vmcnt(24)
	v_mul_f32_e32 v152, v145, v228
	v_fma_f32 v92, v137, v219, -v92
	v_fmac_f32_e32 v152, v146, v227
	v_add_f32_e32 v91, v91, v92
	v_mul_f32_e32 v92, v140, v222
	v_add_f32_e32 v155, v151, v152
	ds_read_b128 v[151:154], v90 offset:624
	v_fma_f32 v92, v139, v221, -v92
	s_waitcnt vmcnt(22) lgkmcnt(1)
	v_mul_f32_e32 v156, v147, v230
	v_add_f32_e32 v91, v91, v92
	v_mul_f32_e32 v92, v142, v223
	v_fmac_f32_e32 v156, v148, v229
	v_fma_f32 v92, v141, v224, -v92
	v_add_f32_e32 v155, v155, v156
	s_waitcnt vmcnt(21)
	v_mul_f32_e32 v156, v149, v231
	v_add_f32_e32 v91, v91, v92
	v_mul_f32_e32 v92, v144, v226
	s_waitcnt vmcnt(20)
	v_fmac_f32_e32 v156, v150, v232
	v_fma_f32 v92, v143, v225, -v92
	v_add_f32_e32 v155, v155, v156
	s_waitcnt vmcnt(18) lgkmcnt(0)
	v_mul_f32_e32 v156, v151, v234
	v_add_f32_e32 v91, v91, v92
	v_mul_f32_e32 v92, v146, v228
	v_fmac_f32_e32 v156, v152, v233
	v_fma_f32 v92, v145, v227, -v92
	v_add_f32_e32 v159, v155, v156
	ds_read_b128 v[155:158], v90 offset:640
	v_add_f32_e32 v91, v91, v92
	v_mul_f32_e32 v92, v148, v230
	v_fma_f32 v92, v147, v229, -v92
	s_waitcnt vmcnt(16)
	v_mul_f32_e32 v160, v153, v236
	v_add_f32_e32 v91, v91, v92
	v_mul_f32_e32 v92, v150, v231
	v_fmac_f32_e32 v160, v154, v235
	v_fma_f32 v92, v149, v232, -v92
	v_add_f32_e32 v163, v159, v160
	ds_read_b128 v[159:162], v90 offset:656
	v_add_f32_e32 v91, v91, v92
	v_mul_f32_e32 v92, v152, v234
	s_waitcnt vmcnt(14) lgkmcnt(1)
	v_mul_f32_e32 v164, v155, v238
	v_fma_f32 v92, v151, v233, -v92
	v_fmac_f32_e32 v164, v156, v237
	v_add_f32_e32 v91, v91, v92
	v_mul_f32_e32 v92, v154, v236
	v_add_f32_e32 v163, v163, v164
	s_waitcnt vmcnt(13)
	v_mul_f32_e32 v164, v157, v239
	v_fma_f32 v92, v153, v235, -v92
	s_waitcnt vmcnt(12)
	v_fmac_f32_e32 v164, v158, v240
	v_add_f32_e32 v91, v91, v92
	v_mul_f32_e32 v92, v156, v238
	v_add_f32_e32 v163, v163, v164
	s_waitcnt vmcnt(10) lgkmcnt(0)
	v_mul_f32_e32 v164, v159, v242
	v_fma_f32 v92, v155, v237, -v92
	v_fmac_f32_e32 v164, v160, v241
	v_add_f32_e32 v91, v91, v92
	v_mul_f32_e32 v92, v158, v239
	v_add_f32_e32 v167, v163, v164
	ds_read_b128 v[163:166], v90 offset:672
	v_fma_f32 v92, v157, v240, -v92
	v_add_f32_e32 v91, v91, v92
	v_mul_f32_e32 v92, v160, v242
	s_waitcnt vmcnt(8)
	v_mul_f32_e32 v168, v161, v244
	v_fma_f32 v92, v159, v241, -v92
	v_fmac_f32_e32 v168, v162, v243
	v_add_f32_e32 v91, v91, v92
	v_mul_f32_e32 v92, v162, v244
	v_add_f32_e32 v253, v167, v168
	ds_read_b128 v[167:170], v90 offset:688
	v_fma_f32 v92, v161, v243, -v92
	v_add_f32_e32 v91, v91, v92
	s_waitcnt vmcnt(6) lgkmcnt(1)
	v_mul_f32_e32 v92, v164, v246
	v_mul_f32_e32 v90, v163, v246
	v_fma_f32 v92, v163, v245, -v92
	v_fmac_f32_e32 v90, v164, v245
	v_add_f32_e32 v91, v91, v92
	s_waitcnt vmcnt(5)
	v_mul_f32_e32 v92, v166, v247
	v_add_f32_e32 v90, v253, v90
	v_mul_f32_e32 v253, v165, v247
	s_waitcnt vmcnt(4)
	v_fma_f32 v92, v165, v248, -v92
	v_fmac_f32_e32 v253, v166, v248
	v_add_f32_e32 v91, v91, v92
	s_waitcnt vmcnt(2) lgkmcnt(0)
	v_mul_f32_e32 v92, v168, v250
	v_add_f32_e32 v90, v90, v253
	v_mul_f32_e32 v253, v167, v250
	v_fma_f32 v92, v167, v249, -v92
	v_fmac_f32_e32 v253, v168, v249
	v_add_f32_e32 v91, v91, v92
	s_waitcnt vmcnt(0)
	v_mul_f32_e32 v92, v170, v252
	v_add_f32_e32 v90, v90, v253
	v_mul_f32_e32 v253, v169, v252
	v_fma_f32 v92, v169, v251, -v92
	v_fmac_f32_e32 v253, v170, v251
	v_add_f32_e32 v91, v91, v92
	v_add_f32_e32 v90, v90, v253
	v_sub_f32_e32 v91, v196, v91
	v_sub_f32_e32 v90, v197, v90
	buffer_store_dword v91, off, s[0:3], 0 offset:24
	buffer_store_dword v90, off, s[0:3], 0 offset:28
	s_and_saveexec_b64 s[4:5], vcc
	s_cbranch_execz .LBB43_273
; %bb.272:
	buffer_load_dword v90, off, s[0:3], 0 offset:16
	buffer_load_dword v91, off, s[0:3], 0 offset:20
	v_mov_b32_e32 v92, 0
	buffer_store_dword v92, off, s[0:3], 0 offset:16
	buffer_store_dword v92, off, s[0:3], 0 offset:20
	s_waitcnt vmcnt(2)
	ds_write_b64 v89, v[90:91]
.LBB43_273:
	s_or_b64 exec, exec, s[4:5]
	s_waitcnt lgkmcnt(0)
	; wave barrier
	buffer_load_dword v99, off, s[0:3], 0 offset:28
	buffer_load_dword v98, off, s[0:3], 0 offset:36
	;; [unrolled: 1-line block ×50, first 2 shown]
	v_mov_b32_e32 v90, 0
	ds_read2_b64 v[100:103], v90 offset0:47 offset1:48
	ds_read2_b64 v[104:107], v90 offset0:49 offset1:50
	;; [unrolled: 1-line block ×6, first 2 shown]
	buffer_load_dword v223, off, s[0:3], 0 offset:216
	buffer_load_dword v224, off, s[0:3], 0 offset:220
	;; [unrolled: 1-line block ×6, first 2 shown]
	v_cmp_lt_u32_e32 vcc, 1, v0
	s_waitcnt vmcnt(55) lgkmcnt(5)
	v_mul_f32_e32 v124, v100, v99
	s_waitcnt vmcnt(54)
	v_mul_f32_e32 v125, v102, v98
	s_waitcnt vmcnt(53) lgkmcnt(4)
	v_mul_f32_e32 v126, v104, v97
	s_waitcnt vmcnt(52)
	v_mul_f32_e32 v127, v106, v96
	;; [unrolled: 4-line block ×5, first 2 shown]
	s_waitcnt vmcnt(45) lgkmcnt(0)
	v_mul_f32_e32 v134, v120, v185
	s_waitcnt vmcnt(44)
	v_fmac_f32_e32 v126, v105, v186
	s_waitcnt vmcnt(43)
	v_fmac_f32_e32 v125, v103, v187
	;; [unrolled: 2-line block ×3, first 2 shown]
	v_add_f32_e32 v124, 0, v124
	v_add_f32_e32 v124, v124, v125
	;; [unrolled: 1-line block ×3, first 2 shown]
	s_waitcnt vmcnt(38)
	v_fmac_f32_e32 v127, v107, v192
	v_fmac_f32_e32 v128, v109, v191
	v_add_f32_e32 v124, v124, v127
	v_fmac_f32_e32 v129, v111, v190
	v_add_f32_e32 v124, v124, v128
	;; [unrolled: 2-line block ×3, first 2 shown]
	s_waitcnt vmcnt(34)
	v_fmac_f32_e32 v131, v115, v196
	v_add_f32_e32 v124, v124, v130
	v_fmac_f32_e32 v132, v117, v195
	v_add_f32_e32 v124, v124, v131
	;; [unrolled: 2-line block ×4, first 2 shown]
	v_add_f32_e32 v128, v124, v134
	ds_read2_b64 v[124:127], v90 offset0:59 offset1:60
	buffer_load_dword v229, off, s[0:3], 0 offset:240
	buffer_load_dword v230, off, s[0:3], 0 offset:244
	s_waitcnt vmcnt(35)
	v_mul_f32_e32 v129, v122, v197
	s_waitcnt vmcnt(29)
	v_fmac_f32_e32 v129, v123, v203
	v_add_f32_e32 v132, v128, v129
	ds_read2_b64 v[128:131], v90 offset0:61 offset1:62
	buffer_load_dword v231, off, s[0:3], 0 offset:248
	buffer_load_dword v232, off, s[0:3], 0 offset:252
	;; [unrolled: 1-line block ×14, first 2 shown]
	s_waitcnt vmcnt(42) lgkmcnt(1)
	v_mul_f32_e32 v133, v124, v204
	v_fmac_f32_e32 v133, v125, v202
	buffer_load_dword v245, off, s[0:3], 0 offset:304
	buffer_load_dword v246, off, s[0:3], 0 offset:308
	v_add_f32_e32 v132, v132, v133
	v_mul_f32_e32 v133, v126, v199
	v_fmac_f32_e32 v133, v127, v198
	v_add_f32_e32 v132, v132, v133
	s_waitcnt lgkmcnt(0)
	v_mul_f32_e32 v133, v128, v201
	v_fmac_f32_e32 v133, v129, v200
	v_add_f32_e32 v136, v132, v133
	ds_read2_b64 v[132:135], v90 offset0:63 offset1:64
	buffer_load_dword v247, off, s[0:3], 0 offset:312
	buffer_load_dword v248, off, s[0:3], 0 offset:316
	;; [unrolled: 1-line block ×6, first 2 shown]
	s_waitcnt vmcnt(46)
	v_mul_f32_e32 v137, v130, v206
	v_fmac_f32_e32 v137, v131, v205
	v_add_f32_e32 v140, v136, v137
	ds_read2_b64 v[136:139], v90 offset0:65 offset1:66
	buffer_load_dword v253, off, s[0:3], 0 offset:340
	buffer_load_dword v254, off, s[0:3], 0 offset:344
	;; [unrolled: 1-line block ×4, first 2 shown]
	s_waitcnt vmcnt(48) lgkmcnt(1)
	v_mul_f32_e32 v141, v132, v208
	v_fmac_f32_e32 v141, v133, v207
	v_add_f32_e32 v2, v140, v141
	s_waitcnt vmcnt(46)
	v_mul_f32_e32 v140, v134, v210
	v_fmac_f32_e32 v140, v135, v209
	v_add_f32_e32 v2, v2, v140
	s_waitcnt vmcnt(44) lgkmcnt(0)
	v_mul_f32_e32 v140, v136, v212
	v_fmac_f32_e32 v140, v137, v211
	v_add_f32_e32 v2, v2, v140
	ds_read2_b64 v[140:143], v90 offset0:67 offset1:68
	s_waitcnt vmcnt(42)
	v_mul_f32_e32 v144, v138, v214
	v_fmac_f32_e32 v144, v139, v213
	v_add_f32_e32 v2, v2, v144
	ds_read2_b64 v[144:147], v90 offset0:69 offset1:70
	s_waitcnt vmcnt(40) lgkmcnt(1)
	v_mul_f32_e32 v148, v140, v216
	v_fmac_f32_e32 v148, v141, v215
	v_add_f32_e32 v2, v2, v148
	s_waitcnt vmcnt(38)
	v_mul_f32_e32 v148, v142, v218
	v_fmac_f32_e32 v148, v143, v217
	v_add_f32_e32 v2, v2, v148
	s_waitcnt vmcnt(36) lgkmcnt(0)
	v_mul_f32_e32 v148, v144, v220
	v_fmac_f32_e32 v148, v145, v219
	v_add_f32_e32 v2, v2, v148
	ds_read2_b64 v[148:151], v90 offset0:71 offset1:72
	s_waitcnt vmcnt(34)
	v_mul_f32_e32 v152, v146, v222
	v_fmac_f32_e32 v152, v147, v221
	v_add_f32_e32 v2, v2, v152
	ds_read2_b64 v[152:155], v90 offset0:73 offset1:74
	s_waitcnt vmcnt(32) lgkmcnt(1)
	v_mul_f32_e32 v156, v148, v224
	v_fmac_f32_e32 v156, v149, v223
	v_add_f32_e32 v2, v2, v156
	s_waitcnt vmcnt(31)
	v_mul_f32_e32 v156, v150, v225
	s_waitcnt vmcnt(28)
	v_fmac_f32_e32 v156, v151, v228
	v_add_f32_e32 v2, v2, v156
	s_waitcnt lgkmcnt(0)
	v_mul_f32_e32 v156, v152, v227
	v_fmac_f32_e32 v156, v153, v226
	v_add_f32_e32 v2, v2, v156
	ds_read2_b64 v[156:159], v90 offset0:75 offset1:76
	v_mul_f32_e32 v4, v103, v98
	v_fma_f32 v4, v102, v187, -v4
	s_waitcnt vmcnt(26)
	v_mul_f32_e32 v160, v154, v230
	v_fmac_f32_e32 v160, v155, v229
	v_add_f32_e32 v2, v2, v160
	ds_read2_b64 v[160:163], v90 offset0:77 offset1:78
	s_waitcnt vmcnt(24) lgkmcnt(1)
	v_mul_f32_e32 v164, v156, v232
	v_fmac_f32_e32 v164, v157, v231
	v_add_f32_e32 v2, v2, v164
	s_waitcnt vmcnt(23)
	v_mul_f32_e32 v164, v158, v233
	s_waitcnt vmcnt(20)
	v_fmac_f32_e32 v164, v159, v236
	v_add_f32_e32 v2, v2, v164
	s_waitcnt lgkmcnt(0)
	v_mul_f32_e32 v164, v160, v235
	v_fmac_f32_e32 v164, v161, v234
	v_add_f32_e32 v2, v2, v164
	ds_read2_b64 v[164:167], v90 offset0:79 offset1:80
	s_waitcnt vmcnt(18)
	v_mul_f32_e32 v168, v162, v238
	v_fmac_f32_e32 v168, v163, v237
	v_add_f32_e32 v2, v2, v168
	ds_read2_b64 v[168:171], v90 offset0:81 offset1:82
	s_waitcnt vmcnt(16) lgkmcnt(1)
	v_mul_f32_e32 v172, v164, v240
	v_fmac_f32_e32 v172, v165, v239
	v_add_f32_e32 v2, v2, v172
	s_waitcnt vmcnt(15)
	v_mul_f32_e32 v172, v166, v241
	s_waitcnt vmcnt(12)
	v_fmac_f32_e32 v172, v167, v244
	v_add_f32_e32 v2, v2, v172
	s_waitcnt lgkmcnt(0)
	v_mul_f32_e32 v172, v168, v243
	v_fmac_f32_e32 v172, v169, v242
	v_add_f32_e32 v2, v2, v172
	ds_read2_b64 v[172:175], v90 offset0:83 offset1:84
	s_waitcnt vmcnt(10)
	v_mul_f32_e32 v176, v170, v246
	v_fmac_f32_e32 v176, v171, v245
	v_add_f32_e32 v2, v2, v176
	ds_read2_b64 v[176:179], v90 offset0:85 offset1:86
	s_waitcnt vmcnt(8) lgkmcnt(1)
	v_mul_f32_e32 v180, v172, v248
	v_fmac_f32_e32 v180, v173, v247
	v_add_f32_e32 v2, v2, v180
	s_waitcnt vmcnt(7)
	v_mul_f32_e32 v180, v174, v249
	s_waitcnt vmcnt(4)
	v_fmac_f32_e32 v180, v175, v252
	v_add_f32_e32 v2, v2, v180
	ds_read_b64 v[180:181], v90 offset:696
	s_waitcnt lgkmcnt(1)
	v_mul_f32_e32 v3, v176, v251
	v_fmac_f32_e32 v3, v177, v250
	v_add_f32_e32 v2, v2, v3
	s_waitcnt vmcnt(3)
	v_mul_f32_e32 v3, v178, v253
	s_waitcnt vmcnt(0)
	v_fmac_f32_e32 v3, v179, v1
	v_add_f32_e32 v2, v2, v3
	s_waitcnt lgkmcnt(0)
	v_mul_f32_e32 v3, v180, v255
	v_fmac_f32_e32 v3, v181, v254
	v_add_f32_e32 v2, v2, v3
	v_mul_f32_e32 v3, v101, v99
	v_fma_f32 v3, v100, v188, -v3
	v_add_f32_e32 v3, 0, v3
	v_add_f32_e32 v3, v3, v4
	v_mul_f32_e32 v4, v105, v97
	v_fma_f32 v4, v104, v186, -v4
	v_add_f32_e32 v3, v3, v4
	v_mul_f32_e32 v4, v107, v96
	v_fma_f32 v4, v106, v192, -v4
	;; [unrolled: 3-line block ×39, first 2 shown]
	v_add_f32_e32 v1, v1, v3
	v_sub_f32_e32 v1, v93, v1
	v_sub_f32_e32 v2, v94, v2
	buffer_store_dword v1, off, s[0:3], 0 offset:16
	buffer_store_dword v2, off, s[0:3], 0 offset:20
	s_and_saveexec_b64 s[4:5], vcc
	s_cbranch_execz .LBB43_275
; %bb.274:
	buffer_load_dword v91, off, s[0:3], 0 offset:8
	buffer_load_dword v92, off, s[0:3], 0 offset:12
	s_waitcnt vmcnt(0)
	ds_write_b64 v89, v[91:92]
	buffer_store_dword v90, off, s[0:3], 0 offset:8
	buffer_store_dword v90, off, s[0:3], 0 offset:12
.LBB43_275:
	s_or_b64 exec, exec, s[4:5]
	s_waitcnt lgkmcnt(0)
	; wave barrier
	buffer_load_dword v1, off, s[0:3], 0 offset:20
	buffer_load_dword v2, off, s[0:3], 0 offset:28
	;; [unrolled: 1-line block ×32, first 2 shown]
	ds_read_b128 v[91:94], v90 offset:368
	ds_read_b128 v[95:98], v90 offset:384
	;; [unrolled: 1-line block ×6, first 2 shown]
	buffer_load_dword v203, off, s[0:3], 0 offset:136
	buffer_load_dword v204, off, s[0:3], 0 offset:140
	;; [unrolled: 1-line block ×18, first 2 shown]
	v_cmp_ne_u32_e32 vcc, 0, v0
	s_waitcnt vmcnt(49) lgkmcnt(5)
	v_mul_f32_e32 v115, v91, v1
	s_waitcnt vmcnt(48)
	v_mul_f32_e32 v116, v93, v2
	s_waitcnt vmcnt(47) lgkmcnt(4)
	v_mul_f32_e32 v117, v95, v3
	s_waitcnt vmcnt(46)
	v_mul_f32_e32 v118, v97, v4
	;; [unrolled: 4-line block ×6, first 2 shown]
	s_waitcnt vmcnt(37)
	v_fmac_f32_e32 v117, v96, v183
	s_waitcnt vmcnt(36)
	v_fmac_f32_e32 v116, v94, v184
	;; [unrolled: 2-line block ×3, first 2 shown]
	v_add_f32_e32 v115, 0, v115
	v_add_f32_e32 v115, v115, v116
	;; [unrolled: 1-line block ×3, first 2 shown]
	s_waitcnt vmcnt(31)
	v_fmac_f32_e32 v118, v98, v189
	v_fmac_f32_e32 v119, v100, v188
	v_add_f32_e32 v115, v115, v118
	v_fmac_f32_e32 v120, v102, v187
	v_add_f32_e32 v115, v115, v119
	;; [unrolled: 2-line block ×3, first 2 shown]
	s_waitcnt vmcnt(27)
	v_fmac_f32_e32 v122, v106, v193
	v_add_f32_e32 v115, v115, v121
	v_fmac_f32_e32 v123, v108, v192
	v_add_f32_e32 v115, v115, v122
	;; [unrolled: 2-line block ×3, first 2 shown]
	v_add_f32_e32 v119, v115, v124
	ds_read_b128 v[115:118], v90 offset:464
	buffer_load_dword v221, off, s[0:3], 0 offset:208
	buffer_load_dword v222, off, s[0:3], 0 offset:212
	;; [unrolled: 1-line block ×6, first 2 shown]
	v_fmac_f32_e32 v125, v112, v190
	s_waitcnt vmcnt(27)
	v_fmac_f32_e32 v126, v114, v199
	v_add_f32_e32 v119, v119, v125
	v_add_f32_e32 v123, v119, v126
	ds_read_b128 v[119:122], v90 offset:480
	buffer_load_dword v227, off, s[0:3], 0 offset:232
	buffer_load_dword v228, off, s[0:3], 0 offset:236
	;; [unrolled: 1-line block ×10, first 2 shown]
	s_waitcnt vmcnt(36) lgkmcnt(1)
	v_mul_f32_e32 v124, v115, v200
	buffer_load_dword v237, off, s[0:3], 0 offset:272
	buffer_load_dword v238, off, s[0:3], 0 offset:276
	;; [unrolled: 1-line block ×6, first 2 shown]
	v_fmac_f32_e32 v124, v116, v198
	v_add_f32_e32 v123, v123, v124
	v_mul_f32_e32 v124, v117, v195
	v_fmac_f32_e32 v124, v118, v194
	v_add_f32_e32 v123, v123, v124
	s_waitcnt lgkmcnt(0)
	v_mul_f32_e32 v124, v119, v197
	v_fmac_f32_e32 v124, v120, v196
	v_add_f32_e32 v127, v123, v124
	ds_read_b128 v[123:126], v90 offset:496
	buffer_load_dword v243, off, s[0:3], 0 offset:296
	buffer_load_dword v244, off, s[0:3], 0 offset:300
	s_waitcnt vmcnt(40)
	v_mul_f32_e32 v128, v121, v204
	v_fmac_f32_e32 v128, v122, v203
	v_add_f32_e32 v131, v127, v128
	ds_read_b128 v[127:130], v90 offset:512
	buffer_load_dword v245, off, s[0:3], 0 offset:304
	buffer_load_dword v246, off, s[0:3], 0 offset:308
	;; [unrolled: 1-line block ×12, first 2 shown]
	v_mul_f32_e32 v1, v92, v1
	v_fma_f32 v1, v91, v185, -v1
	v_mul_f32_e32 v2, v94, v2
	v_add_f32_e32 v1, 0, v1
	v_fma_f32 v2, v93, v184, -v2
	v_add_f32_e32 v1, v1, v2
	v_mul_f32_e32 v2, v96, v3
	v_fma_f32 v2, v95, v183, -v2
	v_add_f32_e32 v1, v1, v2
	v_mul_f32_e32 v2, v98, v4
	;; [unrolled: 3-line block ×6, first 2 shown]
	v_fma_f32 v2, v105, v193, -v2
	s_waitcnt vmcnt(50) lgkmcnt(1)
	v_mul_f32_e32 v132, v123, v206
	v_add_f32_e32 v1, v1, v2
	v_mul_f32_e32 v2, v108, v179
	v_fmac_f32_e32 v132, v124, v205
	v_fma_f32 v2, v107, v192, -v2
	v_add_f32_e32 v131, v131, v132
	s_waitcnt vmcnt(48)
	v_mul_f32_e32 v132, v125, v208
	v_add_f32_e32 v1, v1, v2
	v_mul_f32_e32 v2, v110, v180
	v_fmac_f32_e32 v132, v126, v207
	v_fma_f32 v2, v109, v191, -v2
	v_add_f32_e32 v6, v131, v132
	s_waitcnt vmcnt(46) lgkmcnt(0)
	v_mul_f32_e32 v131, v127, v210
	v_add_f32_e32 v1, v1, v2
	v_mul_f32_e32 v2, v112, v181
	v_fmac_f32_e32 v131, v128, v209
	v_fma_f32 v2, v111, v190, -v2
	v_add_f32_e32 v6, v6, v131
	ds_read_b128 v[131:134], v90 offset:528
	v_add_f32_e32 v1, v1, v2
	v_mul_f32_e32 v2, v114, v182
	v_fma_f32 v2, v113, v199, -v2
	s_waitcnt vmcnt(44)
	v_mul_f32_e32 v135, v129, v212
	v_add_f32_e32 v1, v1, v2
	v_mul_f32_e32 v2, v116, v200
	v_fmac_f32_e32 v135, v130, v211
	v_fma_f32 v2, v115, v198, -v2
	v_add_f32_e32 v6, v6, v135
	ds_read_b128 v[135:138], v90 offset:544
	v_add_f32_e32 v1, v1, v2
	v_mul_f32_e32 v2, v118, v195
	s_waitcnt vmcnt(42) lgkmcnt(1)
	v_mul_f32_e32 v139, v131, v214
	v_fma_f32 v2, v117, v194, -v2
	v_fmac_f32_e32 v139, v132, v213
	v_add_f32_e32 v1, v1, v2
	v_mul_f32_e32 v2, v120, v197
	v_add_f32_e32 v6, v6, v139
	s_waitcnt vmcnt(40)
	v_mul_f32_e32 v139, v133, v216
	v_fma_f32 v2, v119, v196, -v2
	v_fmac_f32_e32 v139, v134, v215
	v_add_f32_e32 v1, v1, v2
	v_mul_f32_e32 v2, v122, v204
	v_add_f32_e32 v6, v6, v139
	s_waitcnt vmcnt(38) lgkmcnt(0)
	v_mul_f32_e32 v139, v135, v218
	v_fma_f32 v2, v121, v203, -v2
	v_fmac_f32_e32 v139, v136, v217
	v_add_f32_e32 v1, v1, v2
	v_mul_f32_e32 v2, v124, v206
	v_add_f32_e32 v6, v6, v139
	ds_read_b128 v[139:142], v90 offset:560
	v_fma_f32 v2, v123, v205, -v2
	v_add_f32_e32 v1, v1, v2
	v_mul_f32_e32 v2, v126, v208
	s_waitcnt vmcnt(36)
	v_mul_f32_e32 v143, v137, v220
	v_fma_f32 v2, v125, v207, -v2
	v_fmac_f32_e32 v143, v138, v219
	v_add_f32_e32 v1, v1, v2
	v_mul_f32_e32 v2, v128, v210
	v_add_f32_e32 v6, v6, v143
	ds_read_b128 v[143:146], v90 offset:576
	v_fma_f32 v2, v127, v209, -v2
	s_waitcnt vmcnt(34) lgkmcnt(1)
	v_mul_f32_e32 v147, v139, v222
	v_add_f32_e32 v1, v1, v2
	v_mul_f32_e32 v2, v130, v212
	v_fmac_f32_e32 v147, v140, v221
	v_fma_f32 v2, v129, v211, -v2
	v_add_f32_e32 v6, v6, v147
	s_waitcnt vmcnt(33)
	v_mul_f32_e32 v147, v141, v223
	v_add_f32_e32 v1, v1, v2
	v_mul_f32_e32 v2, v132, v214
	s_waitcnt vmcnt(30)
	v_fmac_f32_e32 v147, v142, v226
	v_fma_f32 v2, v131, v213, -v2
	v_add_f32_e32 v6, v6, v147
	s_waitcnt lgkmcnt(0)
	v_mul_f32_e32 v147, v143, v225
	v_add_f32_e32 v1, v1, v2
	v_mul_f32_e32 v2, v134, v216
	v_fmac_f32_e32 v147, v144, v224
	v_fma_f32 v2, v133, v215, -v2
	v_add_f32_e32 v6, v6, v147
	ds_read_b128 v[147:150], v90 offset:592
	v_add_f32_e32 v1, v1, v2
	v_mul_f32_e32 v2, v136, v218
	v_fma_f32 v2, v135, v217, -v2
	s_waitcnt vmcnt(28)
	v_mul_f32_e32 v151, v145, v228
	v_add_f32_e32 v1, v1, v2
	v_mul_f32_e32 v2, v138, v220
	v_fmac_f32_e32 v151, v146, v227
	v_fma_f32 v2, v137, v219, -v2
	v_add_f32_e32 v6, v6, v151
	ds_read_b128 v[151:154], v90 offset:608
	v_add_f32_e32 v1, v1, v2
	v_mul_f32_e32 v2, v140, v222
	s_waitcnt vmcnt(26) lgkmcnt(1)
	v_mul_f32_e32 v155, v147, v230
	v_fma_f32 v2, v139, v221, -v2
	v_fmac_f32_e32 v155, v148, v229
	v_add_f32_e32 v1, v1, v2
	v_mul_f32_e32 v2, v142, v223
	v_add_f32_e32 v6, v6, v155
	s_waitcnt vmcnt(25)
	v_mul_f32_e32 v155, v149, v231
	v_fma_f32 v2, v141, v226, -v2
	s_waitcnt vmcnt(22)
	v_fmac_f32_e32 v155, v150, v234
	v_add_f32_e32 v1, v1, v2
	v_mul_f32_e32 v2, v144, v225
	v_add_f32_e32 v6, v6, v155
	s_waitcnt lgkmcnt(0)
	v_mul_f32_e32 v155, v151, v233
	v_fma_f32 v2, v143, v224, -v2
	v_fmac_f32_e32 v155, v152, v232
	v_add_f32_e32 v1, v1, v2
	v_mul_f32_e32 v2, v146, v228
	v_add_f32_e32 v6, v6, v155
	ds_read_b128 v[155:158], v90 offset:624
	v_fma_f32 v2, v145, v227, -v2
	v_add_f32_e32 v1, v1, v2
	v_mul_f32_e32 v2, v148, v230
	s_waitcnt vmcnt(20)
	v_mul_f32_e32 v159, v153, v236
	v_fma_f32 v2, v147, v229, -v2
	v_fmac_f32_e32 v159, v154, v235
	v_add_f32_e32 v1, v1, v2
	v_mul_f32_e32 v2, v150, v231
	v_add_f32_e32 v6, v6, v159
	ds_read_b128 v[159:162], v90 offset:640
	v_fma_f32 v2, v149, v234, -v2
	s_waitcnt vmcnt(18) lgkmcnt(1)
	v_mul_f32_e32 v163, v155, v238
	v_add_f32_e32 v1, v1, v2
	v_mul_f32_e32 v2, v152, v233
	v_fmac_f32_e32 v163, v156, v237
	v_fma_f32 v2, v151, v232, -v2
	v_add_f32_e32 v6, v6, v163
	s_waitcnt vmcnt(17)
	v_mul_f32_e32 v163, v157, v239
	v_add_f32_e32 v1, v1, v2
	v_mul_f32_e32 v2, v154, v236
	s_waitcnt vmcnt(14)
	v_fmac_f32_e32 v163, v158, v242
	v_fma_f32 v2, v153, v235, -v2
	v_add_f32_e32 v6, v6, v163
	s_waitcnt lgkmcnt(0)
	v_mul_f32_e32 v163, v159, v241
	v_add_f32_e32 v1, v1, v2
	v_mul_f32_e32 v2, v156, v238
	v_fmac_f32_e32 v163, v160, v240
	v_fma_f32 v2, v155, v237, -v2
	v_add_f32_e32 v6, v6, v163
	ds_read_b128 v[163:166], v90 offset:656
	v_add_f32_e32 v1, v1, v2
	v_mul_f32_e32 v2, v158, v239
	v_fma_f32 v2, v157, v242, -v2
	v_add_f32_e32 v1, v1, v2
	v_mul_f32_e32 v2, v160, v241
	s_waitcnt vmcnt(12)
	v_mul_f32_e32 v167, v161, v244
	v_fma_f32 v2, v159, v240, -v2
	v_fmac_f32_e32 v167, v162, v243
	v_add_f32_e32 v1, v1, v2
	v_mul_f32_e32 v2, v162, v244
	v_add_f32_e32 v6, v6, v167
	ds_read_b128 v[167:170], v90 offset:672
	s_waitcnt vmcnt(10) lgkmcnt(1)
	v_mul_f32_e32 v171, v163, v246
	v_fma_f32 v2, v161, v243, -v2
	v_fmac_f32_e32 v171, v164, v245
	v_add_f32_e32 v1, v1, v2
	v_mul_f32_e32 v2, v164, v246
	v_add_f32_e32 v6, v6, v171
	s_waitcnt vmcnt(9)
	v_mul_f32_e32 v171, v165, v247
	v_fma_f32 v2, v163, v245, -v2
	s_waitcnt vmcnt(6)
	v_fmac_f32_e32 v171, v166, v250
	v_add_f32_e32 v1, v1, v2
	v_mul_f32_e32 v2, v166, v247
	v_add_f32_e32 v6, v6, v171
	ds_read_b128 v[171:174], v90 offset:688
	v_fma_f32 v2, v165, v250, -v2
	v_add_f32_e32 v1, v1, v2
	s_waitcnt lgkmcnt(1)
	v_mul_f32_e32 v2, v168, v249
	v_mul_f32_e32 v7, v167, v249
	v_fma_f32 v2, v167, v248, -v2
	v_fmac_f32_e32 v7, v168, v248
	v_add_f32_e32 v1, v1, v2
	s_waitcnt vmcnt(4)
	v_mul_f32_e32 v2, v170, v252
	v_add_f32_e32 v6, v6, v7
	v_mul_f32_e32 v7, v169, v252
	v_fma_f32 v2, v169, v251, -v2
	v_fmac_f32_e32 v7, v170, v251
	v_add_f32_e32 v1, v1, v2
	s_waitcnt vmcnt(3) lgkmcnt(0)
	v_mul_f32_e32 v2, v172, v253
	v_add_f32_e32 v6, v6, v7
	v_mul_f32_e32 v7, v171, v253
	s_waitcnt vmcnt(0)
	v_fma_f32 v2, v171, v5, -v2
	v_fmac_f32_e32 v7, v172, v5
	v_add_f32_e32 v1, v1, v2
	v_mul_f32_e32 v2, v174, v255
	v_add_f32_e32 v6, v6, v7
	v_mul_f32_e32 v7, v173, v255
	v_fma_f32 v2, v173, v254, -v2
	v_fmac_f32_e32 v7, v174, v254
	v_add_f32_e32 v1, v1, v2
	v_add_f32_e32 v6, v6, v7
	v_sub_f32_e32 v1, v201, v1
	v_sub_f32_e32 v2, v202, v6
	buffer_store_dword v1, off, s[0:3], 0 offset:8
	buffer_store_dword v2, off, s[0:3], 0 offset:12
	s_and_saveexec_b64 s[4:5], vcc
	s_cbranch_execz .LBB43_277
; %bb.276:
	buffer_load_dword v90, off, s[0:3], 0
	buffer_load_dword v91, off, s[0:3], 0 offset:4
	v_mov_b32_e32 v0, 0
	buffer_store_dword v0, off, s[0:3], 0
	buffer_store_dword v0, off, s[0:3], 0 offset:4
	s_waitcnt vmcnt(2)
	ds_write_b64 v89, v[90:91]
.LBB43_277:
	s_or_b64 exec, exec, s[4:5]
	s_waitcnt lgkmcnt(0)
	; wave barrier
	buffer_load_dword v97, off, s[0:3], 0 offset:12
	buffer_load_dword v96, off, s[0:3], 0 offset:20
	;; [unrolled: 1-line block ×30, first 2 shown]
	buffer_load_dword v89, off, s[0:3], 0
	buffer_load_dword v90, off, s[0:3], 0 offset:4
	buffer_load_dword v199, off, s[0:3], 0 offset:128
	;; [unrolled: 1-line block ×17, first 2 shown]
	v_mov_b32_e32 v0, 0
	ds_read2_b64 v[103:106], v0 offset0:45 offset1:46
	ds_read2_b64 v[107:110], v0 offset0:47 offset1:48
	;; [unrolled: 1-line block ×6, first 2 shown]
	buffer_load_dword v215, off, s[0:3], 0 offset:192
	buffer_load_dword v216, off, s[0:3], 0 offset:196
	s_and_b64 vcc, exec, s[22:23]
	s_waitcnt vmcnt(49) lgkmcnt(5)
	v_mul_f32_e32 v127, v103, v97
	s_waitcnt vmcnt(48)
	v_mul_f32_e32 v128, v105, v96
	s_waitcnt vmcnt(47) lgkmcnt(4)
	v_mul_f32_e32 v129, v107, v95
	s_waitcnt vmcnt(46)
	v_mul_f32_e32 v130, v109, v94
	;; [unrolled: 4-line block ×6, first 2 shown]
	s_waitcnt vmcnt(37)
	v_fmac_f32_e32 v129, v108, v1
	s_waitcnt vmcnt(36)
	v_fmac_f32_e32 v128, v106, v2
	;; [unrolled: 2-line block ×3, first 2 shown]
	v_add_f32_e32 v127, 0, v127
	v_add_f32_e32 v127, v127, v128
	;; [unrolled: 1-line block ×3, first 2 shown]
	s_waitcnt vmcnt(31)
	v_fmac_f32_e32 v130, v110, v7
	v_fmac_f32_e32 v131, v112, v6
	v_add_f32_e32 v127, v127, v130
	v_fmac_f32_e32 v132, v114, v5
	v_add_f32_e32 v127, v127, v131
	;; [unrolled: 2-line block ×3, first 2 shown]
	s_waitcnt vmcnt(27)
	v_fmac_f32_e32 v134, v118, v191
	v_add_f32_e32 v127, v127, v133
	v_fmac_f32_e32 v135, v120, v190
	v_add_f32_e32 v127, v127, v134
	;; [unrolled: 2-line block ×4, first 2 shown]
	v_add_f32_e32 v131, v127, v137
	ds_read2_b64 v[127:130], v0 offset0:57 offset1:58
	buffer_load_dword v217, off, s[0:3], 0 offset:200
	buffer_load_dword v218, off, s[0:3], 0 offset:204
	;; [unrolled: 1-line block ×6, first 2 shown]
	s_waitcnt vmcnt(28)
	v_fmac_f32_e32 v138, v126, v196
	v_add_f32_e32 v135, v131, v138
	ds_read2_b64 v[131:134], v0 offset0:59 offset1:60
	buffer_load_dword v223, off, s[0:3], 0 offset:224
	buffer_load_dword v224, off, s[0:3], 0 offset:228
	;; [unrolled: 1-line block ×8, first 2 shown]
	s_waitcnt vmcnt(35) lgkmcnt(1)
	v_mul_f32_e32 v136, v127, v197
	buffer_load_dword v231, off, s[0:3], 0 offset:256
	buffer_load_dword v232, off, s[0:3], 0 offset:260
	v_fmac_f32_e32 v136, v128, v195
	v_add_f32_e32 v135, v135, v136
	s_waitcnt vmcnt(36)
	v_mul_f32_e32 v136, v129, v198
	v_fmac_f32_e32 v136, v130, v194
	v_add_f32_e32 v135, v135, v136
	s_waitcnt lgkmcnt(0)
	v_mul_f32_e32 v136, v131, v193
	v_fmac_f32_e32 v136, v132, v192
	v_add_f32_e32 v139, v135, v136
	ds_read2_b64 v[135:138], v0 offset0:61 offset1:62
	buffer_load_dword v233, off, s[0:3], 0 offset:264
	buffer_load_dword v234, off, s[0:3], 0 offset:268
	;; [unrolled: 1-line block ×6, first 2 shown]
	s_waitcnt vmcnt(38)
	v_mul_f32_e32 v140, v133, v200
	v_fmac_f32_e32 v140, v134, v199
	v_add_f32_e32 v143, v139, v140
	ds_read2_b64 v[139:142], v0 offset0:63 offset1:64
	buffer_load_dword v239, off, s[0:3], 0 offset:288
	buffer_load_dword v240, off, s[0:3], 0 offset:292
	;; [unrolled: 1-line block ×16, first 2 shown]
	s_waitcnt vmcnt(52) lgkmcnt(1)
	v_mul_f32_e32 v144, v135, v202
	v_fmac_f32_e32 v144, v136, v201
	v_add_f32_e32 v143, v143, v144
	s_waitcnt vmcnt(50)
	v_mul_f32_e32 v144, v137, v204
	v_fmac_f32_e32 v144, v138, v203
	v_add_f32_e32 v143, v143, v144
	s_waitcnt vmcnt(48) lgkmcnt(0)
	v_mul_f32_e32 v144, v139, v206
	v_fmac_f32_e32 v144, v140, v205
	v_add_f32_e32 v147, v143, v144
	ds_read2_b64 v[143:146], v0 offset0:65 offset1:66
	s_waitcnt vmcnt(46)
	v_mul_f32_e32 v148, v141, v208
	v_fmac_f32_e32 v148, v142, v207
	v_add_f32_e32 v151, v147, v148
	ds_read2_b64 v[147:150], v0 offset0:67 offset1:68
	s_waitcnt vmcnt(44) lgkmcnt(1)
	v_mul_f32_e32 v152, v143, v210
	v_fmac_f32_e32 v152, v144, v209
	v_add_f32_e32 v151, v151, v152
	s_waitcnt vmcnt(42)
	v_mul_f32_e32 v152, v145, v212
	v_fmac_f32_e32 v152, v146, v211
	v_add_f32_e32 v151, v151, v152
	s_waitcnt vmcnt(40) lgkmcnt(0)
	v_mul_f32_e32 v152, v147, v214
	v_fmac_f32_e32 v152, v148, v213
	v_add_f32_e32 v155, v151, v152
	ds_read2_b64 v[151:154], v0 offset0:69 offset1:70
	s_waitcnt vmcnt(38)
	v_mul_f32_e32 v156, v149, v216
	v_fmac_f32_e32 v156, v150, v215
	v_add_f32_e32 v159, v155, v156
	ds_read2_b64 v[155:158], v0 offset0:71 offset1:72
	s_waitcnt vmcnt(36) lgkmcnt(1)
	v_mul_f32_e32 v160, v151, v218
	v_fmac_f32_e32 v160, v152, v217
	v_add_f32_e32 v159, v159, v160
	s_waitcnt vmcnt(35)
	v_mul_f32_e32 v160, v153, v219
	s_waitcnt vmcnt(32)
	v_fmac_f32_e32 v160, v154, v222
	v_add_f32_e32 v159, v159, v160
	s_waitcnt lgkmcnt(0)
	v_mul_f32_e32 v160, v155, v221
	v_fmac_f32_e32 v160, v156, v220
	v_add_f32_e32 v163, v159, v160
	ds_read2_b64 v[159:162], v0 offset0:73 offset1:74
	s_waitcnt vmcnt(30)
	v_mul_f32_e32 v164, v157, v224
	v_fmac_f32_e32 v164, v158, v223
	v_add_f32_e32 v167, v163, v164
	ds_read2_b64 v[163:166], v0 offset0:75 offset1:76
	s_waitcnt vmcnt(28) lgkmcnt(1)
	v_mul_f32_e32 v168, v159, v226
	v_fmac_f32_e32 v168, v160, v225
	v_add_f32_e32 v167, v167, v168
	s_waitcnt vmcnt(27)
	v_mul_f32_e32 v168, v161, v227
	s_waitcnt vmcnt(24)
	v_fmac_f32_e32 v168, v162, v230
	v_add_f32_e32 v167, v167, v168
	s_waitcnt lgkmcnt(0)
	;; [unrolled: 19-line block ×4, first 2 shown]
	v_mul_f32_e32 v184, v179, v245
	v_fmac_f32_e32 v184, v180, v244
	v_add_f32_e32 v187, v183, v184
	ds_read2_b64 v[183:186], v0 offset0:85 offset1:86
	s_waitcnt vmcnt(6)
	v_mul_f32_e32 v188, v181, v248
	v_fmac_f32_e32 v188, v182, v247
	v_add_f32_e32 v255, v187, v188
	ds_read_b64 v[187:188], v0 offset:696
	s_waitcnt vmcnt(4) lgkmcnt(1)
	v_mul_f32_e32 v9, v183, v250
	v_fmac_f32_e32 v9, v184, v249
	s_waitcnt vmcnt(3)
	v_mul_f32_e32 v10, v185, v251
	v_add_f32_e32 v9, v255, v9
	s_waitcnt vmcnt(0)
	v_fmac_f32_e32 v10, v186, v254
	v_add_f32_e32 v9, v9, v10
	s_waitcnt lgkmcnt(0)
	v_mul_f32_e32 v10, v187, v253
	v_fmac_f32_e32 v10, v188, v252
	v_add_f32_e32 v9, v9, v10
	v_mul_f32_e32 v10, v104, v97
	v_fma_f32 v3, v103, v3, -v10
	v_mul_f32_e32 v10, v106, v96
	v_add_f32_e32 v3, 0, v3
	v_fma_f32 v2, v105, v2, -v10
	v_add_f32_e32 v2, v3, v2
	v_mul_f32_e32 v3, v108, v95
	v_fma_f32 v1, v107, v1, -v3
	v_add_f32_e32 v1, v2, v1
	v_mul_f32_e32 v2, v110, v94
	v_fma_f32 v2, v109, v7, -v2
	v_add_f32_e32 v1, v1, v2
	v_mul_f32_e32 v2, v112, v93
	v_fma_f32 v2, v111, v6, -v2
	v_add_f32_e32 v1, v1, v2
	v_mul_f32_e32 v2, v114, v92
	v_fma_f32 v2, v113, v5, -v2
	v_add_f32_e32 v1, v1, v2
	v_mul_f32_e32 v2, v116, v91
	v_fma_f32 v2, v115, v4, -v2
	v_add_f32_e32 v1, v1, v2
	v_mul_f32_e32 v2, v118, v98
	v_fma_f32 v2, v117, v191, -v2
	v_add_f32_e32 v1, v1, v2
	v_mul_f32_e32 v2, v120, v99
	v_fma_f32 v2, v119, v190, -v2
	v_add_f32_e32 v1, v1, v2
	v_mul_f32_e32 v2, v122, v100
	v_fma_f32 v2, v121, v189, -v2
	v_add_f32_e32 v1, v1, v2
	v_mul_f32_e32 v2, v124, v101
	v_fma_f32 v2, v123, v8, -v2
	v_add_f32_e32 v1, v1, v2
	v_mul_f32_e32 v2, v126, v102
	v_fma_f32 v2, v125, v196, -v2
	v_add_f32_e32 v1, v1, v2
	v_mul_f32_e32 v2, v128, v197
	v_fma_f32 v2, v127, v195, -v2
	v_add_f32_e32 v1, v1, v2
	v_mul_f32_e32 v2, v130, v198
	v_fma_f32 v2, v129, v194, -v2
	v_add_f32_e32 v1, v1, v2
	v_mul_f32_e32 v2, v132, v193
	v_fma_f32 v2, v131, v192, -v2
	v_add_f32_e32 v1, v1, v2
	v_mul_f32_e32 v2, v134, v200
	v_fma_f32 v2, v133, v199, -v2
	v_add_f32_e32 v1, v1, v2
	v_mul_f32_e32 v2, v136, v202
	v_fma_f32 v2, v135, v201, -v2
	v_add_f32_e32 v1, v1, v2
	v_mul_f32_e32 v2, v138, v204
	v_fma_f32 v2, v137, v203, -v2
	v_add_f32_e32 v1, v1, v2
	v_mul_f32_e32 v2, v140, v206
	v_fma_f32 v2, v139, v205, -v2
	v_add_f32_e32 v1, v1, v2
	v_mul_f32_e32 v2, v142, v208
	v_fma_f32 v2, v141, v207, -v2
	v_add_f32_e32 v1, v1, v2
	v_mul_f32_e32 v2, v144, v210
	v_fma_f32 v2, v143, v209, -v2
	v_add_f32_e32 v1, v1, v2
	v_mul_f32_e32 v2, v146, v212
	v_fma_f32 v2, v145, v211, -v2
	v_add_f32_e32 v1, v1, v2
	v_mul_f32_e32 v2, v148, v214
	v_fma_f32 v2, v147, v213, -v2
	v_add_f32_e32 v1, v1, v2
	v_mul_f32_e32 v2, v150, v216
	v_fma_f32 v2, v149, v215, -v2
	v_add_f32_e32 v1, v1, v2
	v_mul_f32_e32 v2, v152, v218
	v_fma_f32 v2, v151, v217, -v2
	v_add_f32_e32 v1, v1, v2
	v_mul_f32_e32 v2, v154, v219
	v_fma_f32 v2, v153, v222, -v2
	v_add_f32_e32 v1, v1, v2
	v_mul_f32_e32 v2, v156, v221
	v_fma_f32 v2, v155, v220, -v2
	v_add_f32_e32 v1, v1, v2
	v_mul_f32_e32 v2, v158, v224
	v_fma_f32 v2, v157, v223, -v2
	v_add_f32_e32 v1, v1, v2
	v_mul_f32_e32 v2, v160, v226
	v_fma_f32 v2, v159, v225, -v2
	v_add_f32_e32 v1, v1, v2
	v_mul_f32_e32 v2, v162, v227
	v_fma_f32 v2, v161, v230, -v2
	v_add_f32_e32 v1, v1, v2
	v_mul_f32_e32 v2, v164, v229
	v_fma_f32 v2, v163, v228, -v2
	v_add_f32_e32 v1, v1, v2
	v_mul_f32_e32 v2, v166, v232
	v_fma_f32 v2, v165, v231, -v2
	v_add_f32_e32 v1, v1, v2
	v_mul_f32_e32 v2, v168, v234
	v_fma_f32 v2, v167, v233, -v2
	v_add_f32_e32 v1, v1, v2
	v_mul_f32_e32 v2, v170, v235
	v_fma_f32 v2, v169, v238, -v2
	v_add_f32_e32 v1, v1, v2
	v_mul_f32_e32 v2, v172, v237
	v_fma_f32 v2, v171, v236, -v2
	v_add_f32_e32 v1, v1, v2
	v_mul_f32_e32 v2, v174, v240
	v_fma_f32 v2, v173, v239, -v2
	v_add_f32_e32 v1, v1, v2
	v_mul_f32_e32 v2, v176, v242
	v_fma_f32 v2, v175, v241, -v2
	v_add_f32_e32 v1, v1, v2
	v_mul_f32_e32 v2, v178, v243
	v_fma_f32 v2, v177, v246, -v2
	v_add_f32_e32 v1, v1, v2
	v_mul_f32_e32 v2, v180, v245
	v_fma_f32 v2, v179, v244, -v2
	v_add_f32_e32 v1, v1, v2
	v_mul_f32_e32 v2, v182, v248
	v_fma_f32 v2, v181, v247, -v2
	v_add_f32_e32 v1, v1, v2
	v_mul_f32_e32 v2, v184, v250
	v_fma_f32 v2, v183, v249, -v2
	v_add_f32_e32 v1, v1, v2
	v_mul_f32_e32 v2, v186, v251
	v_fma_f32 v2, v185, v254, -v2
	v_add_f32_e32 v1, v1, v2
	v_mul_f32_e32 v2, v188, v253
	v_fma_f32 v2, v187, v252, -v2
	v_add_f32_e32 v1, v1, v2
	v_sub_f32_e32 v1, v89, v1
	v_sub_f32_e32 v2, v90, v9
	buffer_store_dword v1, off, s[0:3], 0
	buffer_store_dword v2, off, s[0:3], 0 offset:4
	s_cbranch_vccz .LBB43_364
; %bb.278:
	global_load_dword v0, v0, s[20:21] offset:168
	s_waitcnt vmcnt(0)
	v_add_u32_e32 v0, -1, v0
	v_cmp_ne_u32_e32 vcc, 42, v0
	s_cbranch_vccz .LBB43_280
; %bb.279:
	v_lshlrev_b32_e32 v0, 3, v0
	buffer_load_dword v1, v0, s[0:3], 0 offen
	buffer_load_dword v2, v0, s[0:3], 0 offen offset:4
	buffer_load_dword v3, off, s[0:3], 0 offset:340
	buffer_load_dword v4, off, s[0:3], 0 offset:336
	s_waitcnt vmcnt(3)
	buffer_store_dword v1, off, s[0:3], 0 offset:336
	s_waitcnt vmcnt(3)
	buffer_store_dword v2, off, s[0:3], 0 offset:340
	s_waitcnt vmcnt(3)
	buffer_store_dword v3, v0, s[0:3], 0 offen offset:4
	s_waitcnt vmcnt(3)
	buffer_store_dword v4, v0, s[0:3], 0 offen
.LBB43_280:
	v_mov_b32_e32 v0, 0
	global_load_dword v1, v0, s[20:21] offset:164
	s_waitcnt vmcnt(0)
	v_add_u32_e32 v89, -1, v1
	v_cmp_eq_u32_e32 vcc, 41, v89
	s_cbranch_vccnz .LBB43_282
; %bb.281:
	v_lshlrev_b32_e32 v1, 3, v89
	buffer_load_dword v2, v1, s[0:3], 0 offen
	buffer_load_dword v3, v1, s[0:3], 0 offen offset:4
	buffer_load_dword v4, off, s[0:3], 0 offset:328
	buffer_load_dword v5, off, s[0:3], 0 offset:332
	s_waitcnt vmcnt(3)
	buffer_store_dword v2, off, s[0:3], 0 offset:328
	s_waitcnt vmcnt(3)
	buffer_store_dword v3, off, s[0:3], 0 offset:332
	s_waitcnt vmcnt(3)
	buffer_store_dword v4, v1, s[0:3], 0 offen
	s_waitcnt vmcnt(3)
	buffer_store_dword v5, v1, s[0:3], 0 offen offset:4
.LBB43_282:
	global_load_dword v0, v0, s[20:21] offset:160
	s_waitcnt vmcnt(0)
	v_add_u32_e32 v0, -1, v0
	v_cmp_eq_u32_e32 vcc, 40, v0
	s_cbranch_vccnz .LBB43_284
; %bb.283:
	v_lshlrev_b32_e32 v0, 3, v0
	buffer_load_dword v1, v0, s[0:3], 0 offen
	buffer_load_dword v2, v0, s[0:3], 0 offen offset:4
	buffer_load_dword v3, off, s[0:3], 0 offset:324
	buffer_load_dword v4, off, s[0:3], 0 offset:320
	s_waitcnt vmcnt(3)
	buffer_store_dword v1, off, s[0:3], 0 offset:320
	s_waitcnt vmcnt(3)
	buffer_store_dword v2, off, s[0:3], 0 offset:324
	s_waitcnt vmcnt(3)
	buffer_store_dword v3, v0, s[0:3], 0 offen offset:4
	s_waitcnt vmcnt(3)
	buffer_store_dword v4, v0, s[0:3], 0 offen
.LBB43_284:
	v_mov_b32_e32 v0, 0
	global_load_dword v1, v0, s[20:21] offset:156
	s_waitcnt vmcnt(0)
	v_add_u32_e32 v89, -1, v1
	v_cmp_eq_u32_e32 vcc, 39, v89
	s_cbranch_vccnz .LBB43_286
; %bb.285:
	v_lshlrev_b32_e32 v1, 3, v89
	buffer_load_dword v2, v1, s[0:3], 0 offen
	buffer_load_dword v3, v1, s[0:3], 0 offen offset:4
	buffer_load_dword v4, off, s[0:3], 0 offset:312
	buffer_load_dword v5, off, s[0:3], 0 offset:316
	s_waitcnt vmcnt(3)
	buffer_store_dword v2, off, s[0:3], 0 offset:312
	s_waitcnt vmcnt(3)
	buffer_store_dword v3, off, s[0:3], 0 offset:316
	s_waitcnt vmcnt(3)
	buffer_store_dword v4, v1, s[0:3], 0 offen
	s_waitcnt vmcnt(3)
	buffer_store_dword v5, v1, s[0:3], 0 offen offset:4
.LBB43_286:
	global_load_dword v0, v0, s[20:21] offset:152
	s_waitcnt vmcnt(0)
	v_add_u32_e32 v0, -1, v0
	v_cmp_eq_u32_e32 vcc, 38, v0
	s_cbranch_vccnz .LBB43_288
; %bb.287:
	v_lshlrev_b32_e32 v0, 3, v0
	buffer_load_dword v1, v0, s[0:3], 0 offen
	buffer_load_dword v2, v0, s[0:3], 0 offen offset:4
	buffer_load_dword v3, off, s[0:3], 0 offset:308
	buffer_load_dword v4, off, s[0:3], 0 offset:304
	s_waitcnt vmcnt(3)
	buffer_store_dword v1, off, s[0:3], 0 offset:304
	s_waitcnt vmcnt(3)
	buffer_store_dword v2, off, s[0:3], 0 offset:308
	s_waitcnt vmcnt(3)
	buffer_store_dword v3, v0, s[0:3], 0 offen offset:4
	s_waitcnt vmcnt(3)
	buffer_store_dword v4, v0, s[0:3], 0 offen
.LBB43_288:
	v_mov_b32_e32 v0, 0
	global_load_dword v1, v0, s[20:21] offset:148
	s_waitcnt vmcnt(0)
	v_add_u32_e32 v89, -1, v1
	v_cmp_eq_u32_e32 vcc, 37, v89
	s_cbranch_vccnz .LBB43_290
; %bb.289:
	v_lshlrev_b32_e32 v1, 3, v89
	buffer_load_dword v2, v1, s[0:3], 0 offen
	buffer_load_dword v3, v1, s[0:3], 0 offen offset:4
	buffer_load_dword v4, off, s[0:3], 0 offset:296
	buffer_load_dword v5, off, s[0:3], 0 offset:300
	s_waitcnt vmcnt(3)
	buffer_store_dword v2, off, s[0:3], 0 offset:296
	s_waitcnt vmcnt(3)
	buffer_store_dword v3, off, s[0:3], 0 offset:300
	s_waitcnt vmcnt(3)
	buffer_store_dword v4, v1, s[0:3], 0 offen
	s_waitcnt vmcnt(3)
	buffer_store_dword v5, v1, s[0:3], 0 offen offset:4
.LBB43_290:
	global_load_dword v0, v0, s[20:21] offset:144
	s_waitcnt vmcnt(0)
	v_add_u32_e32 v0, -1, v0
	v_cmp_eq_u32_e32 vcc, 36, v0
	s_cbranch_vccnz .LBB43_292
; %bb.291:
	v_lshlrev_b32_e32 v0, 3, v0
	buffer_load_dword v1, v0, s[0:3], 0 offen
	buffer_load_dword v2, v0, s[0:3], 0 offen offset:4
	buffer_load_dword v3, off, s[0:3], 0 offset:292
	buffer_load_dword v4, off, s[0:3], 0 offset:288
	s_waitcnt vmcnt(3)
	buffer_store_dword v1, off, s[0:3], 0 offset:288
	s_waitcnt vmcnt(3)
	buffer_store_dword v2, off, s[0:3], 0 offset:292
	s_waitcnt vmcnt(3)
	buffer_store_dword v3, v0, s[0:3], 0 offen offset:4
	s_waitcnt vmcnt(3)
	buffer_store_dword v4, v0, s[0:3], 0 offen
.LBB43_292:
	v_mov_b32_e32 v0, 0
	global_load_dword v1, v0, s[20:21] offset:140
	s_waitcnt vmcnt(0)
	v_add_u32_e32 v89, -1, v1
	v_cmp_eq_u32_e32 vcc, 35, v89
	s_cbranch_vccnz .LBB43_294
; %bb.293:
	v_lshlrev_b32_e32 v1, 3, v89
	buffer_load_dword v2, v1, s[0:3], 0 offen
	buffer_load_dword v3, v1, s[0:3], 0 offen offset:4
	buffer_load_dword v4, off, s[0:3], 0 offset:280
	buffer_load_dword v5, off, s[0:3], 0 offset:284
	s_waitcnt vmcnt(3)
	buffer_store_dword v2, off, s[0:3], 0 offset:280
	s_waitcnt vmcnt(3)
	buffer_store_dword v3, off, s[0:3], 0 offset:284
	s_waitcnt vmcnt(3)
	buffer_store_dword v4, v1, s[0:3], 0 offen
	s_waitcnt vmcnt(3)
	buffer_store_dword v5, v1, s[0:3], 0 offen offset:4
.LBB43_294:
	global_load_dword v0, v0, s[20:21] offset:136
	s_waitcnt vmcnt(0)
	v_add_u32_e32 v0, -1, v0
	v_cmp_eq_u32_e32 vcc, 34, v0
	s_cbranch_vccnz .LBB43_296
; %bb.295:
	v_lshlrev_b32_e32 v0, 3, v0
	buffer_load_dword v1, v0, s[0:3], 0 offen
	buffer_load_dword v2, v0, s[0:3], 0 offen offset:4
	buffer_load_dword v3, off, s[0:3], 0 offset:276
	buffer_load_dword v4, off, s[0:3], 0 offset:272
	s_waitcnt vmcnt(3)
	buffer_store_dword v1, off, s[0:3], 0 offset:272
	s_waitcnt vmcnt(3)
	buffer_store_dword v2, off, s[0:3], 0 offset:276
	s_waitcnt vmcnt(3)
	buffer_store_dword v3, v0, s[0:3], 0 offen offset:4
	s_waitcnt vmcnt(3)
	buffer_store_dword v4, v0, s[0:3], 0 offen
.LBB43_296:
	v_mov_b32_e32 v0, 0
	global_load_dword v1, v0, s[20:21] offset:132
	s_waitcnt vmcnt(0)
	v_add_u32_e32 v89, -1, v1
	v_cmp_eq_u32_e32 vcc, 33, v89
	s_cbranch_vccnz .LBB43_298
; %bb.297:
	v_lshlrev_b32_e32 v1, 3, v89
	buffer_load_dword v2, v1, s[0:3], 0 offen
	buffer_load_dword v3, v1, s[0:3], 0 offen offset:4
	buffer_load_dword v4, off, s[0:3], 0 offset:264
	buffer_load_dword v5, off, s[0:3], 0 offset:268
	s_waitcnt vmcnt(3)
	buffer_store_dword v2, off, s[0:3], 0 offset:264
	s_waitcnt vmcnt(3)
	buffer_store_dword v3, off, s[0:3], 0 offset:268
	s_waitcnt vmcnt(3)
	buffer_store_dword v4, v1, s[0:3], 0 offen
	s_waitcnt vmcnt(3)
	buffer_store_dword v5, v1, s[0:3], 0 offen offset:4
.LBB43_298:
	global_load_dword v0, v0, s[20:21] offset:128
	s_waitcnt vmcnt(0)
	v_add_u32_e32 v0, -1, v0
	v_cmp_eq_u32_e32 vcc, 32, v0
	s_cbranch_vccnz .LBB43_300
; %bb.299:
	v_lshlrev_b32_e32 v0, 3, v0
	buffer_load_dword v1, v0, s[0:3], 0 offen
	buffer_load_dword v2, v0, s[0:3], 0 offen offset:4
	buffer_load_dword v3, off, s[0:3], 0 offset:260
	buffer_load_dword v4, off, s[0:3], 0 offset:256
	s_waitcnt vmcnt(3)
	buffer_store_dword v1, off, s[0:3], 0 offset:256
	s_waitcnt vmcnt(3)
	buffer_store_dword v2, off, s[0:3], 0 offset:260
	s_waitcnt vmcnt(3)
	buffer_store_dword v3, v0, s[0:3], 0 offen offset:4
	s_waitcnt vmcnt(3)
	buffer_store_dword v4, v0, s[0:3], 0 offen
.LBB43_300:
	v_mov_b32_e32 v0, 0
	global_load_dword v1, v0, s[20:21] offset:124
	s_waitcnt vmcnt(0)
	v_add_u32_e32 v89, -1, v1
	v_cmp_eq_u32_e32 vcc, 31, v89
	s_cbranch_vccnz .LBB43_302
; %bb.301:
	v_lshlrev_b32_e32 v1, 3, v89
	buffer_load_dword v2, v1, s[0:3], 0 offen
	buffer_load_dword v3, v1, s[0:3], 0 offen offset:4
	buffer_load_dword v4, off, s[0:3], 0 offset:248
	buffer_load_dword v5, off, s[0:3], 0 offset:252
	s_waitcnt vmcnt(3)
	buffer_store_dword v2, off, s[0:3], 0 offset:248
	s_waitcnt vmcnt(3)
	buffer_store_dword v3, off, s[0:3], 0 offset:252
	s_waitcnt vmcnt(3)
	buffer_store_dword v4, v1, s[0:3], 0 offen
	s_waitcnt vmcnt(3)
	buffer_store_dword v5, v1, s[0:3], 0 offen offset:4
.LBB43_302:
	global_load_dword v0, v0, s[20:21] offset:120
	s_waitcnt vmcnt(0)
	v_add_u32_e32 v0, -1, v0
	v_cmp_eq_u32_e32 vcc, 30, v0
	s_cbranch_vccnz .LBB43_304
; %bb.303:
	v_lshlrev_b32_e32 v0, 3, v0
	buffer_load_dword v1, v0, s[0:3], 0 offen
	buffer_load_dword v2, v0, s[0:3], 0 offen offset:4
	buffer_load_dword v3, off, s[0:3], 0 offset:244
	buffer_load_dword v4, off, s[0:3], 0 offset:240
	s_waitcnt vmcnt(3)
	buffer_store_dword v1, off, s[0:3], 0 offset:240
	s_waitcnt vmcnt(3)
	buffer_store_dword v2, off, s[0:3], 0 offset:244
	s_waitcnt vmcnt(3)
	buffer_store_dword v3, v0, s[0:3], 0 offen offset:4
	s_waitcnt vmcnt(3)
	buffer_store_dword v4, v0, s[0:3], 0 offen
.LBB43_304:
	v_mov_b32_e32 v0, 0
	global_load_dword v1, v0, s[20:21] offset:116
	s_waitcnt vmcnt(0)
	v_add_u32_e32 v89, -1, v1
	v_cmp_eq_u32_e32 vcc, 29, v89
	s_cbranch_vccnz .LBB43_306
; %bb.305:
	v_lshlrev_b32_e32 v1, 3, v89
	buffer_load_dword v2, v1, s[0:3], 0 offen
	buffer_load_dword v3, v1, s[0:3], 0 offen offset:4
	buffer_load_dword v4, off, s[0:3], 0 offset:232
	buffer_load_dword v5, off, s[0:3], 0 offset:236
	s_waitcnt vmcnt(3)
	buffer_store_dword v2, off, s[0:3], 0 offset:232
	s_waitcnt vmcnt(3)
	buffer_store_dword v3, off, s[0:3], 0 offset:236
	s_waitcnt vmcnt(3)
	buffer_store_dword v4, v1, s[0:3], 0 offen
	s_waitcnt vmcnt(3)
	buffer_store_dword v5, v1, s[0:3], 0 offen offset:4
.LBB43_306:
	global_load_dword v0, v0, s[20:21] offset:112
	s_waitcnt vmcnt(0)
	v_add_u32_e32 v0, -1, v0
	v_cmp_eq_u32_e32 vcc, 28, v0
	s_cbranch_vccnz .LBB43_308
; %bb.307:
	v_lshlrev_b32_e32 v0, 3, v0
	buffer_load_dword v1, v0, s[0:3], 0 offen
	buffer_load_dword v2, v0, s[0:3], 0 offen offset:4
	buffer_load_dword v3, off, s[0:3], 0 offset:228
	buffer_load_dword v4, off, s[0:3], 0 offset:224
	s_waitcnt vmcnt(3)
	buffer_store_dword v1, off, s[0:3], 0 offset:224
	s_waitcnt vmcnt(3)
	buffer_store_dword v2, off, s[0:3], 0 offset:228
	s_waitcnt vmcnt(3)
	buffer_store_dword v3, v0, s[0:3], 0 offen offset:4
	s_waitcnt vmcnt(3)
	buffer_store_dword v4, v0, s[0:3], 0 offen
.LBB43_308:
	v_mov_b32_e32 v0, 0
	global_load_dword v1, v0, s[20:21] offset:108
	s_waitcnt vmcnt(0)
	v_add_u32_e32 v89, -1, v1
	v_cmp_eq_u32_e32 vcc, 27, v89
	s_cbranch_vccnz .LBB43_310
; %bb.309:
	v_lshlrev_b32_e32 v1, 3, v89
	buffer_load_dword v2, v1, s[0:3], 0 offen
	buffer_load_dword v3, v1, s[0:3], 0 offen offset:4
	buffer_load_dword v4, off, s[0:3], 0 offset:216
	buffer_load_dword v5, off, s[0:3], 0 offset:220
	s_waitcnt vmcnt(3)
	buffer_store_dword v2, off, s[0:3], 0 offset:216
	s_waitcnt vmcnt(3)
	buffer_store_dword v3, off, s[0:3], 0 offset:220
	s_waitcnt vmcnt(3)
	buffer_store_dword v4, v1, s[0:3], 0 offen
	s_waitcnt vmcnt(3)
	buffer_store_dword v5, v1, s[0:3], 0 offen offset:4
.LBB43_310:
	global_load_dword v0, v0, s[20:21] offset:104
	s_waitcnt vmcnt(0)
	v_add_u32_e32 v0, -1, v0
	v_cmp_eq_u32_e32 vcc, 26, v0
	s_cbranch_vccnz .LBB43_312
; %bb.311:
	v_lshlrev_b32_e32 v0, 3, v0
	buffer_load_dword v1, v0, s[0:3], 0 offen
	buffer_load_dword v2, v0, s[0:3], 0 offen offset:4
	buffer_load_dword v3, off, s[0:3], 0 offset:212
	buffer_load_dword v4, off, s[0:3], 0 offset:208
	s_waitcnt vmcnt(3)
	buffer_store_dword v1, off, s[0:3], 0 offset:208
	s_waitcnt vmcnt(3)
	buffer_store_dword v2, off, s[0:3], 0 offset:212
	s_waitcnt vmcnt(3)
	buffer_store_dword v3, v0, s[0:3], 0 offen offset:4
	s_waitcnt vmcnt(3)
	buffer_store_dword v4, v0, s[0:3], 0 offen
.LBB43_312:
	v_mov_b32_e32 v0, 0
	global_load_dword v1, v0, s[20:21] offset:100
	s_waitcnt vmcnt(0)
	v_add_u32_e32 v89, -1, v1
	v_cmp_eq_u32_e32 vcc, 25, v89
	s_cbranch_vccnz .LBB43_314
; %bb.313:
	v_lshlrev_b32_e32 v1, 3, v89
	buffer_load_dword v2, v1, s[0:3], 0 offen
	buffer_load_dword v3, v1, s[0:3], 0 offen offset:4
	buffer_load_dword v4, off, s[0:3], 0 offset:200
	buffer_load_dword v5, off, s[0:3], 0 offset:204
	s_waitcnt vmcnt(3)
	buffer_store_dword v2, off, s[0:3], 0 offset:200
	s_waitcnt vmcnt(3)
	buffer_store_dword v3, off, s[0:3], 0 offset:204
	s_waitcnt vmcnt(3)
	buffer_store_dword v4, v1, s[0:3], 0 offen
	s_waitcnt vmcnt(3)
	buffer_store_dword v5, v1, s[0:3], 0 offen offset:4
.LBB43_314:
	global_load_dword v0, v0, s[20:21] offset:96
	s_waitcnt vmcnt(0)
	v_add_u32_e32 v0, -1, v0
	v_cmp_eq_u32_e32 vcc, 24, v0
	s_cbranch_vccnz .LBB43_316
; %bb.315:
	v_lshlrev_b32_e32 v0, 3, v0
	buffer_load_dword v1, v0, s[0:3], 0 offen
	buffer_load_dword v2, v0, s[0:3], 0 offen offset:4
	buffer_load_dword v3, off, s[0:3], 0 offset:196
	buffer_load_dword v4, off, s[0:3], 0 offset:192
	s_waitcnt vmcnt(3)
	buffer_store_dword v1, off, s[0:3], 0 offset:192
	s_waitcnt vmcnt(3)
	buffer_store_dword v2, off, s[0:3], 0 offset:196
	s_waitcnt vmcnt(3)
	buffer_store_dword v3, v0, s[0:3], 0 offen offset:4
	s_waitcnt vmcnt(3)
	buffer_store_dword v4, v0, s[0:3], 0 offen
.LBB43_316:
	v_mov_b32_e32 v0, 0
	global_load_dword v1, v0, s[20:21] offset:92
	s_waitcnt vmcnt(0)
	v_add_u32_e32 v89, -1, v1
	v_cmp_eq_u32_e32 vcc, 23, v89
	s_cbranch_vccnz .LBB43_318
; %bb.317:
	v_lshlrev_b32_e32 v1, 3, v89
	buffer_load_dword v2, v1, s[0:3], 0 offen
	buffer_load_dword v3, v1, s[0:3], 0 offen offset:4
	buffer_load_dword v4, off, s[0:3], 0 offset:184
	buffer_load_dword v5, off, s[0:3], 0 offset:188
	s_waitcnt vmcnt(3)
	buffer_store_dword v2, off, s[0:3], 0 offset:184
	s_waitcnt vmcnt(3)
	buffer_store_dword v3, off, s[0:3], 0 offset:188
	s_waitcnt vmcnt(3)
	buffer_store_dword v4, v1, s[0:3], 0 offen
	s_waitcnt vmcnt(3)
	buffer_store_dword v5, v1, s[0:3], 0 offen offset:4
.LBB43_318:
	global_load_dword v0, v0, s[20:21] offset:88
	s_waitcnt vmcnt(0)
	v_add_u32_e32 v0, -1, v0
	v_cmp_eq_u32_e32 vcc, 22, v0
	s_cbranch_vccnz .LBB43_320
; %bb.319:
	v_lshlrev_b32_e32 v0, 3, v0
	buffer_load_dword v1, v0, s[0:3], 0 offen
	buffer_load_dword v2, v0, s[0:3], 0 offen offset:4
	buffer_load_dword v3, off, s[0:3], 0 offset:180
	buffer_load_dword v4, off, s[0:3], 0 offset:176
	s_waitcnt vmcnt(3)
	buffer_store_dword v1, off, s[0:3], 0 offset:176
	s_waitcnt vmcnt(3)
	buffer_store_dword v2, off, s[0:3], 0 offset:180
	s_waitcnt vmcnt(3)
	buffer_store_dword v3, v0, s[0:3], 0 offen offset:4
	s_waitcnt vmcnt(3)
	buffer_store_dword v4, v0, s[0:3], 0 offen
.LBB43_320:
	v_mov_b32_e32 v0, 0
	global_load_dword v1, v0, s[20:21] offset:84
	s_waitcnt vmcnt(0)
	v_add_u32_e32 v89, -1, v1
	v_cmp_eq_u32_e32 vcc, 21, v89
	s_cbranch_vccnz .LBB43_322
; %bb.321:
	v_lshlrev_b32_e32 v1, 3, v89
	buffer_load_dword v2, v1, s[0:3], 0 offen
	buffer_load_dword v3, v1, s[0:3], 0 offen offset:4
	buffer_load_dword v4, off, s[0:3], 0 offset:168
	buffer_load_dword v5, off, s[0:3], 0 offset:172
	s_waitcnt vmcnt(3)
	buffer_store_dword v2, off, s[0:3], 0 offset:168
	s_waitcnt vmcnt(3)
	buffer_store_dword v3, off, s[0:3], 0 offset:172
	s_waitcnt vmcnt(3)
	buffer_store_dword v4, v1, s[0:3], 0 offen
	s_waitcnt vmcnt(3)
	buffer_store_dword v5, v1, s[0:3], 0 offen offset:4
.LBB43_322:
	global_load_dword v0, v0, s[20:21] offset:80
	s_waitcnt vmcnt(0)
	v_add_u32_e32 v0, -1, v0
	v_cmp_eq_u32_e32 vcc, 20, v0
	s_cbranch_vccnz .LBB43_324
; %bb.323:
	v_lshlrev_b32_e32 v0, 3, v0
	buffer_load_dword v1, v0, s[0:3], 0 offen
	buffer_load_dword v2, v0, s[0:3], 0 offen offset:4
	buffer_load_dword v3, off, s[0:3], 0 offset:164
	buffer_load_dword v4, off, s[0:3], 0 offset:160
	s_waitcnt vmcnt(3)
	buffer_store_dword v1, off, s[0:3], 0 offset:160
	s_waitcnt vmcnt(3)
	buffer_store_dword v2, off, s[0:3], 0 offset:164
	s_waitcnt vmcnt(3)
	buffer_store_dword v3, v0, s[0:3], 0 offen offset:4
	s_waitcnt vmcnt(3)
	buffer_store_dword v4, v0, s[0:3], 0 offen
.LBB43_324:
	v_mov_b32_e32 v0, 0
	global_load_dword v1, v0, s[20:21] offset:76
	s_waitcnt vmcnt(0)
	v_add_u32_e32 v89, -1, v1
	v_cmp_eq_u32_e32 vcc, 19, v89
	s_cbranch_vccnz .LBB43_326
; %bb.325:
	v_lshlrev_b32_e32 v1, 3, v89
	buffer_load_dword v2, v1, s[0:3], 0 offen
	buffer_load_dword v3, v1, s[0:3], 0 offen offset:4
	buffer_load_dword v4, off, s[0:3], 0 offset:152
	buffer_load_dword v5, off, s[0:3], 0 offset:156
	s_waitcnt vmcnt(3)
	buffer_store_dword v2, off, s[0:3], 0 offset:152
	s_waitcnt vmcnt(3)
	buffer_store_dword v3, off, s[0:3], 0 offset:156
	s_waitcnt vmcnt(3)
	buffer_store_dword v4, v1, s[0:3], 0 offen
	s_waitcnt vmcnt(3)
	buffer_store_dword v5, v1, s[0:3], 0 offen offset:4
.LBB43_326:
	global_load_dword v0, v0, s[20:21] offset:72
	s_waitcnt vmcnt(0)
	v_add_u32_e32 v0, -1, v0
	v_cmp_eq_u32_e32 vcc, 18, v0
	s_cbranch_vccnz .LBB43_328
; %bb.327:
	v_lshlrev_b32_e32 v0, 3, v0
	buffer_load_dword v1, v0, s[0:3], 0 offen
	buffer_load_dword v2, v0, s[0:3], 0 offen offset:4
	buffer_load_dword v3, off, s[0:3], 0 offset:148
	buffer_load_dword v4, off, s[0:3], 0 offset:144
	s_waitcnt vmcnt(3)
	buffer_store_dword v1, off, s[0:3], 0 offset:144
	s_waitcnt vmcnt(3)
	buffer_store_dword v2, off, s[0:3], 0 offset:148
	s_waitcnt vmcnt(3)
	buffer_store_dword v3, v0, s[0:3], 0 offen offset:4
	s_waitcnt vmcnt(3)
	buffer_store_dword v4, v0, s[0:3], 0 offen
.LBB43_328:
	v_mov_b32_e32 v0, 0
	global_load_dword v1, v0, s[20:21] offset:68
	s_waitcnt vmcnt(0)
	v_add_u32_e32 v89, -1, v1
	v_cmp_eq_u32_e32 vcc, 17, v89
	s_cbranch_vccnz .LBB43_330
; %bb.329:
	v_lshlrev_b32_e32 v1, 3, v89
	buffer_load_dword v2, v1, s[0:3], 0 offen
	buffer_load_dword v3, v1, s[0:3], 0 offen offset:4
	buffer_load_dword v4, off, s[0:3], 0 offset:136
	buffer_load_dword v5, off, s[0:3], 0 offset:140
	s_waitcnt vmcnt(3)
	buffer_store_dword v2, off, s[0:3], 0 offset:136
	s_waitcnt vmcnt(3)
	buffer_store_dword v3, off, s[0:3], 0 offset:140
	s_waitcnt vmcnt(3)
	buffer_store_dword v4, v1, s[0:3], 0 offen
	s_waitcnt vmcnt(3)
	buffer_store_dword v5, v1, s[0:3], 0 offen offset:4
.LBB43_330:
	global_load_dword v0, v0, s[20:21] offset:64
	s_waitcnt vmcnt(0)
	v_add_u32_e32 v0, -1, v0
	v_cmp_eq_u32_e32 vcc, 16, v0
	s_cbranch_vccnz .LBB43_332
; %bb.331:
	v_lshlrev_b32_e32 v0, 3, v0
	buffer_load_dword v1, v0, s[0:3], 0 offen
	buffer_load_dword v2, v0, s[0:3], 0 offen offset:4
	buffer_load_dword v3, off, s[0:3], 0 offset:132
	buffer_load_dword v4, off, s[0:3], 0 offset:128
	s_waitcnt vmcnt(3)
	buffer_store_dword v1, off, s[0:3], 0 offset:128
	s_waitcnt vmcnt(3)
	buffer_store_dword v2, off, s[0:3], 0 offset:132
	s_waitcnt vmcnt(3)
	buffer_store_dword v3, v0, s[0:3], 0 offen offset:4
	s_waitcnt vmcnt(3)
	buffer_store_dword v4, v0, s[0:3], 0 offen
.LBB43_332:
	v_mov_b32_e32 v0, 0
	global_load_dword v1, v0, s[20:21] offset:60
	s_waitcnt vmcnt(0)
	v_add_u32_e32 v89, -1, v1
	v_cmp_eq_u32_e32 vcc, 15, v89
	s_cbranch_vccnz .LBB43_334
; %bb.333:
	v_lshlrev_b32_e32 v1, 3, v89
	buffer_load_dword v2, v1, s[0:3], 0 offen
	buffer_load_dword v3, v1, s[0:3], 0 offen offset:4
	buffer_load_dword v4, off, s[0:3], 0 offset:120
	buffer_load_dword v5, off, s[0:3], 0 offset:124
	s_waitcnt vmcnt(3)
	buffer_store_dword v2, off, s[0:3], 0 offset:120
	s_waitcnt vmcnt(3)
	buffer_store_dword v3, off, s[0:3], 0 offset:124
	s_waitcnt vmcnt(3)
	buffer_store_dword v4, v1, s[0:3], 0 offen
	s_waitcnt vmcnt(3)
	buffer_store_dword v5, v1, s[0:3], 0 offen offset:4
.LBB43_334:
	global_load_dword v0, v0, s[20:21] offset:56
	s_waitcnt vmcnt(0)
	v_add_u32_e32 v0, -1, v0
	v_cmp_eq_u32_e32 vcc, 14, v0
	s_cbranch_vccnz .LBB43_336
; %bb.335:
	v_lshlrev_b32_e32 v0, 3, v0
	buffer_load_dword v1, v0, s[0:3], 0 offen
	buffer_load_dword v2, v0, s[0:3], 0 offen offset:4
	buffer_load_dword v3, off, s[0:3], 0 offset:116
	buffer_load_dword v4, off, s[0:3], 0 offset:112
	s_waitcnt vmcnt(3)
	buffer_store_dword v1, off, s[0:3], 0 offset:112
	s_waitcnt vmcnt(3)
	buffer_store_dword v2, off, s[0:3], 0 offset:116
	s_waitcnt vmcnt(3)
	buffer_store_dword v3, v0, s[0:3], 0 offen offset:4
	s_waitcnt vmcnt(3)
	buffer_store_dword v4, v0, s[0:3], 0 offen
.LBB43_336:
	v_mov_b32_e32 v0, 0
	global_load_dword v1, v0, s[20:21] offset:52
	s_waitcnt vmcnt(0)
	v_add_u32_e32 v89, -1, v1
	v_cmp_eq_u32_e32 vcc, 13, v89
	s_cbranch_vccnz .LBB43_338
; %bb.337:
	v_lshlrev_b32_e32 v1, 3, v89
	buffer_load_dword v2, v1, s[0:3], 0 offen
	buffer_load_dword v3, v1, s[0:3], 0 offen offset:4
	buffer_load_dword v4, off, s[0:3], 0 offset:104
	buffer_load_dword v5, off, s[0:3], 0 offset:108
	s_waitcnt vmcnt(3)
	buffer_store_dword v2, off, s[0:3], 0 offset:104
	s_waitcnt vmcnt(3)
	buffer_store_dword v3, off, s[0:3], 0 offset:108
	s_waitcnt vmcnt(3)
	buffer_store_dword v4, v1, s[0:3], 0 offen
	s_waitcnt vmcnt(3)
	buffer_store_dword v5, v1, s[0:3], 0 offen offset:4
.LBB43_338:
	global_load_dword v0, v0, s[20:21] offset:48
	s_waitcnt vmcnt(0)
	v_add_u32_e32 v0, -1, v0
	v_cmp_eq_u32_e32 vcc, 12, v0
	s_cbranch_vccnz .LBB43_340
; %bb.339:
	v_lshlrev_b32_e32 v0, 3, v0
	buffer_load_dword v1, v0, s[0:3], 0 offen
	buffer_load_dword v2, v0, s[0:3], 0 offen offset:4
	buffer_load_dword v3, off, s[0:3], 0 offset:100
	buffer_load_dword v4, off, s[0:3], 0 offset:96
	s_waitcnt vmcnt(3)
	buffer_store_dword v1, off, s[0:3], 0 offset:96
	s_waitcnt vmcnt(3)
	buffer_store_dword v2, off, s[0:3], 0 offset:100
	s_waitcnt vmcnt(3)
	buffer_store_dword v3, v0, s[0:3], 0 offen offset:4
	s_waitcnt vmcnt(3)
	buffer_store_dword v4, v0, s[0:3], 0 offen
.LBB43_340:
	v_mov_b32_e32 v0, 0
	global_load_dword v1, v0, s[20:21] offset:44
	s_waitcnt vmcnt(0)
	v_add_u32_e32 v89, -1, v1
	v_cmp_eq_u32_e32 vcc, 11, v89
	s_cbranch_vccnz .LBB43_342
; %bb.341:
	v_lshlrev_b32_e32 v1, 3, v89
	buffer_load_dword v2, v1, s[0:3], 0 offen
	buffer_load_dword v3, v1, s[0:3], 0 offen offset:4
	buffer_load_dword v4, off, s[0:3], 0 offset:88
	buffer_load_dword v5, off, s[0:3], 0 offset:92
	s_waitcnt vmcnt(3)
	buffer_store_dword v2, off, s[0:3], 0 offset:88
	s_waitcnt vmcnt(3)
	buffer_store_dword v3, off, s[0:3], 0 offset:92
	s_waitcnt vmcnt(3)
	buffer_store_dword v4, v1, s[0:3], 0 offen
	s_waitcnt vmcnt(3)
	buffer_store_dword v5, v1, s[0:3], 0 offen offset:4
.LBB43_342:
	global_load_dword v0, v0, s[20:21] offset:40
	s_waitcnt vmcnt(0)
	v_add_u32_e32 v0, -1, v0
	v_cmp_eq_u32_e32 vcc, 10, v0
	s_cbranch_vccnz .LBB43_344
; %bb.343:
	v_lshlrev_b32_e32 v0, 3, v0
	buffer_load_dword v1, v0, s[0:3], 0 offen
	buffer_load_dword v2, v0, s[0:3], 0 offen offset:4
	buffer_load_dword v3, off, s[0:3], 0 offset:84
	buffer_load_dword v4, off, s[0:3], 0 offset:80
	s_waitcnt vmcnt(3)
	buffer_store_dword v1, off, s[0:3], 0 offset:80
	s_waitcnt vmcnt(3)
	buffer_store_dword v2, off, s[0:3], 0 offset:84
	s_waitcnt vmcnt(3)
	buffer_store_dword v3, v0, s[0:3], 0 offen offset:4
	s_waitcnt vmcnt(3)
	buffer_store_dword v4, v0, s[0:3], 0 offen
.LBB43_344:
	v_mov_b32_e32 v0, 0
	global_load_dword v1, v0, s[20:21] offset:36
	s_waitcnt vmcnt(0)
	v_add_u32_e32 v89, -1, v1
	v_cmp_eq_u32_e32 vcc, 9, v89
	s_cbranch_vccnz .LBB43_346
; %bb.345:
	v_lshlrev_b32_e32 v1, 3, v89
	buffer_load_dword v2, v1, s[0:3], 0 offen
	buffer_load_dword v3, v1, s[0:3], 0 offen offset:4
	buffer_load_dword v4, off, s[0:3], 0 offset:72
	buffer_load_dword v5, off, s[0:3], 0 offset:76
	s_waitcnt vmcnt(3)
	buffer_store_dword v2, off, s[0:3], 0 offset:72
	s_waitcnt vmcnt(3)
	buffer_store_dword v3, off, s[0:3], 0 offset:76
	s_waitcnt vmcnt(3)
	buffer_store_dword v4, v1, s[0:3], 0 offen
	s_waitcnt vmcnt(3)
	buffer_store_dword v5, v1, s[0:3], 0 offen offset:4
.LBB43_346:
	global_load_dword v0, v0, s[20:21] offset:32
	s_waitcnt vmcnt(0)
	v_add_u32_e32 v0, -1, v0
	v_cmp_eq_u32_e32 vcc, 8, v0
	s_cbranch_vccnz .LBB43_348
; %bb.347:
	v_lshlrev_b32_e32 v0, 3, v0
	buffer_load_dword v1, v0, s[0:3], 0 offen
	buffer_load_dword v2, v0, s[0:3], 0 offen offset:4
	buffer_load_dword v3, off, s[0:3], 0 offset:68
	buffer_load_dword v4, off, s[0:3], 0 offset:64
	s_waitcnt vmcnt(3)
	buffer_store_dword v1, off, s[0:3], 0 offset:64
	s_waitcnt vmcnt(3)
	buffer_store_dword v2, off, s[0:3], 0 offset:68
	s_waitcnt vmcnt(3)
	buffer_store_dword v3, v0, s[0:3], 0 offen offset:4
	s_waitcnt vmcnt(3)
	buffer_store_dword v4, v0, s[0:3], 0 offen
.LBB43_348:
	v_mov_b32_e32 v0, 0
	global_load_dword v1, v0, s[20:21] offset:28
	s_waitcnt vmcnt(0)
	v_add_u32_e32 v89, -1, v1
	v_cmp_eq_u32_e32 vcc, 7, v89
	s_cbranch_vccnz .LBB43_350
; %bb.349:
	v_lshlrev_b32_e32 v1, 3, v89
	buffer_load_dword v2, v1, s[0:3], 0 offen
	buffer_load_dword v3, v1, s[0:3], 0 offen offset:4
	buffer_load_dword v4, off, s[0:3], 0 offset:56
	buffer_load_dword v5, off, s[0:3], 0 offset:60
	s_waitcnt vmcnt(3)
	buffer_store_dword v2, off, s[0:3], 0 offset:56
	s_waitcnt vmcnt(3)
	buffer_store_dword v3, off, s[0:3], 0 offset:60
	s_waitcnt vmcnt(3)
	buffer_store_dword v4, v1, s[0:3], 0 offen
	s_waitcnt vmcnt(3)
	buffer_store_dword v5, v1, s[0:3], 0 offen offset:4
.LBB43_350:
	global_load_dword v0, v0, s[20:21] offset:24
	s_waitcnt vmcnt(0)
	v_add_u32_e32 v0, -1, v0
	v_cmp_eq_u32_e32 vcc, 6, v0
	s_cbranch_vccnz .LBB43_352
; %bb.351:
	v_lshlrev_b32_e32 v0, 3, v0
	buffer_load_dword v1, v0, s[0:3], 0 offen
	buffer_load_dword v2, v0, s[0:3], 0 offen offset:4
	buffer_load_dword v3, off, s[0:3], 0 offset:52
	buffer_load_dword v4, off, s[0:3], 0 offset:48
	s_waitcnt vmcnt(3)
	buffer_store_dword v1, off, s[0:3], 0 offset:48
	s_waitcnt vmcnt(3)
	buffer_store_dword v2, off, s[0:3], 0 offset:52
	s_waitcnt vmcnt(3)
	buffer_store_dword v3, v0, s[0:3], 0 offen offset:4
	s_waitcnt vmcnt(3)
	buffer_store_dword v4, v0, s[0:3], 0 offen
.LBB43_352:
	v_mov_b32_e32 v0, 0
	global_load_dword v1, v0, s[20:21] offset:20
	s_waitcnt vmcnt(0)
	v_add_u32_e32 v89, -1, v1
	v_cmp_eq_u32_e32 vcc, 5, v89
	s_cbranch_vccnz .LBB43_354
; %bb.353:
	v_lshlrev_b32_e32 v1, 3, v89
	buffer_load_dword v2, v1, s[0:3], 0 offen
	buffer_load_dword v3, v1, s[0:3], 0 offen offset:4
	buffer_load_dword v4, off, s[0:3], 0 offset:40
	buffer_load_dword v5, off, s[0:3], 0 offset:44
	s_waitcnt vmcnt(3)
	buffer_store_dword v2, off, s[0:3], 0 offset:40
	s_waitcnt vmcnt(3)
	buffer_store_dword v3, off, s[0:3], 0 offset:44
	s_waitcnt vmcnt(3)
	buffer_store_dword v4, v1, s[0:3], 0 offen
	s_waitcnt vmcnt(3)
	buffer_store_dword v5, v1, s[0:3], 0 offen offset:4
.LBB43_354:
	global_load_dword v0, v0, s[20:21] offset:16
	s_waitcnt vmcnt(0)
	v_add_u32_e32 v0, -1, v0
	v_cmp_eq_u32_e32 vcc, 4, v0
	s_cbranch_vccnz .LBB43_356
; %bb.355:
	v_lshlrev_b32_e32 v0, 3, v0
	buffer_load_dword v1, v0, s[0:3], 0 offen
	buffer_load_dword v2, v0, s[0:3], 0 offen offset:4
	buffer_load_dword v3, off, s[0:3], 0 offset:36
	buffer_load_dword v4, off, s[0:3], 0 offset:32
	s_waitcnt vmcnt(3)
	buffer_store_dword v1, off, s[0:3], 0 offset:32
	s_waitcnt vmcnt(3)
	buffer_store_dword v2, off, s[0:3], 0 offset:36
	s_waitcnt vmcnt(3)
	buffer_store_dword v3, v0, s[0:3], 0 offen offset:4
	s_waitcnt vmcnt(3)
	buffer_store_dword v4, v0, s[0:3], 0 offen
.LBB43_356:
	v_mov_b32_e32 v0, 0
	global_load_dword v1, v0, s[20:21] offset:12
	s_waitcnt vmcnt(0)
	v_add_u32_e32 v89, -1, v1
	v_cmp_eq_u32_e32 vcc, 3, v89
	s_cbranch_vccnz .LBB43_358
; %bb.357:
	v_lshlrev_b32_e32 v1, 3, v89
	buffer_load_dword v2, v1, s[0:3], 0 offen
	buffer_load_dword v3, v1, s[0:3], 0 offen offset:4
	buffer_load_dword v4, off, s[0:3], 0 offset:24
	buffer_load_dword v5, off, s[0:3], 0 offset:28
	s_waitcnt vmcnt(3)
	buffer_store_dword v2, off, s[0:3], 0 offset:24
	s_waitcnt vmcnt(3)
	buffer_store_dword v3, off, s[0:3], 0 offset:28
	s_waitcnt vmcnt(3)
	buffer_store_dword v4, v1, s[0:3], 0 offen
	s_waitcnt vmcnt(3)
	buffer_store_dword v5, v1, s[0:3], 0 offen offset:4
.LBB43_358:
	global_load_dword v0, v0, s[20:21] offset:8
	s_waitcnt vmcnt(0)
	v_add_u32_e32 v0, -1, v0
	v_cmp_eq_u32_e32 vcc, 2, v0
	s_cbranch_vccnz .LBB43_360
; %bb.359:
	v_lshlrev_b32_e32 v0, 3, v0
	buffer_load_dword v1, v0, s[0:3], 0 offen
	buffer_load_dword v2, v0, s[0:3], 0 offen offset:4
	buffer_load_dword v3, off, s[0:3], 0 offset:20
	buffer_load_dword v4, off, s[0:3], 0 offset:16
	s_waitcnt vmcnt(3)
	buffer_store_dword v1, off, s[0:3], 0 offset:16
	s_waitcnt vmcnt(3)
	buffer_store_dword v2, off, s[0:3], 0 offset:20
	s_waitcnt vmcnt(3)
	buffer_store_dword v3, v0, s[0:3], 0 offen offset:4
	s_waitcnt vmcnt(3)
	buffer_store_dword v4, v0, s[0:3], 0 offen
.LBB43_360:
	v_mov_b32_e32 v0, 0
	global_load_dword v1, v0, s[20:21] offset:4
	s_waitcnt vmcnt(0)
	v_add_u32_e32 v89, -1, v1
	v_cmp_eq_u32_e32 vcc, 1, v89
	s_cbranch_vccnz .LBB43_362
; %bb.361:
	v_lshlrev_b32_e32 v1, 3, v89
	buffer_load_dword v2, v1, s[0:3], 0 offen
	buffer_load_dword v3, v1, s[0:3], 0 offen offset:4
	buffer_load_dword v4, off, s[0:3], 0 offset:8
	buffer_load_dword v5, off, s[0:3], 0 offset:12
	s_waitcnt vmcnt(3)
	buffer_store_dword v2, off, s[0:3], 0 offset:8
	s_waitcnt vmcnt(3)
	buffer_store_dword v3, off, s[0:3], 0 offset:12
	s_waitcnt vmcnt(3)
	buffer_store_dword v4, v1, s[0:3], 0 offen
	s_waitcnt vmcnt(3)
	buffer_store_dword v5, v1, s[0:3], 0 offen offset:4
.LBB43_362:
	global_load_dword v0, v0, s[20:21]
	s_waitcnt vmcnt(0)
	v_add_u32_e32 v0, -1, v0
	v_cmp_eq_u32_e32 vcc, 0, v0
	s_cbranch_vccnz .LBB43_364
; %bb.363:
	v_lshlrev_b32_e32 v0, 3, v0
	buffer_load_dword v1, v0, s[0:3], 0 offen
	buffer_load_dword v2, v0, s[0:3], 0 offen offset:4
	buffer_load_dword v3, off, s[0:3], 0 offset:4
	buffer_load_dword v4, off, s[0:3], 0
	s_waitcnt vmcnt(3)
	buffer_store_dword v1, off, s[0:3], 0
	s_waitcnt vmcnt(3)
	buffer_store_dword v2, off, s[0:3], 0 offset:4
	s_waitcnt vmcnt(3)
	buffer_store_dword v3, v0, s[0:3], 0 offen offset:4
	s_waitcnt vmcnt(3)
	buffer_store_dword v4, v0, s[0:3], 0 offen
.LBB43_364:
	buffer_load_dword v89, off, s[0:3], 0
	buffer_load_dword v90, off, s[0:3], 0 offset:4
	buffer_load_dword v91, off, s[0:3], 0 offset:8
	;; [unrolled: 1-line block ×87, first 2 shown]
	s_waitcnt vmcnt(62)
	global_store_dwordx2 v[77:78], v[89:90], off
	global_store_dwordx2 v[79:80], v[91:92], off
	buffer_load_dword v0, off, s[0:3], 0 offset:352 ; 4-byte Folded Reload
	buffer_load_dword v1, off, s[0:3], 0 offset:356 ; 4-byte Folded Reload
	s_waitcnt vmcnt(0)
	global_store_dwordx2 v[0:1], v[93:94], off
	buffer_load_dword v0, off, s[0:3], 0 offset:360 ; 4-byte Folded Reload
	s_nop 0
	buffer_load_dword v1, off, s[0:3], 0 offset:364 ; 4-byte Folded Reload
	s_waitcnt vmcnt(0)
	global_store_dwordx2 v[0:1], v[95:96], off
	buffer_load_dword v0, off, s[0:3], 0 offset:368 ; 4-byte Folded Reload
	s_nop 0
	;; [unrolled: 5-line block ×4, first 2 shown]
	buffer_load_dword v1, off, s[0:3], 0 offset:388 ; 4-byte Folded Reload
	s_waitcnt vmcnt(0)
	global_store_dwordx2 v[0:1], v[101:102], off
	global_store_dwordx2 v[11:12], v[103:104], off
	;; [unrolled: 1-line block ×38, first 2 shown]
	s_endpgm
	.section	.rodata,"a",@progbits
	.p2align	6, 0x0
	.amdhsa_kernel _ZN9rocsolver6v33100L18getri_kernel_smallILi44E19rocblas_complex_numIfEPS3_EEvT1_iilPiilS6_bb
		.amdhsa_group_segment_fixed_size 708
		.amdhsa_private_segment_fixed_size 400
		.amdhsa_kernarg_size 60
		.amdhsa_user_sgpr_count 6
		.amdhsa_user_sgpr_private_segment_buffer 1
		.amdhsa_user_sgpr_dispatch_ptr 0
		.amdhsa_user_sgpr_queue_ptr 0
		.amdhsa_user_sgpr_kernarg_segment_ptr 1
		.amdhsa_user_sgpr_dispatch_id 0
		.amdhsa_user_sgpr_flat_scratch_init 0
		.amdhsa_user_sgpr_private_segment_size 0
		.amdhsa_uses_dynamic_stack 0
		.amdhsa_system_sgpr_private_segment_wavefront_offset 1
		.amdhsa_system_sgpr_workgroup_id_x 1
		.amdhsa_system_sgpr_workgroup_id_y 0
		.amdhsa_system_sgpr_workgroup_id_z 0
		.amdhsa_system_sgpr_workgroup_info 0
		.amdhsa_system_vgpr_workitem_id 0
		.amdhsa_next_free_vgpr 256
		.amdhsa_next_free_sgpr 24
		.amdhsa_reserve_vcc 1
		.amdhsa_reserve_flat_scratch 0
		.amdhsa_float_round_mode_32 0
		.amdhsa_float_round_mode_16_64 0
		.amdhsa_float_denorm_mode_32 3
		.amdhsa_float_denorm_mode_16_64 3
		.amdhsa_dx10_clamp 1
		.amdhsa_ieee_mode 1
		.amdhsa_fp16_overflow 0
		.amdhsa_exception_fp_ieee_invalid_op 0
		.amdhsa_exception_fp_denorm_src 0
		.amdhsa_exception_fp_ieee_div_zero 0
		.amdhsa_exception_fp_ieee_overflow 0
		.amdhsa_exception_fp_ieee_underflow 0
		.amdhsa_exception_fp_ieee_inexact 0
		.amdhsa_exception_int_div_zero 0
	.end_amdhsa_kernel
	.section	.text._ZN9rocsolver6v33100L18getri_kernel_smallILi44E19rocblas_complex_numIfEPS3_EEvT1_iilPiilS6_bb,"axG",@progbits,_ZN9rocsolver6v33100L18getri_kernel_smallILi44E19rocblas_complex_numIfEPS3_EEvT1_iilPiilS6_bb,comdat
.Lfunc_end43:
	.size	_ZN9rocsolver6v33100L18getri_kernel_smallILi44E19rocblas_complex_numIfEPS3_EEvT1_iilPiilS6_bb, .Lfunc_end43-_ZN9rocsolver6v33100L18getri_kernel_smallILi44E19rocblas_complex_numIfEPS3_EEvT1_iilPiilS6_bb
                                        ; -- End function
	.set _ZN9rocsolver6v33100L18getri_kernel_smallILi44E19rocblas_complex_numIfEPS3_EEvT1_iilPiilS6_bb.num_vgpr, 256
	.set _ZN9rocsolver6v33100L18getri_kernel_smallILi44E19rocblas_complex_numIfEPS3_EEvT1_iilPiilS6_bb.num_agpr, 0
	.set _ZN9rocsolver6v33100L18getri_kernel_smallILi44E19rocblas_complex_numIfEPS3_EEvT1_iilPiilS6_bb.numbered_sgpr, 24
	.set _ZN9rocsolver6v33100L18getri_kernel_smallILi44E19rocblas_complex_numIfEPS3_EEvT1_iilPiilS6_bb.num_named_barrier, 0
	.set _ZN9rocsolver6v33100L18getri_kernel_smallILi44E19rocblas_complex_numIfEPS3_EEvT1_iilPiilS6_bb.private_seg_size, 400
	.set _ZN9rocsolver6v33100L18getri_kernel_smallILi44E19rocblas_complex_numIfEPS3_EEvT1_iilPiilS6_bb.uses_vcc, 1
	.set _ZN9rocsolver6v33100L18getri_kernel_smallILi44E19rocblas_complex_numIfEPS3_EEvT1_iilPiilS6_bb.uses_flat_scratch, 0
	.set _ZN9rocsolver6v33100L18getri_kernel_smallILi44E19rocblas_complex_numIfEPS3_EEvT1_iilPiilS6_bb.has_dyn_sized_stack, 0
	.set _ZN9rocsolver6v33100L18getri_kernel_smallILi44E19rocblas_complex_numIfEPS3_EEvT1_iilPiilS6_bb.has_recursion, 0
	.set _ZN9rocsolver6v33100L18getri_kernel_smallILi44E19rocblas_complex_numIfEPS3_EEvT1_iilPiilS6_bb.has_indirect_call, 0
	.section	.AMDGPU.csdata,"",@progbits
; Kernel info:
; codeLenInByte = 74924
; TotalNumSgprs: 28
; NumVgprs: 256
; ScratchSize: 400
; MemoryBound: 0
; FloatMode: 240
; IeeeMode: 1
; LDSByteSize: 708 bytes/workgroup (compile time only)
; SGPRBlocks: 3
; VGPRBlocks: 63
; NumSGPRsForWavesPerEU: 28
; NumVGPRsForWavesPerEU: 256
; Occupancy: 1
; WaveLimiterHint : 1
; COMPUTE_PGM_RSRC2:SCRATCH_EN: 1
; COMPUTE_PGM_RSRC2:USER_SGPR: 6
; COMPUTE_PGM_RSRC2:TRAP_HANDLER: 0
; COMPUTE_PGM_RSRC2:TGID_X_EN: 1
; COMPUTE_PGM_RSRC2:TGID_Y_EN: 0
; COMPUTE_PGM_RSRC2:TGID_Z_EN: 0
; COMPUTE_PGM_RSRC2:TIDIG_COMP_CNT: 0
	.section	.text._ZN9rocsolver6v33100L18getri_kernel_smallILi45E19rocblas_complex_numIfEPS3_EEvT1_iilPiilS6_bb,"axG",@progbits,_ZN9rocsolver6v33100L18getri_kernel_smallILi45E19rocblas_complex_numIfEPS3_EEvT1_iilPiilS6_bb,comdat
	.globl	_ZN9rocsolver6v33100L18getri_kernel_smallILi45E19rocblas_complex_numIfEPS3_EEvT1_iilPiilS6_bb ; -- Begin function _ZN9rocsolver6v33100L18getri_kernel_smallILi45E19rocblas_complex_numIfEPS3_EEvT1_iilPiilS6_bb
	.p2align	8
	.type	_ZN9rocsolver6v33100L18getri_kernel_smallILi45E19rocblas_complex_numIfEPS3_EEvT1_iilPiilS6_bb,@function
_ZN9rocsolver6v33100L18getri_kernel_smallILi45E19rocblas_complex_numIfEPS3_EEvT1_iilPiilS6_bb: ; @_ZN9rocsolver6v33100L18getri_kernel_smallILi45E19rocblas_complex_numIfEPS3_EEvT1_iilPiilS6_bb
; %bb.0:
	s_add_u32 s0, s0, s7
	s_addc_u32 s1, s1, 0
	v_cmp_gt_u32_e32 vcc, 45, v0
	s_and_saveexec_b64 s[8:9], vcc
	s_cbranch_execz .LBB44_194
; %bb.1:
	s_load_dword s12, s[4:5], 0x38
	s_load_dwordx4 s[16:19], s[4:5], 0x10
	s_load_dwordx4 s[8:11], s[4:5], 0x28
                                        ; implicit-def: $sgpr20_sgpr21
	s_waitcnt lgkmcnt(0)
	s_bitcmp1_b32 s12, 8
	s_cselect_b64 s[22:23], -1, 0
	s_ashr_i32 s7, s6, 31
	s_bfe_u32 s12, s12, 0x10008
	s_cmp_eq_u32 s12, 0
	s_cbranch_scc1 .LBB44_3
; %bb.2:
	s_load_dword s12, s[4:5], 0x20
	s_mul_i32 s13, s8, s7
	s_mul_hi_u32 s14, s8, s6
	s_mul_i32 s9, s9, s6
	s_add_i32 s14, s14, s13
	s_add_i32 s9, s14, s9
	s_mul_i32 s8, s8, s6
	s_waitcnt lgkmcnt(0)
	s_ashr_i32 s13, s12, 31
	s_lshl_b64 s[8:9], s[8:9], 2
	s_add_u32 s14, s18, s8
	s_addc_u32 s15, s19, s9
	s_lshl_b64 s[8:9], s[12:13], 2
	s_add_u32 s20, s14, s8
	s_addc_u32 s21, s15, s9
.LBB44_3:
	s_load_dwordx4 s[12:15], s[4:5], 0x0
	s_load_dword s8, s[4:5], 0x38
	s_mul_i32 s9, s16, s7
	s_mul_hi_u32 s18, s16, s6
	s_add_i32 s9, s18, s9
	s_waitcnt lgkmcnt(0)
	s_ashr_i32 s5, s14, 31
	s_mov_b32 s4, s14
	s_mul_i32 s14, s17, s6
	s_add_i32 s17, s9, s14
	s_mul_i32 s16, s16, s6
	s_lshl_b64 s[16:17], s[16:17], 3
	s_add_u32 s9, s12, s16
	s_addc_u32 s12, s13, s17
	s_lshl_b64 s[4:5], s[4:5], 3
	s_add_u32 s4, s9, s4
	s_addc_u32 s5, s12, s5
	s_add_i32 s9, s15, s15
	v_add_u32_e32 v3, s9, v0
	v_ashrrev_i32_e32 v4, 31, v3
	v_lshlrev_b64 v[1:2], 3, v[3:4]
	v_add_u32_e32 v5, s15, v3
	v_mov_b32_e32 v4, s5
	v_add_co_u32_e32 v1, vcc, s4, v1
	v_ashrrev_i32_e32 v6, 31, v5
	v_addc_co_u32_e32 v2, vcc, v4, v2, vcc
	v_lshlrev_b64 v[3:4], 3, v[5:6]
	v_add_u32_e32 v7, s15, v5
	v_mov_b32_e32 v6, s5
	v_add_co_u32_e32 v3, vcc, s4, v3
	v_ashrrev_i32_e32 v8, 31, v7
	v_addc_co_u32_e32 v4, vcc, v6, v4, vcc
	;; [unrolled: 6-line block ×8, first 2 shown]
	v_lshlrev_b64 v[17:18], 3, v[19:20]
	v_mov_b32_e32 v21, s5
	v_add_co_u32_e32 v17, vcc, s4, v17
	v_addc_co_u32_e32 v18, vcc, v21, v18, vcc
	v_add_u32_e32 v21, s15, v19
	v_ashrrev_i32_e32 v22, 31, v21
	v_lshlrev_b64 v[19:20], 3, v[21:22]
	v_mov_b32_e32 v23, s5
	v_add_co_u32_e32 v19, vcc, s4, v19
	v_addc_co_u32_e32 v20, vcc, v23, v20, vcc
	v_add_u32_e32 v23, s15, v21
	v_ashrrev_i32_e32 v24, 31, v23
	;; [unrolled: 6-line block ×29, first 2 shown]
	v_lshlrev_b32_e32 v93, 3, v0
	v_lshlrev_b64 v[75:76], 3, v[77:78]
	v_mov_b32_e32 v78, s5
	v_add_co_u32_e32 v79, vcc, s4, v93
	s_ashr_i32 s13, s15, 31
	s_mov_b32 s12, s15
	v_addc_co_u32_e32 v80, vcc, 0, v78, vcc
	s_lshl_b64 s[12:13], s[12:13], 3
	v_mov_b32_e32 v78, s13
	v_add_co_u32_e32 v81, vcc, s12, v79
	v_addc_co_u32_e32 v82, vcc, v80, v78, vcc
	global_load_dwordx2 v[91:92], v93, s[4:5]
	global_load_dwordx2 v[94:95], v[81:82], off
	s_nop 0
	buffer_store_dword v1, off, s[0:3], 0 offset:360 ; 4-byte Folded Spill
	s_nop 0
	buffer_store_dword v2, off, s[0:3], 0 offset:364 ; 4-byte Folded Spill
	v_mov_b32_e32 v83, s5
	v_add_co_u32_e32 v75, vcc, s4, v75
	v_addc_co_u32_e32 v76, vcc, v83, v76, vcc
	v_add_u32_e32 v83, s15, v77
	v_ashrrev_i32_e32 v84, 31, v83
	v_lshlrev_b64 v[77:78], 3, v[83:84]
	v_mov_b32_e32 v85, s5
	v_add_co_u32_e32 v77, vcc, s4, v77
	v_addc_co_u32_e32 v78, vcc, v85, v78, vcc
	v_add_u32_e32 v85, s15, v83
	v_ashrrev_i32_e32 v86, 31, v85
	v_lshlrev_b64 v[83:84], 3, v[85:86]
	;; [unrolled: 6-line block ×5, first 2 shown]
	v_mov_b32_e32 v162, s5
	v_add_co_u32_e32 v89, vcc, s4, v89
	v_addc_co_u32_e32 v90, vcc, v162, v90, vcc
	s_bitcmp0_b32 s8, 0
	s_mov_b64 s[8:9], -1
	global_load_dwordx2 v[96:97], v[1:2], off
	s_nop 0
	buffer_store_dword v3, off, s[0:3], 0 offset:368 ; 4-byte Folded Spill
	s_nop 0
	buffer_store_dword v4, off, s[0:3], 0 offset:372 ; 4-byte Folded Spill
	global_load_dwordx2 v[98:99], v[3:4], off
	s_nop 0
	buffer_store_dword v5, off, s[0:3], 0 offset:376 ; 4-byte Folded Spill
	s_nop 0
	buffer_store_dword v6, off, s[0:3], 0 offset:380 ; 4-byte Folded Spill
	global_load_dwordx2 v[100:101], v[5:6], off
	s_nop 0
	buffer_store_dword v7, off, s[0:3], 0 offset:384 ; 4-byte Folded Spill
	s_nop 0
	buffer_store_dword v8, off, s[0:3], 0 offset:388 ; 4-byte Folded Spill
	global_load_dwordx2 v[102:103], v[7:8], off
	s_nop 0
	buffer_store_dword v9, off, s[0:3], 0 offset:392 ; 4-byte Folded Spill
	s_nop 0
	buffer_store_dword v10, off, s[0:3], 0 offset:396 ; 4-byte Folded Spill
	global_load_dwordx2 v[104:105], v[9:10], off
	s_nop 0
	buffer_store_dword v11, off, s[0:3], 0 offset:400 ; 4-byte Folded Spill
	s_nop 0
	buffer_store_dword v12, off, s[0:3], 0 offset:404 ; 4-byte Folded Spill
	global_load_dwordx2 v[106:107], v[11:12], off
	s_nop 0
	buffer_store_dword v13, off, s[0:3], 0 offset:408 ; 4-byte Folded Spill
	s_nop 0
	buffer_store_dword v14, off, s[0:3], 0 offset:412 ; 4-byte Folded Spill
	global_load_dwordx2 v[108:109], v[13:14], off
	global_load_dwordx2 v[110:111], v[15:16], off
	;; [unrolled: 1-line block ×33, first 2 shown]
	s_waitcnt vmcnt(54)
	buffer_store_dword v92, off, s[0:3], 0 offset:4
	buffer_store_dword v91, off, s[0:3], 0
	global_load_dwordx2 v[91:92], v[71:72], off
	s_waitcnt vmcnt(56)
	buffer_store_dword v95, off, s[0:3], 0 offset:12
	buffer_store_dword v94, off, s[0:3], 0 offset:8
	global_load_dwordx2 v[94:95], v[75:76], off
	s_waitcnt vmcnt(56)
	buffer_store_dword v97, off, s[0:3], 0 offset:20
	buffer_store_dword v96, off, s[0:3], 0 offset:16
	;; [unrolled: 4-line block ×4, first 2 shown]
	s_waitcnt vmcnt(55)
	buffer_store_dword v103, off, s[0:3], 0 offset:44
	buffer_store_dword v102, off, s[0:3], 0 offset:40
	s_waitcnt vmcnt(54)
	buffer_store_dword v105, off, s[0:3], 0 offset:52
	buffer_store_dword v104, off, s[0:3], 0 offset:48
	;; [unrolled: 3-line block ×15, first 2 shown]
	buffer_store_dword v133, off, s[0:3], 0 offset:164
	buffer_store_dword v132, off, s[0:3], 0 offset:160
	s_waitcnt vmcnt(62)
	buffer_store_dword v134, off, s[0:3], 0 offset:168
	buffer_store_dword v135, off, s[0:3], 0 offset:172
	buffer_store_dword v136, off, s[0:3], 0 offset:176
	buffer_store_dword v137, off, s[0:3], 0 offset:180
	buffer_store_dword v138, off, s[0:3], 0 offset:184
	buffer_store_dword v139, off, s[0:3], 0 offset:188
	buffer_store_dword v140, off, s[0:3], 0 offset:192
	buffer_store_dword v141, off, s[0:3], 0 offset:196
	s_waitcnt vmcnt(62)
	buffer_store_dword v143, off, s[0:3], 0 offset:204
	buffer_store_dword v142, off, s[0:3], 0 offset:200
	buffer_store_dword v145, off, s[0:3], 0 offset:212
	buffer_store_dword v144, off, s[0:3], 0 offset:208
	buffer_store_dword v146, off, s[0:3], 0 offset:216
	buffer_store_dword v147, off, s[0:3], 0 offset:220
	buffer_store_dword v148, off, s[0:3], 0 offset:224
	buffer_store_dword v149, off, s[0:3], 0 offset:228
	buffer_store_dword v150, off, s[0:3], 0 offset:232
	buffer_store_dword v151, off, s[0:3], 0 offset:236
	buffer_store_dword v152, off, s[0:3], 0 offset:240
	buffer_store_dword v153, off, s[0:3], 0 offset:244
	buffer_store_dword v155, off, s[0:3], 0 offset:252
	buffer_store_dword v154, off, s[0:3], 0 offset:248
	buffer_store_dword v157, off, s[0:3], 0 offset:260
	buffer_store_dword v156, off, s[0:3], 0 offset:256
	s_waitcnt vmcnt(62)
	buffer_store_dword v158, off, s[0:3], 0 offset:264
	buffer_store_dword v159, off, s[0:3], 0 offset:268
	buffer_store_dword v160, off, s[0:3], 0 offset:272
	buffer_store_dword v161, off, s[0:3], 0 offset:276
	buffer_store_dword v162, off, s[0:3], 0 offset:280
	buffer_store_dword v163, off, s[0:3], 0 offset:284
	buffer_store_dword v164, off, s[0:3], 0 offset:288
	buffer_store_dword v165, off, s[0:3], 0 offset:292
	;; [unrolled: 17-line block ×3, first 2 shown]
	s_cbranch_scc1 .LBB44_192
; %bb.4:
	v_cmp_eq_u32_e64 s[4:5], 0, v0
	s_and_saveexec_b64 s[8:9], s[4:5]
; %bb.5:
	v_mov_b32_e32 v91, 0
	ds_write_b32 v91, v91 offset:360
; %bb.6:
	s_or_b64 exec, exec, s[8:9]
	v_mov_b32_e32 v91, 0
	v_lshl_add_u32 v95, v0, 3, v91
	s_waitcnt lgkmcnt(0)
	; wave barrier
	buffer_load_dword v91, v95, s[0:3], 0 offen
	buffer_load_dword v92, v95, s[0:3], 0 offen offset:4
	s_waitcnt vmcnt(1)
	v_cmp_eq_f32_e32 vcc, 0, v91
	s_waitcnt vmcnt(0)
	v_cmp_eq_f32_e64 s[8:9], 0, v92
	s_and_b64 s[8:9], vcc, s[8:9]
	s_and_saveexec_b64 s[12:13], s[8:9]
	s_cbranch_execz .LBB44_10
; %bb.7:
	v_mov_b32_e32 v91, 0
	ds_read_b32 v94, v91 offset:360
	v_add_u32_e32 v92, 1, v0
	s_waitcnt lgkmcnt(0)
	v_readfirstlane_b32 s8, v94
	s_cmp_eq_u32 s8, 0
	s_cselect_b64 s[14:15], -1, 0
	v_cmp_gt_i32_e32 vcc, s8, v92
	s_or_b64 s[14:15], s[14:15], vcc
	s_and_b64 exec, exec, s[14:15]
	s_cbranch_execz .LBB44_10
; %bb.8:
	s_mov_b64 s[14:15], 0
	v_mov_b32_e32 v94, s8
.LBB44_9:                               ; =>This Inner Loop Header: Depth=1
	ds_cmpst_rtn_b32 v94, v91, v94, v92 offset:360
	s_waitcnt lgkmcnt(0)
	v_cmp_ne_u32_e32 vcc, 0, v94
	v_cmp_le_i32_e64 s[8:9], v94, v92
	s_and_b64 s[8:9], vcc, s[8:9]
	s_and_b64 s[8:9], exec, s[8:9]
	s_or_b64 s[14:15], s[8:9], s[14:15]
	s_andn2_b64 exec, exec, s[14:15]
	s_cbranch_execnz .LBB44_9
.LBB44_10:
	s_or_b64 exec, exec, s[12:13]
	v_mov_b32_e32 v92, 0
	; wave barrier
	ds_read_b32 v91, v92 offset:360
	s_and_saveexec_b64 s[8:9], s[4:5]
	s_cbranch_execz .LBB44_12
; %bb.11:
	s_lshl_b64 s[12:13], s[6:7], 2
	s_add_u32 s12, s10, s12
	s_addc_u32 s13, s11, s13
	s_waitcnt lgkmcnt(0)
	global_store_dword v92, v91, s[12:13]
.LBB44_12:
	s_or_b64 exec, exec, s[8:9]
	s_waitcnt lgkmcnt(0)
	v_cmp_ne_u32_e32 vcc, 0, v91
	s_mov_b64 s[8:9], 0
	s_cbranch_vccnz .LBB44_192
; %bb.13:
	buffer_load_dword v92, v95, s[0:3], 0 offen
	buffer_load_dword v94, v95, s[0:3], 0 offen offset:4
                                        ; implicit-def: $vgpr97
                                        ; implicit-def: $vgpr96
                                        ; implicit-def: $vgpr91
	s_waitcnt vmcnt(0)
	v_cmp_ngt_f32_e64 s[8:9], |v92|, |v94|
	s_and_saveexec_b64 s[12:13], s[8:9]
	s_xor_b64 s[8:9], exec, s[12:13]
	s_cbranch_execz .LBB44_15
; %bb.14:
	v_div_scale_f32 v91, s[12:13], v94, v94, v92
	v_div_scale_f32 v96, vcc, v92, v94, v92
	v_rcp_f32_e32 v97, v91
	v_fma_f32 v98, -v91, v97, 1.0
	v_fmac_f32_e32 v97, v98, v97
	v_mul_f32_e32 v98, v96, v97
	v_fma_f32 v99, -v91, v98, v96
	v_fmac_f32_e32 v98, v99, v97
	v_fma_f32 v91, -v91, v98, v96
	v_div_fmas_f32 v91, v91, v97, v98
	v_div_fixup_f32 v91, v91, v94, v92
	v_fmac_f32_e32 v94, v92, v91
	v_div_scale_f32 v92, s[12:13], v94, v94, 1.0
	v_div_scale_f32 v96, vcc, 1.0, v94, 1.0
	v_rcp_f32_e32 v97, v92
	v_fma_f32 v98, -v92, v97, 1.0
	v_fmac_f32_e32 v97, v98, v97
	v_mul_f32_e32 v98, v96, v97
	v_fma_f32 v99, -v92, v98, v96
	v_fmac_f32_e32 v98, v99, v97
	v_fma_f32 v92, -v92, v98, v96
	v_div_fmas_f32 v92, v92, v97, v98
	v_div_fixup_f32 v92, v92, v94, 1.0
	v_mul_f32_e32 v97, v91, v92
	v_xor_b32_e32 v96, 0x80000000, v92
	v_xor_b32_e32 v91, 0x80000000, v97
                                        ; implicit-def: $vgpr92
                                        ; implicit-def: $vgpr94
.LBB44_15:
	s_andn2_saveexec_b64 s[8:9], s[8:9]
	s_cbranch_execz .LBB44_17
; %bb.16:
	v_div_scale_f32 v91, s[12:13], v92, v92, v94
	v_div_scale_f32 v96, vcc, v94, v92, v94
	v_rcp_f32_e32 v97, v91
	v_fma_f32 v98, -v91, v97, 1.0
	v_fmac_f32_e32 v97, v98, v97
	v_mul_f32_e32 v98, v96, v97
	v_fma_f32 v99, -v91, v98, v96
	v_fmac_f32_e32 v98, v99, v97
	v_fma_f32 v91, -v91, v98, v96
	v_div_fmas_f32 v91, v91, v97, v98
	v_div_fixup_f32 v96, v91, v92, v94
	v_fmac_f32_e32 v92, v94, v96
	v_div_scale_f32 v91, s[12:13], v92, v92, 1.0
	v_div_scale_f32 v94, vcc, 1.0, v92, 1.0
	v_rcp_f32_e32 v97, v91
	v_fma_f32 v98, -v91, v97, 1.0
	v_fmac_f32_e32 v97, v98, v97
	v_mul_f32_e32 v98, v94, v97
	v_fma_f32 v99, -v91, v98, v94
	v_fmac_f32_e32 v98, v99, v97
	v_fma_f32 v91, -v91, v98, v94
	v_div_fmas_f32 v91, v91, v97, v98
	v_div_fixup_f32 v97, v91, v92, 1.0
	v_xor_b32_e32 v91, 0x80000000, v97
	v_mul_f32_e64 v96, v96, -v97
.LBB44_17:
	s_or_b64 exec, exec, s[8:9]
	buffer_store_dword v97, v95, s[0:3], 0 offen
	buffer_store_dword v96, v95, s[0:3], 0 offen offset:4
	buffer_load_dword v98, off, s[0:3], 0 offset:12
	s_nop 0
	buffer_load_dword v97, off, s[0:3], 0 offset:8
	v_xor_b32_e32 v92, 0x80000000, v96
	v_add_u32_e32 v94, 0x170, v93
	s_waitcnt vmcnt(0)
	ds_write2_b64 v93, v[91:92], v[97:98] offset1:46
	s_waitcnt lgkmcnt(0)
	; wave barrier
	s_and_saveexec_b64 s[8:9], s[4:5]
	s_cbranch_execz .LBB44_19
; %bb.18:
	buffer_load_dword v98, v95, s[0:3], 0 offen offset:4
	buffer_load_dword v99, v95, s[0:3], 0 offen
	ds_read_b64 v[91:92], v94
	v_mov_b32_e32 v96, 0
	ds_read_b64 v[96:97], v96 offset:8
	s_waitcnt vmcnt(1) lgkmcnt(1)
	v_mul_f32_e32 v100, v92, v98
	v_mul_f32_e32 v98, v91, v98
	s_waitcnt vmcnt(0)
	v_fmac_f32_e32 v98, v92, v99
	v_fma_f32 v91, v91, v99, -v100
	v_add_f32_e32 v92, 0, v98
	v_add_f32_e32 v91, 0, v91
	s_waitcnt lgkmcnt(0)
	v_mul_f32_e32 v98, v92, v97
	v_mul_f32_e32 v97, v91, v97
	v_fma_f32 v91, v91, v96, -v98
	v_fmac_f32_e32 v97, v92, v96
	buffer_store_dword v91, off, s[0:3], 0 offset:8
	buffer_store_dword v97, off, s[0:3], 0 offset:12
.LBB44_19:
	s_or_b64 exec, exec, s[8:9]
	; wave barrier
	buffer_load_dword v91, off, s[0:3], 0 offset:16
	buffer_load_dword v92, off, s[0:3], 0 offset:20
	v_cmp_gt_u32_e32 vcc, 2, v0
	s_waitcnt vmcnt(0)
	ds_write_b64 v94, v[91:92]
	s_waitcnt lgkmcnt(0)
	; wave barrier
	s_and_saveexec_b64 s[8:9], vcc
	s_cbranch_execz .LBB44_23
; %bb.20:
	buffer_load_dword v96, v95, s[0:3], 0 offen offset:4
	buffer_load_dword v97, v95, s[0:3], 0 offen
	ds_read_b64 v[91:92], v94
	s_waitcnt vmcnt(1) lgkmcnt(0)
	v_mul_f32_e32 v95, v92, v96
	v_mul_f32_e32 v96, v91, v96
	s_waitcnt vmcnt(0)
	v_fma_f32 v91, v91, v97, -v95
	v_fmac_f32_e32 v96, v92, v97
	v_add_f32_e32 v92, 0, v91
	v_add_f32_e32 v91, 0, v96
	s_and_saveexec_b64 s[12:13], s[4:5]
	s_cbranch_execz .LBB44_22
; %bb.21:
	buffer_load_dword v97, off, s[0:3], 0 offset:12
	buffer_load_dword v98, off, s[0:3], 0 offset:8
	v_mov_b32_e32 v95, 0
	ds_read_b64 v[95:96], v95 offset:376
	s_waitcnt vmcnt(1) lgkmcnt(0)
	v_mul_f32_e32 v99, v95, v97
	v_mul_f32_e32 v97, v96, v97
	s_waitcnt vmcnt(0)
	v_fmac_f32_e32 v99, v96, v98
	v_fma_f32 v95, v95, v98, -v97
	v_add_f32_e32 v91, v91, v99
	v_add_f32_e32 v92, v92, v95
.LBB44_22:
	s_or_b64 exec, exec, s[12:13]
	v_mov_b32_e32 v95, 0
	ds_read_b64 v[95:96], v95 offset:16
	s_waitcnt lgkmcnt(0)
	v_mul_f32_e32 v97, v91, v96
	v_mul_f32_e32 v96, v92, v96
	v_fma_f32 v92, v92, v95, -v97
	v_fmac_f32_e32 v96, v91, v95
	buffer_store_dword v92, off, s[0:3], 0 offset:16
	buffer_store_dword v96, off, s[0:3], 0 offset:20
.LBB44_23:
	s_or_b64 exec, exec, s[8:9]
	; wave barrier
	buffer_load_dword v91, off, s[0:3], 0 offset:24
	buffer_load_dword v92, off, s[0:3], 0 offset:28
	v_cmp_gt_u32_e32 vcc, 3, v0
	s_waitcnt vmcnt(0)
	ds_write_b64 v94, v[91:92]
	v_add_u32_e32 v91, -1, v0
	s_waitcnt lgkmcnt(0)
	; wave barrier
	s_and_saveexec_b64 s[4:5], vcc
	s_cbranch_execz .LBB44_27
; %bb.24:
	v_add_u32_e32 v95, -1, v0
	v_add_u32_e32 v96, 0x170, v93
	v_mov_b32_e32 v97, v93
	v_mov_b32_e32 v92, 0
	s_mov_b64 s[8:9], 0
	v_mov_b32_e32 v98, 0
.LBB44_25:                              ; =>This Inner Loop Header: Depth=1
	buffer_load_dword v101, v97, s[0:3], 0 offen offset:4
	buffer_load_dword v102, v97, s[0:3], 0 offen
	ds_read_b64 v[99:100], v96
	v_add_u32_e32 v95, 1, v95
	v_cmp_lt_u32_e32 vcc, 1, v95
	v_add_u32_e32 v96, 8, v96
	v_add_u32_e32 v97, 8, v97
	s_or_b64 s[8:9], vcc, s[8:9]
	s_waitcnt vmcnt(1) lgkmcnt(0)
	v_mul_f32_e32 v103, v100, v101
	v_mul_f32_e32 v101, v99, v101
	s_waitcnt vmcnt(0)
	v_fma_f32 v99, v99, v102, -v103
	v_fmac_f32_e32 v101, v100, v102
	v_add_f32_e32 v98, v98, v99
	v_add_f32_e32 v92, v92, v101
	s_andn2_b64 exec, exec, s[8:9]
	s_cbranch_execnz .LBB44_25
; %bb.26:
	s_or_b64 exec, exec, s[8:9]
	v_mov_b32_e32 v95, 0
	ds_read_b64 v[95:96], v95 offset:24
	s_waitcnt lgkmcnt(0)
	v_mul_f32_e32 v97, v92, v96
	v_mul_f32_e32 v96, v98, v96
	v_fma_f32 v97, v98, v95, -v97
	v_fmac_f32_e32 v96, v92, v95
	buffer_store_dword v97, off, s[0:3], 0 offset:24
	buffer_store_dword v96, off, s[0:3], 0 offset:28
.LBB44_27:
	s_or_b64 exec, exec, s[4:5]
	; wave barrier
	buffer_load_dword v95, off, s[0:3], 0 offset:32
	buffer_load_dword v96, off, s[0:3], 0 offset:36
	v_cmp_gt_u32_e32 vcc, 4, v0
	s_waitcnt vmcnt(0)
	ds_write_b64 v94, v[95:96]
	s_waitcnt lgkmcnt(0)
	; wave barrier
	s_and_saveexec_b64 s[4:5], vcc
	s_cbranch_execz .LBB44_31
; %bb.28:
	v_add_u32_e32 v95, -1, v0
	v_add_u32_e32 v96, 0x170, v93
	v_mov_b32_e32 v97, v93
	v_mov_b32_e32 v92, 0
	s_mov_b64 s[8:9], 0
	v_mov_b32_e32 v98, 0
.LBB44_29:                              ; =>This Inner Loop Header: Depth=1
	buffer_load_dword v101, v97, s[0:3], 0 offen offset:4
	buffer_load_dword v102, v97, s[0:3], 0 offen
	ds_read_b64 v[99:100], v96
	v_add_u32_e32 v95, 1, v95
	v_cmp_lt_u32_e32 vcc, 2, v95
	v_add_u32_e32 v96, 8, v96
	v_add_u32_e32 v97, 8, v97
	s_or_b64 s[8:9], vcc, s[8:9]
	s_waitcnt vmcnt(1) lgkmcnt(0)
	v_mul_f32_e32 v103, v100, v101
	v_mul_f32_e32 v101, v99, v101
	s_waitcnt vmcnt(0)
	v_fma_f32 v99, v99, v102, -v103
	v_fmac_f32_e32 v101, v100, v102
	v_add_f32_e32 v98, v98, v99
	v_add_f32_e32 v92, v92, v101
	s_andn2_b64 exec, exec, s[8:9]
	s_cbranch_execnz .LBB44_29
; %bb.30:
	s_or_b64 exec, exec, s[8:9]
	v_mov_b32_e32 v95, 0
	ds_read_b64 v[95:96], v95 offset:32
	s_waitcnt lgkmcnt(0)
	v_mul_f32_e32 v97, v92, v96
	v_mul_f32_e32 v96, v98, v96
	v_fma_f32 v97, v98, v95, -v97
	v_fmac_f32_e32 v96, v92, v95
	buffer_store_dword v97, off, s[0:3], 0 offset:32
	buffer_store_dword v96, off, s[0:3], 0 offset:36
.LBB44_31:
	s_or_b64 exec, exec, s[4:5]
	; wave barrier
	buffer_load_dword v95, off, s[0:3], 0 offset:40
	buffer_load_dword v96, off, s[0:3], 0 offset:44
	v_cmp_gt_u32_e32 vcc, 5, v0
	s_waitcnt vmcnt(0)
	ds_write_b64 v94, v[95:96]
	;; [unrolled: 49-line block ×19, first 2 shown]
	s_waitcnt lgkmcnt(0)
	; wave barrier
	s_and_saveexec_b64 s[4:5], vcc
	s_cbranch_execz .LBB44_103
; %bb.100:
	v_add_u32_e32 v95, -1, v0
	v_add_u32_e32 v96, 0x170, v93
	v_mov_b32_e32 v97, v93
	v_mov_b32_e32 v92, 0
	s_mov_b64 s[8:9], 0
	v_mov_b32_e32 v98, 0
.LBB44_101:                             ; =>This Inner Loop Header: Depth=1
	buffer_load_dword v101, v97, s[0:3], 0 offen offset:4
	buffer_load_dword v102, v97, s[0:3], 0 offen
	ds_read_b64 v[99:100], v96
	v_add_u32_e32 v95, 1, v95
	v_cmp_lt_u32_e32 vcc, 20, v95
	v_add_u32_e32 v96, 8, v96
	v_add_u32_e32 v97, 8, v97
	s_or_b64 s[8:9], vcc, s[8:9]
	s_waitcnt vmcnt(1) lgkmcnt(0)
	v_mul_f32_e32 v103, v100, v101
	v_mul_f32_e32 v101, v99, v101
	s_waitcnt vmcnt(0)
	v_fma_f32 v99, v99, v102, -v103
	v_fmac_f32_e32 v101, v100, v102
	v_add_f32_e32 v98, v98, v99
	v_add_f32_e32 v92, v92, v101
	s_andn2_b64 exec, exec, s[8:9]
	s_cbranch_execnz .LBB44_101
; %bb.102:
	s_or_b64 exec, exec, s[8:9]
	v_mov_b32_e32 v95, 0
	ds_read_b64 v[95:96], v95 offset:176
	s_waitcnt lgkmcnt(0)
	v_mul_f32_e32 v97, v92, v96
	v_mul_f32_e32 v96, v98, v96
	v_fma_f32 v97, v98, v95, -v97
	v_fmac_f32_e32 v96, v92, v95
	buffer_store_dword v97, off, s[0:3], 0 offset:176
	buffer_store_dword v96, off, s[0:3], 0 offset:180
.LBB44_103:
	s_or_b64 exec, exec, s[4:5]
	; wave barrier
	buffer_load_dword v95, off, s[0:3], 0 offset:184
	buffer_load_dword v96, off, s[0:3], 0 offset:188
	v_cmp_gt_u32_e32 vcc, 23, v0
	s_waitcnt vmcnt(0)
	ds_write_b64 v94, v[95:96]
	s_waitcnt lgkmcnt(0)
	; wave barrier
	s_and_saveexec_b64 s[4:5], vcc
	s_cbranch_execz .LBB44_107
; %bb.104:
	v_add_u32_e32 v95, -1, v0
	v_add_u32_e32 v96, 0x170, v93
	v_mov_b32_e32 v97, v93
	v_mov_b32_e32 v92, 0
	s_mov_b64 s[8:9], 0
	v_mov_b32_e32 v98, 0
.LBB44_105:                             ; =>This Inner Loop Header: Depth=1
	buffer_load_dword v101, v97, s[0:3], 0 offen offset:4
	buffer_load_dword v102, v97, s[0:3], 0 offen
	ds_read_b64 v[99:100], v96
	v_add_u32_e32 v95, 1, v95
	v_cmp_lt_u32_e32 vcc, 21, v95
	v_add_u32_e32 v96, 8, v96
	v_add_u32_e32 v97, 8, v97
	s_or_b64 s[8:9], vcc, s[8:9]
	s_waitcnt vmcnt(1) lgkmcnt(0)
	v_mul_f32_e32 v103, v100, v101
	v_mul_f32_e32 v101, v99, v101
	s_waitcnt vmcnt(0)
	v_fma_f32 v99, v99, v102, -v103
	v_fmac_f32_e32 v101, v100, v102
	v_add_f32_e32 v98, v98, v99
	v_add_f32_e32 v92, v92, v101
	s_andn2_b64 exec, exec, s[8:9]
	s_cbranch_execnz .LBB44_105
; %bb.106:
	s_or_b64 exec, exec, s[8:9]
	v_mov_b32_e32 v95, 0
	ds_read_b64 v[95:96], v95 offset:184
	s_waitcnt lgkmcnt(0)
	v_mul_f32_e32 v97, v92, v96
	v_mul_f32_e32 v96, v98, v96
	v_fma_f32 v97, v98, v95, -v97
	v_fmac_f32_e32 v96, v92, v95
	buffer_store_dword v97, off, s[0:3], 0 offset:184
	buffer_store_dword v96, off, s[0:3], 0 offset:188
.LBB44_107:
	s_or_b64 exec, exec, s[4:5]
	; wave barrier
	buffer_load_dword v95, off, s[0:3], 0 offset:192
	buffer_load_dword v96, off, s[0:3], 0 offset:196
	v_cmp_gt_u32_e32 vcc, 24, v0
	s_waitcnt vmcnt(0)
	ds_write_b64 v94, v[95:96]
	;; [unrolled: 49-line block ×21, first 2 shown]
	s_waitcnt lgkmcnt(0)
	; wave barrier
	s_and_saveexec_b64 s[4:5], vcc
	s_cbranch_execz .LBB44_187
; %bb.184:
	v_add_u32_e32 v95, -1, v0
	v_add_u32_e32 v96, 0x170, v93
	v_mov_b32_e32 v97, v93
	v_mov_b32_e32 v92, 0
	s_mov_b64 s[8:9], 0
	v_mov_b32_e32 v98, 0
.LBB44_185:                             ; =>This Inner Loop Header: Depth=1
	buffer_load_dword v101, v97, s[0:3], 0 offen offset:4
	buffer_load_dword v102, v97, s[0:3], 0 offen
	ds_read_b64 v[99:100], v96
	v_add_u32_e32 v95, 1, v95
	v_cmp_lt_u32_e32 vcc, 41, v95
	v_add_u32_e32 v96, 8, v96
	v_add_u32_e32 v97, 8, v97
	s_or_b64 s[8:9], vcc, s[8:9]
	s_waitcnt vmcnt(1) lgkmcnt(0)
	v_mul_f32_e32 v103, v100, v101
	v_mul_f32_e32 v101, v99, v101
	s_waitcnt vmcnt(0)
	v_fma_f32 v99, v99, v102, -v103
	v_fmac_f32_e32 v101, v100, v102
	v_add_f32_e32 v98, v98, v99
	v_add_f32_e32 v92, v92, v101
	s_andn2_b64 exec, exec, s[8:9]
	s_cbranch_execnz .LBB44_185
; %bb.186:
	s_or_b64 exec, exec, s[8:9]
	v_mov_b32_e32 v95, 0
	ds_read_b64 v[95:96], v95 offset:344
	s_waitcnt lgkmcnt(0)
	v_mul_f32_e32 v97, v92, v96
	v_mul_f32_e32 v96, v98, v96
	v_fma_f32 v97, v98, v95, -v97
	v_fmac_f32_e32 v96, v92, v95
	buffer_store_dword v97, off, s[0:3], 0 offset:344
	buffer_store_dword v96, off, s[0:3], 0 offset:348
.LBB44_187:
	s_or_b64 exec, exec, s[4:5]
	; wave barrier
	buffer_load_dword v95, off, s[0:3], 0 offset:352
	buffer_load_dword v96, off, s[0:3], 0 offset:356
	v_cmp_ne_u32_e32 vcc, 44, v0
	s_waitcnt vmcnt(0)
	ds_write_b64 v94, v[95:96]
	s_waitcnt lgkmcnt(0)
	; wave barrier
	s_and_saveexec_b64 s[4:5], vcc
	s_cbranch_execz .LBB44_191
; %bb.188:
	v_add_u32_e32 v94, 0x170, v93
	v_mov_b32_e32 v92, 0
	s_mov_b64 s[8:9], 0
	v_mov_b32_e32 v95, 0
.LBB44_189:                             ; =>This Inner Loop Header: Depth=1
	buffer_load_dword v98, v93, s[0:3], 0 offen offset:4
	buffer_load_dword v99, v93, s[0:3], 0 offen
	ds_read_b64 v[96:97], v94
	v_add_u32_e32 v91, 1, v91
	v_cmp_lt_u32_e32 vcc, 42, v91
	v_add_u32_e32 v94, 8, v94
	v_add_u32_e32 v93, 8, v93
	s_or_b64 s[8:9], vcc, s[8:9]
	s_waitcnt vmcnt(1) lgkmcnt(0)
	v_mul_f32_e32 v100, v97, v98
	v_mul_f32_e32 v98, v96, v98
	s_waitcnt vmcnt(0)
	v_fma_f32 v96, v96, v99, -v100
	v_fmac_f32_e32 v98, v97, v99
	v_add_f32_e32 v95, v95, v96
	v_add_f32_e32 v92, v92, v98
	s_andn2_b64 exec, exec, s[8:9]
	s_cbranch_execnz .LBB44_189
; %bb.190:
	s_or_b64 exec, exec, s[8:9]
	v_mov_b32_e32 v91, 0
	ds_read_b64 v[93:94], v91 offset:352
	s_waitcnt lgkmcnt(0)
	v_mul_f32_e32 v91, v92, v94
	v_mul_f32_e32 v94, v95, v94
	v_fma_f32 v91, v95, v93, -v91
	v_fmac_f32_e32 v94, v92, v93
	buffer_store_dword v91, off, s[0:3], 0 offset:352
	buffer_store_dword v94, off, s[0:3], 0 offset:356
.LBB44_191:
	s_or_b64 exec, exec, s[4:5]
	s_mov_b64 s[8:9], -1
	; wave barrier
.LBB44_192:
	s_and_b64 vcc, exec, s[8:9]
	s_cbranch_vccz .LBB44_194
; %bb.193:
	s_lshl_b64 s[4:5], s[6:7], 2
	s_add_u32 s4, s10, s4
	s_addc_u32 s5, s11, s5
	v_mov_b32_e32 v91, 0
	global_load_dword v91, v91, s[4:5]
	s_waitcnt vmcnt(0)
	v_cmp_ne_u32_e32 vcc, 0, v91
	s_cbranch_vccz .LBB44_195
.LBB44_194:
	s_endpgm
.LBB44_195:
	v_mov_b32_e32 v91, 0x170
	v_lshl_add_u32 v91, v0, 3, v91
	v_cmp_eq_u32_e32 vcc, 44, v0
	s_and_saveexec_b64 s[4:5], vcc
	s_cbranch_execz .LBB44_197
; %bb.196:
	buffer_load_dword v92, off, s[0:3], 0 offset:344
	buffer_load_dword v93, off, s[0:3], 0 offset:348
	v_mov_b32_e32 v94, 0
	buffer_store_dword v94, off, s[0:3], 0 offset:344
	buffer_store_dword v94, off, s[0:3], 0 offset:348
	s_waitcnt vmcnt(2)
	ds_write_b64 v91, v[92:93]
.LBB44_197:
	s_or_b64 exec, exec, s[4:5]
	s_waitcnt lgkmcnt(0)
	; wave barrier
	buffer_load_dword v95, off, s[0:3], 0 offset:356
	buffer_load_dword v96, off, s[0:3], 0 offset:352
	;; [unrolled: 1-line block ×4, first 2 shown]
	v_mov_b32_e32 v92, 0
	ds_read_b64 v[93:94], v92 offset:720
	v_cmp_lt_u32_e32 vcc, 42, v0
	s_waitcnt vmcnt(3) lgkmcnt(0)
	v_mul_f32_e32 v99, v93, v95
	v_mul_f32_e32 v95, v94, v95
	s_waitcnt vmcnt(2)
	v_fma_f32 v93, v93, v96, -v95
	v_fmac_f32_e32 v99, v94, v96
	v_add_f32_e32 v93, 0, v93
	v_add_f32_e32 v94, 0, v99
	s_waitcnt vmcnt(1)
	v_sub_f32_e32 v93, v97, v93
	s_waitcnt vmcnt(0)
	v_sub_f32_e32 v94, v98, v94
	buffer_store_dword v93, off, s[0:3], 0 offset:344
	buffer_store_dword v94, off, s[0:3], 0 offset:348
	s_and_saveexec_b64 s[4:5], vcc
	s_cbranch_execz .LBB44_199
; %bb.198:
	buffer_load_dword v93, off, s[0:3], 0 offset:336
	buffer_load_dword v94, off, s[0:3], 0 offset:340
	s_waitcnt vmcnt(0)
	ds_write_b64 v91, v[93:94]
	buffer_store_dword v92, off, s[0:3], 0 offset:336
	buffer_store_dword v92, off, s[0:3], 0 offset:340
.LBB44_199:
	s_or_b64 exec, exec, s[4:5]
	s_waitcnt lgkmcnt(0)
	; wave barrier
	buffer_load_dword v96, off, s[0:3], 0 offset:348
	buffer_load_dword v97, off, s[0:3], 0 offset:356
	;; [unrolled: 1-line block ×6, first 2 shown]
	ds_read2_b64 v[92:95], v92 offset0:89 offset1:90
	v_cmp_lt_u32_e32 vcc, 41, v0
	s_waitcnt vmcnt(5) lgkmcnt(0)
	v_mul_f32_e32 v102, v92, v96
	v_mul_f32_e32 v96, v93, v96
	s_waitcnt vmcnt(4)
	v_mul_f32_e32 v103, v94, v97
	v_mul_f32_e32 v97, v95, v97
	s_waitcnt vmcnt(3)
	v_fma_f32 v92, v92, v98, -v96
	v_fmac_f32_e32 v102, v93, v98
	s_waitcnt vmcnt(2)
	v_fma_f32 v93, v94, v99, -v97
	v_add_f32_e32 v92, 0, v92
	v_fmac_f32_e32 v103, v95, v99
	v_add_f32_e32 v94, 0, v102
	v_add_f32_e32 v92, v92, v93
	;; [unrolled: 1-line block ×3, first 2 shown]
	s_waitcnt vmcnt(1)
	v_sub_f32_e32 v92, v100, v92
	s_waitcnt vmcnt(0)
	v_sub_f32_e32 v93, v101, v94
	buffer_store_dword v92, off, s[0:3], 0 offset:336
	buffer_store_dword v93, off, s[0:3], 0 offset:340
	s_and_saveexec_b64 s[4:5], vcc
	s_cbranch_execz .LBB44_201
; %bb.200:
	buffer_load_dword v92, off, s[0:3], 0 offset:328
	buffer_load_dword v93, off, s[0:3], 0 offset:332
	v_mov_b32_e32 v94, 0
	buffer_store_dword v94, off, s[0:3], 0 offset:328
	buffer_store_dword v94, off, s[0:3], 0 offset:332
	s_waitcnt vmcnt(2)
	ds_write_b64 v91, v[92:93]
.LBB44_201:
	s_or_b64 exec, exec, s[4:5]
	s_waitcnt lgkmcnt(0)
	; wave barrier
	buffer_load_dword v99, off, s[0:3], 0 offset:340
	buffer_load_dword v100, off, s[0:3], 0 offset:348
	;; [unrolled: 1-line block ×8, first 2 shown]
	v_mov_b32_e32 v92, 0
	ds_read_b128 v[93:96], v92 offset:704
	ds_read_b64 v[97:98], v92 offset:720
	v_cmp_lt_u32_e32 vcc, 40, v0
	s_waitcnt vmcnt(7) lgkmcnt(1)
	v_mul_f32_e32 v107, v93, v99
	v_mul_f32_e32 v99, v94, v99
	s_waitcnt vmcnt(6)
	v_mul_f32_e32 v108, v95, v100
	v_mul_f32_e32 v100, v96, v100
	s_waitcnt vmcnt(4)
	v_fma_f32 v93, v93, v102, -v99
	s_waitcnt lgkmcnt(0)
	v_mul_f32_e32 v109, v97, v101
	v_mul_f32_e32 v101, v98, v101
	v_fmac_f32_e32 v107, v94, v102
	s_waitcnt vmcnt(3)
	v_fma_f32 v94, v95, v103, -v100
	v_add_f32_e32 v93, 0, v93
	v_fmac_f32_e32 v108, v96, v103
	s_waitcnt vmcnt(2)
	v_fma_f32 v95, v97, v104, -v101
	v_add_f32_e32 v96, 0, v107
	v_add_f32_e32 v93, v93, v94
	v_fmac_f32_e32 v109, v98, v104
	v_add_f32_e32 v96, v96, v108
	v_add_f32_e32 v93, v93, v95
	;; [unrolled: 1-line block ×3, first 2 shown]
	s_waitcnt vmcnt(1)
	v_sub_f32_e32 v93, v105, v93
	s_waitcnt vmcnt(0)
	v_sub_f32_e32 v94, v106, v94
	buffer_store_dword v93, off, s[0:3], 0 offset:328
	buffer_store_dword v94, off, s[0:3], 0 offset:332
	s_and_saveexec_b64 s[4:5], vcc
	s_cbranch_execz .LBB44_203
; %bb.202:
	buffer_load_dword v93, off, s[0:3], 0 offset:320
	buffer_load_dword v94, off, s[0:3], 0 offset:324
	s_waitcnt vmcnt(0)
	ds_write_b64 v91, v[93:94]
	buffer_store_dword v92, off, s[0:3], 0 offset:320
	buffer_store_dword v92, off, s[0:3], 0 offset:324
.LBB44_203:
	s_or_b64 exec, exec, s[4:5]
	s_waitcnt lgkmcnt(0)
	; wave barrier
	buffer_load_dword v101, off, s[0:3], 0 offset:332
	buffer_load_dword v102, off, s[0:3], 0 offset:340
	;; [unrolled: 1-line block ×10, first 2 shown]
	ds_read2_b64 v[93:96], v92 offset0:87 offset1:88
	ds_read2_b64 v[97:100], v92 offset0:89 offset1:90
	v_cmp_lt_u32_e32 vcc, 39, v0
	s_waitcnt vmcnt(9) lgkmcnt(1)
	v_mul_f32_e32 v92, v93, v101
	v_mul_f32_e32 v101, v94, v101
	s_waitcnt vmcnt(8)
	v_mul_f32_e32 v111, v95, v102
	v_mul_f32_e32 v102, v96, v102
	s_waitcnt vmcnt(5)
	v_fma_f32 v93, v93, v105, -v101
	s_waitcnt lgkmcnt(0)
	v_mul_f32_e32 v112, v97, v103
	v_mul_f32_e32 v103, v98, v103
	v_fmac_f32_e32 v92, v94, v105
	s_waitcnt vmcnt(4)
	v_fma_f32 v94, v95, v106, -v102
	v_add_f32_e32 v93, 0, v93
	v_mul_f32_e32 v113, v99, v104
	v_mul_f32_e32 v104, v100, v104
	v_fmac_f32_e32 v111, v96, v106
	s_waitcnt vmcnt(3)
	v_fma_f32 v95, v97, v107, -v103
	v_add_f32_e32 v92, 0, v92
	v_add_f32_e32 v93, v93, v94
	v_fmac_f32_e32 v112, v98, v107
	s_waitcnt vmcnt(2)
	v_fma_f32 v96, v99, v108, -v104
	v_add_f32_e32 v92, v92, v111
	v_add_f32_e32 v93, v93, v95
	v_fmac_f32_e32 v113, v100, v108
	v_add_f32_e32 v92, v92, v112
	v_add_f32_e32 v93, v93, v96
	;; [unrolled: 1-line block ×3, first 2 shown]
	s_waitcnt vmcnt(1)
	v_sub_f32_e32 v93, v109, v93
	s_waitcnt vmcnt(0)
	v_sub_f32_e32 v92, v110, v92
	buffer_store_dword v93, off, s[0:3], 0 offset:320
	buffer_store_dword v92, off, s[0:3], 0 offset:324
	s_and_saveexec_b64 s[4:5], vcc
	s_cbranch_execz .LBB44_205
; %bb.204:
	buffer_load_dword v92, off, s[0:3], 0 offset:312
	buffer_load_dword v93, off, s[0:3], 0 offset:316
	v_mov_b32_e32 v94, 0
	buffer_store_dword v94, off, s[0:3], 0 offset:312
	buffer_store_dword v94, off, s[0:3], 0 offset:316
	s_waitcnt vmcnt(2)
	ds_write_b64 v91, v[92:93]
.LBB44_205:
	s_or_b64 exec, exec, s[4:5]
	s_waitcnt lgkmcnt(0)
	; wave barrier
	buffer_load_dword v103, off, s[0:3], 0 offset:324
	buffer_load_dword v104, off, s[0:3], 0 offset:332
	;; [unrolled: 1-line block ×12, first 2 shown]
	v_mov_b32_e32 v92, 0
	ds_read_b128 v[93:96], v92 offset:688
	ds_read_b128 v[97:100], v92 offset:704
	ds_read_b64 v[101:102], v92 offset:720
	v_cmp_lt_u32_e32 vcc, 38, v0
	s_waitcnt vmcnt(11) lgkmcnt(2)
	v_mul_f32_e32 v115, v93, v103
	v_mul_f32_e32 v103, v94, v103
	s_waitcnt vmcnt(10)
	v_mul_f32_e32 v116, v95, v104
	v_mul_f32_e32 v104, v96, v104
	s_waitcnt vmcnt(9) lgkmcnt(1)
	v_mul_f32_e32 v117, v97, v105
	s_waitcnt vmcnt(6)
	v_fma_f32 v93, v93, v108, -v103
	v_mul_f32_e32 v105, v98, v105
	v_fmac_f32_e32 v115, v94, v108
	s_waitcnt vmcnt(5)
	v_fma_f32 v94, v95, v109, -v104
	v_add_f32_e32 v93, 0, v93
	v_mul_f32_e32 v118, v99, v106
	v_mul_f32_e32 v106, v100, v106
	v_fmac_f32_e32 v116, v96, v109
	s_waitcnt vmcnt(4)
	v_fmac_f32_e32 v117, v98, v110
	v_fma_f32 v95, v97, v110, -v105
	v_add_f32_e32 v98, 0, v115
	v_add_f32_e32 v93, v93, v94
	s_waitcnt lgkmcnt(0)
	v_mul_f32_e32 v119, v101, v107
	v_mul_f32_e32 v107, v102, v107
	s_waitcnt vmcnt(3)
	v_fma_f32 v96, v99, v111, -v106
	v_add_f32_e32 v98, v98, v116
	v_add_f32_e32 v93, v93, v95
	v_fmac_f32_e32 v118, v100, v111
	s_waitcnt vmcnt(2)
	v_fma_f32 v97, v101, v112, -v107
	v_add_f32_e32 v94, v98, v117
	v_add_f32_e32 v93, v93, v96
	v_fmac_f32_e32 v119, v102, v112
	v_add_f32_e32 v94, v94, v118
	v_add_f32_e32 v93, v93, v97
	;; [unrolled: 1-line block ×3, first 2 shown]
	s_waitcnt vmcnt(1)
	v_sub_f32_e32 v93, v113, v93
	s_waitcnt vmcnt(0)
	v_sub_f32_e32 v94, v114, v94
	buffer_store_dword v93, off, s[0:3], 0 offset:312
	buffer_store_dword v94, off, s[0:3], 0 offset:316
	s_and_saveexec_b64 s[4:5], vcc
	s_cbranch_execz .LBB44_207
; %bb.206:
	buffer_load_dword v93, off, s[0:3], 0 offset:304
	buffer_load_dword v94, off, s[0:3], 0 offset:308
	s_waitcnt vmcnt(0)
	ds_write_b64 v91, v[93:94]
	buffer_store_dword v92, off, s[0:3], 0 offset:304
	buffer_store_dword v92, off, s[0:3], 0 offset:308
.LBB44_207:
	s_or_b64 exec, exec, s[4:5]
	s_waitcnt lgkmcnt(0)
	; wave barrier
	buffer_load_dword v105, off, s[0:3], 0 offset:316
	buffer_load_dword v106, off, s[0:3], 0 offset:324
	;; [unrolled: 1-line block ×14, first 2 shown]
	ds_read2_b64 v[93:96], v92 offset0:85 offset1:86
	ds_read2_b64 v[97:100], v92 offset0:87 offset1:88
	;; [unrolled: 1-line block ×3, first 2 shown]
	v_cmp_lt_u32_e32 vcc, 37, v0
	s_waitcnt vmcnt(13) lgkmcnt(2)
	v_mul_f32_e32 v92, v93, v105
	v_mul_f32_e32 v105, v94, v105
	s_waitcnt vmcnt(12)
	v_mul_f32_e32 v119, v95, v106
	v_mul_f32_e32 v106, v96, v106
	s_waitcnt vmcnt(11) lgkmcnt(1)
	v_mul_f32_e32 v120, v97, v107
	v_mul_f32_e32 v107, v98, v107
	s_waitcnt vmcnt(7)
	v_fma_f32 v93, v93, v111, -v105
	v_fmac_f32_e32 v92, v94, v111
	s_waitcnt vmcnt(6)
	v_fma_f32 v94, v95, v112, -v106
	v_add_f32_e32 v93, 0, v93
	v_mul_f32_e32 v121, v99, v108
	v_mul_f32_e32 v108, v100, v108
	v_fmac_f32_e32 v119, v96, v112
	s_waitcnt vmcnt(5)
	v_fma_f32 v95, v97, v113, -v107
	v_add_f32_e32 v92, 0, v92
	v_add_f32_e32 v93, v93, v94
	s_waitcnt lgkmcnt(0)
	v_mul_f32_e32 v122, v101, v109
	v_mul_f32_e32 v109, v102, v109
	v_fmac_f32_e32 v120, v98, v113
	s_waitcnt vmcnt(4)
	v_fma_f32 v96, v99, v114, -v108
	v_add_f32_e32 v92, v92, v119
	v_add_f32_e32 v93, v93, v95
	v_mul_f32_e32 v123, v103, v110
	v_mul_f32_e32 v110, v104, v110
	v_fmac_f32_e32 v121, v100, v114
	s_waitcnt vmcnt(3)
	v_fma_f32 v97, v101, v115, -v109
	v_add_f32_e32 v92, v92, v120
	v_add_f32_e32 v93, v93, v96
	v_fmac_f32_e32 v122, v102, v115
	s_waitcnt vmcnt(2)
	v_fma_f32 v98, v103, v116, -v110
	v_add_f32_e32 v92, v92, v121
	v_add_f32_e32 v93, v93, v97
	v_fmac_f32_e32 v123, v104, v116
	v_add_f32_e32 v92, v92, v122
	v_add_f32_e32 v93, v93, v98
	;; [unrolled: 1-line block ×3, first 2 shown]
	s_waitcnt vmcnt(1)
	v_sub_f32_e32 v93, v117, v93
	s_waitcnt vmcnt(0)
	v_sub_f32_e32 v92, v118, v92
	buffer_store_dword v93, off, s[0:3], 0 offset:304
	buffer_store_dword v92, off, s[0:3], 0 offset:308
	s_and_saveexec_b64 s[4:5], vcc
	s_cbranch_execz .LBB44_209
; %bb.208:
	buffer_load_dword v92, off, s[0:3], 0 offset:296
	buffer_load_dword v93, off, s[0:3], 0 offset:300
	v_mov_b32_e32 v94, 0
	buffer_store_dword v94, off, s[0:3], 0 offset:296
	buffer_store_dword v94, off, s[0:3], 0 offset:300
	s_waitcnt vmcnt(2)
	ds_write_b64 v91, v[92:93]
.LBB44_209:
	s_or_b64 exec, exec, s[4:5]
	v_mov_b32_e32 v92, 0
	s_waitcnt lgkmcnt(0)
	; wave barrier
	ds_read_b128 v[93:96], v92 offset:672
	ds_read_b128 v[97:100], v92 offset:688
	;; [unrolled: 1-line block ×3, first 2 shown]
	ds_read_b64 v[105:106], v92 offset:720
	buffer_load_dword v107, off, s[0:3], 0 offset:296
	buffer_load_dword v108, off, s[0:3], 0 offset:300
	;; [unrolled: 1-line block ×16, first 2 shown]
	v_cmp_lt_u32_e32 vcc, 36, v0
	s_waitcnt vmcnt(12) lgkmcnt(3)
	v_mul_f32_e32 v123, v93, v110
	v_fmac_f32_e32 v123, v94, v109
	v_mul_f32_e32 v94, v94, v110
	v_fma_f32 v93, v93, v109, -v94
	s_waitcnt vmcnt(10)
	v_mul_f32_e32 v94, v96, v112
	v_mul_f32_e32 v124, v95, v112
	v_add_f32_e32 v93, 0, v93
	v_fma_f32 v94, v95, v111, -v94
	v_add_f32_e32 v123, 0, v123
	v_fmac_f32_e32 v124, v96, v111
	v_add_f32_e32 v93, v93, v94
	s_waitcnt vmcnt(8) lgkmcnt(2)
	v_mul_f32_e32 v94, v98, v114
	v_add_f32_e32 v123, v123, v124
	v_mul_f32_e32 v124, v97, v114
	v_fma_f32 v94, v97, v113, -v94
	v_fmac_f32_e32 v124, v98, v113
	v_add_f32_e32 v93, v93, v94
	s_waitcnt vmcnt(6)
	v_mul_f32_e32 v94, v100, v116
	v_add_f32_e32 v123, v123, v124
	v_mul_f32_e32 v124, v99, v116
	v_fma_f32 v94, v99, v115, -v94
	v_fmac_f32_e32 v124, v100, v115
	v_add_f32_e32 v93, v93, v94
	s_waitcnt vmcnt(4) lgkmcnt(1)
	v_mul_f32_e32 v94, v102, v118
	v_add_f32_e32 v123, v123, v124
	v_mul_f32_e32 v124, v101, v118
	v_fma_f32 v94, v101, v117, -v94
	v_fmac_f32_e32 v124, v102, v117
	v_add_f32_e32 v93, v93, v94
	s_waitcnt vmcnt(2)
	v_mul_f32_e32 v94, v104, v120
	v_add_f32_e32 v123, v123, v124
	v_mul_f32_e32 v124, v103, v120
	v_fma_f32 v94, v103, v119, -v94
	v_fmac_f32_e32 v124, v104, v119
	v_add_f32_e32 v93, v93, v94
	s_waitcnt vmcnt(0) lgkmcnt(0)
	v_mul_f32_e32 v94, v106, v122
	v_add_f32_e32 v123, v123, v124
	v_mul_f32_e32 v124, v105, v122
	v_fma_f32 v94, v105, v121, -v94
	v_fmac_f32_e32 v124, v106, v121
	v_add_f32_e32 v93, v93, v94
	v_add_f32_e32 v123, v123, v124
	v_sub_f32_e32 v93, v107, v93
	v_sub_f32_e32 v94, v108, v123
	buffer_store_dword v93, off, s[0:3], 0 offset:296
	buffer_store_dword v94, off, s[0:3], 0 offset:300
	s_and_saveexec_b64 s[4:5], vcc
	s_cbranch_execz .LBB44_211
; %bb.210:
	buffer_load_dword v93, off, s[0:3], 0 offset:288
	buffer_load_dword v94, off, s[0:3], 0 offset:292
	s_waitcnt vmcnt(0)
	ds_write_b64 v91, v[93:94]
	buffer_store_dword v92, off, s[0:3], 0 offset:288
	buffer_store_dword v92, off, s[0:3], 0 offset:292
.LBB44_211:
	s_or_b64 exec, exec, s[4:5]
	s_waitcnt lgkmcnt(0)
	; wave barrier
	buffer_load_dword v109, off, s[0:3], 0 offset:300
	buffer_load_dword v110, off, s[0:3], 0 offset:308
	;; [unrolled: 1-line block ×18, first 2 shown]
	ds_read2_b64 v[93:96], v92 offset0:83 offset1:84
	ds_read2_b64 v[97:100], v92 offset0:85 offset1:86
	;; [unrolled: 1-line block ×4, first 2 shown]
	v_cmp_lt_u32_e32 vcc, 35, v0
	s_waitcnt vmcnt(17) lgkmcnt(3)
	v_mul_f32_e32 v92, v93, v109
	v_mul_f32_e32 v109, v94, v109
	s_waitcnt vmcnt(16)
	v_mul_f32_e32 v127, v95, v110
	v_mul_f32_e32 v110, v96, v110
	s_waitcnt vmcnt(15) lgkmcnt(2)
	v_mul_f32_e32 v128, v97, v111
	v_mul_f32_e32 v111, v98, v111
	s_waitcnt vmcnt(14)
	v_mul_f32_e32 v129, v99, v112
	v_mul_f32_e32 v112, v100, v112
	s_waitcnt vmcnt(9)
	v_fma_f32 v93, v93, v117, -v109
	v_fmac_f32_e32 v92, v94, v117
	s_waitcnt vmcnt(8)
	v_fma_f32 v94, v95, v118, -v110
	v_add_f32_e32 v93, 0, v93
	v_fmac_f32_e32 v127, v96, v118
	s_waitcnt vmcnt(7)
	v_fma_f32 v95, v97, v119, -v111
	v_add_f32_e32 v92, 0, v92
	v_add_f32_e32 v93, v93, v94
	s_waitcnt lgkmcnt(1)
	v_mul_f32_e32 v130, v101, v113
	v_mul_f32_e32 v113, v102, v113
	v_fmac_f32_e32 v128, v98, v119
	s_waitcnt vmcnt(6)
	v_fma_f32 v96, v99, v120, -v112
	v_add_f32_e32 v92, v92, v127
	v_add_f32_e32 v93, v93, v95
	v_mul_f32_e32 v131, v103, v114
	v_mul_f32_e32 v114, v104, v114
	v_fmac_f32_e32 v129, v100, v120
	s_waitcnt vmcnt(5)
	v_fma_f32 v97, v101, v121, -v113
	v_add_f32_e32 v92, v92, v128
	v_add_f32_e32 v93, v93, v96
	s_waitcnt lgkmcnt(0)
	v_mul_f32_e32 v132, v105, v115
	v_mul_f32_e32 v115, v106, v115
	v_fmac_f32_e32 v130, v102, v121
	s_waitcnt vmcnt(4)
	v_fma_f32 v98, v103, v122, -v114
	v_add_f32_e32 v92, v92, v129
	v_add_f32_e32 v93, v93, v97
	v_mul_f32_e32 v133, v107, v116
	v_mul_f32_e32 v116, v108, v116
	v_fmac_f32_e32 v131, v104, v122
	s_waitcnt vmcnt(3)
	v_fma_f32 v99, v105, v123, -v115
	v_add_f32_e32 v92, v92, v130
	v_add_f32_e32 v93, v93, v98
	v_fmac_f32_e32 v132, v106, v123
	s_waitcnt vmcnt(2)
	v_fma_f32 v100, v107, v124, -v116
	v_add_f32_e32 v92, v92, v131
	v_add_f32_e32 v93, v93, v99
	v_fmac_f32_e32 v133, v108, v124
	v_add_f32_e32 v92, v92, v132
	v_add_f32_e32 v93, v93, v100
	;; [unrolled: 1-line block ×3, first 2 shown]
	s_waitcnt vmcnt(1)
	v_sub_f32_e32 v93, v125, v93
	s_waitcnt vmcnt(0)
	v_sub_f32_e32 v92, v126, v92
	buffer_store_dword v93, off, s[0:3], 0 offset:288
	buffer_store_dword v92, off, s[0:3], 0 offset:292
	s_and_saveexec_b64 s[4:5], vcc
	s_cbranch_execz .LBB44_213
; %bb.212:
	buffer_load_dword v92, off, s[0:3], 0 offset:280
	buffer_load_dword v93, off, s[0:3], 0 offset:284
	v_mov_b32_e32 v94, 0
	buffer_store_dword v94, off, s[0:3], 0 offset:280
	buffer_store_dword v94, off, s[0:3], 0 offset:284
	s_waitcnt vmcnt(2)
	ds_write_b64 v91, v[92:93]
.LBB44_213:
	s_or_b64 exec, exec, s[4:5]
	s_waitcnt lgkmcnt(0)
	; wave barrier
	buffer_load_dword v111, off, s[0:3], 0 offset:292
	buffer_load_dword v112, off, s[0:3], 0 offset:300
	;; [unrolled: 1-line block ×20, first 2 shown]
	v_mov_b32_e32 v92, 0
	ds_read_b128 v[93:96], v92 offset:656
	ds_read_b128 v[97:100], v92 offset:672
	;; [unrolled: 1-line block ×4, first 2 shown]
	ds_read_b64 v[109:110], v92 offset:720
	v_cmp_lt_u32_e32 vcc, 34, v0
	s_waitcnt vmcnt(19) lgkmcnt(4)
	v_mul_f32_e32 v131, v93, v111
	v_mul_f32_e32 v111, v94, v111
	s_waitcnt vmcnt(18)
	v_mul_f32_e32 v132, v95, v112
	v_mul_f32_e32 v112, v96, v112
	s_waitcnt vmcnt(17) lgkmcnt(3)
	v_mul_f32_e32 v133, v97, v113
	s_waitcnt vmcnt(15) lgkmcnt(2)
	v_mul_f32_e32 v135, v101, v115
	v_mul_f32_e32 v113, v98, v113
	;; [unrolled: 1-line block ×4, first 2 shown]
	s_waitcnt vmcnt(10)
	v_fma_f32 v93, v93, v120, -v111
	v_fmac_f32_e32 v131, v94, v120
	s_waitcnt vmcnt(9)
	v_fma_f32 v94, v95, v121, -v112
	v_add_f32_e32 v93, 0, v93
	v_mul_f32_e32 v115, v102, v115
	v_fmac_f32_e32 v132, v96, v121
	s_waitcnt vmcnt(6)
	v_fmac_f32_e32 v135, v102, v124
	v_fma_f32 v95, v97, v122, -v113
	v_add_f32_e32 v102, 0, v131
	v_add_f32_e32 v93, v93, v94
	v_fmac_f32_e32 v133, v98, v122
	v_fma_f32 v96, v99, v123, -v114
	v_add_f32_e32 v102, v102, v132
	v_add_f32_e32 v93, v93, v95
	v_mul_f32_e32 v136, v103, v116
	v_mul_f32_e32 v116, v104, v116
	v_fmac_f32_e32 v134, v100, v123
	v_fma_f32 v97, v101, v124, -v115
	v_add_f32_e32 v94, v102, v133
	v_add_f32_e32 v93, v93, v96
	s_waitcnt lgkmcnt(1)
	v_mul_f32_e32 v137, v105, v117
	v_mul_f32_e32 v117, v106, v117
	s_waitcnt vmcnt(5)
	v_fma_f32 v98, v103, v125, -v116
	v_add_f32_e32 v94, v94, v134
	v_add_f32_e32 v93, v93, v97
	v_mul_f32_e32 v138, v107, v118
	v_mul_f32_e32 v118, v108, v118
	v_fmac_f32_e32 v136, v104, v125
	s_waitcnt vmcnt(4)
	v_fma_f32 v99, v105, v126, -v117
	v_add_f32_e32 v94, v94, v135
	v_add_f32_e32 v93, v93, v98
	s_waitcnt lgkmcnt(0)
	v_mul_f32_e32 v139, v109, v119
	v_mul_f32_e32 v119, v110, v119
	v_fmac_f32_e32 v137, v106, v126
	s_waitcnt vmcnt(3)
	v_fma_f32 v100, v107, v127, -v118
	v_add_f32_e32 v94, v94, v136
	v_add_f32_e32 v93, v93, v99
	v_fmac_f32_e32 v138, v108, v127
	s_waitcnt vmcnt(2)
	v_fma_f32 v101, v109, v128, -v119
	v_add_f32_e32 v94, v94, v137
	v_add_f32_e32 v93, v93, v100
	v_fmac_f32_e32 v139, v110, v128
	v_add_f32_e32 v94, v94, v138
	v_add_f32_e32 v93, v93, v101
	;; [unrolled: 1-line block ×3, first 2 shown]
	s_waitcnt vmcnt(1)
	v_sub_f32_e32 v93, v129, v93
	s_waitcnt vmcnt(0)
	v_sub_f32_e32 v94, v130, v94
	buffer_store_dword v93, off, s[0:3], 0 offset:280
	buffer_store_dword v94, off, s[0:3], 0 offset:284
	s_and_saveexec_b64 s[4:5], vcc
	s_cbranch_execz .LBB44_215
; %bb.214:
	buffer_load_dword v93, off, s[0:3], 0 offset:272
	buffer_load_dword v94, off, s[0:3], 0 offset:276
	s_waitcnt vmcnt(0)
	ds_write_b64 v91, v[93:94]
	buffer_store_dword v92, off, s[0:3], 0 offset:272
	buffer_store_dword v92, off, s[0:3], 0 offset:276
.LBB44_215:
	s_or_b64 exec, exec, s[4:5]
	s_waitcnt lgkmcnt(0)
	; wave barrier
	buffer_load_dword v113, off, s[0:3], 0 offset:284
	buffer_load_dword v114, off, s[0:3], 0 offset:292
	;; [unrolled: 1-line block ×22, first 2 shown]
	ds_read2_b64 v[93:96], v92 offset0:81 offset1:82
	ds_read2_b64 v[97:100], v92 offset0:83 offset1:84
	;; [unrolled: 1-line block ×5, first 2 shown]
	v_cmp_lt_u32_e32 vcc, 33, v0
	s_waitcnt vmcnt(21) lgkmcnt(4)
	v_mul_f32_e32 v92, v93, v113
	v_mul_f32_e32 v113, v94, v113
	s_waitcnt vmcnt(20)
	v_mul_f32_e32 v135, v95, v114
	v_mul_f32_e32 v114, v96, v114
	s_waitcnt vmcnt(19) lgkmcnt(3)
	v_mul_f32_e32 v136, v97, v115
	v_mul_f32_e32 v115, v98, v115
	s_waitcnt vmcnt(18)
	v_mul_f32_e32 v137, v99, v116
	v_mul_f32_e32 v116, v100, v116
	s_waitcnt vmcnt(17) lgkmcnt(2)
	v_mul_f32_e32 v138, v101, v117
	v_mul_f32_e32 v117, v102, v117
	s_waitcnt vmcnt(11)
	v_fma_f32 v93, v93, v123, -v113
	v_fmac_f32_e32 v92, v94, v123
	s_waitcnt vmcnt(10)
	v_fma_f32 v94, v95, v124, -v114
	v_add_f32_e32 v93, 0, v93
	v_fmac_f32_e32 v135, v96, v124
	s_waitcnt vmcnt(9)
	v_fma_f32 v95, v97, v125, -v115
	v_add_f32_e32 v92, 0, v92
	v_add_f32_e32 v93, v93, v94
	v_fmac_f32_e32 v136, v98, v125
	s_waitcnt vmcnt(8)
	v_fma_f32 v96, v99, v126, -v116
	v_add_f32_e32 v92, v92, v135
	v_add_f32_e32 v93, v93, v95
	v_mul_f32_e32 v139, v103, v118
	v_mul_f32_e32 v118, v104, v118
	v_fmac_f32_e32 v137, v100, v126
	s_waitcnt vmcnt(7)
	v_fma_f32 v97, v101, v127, -v117
	v_add_f32_e32 v92, v92, v136
	v_add_f32_e32 v93, v93, v96
	s_waitcnt lgkmcnt(1)
	v_mul_f32_e32 v140, v105, v119
	v_mul_f32_e32 v119, v106, v119
	v_fmac_f32_e32 v138, v102, v127
	s_waitcnt vmcnt(6)
	v_fma_f32 v98, v103, v128, -v118
	v_add_f32_e32 v92, v92, v137
	v_add_f32_e32 v93, v93, v97
	v_mul_f32_e32 v141, v107, v120
	v_mul_f32_e32 v120, v108, v120
	v_fmac_f32_e32 v139, v104, v128
	s_waitcnt vmcnt(5)
	v_fma_f32 v99, v105, v129, -v119
	v_add_f32_e32 v92, v92, v138
	v_add_f32_e32 v93, v93, v98
	s_waitcnt lgkmcnt(0)
	v_mul_f32_e32 v142, v109, v121
	v_mul_f32_e32 v121, v110, v121
	v_fmac_f32_e32 v140, v106, v129
	s_waitcnt vmcnt(4)
	v_fma_f32 v100, v107, v130, -v120
	v_add_f32_e32 v92, v92, v139
	v_add_f32_e32 v93, v93, v99
	v_mul_f32_e32 v143, v111, v122
	v_mul_f32_e32 v122, v112, v122
	v_fmac_f32_e32 v141, v108, v130
	s_waitcnt vmcnt(3)
	v_fma_f32 v101, v109, v131, -v121
	v_add_f32_e32 v92, v92, v140
	v_add_f32_e32 v93, v93, v100
	v_fmac_f32_e32 v142, v110, v131
	s_waitcnt vmcnt(2)
	v_fma_f32 v102, v111, v132, -v122
	v_add_f32_e32 v92, v92, v141
	v_add_f32_e32 v93, v93, v101
	v_fmac_f32_e32 v143, v112, v132
	v_add_f32_e32 v92, v92, v142
	v_add_f32_e32 v93, v93, v102
	;; [unrolled: 1-line block ×3, first 2 shown]
	s_waitcnt vmcnt(1)
	v_sub_f32_e32 v93, v133, v93
	s_waitcnt vmcnt(0)
	v_sub_f32_e32 v92, v134, v92
	buffer_store_dword v93, off, s[0:3], 0 offset:272
	buffer_store_dword v92, off, s[0:3], 0 offset:276
	s_and_saveexec_b64 s[4:5], vcc
	s_cbranch_execz .LBB44_217
; %bb.216:
	buffer_load_dword v92, off, s[0:3], 0 offset:264
	buffer_load_dword v93, off, s[0:3], 0 offset:268
	v_mov_b32_e32 v94, 0
	buffer_store_dword v94, off, s[0:3], 0 offset:264
	buffer_store_dword v94, off, s[0:3], 0 offset:268
	s_waitcnt vmcnt(2)
	ds_write_b64 v91, v[92:93]
.LBB44_217:
	s_or_b64 exec, exec, s[4:5]
	s_waitcnt lgkmcnt(0)
	; wave barrier
	buffer_load_dword v115, off, s[0:3], 0 offset:276
	buffer_load_dword v116, off, s[0:3], 0 offset:284
	;; [unrolled: 1-line block ×24, first 2 shown]
	v_mov_b32_e32 v92, 0
	ds_read_b128 v[93:96], v92 offset:640
	ds_read_b128 v[97:100], v92 offset:656
	ds_read_b128 v[101:104], v92 offset:672
	ds_read_b128 v[105:108], v92 offset:688
	ds_read_b128 v[109:112], v92 offset:704
	ds_read_b64 v[113:114], v92 offset:720
	v_cmp_lt_u32_e32 vcc, 32, v0
	s_waitcnt vmcnt(23) lgkmcnt(5)
	v_mul_f32_e32 v139, v93, v115
	v_mul_f32_e32 v115, v94, v115
	s_waitcnt vmcnt(22)
	v_mul_f32_e32 v140, v95, v116
	v_mul_f32_e32 v116, v96, v116
	s_waitcnt vmcnt(21) lgkmcnt(4)
	v_mul_f32_e32 v141, v97, v117
	v_mul_f32_e32 v117, v98, v117
	s_waitcnt vmcnt(20)
	v_mul_f32_e32 v142, v99, v118
	s_waitcnt vmcnt(19) lgkmcnt(3)
	v_mul_f32_e32 v143, v101, v119
	v_mul_f32_e32 v118, v100, v118
	;; [unrolled: 1-line block ×3, first 2 shown]
	s_waitcnt vmcnt(18)
	v_mul_f32_e32 v144, v103, v120
	s_waitcnt vmcnt(12)
	v_fma_f32 v93, v93, v126, -v115
	v_fmac_f32_e32 v139, v94, v126
	s_waitcnt vmcnt(11)
	v_fma_f32 v94, v95, v127, -v116
	v_add_f32_e32 v93, 0, v93
	s_waitcnt vmcnt(10)
	v_fma_f32 v95, v97, v128, -v117
	v_add_f32_e32 v93, v93, v94
	v_fmac_f32_e32 v140, v96, v127
	s_waitcnt vmcnt(8)
	v_fmac_f32_e32 v143, v102, v130
	v_fma_f32 v96, v99, v129, -v118
	v_add_f32_e32 v102, 0, v139
	v_add_f32_e32 v93, v93, v95
	v_mul_f32_e32 v120, v104, v120
	v_fmac_f32_e32 v141, v98, v128
	v_fma_f32 v97, v101, v130, -v119
	v_add_f32_e32 v102, v102, v140
	v_add_f32_e32 v93, v93, v96
	s_waitcnt lgkmcnt(2)
	v_mul_f32_e32 v145, v105, v121
	v_mul_f32_e32 v121, v106, v121
	v_fmac_f32_e32 v142, v100, v129
	s_waitcnt vmcnt(7)
	v_fma_f32 v98, v103, v131, -v120
	v_add_f32_e32 v94, v102, v141
	v_add_f32_e32 v93, v93, v97
	v_mul_f32_e32 v146, v107, v122
	v_mul_f32_e32 v122, v108, v122
	s_waitcnt vmcnt(6)
	v_fma_f32 v99, v105, v132, -v121
	v_add_f32_e32 v94, v94, v142
	v_add_f32_e32 v93, v93, v98
	s_waitcnt lgkmcnt(1)
	v_mul_f32_e32 v147, v109, v123
	v_mul_f32_e32 v123, v110, v123
	v_fmac_f32_e32 v144, v104, v131
	s_waitcnt vmcnt(5)
	v_fma_f32 v100, v107, v133, -v122
	v_add_f32_e32 v94, v94, v143
	v_add_f32_e32 v93, v93, v99
	v_fmac_f32_e32 v145, v106, v132
	s_waitcnt vmcnt(4)
	v_fma_f32 v101, v109, v134, -v123
	v_add_f32_e32 v94, v94, v144
	v_add_f32_e32 v93, v93, v100
	v_mul_f32_e32 v95, v112, v124
	v_fmac_f32_e32 v146, v108, v133
	v_add_f32_e32 v94, v94, v145
	v_add_f32_e32 v93, v93, v101
	s_waitcnt vmcnt(3)
	v_fma_f32 v95, v111, v135, -v95
	v_mul_f32_e32 v148, v111, v124
	v_fmac_f32_e32 v147, v110, v134
	v_add_f32_e32 v94, v94, v146
	v_add_f32_e32 v93, v93, v95
	s_waitcnt lgkmcnt(0)
	v_mul_f32_e32 v95, v114, v125
	v_mul_f32_e32 v149, v113, v125
	v_fmac_f32_e32 v148, v112, v135
	v_add_f32_e32 v94, v94, v147
	s_waitcnt vmcnt(2)
	v_fma_f32 v95, v113, v136, -v95
	v_fmac_f32_e32 v149, v114, v136
	v_add_f32_e32 v94, v94, v148
	v_add_f32_e32 v93, v93, v95
	;; [unrolled: 1-line block ×3, first 2 shown]
	s_waitcnt vmcnt(1)
	v_sub_f32_e32 v93, v137, v93
	s_waitcnt vmcnt(0)
	v_sub_f32_e32 v94, v138, v94
	buffer_store_dword v93, off, s[0:3], 0 offset:264
	buffer_store_dword v94, off, s[0:3], 0 offset:268
	s_and_saveexec_b64 s[4:5], vcc
	s_cbranch_execz .LBB44_219
; %bb.218:
	buffer_load_dword v93, off, s[0:3], 0 offset:256
	buffer_load_dword v94, off, s[0:3], 0 offset:260
	s_waitcnt vmcnt(0)
	ds_write_b64 v91, v[93:94]
	buffer_store_dword v92, off, s[0:3], 0 offset:256
	buffer_store_dword v92, off, s[0:3], 0 offset:260
.LBB44_219:
	s_or_b64 exec, exec, s[4:5]
	s_waitcnt lgkmcnt(0)
	; wave barrier
	buffer_load_dword v117, off, s[0:3], 0 offset:268
	buffer_load_dword v118, off, s[0:3], 0 offset:276
	;; [unrolled: 1-line block ×26, first 2 shown]
	ds_read2_b64 v[93:96], v92 offset0:79 offset1:80
	ds_read2_b64 v[97:100], v92 offset0:81 offset1:82
	;; [unrolled: 1-line block ×6, first 2 shown]
	v_cmp_lt_u32_e32 vcc, 31, v0
	s_waitcnt vmcnt(25) lgkmcnt(5)
	v_mul_f32_e32 v92, v93, v117
	v_mul_f32_e32 v117, v94, v117
	s_waitcnt vmcnt(24)
	v_mul_f32_e32 v143, v95, v118
	v_mul_f32_e32 v118, v96, v118
	s_waitcnt vmcnt(23) lgkmcnt(4)
	v_mul_f32_e32 v144, v97, v119
	v_mul_f32_e32 v119, v98, v119
	s_waitcnt vmcnt(22)
	v_mul_f32_e32 v145, v99, v120
	v_mul_f32_e32 v120, v100, v120
	;; [unrolled: 6-line block ×3, first 2 shown]
	s_waitcnt vmcnt(13)
	v_fma_f32 v93, v93, v129, -v117
	v_fmac_f32_e32 v92, v94, v129
	s_waitcnt vmcnt(12)
	v_fma_f32 v94, v95, v130, -v118
	v_add_f32_e32 v93, 0, v93
	s_waitcnt vmcnt(11)
	v_fma_f32 v95, v97, v131, -v119
	v_add_f32_e32 v93, v93, v94
	v_fmac_f32_e32 v143, v96, v130
	s_waitcnt vmcnt(10)
	v_fma_f32 v96, v99, v132, -v120
	v_add_f32_e32 v93, v93, v95
	s_waitcnt vmcnt(9)
	v_fma_f32 v97, v101, v133, -v121
	v_add_f32_e32 v93, v93, v96
	s_waitcnt lgkmcnt(2)
	v_mul_f32_e32 v148, v105, v123
	v_mul_f32_e32 v123, v106, v123
	v_fmac_f32_e32 v144, v98, v131
	s_waitcnt vmcnt(8)
	v_fma_f32 v98, v103, v134, -v122
	v_add_f32_e32 v92, 0, v92
	v_add_f32_e32 v93, v93, v97
	v_mul_f32_e32 v149, v107, v124
	v_mul_f32_e32 v124, v108, v124
	s_waitcnt vmcnt(7)
	v_fma_f32 v99, v105, v135, -v123
	v_add_f32_e32 v92, v92, v143
	v_add_f32_e32 v93, v93, v98
	v_fmac_f32_e32 v145, v100, v132
	s_waitcnt vmcnt(6)
	v_fma_f32 v100, v107, v136, -v124
	v_add_f32_e32 v92, v92, v144
	v_add_f32_e32 v93, v93, v99
	s_waitcnt lgkmcnt(1)
	v_mul_f32_e32 v94, v110, v125
	v_fmac_f32_e32 v146, v102, v133
	v_add_f32_e32 v92, v92, v145
	v_add_f32_e32 v93, v93, v100
	s_waitcnt vmcnt(5)
	v_fma_f32 v94, v109, v137, -v94
	v_fmac_f32_e32 v147, v104, v134
	v_add_f32_e32 v92, v92, v146
	v_add_f32_e32 v93, v93, v94
	v_mul_f32_e32 v94, v112, v126
	v_fmac_f32_e32 v148, v106, v135
	v_add_f32_e32 v92, v92, v147
	s_waitcnt vmcnt(4)
	v_fma_f32 v94, v111, v138, -v94
	v_mul_f32_e32 v150, v109, v125
	v_fmac_f32_e32 v149, v108, v136
	v_add_f32_e32 v92, v92, v148
	v_add_f32_e32 v93, v93, v94
	s_waitcnt lgkmcnt(0)
	v_mul_f32_e32 v94, v114, v127
	v_mul_f32_e32 v151, v111, v126
	v_fmac_f32_e32 v150, v110, v137
	v_add_f32_e32 v92, v92, v149
	s_waitcnt vmcnt(3)
	v_fma_f32 v94, v113, v139, -v94
	v_mul_f32_e32 v152, v113, v127
	v_fmac_f32_e32 v151, v112, v138
	v_add_f32_e32 v92, v92, v150
	v_add_f32_e32 v93, v93, v94
	v_mul_f32_e32 v94, v116, v128
	v_mul_f32_e32 v153, v115, v128
	v_fmac_f32_e32 v152, v114, v139
	v_add_f32_e32 v92, v92, v151
	s_waitcnt vmcnt(2)
	v_fma_f32 v94, v115, v140, -v94
	v_fmac_f32_e32 v153, v116, v140
	v_add_f32_e32 v92, v92, v152
	v_add_f32_e32 v93, v93, v94
	;; [unrolled: 1-line block ×3, first 2 shown]
	s_waitcnt vmcnt(1)
	v_sub_f32_e32 v93, v141, v93
	s_waitcnt vmcnt(0)
	v_sub_f32_e32 v92, v142, v92
	buffer_store_dword v93, off, s[0:3], 0 offset:256
	buffer_store_dword v92, off, s[0:3], 0 offset:260
	s_and_saveexec_b64 s[4:5], vcc
	s_cbranch_execz .LBB44_221
; %bb.220:
	buffer_load_dword v92, off, s[0:3], 0 offset:248
	buffer_load_dword v93, off, s[0:3], 0 offset:252
	v_mov_b32_e32 v94, 0
	buffer_store_dword v94, off, s[0:3], 0 offset:248
	buffer_store_dword v94, off, s[0:3], 0 offset:252
	s_waitcnt vmcnt(2)
	ds_write_b64 v91, v[92:93]
.LBB44_221:
	s_or_b64 exec, exec, s[4:5]
	s_waitcnt lgkmcnt(0)
	; wave barrier
	buffer_load_dword v119, off, s[0:3], 0 offset:260
	buffer_load_dword v120, off, s[0:3], 0 offset:268
	buffer_load_dword v121, off, s[0:3], 0 offset:276
	buffer_load_dword v122, off, s[0:3], 0 offset:284
	buffer_load_dword v123, off, s[0:3], 0 offset:292
	buffer_load_dword v124, off, s[0:3], 0 offset:300
	buffer_load_dword v125, off, s[0:3], 0 offset:308
	buffer_load_dword v126, off, s[0:3], 0 offset:316
	buffer_load_dword v127, off, s[0:3], 0 offset:324
	buffer_load_dword v128, off, s[0:3], 0 offset:332
	buffer_load_dword v129, off, s[0:3], 0 offset:340
	buffer_load_dword v130, off, s[0:3], 0 offset:348
	buffer_load_dword v131, off, s[0:3], 0 offset:356
	buffer_load_dword v132, off, s[0:3], 0 offset:256
	buffer_load_dword v133, off, s[0:3], 0 offset:264
	buffer_load_dword v134, off, s[0:3], 0 offset:272
	buffer_load_dword v135, off, s[0:3], 0 offset:280
	buffer_load_dword v136, off, s[0:3], 0 offset:288
	buffer_load_dword v137, off, s[0:3], 0 offset:296
	buffer_load_dword v138, off, s[0:3], 0 offset:304
	buffer_load_dword v139, off, s[0:3], 0 offset:312
	buffer_load_dword v140, off, s[0:3], 0 offset:320
	buffer_load_dword v141, off, s[0:3], 0 offset:328
	buffer_load_dword v142, off, s[0:3], 0 offset:336
	buffer_load_dword v143, off, s[0:3], 0 offset:344
	buffer_load_dword v144, off, s[0:3], 0 offset:352
	buffer_load_dword v145, off, s[0:3], 0 offset:248
	buffer_load_dword v146, off, s[0:3], 0 offset:252
	v_mov_b32_e32 v92, 0
	ds_read_b128 v[93:96], v92 offset:624
	ds_read_b128 v[97:100], v92 offset:640
	;; [unrolled: 1-line block ×6, first 2 shown]
	ds_read_b64 v[117:118], v92 offset:720
	v_cmp_lt_u32_e32 vcc, 30, v0
	s_waitcnt vmcnt(27) lgkmcnt(6)
	v_mul_f32_e32 v147, v93, v119
	v_mul_f32_e32 v119, v94, v119
	s_waitcnt vmcnt(26)
	v_mul_f32_e32 v148, v95, v120
	v_mul_f32_e32 v120, v96, v120
	s_waitcnt vmcnt(25) lgkmcnt(5)
	v_mul_f32_e32 v149, v97, v121
	v_mul_f32_e32 v121, v98, v121
	s_waitcnt vmcnt(24)
	v_mul_f32_e32 v150, v99, v122
	v_mul_f32_e32 v122, v100, v122
	s_waitcnt vmcnt(23) lgkmcnt(4)
	v_mul_f32_e32 v151, v101, v123
	v_mul_f32_e32 v123, v102, v123
	s_waitcnt vmcnt(22)
	v_mul_f32_e32 v152, v103, v124
	v_mul_f32_e32 v124, v104, v124
	s_waitcnt vmcnt(21) lgkmcnt(3)
	v_mul_f32_e32 v153, v105, v125
	s_waitcnt vmcnt(14)
	v_fma_f32 v93, v93, v132, -v119
	v_fmac_f32_e32 v147, v94, v132
	s_waitcnt vmcnt(13)
	v_fma_f32 v94, v95, v133, -v120
	v_add_f32_e32 v93, 0, v93
	s_waitcnt vmcnt(12)
	v_fma_f32 v95, v97, v134, -v121
	v_add_f32_e32 v93, v93, v94
	v_fmac_f32_e32 v148, v96, v133
	s_waitcnt vmcnt(11)
	v_fma_f32 v96, v99, v135, -v122
	v_add_f32_e32 v93, v93, v95
	s_waitcnt vmcnt(10)
	v_fma_f32 v97, v101, v136, -v123
	v_add_f32_e32 v93, v93, v96
	v_fmac_f32_e32 v149, v98, v134
	s_waitcnt vmcnt(9)
	v_fma_f32 v98, v103, v137, -v124
	v_add_f32_e32 v93, v93, v97
	v_mul_f32_e32 v95, v106, v125
	v_add_f32_e32 v93, v93, v98
	s_waitcnt vmcnt(8)
	v_fma_f32 v95, v105, v138, -v95
	v_add_f32_e32 v93, v93, v95
	v_mul_f32_e32 v95, v108, v126
	v_add_f32_e32 v99, 0, v147
	s_waitcnt vmcnt(7)
	v_fma_f32 v95, v107, v139, -v95
	v_add_f32_e32 v99, v99, v148
	v_add_f32_e32 v93, v93, v95
	s_waitcnt lgkmcnt(2)
	v_mul_f32_e32 v95, v110, v127
	v_fmac_f32_e32 v150, v100, v135
	v_add_f32_e32 v94, v99, v149
	s_waitcnt vmcnt(6)
	v_fma_f32 v95, v109, v140, -v95
	v_fmac_f32_e32 v151, v102, v136
	v_add_f32_e32 v94, v94, v150
	v_add_f32_e32 v93, v93, v95
	v_mul_f32_e32 v95, v112, v128
	v_fmac_f32_e32 v152, v104, v137
	v_add_f32_e32 v94, v94, v151
	s_waitcnt vmcnt(5)
	v_fma_f32 v95, v111, v141, -v95
	v_mul_f32_e32 v154, v107, v126
	v_fmac_f32_e32 v153, v106, v138
	v_add_f32_e32 v94, v94, v152
	v_add_f32_e32 v93, v93, v95
	s_waitcnt lgkmcnt(1)
	v_mul_f32_e32 v95, v114, v129
	v_mul_f32_e32 v155, v109, v127
	v_fmac_f32_e32 v154, v108, v139
	v_add_f32_e32 v94, v94, v153
	s_waitcnt vmcnt(4)
	v_fma_f32 v95, v113, v142, -v95
	v_mul_f32_e32 v156, v111, v128
	v_fmac_f32_e32 v155, v110, v140
	v_add_f32_e32 v94, v94, v154
	v_add_f32_e32 v93, v93, v95
	v_mul_f32_e32 v95, v116, v130
	v_mul_f32_e32 v157, v113, v129
	v_fmac_f32_e32 v156, v112, v141
	v_add_f32_e32 v94, v94, v155
	s_waitcnt vmcnt(3)
	v_fma_f32 v95, v115, v143, -v95
	v_mul_f32_e32 v158, v115, v130
	v_fmac_f32_e32 v157, v114, v142
	v_add_f32_e32 v94, v94, v156
	v_add_f32_e32 v93, v93, v95
	s_waitcnt lgkmcnt(0)
	v_mul_f32_e32 v95, v118, v131
	v_mul_f32_e32 v159, v117, v131
	v_fmac_f32_e32 v158, v116, v143
	v_add_f32_e32 v94, v94, v157
	s_waitcnt vmcnt(2)
	v_fma_f32 v95, v117, v144, -v95
	v_fmac_f32_e32 v159, v118, v144
	v_add_f32_e32 v94, v94, v158
	v_add_f32_e32 v93, v93, v95
	v_add_f32_e32 v94, v94, v159
	s_waitcnt vmcnt(1)
	v_sub_f32_e32 v93, v145, v93
	s_waitcnt vmcnt(0)
	v_sub_f32_e32 v94, v146, v94
	buffer_store_dword v93, off, s[0:3], 0 offset:248
	buffer_store_dword v94, off, s[0:3], 0 offset:252
	s_and_saveexec_b64 s[4:5], vcc
	s_cbranch_execz .LBB44_223
; %bb.222:
	buffer_load_dword v93, off, s[0:3], 0 offset:240
	buffer_load_dword v94, off, s[0:3], 0 offset:244
	s_waitcnt vmcnt(0)
	ds_write_b64 v91, v[93:94]
	buffer_store_dword v92, off, s[0:3], 0 offset:240
	buffer_store_dword v92, off, s[0:3], 0 offset:244
.LBB44_223:
	s_or_b64 exec, exec, s[4:5]
	s_waitcnt lgkmcnt(0)
	; wave barrier
	buffer_load_dword v121, off, s[0:3], 0 offset:252
	buffer_load_dword v122, off, s[0:3], 0 offset:260
	;; [unrolled: 1-line block ×30, first 2 shown]
	ds_read2_b64 v[93:96], v92 offset0:77 offset1:78
	ds_read2_b64 v[97:100], v92 offset0:79 offset1:80
	;; [unrolled: 1-line block ×7, first 2 shown]
	v_cmp_lt_u32_e32 vcc, 29, v0
	s_waitcnt vmcnt(29) lgkmcnt(6)
	v_mul_f32_e32 v92, v93, v121
	v_mul_f32_e32 v121, v94, v121
	s_waitcnt vmcnt(28)
	v_mul_f32_e32 v151, v95, v122
	v_mul_f32_e32 v122, v96, v122
	s_waitcnt vmcnt(27) lgkmcnt(5)
	v_mul_f32_e32 v152, v97, v123
	v_mul_f32_e32 v123, v98, v123
	s_waitcnt vmcnt(26)
	v_mul_f32_e32 v153, v99, v124
	v_mul_f32_e32 v124, v100, v124
	s_waitcnt vmcnt(25) lgkmcnt(4)
	v_mul_f32_e32 v154, v101, v125
	v_mul_f32_e32 v125, v102, v125
	s_waitcnt vmcnt(24)
	v_mul_f32_e32 v155, v103, v126
	s_waitcnt vmcnt(23) lgkmcnt(3)
	v_mul_f32_e32 v156, v105, v127
	s_waitcnt vmcnt(22)
	v_mul_f32_e32 v157, v107, v128
	s_waitcnt vmcnt(21) lgkmcnt(2)
	v_mul_f32_e32 v158, v109, v129
	s_waitcnt vmcnt(15)
	v_fma_f32 v93, v93, v135, -v121
	v_fmac_f32_e32 v92, v94, v135
	s_waitcnt vmcnt(14)
	v_fma_f32 v94, v95, v136, -v122
	v_add_f32_e32 v93, 0, v93
	s_waitcnt vmcnt(13)
	v_fma_f32 v95, v97, v137, -v123
	v_add_f32_e32 v93, v93, v94
	v_fmac_f32_e32 v151, v96, v136
	s_waitcnt vmcnt(12)
	v_fma_f32 v96, v99, v138, -v124
	v_add_f32_e32 v93, v93, v95
	s_waitcnt vmcnt(11)
	v_fma_f32 v97, v101, v139, -v125
	v_add_f32_e32 v93, v93, v96
	v_mul_f32_e32 v94, v104, v126
	v_add_f32_e32 v93, v93, v97
	s_waitcnt vmcnt(10)
	v_fma_f32 v94, v103, v140, -v94
	v_add_f32_e32 v93, v93, v94
	v_mul_f32_e32 v94, v106, v127
	s_waitcnt vmcnt(9)
	v_fma_f32 v94, v105, v141, -v94
	v_add_f32_e32 v93, v93, v94
	v_mul_f32_e32 v94, v108, v128
	s_waitcnt vmcnt(8)
	v_fma_f32 v94, v107, v142, -v94
	v_add_f32_e32 v92, 0, v92
	v_add_f32_e32 v93, v93, v94
	v_mul_f32_e32 v94, v110, v129
	v_fmac_f32_e32 v152, v98, v137
	v_add_f32_e32 v92, v92, v151
	s_waitcnt vmcnt(7)
	v_fma_f32 v94, v109, v143, -v94
	v_fmac_f32_e32 v153, v100, v138
	v_add_f32_e32 v92, v92, v152
	v_add_f32_e32 v93, v93, v94
	v_mul_f32_e32 v94, v112, v130
	v_fmac_f32_e32 v154, v102, v139
	v_add_f32_e32 v92, v92, v153
	s_waitcnt vmcnt(6)
	v_fma_f32 v94, v111, v144, -v94
	v_fmac_f32_e32 v155, v104, v140
	v_add_f32_e32 v92, v92, v154
	v_add_f32_e32 v93, v93, v94
	s_waitcnt lgkmcnt(1)
	v_mul_f32_e32 v94, v114, v131
	v_fmac_f32_e32 v156, v106, v141
	v_add_f32_e32 v92, v92, v155
	s_waitcnt vmcnt(5)
	v_fma_f32 v94, v113, v145, -v94
	v_fmac_f32_e32 v157, v108, v142
	v_add_f32_e32 v92, v92, v156
	v_add_f32_e32 v93, v93, v94
	v_mul_f32_e32 v94, v116, v132
	v_mul_f32_e32 v159, v111, v130
	v_fmac_f32_e32 v158, v110, v143
	v_add_f32_e32 v92, v92, v157
	s_waitcnt vmcnt(4)
	v_fma_f32 v94, v115, v146, -v94
	v_mul_f32_e32 v160, v113, v131
	v_fmac_f32_e32 v159, v112, v144
	v_add_f32_e32 v92, v92, v158
	v_add_f32_e32 v93, v93, v94
	s_waitcnt lgkmcnt(0)
	v_mul_f32_e32 v94, v118, v133
	v_mul_f32_e32 v161, v115, v132
	v_fmac_f32_e32 v160, v114, v145
	v_add_f32_e32 v92, v92, v159
	s_waitcnt vmcnt(3)
	v_fma_f32 v94, v117, v147, -v94
	v_mul_f32_e32 v162, v117, v133
	v_fmac_f32_e32 v161, v116, v146
	v_add_f32_e32 v92, v92, v160
	v_add_f32_e32 v93, v93, v94
	v_mul_f32_e32 v94, v120, v134
	v_mul_f32_e32 v163, v119, v134
	v_fmac_f32_e32 v162, v118, v147
	v_add_f32_e32 v92, v92, v161
	s_waitcnt vmcnt(2)
	v_fma_f32 v94, v119, v148, -v94
	v_fmac_f32_e32 v163, v120, v148
	v_add_f32_e32 v92, v92, v162
	v_add_f32_e32 v93, v93, v94
	;; [unrolled: 1-line block ×3, first 2 shown]
	s_waitcnt vmcnt(1)
	v_sub_f32_e32 v93, v149, v93
	s_waitcnt vmcnt(0)
	v_sub_f32_e32 v92, v150, v92
	buffer_store_dword v93, off, s[0:3], 0 offset:240
	buffer_store_dword v92, off, s[0:3], 0 offset:244
	s_and_saveexec_b64 s[4:5], vcc
	s_cbranch_execz .LBB44_225
; %bb.224:
	buffer_load_dword v92, off, s[0:3], 0 offset:232
	buffer_load_dword v93, off, s[0:3], 0 offset:236
	v_mov_b32_e32 v94, 0
	buffer_store_dword v94, off, s[0:3], 0 offset:232
	buffer_store_dword v94, off, s[0:3], 0 offset:236
	s_waitcnt vmcnt(2)
	ds_write_b64 v91, v[92:93]
.LBB44_225:
	s_or_b64 exec, exec, s[4:5]
	s_waitcnt lgkmcnt(0)
	; wave barrier
	buffer_load_dword v123, off, s[0:3], 0 offset:244
	buffer_load_dword v124, off, s[0:3], 0 offset:252
	;; [unrolled: 1-line block ×32, first 2 shown]
	v_mov_b32_e32 v92, 0
	ds_read_b128 v[93:96], v92 offset:608
	ds_read_b128 v[97:100], v92 offset:624
	ds_read_b128 v[101:104], v92 offset:640
	ds_read_b128 v[105:108], v92 offset:656
	ds_read_b128 v[109:112], v92 offset:672
	ds_read_b128 v[113:116], v92 offset:688
	ds_read_b128 v[117:120], v92 offset:704
	ds_read_b64 v[121:122], v92 offset:720
	v_cmp_lt_u32_e32 vcc, 28, v0
	s_waitcnt vmcnt(31) lgkmcnt(7)
	v_mul_f32_e32 v155, v93, v123
	v_mul_f32_e32 v123, v94, v123
	s_waitcnt vmcnt(30)
	v_mul_f32_e32 v156, v95, v124
	v_mul_f32_e32 v124, v96, v124
	s_waitcnt vmcnt(29) lgkmcnt(6)
	v_mul_f32_e32 v157, v97, v125
	v_mul_f32_e32 v125, v98, v125
	s_waitcnt vmcnt(28)
	v_mul_f32_e32 v158, v99, v126
	s_waitcnt vmcnt(27) lgkmcnt(5)
	v_mul_f32_e32 v159, v101, v127
	s_waitcnt vmcnt(26)
	v_mul_f32_e32 v160, v103, v128
	s_waitcnt vmcnt(25) lgkmcnt(4)
	;; [unrolled: 4-line block ×4, first 2 shown]
	v_mul_f32_e32 v165, v113, v133
	s_waitcnt vmcnt(20)
	v_mul_f32_e32 v166, v115, v134
	s_waitcnt vmcnt(16)
	v_fma_f32 v93, v93, v138, -v123
	v_fmac_f32_e32 v155, v94, v138
	s_waitcnt vmcnt(15)
	v_fma_f32 v94, v95, v139, -v124
	v_add_f32_e32 v93, 0, v93
	s_waitcnt vmcnt(14)
	v_fma_f32 v95, v97, v140, -v125
	v_add_f32_e32 v93, v93, v94
	v_add_f32_e32 v93, v93, v95
	v_mul_f32_e32 v95, v100, v126
	s_waitcnt vmcnt(13)
	v_fma_f32 v95, v99, v141, -v95
	v_add_f32_e32 v93, v93, v95
	v_mul_f32_e32 v95, v102, v127
	s_waitcnt vmcnt(12)
	v_fma_f32 v95, v101, v142, -v95
	;; [unrolled: 4-line block ×5, first 2 shown]
	v_add_f32_e32 v93, v93, v95
	v_mul_f32_e32 v95, v110, v131
	v_fmac_f32_e32 v156, v96, v139
	v_add_f32_e32 v96, 0, v155
	s_waitcnt vmcnt(8)
	v_fma_f32 v95, v109, v146, -v95
	v_fmac_f32_e32 v157, v98, v140
	v_add_f32_e32 v96, v96, v156
	v_add_f32_e32 v93, v93, v95
	v_mul_f32_e32 v95, v112, v132
	v_fmac_f32_e32 v158, v100, v141
	v_add_f32_e32 v94, v96, v157
	s_waitcnt vmcnt(7)
	v_fma_f32 v95, v111, v147, -v95
	v_fmac_f32_e32 v159, v102, v142
	v_add_f32_e32 v94, v94, v158
	;; [unrolled: 8-line block ×4, first 2 shown]
	v_add_f32_e32 v93, v93, v95
	s_waitcnt lgkmcnt(1)
	v_mul_f32_e32 v95, v118, v135
	v_fmac_f32_e32 v164, v112, v147
	v_add_f32_e32 v94, v94, v163
	s_waitcnt vmcnt(4)
	v_fma_f32 v95, v117, v150, -v95
	v_fmac_f32_e32 v165, v114, v148
	v_add_f32_e32 v94, v94, v164
	v_add_f32_e32 v93, v93, v95
	v_mul_f32_e32 v95, v120, v136
	v_mul_f32_e32 v167, v117, v135
	v_fmac_f32_e32 v166, v116, v149
	v_add_f32_e32 v94, v94, v165
	s_waitcnt vmcnt(3)
	v_fma_f32 v95, v119, v151, -v95
	v_mul_f32_e32 v168, v119, v136
	v_fmac_f32_e32 v167, v118, v150
	v_add_f32_e32 v94, v94, v166
	v_add_f32_e32 v93, v93, v95
	s_waitcnt lgkmcnt(0)
	v_mul_f32_e32 v95, v122, v137
	v_mul_f32_e32 v169, v121, v137
	v_fmac_f32_e32 v168, v120, v151
	v_add_f32_e32 v94, v94, v167
	s_waitcnt vmcnt(2)
	v_fma_f32 v95, v121, v152, -v95
	v_fmac_f32_e32 v169, v122, v152
	v_add_f32_e32 v94, v94, v168
	v_add_f32_e32 v93, v93, v95
	;; [unrolled: 1-line block ×3, first 2 shown]
	s_waitcnt vmcnt(1)
	v_sub_f32_e32 v93, v153, v93
	s_waitcnt vmcnt(0)
	v_sub_f32_e32 v94, v154, v94
	buffer_store_dword v93, off, s[0:3], 0 offset:232
	buffer_store_dword v94, off, s[0:3], 0 offset:236
	s_and_saveexec_b64 s[4:5], vcc
	s_cbranch_execz .LBB44_227
; %bb.226:
	buffer_load_dword v93, off, s[0:3], 0 offset:224
	buffer_load_dword v94, off, s[0:3], 0 offset:228
	s_waitcnt vmcnt(0)
	ds_write_b64 v91, v[93:94]
	buffer_store_dword v92, off, s[0:3], 0 offset:224
	buffer_store_dword v92, off, s[0:3], 0 offset:228
.LBB44_227:
	s_or_b64 exec, exec, s[4:5]
	s_waitcnt lgkmcnt(0)
	; wave barrier
	buffer_load_dword v125, off, s[0:3], 0 offset:236
	buffer_load_dword v126, off, s[0:3], 0 offset:244
	;; [unrolled: 1-line block ×34, first 2 shown]
	ds_read2_b64 v[93:96], v92 offset0:75 offset1:76
	ds_read2_b64 v[97:100], v92 offset0:77 offset1:78
	;; [unrolled: 1-line block ×8, first 2 shown]
	v_cmp_lt_u32_e32 vcc, 27, v0
	s_waitcnt vmcnt(33) lgkmcnt(7)
	v_mul_f32_e32 v92, v93, v125
	v_mul_f32_e32 v125, v94, v125
	s_waitcnt vmcnt(32)
	v_mul_f32_e32 v159, v95, v126
	v_mul_f32_e32 v126, v96, v126
	s_waitcnt vmcnt(31) lgkmcnt(6)
	v_mul_f32_e32 v160, v97, v127
	s_waitcnt vmcnt(30)
	v_mul_f32_e32 v161, v99, v128
	s_waitcnt vmcnt(29) lgkmcnt(5)
	v_mul_f32_e32 v162, v101, v129
	s_waitcnt vmcnt(28)
	;; [unrolled: 4-line block ×6, first 2 shown]
	v_mul_f32_e32 v171, v119, v138
	s_waitcnt vmcnt(17)
	v_fma_f32 v93, v93, v141, -v125
	v_fmac_f32_e32 v92, v94, v141
	s_waitcnt vmcnt(16)
	v_fma_f32 v94, v95, v142, -v126
	v_add_f32_e32 v93, 0, v93
	v_add_f32_e32 v93, v93, v94
	v_mul_f32_e32 v94, v98, v127
	s_waitcnt vmcnt(15)
	v_fma_f32 v94, v97, v143, -v94
	v_add_f32_e32 v93, v93, v94
	v_mul_f32_e32 v94, v100, v128
	s_waitcnt vmcnt(14)
	v_fma_f32 v94, v99, v144, -v94
	;; [unrolled: 4-line block ×7, first 2 shown]
	v_fmac_f32_e32 v159, v96, v142
	v_add_f32_e32 v92, 0, v92
	v_add_f32_e32 v93, v93, v94
	v_mul_f32_e32 v94, v112, v134
	v_fmac_f32_e32 v160, v98, v143
	v_add_f32_e32 v92, v92, v159
	s_waitcnt vmcnt(8)
	v_fma_f32 v94, v111, v150, -v94
	v_fmac_f32_e32 v161, v100, v144
	v_add_f32_e32 v92, v92, v160
	v_add_f32_e32 v93, v93, v94
	v_mul_f32_e32 v94, v114, v135
	v_fmac_f32_e32 v162, v102, v145
	v_add_f32_e32 v92, v92, v161
	s_waitcnt vmcnt(7)
	v_fma_f32 v94, v113, v151, -v94
	;; [unrolled: 8-line block ×5, first 2 shown]
	v_fmac_f32_e32 v169, v116, v152
	v_add_f32_e32 v92, v92, v168
	v_add_f32_e32 v93, v93, v94
	s_waitcnt lgkmcnt(0)
	v_mul_f32_e32 v94, v122, v139
	v_fmac_f32_e32 v170, v118, v153
	v_add_f32_e32 v92, v92, v169
	s_waitcnt vmcnt(3)
	v_fma_f32 v94, v121, v155, -v94
	v_mul_f32_e32 v172, v121, v139
	v_fmac_f32_e32 v171, v120, v154
	v_add_f32_e32 v92, v92, v170
	v_add_f32_e32 v93, v93, v94
	v_mul_f32_e32 v94, v124, v140
	v_mul_f32_e32 v173, v123, v140
	v_fmac_f32_e32 v172, v122, v155
	v_add_f32_e32 v92, v92, v171
	s_waitcnt vmcnt(2)
	v_fma_f32 v94, v123, v156, -v94
	v_fmac_f32_e32 v173, v124, v156
	v_add_f32_e32 v92, v92, v172
	v_add_f32_e32 v93, v93, v94
	;; [unrolled: 1-line block ×3, first 2 shown]
	s_waitcnt vmcnt(1)
	v_sub_f32_e32 v93, v157, v93
	s_waitcnt vmcnt(0)
	v_sub_f32_e32 v92, v158, v92
	buffer_store_dword v93, off, s[0:3], 0 offset:224
	buffer_store_dword v92, off, s[0:3], 0 offset:228
	s_and_saveexec_b64 s[4:5], vcc
	s_cbranch_execz .LBB44_229
; %bb.228:
	buffer_load_dword v92, off, s[0:3], 0 offset:216
	buffer_load_dword v93, off, s[0:3], 0 offset:220
	v_mov_b32_e32 v94, 0
	buffer_store_dword v94, off, s[0:3], 0 offset:216
	buffer_store_dword v94, off, s[0:3], 0 offset:220
	s_waitcnt vmcnt(2)
	ds_write_b64 v91, v[92:93]
.LBB44_229:
	s_or_b64 exec, exec, s[4:5]
	s_waitcnt lgkmcnt(0)
	; wave barrier
	buffer_load_dword v127, off, s[0:3], 0 offset:228
	buffer_load_dword v128, off, s[0:3], 0 offset:236
	;; [unrolled: 1-line block ×36, first 2 shown]
	v_mov_b32_e32 v92, 0
	ds_read_b128 v[93:96], v92 offset:592
	ds_read_b128 v[97:100], v92 offset:608
	;; [unrolled: 1-line block ×8, first 2 shown]
	ds_read_b64 v[125:126], v92 offset:720
	v_cmp_lt_u32_e32 vcc, 26, v0
	s_waitcnt vmcnt(35) lgkmcnt(8)
	v_mul_f32_e32 v163, v93, v127
	s_waitcnt vmcnt(34)
	v_mul_f32_e32 v164, v95, v128
	s_waitcnt vmcnt(33) lgkmcnt(7)
	v_mul_f32_e32 v165, v97, v129
	s_waitcnt vmcnt(32)
	v_mul_f32_e32 v166, v99, v130
	;; [unrolled: 4-line block ×8, first 2 shown]
	s_waitcnt vmcnt(19) lgkmcnt(0)
	v_mul_f32_e32 v179, v125, v143
	s_waitcnt vmcnt(18)
	v_fmac_f32_e32 v163, v94, v144
	v_mul_f32_e32 v94, v94, v127
	v_fma_f32 v93, v93, v144, -v94
	v_mul_f32_e32 v94, v96, v128
	v_add_f32_e32 v93, 0, v93
	s_waitcnt vmcnt(17)
	v_fma_f32 v94, v95, v145, -v94
	v_add_f32_e32 v93, v93, v94
	v_mul_f32_e32 v94, v98, v129
	s_waitcnt vmcnt(16)
	v_fma_f32 v94, v97, v146, -v94
	v_add_f32_e32 v93, v93, v94
	v_mul_f32_e32 v94, v100, v130
	;; [unrolled: 4-line block ×8, first 2 shown]
	v_fmac_f32_e32 v164, v96, v145
	v_add_f32_e32 v163, 0, v163
	s_waitcnt vmcnt(9)
	v_fma_f32 v94, v111, v153, -v94
	v_fmac_f32_e32 v165, v98, v146
	v_add_f32_e32 v163, v163, v164
	v_add_f32_e32 v93, v93, v94
	v_mul_f32_e32 v94, v114, v137
	v_fmac_f32_e32 v166, v100, v147
	v_add_f32_e32 v163, v163, v165
	s_waitcnt vmcnt(8)
	v_fma_f32 v94, v113, v154, -v94
	v_fmac_f32_e32 v167, v102, v148
	v_add_f32_e32 v163, v163, v166
	v_add_f32_e32 v93, v93, v94
	v_mul_f32_e32 v94, v116, v138
	;; [unrolled: 8-line block ×7, first 2 shown]
	v_fmac_f32_e32 v178, v124, v159
	v_add_f32_e32 v163, v163, v177
	s_waitcnt vmcnt(2)
	v_fma_f32 v94, v125, v160, -v94
	v_fmac_f32_e32 v179, v126, v160
	v_add_f32_e32 v163, v163, v178
	v_add_f32_e32 v93, v93, v94
	;; [unrolled: 1-line block ×3, first 2 shown]
	s_waitcnt vmcnt(1)
	v_sub_f32_e32 v93, v161, v93
	s_waitcnt vmcnt(0)
	v_sub_f32_e32 v94, v162, v163
	buffer_store_dword v93, off, s[0:3], 0 offset:216
	buffer_store_dword v94, off, s[0:3], 0 offset:220
	s_and_saveexec_b64 s[4:5], vcc
	s_cbranch_execz .LBB44_231
; %bb.230:
	buffer_load_dword v93, off, s[0:3], 0 offset:208
	buffer_load_dword v94, off, s[0:3], 0 offset:212
	s_waitcnt vmcnt(0)
	ds_write_b64 v91, v[93:94]
	buffer_store_dword v92, off, s[0:3], 0 offset:208
	buffer_store_dword v92, off, s[0:3], 0 offset:212
.LBB44_231:
	s_or_b64 exec, exec, s[4:5]
	s_waitcnt lgkmcnt(0)
	; wave barrier
	buffer_load_dword v129, off, s[0:3], 0 offset:220
	buffer_load_dword v130, off, s[0:3], 0 offset:228
	;; [unrolled: 1-line block ×38, first 2 shown]
	ds_read2_b64 v[93:96], v92 offset0:73 offset1:74
	ds_read2_b64 v[97:100], v92 offset0:75 offset1:76
	;; [unrolled: 1-line block ×9, first 2 shown]
	v_cmp_lt_u32_e32 vcc, 25, v0
	s_waitcnt vmcnt(37) lgkmcnt(8)
	v_mul_f32_e32 v92, v93, v129
	s_waitcnt vmcnt(36)
	v_mul_f32_e32 v167, v95, v130
	s_waitcnt vmcnt(35) lgkmcnt(7)
	v_mul_f32_e32 v168, v97, v131
	s_waitcnt vmcnt(34)
	v_mul_f32_e32 v169, v99, v132
	;; [unrolled: 4-line block ×8, first 2 shown]
	s_waitcnt vmcnt(21) lgkmcnt(0)
	v_mul_f32_e32 v182, v125, v145
	s_waitcnt vmcnt(20)
	v_fmac_f32_e32 v92, v94, v146
	v_mul_f32_e32 v94, v94, v129
	v_fma_f32 v93, v93, v146, -v94
	v_mul_f32_e32 v94, v96, v130
	v_add_f32_e32 v93, 0, v93
	s_waitcnt vmcnt(19)
	v_fma_f32 v94, v95, v147, -v94
	v_add_f32_e32 v93, v93, v94
	v_mul_f32_e32 v94, v98, v131
	s_waitcnt vmcnt(18)
	v_fma_f32 v94, v97, v148, -v94
	v_add_f32_e32 v93, v93, v94
	v_mul_f32_e32 v94, v100, v132
	s_waitcnt vmcnt(17)
	v_fma_f32 v94, v99, v149, -v94
	v_add_f32_e32 v93, v93, v94
	v_mul_f32_e32 v94, v102, v133
	s_waitcnt vmcnt(16)
	v_fma_f32 v94, v101, v150, -v94
	v_add_f32_e32 v93, v93, v94
	v_mul_f32_e32 v94, v104, v134
	s_waitcnt vmcnt(15)
	v_fma_f32 v94, v103, v151, -v94
	v_add_f32_e32 v93, v93, v94
	v_mul_f32_e32 v94, v106, v135
	s_waitcnt vmcnt(14)
	v_fma_f32 v94, v105, v152, -v94
	v_add_f32_e32 v93, v93, v94
	v_mul_f32_e32 v94, v108, v136
	s_waitcnt vmcnt(13)
	v_fma_f32 v94, v107, v153, -v94
	v_add_f32_e32 v93, v93, v94
	v_mul_f32_e32 v94, v110, v137
	s_waitcnt vmcnt(12)
	v_fma_f32 v94, v109, v154, -v94
	v_add_f32_e32 v93, v93, v94
	v_mul_f32_e32 v94, v112, v138
	s_waitcnt vmcnt(11)
	v_fma_f32 v94, v111, v155, -v94
	v_fmac_f32_e32 v167, v96, v147
	v_add_f32_e32 v92, 0, v92
	v_add_f32_e32 v93, v93, v94
	v_mul_f32_e32 v94, v114, v139
	v_fmac_f32_e32 v168, v98, v148
	v_add_f32_e32 v92, v92, v167
	s_waitcnt vmcnt(10)
	v_fma_f32 v94, v113, v156, -v94
	v_fmac_f32_e32 v169, v100, v149
	v_add_f32_e32 v92, v92, v168
	v_add_f32_e32 v93, v93, v94
	v_mul_f32_e32 v94, v116, v140
	v_fmac_f32_e32 v170, v102, v150
	v_add_f32_e32 v92, v92, v169
	s_waitcnt vmcnt(9)
	v_fma_f32 v94, v115, v157, -v94
	v_fmac_f32_e32 v171, v104, v151
	v_add_f32_e32 v92, v92, v170
	v_add_f32_e32 v93, v93, v94
	v_mul_f32_e32 v94, v118, v141
	v_fmac_f32_e32 v172, v106, v152
	v_add_f32_e32 v92, v92, v171
	s_waitcnt vmcnt(8)
	v_fma_f32 v94, v117, v158, -v94
	v_fmac_f32_e32 v173, v108, v153
	v_add_f32_e32 v92, v92, v172
	v_add_f32_e32 v93, v93, v94
	v_mul_f32_e32 v94, v120, v142
	v_fmac_f32_e32 v174, v110, v154
	v_add_f32_e32 v92, v92, v173
	s_waitcnt vmcnt(7)
	v_fma_f32 v94, v119, v159, -v94
	v_fmac_f32_e32 v175, v112, v155
	v_add_f32_e32 v92, v92, v174
	v_add_f32_e32 v93, v93, v94
	v_mul_f32_e32 v94, v122, v143
	v_fmac_f32_e32 v176, v114, v156
	v_add_f32_e32 v92, v92, v175
	s_waitcnt vmcnt(6)
	v_fma_f32 v94, v121, v160, -v94
	v_fmac_f32_e32 v177, v116, v157
	v_add_f32_e32 v92, v92, v176
	v_add_f32_e32 v93, v93, v94
	v_mul_f32_e32 v94, v124, v144
	v_fmac_f32_e32 v178, v118, v158
	v_add_f32_e32 v92, v92, v177
	s_waitcnt vmcnt(5)
	v_fma_f32 v94, v123, v161, -v94
	v_fmac_f32_e32 v179, v120, v159
	v_add_f32_e32 v92, v92, v178
	v_add_f32_e32 v93, v93, v94
	v_mul_f32_e32 v94, v126, v145
	v_fmac_f32_e32 v180, v122, v160
	v_add_f32_e32 v92, v92, v179
	s_waitcnt vmcnt(4)
	v_fma_f32 v94, v125, v162, -v94
	v_fmac_f32_e32 v181, v124, v161
	v_add_f32_e32 v92, v92, v180
	v_add_f32_e32 v93, v93, v94
	s_waitcnt vmcnt(3)
	v_mul_f32_e32 v94, v128, v163
	v_add_f32_e32 v92, v92, v181
	v_fmac_f32_e32 v182, v126, v162
	v_mul_f32_e32 v167, v127, v163
	s_waitcnt vmcnt(2)
	v_fma_f32 v94, v127, v164, -v94
	v_add_f32_e32 v92, v92, v182
	v_fmac_f32_e32 v167, v128, v164
	v_add_f32_e32 v93, v93, v94
	v_add_f32_e32 v92, v92, v167
	s_waitcnt vmcnt(1)
	v_sub_f32_e32 v93, v165, v93
	s_waitcnt vmcnt(0)
	v_sub_f32_e32 v92, v166, v92
	buffer_store_dword v93, off, s[0:3], 0 offset:208
	buffer_store_dword v92, off, s[0:3], 0 offset:212
	s_and_saveexec_b64 s[4:5], vcc
	s_cbranch_execz .LBB44_233
; %bb.232:
	buffer_load_dword v92, off, s[0:3], 0 offset:200
	buffer_load_dword v93, off, s[0:3], 0 offset:204
	v_mov_b32_e32 v94, 0
	buffer_store_dword v94, off, s[0:3], 0 offset:200
	buffer_store_dword v94, off, s[0:3], 0 offset:204
	s_waitcnt vmcnt(2)
	ds_write_b64 v91, v[92:93]
.LBB44_233:
	s_or_b64 exec, exec, s[4:5]
	s_waitcnt lgkmcnt(0)
	; wave barrier
	buffer_load_dword v131, off, s[0:3], 0 offset:212
	buffer_load_dword v132, off, s[0:3], 0 offset:220
	buffer_load_dword v133, off, s[0:3], 0 offset:228
	buffer_load_dword v134, off, s[0:3], 0 offset:236
	buffer_load_dword v135, off, s[0:3], 0 offset:244
	buffer_load_dword v136, off, s[0:3], 0 offset:252
	buffer_load_dword v137, off, s[0:3], 0 offset:260
	buffer_load_dword v138, off, s[0:3], 0 offset:268
	buffer_load_dword v139, off, s[0:3], 0 offset:276
	buffer_load_dword v140, off, s[0:3], 0 offset:284
	buffer_load_dword v141, off, s[0:3], 0 offset:292
	buffer_load_dword v142, off, s[0:3], 0 offset:300
	buffer_load_dword v143, off, s[0:3], 0 offset:308
	buffer_load_dword v144, off, s[0:3], 0 offset:316
	buffer_load_dword v145, off, s[0:3], 0 offset:324
	buffer_load_dword v146, off, s[0:3], 0 offset:208
	buffer_load_dword v147, off, s[0:3], 0 offset:216
	buffer_load_dword v148, off, s[0:3], 0 offset:224
	buffer_load_dword v149, off, s[0:3], 0 offset:232
	buffer_load_dword v150, off, s[0:3], 0 offset:240
	buffer_load_dword v151, off, s[0:3], 0 offset:248
	buffer_load_dword v152, off, s[0:3], 0 offset:256
	buffer_load_dword v153, off, s[0:3], 0 offset:264
	buffer_load_dword v154, off, s[0:3], 0 offset:272
	buffer_load_dword v155, off, s[0:3], 0 offset:280
	buffer_load_dword v156, off, s[0:3], 0 offset:288
	buffer_load_dword v157, off, s[0:3], 0 offset:296
	buffer_load_dword v158, off, s[0:3], 0 offset:304
	buffer_load_dword v159, off, s[0:3], 0 offset:312
	buffer_load_dword v160, off, s[0:3], 0 offset:320
	buffer_load_dword v161, off, s[0:3], 0 offset:332
	buffer_load_dword v162, off, s[0:3], 0 offset:328
	buffer_load_dword v163, off, s[0:3], 0 offset:340
	buffer_load_dword v164, off, s[0:3], 0 offset:336
	buffer_load_dword v165, off, s[0:3], 0 offset:348
	buffer_load_dword v166, off, s[0:3], 0 offset:344
	buffer_load_dword v167, off, s[0:3], 0 offset:356
	buffer_load_dword v168, off, s[0:3], 0 offset:352
	buffer_load_dword v169, off, s[0:3], 0 offset:200
	buffer_load_dword v170, off, s[0:3], 0 offset:204
	v_mov_b32_e32 v92, 0
	ds_read_b128 v[93:96], v92 offset:576
	ds_read_b128 v[97:100], v92 offset:592
	;; [unrolled: 1-line block ×9, first 2 shown]
	v_cmp_lt_u32_e32 vcc, 24, v0
	s_waitcnt vmcnt(39) lgkmcnt(8)
	v_mul_f32_e32 v129, v93, v131
	s_waitcnt vmcnt(38)
	v_mul_f32_e32 v130, v95, v132
	s_waitcnt vmcnt(37) lgkmcnt(7)
	v_mul_f32_e32 v171, v97, v133
	s_waitcnt vmcnt(36)
	v_mul_f32_e32 v172, v99, v134
	;; [unrolled: 4-line block ×7, first 2 shown]
	s_waitcnt vmcnt(25) lgkmcnt(1)
	v_mul_f32_e32 v183, v121, v145
	s_waitcnt vmcnt(24)
	v_fmac_f32_e32 v129, v94, v146
	v_mul_f32_e32 v94, v94, v131
	v_fma_f32 v93, v93, v146, -v94
	v_mul_f32_e32 v94, v96, v132
	v_add_f32_e32 v93, 0, v93
	s_waitcnt vmcnt(23)
	v_fma_f32 v94, v95, v147, -v94
	v_add_f32_e32 v93, v93, v94
	v_mul_f32_e32 v94, v98, v133
	s_waitcnt vmcnt(22)
	v_fma_f32 v94, v97, v148, -v94
	v_add_f32_e32 v93, v93, v94
	v_mul_f32_e32 v94, v100, v134
	;; [unrolled: 4-line block ×6, first 2 shown]
	s_waitcnt vmcnt(17)
	v_fma_f32 v94, v107, v153, -v94
	v_fmac_f32_e32 v130, v96, v147
	v_add_f32_e32 v129, 0, v129
	v_add_f32_e32 v93, v93, v94
	v_mul_f32_e32 v94, v110, v139
	v_fmac_f32_e32 v171, v98, v148
	v_add_f32_e32 v129, v129, v130
	s_waitcnt vmcnt(16)
	v_fma_f32 v94, v109, v154, -v94
	v_fmac_f32_e32 v172, v100, v149
	v_add_f32_e32 v129, v129, v171
	v_add_f32_e32 v93, v93, v94
	v_mul_f32_e32 v94, v112, v140
	v_fmac_f32_e32 v173, v102, v150
	v_add_f32_e32 v129, v129, v172
	;; [unrolled: 8-line block ×6, first 2 shown]
	s_waitcnt vmcnt(11)
	v_fma_f32 v94, v119, v159, -v94
	v_fmac_f32_e32 v182, v120, v159
	v_add_f32_e32 v129, v129, v181
	v_add_f32_e32 v93, v93, v94
	v_mul_f32_e32 v94, v122, v145
	s_waitcnt vmcnt(10)
	v_fmac_f32_e32 v183, v122, v160
	v_add_f32_e32 v129, v129, v182
	s_waitcnt vmcnt(9)
	v_mul_f32_e32 v130, v123, v161
	v_fma_f32 v94, v121, v160, -v94
	v_add_f32_e32 v129, v129, v183
	s_waitcnt vmcnt(8)
	v_fmac_f32_e32 v130, v124, v162
	v_add_f32_e32 v93, v93, v94
	v_mul_f32_e32 v94, v124, v161
	v_add_f32_e32 v171, v129, v130
	ds_read_b64 v[129:130], v92 offset:720
	v_fma_f32 v94, v123, v162, -v94
	v_add_f32_e32 v93, v93, v94
	s_waitcnt vmcnt(7) lgkmcnt(1)
	v_mul_f32_e32 v94, v126, v163
	v_mul_f32_e32 v172, v125, v163
	s_waitcnt vmcnt(6)
	v_fma_f32 v94, v125, v164, -v94
	v_fmac_f32_e32 v172, v126, v164
	v_add_f32_e32 v93, v93, v94
	s_waitcnt vmcnt(5)
	v_mul_f32_e32 v94, v128, v165
	v_add_f32_e32 v171, v171, v172
	v_mul_f32_e32 v172, v127, v165
	s_waitcnt vmcnt(4)
	v_fma_f32 v94, v127, v166, -v94
	v_fmac_f32_e32 v172, v128, v166
	v_add_f32_e32 v93, v93, v94
	s_waitcnt vmcnt(3) lgkmcnt(0)
	v_mul_f32_e32 v94, v130, v167
	v_add_f32_e32 v171, v171, v172
	v_mul_f32_e32 v172, v129, v167
	s_waitcnt vmcnt(2)
	v_fma_f32 v94, v129, v168, -v94
	v_fmac_f32_e32 v172, v130, v168
	v_add_f32_e32 v93, v93, v94
	v_add_f32_e32 v171, v171, v172
	s_waitcnt vmcnt(1)
	v_sub_f32_e32 v93, v169, v93
	s_waitcnt vmcnt(0)
	v_sub_f32_e32 v94, v170, v171
	buffer_store_dword v93, off, s[0:3], 0 offset:200
	buffer_store_dword v94, off, s[0:3], 0 offset:204
	s_and_saveexec_b64 s[4:5], vcc
	s_cbranch_execz .LBB44_235
; %bb.234:
	buffer_load_dword v93, off, s[0:3], 0 offset:192
	buffer_load_dword v94, off, s[0:3], 0 offset:196
	s_waitcnt vmcnt(0)
	ds_write_b64 v91, v[93:94]
	buffer_store_dword v92, off, s[0:3], 0 offset:192
	buffer_store_dword v92, off, s[0:3], 0 offset:196
.LBB44_235:
	s_or_b64 exec, exec, s[4:5]
	s_waitcnt lgkmcnt(0)
	; wave barrier
	buffer_load_dword v133, off, s[0:3], 0 offset:204
	buffer_load_dword v134, off, s[0:3], 0 offset:212
	;; [unrolled: 1-line block ×42, first 2 shown]
	ds_read2_b64 v[93:96], v92 offset0:71 offset1:72
	ds_read2_b64 v[97:100], v92 offset0:73 offset1:74
	;; [unrolled: 1-line block ×8, first 2 shown]
	v_cmp_lt_u32_e32 vcc, 23, v0
	s_waitcnt vmcnt(41) lgkmcnt(7)
	v_mul_f32_e32 v125, v93, v133
	s_waitcnt vmcnt(40)
	v_mul_f32_e32 v126, v95, v134
	s_waitcnt vmcnt(39) lgkmcnt(6)
	v_mul_f32_e32 v127, v97, v135
	s_waitcnt vmcnt(38)
	v_mul_f32_e32 v128, v99, v136
	;; [unrolled: 4-line block ×7, first 2 shown]
	s_waitcnt vmcnt(27) lgkmcnt(0)
	v_mul_f32_e32 v181, v121, v147
	s_waitcnt vmcnt(26)
	v_fmac_f32_e32 v125, v94, v148
	v_mul_f32_e32 v94, v94, v133
	v_fma_f32 v93, v93, v148, -v94
	v_mul_f32_e32 v94, v96, v134
	v_add_f32_e32 v93, 0, v93
	s_waitcnt vmcnt(25)
	v_fma_f32 v94, v95, v149, -v94
	v_add_f32_e32 v93, v93, v94
	v_mul_f32_e32 v94, v98, v135
	s_waitcnt vmcnt(24)
	v_fma_f32 v94, v97, v150, -v94
	v_add_f32_e32 v93, v93, v94
	v_mul_f32_e32 v94, v100, v136
	;; [unrolled: 4-line block ×5, first 2 shown]
	v_fmac_f32_e32 v126, v96, v149
	v_add_f32_e32 v125, 0, v125
	s_waitcnt vmcnt(20)
	v_fma_f32 v94, v105, v154, -v94
	v_fmac_f32_e32 v127, v98, v150
	v_add_f32_e32 v125, v125, v126
	v_add_f32_e32 v93, v93, v94
	v_mul_f32_e32 v94, v108, v140
	v_fmac_f32_e32 v128, v100, v151
	v_add_f32_e32 v125, v125, v127
	s_waitcnt vmcnt(19)
	v_fma_f32 v94, v107, v155, -v94
	v_fmac_f32_e32 v129, v102, v152
	v_add_f32_e32 v125, v125, v128
	v_add_f32_e32 v93, v93, v94
	v_mul_f32_e32 v94, v110, v141
	;; [unrolled: 8-line block ×5, first 2 shown]
	s_waitcnt vmcnt(15)
	v_fmac_f32_e32 v178, v116, v159
	v_add_f32_e32 v125, v125, v177
	v_fma_f32 v94, v115, v159, -v94
	s_waitcnt vmcnt(14)
	v_fmac_f32_e32 v179, v118, v160
	v_add_f32_e32 v125, v125, v178
	v_add_f32_e32 v93, v93, v94
	v_mul_f32_e32 v94, v118, v145
	s_waitcnt vmcnt(13)
	v_fmac_f32_e32 v180, v120, v161
	v_add_f32_e32 v125, v125, v179
	v_fma_f32 v94, v117, v160, -v94
	s_waitcnt vmcnt(12)
	v_fmac_f32_e32 v181, v122, v162
	v_add_f32_e32 v125, v125, v180
	v_add_f32_e32 v93, v93, v94
	v_mul_f32_e32 v94, v120, v146
	v_add_f32_e32 v129, v125, v181
	ds_read2_b64 v[125:128], v92 offset0:87 offset1:88
	v_fma_f32 v94, v119, v161, -v94
	v_add_f32_e32 v93, v93, v94
	v_mul_f32_e32 v94, v122, v147
	s_waitcnt vmcnt(11)
	v_mul_f32_e32 v130, v123, v163
	v_fma_f32 v94, v121, v162, -v94
	s_waitcnt vmcnt(10)
	v_fmac_f32_e32 v130, v124, v164
	v_add_f32_e32 v93, v93, v94
	v_mul_f32_e32 v94, v124, v163
	v_add_f32_e32 v175, v129, v130
	ds_read2_b64 v[129:132], v92 offset0:89 offset1:90
	v_fma_f32 v94, v123, v164, -v94
	v_add_f32_e32 v93, v93, v94
	s_waitcnt vmcnt(9) lgkmcnt(1)
	v_mul_f32_e32 v94, v126, v165
	v_mul_f32_e32 v92, v125, v165
	s_waitcnt vmcnt(8)
	v_fma_f32 v94, v125, v166, -v94
	v_fmac_f32_e32 v92, v126, v166
	v_add_f32_e32 v93, v93, v94
	s_waitcnt vmcnt(7)
	v_mul_f32_e32 v94, v128, v167
	v_add_f32_e32 v92, v175, v92
	v_mul_f32_e32 v175, v127, v167
	s_waitcnt vmcnt(6)
	v_fma_f32 v94, v127, v168, -v94
	v_fmac_f32_e32 v175, v128, v168
	v_add_f32_e32 v93, v93, v94
	s_waitcnt vmcnt(5) lgkmcnt(0)
	v_mul_f32_e32 v94, v130, v169
	v_add_f32_e32 v92, v92, v175
	v_mul_f32_e32 v175, v129, v169
	s_waitcnt vmcnt(4)
	v_fma_f32 v94, v129, v170, -v94
	v_fmac_f32_e32 v175, v130, v170
	v_add_f32_e32 v93, v93, v94
	s_waitcnt vmcnt(3)
	v_mul_f32_e32 v94, v132, v171
	v_add_f32_e32 v92, v92, v175
	v_mul_f32_e32 v175, v131, v171
	s_waitcnt vmcnt(2)
	v_fma_f32 v94, v131, v172, -v94
	v_fmac_f32_e32 v175, v132, v172
	v_add_f32_e32 v93, v93, v94
	v_add_f32_e32 v92, v92, v175
	s_waitcnt vmcnt(1)
	v_sub_f32_e32 v93, v173, v93
	s_waitcnt vmcnt(0)
	v_sub_f32_e32 v92, v174, v92
	buffer_store_dword v93, off, s[0:3], 0 offset:192
	buffer_store_dword v92, off, s[0:3], 0 offset:196
	s_and_saveexec_b64 s[4:5], vcc
	s_cbranch_execz .LBB44_237
; %bb.236:
	buffer_load_dword v92, off, s[0:3], 0 offset:184
	buffer_load_dword v93, off, s[0:3], 0 offset:188
	v_mov_b32_e32 v94, 0
	buffer_store_dword v94, off, s[0:3], 0 offset:184
	buffer_store_dword v94, off, s[0:3], 0 offset:188
	s_waitcnt vmcnt(2)
	ds_write_b64 v91, v[92:93]
.LBB44_237:
	s_or_b64 exec, exec, s[4:5]
	s_waitcnt lgkmcnt(0)
	; wave barrier
	buffer_load_dword v135, off, s[0:3], 0 offset:196
	buffer_load_dword v136, off, s[0:3], 0 offset:204
	buffer_load_dword v137, off, s[0:3], 0 offset:212
	buffer_load_dword v138, off, s[0:3], 0 offset:220
	buffer_load_dword v139, off, s[0:3], 0 offset:228
	buffer_load_dword v140, off, s[0:3], 0 offset:236
	buffer_load_dword v141, off, s[0:3], 0 offset:244
	buffer_load_dword v142, off, s[0:3], 0 offset:252
	buffer_load_dword v143, off, s[0:3], 0 offset:260
	buffer_load_dword v144, off, s[0:3], 0 offset:268
	buffer_load_dword v145, off, s[0:3], 0 offset:276
	buffer_load_dword v146, off, s[0:3], 0 offset:284
	buffer_load_dword v147, off, s[0:3], 0 offset:292
	buffer_load_dword v148, off, s[0:3], 0 offset:300
	buffer_load_dword v149, off, s[0:3], 0 offset:192
	buffer_load_dword v150, off, s[0:3], 0 offset:200
	buffer_load_dword v151, off, s[0:3], 0 offset:208
	buffer_load_dword v152, off, s[0:3], 0 offset:216
	buffer_load_dword v153, off, s[0:3], 0 offset:224
	buffer_load_dword v154, off, s[0:3], 0 offset:232
	buffer_load_dword v155, off, s[0:3], 0 offset:240
	buffer_load_dword v156, off, s[0:3], 0 offset:248
	buffer_load_dword v157, off, s[0:3], 0 offset:256
	buffer_load_dword v158, off, s[0:3], 0 offset:264
	buffer_load_dword v159, off, s[0:3], 0 offset:272
	buffer_load_dword v160, off, s[0:3], 0 offset:280
	buffer_load_dword v161, off, s[0:3], 0 offset:288
	buffer_load_dword v162, off, s[0:3], 0 offset:296
	buffer_load_dword v163, off, s[0:3], 0 offset:308
	buffer_load_dword v164, off, s[0:3], 0 offset:304
	buffer_load_dword v165, off, s[0:3], 0 offset:316
	buffer_load_dword v166, off, s[0:3], 0 offset:312
	buffer_load_dword v167, off, s[0:3], 0 offset:324
	buffer_load_dword v168, off, s[0:3], 0 offset:320
	buffer_load_dword v169, off, s[0:3], 0 offset:332
	buffer_load_dword v170, off, s[0:3], 0 offset:328
	buffer_load_dword v171, off, s[0:3], 0 offset:340
	buffer_load_dword v172, off, s[0:3], 0 offset:336
	buffer_load_dword v173, off, s[0:3], 0 offset:348
	buffer_load_dword v174, off, s[0:3], 0 offset:344
	buffer_load_dword v175, off, s[0:3], 0 offset:356
	buffer_load_dword v176, off, s[0:3], 0 offset:352
	buffer_load_dword v177, off, s[0:3], 0 offset:184
	buffer_load_dword v178, off, s[0:3], 0 offset:188
	v_mov_b32_e32 v92, 0
	ds_read_b128 v[93:96], v92 offset:560
	ds_read_b128 v[97:100], v92 offset:576
	;; [unrolled: 1-line block ×8, first 2 shown]
	v_cmp_lt_u32_e32 vcc, 22, v0
	s_waitcnt vmcnt(43) lgkmcnt(7)
	v_mul_f32_e32 v125, v93, v135
	s_waitcnt vmcnt(42)
	v_mul_f32_e32 v126, v95, v136
	s_waitcnt vmcnt(41) lgkmcnt(6)
	v_mul_f32_e32 v127, v97, v137
	s_waitcnt vmcnt(40)
	v_mul_f32_e32 v128, v99, v138
	;; [unrolled: 4-line block ×7, first 2 shown]
	s_waitcnt vmcnt(29)
	v_fmac_f32_e32 v125, v94, v149
	v_mul_f32_e32 v94, v94, v135
	v_fma_f32 v93, v93, v149, -v94
	v_mul_f32_e32 v94, v96, v136
	v_add_f32_e32 v93, 0, v93
	s_waitcnt vmcnt(28)
	v_fma_f32 v94, v95, v150, -v94
	v_add_f32_e32 v93, v93, v94
	v_mul_f32_e32 v94, v98, v137
	s_waitcnt vmcnt(27)
	v_fma_f32 v94, v97, v151, -v94
	v_add_f32_e32 v93, v93, v94
	v_mul_f32_e32 v94, v100, v138
	s_waitcnt vmcnt(26)
	v_fma_f32 v94, v99, v152, -v94
	v_add_f32_e32 v93, v93, v94
	v_mul_f32_e32 v94, v102, v139
	s_waitcnt vmcnt(25)
	v_fma_f32 v94, v101, v153, -v94
	v_add_f32_e32 v93, v93, v94
	v_mul_f32_e32 v94, v104, v140
	s_waitcnt vmcnt(24)
	v_fma_f32 v94, v103, v154, -v94
	v_fmac_f32_e32 v126, v96, v150
	v_add_f32_e32 v125, 0, v125
	v_add_f32_e32 v93, v93, v94
	v_mul_f32_e32 v94, v106, v141
	v_fmac_f32_e32 v127, v98, v151
	v_add_f32_e32 v125, v125, v126
	s_waitcnt vmcnt(23)
	v_fma_f32 v94, v105, v155, -v94
	v_fmac_f32_e32 v128, v100, v152
	v_add_f32_e32 v125, v125, v127
	v_add_f32_e32 v93, v93, v94
	v_mul_f32_e32 v94, v108, v142
	v_fmac_f32_e32 v129, v102, v153
	v_add_f32_e32 v125, v125, v128
	;; [unrolled: 8-line block ×4, first 2 shown]
	s_waitcnt vmcnt(20)
	v_fma_f32 v94, v111, v158, -v94
	v_fmac_f32_e32 v134, v112, v158
	v_add_f32_e32 v125, v125, v133
	v_add_f32_e32 v93, v93, v94
	v_mul_f32_e32 v94, v114, v145
	s_waitcnt vmcnt(19)
	v_fmac_f32_e32 v179, v114, v159
	v_add_f32_e32 v125, v125, v134
	v_fma_f32 v94, v113, v159, -v94
	s_waitcnt vmcnt(18)
	v_fmac_f32_e32 v180, v116, v160
	v_add_f32_e32 v125, v125, v179
	v_add_f32_e32 v93, v93, v94
	v_mul_f32_e32 v94, v116, v146
	s_waitcnt vmcnt(17)
	v_fmac_f32_e32 v181, v118, v161
	v_add_f32_e32 v125, v125, v180
	v_fma_f32 v94, v115, v160, -v94
	v_add_f32_e32 v125, v125, v181
	s_waitcnt vmcnt(16)
	v_fmac_f32_e32 v182, v120, v162
	s_waitcnt vmcnt(15) lgkmcnt(0)
	v_mul_f32_e32 v126, v121, v163
	v_add_f32_e32 v93, v93, v94
	v_mul_f32_e32 v94, v118, v147
	v_add_f32_e32 v125, v125, v182
	s_waitcnt vmcnt(14)
	v_fmac_f32_e32 v126, v122, v164
	v_fma_f32 v94, v117, v161, -v94
	v_add_f32_e32 v129, v125, v126
	ds_read_b128 v[125:128], v92 offset:688
	v_add_f32_e32 v93, v93, v94
	v_mul_f32_e32 v94, v120, v148
	v_fma_f32 v94, v119, v162, -v94
	v_add_f32_e32 v93, v93, v94
	v_mul_f32_e32 v94, v122, v163
	s_waitcnt vmcnt(13)
	v_mul_f32_e32 v130, v123, v165
	v_fma_f32 v94, v121, v164, -v94
	s_waitcnt vmcnt(12)
	v_fmac_f32_e32 v130, v124, v166
	v_add_f32_e32 v93, v93, v94
	v_mul_f32_e32 v94, v124, v165
	v_add_f32_e32 v133, v129, v130
	ds_read_b128 v[129:132], v92 offset:704
	s_waitcnt vmcnt(11) lgkmcnt(1)
	v_mul_f32_e32 v134, v125, v167
	v_fma_f32 v94, v123, v166, -v94
	s_waitcnt vmcnt(10)
	v_fmac_f32_e32 v134, v126, v168
	v_add_f32_e32 v93, v93, v94
	v_mul_f32_e32 v94, v126, v167
	v_add_f32_e32 v133, v133, v134
	s_waitcnt vmcnt(9)
	v_mul_f32_e32 v134, v127, v169
	v_fma_f32 v94, v125, v168, -v94
	s_waitcnt vmcnt(8)
	v_fmac_f32_e32 v134, v128, v170
	v_add_f32_e32 v93, v93, v94
	v_mul_f32_e32 v94, v128, v169
	v_add_f32_e32 v179, v133, v134
	ds_read_b64 v[133:134], v92 offset:720
	v_fma_f32 v94, v127, v170, -v94
	v_add_f32_e32 v93, v93, v94
	s_waitcnt vmcnt(7) lgkmcnt(1)
	v_mul_f32_e32 v94, v130, v171
	v_mul_f32_e32 v180, v129, v171
	s_waitcnt vmcnt(6)
	v_fma_f32 v94, v129, v172, -v94
	v_fmac_f32_e32 v180, v130, v172
	v_add_f32_e32 v93, v93, v94
	s_waitcnt vmcnt(5)
	v_mul_f32_e32 v94, v132, v173
	v_add_f32_e32 v179, v179, v180
	v_mul_f32_e32 v180, v131, v173
	s_waitcnt vmcnt(4)
	v_fma_f32 v94, v131, v174, -v94
	v_fmac_f32_e32 v180, v132, v174
	v_add_f32_e32 v93, v93, v94
	s_waitcnt vmcnt(3) lgkmcnt(0)
	v_mul_f32_e32 v94, v134, v175
	v_add_f32_e32 v179, v179, v180
	v_mul_f32_e32 v180, v133, v175
	s_waitcnt vmcnt(2)
	v_fma_f32 v94, v133, v176, -v94
	v_fmac_f32_e32 v180, v134, v176
	v_add_f32_e32 v93, v93, v94
	v_add_f32_e32 v179, v179, v180
	s_waitcnt vmcnt(1)
	v_sub_f32_e32 v93, v177, v93
	s_waitcnt vmcnt(0)
	v_sub_f32_e32 v94, v178, v179
	buffer_store_dword v93, off, s[0:3], 0 offset:184
	buffer_store_dword v94, off, s[0:3], 0 offset:188
	s_and_saveexec_b64 s[4:5], vcc
	s_cbranch_execz .LBB44_239
; %bb.238:
	buffer_load_dword v93, off, s[0:3], 0 offset:176
	buffer_load_dword v94, off, s[0:3], 0 offset:180
	s_waitcnt vmcnt(0)
	ds_write_b64 v91, v[93:94]
	buffer_store_dword v92, off, s[0:3], 0 offset:176
	buffer_store_dword v92, off, s[0:3], 0 offset:180
.LBB44_239:
	s_or_b64 exec, exec, s[4:5]
	s_waitcnt lgkmcnt(0)
	; wave barrier
	buffer_load_dword v137, off, s[0:3], 0 offset:188
	buffer_load_dword v138, off, s[0:3], 0 offset:196
	;; [unrolled: 1-line block ×46, first 2 shown]
	ds_read2_b64 v[93:96], v92 offset0:69 offset1:70
	ds_read2_b64 v[97:100], v92 offset0:71 offset1:72
	;; [unrolled: 1-line block ×8, first 2 shown]
	v_cmp_lt_u32_e32 vcc, 21, v0
	s_waitcnt vmcnt(45) lgkmcnt(7)
	v_mul_f32_e32 v125, v93, v137
	s_waitcnt vmcnt(44)
	v_mul_f32_e32 v126, v95, v138
	s_waitcnt vmcnt(43) lgkmcnt(6)
	v_mul_f32_e32 v127, v97, v139
	s_waitcnt vmcnt(42)
	v_mul_f32_e32 v128, v99, v140
	;; [unrolled: 4-line block ×6, first 2 shown]
	s_waitcnt vmcnt(33) lgkmcnt(1)
	v_mul_f32_e32 v183, v117, v149
	s_waitcnt vmcnt(32)
	v_fmac_f32_e32 v125, v94, v150
	v_mul_f32_e32 v94, v94, v137
	v_fma_f32 v93, v93, v150, -v94
	v_mul_f32_e32 v94, v96, v138
	v_add_f32_e32 v93, 0, v93
	s_waitcnt vmcnt(31)
	v_fma_f32 v94, v95, v151, -v94
	v_add_f32_e32 v93, v93, v94
	v_mul_f32_e32 v94, v98, v139
	s_waitcnt vmcnt(30)
	v_fma_f32 v94, v97, v152, -v94
	v_add_f32_e32 v93, v93, v94
	v_mul_f32_e32 v94, v100, v140
	;; [unrolled: 4-line block ×4, first 2 shown]
	v_fmac_f32_e32 v126, v96, v151
	v_add_f32_e32 v125, 0, v125
	s_waitcnt vmcnt(27)
	v_fma_f32 v94, v103, v155, -v94
	v_fmac_f32_e32 v127, v98, v152
	v_add_f32_e32 v125, v125, v126
	v_add_f32_e32 v93, v93, v94
	v_mul_f32_e32 v94, v106, v143
	v_fmac_f32_e32 v128, v100, v153
	v_add_f32_e32 v125, v125, v127
	s_waitcnt vmcnt(26)
	v_fma_f32 v94, v105, v156, -v94
	v_fmac_f32_e32 v129, v102, v154
	v_add_f32_e32 v125, v125, v128
	v_add_f32_e32 v93, v93, v94
	v_mul_f32_e32 v94, v108, v144
	v_fmac_f32_e32 v130, v104, v155
	v_add_f32_e32 v125, v125, v129
	s_waitcnt vmcnt(25)
	v_fma_f32 v94, v107, v157, -v94
	v_fmac_f32_e32 v131, v106, v156
	v_add_f32_e32 v125, v125, v130
	v_add_f32_e32 v93, v93, v94
	v_mul_f32_e32 v94, v110, v145
	v_fmac_f32_e32 v132, v108, v157
	v_add_f32_e32 v125, v125, v131
	s_waitcnt vmcnt(24)
	v_fma_f32 v94, v109, v158, -v94
	v_fmac_f32_e32 v133, v110, v158
	v_add_f32_e32 v125, v125, v132
	v_add_f32_e32 v93, v93, v94
	v_mul_f32_e32 v94, v112, v146
	s_waitcnt vmcnt(23)
	v_fmac_f32_e32 v134, v112, v159
	v_add_f32_e32 v125, v125, v133
	v_fma_f32 v94, v111, v159, -v94
	s_waitcnt vmcnt(22)
	v_fmac_f32_e32 v135, v114, v160
	v_add_f32_e32 v125, v125, v134
	v_add_f32_e32 v93, v93, v94
	v_mul_f32_e32 v94, v114, v147
	s_waitcnt vmcnt(21)
	v_fmac_f32_e32 v136, v116, v161
	v_add_f32_e32 v125, v125, v135
	v_fma_f32 v94, v113, v160, -v94
	s_waitcnt vmcnt(20)
	v_fmac_f32_e32 v183, v118, v162
	v_add_f32_e32 v125, v125, v136
	s_waitcnt vmcnt(19)
	v_mul_f32_e32 v126, v119, v163
	v_add_f32_e32 v93, v93, v94
	v_mul_f32_e32 v94, v116, v148
	v_add_f32_e32 v125, v125, v183
	s_waitcnt vmcnt(18)
	v_fmac_f32_e32 v126, v120, v164
	v_fma_f32 v94, v115, v161, -v94
	v_add_f32_e32 v125, v125, v126
	s_waitcnt vmcnt(17) lgkmcnt(0)
	v_mul_f32_e32 v126, v121, v165
	v_add_f32_e32 v93, v93, v94
	v_mul_f32_e32 v94, v118, v149
	s_waitcnt vmcnt(16)
	v_fmac_f32_e32 v126, v122, v166
	v_fma_f32 v94, v117, v162, -v94
	v_add_f32_e32 v129, v125, v126
	ds_read2_b64 v[125:128], v92 offset0:85 offset1:86
	v_add_f32_e32 v93, v93, v94
	v_mul_f32_e32 v94, v120, v163
	v_fma_f32 v94, v119, v164, -v94
	v_add_f32_e32 v93, v93, v94
	v_mul_f32_e32 v94, v122, v165
	s_waitcnt vmcnt(15)
	v_mul_f32_e32 v130, v123, v167
	v_fma_f32 v94, v121, v166, -v94
	s_waitcnt vmcnt(14)
	v_fmac_f32_e32 v130, v124, v168
	v_add_f32_e32 v93, v93, v94
	v_mul_f32_e32 v94, v124, v167
	v_add_f32_e32 v133, v129, v130
	ds_read2_b64 v[129:132], v92 offset0:87 offset1:88
	s_waitcnt vmcnt(13) lgkmcnt(1)
	v_mul_f32_e32 v134, v125, v169
	v_fma_f32 v94, v123, v168, -v94
	s_waitcnt vmcnt(12)
	v_fmac_f32_e32 v134, v126, v170
	v_add_f32_e32 v93, v93, v94
	v_mul_f32_e32 v94, v126, v169
	v_add_f32_e32 v133, v133, v134
	s_waitcnt vmcnt(11)
	v_mul_f32_e32 v134, v127, v171
	v_fma_f32 v94, v125, v170, -v94
	s_waitcnt vmcnt(10)
	v_fmac_f32_e32 v134, v128, v172
	v_add_f32_e32 v93, v93, v94
	v_mul_f32_e32 v94, v128, v171
	v_add_f32_e32 v183, v133, v134
	ds_read2_b64 v[133:136], v92 offset0:89 offset1:90
	v_fma_f32 v94, v127, v172, -v94
	v_add_f32_e32 v93, v93, v94
	s_waitcnt vmcnt(9) lgkmcnt(1)
	v_mul_f32_e32 v94, v130, v173
	v_mul_f32_e32 v184, v129, v173
	s_waitcnt vmcnt(8)
	v_fma_f32 v94, v129, v174, -v94
	v_fmac_f32_e32 v184, v130, v174
	v_add_f32_e32 v93, v93, v94
	s_waitcnt vmcnt(7)
	v_mul_f32_e32 v94, v132, v175
	v_add_f32_e32 v92, v183, v184
	v_mul_f32_e32 v183, v131, v175
	s_waitcnt vmcnt(6)
	v_fma_f32 v94, v131, v176, -v94
	v_fmac_f32_e32 v183, v132, v176
	v_add_f32_e32 v93, v93, v94
	s_waitcnt vmcnt(5) lgkmcnt(0)
	v_mul_f32_e32 v94, v134, v177
	v_add_f32_e32 v92, v92, v183
	v_mul_f32_e32 v183, v133, v177
	s_waitcnt vmcnt(4)
	v_fma_f32 v94, v133, v178, -v94
	v_fmac_f32_e32 v183, v134, v178
	v_add_f32_e32 v93, v93, v94
	s_waitcnt vmcnt(3)
	v_mul_f32_e32 v94, v136, v179
	v_add_f32_e32 v92, v92, v183
	v_mul_f32_e32 v183, v135, v179
	s_waitcnt vmcnt(2)
	v_fma_f32 v94, v135, v180, -v94
	v_fmac_f32_e32 v183, v136, v180
	v_add_f32_e32 v93, v93, v94
	v_add_f32_e32 v92, v92, v183
	s_waitcnt vmcnt(1)
	v_sub_f32_e32 v93, v181, v93
	s_waitcnt vmcnt(0)
	v_sub_f32_e32 v92, v182, v92
	buffer_store_dword v93, off, s[0:3], 0 offset:176
	buffer_store_dword v92, off, s[0:3], 0 offset:180
	s_and_saveexec_b64 s[4:5], vcc
	s_cbranch_execz .LBB44_241
; %bb.240:
	buffer_load_dword v92, off, s[0:3], 0 offset:168
	buffer_load_dword v93, off, s[0:3], 0 offset:172
	v_mov_b32_e32 v94, 0
	buffer_store_dword v94, off, s[0:3], 0 offset:168
	buffer_store_dword v94, off, s[0:3], 0 offset:172
	s_waitcnt vmcnt(2)
	ds_write_b64 v91, v[92:93]
.LBB44_241:
	s_or_b64 exec, exec, s[4:5]
	s_waitcnt lgkmcnt(0)
	; wave barrier
	buffer_load_dword v139, off, s[0:3], 0 offset:180
	buffer_load_dword v140, off, s[0:3], 0 offset:188
	;; [unrolled: 1-line block ×48, first 2 shown]
	v_mov_b32_e32 v92, 0
	ds_read_b128 v[93:96], v92 offset:544
	ds_read_b128 v[97:100], v92 offset:560
	;; [unrolled: 1-line block ×7, first 2 shown]
	v_cmp_lt_u32_e32 vcc, 20, v0
	s_waitcnt vmcnt(47) lgkmcnt(6)
	v_mul_f32_e32 v121, v93, v139
	s_waitcnt vmcnt(46)
	v_mul_f32_e32 v122, v95, v140
	s_waitcnt vmcnt(45) lgkmcnt(5)
	v_mul_f32_e32 v123, v97, v141
	s_waitcnt vmcnt(44)
	v_mul_f32_e32 v124, v99, v142
	;; [unrolled: 4-line block ×6, first 2 shown]
	s_waitcnt vmcnt(35)
	v_fmac_f32_e32 v121, v94, v151
	v_mul_f32_e32 v94, v94, v139
	v_fma_f32 v93, v93, v151, -v94
	v_mul_f32_e32 v94, v96, v140
	v_add_f32_e32 v93, 0, v93
	s_waitcnt vmcnt(34)
	v_fma_f32 v94, v95, v152, -v94
	v_add_f32_e32 v93, v93, v94
	v_mul_f32_e32 v94, v98, v141
	s_waitcnt vmcnt(33)
	v_fma_f32 v94, v97, v153, -v94
	v_fmac_f32_e32 v122, v96, v152
	v_add_f32_e32 v121, 0, v121
	v_add_f32_e32 v93, v93, v94
	v_mul_f32_e32 v94, v100, v142
	v_fmac_f32_e32 v123, v98, v153
	v_add_f32_e32 v121, v121, v122
	s_waitcnt vmcnt(32)
	v_fma_f32 v94, v99, v154, -v94
	v_fmac_f32_e32 v124, v100, v154
	v_add_f32_e32 v121, v121, v123
	v_add_f32_e32 v93, v93, v94
	v_mul_f32_e32 v94, v102, v143
	s_waitcnt vmcnt(31)
	v_fmac_f32_e32 v125, v102, v155
	v_add_f32_e32 v121, v121, v124
	v_fma_f32 v94, v101, v155, -v94
	s_waitcnt vmcnt(30)
	v_fmac_f32_e32 v126, v104, v156
	v_add_f32_e32 v121, v121, v125
	v_add_f32_e32 v93, v93, v94
	v_mul_f32_e32 v94, v104, v144
	s_waitcnt vmcnt(29)
	v_fmac_f32_e32 v127, v106, v157
	v_add_f32_e32 v121, v121, v126
	v_fma_f32 v94, v103, v156, -v94
	s_waitcnt vmcnt(28)
	;; [unrolled: 9-line block ×4, first 2 shown]
	v_fmac_f32_e32 v132, v116, v162
	v_add_f32_e32 v121, v121, v131
	v_add_f32_e32 v93, v93, v94
	v_mul_f32_e32 v94, v110, v147
	v_add_f32_e32 v125, v121, v132
	ds_read_b128 v[121:124], v92 offset:656
	v_fma_f32 v94, v109, v159, -v94
	s_waitcnt vmcnt(23) lgkmcnt(1)
	v_mul_f32_e32 v126, v117, v163
	v_add_f32_e32 v93, v93, v94
	v_mul_f32_e32 v94, v112, v148
	s_waitcnt vmcnt(22)
	v_fmac_f32_e32 v126, v118, v164
	v_fma_f32 v94, v111, v160, -v94
	v_add_f32_e32 v125, v125, v126
	s_waitcnt vmcnt(21)
	v_mul_f32_e32 v126, v119, v165
	v_add_f32_e32 v93, v93, v94
	v_mul_f32_e32 v94, v114, v149
	s_waitcnt vmcnt(20)
	v_fmac_f32_e32 v126, v120, v166
	v_fma_f32 v94, v113, v161, -v94
	v_add_f32_e32 v125, v125, v126
	s_waitcnt vmcnt(19) lgkmcnt(0)
	v_mul_f32_e32 v126, v121, v167
	v_add_f32_e32 v93, v93, v94
	v_mul_f32_e32 v94, v116, v150
	s_waitcnt vmcnt(18)
	v_fmac_f32_e32 v126, v122, v168
	v_fma_f32 v94, v115, v162, -v94
	v_add_f32_e32 v129, v125, v126
	ds_read_b128 v[125:128], v92 offset:672
	v_add_f32_e32 v93, v93, v94
	v_mul_f32_e32 v94, v118, v163
	v_fma_f32 v94, v117, v164, -v94
	s_waitcnt vmcnt(17)
	v_mul_f32_e32 v130, v123, v169
	v_add_f32_e32 v93, v93, v94
	v_mul_f32_e32 v94, v120, v165
	s_waitcnt vmcnt(16)
	v_fmac_f32_e32 v130, v124, v170
	v_fma_f32 v94, v119, v166, -v94
	v_add_f32_e32 v133, v129, v130
	ds_read_b128 v[129:132], v92 offset:688
	v_add_f32_e32 v93, v93, v94
	v_mul_f32_e32 v94, v122, v167
	s_waitcnt vmcnt(15) lgkmcnt(1)
	v_mul_f32_e32 v134, v125, v171
	v_fma_f32 v94, v121, v168, -v94
	s_waitcnt vmcnt(14)
	v_fmac_f32_e32 v134, v126, v172
	v_add_f32_e32 v93, v93, v94
	v_mul_f32_e32 v94, v124, v169
	v_add_f32_e32 v133, v133, v134
	s_waitcnt vmcnt(13)
	v_mul_f32_e32 v134, v127, v173
	v_fma_f32 v94, v123, v170, -v94
	s_waitcnt vmcnt(12)
	v_fmac_f32_e32 v134, v128, v174
	v_add_f32_e32 v93, v93, v94
	v_mul_f32_e32 v94, v126, v171
	v_add_f32_e32 v133, v133, v134
	s_waitcnt vmcnt(11) lgkmcnt(0)
	v_mul_f32_e32 v134, v129, v175
	v_fma_f32 v94, v125, v172, -v94
	s_waitcnt vmcnt(10)
	v_fmac_f32_e32 v134, v130, v176
	v_add_f32_e32 v93, v93, v94
	v_mul_f32_e32 v94, v128, v173
	v_add_f32_e32 v137, v133, v134
	ds_read_b128 v[133:136], v92 offset:704
	v_fma_f32 v94, v127, v174, -v94
	v_add_f32_e32 v93, v93, v94
	v_mul_f32_e32 v94, v130, v175
	s_waitcnt vmcnt(9)
	v_mul_f32_e32 v138, v131, v177
	v_fma_f32 v94, v129, v176, -v94
	s_waitcnt vmcnt(8)
	v_fmac_f32_e32 v138, v132, v178
	v_add_f32_e32 v93, v93, v94
	v_mul_f32_e32 v94, v132, v177
	v_add_f32_e32 v187, v137, v138
	ds_read_b64 v[137:138], v92 offset:720
	v_fma_f32 v94, v131, v178, -v94
	v_add_f32_e32 v93, v93, v94
	s_waitcnt vmcnt(6) lgkmcnt(1)
	v_mul_f32_e32 v94, v134, v180
	v_mul_f32_e32 v188, v133, v180
	v_fma_f32 v94, v133, v179, -v94
	v_fmac_f32_e32 v188, v134, v179
	v_add_f32_e32 v93, v93, v94
	s_waitcnt vmcnt(3)
	v_mul_f32_e32 v94, v136, v183
	v_add_f32_e32 v187, v187, v188
	v_mul_f32_e32 v188, v135, v183
	s_waitcnt vmcnt(2)
	v_fma_f32 v94, v135, v184, -v94
	v_fmac_f32_e32 v188, v136, v184
	v_add_f32_e32 v93, v93, v94
	s_waitcnt vmcnt(0) lgkmcnt(0)
	v_mul_f32_e32 v94, v138, v186
	v_add_f32_e32 v187, v187, v188
	v_mul_f32_e32 v188, v137, v186
	v_fma_f32 v94, v137, v185, -v94
	v_fmac_f32_e32 v188, v138, v185
	v_add_f32_e32 v93, v93, v94
	v_add_f32_e32 v187, v187, v188
	v_sub_f32_e32 v93, v181, v93
	v_sub_f32_e32 v94, v182, v187
	buffer_store_dword v93, off, s[0:3], 0 offset:168
	buffer_store_dword v94, off, s[0:3], 0 offset:172
	s_and_saveexec_b64 s[4:5], vcc
	s_cbranch_execz .LBB44_243
; %bb.242:
	buffer_load_dword v93, off, s[0:3], 0 offset:160
	buffer_load_dword v94, off, s[0:3], 0 offset:164
	s_waitcnt vmcnt(0)
	ds_write_b64 v91, v[93:94]
	buffer_store_dword v92, off, s[0:3], 0 offset:160
	buffer_store_dword v92, off, s[0:3], 0 offset:164
.LBB44_243:
	s_or_b64 exec, exec, s[4:5]
	s_waitcnt lgkmcnt(0)
	; wave barrier
	buffer_load_dword v141, off, s[0:3], 0 offset:172
	buffer_load_dword v142, off, s[0:3], 0 offset:180
	;; [unrolled: 1-line block ×48, first 2 shown]
	ds_read2_b64 v[93:96], v92 offset0:67 offset1:68
	ds_read2_b64 v[97:100], v92 offset0:69 offset1:70
	buffer_load_dword v189, off, s[0:3], 0 offset:352
	buffer_load_dword v190, off, s[0:3], 0 offset:356
	ds_read2_b64 v[101:104], v92 offset0:71 offset1:72
	ds_read2_b64 v[105:108], v92 offset0:73 offset1:74
	;; [unrolled: 1-line block ×5, first 2 shown]
	v_cmp_lt_u32_e32 vcc, 19, v0
	s_waitcnt vmcnt(49) lgkmcnt(6)
	v_mul_f32_e32 v121, v93, v141
	s_waitcnt vmcnt(48)
	v_mul_f32_e32 v122, v95, v142
	s_waitcnt vmcnt(47) lgkmcnt(5)
	v_mul_f32_e32 v123, v97, v143
	s_waitcnt vmcnt(46)
	v_mul_f32_e32 v124, v99, v144
	s_waitcnt vmcnt(45) lgkmcnt(4)
	v_mul_f32_e32 v125, v101, v145
	s_waitcnt vmcnt(44)
	v_mul_f32_e32 v126, v103, v146
	s_waitcnt vmcnt(43) lgkmcnt(3)
	v_mul_f32_e32 v127, v105, v147
	s_waitcnt vmcnt(42)
	v_mul_f32_e32 v128, v107, v148
	s_waitcnt vmcnt(41) lgkmcnt(2)
	v_mul_f32_e32 v129, v109, v149
	s_waitcnt vmcnt(40)
	v_mul_f32_e32 v130, v111, v150
	s_waitcnt vmcnt(39) lgkmcnt(1)
	v_mul_f32_e32 v131, v113, v151
	s_waitcnt vmcnt(38)
	v_mul_f32_e32 v132, v115, v152
	s_waitcnt vmcnt(37)
	v_fmac_f32_e32 v121, v94, v153
	v_mul_f32_e32 v94, v94, v141
	v_fma_f32 v93, v93, v153, -v94
	v_mul_f32_e32 v94, v96, v142
	v_add_f32_e32 v93, 0, v93
	s_waitcnt vmcnt(36)
	v_fma_f32 v94, v95, v154, -v94
	v_add_f32_e32 v93, v93, v94
	v_mul_f32_e32 v94, v98, v143
	s_waitcnt vmcnt(35)
	v_fma_f32 v94, v97, v155, -v94
	v_fmac_f32_e32 v122, v96, v154
	v_add_f32_e32 v121, 0, v121
	v_add_f32_e32 v93, v93, v94
	v_mul_f32_e32 v94, v100, v144
	v_fmac_f32_e32 v123, v98, v155
	v_add_f32_e32 v121, v121, v122
	s_waitcnt vmcnt(34)
	v_fma_f32 v94, v99, v156, -v94
	v_fmac_f32_e32 v124, v100, v156
	v_add_f32_e32 v121, v121, v123
	v_add_f32_e32 v93, v93, v94
	v_mul_f32_e32 v94, v102, v145
	s_waitcnt vmcnt(33)
	v_fmac_f32_e32 v125, v102, v157
	v_add_f32_e32 v121, v121, v124
	v_fma_f32 v94, v101, v157, -v94
	s_waitcnt vmcnt(32)
	v_fmac_f32_e32 v126, v104, v158
	v_add_f32_e32 v121, v121, v125
	v_add_f32_e32 v93, v93, v94
	v_mul_f32_e32 v94, v104, v146
	s_waitcnt vmcnt(31)
	v_fmac_f32_e32 v127, v106, v159
	v_add_f32_e32 v121, v121, v126
	v_fma_f32 v94, v103, v158, -v94
	s_waitcnt vmcnt(30)
	;; [unrolled: 9-line block ×3, first 2 shown]
	v_fmac_f32_e32 v130, v112, v162
	v_add_f32_e32 v121, v121, v129
	v_add_f32_e32 v93, v93, v94
	v_mul_f32_e32 v94, v108, v148
	s_waitcnt vmcnt(27)
	v_fmac_f32_e32 v131, v114, v163
	v_add_f32_e32 v121, v121, v130
	v_fma_f32 v94, v107, v160, -v94
	v_add_f32_e32 v121, v121, v131
	s_waitcnt vmcnt(26)
	v_fmac_f32_e32 v132, v116, v164
	v_add_f32_e32 v93, v93, v94
	v_mul_f32_e32 v94, v110, v149
	v_add_f32_e32 v125, v121, v132
	ds_read2_b64 v[121:124], v92 offset0:81 offset1:82
	v_fma_f32 v94, v109, v161, -v94
	s_waitcnt vmcnt(25) lgkmcnt(1)
	v_mul_f32_e32 v126, v117, v165
	v_add_f32_e32 v93, v93, v94
	v_mul_f32_e32 v94, v112, v150
	s_waitcnt vmcnt(24)
	v_fmac_f32_e32 v126, v118, v166
	v_fma_f32 v94, v111, v162, -v94
	v_add_f32_e32 v125, v125, v126
	s_waitcnt vmcnt(23)
	v_mul_f32_e32 v126, v119, v167
	v_add_f32_e32 v93, v93, v94
	v_mul_f32_e32 v94, v114, v151
	s_waitcnt vmcnt(22)
	v_fmac_f32_e32 v126, v120, v168
	v_fma_f32 v94, v113, v163, -v94
	v_add_f32_e32 v125, v125, v126
	s_waitcnt vmcnt(21) lgkmcnt(0)
	v_mul_f32_e32 v126, v121, v169
	v_add_f32_e32 v93, v93, v94
	v_mul_f32_e32 v94, v116, v152
	s_waitcnt vmcnt(20)
	v_fmac_f32_e32 v126, v122, v170
	v_fma_f32 v94, v115, v164, -v94
	v_add_f32_e32 v129, v125, v126
	ds_read2_b64 v[125:128], v92 offset0:83 offset1:84
	v_add_f32_e32 v93, v93, v94
	v_mul_f32_e32 v94, v118, v165
	v_fma_f32 v94, v117, v166, -v94
	s_waitcnt vmcnt(19)
	v_mul_f32_e32 v130, v123, v171
	v_add_f32_e32 v93, v93, v94
	v_mul_f32_e32 v94, v120, v167
	s_waitcnt vmcnt(18)
	v_fmac_f32_e32 v130, v124, v172
	v_fma_f32 v94, v119, v168, -v94
	v_add_f32_e32 v133, v129, v130
	ds_read2_b64 v[129:132], v92 offset0:85 offset1:86
	v_add_f32_e32 v93, v93, v94
	v_mul_f32_e32 v94, v122, v169
	s_waitcnt vmcnt(17) lgkmcnt(1)
	v_mul_f32_e32 v134, v125, v173
	v_fma_f32 v94, v121, v170, -v94
	s_waitcnt vmcnt(16)
	v_fmac_f32_e32 v134, v126, v174
	v_add_f32_e32 v93, v93, v94
	v_mul_f32_e32 v94, v124, v171
	v_add_f32_e32 v133, v133, v134
	s_waitcnt vmcnt(15)
	v_mul_f32_e32 v134, v127, v175
	v_fma_f32 v94, v123, v172, -v94
	s_waitcnt vmcnt(14)
	v_fmac_f32_e32 v134, v128, v176
	v_add_f32_e32 v93, v93, v94
	v_mul_f32_e32 v94, v126, v173
	v_add_f32_e32 v133, v133, v134
	s_waitcnt vmcnt(13) lgkmcnt(0)
	v_mul_f32_e32 v134, v129, v177
	v_fma_f32 v94, v125, v174, -v94
	s_waitcnt vmcnt(12)
	v_fmac_f32_e32 v134, v130, v178
	v_add_f32_e32 v93, v93, v94
	v_mul_f32_e32 v94, v128, v175
	v_add_f32_e32 v137, v133, v134
	ds_read2_b64 v[133:136], v92 offset0:87 offset1:88
	v_fma_f32 v94, v127, v176, -v94
	v_add_f32_e32 v93, v93, v94
	v_mul_f32_e32 v94, v130, v177
	s_waitcnt vmcnt(11)
	v_mul_f32_e32 v138, v131, v179
	v_fma_f32 v94, v129, v178, -v94
	s_waitcnt vmcnt(10)
	v_fmac_f32_e32 v138, v132, v180
	v_add_f32_e32 v93, v93, v94
	v_mul_f32_e32 v94, v132, v179
	v_add_f32_e32 v191, v137, v138
	ds_read2_b64 v[137:140], v92 offset0:89 offset1:90
	v_fma_f32 v94, v131, v180, -v94
	v_add_f32_e32 v93, v93, v94
	s_waitcnt vmcnt(7) lgkmcnt(1)
	v_mul_f32_e32 v94, v134, v183
	v_mul_f32_e32 v92, v133, v183
	s_waitcnt vmcnt(6)
	v_fma_f32 v94, v133, v184, -v94
	v_fmac_f32_e32 v92, v134, v184
	v_add_f32_e32 v93, v93, v94
	s_waitcnt vmcnt(4)
	v_mul_f32_e32 v94, v136, v186
	v_add_f32_e32 v92, v191, v92
	v_mul_f32_e32 v191, v135, v186
	v_fma_f32 v94, v135, v185, -v94
	v_fmac_f32_e32 v191, v136, v185
	v_add_f32_e32 v93, v93, v94
	s_waitcnt vmcnt(2) lgkmcnt(0)
	v_mul_f32_e32 v94, v138, v188
	v_add_f32_e32 v92, v92, v191
	v_mul_f32_e32 v191, v137, v188
	v_fma_f32 v94, v137, v187, -v94
	v_fmac_f32_e32 v191, v138, v187
	v_add_f32_e32 v93, v93, v94
	s_waitcnt vmcnt(0)
	v_mul_f32_e32 v94, v140, v190
	v_add_f32_e32 v92, v92, v191
	v_mul_f32_e32 v191, v139, v190
	v_fma_f32 v94, v139, v189, -v94
	v_fmac_f32_e32 v191, v140, v189
	v_add_f32_e32 v93, v93, v94
	v_add_f32_e32 v92, v92, v191
	v_sub_f32_e32 v93, v181, v93
	v_sub_f32_e32 v92, v182, v92
	buffer_store_dword v93, off, s[0:3], 0 offset:160
	buffer_store_dword v92, off, s[0:3], 0 offset:164
	s_and_saveexec_b64 s[4:5], vcc
	s_cbranch_execz .LBB44_245
; %bb.244:
	buffer_load_dword v92, off, s[0:3], 0 offset:152
	buffer_load_dword v93, off, s[0:3], 0 offset:156
	v_mov_b32_e32 v94, 0
	buffer_store_dword v94, off, s[0:3], 0 offset:152
	buffer_store_dword v94, off, s[0:3], 0 offset:156
	s_waitcnt vmcnt(2)
	ds_write_b64 v91, v[92:93]
.LBB44_245:
	s_or_b64 exec, exec, s[4:5]
	s_waitcnt lgkmcnt(0)
	; wave barrier
	buffer_load_dword v143, off, s[0:3], 0 offset:164
	buffer_load_dword v144, off, s[0:3], 0 offset:172
	;; [unrolled: 1-line block ×52, first 2 shown]
	v_mov_b32_e32 v92, 0
	ds_read_b128 v[93:96], v92 offset:528
	ds_read_b128 v[97:100], v92 offset:544
	;; [unrolled: 1-line block ×6, first 2 shown]
	v_cmp_lt_u32_e32 vcc, 18, v0
	s_waitcnt vmcnt(51) lgkmcnt(5)
	v_mul_f32_e32 v117, v93, v143
	s_waitcnt vmcnt(50)
	v_mul_f32_e32 v118, v95, v144
	s_waitcnt vmcnt(49) lgkmcnt(4)
	v_mul_f32_e32 v119, v97, v145
	s_waitcnt vmcnt(48)
	v_mul_f32_e32 v120, v99, v146
	s_waitcnt vmcnt(47) lgkmcnt(3)
	v_mul_f32_e32 v121, v101, v147
	s_waitcnt vmcnt(46)
	v_mul_f32_e32 v122, v103, v148
	s_waitcnt vmcnt(45) lgkmcnt(2)
	v_mul_f32_e32 v123, v105, v149
	s_waitcnt vmcnt(44)
	v_mul_f32_e32 v124, v107, v150
	s_waitcnt vmcnt(43) lgkmcnt(1)
	v_mul_f32_e32 v125, v109, v151
	s_waitcnt vmcnt(42)
	v_mul_f32_e32 v126, v111, v152
	s_waitcnt vmcnt(41) lgkmcnt(0)
	v_mul_f32_e32 v127, v113, v153
	s_waitcnt vmcnt(40)
	v_fmac_f32_e32 v117, v94, v154
	v_mul_f32_e32 v94, v94, v143
	s_waitcnt vmcnt(39)
	v_fmac_f32_e32 v118, v96, v155
	v_add_f32_e32 v117, 0, v117
	v_fma_f32 v93, v93, v154, -v94
	v_mul_f32_e32 v94, v96, v144
	s_waitcnt vmcnt(38)
	v_fmac_f32_e32 v119, v98, v156
	v_add_f32_e32 v117, v117, v118
	v_add_f32_e32 v93, 0, v93
	v_fma_f32 v94, v95, v155, -v94
	s_waitcnt vmcnt(37)
	v_fmac_f32_e32 v120, v100, v157
	v_add_f32_e32 v117, v117, v119
	v_add_f32_e32 v93, v93, v94
	v_mul_f32_e32 v94, v98, v145
	s_waitcnt vmcnt(36)
	v_fmac_f32_e32 v121, v102, v158
	v_add_f32_e32 v117, v117, v120
	v_fma_f32 v94, v97, v156, -v94
	s_waitcnt vmcnt(35)
	v_fmac_f32_e32 v122, v104, v159
	v_add_f32_e32 v117, v117, v121
	v_add_f32_e32 v93, v93, v94
	v_mul_f32_e32 v94, v100, v146
	s_waitcnt vmcnt(34)
	v_fmac_f32_e32 v123, v106, v160
	;; [unrolled: 9-line block ×3, first 2 shown]
	v_add_f32_e32 v117, v117, v124
	v_fma_f32 v94, v101, v158, -v94
	s_waitcnt vmcnt(31)
	v_fmac_f32_e32 v126, v112, v163
	v_add_f32_e32 v117, v117, v125
	v_add_f32_e32 v93, v93, v94
	v_mul_f32_e32 v94, v104, v148
	v_add_f32_e32 v117, v117, v126
	s_waitcnt vmcnt(30)
	v_fmac_f32_e32 v127, v114, v164
	v_fma_f32 v94, v103, v159, -v94
	v_add_f32_e32 v121, v117, v127
	ds_read_b128 v[117:120], v92 offset:624
	v_add_f32_e32 v93, v93, v94
	v_mul_f32_e32 v94, v106, v149
	v_fma_f32 v94, v105, v160, -v94
	s_waitcnt vmcnt(29)
	v_mul_f32_e32 v122, v115, v165
	v_add_f32_e32 v93, v93, v94
	v_mul_f32_e32 v94, v108, v150
	s_waitcnt vmcnt(28)
	v_fmac_f32_e32 v122, v116, v166
	v_fma_f32 v94, v107, v161, -v94
	v_add_f32_e32 v125, v121, v122
	ds_read_b128 v[121:124], v92 offset:640
	v_add_f32_e32 v93, v93, v94
	v_mul_f32_e32 v94, v110, v151
	s_waitcnt vmcnt(27) lgkmcnt(1)
	v_mul_f32_e32 v126, v117, v167
	v_fma_f32 v94, v109, v162, -v94
	s_waitcnt vmcnt(26)
	v_fmac_f32_e32 v126, v118, v168
	v_add_f32_e32 v93, v93, v94
	v_mul_f32_e32 v94, v112, v152
	v_add_f32_e32 v125, v125, v126
	s_waitcnt vmcnt(25)
	v_mul_f32_e32 v126, v119, v169
	v_fma_f32 v94, v111, v163, -v94
	s_waitcnt vmcnt(24)
	v_fmac_f32_e32 v126, v120, v170
	v_add_f32_e32 v93, v93, v94
	v_mul_f32_e32 v94, v114, v153
	v_add_f32_e32 v125, v125, v126
	s_waitcnt vmcnt(23) lgkmcnt(0)
	v_mul_f32_e32 v126, v121, v171
	v_fma_f32 v94, v113, v164, -v94
	s_waitcnt vmcnt(22)
	v_fmac_f32_e32 v126, v122, v172
	v_add_f32_e32 v93, v93, v94
	v_mul_f32_e32 v94, v116, v165
	v_add_f32_e32 v129, v125, v126
	ds_read_b128 v[125:128], v92 offset:656
	v_fma_f32 v94, v115, v166, -v94
	v_add_f32_e32 v93, v93, v94
	v_mul_f32_e32 v94, v118, v167
	s_waitcnt vmcnt(21)
	v_mul_f32_e32 v130, v123, v173
	v_fma_f32 v94, v117, v168, -v94
	s_waitcnt vmcnt(20)
	v_fmac_f32_e32 v130, v124, v174
	v_add_f32_e32 v93, v93, v94
	v_mul_f32_e32 v94, v120, v169
	v_add_f32_e32 v133, v129, v130
	ds_read_b128 v[129:132], v92 offset:672
	v_fma_f32 v94, v119, v170, -v94
	s_waitcnt vmcnt(19) lgkmcnt(1)
	v_mul_f32_e32 v134, v125, v175
	v_add_f32_e32 v93, v93, v94
	v_mul_f32_e32 v94, v122, v171
	s_waitcnt vmcnt(18)
	v_fmac_f32_e32 v134, v126, v176
	v_fma_f32 v94, v121, v172, -v94
	v_add_f32_e32 v133, v133, v134
	s_waitcnt vmcnt(17)
	v_mul_f32_e32 v134, v127, v177
	v_add_f32_e32 v93, v93, v94
	v_mul_f32_e32 v94, v124, v173
	s_waitcnt vmcnt(16)
	v_fmac_f32_e32 v134, v128, v178
	v_fma_f32 v94, v123, v174, -v94
	v_add_f32_e32 v133, v133, v134
	s_waitcnt vmcnt(14) lgkmcnt(0)
	v_mul_f32_e32 v134, v129, v180
	v_add_f32_e32 v93, v93, v94
	v_mul_f32_e32 v94, v126, v175
	v_fmac_f32_e32 v134, v130, v179
	v_fma_f32 v94, v125, v176, -v94
	v_add_f32_e32 v137, v133, v134
	ds_read_b128 v[133:136], v92 offset:688
	v_add_f32_e32 v93, v93, v94
	v_mul_f32_e32 v94, v128, v177
	v_fma_f32 v94, v127, v178, -v94
	v_add_f32_e32 v93, v93, v94
	v_mul_f32_e32 v94, v130, v180
	s_waitcnt vmcnt(11)
	v_mul_f32_e32 v138, v131, v183
	v_fma_f32 v94, v129, v179, -v94
	s_waitcnt vmcnt(10)
	v_fmac_f32_e32 v138, v132, v184
	v_add_f32_e32 v93, v93, v94
	v_mul_f32_e32 v94, v132, v183
	v_add_f32_e32 v141, v137, v138
	ds_read_b128 v[137:140], v92 offset:704
	s_waitcnt vmcnt(8) lgkmcnt(1)
	v_mul_f32_e32 v142, v133, v186
	v_fma_f32 v94, v131, v184, -v94
	v_fmac_f32_e32 v142, v134, v185
	v_add_f32_e32 v93, v93, v94
	v_mul_f32_e32 v94, v134, v186
	v_add_f32_e32 v141, v141, v142
	s_waitcnt vmcnt(6)
	v_mul_f32_e32 v142, v135, v188
	v_fma_f32 v94, v133, v185, -v94
	v_fmac_f32_e32 v142, v136, v187
	v_add_f32_e32 v93, v93, v94
	v_mul_f32_e32 v94, v136, v188
	v_add_f32_e32 v195, v141, v142
	ds_read_b64 v[141:142], v92 offset:720
	v_fma_f32 v94, v135, v187, -v94
	v_add_f32_e32 v93, v93, v94
	s_waitcnt vmcnt(4) lgkmcnt(1)
	v_mul_f32_e32 v94, v138, v190
	v_mul_f32_e32 v196, v137, v190
	v_fma_f32 v94, v137, v189, -v94
	v_fmac_f32_e32 v196, v138, v189
	v_add_f32_e32 v93, v93, v94
	s_waitcnt vmcnt(2)
	v_mul_f32_e32 v94, v140, v192
	v_add_f32_e32 v195, v195, v196
	v_mul_f32_e32 v196, v139, v192
	v_fma_f32 v94, v139, v191, -v94
	v_fmac_f32_e32 v196, v140, v191
	v_add_f32_e32 v93, v93, v94
	s_waitcnt vmcnt(0) lgkmcnt(0)
	v_mul_f32_e32 v94, v142, v194
	v_add_f32_e32 v195, v195, v196
	v_mul_f32_e32 v196, v141, v194
	v_fma_f32 v94, v141, v193, -v94
	v_fmac_f32_e32 v196, v142, v193
	v_add_f32_e32 v93, v93, v94
	v_add_f32_e32 v195, v195, v196
	v_sub_f32_e32 v93, v181, v93
	v_sub_f32_e32 v94, v182, v195
	buffer_store_dword v93, off, s[0:3], 0 offset:152
	buffer_store_dword v94, off, s[0:3], 0 offset:156
	s_and_saveexec_b64 s[4:5], vcc
	s_cbranch_execz .LBB44_247
; %bb.246:
	buffer_load_dword v93, off, s[0:3], 0 offset:144
	buffer_load_dword v94, off, s[0:3], 0 offset:148
	s_waitcnt vmcnt(0)
	ds_write_b64 v91, v[93:94]
	buffer_store_dword v92, off, s[0:3], 0 offset:144
	buffer_store_dword v92, off, s[0:3], 0 offset:148
.LBB44_247:
	s_or_b64 exec, exec, s[4:5]
	s_waitcnt lgkmcnt(0)
	; wave barrier
	buffer_load_dword v145, off, s[0:3], 0 offset:156
	buffer_load_dword v146, off, s[0:3], 0 offset:164
	;; [unrolled: 1-line block ×42, first 2 shown]
	ds_read2_b64 v[93:96], v92 offset0:65 offset1:66
	ds_read2_b64 v[97:100], v92 offset0:67 offset1:68
	;; [unrolled: 1-line block ×4, first 2 shown]
	buffer_load_dword v187, off, s[0:3], 0 offset:316
	buffer_load_dword v188, off, s[0:3], 0 offset:312
	;; [unrolled: 1-line block ×6, first 2 shown]
	ds_read2_b64 v[109:112], v92 offset0:73 offset1:74
	ds_read2_b64 v[113:116], v92 offset0:75 offset1:76
	buffer_load_dword v193, off, s[0:3], 0 offset:336
	buffer_load_dword v194, off, s[0:3], 0 offset:340
	buffer_load_dword v195, off, s[0:3], 0 offset:344
	buffer_load_dword v196, off, s[0:3], 0 offset:348
	buffer_load_dword v197, off, s[0:3], 0 offset:352
	buffer_load_dword v198, off, s[0:3], 0 offset:356
	v_cmp_lt_u32_e32 vcc, 17, v0
	s_waitcnt vmcnt(53) lgkmcnt(5)
	v_mul_f32_e32 v117, v93, v145
	s_waitcnt vmcnt(52)
	v_mul_f32_e32 v118, v95, v146
	s_waitcnt vmcnt(51) lgkmcnt(4)
	v_mul_f32_e32 v119, v97, v147
	s_waitcnt vmcnt(50)
	v_mul_f32_e32 v120, v99, v148
	;; [unrolled: 4-line block ×5, first 2 shown]
	s_waitcnt vmcnt(43)
	v_fmac_f32_e32 v117, v94, v155
	v_mul_f32_e32 v94, v94, v145
	s_waitcnt vmcnt(42)
	v_fmac_f32_e32 v118, v96, v156
	v_add_f32_e32 v117, 0, v117
	v_fma_f32 v93, v93, v155, -v94
	v_mul_f32_e32 v94, v96, v146
	s_waitcnt vmcnt(41)
	v_fmac_f32_e32 v119, v98, v157
	v_add_f32_e32 v117, v117, v118
	v_add_f32_e32 v93, 0, v93
	v_fma_f32 v94, v95, v156, -v94
	s_waitcnt vmcnt(40)
	v_fmac_f32_e32 v120, v100, v158
	v_add_f32_e32 v117, v117, v119
	v_add_f32_e32 v93, v93, v94
	v_mul_f32_e32 v94, v98, v147
	s_waitcnt vmcnt(39)
	v_fmac_f32_e32 v121, v102, v159
	v_add_f32_e32 v117, v117, v120
	v_fma_f32 v94, v97, v157, -v94
	s_waitcnt vmcnt(38)
	v_fmac_f32_e32 v122, v104, v160
	v_add_f32_e32 v117, v117, v121
	v_add_f32_e32 v93, v93, v94
	v_mul_f32_e32 v94, v100, v148
	s_waitcnt vmcnt(37)
	v_fmac_f32_e32 v123, v106, v161
	;; [unrolled: 9-line block ×3, first 2 shown]
	v_add_f32_e32 v117, v117, v124
	v_fma_f32 v94, v101, v159, -v94
	s_waitcnt vmcnt(34)
	v_fmac_f32_e32 v126, v112, v164
	v_add_f32_e32 v117, v117, v125
	s_waitcnt vmcnt(33) lgkmcnt(0)
	v_mul_f32_e32 v118, v113, v165
	v_add_f32_e32 v93, v93, v94
	v_mul_f32_e32 v94, v104, v150
	v_add_f32_e32 v117, v117, v126
	s_waitcnt vmcnt(32)
	v_fmac_f32_e32 v118, v114, v166
	v_fma_f32 v94, v103, v160, -v94
	v_add_f32_e32 v121, v117, v118
	ds_read2_b64 v[117:120], v92 offset0:77 offset1:78
	v_add_f32_e32 v93, v93, v94
	v_mul_f32_e32 v94, v106, v151
	v_fma_f32 v94, v105, v161, -v94
	s_waitcnt vmcnt(31)
	v_mul_f32_e32 v122, v115, v167
	v_add_f32_e32 v93, v93, v94
	v_mul_f32_e32 v94, v108, v152
	s_waitcnt vmcnt(30)
	v_fmac_f32_e32 v122, v116, v168
	v_fma_f32 v94, v107, v162, -v94
	v_add_f32_e32 v125, v121, v122
	ds_read2_b64 v[121:124], v92 offset0:79 offset1:80
	v_add_f32_e32 v93, v93, v94
	v_mul_f32_e32 v94, v110, v153
	s_waitcnt vmcnt(29) lgkmcnt(1)
	v_mul_f32_e32 v126, v117, v169
	v_fma_f32 v94, v109, v163, -v94
	s_waitcnt vmcnt(28)
	v_fmac_f32_e32 v126, v118, v170
	v_add_f32_e32 v93, v93, v94
	v_mul_f32_e32 v94, v112, v154
	v_add_f32_e32 v125, v125, v126
	s_waitcnt vmcnt(27)
	v_mul_f32_e32 v126, v119, v171
	v_fma_f32 v94, v111, v164, -v94
	s_waitcnt vmcnt(26)
	v_fmac_f32_e32 v126, v120, v172
	v_add_f32_e32 v93, v93, v94
	v_mul_f32_e32 v94, v114, v165
	v_add_f32_e32 v125, v125, v126
	s_waitcnt vmcnt(25) lgkmcnt(0)
	v_mul_f32_e32 v126, v121, v173
	v_fma_f32 v94, v113, v166, -v94
	s_waitcnt vmcnt(24)
	v_fmac_f32_e32 v126, v122, v174
	v_add_f32_e32 v93, v93, v94
	v_mul_f32_e32 v94, v116, v167
	v_add_f32_e32 v129, v125, v126
	ds_read2_b64 v[125:128], v92 offset0:81 offset1:82
	v_fma_f32 v94, v115, v168, -v94
	v_add_f32_e32 v93, v93, v94
	v_mul_f32_e32 v94, v118, v169
	s_waitcnt vmcnt(23)
	v_mul_f32_e32 v130, v123, v175
	v_fma_f32 v94, v117, v170, -v94
	s_waitcnt vmcnt(22)
	v_fmac_f32_e32 v130, v124, v176
	v_add_f32_e32 v93, v93, v94
	v_mul_f32_e32 v94, v120, v171
	v_add_f32_e32 v133, v129, v130
	ds_read2_b64 v[129:132], v92 offset0:83 offset1:84
	v_fma_f32 v94, v119, v172, -v94
	s_waitcnt vmcnt(21) lgkmcnt(1)
	v_mul_f32_e32 v134, v125, v177
	v_add_f32_e32 v93, v93, v94
	v_mul_f32_e32 v94, v122, v173
	s_waitcnt vmcnt(20)
	v_fmac_f32_e32 v134, v126, v178
	v_fma_f32 v94, v121, v174, -v94
	v_add_f32_e32 v133, v133, v134
	s_waitcnt vmcnt(18)
	v_mul_f32_e32 v134, v127, v180
	v_add_f32_e32 v93, v93, v94
	v_mul_f32_e32 v94, v124, v175
	v_fmac_f32_e32 v134, v128, v179
	v_fma_f32 v94, v123, v176, -v94
	v_add_f32_e32 v133, v133, v134
	s_waitcnt vmcnt(15) lgkmcnt(0)
	v_mul_f32_e32 v134, v129, v183
	v_add_f32_e32 v93, v93, v94
	v_mul_f32_e32 v94, v126, v177
	s_waitcnt vmcnt(14)
	v_fmac_f32_e32 v134, v130, v184
	v_fma_f32 v94, v125, v178, -v94
	v_add_f32_e32 v137, v133, v134
	ds_read2_b64 v[133:136], v92 offset0:85 offset1:86
	v_add_f32_e32 v93, v93, v94
	v_mul_f32_e32 v94, v128, v180
	v_fma_f32 v94, v127, v179, -v94
	v_add_f32_e32 v93, v93, v94
	v_mul_f32_e32 v94, v130, v183
	s_waitcnt vmcnt(12)
	v_mul_f32_e32 v138, v131, v186
	v_fma_f32 v94, v129, v184, -v94
	v_fmac_f32_e32 v138, v132, v185
	v_add_f32_e32 v93, v93, v94
	v_mul_f32_e32 v94, v132, v186
	v_add_f32_e32 v141, v137, v138
	ds_read2_b64 v[137:140], v92 offset0:87 offset1:88
	s_waitcnt vmcnt(11) lgkmcnt(1)
	v_mul_f32_e32 v142, v133, v187
	v_fma_f32 v94, v131, v185, -v94
	s_waitcnt vmcnt(10)
	v_fmac_f32_e32 v142, v134, v188
	v_add_f32_e32 v93, v93, v94
	v_mul_f32_e32 v94, v134, v187
	v_add_f32_e32 v141, v141, v142
	s_waitcnt vmcnt(8)
	v_mul_f32_e32 v142, v135, v190
	v_fma_f32 v94, v133, v188, -v94
	v_fmac_f32_e32 v142, v136, v189
	v_add_f32_e32 v93, v93, v94
	v_mul_f32_e32 v94, v136, v190
	v_add_f32_e32 v199, v141, v142
	ds_read2_b64 v[141:144], v92 offset0:89 offset1:90
	v_fma_f32 v94, v135, v189, -v94
	v_add_f32_e32 v93, v93, v94
	s_waitcnt vmcnt(6) lgkmcnt(1)
	v_mul_f32_e32 v94, v138, v192
	v_mul_f32_e32 v200, v137, v192
	v_fma_f32 v94, v137, v191, -v94
	v_fmac_f32_e32 v200, v138, v191
	v_add_f32_e32 v93, v93, v94
	s_waitcnt vmcnt(4)
	v_mul_f32_e32 v94, v140, v194
	v_add_f32_e32 v92, v199, v200
	v_mul_f32_e32 v199, v139, v194
	v_fma_f32 v94, v139, v193, -v94
	v_fmac_f32_e32 v199, v140, v193
	v_add_f32_e32 v93, v93, v94
	s_waitcnt vmcnt(2) lgkmcnt(0)
	v_mul_f32_e32 v94, v142, v196
	v_add_f32_e32 v92, v92, v199
	v_mul_f32_e32 v199, v141, v196
	v_fma_f32 v94, v141, v195, -v94
	v_fmac_f32_e32 v199, v142, v195
	v_add_f32_e32 v93, v93, v94
	s_waitcnt vmcnt(0)
	v_mul_f32_e32 v94, v144, v198
	v_add_f32_e32 v92, v92, v199
	v_mul_f32_e32 v199, v143, v198
	v_fma_f32 v94, v143, v197, -v94
	v_fmac_f32_e32 v199, v144, v197
	v_add_f32_e32 v93, v93, v94
	v_add_f32_e32 v92, v92, v199
	v_sub_f32_e32 v93, v181, v93
	v_sub_f32_e32 v92, v182, v92
	buffer_store_dword v93, off, s[0:3], 0 offset:144
	buffer_store_dword v92, off, s[0:3], 0 offset:148
	s_and_saveexec_b64 s[4:5], vcc
	s_cbranch_execz .LBB44_249
; %bb.248:
	buffer_load_dword v92, off, s[0:3], 0 offset:136
	buffer_load_dword v93, off, s[0:3], 0 offset:140
	v_mov_b32_e32 v94, 0
	buffer_store_dword v94, off, s[0:3], 0 offset:136
	buffer_store_dword v94, off, s[0:3], 0 offset:140
	s_waitcnt vmcnt(2)
	ds_write_b64 v91, v[92:93]
.LBB44_249:
	s_or_b64 exec, exec, s[4:5]
	s_waitcnt lgkmcnt(0)
	; wave barrier
	buffer_load_dword v147, off, s[0:3], 0 offset:148
	buffer_load_dword v148, off, s[0:3], 0 offset:156
	;; [unrolled: 1-line block ×56, first 2 shown]
	v_mov_b32_e32 v92, 0
	ds_read_b128 v[93:96], v92 offset:512
	ds_read_b128 v[97:100], v92 offset:528
	;; [unrolled: 1-line block ×6, first 2 shown]
	v_cmp_lt_u32_e32 vcc, 16, v0
	s_waitcnt vmcnt(55) lgkmcnt(5)
	v_mul_f32_e32 v117, v93, v147
	s_waitcnt vmcnt(54)
	v_mul_f32_e32 v118, v95, v148
	s_waitcnt vmcnt(53) lgkmcnt(4)
	v_mul_f32_e32 v119, v97, v149
	s_waitcnt vmcnt(52)
	v_mul_f32_e32 v120, v99, v150
	;; [unrolled: 4-line block ×4, first 2 shown]
	s_waitcnt vmcnt(47) lgkmcnt(1)
	v_mul_f32_e32 v125, v109, v155
	s_waitcnt vmcnt(46)
	v_fmac_f32_e32 v117, v94, v156
	s_waitcnt vmcnt(45)
	v_fmac_f32_e32 v118, v96, v157
	v_add_f32_e32 v117, 0, v117
	s_waitcnt vmcnt(44)
	v_fmac_f32_e32 v119, v98, v158
	v_add_f32_e32 v117, v117, v118
	;; [unrolled: 3-line block ×3, first 2 shown]
	v_mul_f32_e32 v94, v94, v147
	s_waitcnt vmcnt(42)
	v_fmac_f32_e32 v121, v102, v160
	v_add_f32_e32 v117, v117, v120
	v_fma_f32 v93, v93, v156, -v94
	v_mul_f32_e32 v94, v96, v148
	s_waitcnt vmcnt(41)
	v_fmac_f32_e32 v122, v104, v161
	v_add_f32_e32 v117, v117, v121
	v_add_f32_e32 v93, 0, v93
	v_fma_f32 v94, v95, v157, -v94
	s_waitcnt vmcnt(40)
	v_fmac_f32_e32 v123, v106, v162
	v_add_f32_e32 v117, v117, v122
	v_add_f32_e32 v93, v93, v94
	v_mul_f32_e32 v94, v98, v149
	s_waitcnt vmcnt(39)
	v_fmac_f32_e32 v124, v108, v163
	v_add_f32_e32 v117, v117, v123
	v_fma_f32 v94, v97, v158, -v94
	v_add_f32_e32 v117, v117, v124
	s_waitcnt vmcnt(38)
	v_fmac_f32_e32 v125, v110, v164
	s_waitcnt vmcnt(37)
	v_mul_f32_e32 v118, v111, v165
	v_add_f32_e32 v93, v93, v94
	v_mul_f32_e32 v94, v100, v150
	v_add_f32_e32 v117, v117, v125
	s_waitcnt vmcnt(36)
	v_fmac_f32_e32 v118, v112, v166
	v_fma_f32 v94, v99, v159, -v94
	v_add_f32_e32 v117, v117, v118
	s_waitcnt vmcnt(35) lgkmcnt(0)
	v_mul_f32_e32 v118, v113, v167
	v_add_f32_e32 v93, v93, v94
	v_mul_f32_e32 v94, v102, v151
	s_waitcnt vmcnt(34)
	v_fmac_f32_e32 v118, v114, v168
	v_fma_f32 v94, v101, v160, -v94
	v_add_f32_e32 v121, v117, v118
	ds_read_b128 v[117:120], v92 offset:608
	v_add_f32_e32 v93, v93, v94
	v_mul_f32_e32 v94, v104, v152
	v_fma_f32 v94, v103, v161, -v94
	s_waitcnt vmcnt(33)
	v_mul_f32_e32 v122, v115, v169
	v_add_f32_e32 v93, v93, v94
	v_mul_f32_e32 v94, v106, v153
	s_waitcnt vmcnt(32)
	v_fmac_f32_e32 v122, v116, v170
	v_fma_f32 v94, v105, v162, -v94
	v_add_f32_e32 v125, v121, v122
	ds_read_b128 v[121:124], v92 offset:624
	v_add_f32_e32 v93, v93, v94
	v_mul_f32_e32 v94, v108, v154
	s_waitcnt vmcnt(31) lgkmcnt(1)
	v_mul_f32_e32 v126, v117, v171
	v_fma_f32 v94, v107, v163, -v94
	s_waitcnt vmcnt(30)
	v_fmac_f32_e32 v126, v118, v172
	v_add_f32_e32 v93, v93, v94
	v_mul_f32_e32 v94, v110, v155
	v_add_f32_e32 v125, v125, v126
	s_waitcnt vmcnt(29)
	v_mul_f32_e32 v126, v119, v173
	v_fma_f32 v94, v109, v164, -v94
	s_waitcnt vmcnt(28)
	v_fmac_f32_e32 v126, v120, v174
	v_add_f32_e32 v93, v93, v94
	v_mul_f32_e32 v94, v112, v165
	v_add_f32_e32 v125, v125, v126
	s_waitcnt vmcnt(27) lgkmcnt(0)
	v_mul_f32_e32 v126, v121, v175
	v_fma_f32 v94, v111, v166, -v94
	s_waitcnt vmcnt(26)
	v_fmac_f32_e32 v126, v122, v176
	v_add_f32_e32 v93, v93, v94
	v_mul_f32_e32 v94, v114, v167
	v_add_f32_e32 v129, v125, v126
	ds_read_b128 v[125:128], v92 offset:640
	v_fma_f32 v94, v113, v168, -v94
	v_add_f32_e32 v93, v93, v94
	v_mul_f32_e32 v94, v116, v169
	s_waitcnt vmcnt(24)
	v_mul_f32_e32 v130, v123, v178
	v_fma_f32 v94, v115, v170, -v94
	v_fmac_f32_e32 v130, v124, v177
	v_add_f32_e32 v93, v93, v94
	v_mul_f32_e32 v94, v118, v171
	v_add_f32_e32 v133, v129, v130
	ds_read_b128 v[129:132], v92 offset:656
	v_fma_f32 v94, v117, v172, -v94
	s_waitcnt vmcnt(21) lgkmcnt(1)
	v_mul_f32_e32 v134, v125, v181
	v_add_f32_e32 v93, v93, v94
	v_mul_f32_e32 v94, v120, v173
	s_waitcnt vmcnt(20)
	v_fmac_f32_e32 v134, v126, v182
	v_fma_f32 v94, v119, v174, -v94
	v_add_f32_e32 v133, v133, v134
	s_waitcnt vmcnt(18)
	v_mul_f32_e32 v134, v127, v184
	v_add_f32_e32 v93, v93, v94
	v_mul_f32_e32 v94, v122, v175
	v_fmac_f32_e32 v134, v128, v183
	v_fma_f32 v94, v121, v176, -v94
	v_add_f32_e32 v133, v133, v134
	s_waitcnt vmcnt(16) lgkmcnt(0)
	v_mul_f32_e32 v134, v129, v186
	v_add_f32_e32 v93, v93, v94
	v_mul_f32_e32 v94, v124, v178
	v_fmac_f32_e32 v134, v130, v185
	v_fma_f32 v94, v123, v177, -v94
	v_add_f32_e32 v137, v133, v134
	ds_read_b128 v[133:136], v92 offset:672
	v_add_f32_e32 v93, v93, v94
	v_mul_f32_e32 v94, v126, v181
	v_fma_f32 v94, v125, v182, -v94
	s_waitcnt vmcnt(14)
	v_mul_f32_e32 v138, v131, v188
	v_add_f32_e32 v93, v93, v94
	v_mul_f32_e32 v94, v128, v184
	v_fmac_f32_e32 v138, v132, v187
	v_fma_f32 v94, v127, v183, -v94
	v_add_f32_e32 v141, v137, v138
	ds_read_b128 v[137:140], v92 offset:688
	v_add_f32_e32 v93, v93, v94
	v_mul_f32_e32 v94, v130, v186
	s_waitcnt vmcnt(12) lgkmcnt(1)
	v_mul_f32_e32 v142, v133, v190
	v_fma_f32 v94, v129, v185, -v94
	v_fmac_f32_e32 v142, v134, v189
	v_add_f32_e32 v93, v93, v94
	v_mul_f32_e32 v94, v132, v188
	v_add_f32_e32 v141, v141, v142
	s_waitcnt vmcnt(10)
	v_mul_f32_e32 v142, v135, v192
	v_fma_f32 v94, v131, v187, -v94
	v_fmac_f32_e32 v142, v136, v191
	v_add_f32_e32 v93, v93, v94
	v_mul_f32_e32 v94, v134, v190
	v_add_f32_e32 v141, v141, v142
	s_waitcnt vmcnt(8) lgkmcnt(0)
	v_mul_f32_e32 v142, v137, v194
	v_fma_f32 v94, v133, v189, -v94
	v_fmac_f32_e32 v142, v138, v193
	v_add_f32_e32 v93, v93, v94
	v_mul_f32_e32 v94, v136, v192
	v_add_f32_e32 v145, v141, v142
	ds_read_b128 v[141:144], v92 offset:704
	v_fma_f32 v94, v135, v191, -v94
	v_add_f32_e32 v93, v93, v94
	v_mul_f32_e32 v94, v138, v194
	s_waitcnt vmcnt(6)
	v_mul_f32_e32 v146, v139, v196
	v_fma_f32 v94, v137, v193, -v94
	v_fmac_f32_e32 v146, v140, v195
	v_add_f32_e32 v93, v93, v94
	v_mul_f32_e32 v94, v140, v196
	v_add_f32_e32 v203, v145, v146
	ds_read_b64 v[145:146], v92 offset:720
	v_fma_f32 v94, v139, v195, -v94
	v_add_f32_e32 v93, v93, v94
	s_waitcnt vmcnt(4) lgkmcnt(1)
	v_mul_f32_e32 v94, v142, v198
	v_mul_f32_e32 v204, v141, v198
	v_fma_f32 v94, v141, v197, -v94
	v_fmac_f32_e32 v204, v142, v197
	v_add_f32_e32 v93, v93, v94
	s_waitcnt vmcnt(2)
	v_mul_f32_e32 v94, v144, v200
	v_add_f32_e32 v203, v203, v204
	v_mul_f32_e32 v204, v143, v200
	v_fma_f32 v94, v143, v199, -v94
	v_fmac_f32_e32 v204, v144, v199
	v_add_f32_e32 v93, v93, v94
	s_waitcnt vmcnt(0) lgkmcnt(0)
	v_mul_f32_e32 v94, v146, v202
	v_add_f32_e32 v203, v203, v204
	v_mul_f32_e32 v204, v145, v202
	v_fma_f32 v94, v145, v201, -v94
	v_fmac_f32_e32 v204, v146, v201
	v_add_f32_e32 v93, v93, v94
	v_add_f32_e32 v203, v203, v204
	v_sub_f32_e32 v93, v179, v93
	v_sub_f32_e32 v94, v180, v203
	buffer_store_dword v93, off, s[0:3], 0 offset:136
	buffer_store_dword v94, off, s[0:3], 0 offset:140
	s_and_saveexec_b64 s[4:5], vcc
	s_cbranch_execz .LBB44_251
; %bb.250:
	buffer_load_dword v93, off, s[0:3], 0 offset:128
	buffer_load_dword v94, off, s[0:3], 0 offset:132
	s_waitcnt vmcnt(0)
	ds_write_b64 v91, v[93:94]
	buffer_store_dword v92, off, s[0:3], 0 offset:128
	buffer_store_dword v92, off, s[0:3], 0 offset:132
.LBB44_251:
	s_or_b64 exec, exec, s[4:5]
	s_waitcnt lgkmcnt(0)
	; wave barrier
	buffer_load_dword v149, off, s[0:3], 0 offset:140
	buffer_load_dword v150, off, s[0:3], 0 offset:148
	buffer_load_dword v151, off, s[0:3], 0 offset:156
	buffer_load_dword v152, off, s[0:3], 0 offset:164
	buffer_load_dword v153, off, s[0:3], 0 offset:172
	buffer_load_dword v154, off, s[0:3], 0 offset:180
	buffer_load_dword v155, off, s[0:3], 0 offset:188
	buffer_load_dword v156, off, s[0:3], 0 offset:196
	buffer_load_dword v157, off, s[0:3], 0 offset:136
	buffer_load_dword v158, off, s[0:3], 0 offset:144
	buffer_load_dword v159, off, s[0:3], 0 offset:152
	buffer_load_dword v160, off, s[0:3], 0 offset:160
	buffer_load_dword v161, off, s[0:3], 0 offset:168
	buffer_load_dword v162, off, s[0:3], 0 offset:176
	buffer_load_dword v163, off, s[0:3], 0 offset:184
	buffer_load_dword v164, off, s[0:3], 0 offset:192
	buffer_load_dword v165, off, s[0:3], 0 offset:204
	buffer_load_dword v166, off, s[0:3], 0 offset:200
	buffer_load_dword v167, off, s[0:3], 0 offset:212
	buffer_load_dword v168, off, s[0:3], 0 offset:208
	buffer_load_dword v169, off, s[0:3], 0 offset:220
	buffer_load_dword v170, off, s[0:3], 0 offset:216
	buffer_load_dword v171, off, s[0:3], 0 offset:228
	buffer_load_dword v172, off, s[0:3], 0 offset:224
	buffer_load_dword v173, off, s[0:3], 0 offset:236
	buffer_load_dword v174, off, s[0:3], 0 offset:232
	buffer_load_dword v175, off, s[0:3], 0 offset:244
	buffer_load_dword v176, off, s[0:3], 0 offset:240
	buffer_load_dword v177, off, s[0:3], 0 offset:252
	buffer_load_dword v178, off, s[0:3], 0 offset:248
	buffer_load_dword v179, off, s[0:3], 0 offset:128
	buffer_load_dword v180, off, s[0:3], 0 offset:132
	buffer_load_dword v181, off, s[0:3], 0 offset:260
	buffer_load_dword v182, off, s[0:3], 0 offset:256
	ds_read2_b64 v[93:96], v92 offset0:63 offset1:64
	ds_read2_b64 v[97:100], v92 offset0:65 offset1:66
	buffer_load_dword v183, off, s[0:3], 0 offset:268
	buffer_load_dword v184, off, s[0:3], 0 offset:264
	;; [unrolled: 1-line block ×6, first 2 shown]
	ds_read2_b64 v[101:104], v92 offset0:67 offset1:68
	ds_read2_b64 v[105:108], v92 offset0:69 offset1:70
	;; [unrolled: 1-line block ×4, first 2 shown]
	buffer_load_dword v189, off, s[0:3], 0 offset:292
	buffer_load_dword v190, off, s[0:3], 0 offset:288
	buffer_load_dword v191, off, s[0:3], 0 offset:296
	buffer_load_dword v192, off, s[0:3], 0 offset:300
	buffer_load_dword v193, off, s[0:3], 0 offset:304
	buffer_load_dword v194, off, s[0:3], 0 offset:308
	buffer_load_dword v195, off, s[0:3], 0 offset:312
	buffer_load_dword v196, off, s[0:3], 0 offset:316
	buffer_load_dword v197, off, s[0:3], 0 offset:320
	buffer_load_dword v198, off, s[0:3], 0 offset:324
	buffer_load_dword v199, off, s[0:3], 0 offset:328
	buffer_load_dword v200, off, s[0:3], 0 offset:332
	buffer_load_dword v201, off, s[0:3], 0 offset:336
	buffer_load_dword v202, off, s[0:3], 0 offset:340
	buffer_load_dword v203, off, s[0:3], 0 offset:344
	buffer_load_dword v204, off, s[0:3], 0 offset:348
	buffer_load_dword v205, off, s[0:3], 0 offset:352
	buffer_load_dword v206, off, s[0:3], 0 offset:356
	v_cmp_lt_u32_e32 vcc, 15, v0
	s_waitcnt vmcnt(57) lgkmcnt(5)
	v_mul_f32_e32 v117, v93, v149
	s_waitcnt vmcnt(56)
	v_mul_f32_e32 v118, v95, v150
	s_waitcnt vmcnt(55) lgkmcnt(4)
	v_mul_f32_e32 v119, v97, v151
	s_waitcnt vmcnt(54)
	v_mul_f32_e32 v120, v99, v152
	s_waitcnt vmcnt(53) lgkmcnt(3)
	v_mul_f32_e32 v121, v101, v153
	s_waitcnt vmcnt(52)
	v_mul_f32_e32 v122, v103, v154
	s_waitcnt vmcnt(51) lgkmcnt(2)
	v_mul_f32_e32 v123, v105, v155
	s_waitcnt vmcnt(50)
	v_mul_f32_e32 v124, v107, v156
	s_waitcnt vmcnt(49)
	v_fmac_f32_e32 v117, v94, v157
	s_waitcnt vmcnt(48)
	v_fmac_f32_e32 v118, v96, v158
	v_add_f32_e32 v117, 0, v117
	s_waitcnt vmcnt(47)
	v_fmac_f32_e32 v119, v98, v159
	v_add_f32_e32 v117, v117, v118
	s_waitcnt vmcnt(46)
	v_fmac_f32_e32 v120, v100, v160
	v_add_f32_e32 v117, v117, v119
	s_waitcnt vmcnt(45)
	v_fmac_f32_e32 v121, v102, v161
	v_add_f32_e32 v117, v117, v120
	v_mul_f32_e32 v94, v94, v149
	s_waitcnt vmcnt(44)
	v_fmac_f32_e32 v122, v104, v162
	v_add_f32_e32 v117, v117, v121
	v_fma_f32 v93, v93, v157, -v94
	v_mul_f32_e32 v94, v96, v150
	s_waitcnt vmcnt(43)
	v_fmac_f32_e32 v123, v106, v163
	v_add_f32_e32 v117, v117, v122
	v_add_f32_e32 v93, 0, v93
	v_fma_f32 v94, v95, v158, -v94
	s_waitcnt vmcnt(42)
	v_fmac_f32_e32 v124, v108, v164
	v_add_f32_e32 v117, v117, v123
	s_waitcnt vmcnt(41) lgkmcnt(1)
	v_mul_f32_e32 v118, v109, v165
	v_add_f32_e32 v93, v93, v94
	v_mul_f32_e32 v94, v98, v151
	v_add_f32_e32 v117, v117, v124
	s_waitcnt vmcnt(40)
	v_fmac_f32_e32 v118, v110, v166
	v_fma_f32 v94, v97, v159, -v94
	v_add_f32_e32 v117, v117, v118
	s_waitcnt vmcnt(39)
	v_mul_f32_e32 v118, v111, v167
	v_add_f32_e32 v93, v93, v94
	v_mul_f32_e32 v94, v100, v152
	s_waitcnt vmcnt(38)
	v_fmac_f32_e32 v118, v112, v168
	v_fma_f32 v94, v99, v160, -v94
	v_add_f32_e32 v117, v117, v118
	s_waitcnt vmcnt(37) lgkmcnt(0)
	v_mul_f32_e32 v118, v113, v169
	v_add_f32_e32 v93, v93, v94
	v_mul_f32_e32 v94, v102, v153
	s_waitcnt vmcnt(36)
	v_fmac_f32_e32 v118, v114, v170
	v_fma_f32 v94, v101, v161, -v94
	v_add_f32_e32 v121, v117, v118
	ds_read2_b64 v[117:120], v92 offset0:75 offset1:76
	v_add_f32_e32 v93, v93, v94
	v_mul_f32_e32 v94, v104, v154
	v_fma_f32 v94, v103, v162, -v94
	s_waitcnt vmcnt(35)
	v_mul_f32_e32 v122, v115, v171
	v_add_f32_e32 v93, v93, v94
	v_mul_f32_e32 v94, v106, v155
	s_waitcnt vmcnt(34)
	v_fmac_f32_e32 v122, v116, v172
	v_fma_f32 v94, v105, v163, -v94
	v_add_f32_e32 v125, v121, v122
	ds_read2_b64 v[121:124], v92 offset0:77 offset1:78
	v_add_f32_e32 v93, v93, v94
	v_mul_f32_e32 v94, v108, v156
	s_waitcnt vmcnt(33) lgkmcnt(1)
	v_mul_f32_e32 v126, v117, v173
	v_fma_f32 v94, v107, v164, -v94
	s_waitcnt vmcnt(32)
	v_fmac_f32_e32 v126, v118, v174
	v_add_f32_e32 v93, v93, v94
	v_mul_f32_e32 v94, v110, v165
	v_add_f32_e32 v125, v125, v126
	s_waitcnt vmcnt(31)
	v_mul_f32_e32 v126, v119, v175
	v_fma_f32 v94, v109, v166, -v94
	s_waitcnt vmcnt(30)
	v_fmac_f32_e32 v126, v120, v176
	v_add_f32_e32 v93, v93, v94
	v_mul_f32_e32 v94, v112, v167
	v_add_f32_e32 v125, v125, v126
	s_waitcnt vmcnt(29) lgkmcnt(0)
	v_mul_f32_e32 v126, v121, v177
	v_fma_f32 v94, v111, v168, -v94
	s_waitcnt vmcnt(28)
	v_fmac_f32_e32 v126, v122, v178
	v_add_f32_e32 v93, v93, v94
	v_mul_f32_e32 v94, v114, v169
	v_add_f32_e32 v129, v125, v126
	ds_read2_b64 v[125:128], v92 offset0:79 offset1:80
	v_fma_f32 v94, v113, v170, -v94
	v_add_f32_e32 v93, v93, v94
	v_mul_f32_e32 v94, v116, v171
	s_waitcnt vmcnt(25)
	v_mul_f32_e32 v130, v123, v181
	v_fma_f32 v94, v115, v172, -v94
	s_waitcnt vmcnt(24)
	v_fmac_f32_e32 v130, v124, v182
	v_add_f32_e32 v93, v93, v94
	v_mul_f32_e32 v94, v118, v173
	v_add_f32_e32 v133, v129, v130
	ds_read2_b64 v[129:132], v92 offset0:81 offset1:82
	v_fma_f32 v94, v117, v174, -v94
	s_waitcnt vmcnt(23) lgkmcnt(1)
	v_mul_f32_e32 v134, v125, v183
	v_add_f32_e32 v93, v93, v94
	v_mul_f32_e32 v94, v120, v175
	s_waitcnt vmcnt(22)
	v_fmac_f32_e32 v134, v126, v184
	v_fma_f32 v94, v119, v176, -v94
	v_add_f32_e32 v133, v133, v134
	s_waitcnt vmcnt(20)
	v_mul_f32_e32 v134, v127, v186
	v_add_f32_e32 v93, v93, v94
	v_mul_f32_e32 v94, v122, v177
	v_fmac_f32_e32 v134, v128, v185
	v_fma_f32 v94, v121, v178, -v94
	v_add_f32_e32 v133, v133, v134
	s_waitcnt vmcnt(18) lgkmcnt(0)
	v_mul_f32_e32 v134, v129, v188
	v_add_f32_e32 v93, v93, v94
	v_mul_f32_e32 v94, v124, v181
	v_fmac_f32_e32 v134, v130, v187
	v_fma_f32 v94, v123, v182, -v94
	v_add_f32_e32 v137, v133, v134
	ds_read2_b64 v[133:136], v92 offset0:83 offset1:84
	v_add_f32_e32 v93, v93, v94
	v_mul_f32_e32 v94, v126, v183
	v_fma_f32 v94, v125, v184, -v94
	s_waitcnt vmcnt(17)
	v_mul_f32_e32 v138, v131, v189
	v_add_f32_e32 v93, v93, v94
	v_mul_f32_e32 v94, v128, v186
	s_waitcnt vmcnt(16)
	v_fmac_f32_e32 v138, v132, v190
	v_fma_f32 v94, v127, v185, -v94
	v_add_f32_e32 v141, v137, v138
	ds_read2_b64 v[137:140], v92 offset0:85 offset1:86
	v_add_f32_e32 v93, v93, v94
	v_mul_f32_e32 v94, v130, v188
	s_waitcnt vmcnt(14) lgkmcnt(1)
	v_mul_f32_e32 v142, v133, v192
	v_fma_f32 v94, v129, v187, -v94
	v_fmac_f32_e32 v142, v134, v191
	v_add_f32_e32 v93, v93, v94
	v_mul_f32_e32 v94, v132, v189
	v_add_f32_e32 v141, v141, v142
	s_waitcnt vmcnt(12)
	v_mul_f32_e32 v142, v135, v194
	v_fma_f32 v94, v131, v190, -v94
	v_fmac_f32_e32 v142, v136, v193
	v_add_f32_e32 v93, v93, v94
	v_mul_f32_e32 v94, v134, v192
	v_add_f32_e32 v141, v141, v142
	s_waitcnt vmcnt(10) lgkmcnt(0)
	v_mul_f32_e32 v142, v137, v196
	v_fma_f32 v94, v133, v191, -v94
	v_fmac_f32_e32 v142, v138, v195
	v_add_f32_e32 v93, v93, v94
	v_mul_f32_e32 v94, v136, v194
	v_add_f32_e32 v145, v141, v142
	ds_read2_b64 v[141:144], v92 offset0:87 offset1:88
	v_fma_f32 v94, v135, v193, -v94
	v_add_f32_e32 v93, v93, v94
	v_mul_f32_e32 v94, v138, v196
	s_waitcnt vmcnt(8)
	v_mul_f32_e32 v146, v139, v198
	v_fma_f32 v94, v137, v195, -v94
	v_fmac_f32_e32 v146, v140, v197
	v_add_f32_e32 v93, v93, v94
	v_mul_f32_e32 v94, v140, v198
	v_add_f32_e32 v207, v145, v146
	ds_read2_b64 v[145:148], v92 offset0:89 offset1:90
	v_fma_f32 v94, v139, v197, -v94
	v_add_f32_e32 v93, v93, v94
	s_waitcnt vmcnt(6) lgkmcnt(1)
	v_mul_f32_e32 v94, v142, v200
	v_mul_f32_e32 v92, v141, v200
	v_fma_f32 v94, v141, v199, -v94
	v_fmac_f32_e32 v92, v142, v199
	v_add_f32_e32 v93, v93, v94
	s_waitcnt vmcnt(4)
	v_mul_f32_e32 v94, v144, v202
	v_add_f32_e32 v92, v207, v92
	v_mul_f32_e32 v207, v143, v202
	v_fma_f32 v94, v143, v201, -v94
	v_fmac_f32_e32 v207, v144, v201
	v_add_f32_e32 v93, v93, v94
	s_waitcnt vmcnt(2) lgkmcnt(0)
	v_mul_f32_e32 v94, v146, v204
	v_add_f32_e32 v92, v92, v207
	v_mul_f32_e32 v207, v145, v204
	v_fma_f32 v94, v145, v203, -v94
	v_fmac_f32_e32 v207, v146, v203
	v_add_f32_e32 v93, v93, v94
	s_waitcnt vmcnt(0)
	v_mul_f32_e32 v94, v148, v206
	v_add_f32_e32 v92, v92, v207
	v_mul_f32_e32 v207, v147, v206
	v_fma_f32 v94, v147, v205, -v94
	v_fmac_f32_e32 v207, v148, v205
	v_add_f32_e32 v93, v93, v94
	v_add_f32_e32 v92, v92, v207
	v_sub_f32_e32 v93, v179, v93
	v_sub_f32_e32 v92, v180, v92
	buffer_store_dword v93, off, s[0:3], 0 offset:128
	buffer_store_dword v92, off, s[0:3], 0 offset:132
	s_and_saveexec_b64 s[4:5], vcc
	s_cbranch_execz .LBB44_253
; %bb.252:
	buffer_load_dword v92, off, s[0:3], 0 offset:120
	buffer_load_dword v93, off, s[0:3], 0 offset:124
	v_mov_b32_e32 v94, 0
	buffer_store_dword v94, off, s[0:3], 0 offset:120
	buffer_store_dword v94, off, s[0:3], 0 offset:124
	s_waitcnt vmcnt(2)
	ds_write_b64 v91, v[92:93]
.LBB44_253:
	s_or_b64 exec, exec, s[4:5]
	s_waitcnt lgkmcnt(0)
	; wave barrier
	buffer_load_dword v151, off, s[0:3], 0 offset:132
	buffer_load_dword v152, off, s[0:3], 0 offset:140
	;; [unrolled: 1-line block ×60, first 2 shown]
	v_mov_b32_e32 v92, 0
	ds_read_b128 v[93:96], v92 offset:496
	ds_read_b128 v[97:100], v92 offset:512
	;; [unrolled: 1-line block ×5, first 2 shown]
	v_cmp_lt_u32_e32 vcc, 14, v0
	s_waitcnt vmcnt(59) lgkmcnt(4)
	v_mul_f32_e32 v113, v93, v151
	s_waitcnt vmcnt(58)
	v_mul_f32_e32 v114, v95, v152
	s_waitcnt vmcnt(57) lgkmcnt(3)
	v_mul_f32_e32 v115, v97, v153
	s_waitcnt vmcnt(56)
	v_mul_f32_e32 v116, v99, v154
	s_waitcnt vmcnt(55) lgkmcnt(2)
	v_mul_f32_e32 v117, v101, v155
	s_waitcnt vmcnt(54)
	v_mul_f32_e32 v118, v103, v156
	s_waitcnt vmcnt(53) lgkmcnt(1)
	v_mul_f32_e32 v119, v105, v157
	s_waitcnt vmcnt(52)
	v_fmac_f32_e32 v113, v94, v158
	s_waitcnt vmcnt(51)
	v_fmac_f32_e32 v114, v96, v159
	v_add_f32_e32 v113, 0, v113
	s_waitcnt vmcnt(50)
	v_fmac_f32_e32 v115, v98, v160
	v_add_f32_e32 v113, v113, v114
	;; [unrolled: 3-line block ×6, first 2 shown]
	s_waitcnt vmcnt(45)
	v_mul_f32_e32 v114, v107, v165
	v_add_f32_e32 v113, v113, v119
	s_waitcnt vmcnt(44)
	v_fmac_f32_e32 v114, v108, v166
	v_mul_f32_e32 v94, v94, v151
	v_add_f32_e32 v117, v113, v114
	ds_read_b128 v[113:116], v92 offset:576
	v_fma_f32 v93, v93, v158, -v94
	v_mul_f32_e32 v94, v96, v152
	s_waitcnt vmcnt(43) lgkmcnt(1)
	v_mul_f32_e32 v118, v109, v167
	v_add_f32_e32 v93, 0, v93
	v_fma_f32 v94, v95, v159, -v94
	s_waitcnt vmcnt(42)
	v_fmac_f32_e32 v118, v110, v168
	v_add_f32_e32 v93, v93, v94
	v_mul_f32_e32 v94, v98, v153
	v_add_f32_e32 v117, v117, v118
	s_waitcnt vmcnt(41)
	v_mul_f32_e32 v118, v111, v169
	v_fma_f32 v94, v97, v160, -v94
	s_waitcnt vmcnt(40)
	v_fmac_f32_e32 v118, v112, v170
	v_add_f32_e32 v93, v93, v94
	v_mul_f32_e32 v94, v100, v154
	v_add_f32_e32 v117, v117, v118
	s_waitcnt vmcnt(39) lgkmcnt(0)
	v_mul_f32_e32 v118, v113, v171
	v_fma_f32 v94, v99, v161, -v94
	s_waitcnt vmcnt(38)
	v_fmac_f32_e32 v118, v114, v172
	v_add_f32_e32 v93, v93, v94
	v_mul_f32_e32 v94, v102, v155
	v_add_f32_e32 v121, v117, v118
	ds_read_b128 v[117:120], v92 offset:592
	v_fma_f32 v94, v101, v162, -v94
	v_add_f32_e32 v93, v93, v94
	v_mul_f32_e32 v94, v104, v156
	s_waitcnt vmcnt(37)
	v_mul_f32_e32 v122, v115, v173
	v_fma_f32 v94, v103, v163, -v94
	s_waitcnt vmcnt(36)
	v_fmac_f32_e32 v122, v116, v174
	v_add_f32_e32 v93, v93, v94
	v_mul_f32_e32 v94, v106, v157
	v_add_f32_e32 v125, v121, v122
	ds_read_b128 v[121:124], v92 offset:608
	v_fma_f32 v94, v105, v164, -v94
	s_waitcnt vmcnt(34) lgkmcnt(1)
	v_mul_f32_e32 v126, v117, v176
	v_add_f32_e32 v93, v93, v94
	v_mul_f32_e32 v94, v108, v165
	v_fmac_f32_e32 v126, v118, v175
	v_fma_f32 v94, v107, v166, -v94
	v_add_f32_e32 v125, v125, v126
	s_waitcnt vmcnt(31)
	v_mul_f32_e32 v126, v119, v179
	v_add_f32_e32 v93, v93, v94
	v_mul_f32_e32 v94, v110, v167
	s_waitcnt vmcnt(30)
	v_fmac_f32_e32 v126, v120, v180
	v_fma_f32 v94, v109, v168, -v94
	v_add_f32_e32 v125, v125, v126
	s_waitcnt vmcnt(28) lgkmcnt(0)
	v_mul_f32_e32 v126, v121, v182
	v_add_f32_e32 v93, v93, v94
	v_mul_f32_e32 v94, v112, v169
	v_fmac_f32_e32 v126, v122, v181
	v_fma_f32 v94, v111, v170, -v94
	v_add_f32_e32 v129, v125, v126
	ds_read_b128 v[125:128], v92 offset:624
	v_add_f32_e32 v93, v93, v94
	v_mul_f32_e32 v94, v114, v171
	v_fma_f32 v94, v113, v172, -v94
	s_waitcnt vmcnt(26)
	v_mul_f32_e32 v130, v123, v184
	v_add_f32_e32 v93, v93, v94
	v_mul_f32_e32 v94, v116, v173
	v_fmac_f32_e32 v130, v124, v183
	v_fma_f32 v94, v115, v174, -v94
	v_add_f32_e32 v133, v129, v130
	ds_read_b128 v[129:132], v92 offset:640
	v_add_f32_e32 v93, v93, v94
	v_mul_f32_e32 v94, v118, v176
	s_waitcnt vmcnt(24) lgkmcnt(1)
	v_mul_f32_e32 v134, v125, v186
	v_fma_f32 v94, v117, v175, -v94
	v_fmac_f32_e32 v134, v126, v185
	v_add_f32_e32 v93, v93, v94
	v_mul_f32_e32 v94, v120, v179
	v_add_f32_e32 v133, v133, v134
	s_waitcnt vmcnt(22)
	v_mul_f32_e32 v134, v127, v188
	v_fma_f32 v94, v119, v180, -v94
	v_fmac_f32_e32 v134, v128, v187
	v_add_f32_e32 v93, v93, v94
	v_mul_f32_e32 v94, v122, v182
	v_add_f32_e32 v133, v133, v134
	s_waitcnt vmcnt(20) lgkmcnt(0)
	v_mul_f32_e32 v134, v129, v190
	v_fma_f32 v94, v121, v181, -v94
	v_fmac_f32_e32 v134, v130, v189
	v_add_f32_e32 v93, v93, v94
	v_mul_f32_e32 v94, v124, v184
	v_add_f32_e32 v137, v133, v134
	ds_read_b128 v[133:136], v92 offset:656
	v_fma_f32 v94, v123, v183, -v94
	v_add_f32_e32 v93, v93, v94
	v_mul_f32_e32 v94, v126, v186
	s_waitcnt vmcnt(18)
	v_mul_f32_e32 v138, v131, v192
	v_fma_f32 v94, v125, v185, -v94
	v_fmac_f32_e32 v138, v132, v191
	v_add_f32_e32 v93, v93, v94
	v_mul_f32_e32 v94, v128, v188
	v_add_f32_e32 v141, v137, v138
	ds_read_b128 v[137:140], v92 offset:672
	v_fma_f32 v94, v127, v187, -v94
	s_waitcnt vmcnt(16) lgkmcnt(1)
	v_mul_f32_e32 v142, v133, v194
	v_add_f32_e32 v93, v93, v94
	v_mul_f32_e32 v94, v130, v190
	v_fmac_f32_e32 v142, v134, v193
	v_fma_f32 v94, v129, v189, -v94
	v_add_f32_e32 v141, v141, v142
	s_waitcnt vmcnt(14)
	v_mul_f32_e32 v142, v135, v196
	v_add_f32_e32 v93, v93, v94
	v_mul_f32_e32 v94, v132, v192
	v_fmac_f32_e32 v142, v136, v195
	v_fma_f32 v94, v131, v191, -v94
	v_add_f32_e32 v141, v141, v142
	s_waitcnt vmcnt(12) lgkmcnt(0)
	v_mul_f32_e32 v142, v137, v198
	v_add_f32_e32 v93, v93, v94
	v_mul_f32_e32 v94, v134, v194
	v_fmac_f32_e32 v142, v138, v197
	v_fma_f32 v94, v133, v193, -v94
	v_add_f32_e32 v145, v141, v142
	ds_read_b128 v[141:144], v92 offset:688
	v_add_f32_e32 v93, v93, v94
	v_mul_f32_e32 v94, v136, v196
	v_fma_f32 v94, v135, v195, -v94
	v_add_f32_e32 v93, v93, v94
	v_mul_f32_e32 v94, v138, v198
	s_waitcnt vmcnt(10)
	v_mul_f32_e32 v146, v139, v200
	v_fma_f32 v94, v137, v197, -v94
	v_fmac_f32_e32 v146, v140, v199
	v_add_f32_e32 v93, v93, v94
	v_mul_f32_e32 v94, v140, v200
	v_add_f32_e32 v149, v145, v146
	ds_read_b128 v[145:148], v92 offset:704
	s_waitcnt vmcnt(8) lgkmcnt(1)
	v_mul_f32_e32 v150, v141, v202
	v_fma_f32 v94, v139, v199, -v94
	v_fmac_f32_e32 v150, v142, v201
	v_add_f32_e32 v93, v93, v94
	v_mul_f32_e32 v94, v142, v202
	v_add_f32_e32 v149, v149, v150
	s_waitcnt vmcnt(6)
	v_mul_f32_e32 v150, v143, v204
	v_fma_f32 v94, v141, v201, -v94
	v_fmac_f32_e32 v150, v144, v203
	v_add_f32_e32 v93, v93, v94
	v_mul_f32_e32 v94, v144, v204
	v_add_f32_e32 v211, v149, v150
	ds_read_b64 v[149:150], v92 offset:720
	v_fma_f32 v94, v143, v203, -v94
	v_add_f32_e32 v93, v93, v94
	s_waitcnt vmcnt(4) lgkmcnt(1)
	v_mul_f32_e32 v94, v146, v206
	v_mul_f32_e32 v212, v145, v206
	v_fma_f32 v94, v145, v205, -v94
	v_fmac_f32_e32 v212, v146, v205
	v_add_f32_e32 v93, v93, v94
	s_waitcnt vmcnt(2)
	v_mul_f32_e32 v94, v148, v208
	v_add_f32_e32 v211, v211, v212
	v_mul_f32_e32 v212, v147, v208
	v_fma_f32 v94, v147, v207, -v94
	v_fmac_f32_e32 v212, v148, v207
	v_add_f32_e32 v93, v93, v94
	s_waitcnt vmcnt(0) lgkmcnt(0)
	v_mul_f32_e32 v94, v150, v210
	v_add_f32_e32 v211, v211, v212
	v_mul_f32_e32 v212, v149, v210
	v_fma_f32 v94, v149, v209, -v94
	v_fmac_f32_e32 v212, v150, v209
	v_add_f32_e32 v93, v93, v94
	v_add_f32_e32 v211, v211, v212
	v_sub_f32_e32 v93, v177, v93
	v_sub_f32_e32 v94, v178, v211
	buffer_store_dword v93, off, s[0:3], 0 offset:120
	buffer_store_dword v94, off, s[0:3], 0 offset:124
	s_and_saveexec_b64 s[4:5], vcc
	s_cbranch_execz .LBB44_255
; %bb.254:
	buffer_load_dword v93, off, s[0:3], 0 offset:112
	buffer_load_dword v94, off, s[0:3], 0 offset:116
	s_waitcnt vmcnt(0)
	ds_write_b64 v91, v[93:94]
	buffer_store_dword v92, off, s[0:3], 0 offset:112
	buffer_store_dword v92, off, s[0:3], 0 offset:116
.LBB44_255:
	s_or_b64 exec, exec, s[4:5]
	s_waitcnt lgkmcnt(0)
	; wave barrier
	buffer_load_dword v153, off, s[0:3], 0 offset:124
	buffer_load_dword v154, off, s[0:3], 0 offset:132
	;; [unrolled: 1-line block ×32, first 2 shown]
	ds_read2_b64 v[93:96], v92 offset0:61 offset1:62
	ds_read2_b64 v[97:100], v92 offset0:63 offset1:64
	;; [unrolled: 1-line block ×4, first 2 shown]
	buffer_load_dword v185, off, s[0:3], 0 offset:244
	buffer_load_dword v186, off, s[0:3], 0 offset:240
	;; [unrolled: 1-line block ×30, first 2 shown]
	v_cmp_lt_u32_e32 vcc, 13, v0
	s_waitcnt vmcnt(61) lgkmcnt(3)
	v_mul_f32_e32 v109, v93, v153
	s_waitcnt vmcnt(60)
	v_mul_f32_e32 v110, v95, v154
	s_waitcnt vmcnt(59) lgkmcnt(2)
	v_mul_f32_e32 v111, v97, v155
	s_waitcnt vmcnt(58)
	v_mul_f32_e32 v112, v99, v156
	;; [unrolled: 4-line block ×3, first 2 shown]
	s_waitcnt vmcnt(55) lgkmcnt(0)
	v_mul_f32_e32 v115, v105, v159
	s_waitcnt vmcnt(54)
	v_fmac_f32_e32 v109, v94, v160
	s_waitcnt vmcnt(53)
	v_fmac_f32_e32 v110, v96, v161
	v_add_f32_e32 v109, 0, v109
	s_waitcnt vmcnt(52)
	v_fmac_f32_e32 v111, v98, v162
	v_add_f32_e32 v109, v109, v110
	s_waitcnt vmcnt(51)
	v_fmac_f32_e32 v112, v100, v163
	v_add_f32_e32 v109, v109, v111
	s_waitcnt vmcnt(50)
	v_fmac_f32_e32 v113, v102, v164
	v_add_f32_e32 v109, v109, v112
	s_waitcnt vmcnt(49)
	v_fmac_f32_e32 v114, v104, v165
	v_add_f32_e32 v109, v109, v113
	s_waitcnt vmcnt(48)
	v_fmac_f32_e32 v115, v106, v166
	v_add_f32_e32 v109, v109, v114
	v_add_f32_e32 v113, v109, v115
	ds_read2_b64 v[109:112], v92 offset0:69 offset1:70
	s_waitcnt vmcnt(47)
	v_mul_f32_e32 v114, v107, v167
	s_waitcnt vmcnt(46)
	v_fmac_f32_e32 v114, v108, v168
	v_mul_f32_e32 v94, v94, v153
	v_add_f32_e32 v117, v113, v114
	ds_read2_b64 v[113:116], v92 offset0:71 offset1:72
	v_fma_f32 v93, v93, v160, -v94
	v_mul_f32_e32 v94, v96, v154
	s_waitcnt vmcnt(45) lgkmcnt(1)
	v_mul_f32_e32 v118, v109, v169
	v_add_f32_e32 v93, 0, v93
	v_fma_f32 v94, v95, v161, -v94
	s_waitcnt vmcnt(44)
	v_fmac_f32_e32 v118, v110, v170
	v_add_f32_e32 v93, v93, v94
	v_mul_f32_e32 v94, v98, v155
	v_add_f32_e32 v117, v117, v118
	s_waitcnt vmcnt(43)
	v_mul_f32_e32 v118, v111, v171
	v_fma_f32 v94, v97, v162, -v94
	s_waitcnt vmcnt(42)
	v_fmac_f32_e32 v118, v112, v172
	v_add_f32_e32 v93, v93, v94
	v_mul_f32_e32 v94, v100, v156
	v_add_f32_e32 v117, v117, v118
	s_waitcnt vmcnt(41) lgkmcnt(0)
	v_mul_f32_e32 v118, v113, v173
	v_fma_f32 v94, v99, v163, -v94
	s_waitcnt vmcnt(40)
	v_fmac_f32_e32 v118, v114, v174
	v_add_f32_e32 v93, v93, v94
	v_mul_f32_e32 v94, v102, v157
	v_add_f32_e32 v121, v117, v118
	ds_read2_b64 v[117:120], v92 offset0:73 offset1:74
	v_fma_f32 v94, v101, v164, -v94
	v_add_f32_e32 v93, v93, v94
	v_mul_f32_e32 v94, v104, v158
	s_waitcnt vmcnt(39)
	v_mul_f32_e32 v122, v115, v175
	v_fma_f32 v94, v103, v165, -v94
	s_waitcnt vmcnt(38)
	v_fmac_f32_e32 v122, v116, v176
	v_add_f32_e32 v93, v93, v94
	v_mul_f32_e32 v94, v106, v159
	v_add_f32_e32 v125, v121, v122
	ds_read2_b64 v[121:124], v92 offset0:75 offset1:76
	v_fma_f32 v94, v105, v166, -v94
	s_waitcnt vmcnt(35) lgkmcnt(1)
	v_mul_f32_e32 v126, v117, v179
	v_add_f32_e32 v93, v93, v94
	v_mul_f32_e32 v94, v108, v167
	s_waitcnt vmcnt(34)
	v_fmac_f32_e32 v126, v118, v180
	v_fma_f32 v94, v107, v168, -v94
	v_add_f32_e32 v125, v125, v126
	s_waitcnt vmcnt(32)
	v_mul_f32_e32 v126, v119, v182
	v_add_f32_e32 v93, v93, v94
	v_mul_f32_e32 v94, v110, v169
	v_fmac_f32_e32 v126, v120, v181
	v_fma_f32 v94, v109, v170, -v94
	v_add_f32_e32 v125, v125, v126
	s_waitcnt vmcnt(30) lgkmcnt(0)
	v_mul_f32_e32 v126, v121, v184
	v_add_f32_e32 v93, v93, v94
	v_mul_f32_e32 v94, v112, v171
	v_fmac_f32_e32 v126, v122, v183
	v_fma_f32 v94, v111, v172, -v94
	v_add_f32_e32 v129, v125, v126
	ds_read2_b64 v[125:128], v92 offset0:77 offset1:78
	v_add_f32_e32 v93, v93, v94
	v_mul_f32_e32 v94, v114, v173
	v_fma_f32 v94, v113, v174, -v94
	s_waitcnt vmcnt(29)
	v_mul_f32_e32 v130, v123, v185
	v_add_f32_e32 v93, v93, v94
	v_mul_f32_e32 v94, v116, v175
	s_waitcnt vmcnt(28)
	v_fmac_f32_e32 v130, v124, v186
	v_fma_f32 v94, v115, v176, -v94
	v_add_f32_e32 v133, v129, v130
	ds_read2_b64 v[129:132], v92 offset0:79 offset1:80
	v_add_f32_e32 v93, v93, v94
	v_mul_f32_e32 v94, v118, v179
	s_waitcnt vmcnt(26) lgkmcnt(1)
	v_mul_f32_e32 v134, v125, v188
	v_fma_f32 v94, v117, v180, -v94
	v_fmac_f32_e32 v134, v126, v187
	v_add_f32_e32 v93, v93, v94
	v_mul_f32_e32 v94, v120, v182
	v_add_f32_e32 v133, v133, v134
	s_waitcnt vmcnt(24)
	v_mul_f32_e32 v134, v127, v190
	v_fma_f32 v94, v119, v181, -v94
	v_fmac_f32_e32 v134, v128, v189
	v_add_f32_e32 v93, v93, v94
	v_mul_f32_e32 v94, v122, v184
	v_add_f32_e32 v133, v133, v134
	s_waitcnt vmcnt(22) lgkmcnt(0)
	v_mul_f32_e32 v134, v129, v192
	v_fma_f32 v94, v121, v183, -v94
	v_fmac_f32_e32 v134, v130, v191
	v_add_f32_e32 v93, v93, v94
	v_mul_f32_e32 v94, v124, v185
	v_add_f32_e32 v137, v133, v134
	ds_read2_b64 v[133:136], v92 offset0:81 offset1:82
	v_fma_f32 v94, v123, v186, -v94
	v_add_f32_e32 v93, v93, v94
	v_mul_f32_e32 v94, v126, v188
	s_waitcnt vmcnt(20)
	v_mul_f32_e32 v138, v131, v194
	v_fma_f32 v94, v125, v187, -v94
	v_fmac_f32_e32 v138, v132, v193
	v_add_f32_e32 v93, v93, v94
	v_mul_f32_e32 v94, v128, v190
	v_add_f32_e32 v141, v137, v138
	ds_read2_b64 v[137:140], v92 offset0:83 offset1:84
	v_fma_f32 v94, v127, v189, -v94
	s_waitcnt vmcnt(18) lgkmcnt(1)
	v_mul_f32_e32 v142, v133, v196
	v_add_f32_e32 v93, v93, v94
	v_mul_f32_e32 v94, v130, v192
	v_fmac_f32_e32 v142, v134, v195
	v_fma_f32 v94, v129, v191, -v94
	v_add_f32_e32 v141, v141, v142
	s_waitcnt vmcnt(16)
	v_mul_f32_e32 v142, v135, v198
	v_add_f32_e32 v93, v93, v94
	v_mul_f32_e32 v94, v132, v194
	v_fmac_f32_e32 v142, v136, v197
	v_fma_f32 v94, v131, v193, -v94
	v_add_f32_e32 v141, v141, v142
	s_waitcnt vmcnt(14) lgkmcnt(0)
	v_mul_f32_e32 v142, v137, v200
	v_add_f32_e32 v93, v93, v94
	v_mul_f32_e32 v94, v134, v196
	v_fmac_f32_e32 v142, v138, v199
	v_fma_f32 v94, v133, v195, -v94
	v_add_f32_e32 v145, v141, v142
	ds_read2_b64 v[141:144], v92 offset0:85 offset1:86
	v_add_f32_e32 v93, v93, v94
	v_mul_f32_e32 v94, v136, v198
	v_fma_f32 v94, v135, v197, -v94
	v_add_f32_e32 v93, v93, v94
	v_mul_f32_e32 v94, v138, v200
	s_waitcnt vmcnt(12)
	v_mul_f32_e32 v146, v139, v202
	v_fma_f32 v94, v137, v199, -v94
	v_fmac_f32_e32 v146, v140, v201
	v_add_f32_e32 v93, v93, v94
	v_mul_f32_e32 v94, v140, v202
	v_add_f32_e32 v149, v145, v146
	ds_read2_b64 v[145:148], v92 offset0:87 offset1:88
	s_waitcnt vmcnt(10) lgkmcnt(1)
	v_mul_f32_e32 v150, v141, v204
	v_fma_f32 v94, v139, v201, -v94
	v_fmac_f32_e32 v150, v142, v203
	v_add_f32_e32 v93, v93, v94
	v_mul_f32_e32 v94, v142, v204
	v_add_f32_e32 v149, v149, v150
	s_waitcnt vmcnt(8)
	v_mul_f32_e32 v150, v143, v206
	v_fma_f32 v94, v141, v203, -v94
	v_fmac_f32_e32 v150, v144, v205
	v_add_f32_e32 v93, v93, v94
	v_mul_f32_e32 v94, v144, v206
	v_add_f32_e32 v215, v149, v150
	ds_read2_b64 v[149:152], v92 offset0:89 offset1:90
	v_fma_f32 v94, v143, v205, -v94
	v_add_f32_e32 v93, v93, v94
	s_waitcnt vmcnt(6) lgkmcnt(1)
	v_mul_f32_e32 v94, v146, v208
	v_mul_f32_e32 v216, v145, v208
	v_fma_f32 v94, v145, v207, -v94
	v_fmac_f32_e32 v216, v146, v207
	v_add_f32_e32 v93, v93, v94
	s_waitcnt vmcnt(4)
	v_mul_f32_e32 v94, v148, v210
	v_add_f32_e32 v92, v215, v216
	v_mul_f32_e32 v215, v147, v210
	v_fma_f32 v94, v147, v209, -v94
	v_fmac_f32_e32 v215, v148, v209
	v_add_f32_e32 v93, v93, v94
	s_waitcnt vmcnt(2) lgkmcnt(0)
	v_mul_f32_e32 v94, v150, v212
	v_add_f32_e32 v92, v92, v215
	v_mul_f32_e32 v215, v149, v212
	v_fma_f32 v94, v149, v211, -v94
	v_fmac_f32_e32 v215, v150, v211
	v_add_f32_e32 v93, v93, v94
	s_waitcnt vmcnt(0)
	v_mul_f32_e32 v94, v152, v214
	v_add_f32_e32 v92, v92, v215
	v_mul_f32_e32 v215, v151, v214
	v_fma_f32 v94, v151, v213, -v94
	v_fmac_f32_e32 v215, v152, v213
	v_add_f32_e32 v93, v93, v94
	v_add_f32_e32 v92, v92, v215
	v_sub_f32_e32 v93, v177, v93
	v_sub_f32_e32 v92, v178, v92
	buffer_store_dword v93, off, s[0:3], 0 offset:112
	buffer_store_dword v92, off, s[0:3], 0 offset:116
	s_and_saveexec_b64 s[4:5], vcc
	s_cbranch_execz .LBB44_257
; %bb.256:
	buffer_load_dword v92, off, s[0:3], 0 offset:104
	buffer_load_dword v93, off, s[0:3], 0 offset:108
	v_mov_b32_e32 v94, 0
	buffer_store_dword v94, off, s[0:3], 0 offset:104
	buffer_store_dword v94, off, s[0:3], 0 offset:108
	s_waitcnt vmcnt(2)
	ds_write_b64 v91, v[92:93]
.LBB44_257:
	s_or_b64 exec, exec, s[4:5]
	s_waitcnt lgkmcnt(0)
	; wave barrier
	buffer_load_dword v155, off, s[0:3], 0 offset:116
	buffer_load_dword v156, off, s[0:3], 0 offset:124
	;; [unrolled: 1-line block ×56, first 2 shown]
	v_mov_b32_e32 v92, 0
	ds_read_b128 v[93:96], v92 offset:480
	buffer_load_dword v211, off, s[0:3], 0 offset:328
	buffer_load_dword v212, off, s[0:3], 0 offset:332
	;; [unrolled: 1-line block ×4, first 2 shown]
	ds_read_b128 v[97:100], v92 offset:496
	ds_read_b128 v[101:104], v92 offset:512
	;; [unrolled: 1-line block ×3, first 2 shown]
	v_cmp_lt_u32_e32 vcc, 12, v0
	s_waitcnt vmcnt(59) lgkmcnt(3)
	v_mul_f32_e32 v109, v93, v155
	s_waitcnt vmcnt(58)
	v_mul_f32_e32 v110, v95, v156
	s_waitcnt vmcnt(57) lgkmcnt(2)
	v_mul_f32_e32 v111, v97, v157
	s_waitcnt vmcnt(56)
	v_mul_f32_e32 v112, v99, v158
	;; [unrolled: 4-line block ×4, first 2 shown]
	s_waitcnt vmcnt(51)
	v_fmac_f32_e32 v109, v94, v163
	s_waitcnt vmcnt(50)
	v_fmac_f32_e32 v110, v96, v164
	v_add_f32_e32 v109, 0, v109
	s_waitcnt vmcnt(49)
	v_fmac_f32_e32 v111, v98, v165
	v_add_f32_e32 v109, v109, v110
	;; [unrolled: 3-line block ×6, first 2 shown]
	v_add_f32_e32 v113, v109, v115
	ds_read_b128 v[109:112], v92 offset:544
	buffer_load_dword v215, off, s[0:3], 0 offset:348
	buffer_load_dword v216, off, s[0:3], 0 offset:344
	;; [unrolled: 1-line block ×4, first 2 shown]
	s_waitcnt vmcnt(48)
	v_fmac_f32_e32 v116, v108, v170
	v_add_f32_e32 v117, v113, v116
	ds_read_b128 v[113:116], v92 offset:560
	s_waitcnt vmcnt(47) lgkmcnt(1)
	v_mul_f32_e32 v118, v109, v171
	v_mul_f32_e32 v94, v94, v155
	s_waitcnt vmcnt(46)
	v_fmac_f32_e32 v118, v110, v172
	v_fma_f32 v93, v93, v163, -v94
	v_mul_f32_e32 v94, v96, v156
	v_add_f32_e32 v117, v117, v118
	s_waitcnt vmcnt(45)
	v_mul_f32_e32 v118, v111, v173
	v_add_f32_e32 v93, 0, v93
	v_fma_f32 v94, v95, v164, -v94
	s_waitcnt vmcnt(44)
	v_fmac_f32_e32 v118, v112, v174
	v_add_f32_e32 v93, v93, v94
	v_mul_f32_e32 v94, v98, v157
	v_add_f32_e32 v117, v117, v118
	s_waitcnt vmcnt(42) lgkmcnt(0)
	v_mul_f32_e32 v118, v113, v176
	v_fma_f32 v94, v97, v165, -v94
	v_fmac_f32_e32 v118, v114, v175
	v_add_f32_e32 v93, v93, v94
	v_mul_f32_e32 v94, v100, v158
	v_add_f32_e32 v121, v117, v118
	ds_read_b128 v[117:120], v92 offset:576
	v_fma_f32 v94, v99, v166, -v94
	v_add_f32_e32 v93, v93, v94
	v_mul_f32_e32 v94, v102, v159
	s_waitcnt vmcnt(39)
	v_mul_f32_e32 v122, v115, v179
	v_fma_f32 v94, v101, v167, -v94
	s_waitcnt vmcnt(38)
	v_fmac_f32_e32 v122, v116, v180
	v_add_f32_e32 v93, v93, v94
	v_mul_f32_e32 v94, v104, v160
	v_add_f32_e32 v125, v121, v122
	ds_read_b128 v[121:124], v92 offset:592
	v_fma_f32 v94, v103, v168, -v94
	s_waitcnt vmcnt(36) lgkmcnt(1)
	v_mul_f32_e32 v126, v117, v182
	v_add_f32_e32 v93, v93, v94
	v_mul_f32_e32 v94, v106, v161
	v_fmac_f32_e32 v126, v118, v181
	v_fma_f32 v94, v105, v169, -v94
	v_add_f32_e32 v125, v125, v126
	s_waitcnt vmcnt(34)
	v_mul_f32_e32 v126, v119, v184
	v_add_f32_e32 v93, v93, v94
	v_mul_f32_e32 v94, v108, v162
	v_fmac_f32_e32 v126, v120, v183
	v_fma_f32 v94, v107, v170, -v94
	v_add_f32_e32 v125, v125, v126
	s_waitcnt vmcnt(32) lgkmcnt(0)
	v_mul_f32_e32 v126, v121, v186
	v_add_f32_e32 v93, v93, v94
	v_mul_f32_e32 v94, v110, v171
	v_fmac_f32_e32 v126, v122, v185
	v_fma_f32 v94, v109, v172, -v94
	v_add_f32_e32 v129, v125, v126
	ds_read_b128 v[125:128], v92 offset:608
	v_add_f32_e32 v93, v93, v94
	v_mul_f32_e32 v94, v112, v173
	v_fma_f32 v94, v111, v174, -v94
	s_waitcnt vmcnt(30)
	v_mul_f32_e32 v130, v123, v188
	v_add_f32_e32 v93, v93, v94
	v_mul_f32_e32 v94, v114, v176
	v_fmac_f32_e32 v130, v124, v187
	v_fma_f32 v94, v113, v175, -v94
	v_add_f32_e32 v133, v129, v130
	ds_read_b128 v[129:132], v92 offset:624
	v_add_f32_e32 v93, v93, v94
	v_mul_f32_e32 v94, v116, v179
	s_waitcnt vmcnt(28) lgkmcnt(1)
	v_mul_f32_e32 v134, v125, v190
	v_fma_f32 v94, v115, v180, -v94
	v_fmac_f32_e32 v134, v126, v189
	v_add_f32_e32 v93, v93, v94
	v_mul_f32_e32 v94, v118, v182
	v_add_f32_e32 v133, v133, v134
	s_waitcnt vmcnt(26)
	v_mul_f32_e32 v134, v127, v192
	v_fma_f32 v94, v117, v181, -v94
	v_fmac_f32_e32 v134, v128, v191
	v_add_f32_e32 v93, v93, v94
	v_mul_f32_e32 v94, v120, v184
	v_add_f32_e32 v133, v133, v134
	s_waitcnt vmcnt(24) lgkmcnt(0)
	v_mul_f32_e32 v134, v129, v194
	v_fma_f32 v94, v119, v183, -v94
	v_fmac_f32_e32 v134, v130, v193
	v_add_f32_e32 v93, v93, v94
	v_mul_f32_e32 v94, v122, v186
	v_add_f32_e32 v137, v133, v134
	ds_read_b128 v[133:136], v92 offset:640
	v_fma_f32 v94, v121, v185, -v94
	v_add_f32_e32 v93, v93, v94
	v_mul_f32_e32 v94, v124, v188
	s_waitcnt vmcnt(22)
	v_mul_f32_e32 v138, v131, v196
	v_fma_f32 v94, v123, v187, -v94
	v_fmac_f32_e32 v138, v132, v195
	v_add_f32_e32 v93, v93, v94
	v_mul_f32_e32 v94, v126, v190
	v_add_f32_e32 v141, v137, v138
	ds_read_b128 v[137:140], v92 offset:656
	v_fma_f32 v94, v125, v189, -v94
	s_waitcnt vmcnt(20) lgkmcnt(1)
	v_mul_f32_e32 v142, v133, v198
	v_add_f32_e32 v93, v93, v94
	v_mul_f32_e32 v94, v128, v192
	v_fmac_f32_e32 v142, v134, v197
	v_fma_f32 v94, v127, v191, -v94
	v_add_f32_e32 v141, v141, v142
	s_waitcnt vmcnt(18)
	v_mul_f32_e32 v142, v135, v200
	v_add_f32_e32 v93, v93, v94
	v_mul_f32_e32 v94, v130, v194
	v_fmac_f32_e32 v142, v136, v199
	v_fma_f32 v94, v129, v193, -v94
	v_add_f32_e32 v141, v141, v142
	s_waitcnt vmcnt(16) lgkmcnt(0)
	v_mul_f32_e32 v142, v137, v202
	v_add_f32_e32 v93, v93, v94
	v_mul_f32_e32 v94, v132, v196
	v_fmac_f32_e32 v142, v138, v201
	v_fma_f32 v94, v131, v195, -v94
	v_add_f32_e32 v145, v141, v142
	ds_read_b128 v[141:144], v92 offset:672
	v_add_f32_e32 v93, v93, v94
	v_mul_f32_e32 v94, v134, v198
	v_fma_f32 v94, v133, v197, -v94
	s_waitcnt vmcnt(14)
	v_mul_f32_e32 v146, v139, v204
	v_add_f32_e32 v93, v93, v94
	v_mul_f32_e32 v94, v136, v200
	v_fmac_f32_e32 v146, v140, v203
	v_fma_f32 v94, v135, v199, -v94
	v_add_f32_e32 v149, v145, v146
	ds_read_b128 v[145:148], v92 offset:688
	v_add_f32_e32 v93, v93, v94
	v_mul_f32_e32 v94, v138, v202
	s_waitcnt vmcnt(12) lgkmcnt(1)
	v_mul_f32_e32 v150, v141, v206
	v_fma_f32 v94, v137, v201, -v94
	v_fmac_f32_e32 v150, v142, v205
	v_add_f32_e32 v93, v93, v94
	v_mul_f32_e32 v94, v140, v204
	v_add_f32_e32 v149, v149, v150
	s_waitcnt vmcnt(10)
	v_mul_f32_e32 v150, v143, v208
	v_fma_f32 v94, v139, v203, -v94
	v_fmac_f32_e32 v150, v144, v207
	v_add_f32_e32 v93, v93, v94
	v_mul_f32_e32 v94, v142, v206
	v_add_f32_e32 v149, v149, v150
	s_waitcnt vmcnt(8) lgkmcnt(0)
	v_mul_f32_e32 v150, v145, v210
	v_fma_f32 v94, v141, v205, -v94
	v_fmac_f32_e32 v150, v146, v209
	v_add_f32_e32 v93, v93, v94
	v_mul_f32_e32 v94, v144, v208
	v_add_f32_e32 v153, v149, v150
	ds_read_b128 v[149:152], v92 offset:704
	v_fma_f32 v94, v143, v207, -v94
	v_add_f32_e32 v93, v93, v94
	v_mul_f32_e32 v94, v146, v210
	s_waitcnt vmcnt(6)
	v_mul_f32_e32 v154, v147, v212
	v_fma_f32 v94, v145, v209, -v94
	v_fmac_f32_e32 v154, v148, v211
	v_add_f32_e32 v93, v93, v94
	v_mul_f32_e32 v94, v148, v212
	v_add_f32_e32 v219, v153, v154
	ds_read_b64 v[153:154], v92 offset:720
	v_fma_f32 v94, v147, v211, -v94
	v_add_f32_e32 v93, v93, v94
	s_waitcnt vmcnt(4) lgkmcnt(1)
	v_mul_f32_e32 v94, v150, v214
	v_mul_f32_e32 v220, v149, v214
	v_fma_f32 v94, v149, v213, -v94
	v_fmac_f32_e32 v220, v150, v213
	v_add_f32_e32 v93, v93, v94
	s_waitcnt vmcnt(3)
	v_mul_f32_e32 v94, v152, v215
	v_add_f32_e32 v219, v219, v220
	v_mul_f32_e32 v220, v151, v215
	s_waitcnt vmcnt(2)
	v_fma_f32 v94, v151, v216, -v94
	v_fmac_f32_e32 v220, v152, v216
	v_add_f32_e32 v93, v93, v94
	s_waitcnt vmcnt(0) lgkmcnt(0)
	v_mul_f32_e32 v94, v154, v218
	v_add_f32_e32 v219, v219, v220
	v_mul_f32_e32 v220, v153, v218
	v_fma_f32 v94, v153, v217, -v94
	v_fmac_f32_e32 v220, v154, v217
	v_add_f32_e32 v93, v93, v94
	v_add_f32_e32 v219, v219, v220
	v_sub_f32_e32 v93, v177, v93
	v_sub_f32_e32 v94, v178, v219
	buffer_store_dword v93, off, s[0:3], 0 offset:104
	buffer_store_dword v94, off, s[0:3], 0 offset:108
	s_and_saveexec_b64 s[4:5], vcc
	s_cbranch_execz .LBB44_259
; %bb.258:
	buffer_load_dword v93, off, s[0:3], 0 offset:96
	buffer_load_dword v94, off, s[0:3], 0 offset:100
	s_waitcnt vmcnt(0)
	ds_write_b64 v91, v[93:94]
	buffer_store_dword v92, off, s[0:3], 0 offset:96
	buffer_store_dword v92, off, s[0:3], 0 offset:100
.LBB44_259:
	s_or_b64 exec, exec, s[4:5]
	s_waitcnt lgkmcnt(0)
	; wave barrier
	buffer_load_dword v157, off, s[0:3], 0 offset:108
	buffer_load_dword v158, off, s[0:3], 0 offset:116
	;; [unrolled: 1-line block ×26, first 2 shown]
	ds_read2_b64 v[93:96], v92 offset0:59 offset1:60
	ds_read2_b64 v[97:100], v92 offset0:61 offset1:62
	;; [unrolled: 1-line block ×4, first 2 shown]
	buffer_load_dword v183, off, s[0:3], 0 offset:204
	buffer_load_dword v184, off, s[0:3], 0 offset:200
	buffer_load_dword v185, off, s[0:3], 0 offset:208
	buffer_load_dword v186, off, s[0:3], 0 offset:212
	buffer_load_dword v187, off, s[0:3], 0 offset:216
	buffer_load_dword v188, off, s[0:3], 0 offset:220
	buffer_load_dword v189, off, s[0:3], 0 offset:224
	buffer_load_dword v190, off, s[0:3], 0 offset:228
	buffer_load_dword v191, off, s[0:3], 0 offset:232
	buffer_load_dword v192, off, s[0:3], 0 offset:236
	buffer_load_dword v193, off, s[0:3], 0 offset:240
	buffer_load_dword v194, off, s[0:3], 0 offset:244
	buffer_load_dword v195, off, s[0:3], 0 offset:248
	buffer_load_dword v196, off, s[0:3], 0 offset:252
	buffer_load_dword v197, off, s[0:3], 0 offset:256
	buffer_load_dword v198, off, s[0:3], 0 offset:260
	buffer_load_dword v199, off, s[0:3], 0 offset:264
	buffer_load_dword v200, off, s[0:3], 0 offset:268
	buffer_load_dword v201, off, s[0:3], 0 offset:272
	buffer_load_dword v202, off, s[0:3], 0 offset:276
	buffer_load_dword v203, off, s[0:3], 0 offset:280
	buffer_load_dword v204, off, s[0:3], 0 offset:284
	buffer_load_dword v205, off, s[0:3], 0 offset:288
	buffer_load_dword v206, off, s[0:3], 0 offset:292
	buffer_load_dword v207, off, s[0:3], 0 offset:296
	buffer_load_dword v208, off, s[0:3], 0 offset:300
	buffer_load_dword v209, off, s[0:3], 0 offset:304
	buffer_load_dword v210, off, s[0:3], 0 offset:308
	buffer_load_dword v211, off, s[0:3], 0 offset:312
	buffer_load_dword v212, off, s[0:3], 0 offset:316
	buffer_load_dword v213, off, s[0:3], 0 offset:320
	buffer_load_dword v214, off, s[0:3], 0 offset:324
	buffer_load_dword v215, off, s[0:3], 0 offset:328
	buffer_load_dword v216, off, s[0:3], 0 offset:332
	v_cmp_lt_u32_e32 vcc, 11, v0
	s_waitcnt vmcnt(59) lgkmcnt(3)
	v_mul_f32_e32 v109, v93, v157
	s_waitcnt vmcnt(58)
	v_mul_f32_e32 v110, v95, v158
	s_waitcnt vmcnt(57) lgkmcnt(2)
	v_mul_f32_e32 v111, v97, v159
	s_waitcnt vmcnt(56)
	v_mul_f32_e32 v112, v99, v160
	;; [unrolled: 4-line block ×4, first 2 shown]
	s_waitcnt vmcnt(51)
	v_fmac_f32_e32 v109, v94, v165
	s_waitcnt vmcnt(50)
	v_fmac_f32_e32 v110, v96, v166
	v_add_f32_e32 v109, 0, v109
	s_waitcnt vmcnt(49)
	v_fmac_f32_e32 v111, v98, v167
	v_add_f32_e32 v109, v109, v110
	;; [unrolled: 3-line block ×7, first 2 shown]
	v_add_f32_e32 v117, v109, v116
	ds_read2_b64 v[109:112], v92 offset0:67 offset1:68
	buffer_load_dword v217, off, s[0:3], 0 offset:340
	buffer_load_dword v218, off, s[0:3], 0 offset:336
	buffer_load_dword v219, off, s[0:3], 0 offset:344
	buffer_load_dword v220, off, s[0:3], 0 offset:348
	ds_read2_b64 v[113:116], v92 offset0:69 offset1:70
	buffer_load_dword v221, off, s[0:3], 0 offset:352
	buffer_load_dword v222, off, s[0:3], 0 offset:356
	v_mul_f32_e32 v94, v94, v157
	s_waitcnt vmcnt(49) lgkmcnt(1)
	v_mul_f32_e32 v118, v109, v173
	s_waitcnt vmcnt(48)
	v_fmac_f32_e32 v118, v110, v174
	v_fma_f32 v93, v93, v165, -v94
	v_mul_f32_e32 v94, v96, v158
	v_add_f32_e32 v117, v117, v118
	s_waitcnt vmcnt(46)
	v_mul_f32_e32 v118, v111, v176
	v_add_f32_e32 v93, 0, v93
	v_fma_f32 v94, v95, v166, -v94
	v_fmac_f32_e32 v118, v112, v175
	v_add_f32_e32 v93, v93, v94
	v_mul_f32_e32 v94, v98, v159
	v_add_f32_e32 v117, v117, v118
	s_waitcnt vmcnt(43) lgkmcnt(0)
	v_mul_f32_e32 v118, v113, v179
	v_fma_f32 v94, v97, v167, -v94
	s_waitcnt vmcnt(42)
	v_fmac_f32_e32 v118, v114, v180
	v_add_f32_e32 v93, v93, v94
	v_mul_f32_e32 v94, v100, v160
	v_add_f32_e32 v121, v117, v118
	ds_read2_b64 v[117:120], v92 offset0:71 offset1:72
	v_fma_f32 v94, v99, v168, -v94
	v_add_f32_e32 v93, v93, v94
	v_mul_f32_e32 v94, v102, v161
	s_waitcnt vmcnt(40)
	v_mul_f32_e32 v122, v115, v182
	v_fma_f32 v94, v101, v169, -v94
	v_fmac_f32_e32 v122, v116, v181
	v_add_f32_e32 v93, v93, v94
	v_mul_f32_e32 v94, v104, v162
	v_add_f32_e32 v125, v121, v122
	ds_read2_b64 v[121:124], v92 offset0:73 offset1:74
	v_fma_f32 v94, v103, v170, -v94
	s_waitcnt vmcnt(39) lgkmcnt(1)
	v_mul_f32_e32 v126, v117, v183
	v_add_f32_e32 v93, v93, v94
	v_mul_f32_e32 v94, v106, v163
	s_waitcnt vmcnt(38)
	v_fmac_f32_e32 v126, v118, v184
	v_fma_f32 v94, v105, v171, -v94
	v_add_f32_e32 v125, v125, v126
	s_waitcnt vmcnt(36)
	v_mul_f32_e32 v126, v119, v186
	v_add_f32_e32 v93, v93, v94
	v_mul_f32_e32 v94, v108, v164
	v_fmac_f32_e32 v126, v120, v185
	v_fma_f32 v94, v107, v172, -v94
	v_add_f32_e32 v125, v125, v126
	s_waitcnt vmcnt(34) lgkmcnt(0)
	v_mul_f32_e32 v126, v121, v188
	v_add_f32_e32 v93, v93, v94
	v_mul_f32_e32 v94, v110, v173
	v_fmac_f32_e32 v126, v122, v187
	v_fma_f32 v94, v109, v174, -v94
	v_add_f32_e32 v129, v125, v126
	ds_read2_b64 v[125:128], v92 offset0:75 offset1:76
	v_add_f32_e32 v93, v93, v94
	v_mul_f32_e32 v94, v112, v176
	v_fma_f32 v94, v111, v175, -v94
	s_waitcnt vmcnt(32)
	v_mul_f32_e32 v130, v123, v190
	v_add_f32_e32 v93, v93, v94
	v_mul_f32_e32 v94, v114, v179
	v_fmac_f32_e32 v130, v124, v189
	v_fma_f32 v94, v113, v180, -v94
	v_add_f32_e32 v133, v129, v130
	ds_read2_b64 v[129:132], v92 offset0:77 offset1:78
	v_add_f32_e32 v93, v93, v94
	v_mul_f32_e32 v94, v116, v182
	s_waitcnt vmcnt(30) lgkmcnt(1)
	v_mul_f32_e32 v134, v125, v192
	v_fma_f32 v94, v115, v181, -v94
	v_fmac_f32_e32 v134, v126, v191
	v_add_f32_e32 v93, v93, v94
	v_mul_f32_e32 v94, v118, v183
	v_add_f32_e32 v133, v133, v134
	s_waitcnt vmcnt(28)
	v_mul_f32_e32 v134, v127, v194
	v_fma_f32 v94, v117, v184, -v94
	v_fmac_f32_e32 v134, v128, v193
	v_add_f32_e32 v93, v93, v94
	v_mul_f32_e32 v94, v120, v186
	v_add_f32_e32 v133, v133, v134
	s_waitcnt vmcnt(26) lgkmcnt(0)
	v_mul_f32_e32 v134, v129, v196
	v_fma_f32 v94, v119, v185, -v94
	v_fmac_f32_e32 v134, v130, v195
	v_add_f32_e32 v93, v93, v94
	v_mul_f32_e32 v94, v122, v188
	v_add_f32_e32 v137, v133, v134
	ds_read2_b64 v[133:136], v92 offset0:79 offset1:80
	v_fma_f32 v94, v121, v187, -v94
	v_add_f32_e32 v93, v93, v94
	v_mul_f32_e32 v94, v124, v190
	s_waitcnt vmcnt(24)
	v_mul_f32_e32 v138, v131, v198
	v_fma_f32 v94, v123, v189, -v94
	v_fmac_f32_e32 v138, v132, v197
	v_add_f32_e32 v93, v93, v94
	v_mul_f32_e32 v94, v126, v192
	v_add_f32_e32 v141, v137, v138
	ds_read2_b64 v[137:140], v92 offset0:81 offset1:82
	v_fma_f32 v94, v125, v191, -v94
	s_waitcnt vmcnt(22) lgkmcnt(1)
	v_mul_f32_e32 v142, v133, v200
	v_add_f32_e32 v93, v93, v94
	v_mul_f32_e32 v94, v128, v194
	v_fmac_f32_e32 v142, v134, v199
	v_fma_f32 v94, v127, v193, -v94
	v_add_f32_e32 v141, v141, v142
	s_waitcnt vmcnt(20)
	v_mul_f32_e32 v142, v135, v202
	v_add_f32_e32 v93, v93, v94
	v_mul_f32_e32 v94, v130, v196
	v_fmac_f32_e32 v142, v136, v201
	v_fma_f32 v94, v129, v195, -v94
	v_add_f32_e32 v141, v141, v142
	s_waitcnt vmcnt(18) lgkmcnt(0)
	v_mul_f32_e32 v142, v137, v204
	v_add_f32_e32 v93, v93, v94
	v_mul_f32_e32 v94, v132, v198
	v_fmac_f32_e32 v142, v138, v203
	v_fma_f32 v94, v131, v197, -v94
	v_add_f32_e32 v145, v141, v142
	ds_read2_b64 v[141:144], v92 offset0:83 offset1:84
	v_add_f32_e32 v93, v93, v94
	v_mul_f32_e32 v94, v134, v200
	v_fma_f32 v94, v133, v199, -v94
	s_waitcnt vmcnt(16)
	v_mul_f32_e32 v146, v139, v206
	v_add_f32_e32 v93, v93, v94
	v_mul_f32_e32 v94, v136, v202
	v_fmac_f32_e32 v146, v140, v205
	v_fma_f32 v94, v135, v201, -v94
	v_add_f32_e32 v149, v145, v146
	ds_read2_b64 v[145:148], v92 offset0:85 offset1:86
	v_add_f32_e32 v93, v93, v94
	v_mul_f32_e32 v94, v138, v204
	s_waitcnt vmcnt(14) lgkmcnt(1)
	v_mul_f32_e32 v150, v141, v208
	v_fma_f32 v94, v137, v203, -v94
	v_fmac_f32_e32 v150, v142, v207
	v_add_f32_e32 v93, v93, v94
	v_mul_f32_e32 v94, v140, v206
	v_add_f32_e32 v149, v149, v150
	s_waitcnt vmcnt(12)
	v_mul_f32_e32 v150, v143, v210
	v_fma_f32 v94, v139, v205, -v94
	v_fmac_f32_e32 v150, v144, v209
	v_add_f32_e32 v93, v93, v94
	v_mul_f32_e32 v94, v142, v208
	v_add_f32_e32 v149, v149, v150
	s_waitcnt vmcnt(10) lgkmcnt(0)
	v_mul_f32_e32 v150, v145, v212
	v_fma_f32 v94, v141, v207, -v94
	v_fmac_f32_e32 v150, v146, v211
	v_add_f32_e32 v93, v93, v94
	v_mul_f32_e32 v94, v144, v210
	v_add_f32_e32 v153, v149, v150
	ds_read2_b64 v[149:152], v92 offset0:87 offset1:88
	v_fma_f32 v94, v143, v209, -v94
	v_add_f32_e32 v93, v93, v94
	v_mul_f32_e32 v94, v146, v212
	s_waitcnt vmcnt(8)
	v_mul_f32_e32 v154, v147, v214
	v_fma_f32 v94, v145, v211, -v94
	v_fmac_f32_e32 v154, v148, v213
	v_add_f32_e32 v93, v93, v94
	v_mul_f32_e32 v94, v148, v214
	v_add_f32_e32 v223, v153, v154
	ds_read2_b64 v[153:156], v92 offset0:89 offset1:90
	v_fma_f32 v94, v147, v213, -v94
	v_add_f32_e32 v93, v93, v94
	s_waitcnt vmcnt(6) lgkmcnt(1)
	v_mul_f32_e32 v94, v150, v216
	v_mul_f32_e32 v92, v149, v216
	v_fma_f32 v94, v149, v215, -v94
	v_fmac_f32_e32 v92, v150, v215
	v_add_f32_e32 v93, v93, v94
	s_waitcnt vmcnt(5)
	v_mul_f32_e32 v94, v152, v217
	v_add_f32_e32 v92, v223, v92
	v_mul_f32_e32 v223, v151, v217
	s_waitcnt vmcnt(4)
	v_fma_f32 v94, v151, v218, -v94
	v_fmac_f32_e32 v223, v152, v218
	v_add_f32_e32 v93, v93, v94
	s_waitcnt vmcnt(2) lgkmcnt(0)
	v_mul_f32_e32 v94, v154, v220
	v_add_f32_e32 v92, v92, v223
	v_mul_f32_e32 v223, v153, v220
	v_fma_f32 v94, v153, v219, -v94
	v_fmac_f32_e32 v223, v154, v219
	v_add_f32_e32 v93, v93, v94
	s_waitcnt vmcnt(0)
	v_mul_f32_e32 v94, v156, v222
	v_add_f32_e32 v92, v92, v223
	v_mul_f32_e32 v223, v155, v222
	v_fma_f32 v94, v155, v221, -v94
	v_fmac_f32_e32 v223, v156, v221
	v_add_f32_e32 v93, v93, v94
	v_add_f32_e32 v92, v92, v223
	v_sub_f32_e32 v93, v177, v93
	v_sub_f32_e32 v92, v178, v92
	buffer_store_dword v93, off, s[0:3], 0 offset:96
	buffer_store_dword v92, off, s[0:3], 0 offset:100
	s_and_saveexec_b64 s[4:5], vcc
	s_cbranch_execz .LBB44_261
; %bb.260:
	buffer_load_dword v92, off, s[0:3], 0 offset:88
	buffer_load_dword v93, off, s[0:3], 0 offset:92
	v_mov_b32_e32 v94, 0
	buffer_store_dword v94, off, s[0:3], 0 offset:88
	buffer_store_dword v94, off, s[0:3], 0 offset:92
	s_waitcnt vmcnt(2)
	ds_write_b64 v91, v[92:93]
.LBB44_261:
	s_or_b64 exec, exec, s[4:5]
	s_waitcnt lgkmcnt(0)
	; wave barrier
	buffer_load_dword v159, off, s[0:3], 0 offset:100
	buffer_load_dword v160, off, s[0:3], 0 offset:108
	;; [unrolled: 1-line block ×58, first 2 shown]
	v_mov_b32_e32 v92, 0
	ds_read_b128 v[93:96], v92 offset:464
	ds_read_b128 v[97:100], v92 offset:480
	;; [unrolled: 1-line block ×5, first 2 shown]
	buffer_load_dword v217, off, s[0:3], 0 offset:320
	buffer_load_dword v218, off, s[0:3], 0 offset:324
	v_cmp_lt_u32_e32 vcc, 10, v0
	s_waitcnt vmcnt(59) lgkmcnt(4)
	v_mul_f32_e32 v113, v93, v159
	s_waitcnt vmcnt(58)
	v_mul_f32_e32 v114, v95, v160
	s_waitcnt vmcnt(57) lgkmcnt(3)
	v_mul_f32_e32 v115, v97, v161
	s_waitcnt vmcnt(56)
	v_mul_f32_e32 v116, v99, v162
	;; [unrolled: 4-line block ×4, first 2 shown]
	s_waitcnt vmcnt(51)
	v_fmac_f32_e32 v113, v94, v167
	s_waitcnt vmcnt(50)
	v_fmac_f32_e32 v114, v96, v168
	v_add_f32_e32 v113, 0, v113
	s_waitcnt vmcnt(49)
	v_fmac_f32_e32 v115, v98, v169
	v_add_f32_e32 v113, v113, v114
	;; [unrolled: 3-line block ×7, first 2 shown]
	v_add_f32_e32 v117, v113, v120
	ds_read_b128 v[113:116], v92 offset:544
	buffer_load_dword v219, off, s[0:3], 0 offset:332
	buffer_load_dword v220, off, s[0:3], 0 offset:328
	;; [unrolled: 1-line block ×8, first 2 shown]
	s_waitcnt vmcnt(51) lgkmcnt(1)
	v_mul_f32_e32 v118, v109, v175
	s_waitcnt vmcnt(50)
	v_fmac_f32_e32 v118, v110, v176
	v_mul_f32_e32 v94, v94, v159
	v_add_f32_e32 v117, v117, v118
	s_waitcnt vmcnt(49)
	v_mul_f32_e32 v118, v111, v177
	v_fma_f32 v93, v93, v167, -v94
	v_mul_f32_e32 v94, v96, v160
	s_waitcnt vmcnt(46)
	v_fmac_f32_e32 v118, v112, v180
	v_add_f32_e32 v93, 0, v93
	v_fma_f32 v94, v95, v168, -v94
	v_add_f32_e32 v117, v117, v118
	s_waitcnt vmcnt(44) lgkmcnt(0)
	v_mul_f32_e32 v118, v113, v182
	v_add_f32_e32 v93, v93, v94
	v_mul_f32_e32 v94, v98, v161
	v_fmac_f32_e32 v118, v114, v181
	v_fma_f32 v94, v97, v169, -v94
	v_add_f32_e32 v121, v117, v118
	ds_read_b128 v[117:120], v92 offset:560
	v_add_f32_e32 v93, v93, v94
	v_mul_f32_e32 v94, v100, v162
	v_fma_f32 v94, v99, v170, -v94
	s_waitcnt vmcnt(42)
	v_mul_f32_e32 v122, v115, v184
	v_add_f32_e32 v93, v93, v94
	v_mul_f32_e32 v94, v102, v163
	v_fmac_f32_e32 v122, v116, v183
	v_fma_f32 v94, v101, v171, -v94
	v_add_f32_e32 v125, v121, v122
	ds_read_b128 v[121:124], v92 offset:576
	v_add_f32_e32 v93, v93, v94
	v_mul_f32_e32 v94, v104, v164
	s_waitcnt vmcnt(40) lgkmcnt(1)
	v_mul_f32_e32 v126, v117, v186
	v_fma_f32 v94, v103, v172, -v94
	v_fmac_f32_e32 v126, v118, v185
	v_add_f32_e32 v93, v93, v94
	v_mul_f32_e32 v94, v106, v165
	v_add_f32_e32 v125, v125, v126
	s_waitcnt vmcnt(38)
	v_mul_f32_e32 v126, v119, v188
	v_fma_f32 v94, v105, v173, -v94
	v_fmac_f32_e32 v126, v120, v187
	v_add_f32_e32 v93, v93, v94
	v_mul_f32_e32 v94, v108, v166
	v_add_f32_e32 v125, v125, v126
	s_waitcnt vmcnt(36) lgkmcnt(0)
	v_mul_f32_e32 v126, v121, v190
	v_fma_f32 v94, v107, v174, -v94
	v_fmac_f32_e32 v126, v122, v189
	v_add_f32_e32 v93, v93, v94
	v_mul_f32_e32 v94, v110, v175
	v_add_f32_e32 v129, v125, v126
	ds_read_b128 v[125:128], v92 offset:592
	v_fma_f32 v94, v109, v176, -v94
	v_add_f32_e32 v93, v93, v94
	v_mul_f32_e32 v94, v112, v177
	s_waitcnt vmcnt(34)
	v_mul_f32_e32 v130, v123, v192
	v_fma_f32 v94, v111, v180, -v94
	v_fmac_f32_e32 v130, v124, v191
	v_add_f32_e32 v93, v93, v94
	v_mul_f32_e32 v94, v114, v182
	v_add_f32_e32 v133, v129, v130
	ds_read_b128 v[129:132], v92 offset:608
	v_fma_f32 v94, v113, v181, -v94
	s_waitcnt vmcnt(32) lgkmcnt(1)
	v_mul_f32_e32 v134, v125, v194
	v_add_f32_e32 v93, v93, v94
	v_mul_f32_e32 v94, v116, v184
	v_fmac_f32_e32 v134, v126, v193
	v_fma_f32 v94, v115, v183, -v94
	v_add_f32_e32 v133, v133, v134
	s_waitcnt vmcnt(30)
	v_mul_f32_e32 v134, v127, v196
	v_add_f32_e32 v93, v93, v94
	v_mul_f32_e32 v94, v118, v186
	v_fmac_f32_e32 v134, v128, v195
	v_fma_f32 v94, v117, v185, -v94
	v_add_f32_e32 v133, v133, v134
	s_waitcnt vmcnt(28) lgkmcnt(0)
	v_mul_f32_e32 v134, v129, v198
	v_add_f32_e32 v93, v93, v94
	v_mul_f32_e32 v94, v120, v188
	v_fmac_f32_e32 v134, v130, v197
	v_fma_f32 v94, v119, v187, -v94
	v_add_f32_e32 v137, v133, v134
	ds_read_b128 v[133:136], v92 offset:624
	v_add_f32_e32 v93, v93, v94
	v_mul_f32_e32 v94, v122, v190
	v_fma_f32 v94, v121, v189, -v94
	s_waitcnt vmcnt(26)
	v_mul_f32_e32 v138, v131, v200
	v_add_f32_e32 v93, v93, v94
	v_mul_f32_e32 v94, v124, v192
	v_fmac_f32_e32 v138, v132, v199
	v_fma_f32 v94, v123, v191, -v94
	v_add_f32_e32 v141, v137, v138
	ds_read_b128 v[137:140], v92 offset:640
	v_add_f32_e32 v93, v93, v94
	v_mul_f32_e32 v94, v126, v194
	s_waitcnt vmcnt(24) lgkmcnt(1)
	v_mul_f32_e32 v142, v133, v202
	v_fma_f32 v94, v125, v193, -v94
	v_fmac_f32_e32 v142, v134, v201
	v_add_f32_e32 v93, v93, v94
	v_mul_f32_e32 v94, v128, v196
	v_add_f32_e32 v141, v141, v142
	s_waitcnt vmcnt(22)
	v_mul_f32_e32 v142, v135, v204
	v_fma_f32 v94, v127, v195, -v94
	v_fmac_f32_e32 v142, v136, v203
	v_add_f32_e32 v93, v93, v94
	v_mul_f32_e32 v94, v130, v198
	v_add_f32_e32 v141, v141, v142
	s_waitcnt vmcnt(20) lgkmcnt(0)
	v_mul_f32_e32 v142, v137, v206
	v_fma_f32 v94, v129, v197, -v94
	v_fmac_f32_e32 v142, v138, v205
	v_add_f32_e32 v93, v93, v94
	v_mul_f32_e32 v94, v132, v200
	v_add_f32_e32 v145, v141, v142
	ds_read_b128 v[141:144], v92 offset:656
	v_fma_f32 v94, v131, v199, -v94
	v_add_f32_e32 v93, v93, v94
	v_mul_f32_e32 v94, v134, v202
	s_waitcnt vmcnt(18)
	v_mul_f32_e32 v146, v139, v208
	v_fma_f32 v94, v133, v201, -v94
	v_fmac_f32_e32 v146, v140, v207
	v_add_f32_e32 v93, v93, v94
	v_mul_f32_e32 v94, v136, v204
	v_add_f32_e32 v149, v145, v146
	ds_read_b128 v[145:148], v92 offset:672
	v_fma_f32 v94, v135, v203, -v94
	s_waitcnt vmcnt(16) lgkmcnt(1)
	v_mul_f32_e32 v150, v141, v210
	v_add_f32_e32 v93, v93, v94
	v_mul_f32_e32 v94, v138, v206
	v_fmac_f32_e32 v150, v142, v209
	v_fma_f32 v94, v137, v205, -v94
	v_add_f32_e32 v149, v149, v150
	s_waitcnt vmcnt(14)
	v_mul_f32_e32 v150, v143, v212
	v_add_f32_e32 v93, v93, v94
	v_mul_f32_e32 v94, v140, v208
	v_fmac_f32_e32 v150, v144, v211
	v_fma_f32 v94, v139, v207, -v94
	v_add_f32_e32 v149, v149, v150
	s_waitcnt vmcnt(12) lgkmcnt(0)
	v_mul_f32_e32 v150, v145, v214
	v_add_f32_e32 v93, v93, v94
	v_mul_f32_e32 v94, v142, v210
	v_fmac_f32_e32 v150, v146, v213
	v_fma_f32 v94, v141, v209, -v94
	v_add_f32_e32 v153, v149, v150
	ds_read_b128 v[149:152], v92 offset:688
	v_add_f32_e32 v93, v93, v94
	v_mul_f32_e32 v94, v144, v212
	v_fma_f32 v94, v143, v211, -v94
	v_add_f32_e32 v93, v93, v94
	v_mul_f32_e32 v94, v146, v214
	s_waitcnt vmcnt(10)
	v_mul_f32_e32 v154, v147, v216
	v_fma_f32 v94, v145, v213, -v94
	v_fmac_f32_e32 v154, v148, v215
	v_add_f32_e32 v93, v93, v94
	v_mul_f32_e32 v94, v148, v216
	v_add_f32_e32 v157, v153, v154
	ds_read_b128 v[153:156], v92 offset:704
	s_waitcnt vmcnt(8) lgkmcnt(1)
	v_mul_f32_e32 v158, v149, v218
	v_fma_f32 v94, v147, v215, -v94
	v_fmac_f32_e32 v158, v150, v217
	v_add_f32_e32 v93, v93, v94
	v_mul_f32_e32 v94, v150, v218
	v_add_f32_e32 v157, v157, v158
	s_waitcnt vmcnt(7)
	v_mul_f32_e32 v158, v151, v219
	v_fma_f32 v94, v149, v217, -v94
	s_waitcnt vmcnt(6)
	v_fmac_f32_e32 v158, v152, v220
	v_add_f32_e32 v93, v93, v94
	v_mul_f32_e32 v94, v152, v219
	v_add_f32_e32 v227, v157, v158
	ds_read_b64 v[157:158], v92 offset:720
	v_fma_f32 v94, v151, v220, -v94
	v_add_f32_e32 v93, v93, v94
	s_waitcnt vmcnt(4) lgkmcnt(1)
	v_mul_f32_e32 v94, v154, v222
	v_mul_f32_e32 v228, v153, v222
	v_fma_f32 v94, v153, v221, -v94
	v_fmac_f32_e32 v228, v154, v221
	v_add_f32_e32 v93, v93, v94
	s_waitcnt vmcnt(3)
	v_mul_f32_e32 v94, v156, v223
	v_add_f32_e32 v227, v227, v228
	v_mul_f32_e32 v228, v155, v223
	s_waitcnt vmcnt(2)
	v_fma_f32 v94, v155, v224, -v94
	v_fmac_f32_e32 v228, v156, v224
	v_add_f32_e32 v93, v93, v94
	s_waitcnt vmcnt(0) lgkmcnt(0)
	v_mul_f32_e32 v94, v158, v226
	v_add_f32_e32 v227, v227, v228
	v_mul_f32_e32 v228, v157, v226
	v_fma_f32 v94, v157, v225, -v94
	v_fmac_f32_e32 v228, v158, v225
	v_add_f32_e32 v93, v93, v94
	v_add_f32_e32 v227, v227, v228
	v_sub_f32_e32 v93, v178, v93
	v_sub_f32_e32 v94, v179, v227
	buffer_store_dword v93, off, s[0:3], 0 offset:88
	buffer_store_dword v94, off, s[0:3], 0 offset:92
	s_and_saveexec_b64 s[4:5], vcc
	s_cbranch_execz .LBB44_263
; %bb.262:
	buffer_load_dword v93, off, s[0:3], 0 offset:80
	buffer_load_dword v94, off, s[0:3], 0 offset:84
	s_waitcnt vmcnt(0)
	ds_write_b64 v91, v[93:94]
	buffer_store_dword v92, off, s[0:3], 0 offset:80
	buffer_store_dword v92, off, s[0:3], 0 offset:84
.LBB44_263:
	s_or_b64 exec, exec, s[4:5]
	s_waitcnt lgkmcnt(0)
	; wave barrier
	buffer_load_dword v161, off, s[0:3], 0 offset:92
	buffer_load_dword v162, off, s[0:3], 0 offset:100
	;; [unrolled: 1-line block ×24, first 2 shown]
	ds_read2_b64 v[93:96], v92 offset0:57 offset1:58
	ds_read2_b64 v[97:100], v92 offset0:59 offset1:60
	;; [unrolled: 1-line block ×6, first 2 shown]
	buffer_load_dword v185, off, s[0:3], 0 offset:180
	buffer_load_dword v186, off, s[0:3], 0 offset:176
	;; [unrolled: 1-line block ×46, first 2 shown]
	v_cmp_lt_u32_e32 vcc, 9, v0
	s_waitcnt vmcnt(62) lgkmcnt(5)
	v_mul_f32_e32 v117, v93, v161
	v_mul_f32_e32 v118, v95, v162
	s_waitcnt lgkmcnt(4)
	v_mul_f32_e32 v119, v97, v163
	v_mul_f32_e32 v120, v99, v164
	s_waitcnt lgkmcnt(3)
	;; [unrolled: 3-line block ×3, first 2 shown]
	v_mul_f32_e32 v123, v105, v167
	v_mul_f32_e32 v124, v107, v168
	s_waitcnt vmcnt(61)
	v_fmac_f32_e32 v117, v94, v169
	s_waitcnt vmcnt(60)
	v_fmac_f32_e32 v118, v96, v170
	v_add_f32_e32 v117, 0, v117
	s_waitcnt vmcnt(59)
	v_fmac_f32_e32 v119, v98, v171
	v_add_f32_e32 v117, v117, v118
	;; [unrolled: 3-line block ×7, first 2 shown]
	s_waitcnt vmcnt(53) lgkmcnt(1)
	v_mul_f32_e32 v118, v109, v177
	v_add_f32_e32 v117, v117, v124
	s_waitcnt vmcnt(52)
	v_fmac_f32_e32 v118, v110, v178
	v_mul_f32_e32 v94, v94, v161
	v_add_f32_e32 v117, v117, v118
	s_waitcnt vmcnt(51)
	v_mul_f32_e32 v118, v111, v179
	v_fma_f32 v93, v93, v169, -v94
	v_mul_f32_e32 v94, v96, v162
	s_waitcnt vmcnt(50)
	v_fmac_f32_e32 v118, v112, v180
	v_add_f32_e32 v93, 0, v93
	v_fma_f32 v94, v95, v170, -v94
	v_add_f32_e32 v117, v117, v118
	s_waitcnt vmcnt(47) lgkmcnt(0)
	v_mul_f32_e32 v118, v113, v183
	v_add_f32_e32 v93, v93, v94
	v_mul_f32_e32 v94, v98, v163
	s_waitcnt vmcnt(46)
	v_fmac_f32_e32 v118, v114, v184
	v_fma_f32 v94, v97, v171, -v94
	v_add_f32_e32 v121, v117, v118
	ds_read2_b64 v[117:120], v92 offset0:69 offset1:70
	v_add_f32_e32 v93, v93, v94
	v_mul_f32_e32 v94, v100, v164
	v_fma_f32 v94, v99, v172, -v94
	s_waitcnt vmcnt(45)
	v_mul_f32_e32 v122, v115, v185
	v_add_f32_e32 v93, v93, v94
	v_mul_f32_e32 v94, v102, v165
	s_waitcnt vmcnt(44)
	v_fmac_f32_e32 v122, v116, v186
	v_fma_f32 v94, v101, v173, -v94
	v_add_f32_e32 v125, v121, v122
	ds_read2_b64 v[121:124], v92 offset0:71 offset1:72
	v_add_f32_e32 v93, v93, v94
	v_mul_f32_e32 v94, v104, v166
	s_waitcnt vmcnt(42) lgkmcnt(1)
	v_mul_f32_e32 v126, v117, v188
	v_fma_f32 v94, v103, v174, -v94
	v_fmac_f32_e32 v126, v118, v187
	v_add_f32_e32 v93, v93, v94
	v_mul_f32_e32 v94, v106, v167
	v_add_f32_e32 v125, v125, v126
	s_waitcnt vmcnt(40)
	v_mul_f32_e32 v126, v119, v190
	v_fma_f32 v94, v105, v175, -v94
	v_fmac_f32_e32 v126, v120, v189
	v_add_f32_e32 v93, v93, v94
	v_mul_f32_e32 v94, v108, v168
	v_add_f32_e32 v125, v125, v126
	s_waitcnt vmcnt(38) lgkmcnt(0)
	v_mul_f32_e32 v126, v121, v192
	v_fma_f32 v94, v107, v176, -v94
	v_fmac_f32_e32 v126, v122, v191
	v_add_f32_e32 v93, v93, v94
	v_mul_f32_e32 v94, v110, v177
	v_add_f32_e32 v129, v125, v126
	ds_read2_b64 v[125:128], v92 offset0:73 offset1:74
	v_fma_f32 v94, v109, v178, -v94
	v_add_f32_e32 v93, v93, v94
	v_mul_f32_e32 v94, v112, v179
	s_waitcnt vmcnt(36)
	v_mul_f32_e32 v130, v123, v194
	v_fma_f32 v94, v111, v180, -v94
	v_fmac_f32_e32 v130, v124, v193
	v_add_f32_e32 v93, v93, v94
	v_mul_f32_e32 v94, v114, v183
	v_add_f32_e32 v133, v129, v130
	ds_read2_b64 v[129:132], v92 offset0:75 offset1:76
	v_fma_f32 v94, v113, v184, -v94
	s_waitcnt vmcnt(34) lgkmcnt(1)
	v_mul_f32_e32 v134, v125, v196
	v_add_f32_e32 v93, v93, v94
	v_mul_f32_e32 v94, v116, v185
	v_fmac_f32_e32 v134, v126, v195
	v_fma_f32 v94, v115, v186, -v94
	v_add_f32_e32 v133, v133, v134
	s_waitcnt vmcnt(32)
	v_mul_f32_e32 v134, v127, v198
	v_add_f32_e32 v93, v93, v94
	v_mul_f32_e32 v94, v118, v188
	v_fmac_f32_e32 v134, v128, v197
	v_fma_f32 v94, v117, v187, -v94
	v_add_f32_e32 v133, v133, v134
	s_waitcnt vmcnt(30) lgkmcnt(0)
	v_mul_f32_e32 v134, v129, v200
	v_add_f32_e32 v93, v93, v94
	v_mul_f32_e32 v94, v120, v190
	v_fmac_f32_e32 v134, v130, v199
	v_fma_f32 v94, v119, v189, -v94
	v_add_f32_e32 v137, v133, v134
	ds_read2_b64 v[133:136], v92 offset0:77 offset1:78
	v_add_f32_e32 v93, v93, v94
	v_mul_f32_e32 v94, v122, v192
	v_fma_f32 v94, v121, v191, -v94
	s_waitcnt vmcnt(28)
	v_mul_f32_e32 v138, v131, v202
	v_add_f32_e32 v93, v93, v94
	v_mul_f32_e32 v94, v124, v194
	v_fmac_f32_e32 v138, v132, v201
	v_fma_f32 v94, v123, v193, -v94
	v_add_f32_e32 v141, v137, v138
	ds_read2_b64 v[137:140], v92 offset0:79 offset1:80
	v_add_f32_e32 v93, v93, v94
	v_mul_f32_e32 v94, v126, v196
	s_waitcnt vmcnt(26) lgkmcnt(1)
	v_mul_f32_e32 v142, v133, v204
	v_fma_f32 v94, v125, v195, -v94
	v_fmac_f32_e32 v142, v134, v203
	v_add_f32_e32 v93, v93, v94
	v_mul_f32_e32 v94, v128, v198
	v_add_f32_e32 v141, v141, v142
	s_waitcnt vmcnt(24)
	v_mul_f32_e32 v142, v135, v206
	v_fma_f32 v94, v127, v197, -v94
	v_fmac_f32_e32 v142, v136, v205
	v_add_f32_e32 v93, v93, v94
	v_mul_f32_e32 v94, v130, v200
	v_add_f32_e32 v141, v141, v142
	s_waitcnt vmcnt(22) lgkmcnt(0)
	v_mul_f32_e32 v142, v137, v208
	v_fma_f32 v94, v129, v199, -v94
	v_fmac_f32_e32 v142, v138, v207
	v_add_f32_e32 v93, v93, v94
	v_mul_f32_e32 v94, v132, v202
	v_add_f32_e32 v145, v141, v142
	ds_read2_b64 v[141:144], v92 offset0:81 offset1:82
	v_fma_f32 v94, v131, v201, -v94
	v_add_f32_e32 v93, v93, v94
	v_mul_f32_e32 v94, v134, v204
	s_waitcnt vmcnt(20)
	v_mul_f32_e32 v146, v139, v210
	v_fma_f32 v94, v133, v203, -v94
	v_fmac_f32_e32 v146, v140, v209
	v_add_f32_e32 v93, v93, v94
	v_mul_f32_e32 v94, v136, v206
	v_add_f32_e32 v149, v145, v146
	ds_read2_b64 v[145:148], v92 offset0:83 offset1:84
	v_fma_f32 v94, v135, v205, -v94
	s_waitcnt vmcnt(18) lgkmcnt(1)
	v_mul_f32_e32 v150, v141, v212
	v_add_f32_e32 v93, v93, v94
	v_mul_f32_e32 v94, v138, v208
	v_fmac_f32_e32 v150, v142, v211
	v_fma_f32 v94, v137, v207, -v94
	v_add_f32_e32 v149, v149, v150
	s_waitcnt vmcnt(16)
	v_mul_f32_e32 v150, v143, v214
	v_add_f32_e32 v93, v93, v94
	v_mul_f32_e32 v94, v140, v210
	v_fmac_f32_e32 v150, v144, v213
	v_fma_f32 v94, v139, v209, -v94
	v_add_f32_e32 v149, v149, v150
	s_waitcnt vmcnt(14) lgkmcnt(0)
	v_mul_f32_e32 v150, v145, v216
	v_add_f32_e32 v93, v93, v94
	v_mul_f32_e32 v94, v142, v212
	v_fmac_f32_e32 v150, v146, v215
	v_fma_f32 v94, v141, v211, -v94
	v_add_f32_e32 v153, v149, v150
	ds_read2_b64 v[149:152], v92 offset0:85 offset1:86
	v_add_f32_e32 v93, v93, v94
	v_mul_f32_e32 v94, v144, v214
	v_fma_f32 v94, v143, v213, -v94
	v_add_f32_e32 v93, v93, v94
	v_mul_f32_e32 v94, v146, v216
	s_waitcnt vmcnt(12)
	v_mul_f32_e32 v154, v147, v218
	v_fma_f32 v94, v145, v215, -v94
	v_fmac_f32_e32 v154, v148, v217
	v_add_f32_e32 v93, v93, v94
	v_mul_f32_e32 v94, v148, v218
	v_add_f32_e32 v157, v153, v154
	ds_read2_b64 v[153:156], v92 offset0:87 offset1:88
	s_waitcnt vmcnt(10) lgkmcnt(1)
	v_mul_f32_e32 v158, v149, v220
	v_fma_f32 v94, v147, v217, -v94
	v_fmac_f32_e32 v158, v150, v219
	v_add_f32_e32 v93, v93, v94
	v_mul_f32_e32 v94, v150, v220
	v_add_f32_e32 v157, v157, v158
	s_waitcnt vmcnt(9)
	v_mul_f32_e32 v158, v151, v221
	v_fma_f32 v94, v149, v219, -v94
	s_waitcnt vmcnt(8)
	v_fmac_f32_e32 v158, v152, v222
	v_add_f32_e32 v93, v93, v94
	v_mul_f32_e32 v94, v152, v221
	v_add_f32_e32 v231, v157, v158
	ds_read2_b64 v[157:160], v92 offset0:89 offset1:90
	v_fma_f32 v94, v151, v222, -v94
	v_add_f32_e32 v93, v93, v94
	s_waitcnt vmcnt(6) lgkmcnt(1)
	v_mul_f32_e32 v94, v154, v224
	v_mul_f32_e32 v232, v153, v224
	v_fma_f32 v94, v153, v223, -v94
	v_fmac_f32_e32 v232, v154, v223
	v_add_f32_e32 v93, v93, v94
	s_waitcnt vmcnt(4)
	v_mul_f32_e32 v94, v156, v226
	v_add_f32_e32 v92, v231, v232
	v_mul_f32_e32 v231, v155, v226
	v_fma_f32 v94, v155, v225, -v94
	v_fmac_f32_e32 v231, v156, v225
	v_add_f32_e32 v93, v93, v94
	s_waitcnt vmcnt(3) lgkmcnt(0)
	v_mul_f32_e32 v94, v158, v227
	v_add_f32_e32 v92, v92, v231
	v_mul_f32_e32 v231, v157, v227
	s_waitcnt vmcnt(2)
	v_fma_f32 v94, v157, v228, -v94
	v_fmac_f32_e32 v231, v158, v228
	v_add_f32_e32 v93, v93, v94
	s_waitcnt vmcnt(0)
	v_mul_f32_e32 v94, v160, v230
	v_add_f32_e32 v92, v92, v231
	v_mul_f32_e32 v231, v159, v230
	v_fma_f32 v94, v159, v229, -v94
	v_fmac_f32_e32 v231, v160, v229
	v_add_f32_e32 v93, v93, v94
	v_add_f32_e32 v92, v92, v231
	v_sub_f32_e32 v93, v181, v93
	v_sub_f32_e32 v92, v182, v92
	buffer_store_dword v93, off, s[0:3], 0 offset:80
	buffer_store_dword v92, off, s[0:3], 0 offset:84
	s_and_saveexec_b64 s[4:5], vcc
	s_cbranch_execz .LBB44_265
; %bb.264:
	buffer_load_dword v92, off, s[0:3], 0 offset:72
	buffer_load_dword v93, off, s[0:3], 0 offset:76
	v_mov_b32_e32 v94, 0
	buffer_store_dword v94, off, s[0:3], 0 offset:72
	buffer_store_dword v94, off, s[0:3], 0 offset:76
	s_waitcnt vmcnt(2)
	ds_write_b64 v91, v[92:93]
.LBB44_265:
	s_or_b64 exec, exec, s[4:5]
	s_waitcnt lgkmcnt(0)
	; wave barrier
	buffer_load_dword v163, off, s[0:3], 0 offset:84
	buffer_load_dword v164, off, s[0:3], 0 offset:92
	;; [unrolled: 1-line block ×56, first 2 shown]
	v_mov_b32_e32 v92, 0
	ds_read_b128 v[93:96], v92 offset:448
	ds_read_b128 v[97:100], v92 offset:464
	;; [unrolled: 1-line block ×6, first 2 shown]
	buffer_load_dword v219, off, s[0:3], 0 offset:296
	buffer_load_dword v220, off, s[0:3], 0 offset:300
	;; [unrolled: 1-line block ×12, first 2 shown]
	v_cmp_lt_u32_e32 vcc, 8, v0
	s_waitcnt vmcnt(62) lgkmcnt(5)
	v_mul_f32_e32 v117, v93, v163
	v_mul_f32_e32 v118, v95, v164
	s_waitcnt lgkmcnt(4)
	v_mul_f32_e32 v119, v97, v165
	v_mul_f32_e32 v120, v99, v166
	s_waitcnt lgkmcnt(3)
	v_mul_f32_e32 v121, v101, v167
	v_mul_f32_e32 v122, v103, v168
	s_waitcnt vmcnt(61) lgkmcnt(2)
	v_mul_f32_e32 v123, v105, v169
	s_waitcnt vmcnt(60)
	v_mul_f32_e32 v124, v107, v170
	s_waitcnt vmcnt(59) lgkmcnt(1)
	v_mul_f32_e32 v125, v109, v171
	s_waitcnt vmcnt(58)
	v_fmac_f32_e32 v117, v94, v172
	s_waitcnt vmcnt(57)
	v_fmac_f32_e32 v118, v96, v173
	v_add_f32_e32 v117, 0, v117
	s_waitcnt vmcnt(56)
	v_fmac_f32_e32 v119, v98, v174
	v_add_f32_e32 v117, v117, v118
	;; [unrolled: 3-line block ×7, first 2 shown]
	v_add_f32_e32 v117, v117, v124
	s_waitcnt vmcnt(50)
	v_fmac_f32_e32 v125, v110, v180
	s_waitcnt vmcnt(49)
	v_mul_f32_e32 v118, v111, v181
	v_add_f32_e32 v117, v117, v125
	s_waitcnt vmcnt(48)
	v_fmac_f32_e32 v118, v112, v182
	v_add_f32_e32 v117, v117, v118
	s_waitcnt vmcnt(47) lgkmcnt(0)
	v_mul_f32_e32 v118, v113, v183
	s_waitcnt vmcnt(44)
	v_fmac_f32_e32 v118, v114, v186
	v_add_f32_e32 v121, v117, v118
	ds_read_b128 v[117:120], v92 offset:544
	buffer_load_dword v231, off, s[0:3], 0 offset:348
	buffer_load_dword v232, off, s[0:3], 0 offset:344
	buffer_load_dword v233, off, s[0:3], 0 offset:352
	buffer_load_dword v234, off, s[0:3], 0 offset:356
	v_mul_f32_e32 v94, v94, v163
	v_fma_f32 v93, v93, v172, -v94
	v_mul_f32_e32 v94, v96, v164
	v_add_f32_e32 v93, 0, v93
	v_fma_f32 v94, v95, v173, -v94
	v_add_f32_e32 v93, v93, v94
	v_mul_f32_e32 v94, v98, v165
	v_fma_f32 v94, v97, v174, -v94
	s_waitcnt vmcnt(46)
	v_mul_f32_e32 v122, v115, v188
	v_add_f32_e32 v93, v93, v94
	v_mul_f32_e32 v94, v100, v166
	v_fmac_f32_e32 v122, v116, v187
	v_fma_f32 v94, v99, v175, -v94
	v_add_f32_e32 v125, v121, v122
	ds_read_b128 v[121:124], v92 offset:560
	v_add_f32_e32 v93, v93, v94
	v_mul_f32_e32 v94, v102, v167
	s_waitcnt vmcnt(44) lgkmcnt(1)
	v_mul_f32_e32 v126, v117, v190
	v_fma_f32 v94, v101, v176, -v94
	v_fmac_f32_e32 v126, v118, v189
	v_add_f32_e32 v93, v93, v94
	v_mul_f32_e32 v94, v104, v168
	v_add_f32_e32 v125, v125, v126
	s_waitcnt vmcnt(42)
	v_mul_f32_e32 v126, v119, v192
	v_fma_f32 v94, v103, v177, -v94
	v_fmac_f32_e32 v126, v120, v191
	v_add_f32_e32 v93, v93, v94
	v_mul_f32_e32 v94, v106, v169
	v_add_f32_e32 v125, v125, v126
	s_waitcnt vmcnt(40) lgkmcnt(0)
	v_mul_f32_e32 v126, v121, v194
	v_fma_f32 v94, v105, v178, -v94
	v_fmac_f32_e32 v126, v122, v193
	v_add_f32_e32 v93, v93, v94
	v_mul_f32_e32 v94, v108, v170
	v_add_f32_e32 v129, v125, v126
	ds_read_b128 v[125:128], v92 offset:576
	v_fma_f32 v94, v107, v179, -v94
	v_add_f32_e32 v93, v93, v94
	v_mul_f32_e32 v94, v110, v171
	s_waitcnt vmcnt(38)
	v_mul_f32_e32 v130, v123, v196
	v_fma_f32 v94, v109, v180, -v94
	v_fmac_f32_e32 v130, v124, v195
	v_add_f32_e32 v93, v93, v94
	v_mul_f32_e32 v94, v112, v181
	v_add_f32_e32 v133, v129, v130
	ds_read_b128 v[129:132], v92 offset:592
	v_fma_f32 v94, v111, v182, -v94
	s_waitcnt vmcnt(36) lgkmcnt(1)
	v_mul_f32_e32 v134, v125, v198
	v_add_f32_e32 v93, v93, v94
	v_mul_f32_e32 v94, v114, v183
	v_fmac_f32_e32 v134, v126, v197
	v_fma_f32 v94, v113, v186, -v94
	v_add_f32_e32 v133, v133, v134
	s_waitcnt vmcnt(34)
	v_mul_f32_e32 v134, v127, v200
	v_add_f32_e32 v93, v93, v94
	v_mul_f32_e32 v94, v116, v188
	v_fmac_f32_e32 v134, v128, v199
	v_fma_f32 v94, v115, v187, -v94
	v_add_f32_e32 v133, v133, v134
	s_waitcnt vmcnt(32) lgkmcnt(0)
	v_mul_f32_e32 v134, v129, v202
	v_add_f32_e32 v93, v93, v94
	v_mul_f32_e32 v94, v118, v190
	v_fmac_f32_e32 v134, v130, v201
	v_fma_f32 v94, v117, v189, -v94
	v_add_f32_e32 v137, v133, v134
	ds_read_b128 v[133:136], v92 offset:608
	v_add_f32_e32 v93, v93, v94
	v_mul_f32_e32 v94, v120, v192
	v_fma_f32 v94, v119, v191, -v94
	s_waitcnt vmcnt(30)
	v_mul_f32_e32 v138, v131, v204
	v_add_f32_e32 v93, v93, v94
	v_mul_f32_e32 v94, v122, v194
	v_fmac_f32_e32 v138, v132, v203
	v_fma_f32 v94, v121, v193, -v94
	v_add_f32_e32 v141, v137, v138
	ds_read_b128 v[137:140], v92 offset:624
	v_add_f32_e32 v93, v93, v94
	v_mul_f32_e32 v94, v124, v196
	s_waitcnt vmcnt(28) lgkmcnt(1)
	v_mul_f32_e32 v142, v133, v206
	v_fma_f32 v94, v123, v195, -v94
	v_fmac_f32_e32 v142, v134, v205
	v_add_f32_e32 v93, v93, v94
	v_mul_f32_e32 v94, v126, v198
	v_add_f32_e32 v141, v141, v142
	s_waitcnt vmcnt(26)
	v_mul_f32_e32 v142, v135, v208
	v_fma_f32 v94, v125, v197, -v94
	v_fmac_f32_e32 v142, v136, v207
	v_add_f32_e32 v93, v93, v94
	v_mul_f32_e32 v94, v128, v200
	v_add_f32_e32 v141, v141, v142
	s_waitcnt vmcnt(24) lgkmcnt(0)
	v_mul_f32_e32 v142, v137, v210
	v_fma_f32 v94, v127, v199, -v94
	v_fmac_f32_e32 v142, v138, v209
	v_add_f32_e32 v93, v93, v94
	v_mul_f32_e32 v94, v130, v202
	v_add_f32_e32 v145, v141, v142
	ds_read_b128 v[141:144], v92 offset:640
	v_fma_f32 v94, v129, v201, -v94
	v_add_f32_e32 v93, v93, v94
	v_mul_f32_e32 v94, v132, v204
	s_waitcnt vmcnt(22)
	v_mul_f32_e32 v146, v139, v212
	v_fma_f32 v94, v131, v203, -v94
	v_fmac_f32_e32 v146, v140, v211
	v_add_f32_e32 v93, v93, v94
	v_mul_f32_e32 v94, v134, v206
	v_add_f32_e32 v149, v145, v146
	ds_read_b128 v[145:148], v92 offset:656
	v_fma_f32 v94, v133, v205, -v94
	s_waitcnt vmcnt(20) lgkmcnt(1)
	v_mul_f32_e32 v150, v141, v214
	v_add_f32_e32 v93, v93, v94
	v_mul_f32_e32 v94, v136, v208
	v_fmac_f32_e32 v150, v142, v213
	v_fma_f32 v94, v135, v207, -v94
	v_add_f32_e32 v149, v149, v150
	s_waitcnt vmcnt(18)
	v_mul_f32_e32 v150, v143, v216
	v_add_f32_e32 v93, v93, v94
	v_mul_f32_e32 v94, v138, v210
	v_fmac_f32_e32 v150, v144, v215
	v_fma_f32 v94, v137, v209, -v94
	v_add_f32_e32 v149, v149, v150
	s_waitcnt vmcnt(16) lgkmcnt(0)
	v_mul_f32_e32 v150, v145, v218
	v_add_f32_e32 v93, v93, v94
	v_mul_f32_e32 v94, v140, v212
	v_fmac_f32_e32 v150, v146, v217
	v_fma_f32 v94, v139, v211, -v94
	v_add_f32_e32 v153, v149, v150
	ds_read_b128 v[149:152], v92 offset:672
	v_add_f32_e32 v93, v93, v94
	v_mul_f32_e32 v94, v142, v214
	v_fma_f32 v94, v141, v213, -v94
	s_waitcnt vmcnt(14)
	v_mul_f32_e32 v154, v147, v220
	v_add_f32_e32 v93, v93, v94
	v_mul_f32_e32 v94, v144, v216
	v_fmac_f32_e32 v154, v148, v219
	v_fma_f32 v94, v143, v215, -v94
	v_add_f32_e32 v157, v153, v154
	ds_read_b128 v[153:156], v92 offset:688
	v_add_f32_e32 v93, v93, v94
	v_mul_f32_e32 v94, v146, v218
	s_waitcnt vmcnt(12) lgkmcnt(1)
	v_mul_f32_e32 v158, v149, v222
	v_fma_f32 v94, v145, v217, -v94
	v_fmac_f32_e32 v158, v150, v221
	v_add_f32_e32 v93, v93, v94
	v_mul_f32_e32 v94, v148, v220
	v_add_f32_e32 v157, v157, v158
	s_waitcnt vmcnt(11)
	v_mul_f32_e32 v158, v151, v223
	v_fma_f32 v94, v147, v219, -v94
	s_waitcnt vmcnt(10)
	v_fmac_f32_e32 v158, v152, v224
	v_add_f32_e32 v93, v93, v94
	v_mul_f32_e32 v94, v150, v222
	v_add_f32_e32 v157, v157, v158
	s_waitcnt vmcnt(8) lgkmcnt(0)
	v_mul_f32_e32 v158, v153, v226
	v_fma_f32 v94, v149, v221, -v94
	v_fmac_f32_e32 v158, v154, v225
	v_add_f32_e32 v93, v93, v94
	v_mul_f32_e32 v94, v152, v223
	v_add_f32_e32 v161, v157, v158
	ds_read_b128 v[157:160], v92 offset:704
	v_fma_f32 v94, v151, v224, -v94
	v_add_f32_e32 v93, v93, v94
	v_mul_f32_e32 v94, v154, v226
	s_waitcnt vmcnt(6)
	v_mul_f32_e32 v162, v155, v228
	v_fma_f32 v94, v153, v225, -v94
	v_fmac_f32_e32 v162, v156, v227
	v_add_f32_e32 v93, v93, v94
	v_mul_f32_e32 v94, v156, v228
	v_add_f32_e32 v235, v161, v162
	ds_read_b64 v[161:162], v92 offset:720
	v_fma_f32 v94, v155, v227, -v94
	v_add_f32_e32 v93, v93, v94
	s_waitcnt vmcnt(4) lgkmcnt(1)
	v_mul_f32_e32 v94, v158, v230
	v_mul_f32_e32 v236, v157, v230
	v_fma_f32 v94, v157, v229, -v94
	v_fmac_f32_e32 v236, v158, v229
	v_add_f32_e32 v93, v93, v94
	s_waitcnt vmcnt(3)
	v_mul_f32_e32 v94, v160, v231
	v_add_f32_e32 v235, v235, v236
	v_mul_f32_e32 v236, v159, v231
	s_waitcnt vmcnt(2)
	v_fma_f32 v94, v159, v232, -v94
	v_fmac_f32_e32 v236, v160, v232
	v_add_f32_e32 v93, v93, v94
	s_waitcnt vmcnt(0) lgkmcnt(0)
	v_mul_f32_e32 v94, v162, v234
	v_add_f32_e32 v235, v235, v236
	v_mul_f32_e32 v236, v161, v234
	v_fma_f32 v94, v161, v233, -v94
	v_fmac_f32_e32 v236, v162, v233
	v_add_f32_e32 v93, v93, v94
	v_add_f32_e32 v235, v235, v236
	v_sub_f32_e32 v93, v184, v93
	v_sub_f32_e32 v94, v185, v235
	buffer_store_dword v93, off, s[0:3], 0 offset:72
	buffer_store_dword v94, off, s[0:3], 0 offset:76
	s_and_saveexec_b64 s[4:5], vcc
	s_cbranch_execz .LBB44_267
; %bb.266:
	buffer_load_dword v93, off, s[0:3], 0 offset:64
	buffer_load_dword v94, off, s[0:3], 0 offset:68
	s_waitcnt vmcnt(0)
	ds_write_b64 v91, v[93:94]
	buffer_store_dword v92, off, s[0:3], 0 offset:64
	buffer_store_dword v92, off, s[0:3], 0 offset:68
.LBB44_267:
	s_or_b64 exec, exec, s[4:5]
	s_waitcnt lgkmcnt(0)
	; wave barrier
	buffer_load_dword v165, off, s[0:3], 0 offset:76
	buffer_load_dword v166, off, s[0:3], 0 offset:84
	;; [unrolled: 1-line block ×26, first 2 shown]
	ds_read2_b64 v[93:96], v92 offset0:55 offset1:56
	ds_read2_b64 v[97:100], v92 offset0:57 offset1:58
	;; [unrolled: 1-line block ×6, first 2 shown]
	buffer_load_dword v191, off, s[0:3], 0 offset:168
	buffer_load_dword v192, off, s[0:3], 0 offset:172
	;; [unrolled: 1-line block ×42, first 2 shown]
	v_cmp_lt_u32_e32 vcc, 7, v0
	s_waitcnt vmcnt(62) lgkmcnt(5)
	v_mul_f32_e32 v117, v93, v165
	v_mul_f32_e32 v118, v95, v166
	s_waitcnt lgkmcnt(4)
	v_mul_f32_e32 v119, v97, v167
	v_mul_f32_e32 v120, v99, v168
	s_waitcnt lgkmcnt(3)
	v_mul_f32_e32 v121, v101, v169
	v_mul_f32_e32 v122, v103, v170
	s_waitcnt vmcnt(61) lgkmcnt(2)
	v_mul_f32_e32 v123, v105, v171
	s_waitcnt vmcnt(60)
	v_mul_f32_e32 v124, v107, v172
	s_waitcnt vmcnt(59) lgkmcnt(1)
	v_mul_f32_e32 v125, v109, v173
	s_waitcnt vmcnt(58)
	v_fmac_f32_e32 v117, v94, v174
	s_waitcnt vmcnt(57)
	v_fmac_f32_e32 v118, v96, v175
	v_add_f32_e32 v117, 0, v117
	s_waitcnt vmcnt(56)
	v_fmac_f32_e32 v119, v98, v176
	v_add_f32_e32 v117, v117, v118
	;; [unrolled: 3-line block ×8, first 2 shown]
	s_waitcnt vmcnt(49)
	v_mul_f32_e32 v118, v111, v183
	v_add_f32_e32 v117, v117, v125
	s_waitcnt vmcnt(48)
	v_fmac_f32_e32 v118, v112, v184
	v_add_f32_e32 v117, v117, v118
	s_waitcnt vmcnt(47) lgkmcnt(0)
	v_mul_f32_e32 v118, v113, v185
	s_waitcnt vmcnt(46)
	v_fmac_f32_e32 v118, v114, v186
	v_add_f32_e32 v117, v117, v118
	s_waitcnt vmcnt(42)
	v_mul_f32_e32 v118, v115, v190
	v_fmac_f32_e32 v118, v116, v189
	v_add_f32_e32 v125, v117, v118
	ds_read2_b64 v[117:120], v92 offset0:67 offset1:68
	buffer_load_dword v233, off, s[0:3], 0 offset:340
	buffer_load_dword v234, off, s[0:3], 0 offset:336
	;; [unrolled: 1-line block ×4, first 2 shown]
	ds_read2_b64 v[121:124], v92 offset0:69 offset1:70
	buffer_load_dword v237, off, s[0:3], 0 offset:352
	buffer_load_dword v238, off, s[0:3], 0 offset:356
	v_mul_f32_e32 v94, v94, v165
	v_fma_f32 v93, v93, v174, -v94
	v_mul_f32_e32 v94, v96, v166
	v_add_f32_e32 v93, 0, v93
	v_fma_f32 v94, v95, v175, -v94
	v_add_f32_e32 v93, v93, v94
	v_mul_f32_e32 v94, v98, v167
	v_fma_f32 v94, v97, v176, -v94
	v_add_f32_e32 v93, v93, v94
	v_mul_f32_e32 v94, v100, v168
	;; [unrolled: 3-line block ×3, first 2 shown]
	s_waitcnt vmcnt(46) lgkmcnt(1)
	v_mul_f32_e32 v126, v117, v192
	v_fma_f32 v94, v101, v178, -v94
	v_fmac_f32_e32 v126, v118, v191
	v_add_f32_e32 v93, v93, v94
	v_mul_f32_e32 v94, v104, v170
	v_add_f32_e32 v125, v125, v126
	s_waitcnt vmcnt(44)
	v_mul_f32_e32 v126, v119, v194
	v_fma_f32 v94, v103, v179, -v94
	v_fmac_f32_e32 v126, v120, v193
	v_add_f32_e32 v93, v93, v94
	v_mul_f32_e32 v94, v106, v171
	v_add_f32_e32 v125, v125, v126
	s_waitcnt vmcnt(42) lgkmcnt(0)
	v_mul_f32_e32 v126, v121, v196
	v_fma_f32 v94, v105, v180, -v94
	v_fmac_f32_e32 v126, v122, v195
	v_add_f32_e32 v93, v93, v94
	v_mul_f32_e32 v94, v108, v172
	v_add_f32_e32 v129, v125, v126
	ds_read2_b64 v[125:128], v92 offset0:71 offset1:72
	v_fma_f32 v94, v107, v181, -v94
	v_add_f32_e32 v93, v93, v94
	v_mul_f32_e32 v94, v110, v173
	s_waitcnt vmcnt(40)
	v_mul_f32_e32 v130, v123, v198
	v_fma_f32 v94, v109, v182, -v94
	v_fmac_f32_e32 v130, v124, v197
	v_add_f32_e32 v93, v93, v94
	v_mul_f32_e32 v94, v112, v183
	v_add_f32_e32 v133, v129, v130
	ds_read2_b64 v[129:132], v92 offset0:73 offset1:74
	v_fma_f32 v94, v111, v184, -v94
	s_waitcnt vmcnt(38) lgkmcnt(1)
	v_mul_f32_e32 v134, v125, v200
	v_add_f32_e32 v93, v93, v94
	v_mul_f32_e32 v94, v114, v185
	v_fmac_f32_e32 v134, v126, v199
	v_fma_f32 v94, v113, v186, -v94
	v_add_f32_e32 v133, v133, v134
	s_waitcnt vmcnt(36)
	v_mul_f32_e32 v134, v127, v202
	v_add_f32_e32 v93, v93, v94
	v_mul_f32_e32 v94, v116, v190
	v_fmac_f32_e32 v134, v128, v201
	v_fma_f32 v94, v115, v189, -v94
	v_add_f32_e32 v133, v133, v134
	s_waitcnt vmcnt(34) lgkmcnt(0)
	v_mul_f32_e32 v134, v129, v204
	v_add_f32_e32 v93, v93, v94
	v_mul_f32_e32 v94, v118, v192
	v_fmac_f32_e32 v134, v130, v203
	v_fma_f32 v94, v117, v191, -v94
	v_add_f32_e32 v137, v133, v134
	ds_read2_b64 v[133:136], v92 offset0:75 offset1:76
	v_add_f32_e32 v93, v93, v94
	v_mul_f32_e32 v94, v120, v194
	v_fma_f32 v94, v119, v193, -v94
	s_waitcnt vmcnt(32)
	v_mul_f32_e32 v138, v131, v206
	v_add_f32_e32 v93, v93, v94
	v_mul_f32_e32 v94, v122, v196
	v_fmac_f32_e32 v138, v132, v205
	v_fma_f32 v94, v121, v195, -v94
	v_add_f32_e32 v141, v137, v138
	ds_read2_b64 v[137:140], v92 offset0:77 offset1:78
	v_add_f32_e32 v93, v93, v94
	v_mul_f32_e32 v94, v124, v198
	s_waitcnt vmcnt(30) lgkmcnt(1)
	v_mul_f32_e32 v142, v133, v208
	v_fma_f32 v94, v123, v197, -v94
	v_fmac_f32_e32 v142, v134, v207
	v_add_f32_e32 v93, v93, v94
	v_mul_f32_e32 v94, v126, v200
	v_add_f32_e32 v141, v141, v142
	s_waitcnt vmcnt(28)
	v_mul_f32_e32 v142, v135, v210
	v_fma_f32 v94, v125, v199, -v94
	v_fmac_f32_e32 v142, v136, v209
	v_add_f32_e32 v93, v93, v94
	v_mul_f32_e32 v94, v128, v202
	v_add_f32_e32 v141, v141, v142
	s_waitcnt vmcnt(26) lgkmcnt(0)
	v_mul_f32_e32 v142, v137, v212
	v_fma_f32 v94, v127, v201, -v94
	v_fmac_f32_e32 v142, v138, v211
	v_add_f32_e32 v93, v93, v94
	v_mul_f32_e32 v94, v130, v204
	v_add_f32_e32 v145, v141, v142
	ds_read2_b64 v[141:144], v92 offset0:79 offset1:80
	v_fma_f32 v94, v129, v203, -v94
	v_add_f32_e32 v93, v93, v94
	v_mul_f32_e32 v94, v132, v206
	s_waitcnt vmcnt(24)
	v_mul_f32_e32 v146, v139, v214
	v_fma_f32 v94, v131, v205, -v94
	v_fmac_f32_e32 v146, v140, v213
	v_add_f32_e32 v93, v93, v94
	v_mul_f32_e32 v94, v134, v208
	v_add_f32_e32 v149, v145, v146
	ds_read2_b64 v[145:148], v92 offset0:81 offset1:82
	v_fma_f32 v94, v133, v207, -v94
	s_waitcnt vmcnt(22) lgkmcnt(1)
	v_mul_f32_e32 v150, v141, v216
	v_add_f32_e32 v93, v93, v94
	v_mul_f32_e32 v94, v136, v210
	v_fmac_f32_e32 v150, v142, v215
	v_fma_f32 v94, v135, v209, -v94
	v_add_f32_e32 v149, v149, v150
	s_waitcnt vmcnt(20)
	v_mul_f32_e32 v150, v143, v218
	v_add_f32_e32 v93, v93, v94
	v_mul_f32_e32 v94, v138, v212
	v_fmac_f32_e32 v150, v144, v217
	v_fma_f32 v94, v137, v211, -v94
	v_add_f32_e32 v149, v149, v150
	s_waitcnt vmcnt(18) lgkmcnt(0)
	v_mul_f32_e32 v150, v145, v220
	v_add_f32_e32 v93, v93, v94
	v_mul_f32_e32 v94, v140, v214
	v_fmac_f32_e32 v150, v146, v219
	v_fma_f32 v94, v139, v213, -v94
	v_add_f32_e32 v153, v149, v150
	ds_read2_b64 v[149:152], v92 offset0:83 offset1:84
	v_add_f32_e32 v93, v93, v94
	v_mul_f32_e32 v94, v142, v216
	v_fma_f32 v94, v141, v215, -v94
	s_waitcnt vmcnt(16)
	v_mul_f32_e32 v154, v147, v222
	v_add_f32_e32 v93, v93, v94
	v_mul_f32_e32 v94, v144, v218
	v_fmac_f32_e32 v154, v148, v221
	v_fma_f32 v94, v143, v217, -v94
	v_add_f32_e32 v157, v153, v154
	ds_read2_b64 v[153:156], v92 offset0:85 offset1:86
	v_add_f32_e32 v93, v93, v94
	v_mul_f32_e32 v94, v146, v220
	s_waitcnt vmcnt(14) lgkmcnt(1)
	v_mul_f32_e32 v158, v149, v224
	v_fma_f32 v94, v145, v219, -v94
	v_fmac_f32_e32 v158, v150, v223
	v_add_f32_e32 v93, v93, v94
	v_mul_f32_e32 v94, v148, v222
	v_add_f32_e32 v157, v157, v158
	s_waitcnt vmcnt(13)
	v_mul_f32_e32 v158, v151, v225
	v_fma_f32 v94, v147, v221, -v94
	s_waitcnt vmcnt(12)
	v_fmac_f32_e32 v158, v152, v226
	v_add_f32_e32 v93, v93, v94
	v_mul_f32_e32 v94, v150, v224
	v_add_f32_e32 v157, v157, v158
	s_waitcnt vmcnt(10) lgkmcnt(0)
	v_mul_f32_e32 v158, v153, v228
	v_fma_f32 v94, v149, v223, -v94
	v_fmac_f32_e32 v158, v154, v227
	v_add_f32_e32 v93, v93, v94
	v_mul_f32_e32 v94, v152, v225
	v_add_f32_e32 v161, v157, v158
	ds_read2_b64 v[157:160], v92 offset0:87 offset1:88
	v_fma_f32 v94, v151, v226, -v94
	v_add_f32_e32 v93, v93, v94
	v_mul_f32_e32 v94, v154, v228
	s_waitcnt vmcnt(8)
	v_mul_f32_e32 v162, v155, v230
	v_fma_f32 v94, v153, v227, -v94
	v_fmac_f32_e32 v162, v156, v229
	v_add_f32_e32 v93, v93, v94
	v_mul_f32_e32 v94, v156, v230
	v_add_f32_e32 v239, v161, v162
	ds_read2_b64 v[161:164], v92 offset0:89 offset1:90
	v_fma_f32 v94, v155, v229, -v94
	v_add_f32_e32 v93, v93, v94
	s_waitcnt vmcnt(6) lgkmcnt(1)
	v_mul_f32_e32 v94, v158, v232
	v_mul_f32_e32 v92, v157, v232
	v_fma_f32 v94, v157, v231, -v94
	v_fmac_f32_e32 v92, v158, v231
	v_add_f32_e32 v93, v93, v94
	s_waitcnt vmcnt(5)
	v_mul_f32_e32 v94, v160, v233
	v_add_f32_e32 v92, v239, v92
	v_mul_f32_e32 v239, v159, v233
	s_waitcnt vmcnt(4)
	v_fma_f32 v94, v159, v234, -v94
	v_fmac_f32_e32 v239, v160, v234
	v_add_f32_e32 v93, v93, v94
	s_waitcnt vmcnt(2) lgkmcnt(0)
	v_mul_f32_e32 v94, v162, v236
	v_add_f32_e32 v92, v92, v239
	v_mul_f32_e32 v239, v161, v236
	v_fma_f32 v94, v161, v235, -v94
	v_fmac_f32_e32 v239, v162, v235
	v_add_f32_e32 v93, v93, v94
	s_waitcnt vmcnt(0)
	v_mul_f32_e32 v94, v164, v238
	v_add_f32_e32 v92, v92, v239
	v_mul_f32_e32 v239, v163, v238
	v_fma_f32 v94, v163, v237, -v94
	v_fmac_f32_e32 v239, v164, v237
	v_add_f32_e32 v93, v93, v94
	v_add_f32_e32 v92, v92, v239
	v_sub_f32_e32 v93, v187, v93
	v_sub_f32_e32 v92, v188, v92
	buffer_store_dword v93, off, s[0:3], 0 offset:64
	buffer_store_dword v92, off, s[0:3], 0 offset:68
	s_and_saveexec_b64 s[4:5], vcc
	s_cbranch_execz .LBB44_269
; %bb.268:
	buffer_load_dword v92, off, s[0:3], 0 offset:56
	buffer_load_dword v93, off, s[0:3], 0 offset:60
	v_mov_b32_e32 v94, 0
	buffer_store_dword v94, off, s[0:3], 0 offset:56
	buffer_store_dword v94, off, s[0:3], 0 offset:60
	s_waitcnt vmcnt(2)
	ds_write_b64 v91, v[92:93]
.LBB44_269:
	s_or_b64 exec, exec, s[4:5]
	s_waitcnt lgkmcnt(0)
	; wave barrier
	buffer_load_dword v167, off, s[0:3], 0 offset:68
	buffer_load_dword v168, off, s[0:3], 0 offset:76
	;; [unrolled: 1-line block ×52, first 2 shown]
	v_mov_b32_e32 v92, 0
	ds_read_b128 v[93:96], v92 offset:432
	ds_read_b128 v[97:100], v92 offset:448
	;; [unrolled: 1-line block ×6, first 2 shown]
	buffer_load_dword v219, off, s[0:3], 0 offset:268
	buffer_load_dword v220, off, s[0:3], 0 offset:264
	;; [unrolled: 1-line block ×14, first 2 shown]
	v_cmp_lt_u32_e32 vcc, 6, v0
	s_waitcnt vmcnt(62) lgkmcnt(5)
	v_mul_f32_e32 v117, v93, v167
	v_mul_f32_e32 v118, v95, v168
	s_waitcnt lgkmcnt(4)
	v_mul_f32_e32 v119, v97, v169
	v_mul_f32_e32 v120, v99, v170
	s_waitcnt vmcnt(61) lgkmcnt(3)
	v_mul_f32_e32 v121, v101, v171
	s_waitcnt vmcnt(60)
	v_mul_f32_e32 v122, v103, v172
	s_waitcnt vmcnt(59) lgkmcnt(2)
	v_mul_f32_e32 v123, v105, v173
	s_waitcnt vmcnt(58)
	;; [unrolled: 4-line block ×3, first 2 shown]
	v_fmac_f32_e32 v117, v94, v176
	s_waitcnt vmcnt(55)
	v_fmac_f32_e32 v118, v96, v177
	v_add_f32_e32 v117, 0, v117
	s_waitcnt vmcnt(54)
	v_fmac_f32_e32 v119, v98, v178
	v_add_f32_e32 v117, v117, v118
	;; [unrolled: 3-line block ×8, first 2 shown]
	s_waitcnt vmcnt(47)
	v_mul_f32_e32 v118, v111, v185
	v_add_f32_e32 v117, v117, v125
	s_waitcnt vmcnt(46)
	v_fmac_f32_e32 v118, v112, v186
	v_add_f32_e32 v117, v117, v118
	s_waitcnt vmcnt(45) lgkmcnt(0)
	v_mul_f32_e32 v118, v113, v187
	s_waitcnt vmcnt(44)
	v_fmac_f32_e32 v118, v114, v188
	v_add_f32_e32 v121, v117, v118
	ds_read_b128 v[117:120], v92 offset:528
	buffer_load_dword v233, off, s[0:3], 0 offset:320
	buffer_load_dword v234, off, s[0:3], 0 offset:324
	s_waitcnt vmcnt(43)
	v_mul_f32_e32 v122, v115, v191
	s_waitcnt vmcnt(42)
	v_fmac_f32_e32 v122, v116, v192
	v_add_f32_e32 v125, v121, v122
	ds_read_b128 v[121:124], v92 offset:544
	buffer_load_dword v235, off, s[0:3], 0 offset:332
	buffer_load_dword v236, off, s[0:3], 0 offset:328
	;; [unrolled: 1-line block ×8, first 2 shown]
	v_mul_f32_e32 v94, v94, v167
	v_fma_f32 v93, v93, v176, -v94
	v_mul_f32_e32 v94, v96, v168
	v_add_f32_e32 v93, 0, v93
	v_fma_f32 v94, v95, v177, -v94
	v_add_f32_e32 v93, v93, v94
	v_mul_f32_e32 v94, v98, v169
	v_fma_f32 v94, v97, v178, -v94
	v_add_f32_e32 v93, v93, v94
	v_mul_f32_e32 v94, v100, v170
	v_fma_f32 v94, v99, v179, -v94
	s_waitcnt vmcnt(48) lgkmcnt(1)
	v_mul_f32_e32 v126, v117, v194
	v_add_f32_e32 v93, v93, v94
	v_mul_f32_e32 v94, v102, v171
	v_fmac_f32_e32 v126, v118, v193
	v_fma_f32 v94, v101, v180, -v94
	v_add_f32_e32 v125, v125, v126
	s_waitcnt vmcnt(46)
	v_mul_f32_e32 v126, v119, v196
	v_add_f32_e32 v93, v93, v94
	v_mul_f32_e32 v94, v104, v172
	v_fmac_f32_e32 v126, v120, v195
	v_fma_f32 v94, v103, v181, -v94
	v_add_f32_e32 v125, v125, v126
	s_waitcnt vmcnt(44) lgkmcnt(0)
	v_mul_f32_e32 v126, v121, v198
	v_add_f32_e32 v93, v93, v94
	v_mul_f32_e32 v94, v106, v173
	v_fmac_f32_e32 v126, v122, v197
	v_fma_f32 v94, v105, v182, -v94
	v_add_f32_e32 v129, v125, v126
	ds_read_b128 v[125:128], v92 offset:560
	v_add_f32_e32 v93, v93, v94
	v_mul_f32_e32 v94, v108, v174
	v_fma_f32 v94, v107, v183, -v94
	s_waitcnt vmcnt(42)
	v_mul_f32_e32 v130, v123, v200
	v_add_f32_e32 v93, v93, v94
	v_mul_f32_e32 v94, v110, v175
	v_fmac_f32_e32 v130, v124, v199
	v_fma_f32 v94, v109, v184, -v94
	v_add_f32_e32 v133, v129, v130
	ds_read_b128 v[129:132], v92 offset:576
	v_add_f32_e32 v93, v93, v94
	v_mul_f32_e32 v94, v112, v185
	s_waitcnt vmcnt(40) lgkmcnt(1)
	v_mul_f32_e32 v134, v125, v202
	v_fma_f32 v94, v111, v186, -v94
	v_fmac_f32_e32 v134, v126, v201
	v_add_f32_e32 v93, v93, v94
	v_mul_f32_e32 v94, v114, v187
	v_add_f32_e32 v133, v133, v134
	s_waitcnt vmcnt(38)
	v_mul_f32_e32 v134, v127, v204
	v_fma_f32 v94, v113, v188, -v94
	v_fmac_f32_e32 v134, v128, v203
	v_add_f32_e32 v93, v93, v94
	v_mul_f32_e32 v94, v116, v191
	v_add_f32_e32 v133, v133, v134
	s_waitcnt vmcnt(36) lgkmcnt(0)
	v_mul_f32_e32 v134, v129, v206
	v_fma_f32 v94, v115, v192, -v94
	v_fmac_f32_e32 v134, v130, v205
	v_add_f32_e32 v93, v93, v94
	v_mul_f32_e32 v94, v118, v194
	v_add_f32_e32 v137, v133, v134
	ds_read_b128 v[133:136], v92 offset:592
	v_fma_f32 v94, v117, v193, -v94
	v_add_f32_e32 v93, v93, v94
	v_mul_f32_e32 v94, v120, v196
	s_waitcnt vmcnt(34)
	v_mul_f32_e32 v138, v131, v208
	v_fma_f32 v94, v119, v195, -v94
	v_fmac_f32_e32 v138, v132, v207
	v_add_f32_e32 v93, v93, v94
	v_mul_f32_e32 v94, v122, v198
	v_add_f32_e32 v141, v137, v138
	ds_read_b128 v[137:140], v92 offset:608
	v_fma_f32 v94, v121, v197, -v94
	s_waitcnt vmcnt(32) lgkmcnt(1)
	v_mul_f32_e32 v142, v133, v210
	v_add_f32_e32 v93, v93, v94
	v_mul_f32_e32 v94, v124, v200
	v_fmac_f32_e32 v142, v134, v209
	v_fma_f32 v94, v123, v199, -v94
	v_add_f32_e32 v141, v141, v142
	s_waitcnt vmcnt(30)
	v_mul_f32_e32 v142, v135, v212
	v_add_f32_e32 v93, v93, v94
	v_mul_f32_e32 v94, v126, v202
	v_fmac_f32_e32 v142, v136, v211
	v_fma_f32 v94, v125, v201, -v94
	v_add_f32_e32 v141, v141, v142
	s_waitcnt vmcnt(28) lgkmcnt(0)
	v_mul_f32_e32 v142, v137, v214
	v_add_f32_e32 v93, v93, v94
	v_mul_f32_e32 v94, v128, v204
	v_fmac_f32_e32 v142, v138, v213
	v_fma_f32 v94, v127, v203, -v94
	v_add_f32_e32 v145, v141, v142
	ds_read_b128 v[141:144], v92 offset:624
	v_add_f32_e32 v93, v93, v94
	v_mul_f32_e32 v94, v130, v206
	v_fma_f32 v94, v129, v205, -v94
	s_waitcnt vmcnt(26)
	v_mul_f32_e32 v146, v139, v216
	v_add_f32_e32 v93, v93, v94
	v_mul_f32_e32 v94, v132, v208
	v_fmac_f32_e32 v146, v140, v215
	v_fma_f32 v94, v131, v207, -v94
	v_add_f32_e32 v149, v145, v146
	ds_read_b128 v[145:148], v92 offset:640
	v_add_f32_e32 v93, v93, v94
	v_mul_f32_e32 v94, v134, v210
	s_waitcnt vmcnt(24) lgkmcnt(1)
	v_mul_f32_e32 v150, v141, v218
	v_fma_f32 v94, v133, v209, -v94
	v_fmac_f32_e32 v150, v142, v217
	v_add_f32_e32 v93, v93, v94
	v_mul_f32_e32 v94, v136, v212
	v_add_f32_e32 v149, v149, v150
	s_waitcnt vmcnt(23)
	v_mul_f32_e32 v150, v143, v219
	v_fma_f32 v94, v135, v211, -v94
	s_waitcnt vmcnt(22)
	v_fmac_f32_e32 v150, v144, v220
	v_add_f32_e32 v93, v93, v94
	v_mul_f32_e32 v94, v138, v214
	v_add_f32_e32 v149, v149, v150
	s_waitcnt vmcnt(20) lgkmcnt(0)
	v_mul_f32_e32 v150, v145, v222
	v_fma_f32 v94, v137, v213, -v94
	v_fmac_f32_e32 v150, v146, v221
	v_add_f32_e32 v93, v93, v94
	v_mul_f32_e32 v94, v140, v216
	v_add_f32_e32 v153, v149, v150
	ds_read_b128 v[149:152], v92 offset:656
	v_fma_f32 v94, v139, v215, -v94
	v_add_f32_e32 v93, v93, v94
	v_mul_f32_e32 v94, v142, v218
	s_waitcnt vmcnt(18)
	v_mul_f32_e32 v154, v147, v224
	v_fma_f32 v94, v141, v217, -v94
	v_fmac_f32_e32 v154, v148, v223
	v_add_f32_e32 v93, v93, v94
	v_mul_f32_e32 v94, v144, v219
	v_add_f32_e32 v157, v153, v154
	ds_read_b128 v[153:156], v92 offset:672
	v_fma_f32 v94, v143, v220, -v94
	s_waitcnt vmcnt(16) lgkmcnt(1)
	v_mul_f32_e32 v158, v149, v226
	v_add_f32_e32 v93, v93, v94
	v_mul_f32_e32 v94, v146, v222
	v_fmac_f32_e32 v158, v150, v225
	v_fma_f32 v94, v145, v221, -v94
	v_add_f32_e32 v157, v157, v158
	s_waitcnt vmcnt(15)
	v_mul_f32_e32 v158, v151, v227
	v_add_f32_e32 v93, v93, v94
	v_mul_f32_e32 v94, v148, v224
	s_waitcnt vmcnt(14)
	v_fmac_f32_e32 v158, v152, v228
	v_fma_f32 v94, v147, v223, -v94
	v_add_f32_e32 v157, v157, v158
	s_waitcnt vmcnt(12) lgkmcnt(0)
	v_mul_f32_e32 v158, v153, v230
	v_add_f32_e32 v93, v93, v94
	v_mul_f32_e32 v94, v150, v226
	v_fmac_f32_e32 v158, v154, v229
	v_fma_f32 v94, v149, v225, -v94
	v_add_f32_e32 v161, v157, v158
	ds_read_b128 v[157:160], v92 offset:688
	v_add_f32_e32 v93, v93, v94
	v_mul_f32_e32 v94, v152, v227
	v_fma_f32 v94, v151, v228, -v94
	v_add_f32_e32 v93, v93, v94
	v_mul_f32_e32 v94, v154, v230
	s_waitcnt vmcnt(10)
	v_mul_f32_e32 v162, v155, v232
	v_fma_f32 v94, v153, v229, -v94
	v_fmac_f32_e32 v162, v156, v231
	v_add_f32_e32 v93, v93, v94
	v_mul_f32_e32 v94, v156, v232
	v_add_f32_e32 v165, v161, v162
	ds_read_b128 v[161:164], v92 offset:704
	s_waitcnt vmcnt(8) lgkmcnt(1)
	v_mul_f32_e32 v166, v157, v234
	v_fma_f32 v94, v155, v231, -v94
	v_fmac_f32_e32 v166, v158, v233
	v_add_f32_e32 v93, v93, v94
	v_mul_f32_e32 v94, v158, v234
	v_add_f32_e32 v165, v165, v166
	s_waitcnt vmcnt(7)
	v_mul_f32_e32 v166, v159, v235
	v_fma_f32 v94, v157, v233, -v94
	s_waitcnt vmcnt(6)
	v_fmac_f32_e32 v166, v160, v236
	v_add_f32_e32 v93, v93, v94
	v_mul_f32_e32 v94, v160, v235
	v_add_f32_e32 v243, v165, v166
	ds_read_b64 v[165:166], v92 offset:720
	v_fma_f32 v94, v159, v236, -v94
	v_add_f32_e32 v93, v93, v94
	s_waitcnt vmcnt(4) lgkmcnt(1)
	v_mul_f32_e32 v94, v162, v238
	v_mul_f32_e32 v244, v161, v238
	v_fma_f32 v94, v161, v237, -v94
	v_fmac_f32_e32 v244, v162, v237
	v_add_f32_e32 v93, v93, v94
	s_waitcnt vmcnt(3)
	v_mul_f32_e32 v94, v164, v239
	v_add_f32_e32 v243, v243, v244
	v_mul_f32_e32 v244, v163, v239
	s_waitcnt vmcnt(2)
	v_fma_f32 v94, v163, v240, -v94
	v_fmac_f32_e32 v244, v164, v240
	v_add_f32_e32 v93, v93, v94
	s_waitcnt vmcnt(0) lgkmcnt(0)
	v_mul_f32_e32 v94, v166, v242
	v_add_f32_e32 v243, v243, v244
	v_mul_f32_e32 v244, v165, v242
	v_fma_f32 v94, v165, v241, -v94
	v_fmac_f32_e32 v244, v166, v241
	v_add_f32_e32 v93, v93, v94
	v_add_f32_e32 v243, v243, v244
	v_sub_f32_e32 v93, v189, v93
	v_sub_f32_e32 v94, v190, v243
	buffer_store_dword v93, off, s[0:3], 0 offset:56
	buffer_store_dword v94, off, s[0:3], 0 offset:60
	s_and_saveexec_b64 s[4:5], vcc
	s_cbranch_execz .LBB44_271
; %bb.270:
	buffer_load_dword v93, off, s[0:3], 0 offset:48
	buffer_load_dword v94, off, s[0:3], 0 offset:52
	s_waitcnt vmcnt(0)
	ds_write_b64 v91, v[93:94]
	buffer_store_dword v92, off, s[0:3], 0 offset:48
	buffer_store_dword v92, off, s[0:3], 0 offset:52
.LBB44_271:
	s_or_b64 exec, exec, s[4:5]
	s_waitcnt lgkmcnt(0)
	; wave barrier
	buffer_load_dword v169, off, s[0:3], 0 offset:60
	buffer_load_dword v170, off, s[0:3], 0 offset:68
	;; [unrolled: 1-line block ×26, first 2 shown]
	ds_read2_b64 v[93:96], v92 offset0:53 offset1:54
	ds_read2_b64 v[97:100], v92 offset0:55 offset1:56
	;; [unrolled: 1-line block ×4, first 2 shown]
	buffer_load_dword v195, off, s[0:3], 0 offset:156
	ds_read2_b64 v[109:112], v92 offset0:61 offset1:62
	ds_read2_b64 v[113:116], v92 offset0:63 offset1:64
	buffer_load_dword v196, off, s[0:3], 0 offset:152
	buffer_load_dword v197, off, s[0:3], 0 offset:160
	;; [unrolled: 1-line block ×37, first 2 shown]
	v_cmp_lt_u32_e32 vcc, 5, v0
	s_waitcnt vmcnt(62) lgkmcnt(5)
	v_mul_f32_e32 v117, v93, v169
	v_mul_f32_e32 v118, v95, v170
	s_waitcnt vmcnt(61) lgkmcnt(4)
	v_mul_f32_e32 v119, v97, v171
	s_waitcnt vmcnt(60)
	v_mul_f32_e32 v120, v99, v172
	s_waitcnt vmcnt(59) lgkmcnt(3)
	v_mul_f32_e32 v121, v101, v173
	s_waitcnt vmcnt(58)
	;; [unrolled: 4-line block ×4, first 2 shown]
	v_mul_f32_e32 v126, v111, v178
	s_waitcnt vmcnt(53)
	v_fmac_f32_e32 v117, v94, v179
	s_waitcnt vmcnt(52)
	v_fmac_f32_e32 v118, v96, v180
	v_add_f32_e32 v117, 0, v117
	s_waitcnt vmcnt(51)
	v_fmac_f32_e32 v119, v98, v181
	v_add_f32_e32 v117, v117, v118
	;; [unrolled: 3-line block ×9, first 2 shown]
	s_waitcnt vmcnt(43) lgkmcnt(0)
	v_mul_f32_e32 v118, v113, v189
	v_add_f32_e32 v117, v117, v126
	s_waitcnt vmcnt(42)
	v_fmac_f32_e32 v118, v114, v190
	v_add_f32_e32 v121, v117, v118
	s_waitcnt vmcnt(41)
	v_mul_f32_e32 v122, v115, v191
	ds_read2_b64 v[117:120], v92 offset0:65 offset1:66
	buffer_load_dword v233, off, s[0:3], 0 offset:304
	buffer_load_dword v234, off, s[0:3], 0 offset:308
	s_waitcnt vmcnt(42)
	v_fmac_f32_e32 v122, v116, v192
	v_add_f32_e32 v125, v121, v122
	ds_read2_b64 v[121:124], v92 offset0:67 offset1:68
	buffer_load_dword v235, off, s[0:3], 0 offset:312
	buffer_load_dword v236, off, s[0:3], 0 offset:316
	;; [unrolled: 1-line block ×12, first 2 shown]
	v_mul_f32_e32 v94, v94, v169
	v_fma_f32 v93, v93, v179, -v94
	v_mul_f32_e32 v94, v96, v170
	v_add_f32_e32 v93, 0, v93
	v_fma_f32 v94, v95, v180, -v94
	v_add_f32_e32 v93, v93, v94
	v_mul_f32_e32 v94, v98, v171
	v_fma_f32 v94, v97, v181, -v94
	v_add_f32_e32 v93, v93, v94
	v_mul_f32_e32 v94, v100, v172
	v_fma_f32 v94, v99, v182, -v94
	s_waitcnt vmcnt(51) lgkmcnt(1)
	v_mul_f32_e32 v126, v117, v195
	v_add_f32_e32 v93, v93, v94
	v_mul_f32_e32 v94, v102, v173
	s_waitcnt vmcnt(50)
	v_fmac_f32_e32 v126, v118, v196
	v_fma_f32 v94, v101, v183, -v94
	v_add_f32_e32 v125, v125, v126
	s_waitcnt vmcnt(48)
	v_mul_f32_e32 v126, v119, v198
	v_add_f32_e32 v93, v93, v94
	v_mul_f32_e32 v94, v104, v174
	v_fmac_f32_e32 v126, v120, v197
	v_fma_f32 v94, v103, v184, -v94
	v_add_f32_e32 v125, v125, v126
	s_waitcnt vmcnt(46) lgkmcnt(0)
	v_mul_f32_e32 v126, v121, v200
	v_add_f32_e32 v93, v93, v94
	v_mul_f32_e32 v94, v106, v175
	v_fmac_f32_e32 v126, v122, v199
	v_fma_f32 v94, v105, v185, -v94
	v_add_f32_e32 v129, v125, v126
	ds_read2_b64 v[125:128], v92 offset0:69 offset1:70
	v_add_f32_e32 v93, v93, v94
	v_mul_f32_e32 v94, v108, v176
	v_fma_f32 v94, v107, v186, -v94
	s_waitcnt vmcnt(44)
	v_mul_f32_e32 v130, v123, v202
	v_add_f32_e32 v93, v93, v94
	v_mul_f32_e32 v94, v110, v177
	v_fmac_f32_e32 v130, v124, v201
	v_fma_f32 v94, v109, v187, -v94
	v_add_f32_e32 v133, v129, v130
	ds_read2_b64 v[129:132], v92 offset0:71 offset1:72
	v_add_f32_e32 v93, v93, v94
	v_mul_f32_e32 v94, v112, v178
	s_waitcnt vmcnt(42) lgkmcnt(1)
	v_mul_f32_e32 v134, v125, v204
	v_fma_f32 v94, v111, v188, -v94
	v_fmac_f32_e32 v134, v126, v203
	v_add_f32_e32 v93, v93, v94
	v_mul_f32_e32 v94, v114, v189
	v_add_f32_e32 v133, v133, v134
	s_waitcnt vmcnt(40)
	v_mul_f32_e32 v134, v127, v206
	v_fma_f32 v94, v113, v190, -v94
	v_fmac_f32_e32 v134, v128, v205
	v_add_f32_e32 v93, v93, v94
	v_mul_f32_e32 v94, v116, v191
	v_add_f32_e32 v133, v133, v134
	s_waitcnt vmcnt(38) lgkmcnt(0)
	v_mul_f32_e32 v134, v129, v208
	v_fma_f32 v94, v115, v192, -v94
	v_fmac_f32_e32 v134, v130, v207
	v_add_f32_e32 v93, v93, v94
	v_mul_f32_e32 v94, v118, v195
	v_add_f32_e32 v137, v133, v134
	ds_read2_b64 v[133:136], v92 offset0:73 offset1:74
	v_fma_f32 v94, v117, v196, -v94
	v_add_f32_e32 v93, v93, v94
	v_mul_f32_e32 v94, v120, v198
	s_waitcnt vmcnt(36)
	v_mul_f32_e32 v138, v131, v210
	v_fma_f32 v94, v119, v197, -v94
	v_fmac_f32_e32 v138, v132, v209
	v_add_f32_e32 v93, v93, v94
	v_mul_f32_e32 v94, v122, v200
	v_add_f32_e32 v141, v137, v138
	ds_read2_b64 v[137:140], v92 offset0:75 offset1:76
	v_fma_f32 v94, v121, v199, -v94
	s_waitcnt vmcnt(34) lgkmcnt(1)
	v_mul_f32_e32 v142, v133, v212
	v_add_f32_e32 v93, v93, v94
	v_mul_f32_e32 v94, v124, v202
	v_fmac_f32_e32 v142, v134, v211
	v_fma_f32 v94, v123, v201, -v94
	v_add_f32_e32 v141, v141, v142
	s_waitcnt vmcnt(32)
	v_mul_f32_e32 v142, v135, v214
	v_add_f32_e32 v93, v93, v94
	v_mul_f32_e32 v94, v126, v204
	v_fmac_f32_e32 v142, v136, v213
	v_fma_f32 v94, v125, v203, -v94
	v_add_f32_e32 v141, v141, v142
	s_waitcnt vmcnt(30) lgkmcnt(0)
	v_mul_f32_e32 v142, v137, v216
	v_add_f32_e32 v93, v93, v94
	v_mul_f32_e32 v94, v128, v206
	v_fmac_f32_e32 v142, v138, v215
	v_fma_f32 v94, v127, v205, -v94
	v_add_f32_e32 v145, v141, v142
	ds_read2_b64 v[141:144], v92 offset0:77 offset1:78
	v_add_f32_e32 v93, v93, v94
	v_mul_f32_e32 v94, v130, v208
	v_fma_f32 v94, v129, v207, -v94
	s_waitcnt vmcnt(28)
	v_mul_f32_e32 v146, v139, v218
	v_add_f32_e32 v93, v93, v94
	v_mul_f32_e32 v94, v132, v210
	v_fmac_f32_e32 v146, v140, v217
	v_fma_f32 v94, v131, v209, -v94
	v_add_f32_e32 v149, v145, v146
	ds_read2_b64 v[145:148], v92 offset0:79 offset1:80
	v_add_f32_e32 v93, v93, v94
	v_mul_f32_e32 v94, v134, v212
	s_waitcnt vmcnt(26) lgkmcnt(1)
	v_mul_f32_e32 v150, v141, v220
	v_fma_f32 v94, v133, v211, -v94
	v_fmac_f32_e32 v150, v142, v219
	v_add_f32_e32 v93, v93, v94
	v_mul_f32_e32 v94, v136, v214
	v_add_f32_e32 v149, v149, v150
	s_waitcnt vmcnt(25)
	v_mul_f32_e32 v150, v143, v221
	v_fma_f32 v94, v135, v213, -v94
	s_waitcnt vmcnt(24)
	v_fmac_f32_e32 v150, v144, v222
	v_add_f32_e32 v93, v93, v94
	v_mul_f32_e32 v94, v138, v216
	v_add_f32_e32 v149, v149, v150
	s_waitcnt vmcnt(22) lgkmcnt(0)
	v_mul_f32_e32 v150, v145, v224
	v_fma_f32 v94, v137, v215, -v94
	v_fmac_f32_e32 v150, v146, v223
	v_add_f32_e32 v93, v93, v94
	v_mul_f32_e32 v94, v140, v218
	v_add_f32_e32 v153, v149, v150
	ds_read2_b64 v[149:152], v92 offset0:81 offset1:82
	v_fma_f32 v94, v139, v217, -v94
	v_add_f32_e32 v93, v93, v94
	v_mul_f32_e32 v94, v142, v220
	s_waitcnt vmcnt(20)
	v_mul_f32_e32 v154, v147, v226
	v_fma_f32 v94, v141, v219, -v94
	v_fmac_f32_e32 v154, v148, v225
	v_add_f32_e32 v93, v93, v94
	v_mul_f32_e32 v94, v144, v221
	v_add_f32_e32 v157, v153, v154
	ds_read2_b64 v[153:156], v92 offset0:83 offset1:84
	v_fma_f32 v94, v143, v222, -v94
	s_waitcnt vmcnt(18) lgkmcnt(1)
	v_mul_f32_e32 v158, v149, v228
	v_add_f32_e32 v93, v93, v94
	v_mul_f32_e32 v94, v146, v224
	v_fmac_f32_e32 v158, v150, v227
	v_fma_f32 v94, v145, v223, -v94
	v_add_f32_e32 v157, v157, v158
	s_waitcnt vmcnt(17)
	v_mul_f32_e32 v158, v151, v229
	v_add_f32_e32 v93, v93, v94
	v_mul_f32_e32 v94, v148, v226
	s_waitcnt vmcnt(16)
	v_fmac_f32_e32 v158, v152, v230
	v_fma_f32 v94, v147, v225, -v94
	v_add_f32_e32 v157, v157, v158
	s_waitcnt vmcnt(14) lgkmcnt(0)
	v_mul_f32_e32 v158, v153, v232
	v_add_f32_e32 v93, v93, v94
	v_mul_f32_e32 v94, v150, v228
	v_fmac_f32_e32 v158, v154, v231
	v_fma_f32 v94, v149, v227, -v94
	v_add_f32_e32 v161, v157, v158
	ds_read2_b64 v[157:160], v92 offset0:85 offset1:86
	v_add_f32_e32 v93, v93, v94
	v_mul_f32_e32 v94, v152, v229
	v_fma_f32 v94, v151, v230, -v94
	v_add_f32_e32 v93, v93, v94
	v_mul_f32_e32 v94, v154, v232
	s_waitcnt vmcnt(12)
	v_mul_f32_e32 v162, v155, v234
	v_fma_f32 v94, v153, v231, -v94
	v_fmac_f32_e32 v162, v156, v233
	v_add_f32_e32 v93, v93, v94
	v_mul_f32_e32 v94, v156, v234
	v_add_f32_e32 v165, v161, v162
	ds_read2_b64 v[161:164], v92 offset0:87 offset1:88
	s_waitcnt vmcnt(10) lgkmcnt(1)
	v_mul_f32_e32 v166, v157, v236
	v_fma_f32 v94, v155, v233, -v94
	v_fmac_f32_e32 v166, v158, v235
	v_add_f32_e32 v93, v93, v94
	v_mul_f32_e32 v94, v158, v236
	v_add_f32_e32 v165, v165, v166
	s_waitcnt vmcnt(9)
	v_mul_f32_e32 v166, v159, v237
	v_fma_f32 v94, v157, v235, -v94
	s_waitcnt vmcnt(8)
	v_fmac_f32_e32 v166, v160, v238
	v_add_f32_e32 v93, v93, v94
	v_mul_f32_e32 v94, v160, v237
	v_add_f32_e32 v247, v165, v166
	ds_read2_b64 v[165:168], v92 offset0:89 offset1:90
	v_fma_f32 v94, v159, v238, -v94
	v_add_f32_e32 v93, v93, v94
	s_waitcnt vmcnt(6) lgkmcnt(1)
	v_mul_f32_e32 v94, v162, v240
	v_mul_f32_e32 v248, v161, v240
	v_fma_f32 v94, v161, v239, -v94
	v_fmac_f32_e32 v248, v162, v239
	v_add_f32_e32 v93, v93, v94
	s_waitcnt vmcnt(4)
	v_mul_f32_e32 v94, v164, v242
	v_add_f32_e32 v92, v247, v248
	v_mul_f32_e32 v247, v163, v242
	v_fma_f32 v94, v163, v241, -v94
	v_fmac_f32_e32 v247, v164, v241
	v_add_f32_e32 v93, v93, v94
	s_waitcnt vmcnt(3) lgkmcnt(0)
	v_mul_f32_e32 v94, v166, v243
	v_add_f32_e32 v92, v92, v247
	v_mul_f32_e32 v247, v165, v243
	s_waitcnt vmcnt(2)
	v_fma_f32 v94, v165, v244, -v94
	v_fmac_f32_e32 v247, v166, v244
	v_add_f32_e32 v93, v93, v94
	s_waitcnt vmcnt(0)
	v_mul_f32_e32 v94, v168, v246
	v_add_f32_e32 v92, v92, v247
	v_mul_f32_e32 v247, v167, v246
	v_fma_f32 v94, v167, v245, -v94
	v_fmac_f32_e32 v247, v168, v245
	v_add_f32_e32 v93, v93, v94
	v_add_f32_e32 v92, v92, v247
	v_sub_f32_e32 v93, v193, v93
	v_sub_f32_e32 v92, v194, v92
	buffer_store_dword v93, off, s[0:3], 0 offset:48
	buffer_store_dword v92, off, s[0:3], 0 offset:52
	s_and_saveexec_b64 s[4:5], vcc
	s_cbranch_execz .LBB44_273
; %bb.272:
	buffer_load_dword v92, off, s[0:3], 0 offset:40
	buffer_load_dword v93, off, s[0:3], 0 offset:44
	v_mov_b32_e32 v94, 0
	buffer_store_dword v94, off, s[0:3], 0 offset:40
	buffer_store_dword v94, off, s[0:3], 0 offset:44
	s_waitcnt vmcnt(2)
	ds_write_b64 v91, v[92:93]
.LBB44_273:
	s_or_b64 exec, exec, s[4:5]
	s_waitcnt lgkmcnt(0)
	; wave barrier
	buffer_load_dword v171, off, s[0:3], 0 offset:52
	buffer_load_dword v172, off, s[0:3], 0 offset:60
	;; [unrolled: 1-line block ×52, first 2 shown]
	v_mov_b32_e32 v92, 0
	ds_read_b128 v[93:96], v92 offset:416
	ds_read_b128 v[97:100], v92 offset:432
	;; [unrolled: 1-line block ×6, first 2 shown]
	buffer_load_dword v223, off, s[0:3], 0 offset:252
	buffer_load_dword v224, off, s[0:3], 0 offset:248
	;; [unrolled: 1-line block ×8, first 2 shown]
	v_cmp_lt_u32_e32 vcc, 4, v0
	s_waitcnt vmcnt(59) lgkmcnt(5)
	v_mul_f32_e32 v117, v93, v171
	s_waitcnt vmcnt(58)
	v_mul_f32_e32 v118, v95, v172
	s_waitcnt vmcnt(57) lgkmcnt(4)
	v_mul_f32_e32 v119, v97, v173
	s_waitcnt vmcnt(56)
	v_mul_f32_e32 v120, v99, v174
	;; [unrolled: 4-line block ×5, first 2 shown]
	s_waitcnt vmcnt(49) lgkmcnt(0)
	v_mul_f32_e32 v127, v113, v181
	s_waitcnt vmcnt(48)
	v_fmac_f32_e32 v117, v94, v182
	s_waitcnt vmcnt(47)
	v_fmac_f32_e32 v118, v96, v183
	v_add_f32_e32 v117, 0, v117
	s_waitcnt vmcnt(46)
	v_fmac_f32_e32 v119, v98, v184
	v_add_f32_e32 v117, v117, v118
	;; [unrolled: 3-line block ×9, first 2 shown]
	v_add_f32_e32 v117, v117, v126
	s_waitcnt vmcnt(38)
	v_fmac_f32_e32 v127, v114, v192
	s_waitcnt vmcnt(37)
	v_mul_f32_e32 v118, v115, v193
	v_add_f32_e32 v117, v117, v127
	s_waitcnt vmcnt(36)
	v_fmac_f32_e32 v118, v116, v194
	v_add_f32_e32 v125, v117, v118
	ds_read_b128 v[117:120], v92 offset:512
	buffer_load_dword v231, off, s[0:3], 0 offset:284
	buffer_load_dword v232, off, s[0:3], 0 offset:280
	;; [unrolled: 1-line block ×4, first 2 shown]
	ds_read_b128 v[121:124], v92 offset:528
	buffer_load_dword v235, off, s[0:3], 0 offset:296
	buffer_load_dword v236, off, s[0:3], 0 offset:300
	;; [unrolled: 1-line block ×10, first 2 shown]
	s_waitcnt vmcnt(46) lgkmcnt(1)
	v_mul_f32_e32 v126, v117, v198
	v_fmac_f32_e32 v126, v118, v197
	v_add_f32_e32 v125, v125, v126
	s_waitcnt vmcnt(44)
	v_mul_f32_e32 v126, v119, v200
	buffer_load_dword v245, off, s[0:3], 0 offset:336
	buffer_load_dword v246, off, s[0:3], 0 offset:340
	v_fmac_f32_e32 v126, v120, v199
	v_add_f32_e32 v125, v125, v126
	s_waitcnt vmcnt(44) lgkmcnt(0)
	v_mul_f32_e32 v126, v121, v202
	v_fmac_f32_e32 v126, v122, v201
	v_add_f32_e32 v129, v125, v126
	ds_read_b128 v[125:128], v92 offset:544
	buffer_load_dword v247, off, s[0:3], 0 offset:348
	buffer_load_dword v248, off, s[0:3], 0 offset:344
	;; [unrolled: 1-line block ×4, first 2 shown]
	v_mul_f32_e32 v94, v94, v171
	v_fma_f32 v93, v93, v182, -v94
	v_mul_f32_e32 v94, v96, v172
	v_add_f32_e32 v93, 0, v93
	v_fma_f32 v94, v95, v183, -v94
	v_add_f32_e32 v93, v93, v94
	v_mul_f32_e32 v94, v98, v173
	v_fma_f32 v94, v97, v184, -v94
	v_add_f32_e32 v93, v93, v94
	v_mul_f32_e32 v94, v100, v174
	;; [unrolled: 3-line block ×5, first 2 shown]
	v_fma_f32 v94, v105, v188, -v94
	s_waitcnt vmcnt(46)
	v_mul_f32_e32 v130, v123, v204
	v_add_f32_e32 v93, v93, v94
	v_mul_f32_e32 v94, v108, v178
	v_fmac_f32_e32 v130, v124, v203
	v_fma_f32 v94, v107, v189, -v94
	v_add_f32_e32 v133, v129, v130
	ds_read_b128 v[129:132], v92 offset:560
	v_add_f32_e32 v93, v93, v94
	v_mul_f32_e32 v94, v110, v179
	s_waitcnt vmcnt(44) lgkmcnt(1)
	v_mul_f32_e32 v134, v125, v206
	v_fma_f32 v94, v109, v190, -v94
	v_fmac_f32_e32 v134, v126, v205
	v_add_f32_e32 v93, v93, v94
	v_mul_f32_e32 v94, v112, v180
	v_add_f32_e32 v133, v133, v134
	s_waitcnt vmcnt(42)
	v_mul_f32_e32 v134, v127, v208
	v_fma_f32 v94, v111, v191, -v94
	v_fmac_f32_e32 v134, v128, v207
	v_add_f32_e32 v93, v93, v94
	v_mul_f32_e32 v94, v114, v181
	v_add_f32_e32 v133, v133, v134
	s_waitcnt vmcnt(40) lgkmcnt(0)
	v_mul_f32_e32 v134, v129, v210
	v_fma_f32 v94, v113, v192, -v94
	v_fmac_f32_e32 v134, v130, v209
	v_add_f32_e32 v93, v93, v94
	v_mul_f32_e32 v94, v116, v193
	v_add_f32_e32 v137, v133, v134
	ds_read_b128 v[133:136], v92 offset:576
	v_fma_f32 v94, v115, v194, -v94
	v_add_f32_e32 v93, v93, v94
	v_mul_f32_e32 v94, v118, v198
	s_waitcnt vmcnt(38)
	v_mul_f32_e32 v138, v131, v212
	v_fma_f32 v94, v117, v197, -v94
	v_fmac_f32_e32 v138, v132, v211
	v_add_f32_e32 v93, v93, v94
	v_mul_f32_e32 v94, v120, v200
	v_add_f32_e32 v141, v137, v138
	ds_read_b128 v[137:140], v92 offset:592
	v_fma_f32 v94, v119, v199, -v94
	s_waitcnt vmcnt(36) lgkmcnt(1)
	v_mul_f32_e32 v142, v133, v214
	v_add_f32_e32 v93, v93, v94
	v_mul_f32_e32 v94, v122, v202
	v_fmac_f32_e32 v142, v134, v213
	v_fma_f32 v94, v121, v201, -v94
	v_add_f32_e32 v141, v141, v142
	s_waitcnt vmcnt(34)
	v_mul_f32_e32 v142, v135, v216
	v_add_f32_e32 v93, v93, v94
	v_mul_f32_e32 v94, v124, v204
	v_fmac_f32_e32 v142, v136, v215
	v_fma_f32 v94, v123, v203, -v94
	v_add_f32_e32 v141, v141, v142
	s_waitcnt vmcnt(32) lgkmcnt(0)
	v_mul_f32_e32 v142, v137, v218
	v_add_f32_e32 v93, v93, v94
	v_mul_f32_e32 v94, v126, v206
	v_fmac_f32_e32 v142, v138, v217
	v_fma_f32 v94, v125, v205, -v94
	v_add_f32_e32 v145, v141, v142
	ds_read_b128 v[141:144], v92 offset:608
	v_add_f32_e32 v93, v93, v94
	v_mul_f32_e32 v94, v128, v208
	v_fma_f32 v94, v127, v207, -v94
	s_waitcnt vmcnt(30)
	v_mul_f32_e32 v146, v139, v220
	v_add_f32_e32 v93, v93, v94
	v_mul_f32_e32 v94, v130, v210
	v_fmac_f32_e32 v146, v140, v219
	v_fma_f32 v94, v129, v209, -v94
	v_add_f32_e32 v149, v145, v146
	ds_read_b128 v[145:148], v92 offset:624
	v_add_f32_e32 v93, v93, v94
	v_mul_f32_e32 v94, v132, v212
	s_waitcnt vmcnt(28) lgkmcnt(1)
	v_mul_f32_e32 v150, v141, v222
	v_fma_f32 v94, v131, v211, -v94
	v_fmac_f32_e32 v150, v142, v221
	v_add_f32_e32 v93, v93, v94
	v_mul_f32_e32 v94, v134, v214
	v_add_f32_e32 v149, v149, v150
	s_waitcnt vmcnt(27)
	v_mul_f32_e32 v150, v143, v223
	v_fma_f32 v94, v133, v213, -v94
	s_waitcnt vmcnt(26)
	v_fmac_f32_e32 v150, v144, v224
	v_add_f32_e32 v93, v93, v94
	v_mul_f32_e32 v94, v136, v216
	v_add_f32_e32 v149, v149, v150
	s_waitcnt vmcnt(24) lgkmcnt(0)
	v_mul_f32_e32 v150, v145, v226
	v_fma_f32 v94, v135, v215, -v94
	v_fmac_f32_e32 v150, v146, v225
	v_add_f32_e32 v93, v93, v94
	v_mul_f32_e32 v94, v138, v218
	v_add_f32_e32 v153, v149, v150
	ds_read_b128 v[149:152], v92 offset:640
	v_fma_f32 v94, v137, v217, -v94
	v_add_f32_e32 v93, v93, v94
	v_mul_f32_e32 v94, v140, v220
	s_waitcnt vmcnt(22)
	v_mul_f32_e32 v154, v147, v228
	v_fma_f32 v94, v139, v219, -v94
	v_fmac_f32_e32 v154, v148, v227
	v_add_f32_e32 v93, v93, v94
	v_mul_f32_e32 v94, v142, v222
	v_add_f32_e32 v157, v153, v154
	ds_read_b128 v[153:156], v92 offset:656
	v_fma_f32 v94, v141, v221, -v94
	s_waitcnt vmcnt(20) lgkmcnt(1)
	v_mul_f32_e32 v158, v149, v230
	v_add_f32_e32 v93, v93, v94
	v_mul_f32_e32 v94, v144, v223
	v_fmac_f32_e32 v158, v150, v229
	v_fma_f32 v94, v143, v224, -v94
	v_add_f32_e32 v157, v157, v158
	s_waitcnt vmcnt(19)
	v_mul_f32_e32 v158, v151, v231
	v_add_f32_e32 v93, v93, v94
	v_mul_f32_e32 v94, v146, v226
	s_waitcnt vmcnt(18)
	v_fmac_f32_e32 v158, v152, v232
	v_fma_f32 v94, v145, v225, -v94
	v_add_f32_e32 v157, v157, v158
	s_waitcnt vmcnt(16) lgkmcnt(0)
	v_mul_f32_e32 v158, v153, v234
	v_add_f32_e32 v93, v93, v94
	v_mul_f32_e32 v94, v148, v228
	v_fmac_f32_e32 v158, v154, v233
	v_fma_f32 v94, v147, v227, -v94
	v_add_f32_e32 v161, v157, v158
	ds_read_b128 v[157:160], v92 offset:672
	v_add_f32_e32 v93, v93, v94
	v_mul_f32_e32 v94, v150, v230
	v_fma_f32 v94, v149, v229, -v94
	s_waitcnt vmcnt(14)
	v_mul_f32_e32 v162, v155, v236
	v_add_f32_e32 v93, v93, v94
	v_mul_f32_e32 v94, v152, v231
	v_fmac_f32_e32 v162, v156, v235
	v_fma_f32 v94, v151, v232, -v94
	v_add_f32_e32 v165, v161, v162
	ds_read_b128 v[161:164], v92 offset:688
	v_add_f32_e32 v93, v93, v94
	v_mul_f32_e32 v94, v154, v234
	s_waitcnt vmcnt(12) lgkmcnt(1)
	v_mul_f32_e32 v166, v157, v238
	v_fma_f32 v94, v153, v233, -v94
	v_fmac_f32_e32 v166, v158, v237
	v_add_f32_e32 v93, v93, v94
	v_mul_f32_e32 v94, v156, v236
	v_add_f32_e32 v165, v165, v166
	s_waitcnt vmcnt(11)
	v_mul_f32_e32 v166, v159, v239
	v_fma_f32 v94, v155, v235, -v94
	s_waitcnt vmcnt(10)
	v_fmac_f32_e32 v166, v160, v240
	v_add_f32_e32 v93, v93, v94
	v_mul_f32_e32 v94, v158, v238
	v_add_f32_e32 v165, v165, v166
	s_waitcnt vmcnt(8) lgkmcnt(0)
	v_mul_f32_e32 v166, v161, v242
	v_fma_f32 v94, v157, v237, -v94
	v_fmac_f32_e32 v166, v162, v241
	v_add_f32_e32 v93, v93, v94
	v_mul_f32_e32 v94, v160, v239
	v_add_f32_e32 v169, v165, v166
	ds_read_b128 v[165:168], v92 offset:704
	v_fma_f32 v94, v159, v240, -v94
	v_add_f32_e32 v93, v93, v94
	v_mul_f32_e32 v94, v162, v242
	s_waitcnt vmcnt(6)
	v_mul_f32_e32 v170, v163, v244
	v_fma_f32 v94, v161, v241, -v94
	v_fmac_f32_e32 v170, v164, v243
	v_add_f32_e32 v93, v93, v94
	v_mul_f32_e32 v94, v164, v244
	v_add_f32_e32 v251, v169, v170
	ds_read_b64 v[169:170], v92 offset:720
	v_fma_f32 v94, v163, v243, -v94
	v_add_f32_e32 v93, v93, v94
	s_waitcnt vmcnt(4) lgkmcnt(1)
	v_mul_f32_e32 v94, v166, v246
	v_mul_f32_e32 v252, v165, v246
	v_fma_f32 v94, v165, v245, -v94
	v_fmac_f32_e32 v252, v166, v245
	v_add_f32_e32 v93, v93, v94
	s_waitcnt vmcnt(3)
	v_mul_f32_e32 v94, v168, v247
	v_add_f32_e32 v251, v251, v252
	v_mul_f32_e32 v252, v167, v247
	s_waitcnt vmcnt(2)
	v_fma_f32 v94, v167, v248, -v94
	v_fmac_f32_e32 v252, v168, v248
	v_add_f32_e32 v93, v93, v94
	s_waitcnt vmcnt(0) lgkmcnt(0)
	v_mul_f32_e32 v94, v170, v250
	v_add_f32_e32 v251, v251, v252
	v_mul_f32_e32 v252, v169, v250
	v_fma_f32 v94, v169, v249, -v94
	v_fmac_f32_e32 v252, v170, v249
	v_add_f32_e32 v93, v93, v94
	v_add_f32_e32 v251, v251, v252
	v_sub_f32_e32 v93, v195, v93
	v_sub_f32_e32 v94, v196, v251
	buffer_store_dword v93, off, s[0:3], 0 offset:40
	buffer_store_dword v94, off, s[0:3], 0 offset:44
	s_and_saveexec_b64 s[4:5], vcc
	s_cbranch_execz .LBB44_275
; %bb.274:
	buffer_load_dword v93, off, s[0:3], 0 offset:32
	buffer_load_dword v94, off, s[0:3], 0 offset:36
	s_waitcnt vmcnt(0)
	ds_write_b64 v91, v[93:94]
	buffer_store_dword v92, off, s[0:3], 0 offset:32
	buffer_store_dword v92, off, s[0:3], 0 offset:36
.LBB44_275:
	s_or_b64 exec, exec, s[4:5]
	s_waitcnt lgkmcnt(0)
	; wave barrier
	buffer_load_dword v173, off, s[0:3], 0 offset:44
	buffer_load_dword v174, off, s[0:3], 0 offset:52
	;; [unrolled: 1-line block ×32, first 2 shown]
	ds_read2_b64 v[93:96], v92 offset0:51 offset1:52
	ds_read2_b64 v[97:100], v92 offset0:53 offset1:54
	;; [unrolled: 1-line block ×6, first 2 shown]
	buffer_load_dword v205, off, s[0:3], 0 offset:160
	buffer_load_dword v206, off, s[0:3], 0 offset:164
	;; [unrolled: 1-line block ×26, first 2 shown]
	v_cmp_lt_u32_e32 vcc, 3, v0
	s_waitcnt vmcnt(57) lgkmcnt(5)
	v_mul_f32_e32 v117, v93, v173
	s_waitcnt vmcnt(56)
	v_mul_f32_e32 v118, v95, v174
	s_waitcnt vmcnt(55) lgkmcnt(4)
	v_mul_f32_e32 v119, v97, v175
	s_waitcnt vmcnt(54)
	v_mul_f32_e32 v120, v99, v176
	;; [unrolled: 4-line block ×5, first 2 shown]
	s_waitcnt vmcnt(47) lgkmcnt(0)
	v_mul_f32_e32 v127, v113, v183
	s_waitcnt vmcnt(46)
	v_fmac_f32_e32 v119, v98, v184
	s_waitcnt vmcnt(45)
	v_fmac_f32_e32 v118, v96, v185
	;; [unrolled: 2-line block ×3, first 2 shown]
	v_add_f32_e32 v117, 0, v117
	v_add_f32_e32 v117, v117, v118
	;; [unrolled: 1-line block ×3, first 2 shown]
	s_waitcnt vmcnt(40)
	v_fmac_f32_e32 v120, v100, v190
	v_fmac_f32_e32 v121, v102, v189
	v_add_f32_e32 v117, v117, v120
	v_fmac_f32_e32 v122, v104, v188
	v_add_f32_e32 v117, v117, v121
	;; [unrolled: 2-line block ×3, first 2 shown]
	s_waitcnt vmcnt(36)
	v_fmac_f32_e32 v124, v108, v194
	v_add_f32_e32 v117, v117, v123
	v_fmac_f32_e32 v125, v110, v193
	v_add_f32_e32 v117, v117, v124
	v_fmac_f32_e32 v126, v112, v192
	v_add_f32_e32 v117, v117, v125
	v_fmac_f32_e32 v127, v114, v191
	v_add_f32_e32 v117, v117, v126
	v_add_f32_e32 v121, v117, v127
	ds_read2_b64 v[117:120], v92 offset0:63 offset1:64
	buffer_load_dword v231, off, s[0:3], 0 offset:264
	buffer_load_dword v232, off, s[0:3], 0 offset:268
	;; [unrolled: 1-line block ×6, first 2 shown]
	s_waitcnt vmcnt(41)
	v_mul_f32_e32 v122, v115, v195
	s_waitcnt vmcnt(35)
	v_fmac_f32_e32 v122, v116, v201
	v_add_f32_e32 v125, v121, v122
	ds_read2_b64 v[121:124], v92 offset0:65 offset1:66
	buffer_load_dword v237, off, s[0:3], 0 offset:288
	buffer_load_dword v238, off, s[0:3], 0 offset:292
	;; [unrolled: 1-line block ×10, first 2 shown]
	s_waitcnt vmcnt(44) lgkmcnt(1)
	v_mul_f32_e32 v126, v117, v202
	v_fmac_f32_e32 v126, v118, v200
	v_add_f32_e32 v125, v125, v126
	v_mul_f32_e32 v126, v119, v197
	v_fmac_f32_e32 v126, v120, v196
	v_add_f32_e32 v125, v125, v126
	s_waitcnt lgkmcnt(0)
	v_mul_f32_e32 v126, v121, v199
	buffer_load_dword v247, off, s[0:3], 0 offset:328
	buffer_load_dword v248, off, s[0:3], 0 offset:332
	;; [unrolled: 1-line block ×6, first 2 shown]
	v_fmac_f32_e32 v126, v122, v198
	s_waitcnt vmcnt(46)
	v_mul_f32_e32 v130, v123, v206
	v_add_f32_e32 v129, v125, v126
	v_fmac_f32_e32 v130, v124, v205
	ds_read2_b64 v[125:128], v92 offset0:67 offset1:68
	v_add_f32_e32 v133, v129, v130
	ds_read2_b64 v[129:132], v92 offset0:69 offset1:70
	buffer_load_dword v253, off, s[0:3], 0 offset:352
	buffer_load_dword v254, off, s[0:3], 0 offset:356
	v_mul_f32_e32 v94, v94, v173
	v_fma_f32 v93, v93, v186, -v94
	v_mul_f32_e32 v94, v96, v174
	v_add_f32_e32 v93, 0, v93
	v_fma_f32 v94, v95, v185, -v94
	v_add_f32_e32 v93, v93, v94
	v_mul_f32_e32 v94, v98, v175
	v_fma_f32 v94, v97, v184, -v94
	v_add_f32_e32 v93, v93, v94
	v_mul_f32_e32 v94, v100, v176
	;; [unrolled: 3-line block ×7, first 2 shown]
	s_waitcnt vmcnt(46) lgkmcnt(1)
	v_mul_f32_e32 v134, v125, v208
	v_fma_f32 v94, v109, v193, -v94
	v_fmac_f32_e32 v134, v126, v207
	v_add_f32_e32 v93, v93, v94
	v_mul_f32_e32 v94, v112, v182
	v_add_f32_e32 v133, v133, v134
	s_waitcnt vmcnt(44)
	v_mul_f32_e32 v134, v127, v210
	v_fma_f32 v94, v111, v192, -v94
	v_fmac_f32_e32 v134, v128, v209
	v_add_f32_e32 v93, v93, v94
	v_mul_f32_e32 v94, v114, v183
	v_add_f32_e32 v133, v133, v134
	s_waitcnt vmcnt(42) lgkmcnt(0)
	v_mul_f32_e32 v134, v129, v212
	v_fma_f32 v94, v113, v191, -v94
	v_fmac_f32_e32 v134, v130, v211
	v_add_f32_e32 v93, v93, v94
	v_mul_f32_e32 v94, v116, v195
	v_add_f32_e32 v137, v133, v134
	ds_read2_b64 v[133:136], v92 offset0:71 offset1:72
	v_fma_f32 v94, v115, v201, -v94
	v_add_f32_e32 v93, v93, v94
	v_mul_f32_e32 v94, v118, v202
	s_waitcnt vmcnt(40)
	v_mul_f32_e32 v138, v131, v214
	v_fma_f32 v94, v117, v200, -v94
	v_fmac_f32_e32 v138, v132, v213
	v_add_f32_e32 v93, v93, v94
	v_mul_f32_e32 v94, v120, v197
	v_add_f32_e32 v141, v137, v138
	ds_read2_b64 v[137:140], v92 offset0:73 offset1:74
	v_fma_f32 v94, v119, v196, -v94
	s_waitcnt vmcnt(38) lgkmcnt(1)
	v_mul_f32_e32 v142, v133, v216
	v_add_f32_e32 v93, v93, v94
	v_mul_f32_e32 v94, v122, v199
	v_fmac_f32_e32 v142, v134, v215
	v_fma_f32 v94, v121, v198, -v94
	v_add_f32_e32 v141, v141, v142
	s_waitcnt vmcnt(36)
	v_mul_f32_e32 v142, v135, v218
	v_add_f32_e32 v93, v93, v94
	v_mul_f32_e32 v94, v124, v206
	v_fmac_f32_e32 v142, v136, v217
	v_fma_f32 v94, v123, v205, -v94
	v_add_f32_e32 v141, v141, v142
	s_waitcnt vmcnt(34) lgkmcnt(0)
	v_mul_f32_e32 v142, v137, v220
	v_add_f32_e32 v93, v93, v94
	v_mul_f32_e32 v94, v126, v208
	v_fmac_f32_e32 v142, v138, v219
	v_fma_f32 v94, v125, v207, -v94
	v_add_f32_e32 v145, v141, v142
	ds_read2_b64 v[141:144], v92 offset0:75 offset1:76
	v_add_f32_e32 v93, v93, v94
	v_mul_f32_e32 v94, v128, v210
	v_fma_f32 v94, v127, v209, -v94
	s_waitcnt vmcnt(32)
	v_mul_f32_e32 v146, v139, v222
	v_add_f32_e32 v93, v93, v94
	v_mul_f32_e32 v94, v130, v212
	v_fmac_f32_e32 v146, v140, v221
	v_fma_f32 v94, v129, v211, -v94
	v_add_f32_e32 v149, v145, v146
	ds_read2_b64 v[145:148], v92 offset0:77 offset1:78
	v_add_f32_e32 v93, v93, v94
	v_mul_f32_e32 v94, v132, v214
	s_waitcnt vmcnt(30) lgkmcnt(1)
	v_mul_f32_e32 v150, v141, v224
	v_fma_f32 v94, v131, v213, -v94
	v_fmac_f32_e32 v150, v142, v223
	v_add_f32_e32 v93, v93, v94
	v_mul_f32_e32 v94, v134, v216
	v_add_f32_e32 v149, v149, v150
	s_waitcnt vmcnt(29)
	v_mul_f32_e32 v150, v143, v225
	v_fma_f32 v94, v133, v215, -v94
	s_waitcnt vmcnt(26)
	v_fmac_f32_e32 v150, v144, v228
	v_add_f32_e32 v93, v93, v94
	v_mul_f32_e32 v94, v136, v218
	v_add_f32_e32 v149, v149, v150
	s_waitcnt lgkmcnt(0)
	v_mul_f32_e32 v150, v145, v227
	v_fma_f32 v94, v135, v217, -v94
	v_fmac_f32_e32 v150, v146, v226
	v_add_f32_e32 v93, v93, v94
	v_mul_f32_e32 v94, v138, v220
	v_add_f32_e32 v153, v149, v150
	ds_read2_b64 v[149:152], v92 offset0:79 offset1:80
	v_fma_f32 v94, v137, v219, -v94
	v_add_f32_e32 v93, v93, v94
	v_mul_f32_e32 v94, v140, v222
	s_waitcnt vmcnt(24)
	v_mul_f32_e32 v154, v147, v230
	v_fma_f32 v94, v139, v221, -v94
	v_fmac_f32_e32 v154, v148, v229
	v_add_f32_e32 v93, v93, v94
	v_mul_f32_e32 v94, v142, v224
	v_add_f32_e32 v157, v153, v154
	ds_read2_b64 v[153:156], v92 offset0:81 offset1:82
	v_fma_f32 v94, v141, v223, -v94
	s_waitcnt vmcnt(22) lgkmcnt(1)
	v_mul_f32_e32 v158, v149, v232
	v_add_f32_e32 v93, v93, v94
	v_mul_f32_e32 v94, v144, v225
	v_fmac_f32_e32 v158, v150, v231
	v_fma_f32 v94, v143, v228, -v94
	v_add_f32_e32 v157, v157, v158
	s_waitcnt vmcnt(21)
	v_mul_f32_e32 v158, v151, v233
	v_add_f32_e32 v93, v93, v94
	v_mul_f32_e32 v94, v146, v227
	s_waitcnt vmcnt(18)
	v_fmac_f32_e32 v158, v152, v236
	v_fma_f32 v94, v145, v226, -v94
	v_add_f32_e32 v157, v157, v158
	s_waitcnt lgkmcnt(0)
	v_mul_f32_e32 v158, v153, v235
	v_add_f32_e32 v93, v93, v94
	v_mul_f32_e32 v94, v148, v230
	v_fmac_f32_e32 v158, v154, v234
	v_fma_f32 v94, v147, v229, -v94
	v_add_f32_e32 v161, v157, v158
	ds_read2_b64 v[157:160], v92 offset0:83 offset1:84
	v_add_f32_e32 v93, v93, v94
	v_mul_f32_e32 v94, v150, v232
	v_fma_f32 v94, v149, v231, -v94
	s_waitcnt vmcnt(16)
	v_mul_f32_e32 v162, v155, v238
	v_add_f32_e32 v93, v93, v94
	v_mul_f32_e32 v94, v152, v233
	v_fmac_f32_e32 v162, v156, v237
	v_fma_f32 v94, v151, v236, -v94
	v_add_f32_e32 v165, v161, v162
	ds_read2_b64 v[161:164], v92 offset0:85 offset1:86
	v_add_f32_e32 v93, v93, v94
	v_mul_f32_e32 v94, v154, v235
	s_waitcnt vmcnt(14) lgkmcnt(1)
	v_mul_f32_e32 v166, v157, v240
	v_fma_f32 v94, v153, v234, -v94
	v_fmac_f32_e32 v166, v158, v239
	v_add_f32_e32 v93, v93, v94
	v_mul_f32_e32 v94, v156, v238
	v_add_f32_e32 v165, v165, v166
	s_waitcnt vmcnt(13)
	v_mul_f32_e32 v166, v159, v241
	v_fma_f32 v94, v155, v237, -v94
	s_waitcnt vmcnt(10)
	v_fmac_f32_e32 v166, v160, v244
	v_add_f32_e32 v93, v93, v94
	v_mul_f32_e32 v94, v158, v240
	v_add_f32_e32 v165, v165, v166
	s_waitcnt lgkmcnt(0)
	v_mul_f32_e32 v166, v161, v243
	v_fma_f32 v94, v157, v239, -v94
	v_fmac_f32_e32 v166, v162, v242
	v_add_f32_e32 v93, v93, v94
	v_mul_f32_e32 v94, v160, v241
	v_add_f32_e32 v169, v165, v166
	ds_read2_b64 v[165:168], v92 offset0:87 offset1:88
	v_fma_f32 v94, v159, v244, -v94
	v_add_f32_e32 v93, v93, v94
	v_mul_f32_e32 v94, v162, v243
	s_waitcnt vmcnt(8)
	v_mul_f32_e32 v170, v163, v246
	v_fma_f32 v94, v161, v242, -v94
	v_fmac_f32_e32 v170, v164, v245
	v_add_f32_e32 v93, v93, v94
	v_mul_f32_e32 v94, v164, v246
	v_add_f32_e32 v255, v169, v170
	ds_read2_b64 v[169:172], v92 offset0:89 offset1:90
	v_fma_f32 v94, v163, v245, -v94
	v_add_f32_e32 v93, v93, v94
	s_waitcnt vmcnt(6) lgkmcnt(1)
	v_mul_f32_e32 v94, v166, v248
	v_mul_f32_e32 v92, v165, v248
	v_fma_f32 v94, v165, v247, -v94
	v_fmac_f32_e32 v92, v166, v247
	v_add_f32_e32 v93, v93, v94
	s_waitcnt vmcnt(5)
	v_mul_f32_e32 v94, v168, v249
	v_add_f32_e32 v92, v255, v92
	v_mul_f32_e32 v255, v167, v249
	s_waitcnt vmcnt(2)
	v_fma_f32 v94, v167, v252, -v94
	v_fmac_f32_e32 v255, v168, v252
	v_add_f32_e32 v93, v93, v94
	s_waitcnt lgkmcnt(0)
	v_mul_f32_e32 v94, v170, v251
	v_add_f32_e32 v92, v92, v255
	v_mul_f32_e32 v255, v169, v251
	v_fma_f32 v94, v169, v250, -v94
	v_fmac_f32_e32 v255, v170, v250
	v_add_f32_e32 v93, v93, v94
	s_waitcnt vmcnt(0)
	v_mul_f32_e32 v94, v172, v254
	v_add_f32_e32 v92, v92, v255
	v_mul_f32_e32 v255, v171, v254
	v_fma_f32 v94, v171, v253, -v94
	v_fmac_f32_e32 v255, v172, v253
	v_add_f32_e32 v93, v93, v94
	v_add_f32_e32 v92, v92, v255
	v_sub_f32_e32 v93, v203, v93
	v_sub_f32_e32 v92, v204, v92
	buffer_store_dword v93, off, s[0:3], 0 offset:32
	buffer_store_dword v92, off, s[0:3], 0 offset:36
	s_and_saveexec_b64 s[4:5], vcc
	s_cbranch_execz .LBB44_277
; %bb.276:
	buffer_load_dword v92, off, s[0:3], 0 offset:24
	buffer_load_dword v93, off, s[0:3], 0 offset:28
	v_mov_b32_e32 v94, 0
	buffer_store_dword v94, off, s[0:3], 0 offset:24
	buffer_store_dword v94, off, s[0:3], 0 offset:28
	s_waitcnt vmcnt(2)
	ds_write_b64 v91, v[92:93]
.LBB44_277:
	s_or_b64 exec, exec, s[4:5]
	s_waitcnt lgkmcnt(0)
	; wave barrier
	buffer_load_dword v101, off, s[0:3], 0 offset:36
	buffer_load_dword v100, off, s[0:3], 0 offset:44
	;; [unrolled: 1-line block ×50, first 2 shown]
	v_mov_b32_e32 v92, 0
	ds_read_b128 v[102:105], v92 offset:400
	ds_read_b128 v[106:109], v92 offset:416
	;; [unrolled: 1-line block ×6, first 2 shown]
	buffer_load_dword v225, off, s[0:3], 0 offset:224
	buffer_load_dword v226, off, s[0:3], 0 offset:228
	;; [unrolled: 1-line block ×6, first 2 shown]
	v_cmp_lt_u32_e32 vcc, 2, v0
	s_waitcnt vmcnt(55) lgkmcnt(5)
	v_mul_f32_e32 v126, v102, v101
	s_waitcnt vmcnt(54)
	v_mul_f32_e32 v127, v104, v100
	s_waitcnt vmcnt(53) lgkmcnt(4)
	v_mul_f32_e32 v128, v106, v99
	s_waitcnt vmcnt(52)
	v_mul_f32_e32 v129, v108, v98
	;; [unrolled: 4-line block ×5, first 2 shown]
	s_waitcnt vmcnt(45) lgkmcnt(0)
	v_mul_f32_e32 v136, v122, v187
	s_waitcnt vmcnt(44)
	v_fmac_f32_e32 v128, v107, v188
	s_waitcnt vmcnt(43)
	v_fmac_f32_e32 v127, v105, v189
	;; [unrolled: 2-line block ×3, first 2 shown]
	v_add_f32_e32 v126, 0, v126
	v_add_f32_e32 v126, v126, v127
	;; [unrolled: 1-line block ×3, first 2 shown]
	s_waitcnt vmcnt(38)
	v_fmac_f32_e32 v129, v109, v194
	v_fmac_f32_e32 v130, v111, v193
	v_add_f32_e32 v126, v126, v129
	v_fmac_f32_e32 v131, v113, v192
	v_add_f32_e32 v126, v126, v130
	;; [unrolled: 2-line block ×3, first 2 shown]
	s_waitcnt vmcnt(34)
	v_fmac_f32_e32 v133, v117, v198
	v_add_f32_e32 v126, v126, v132
	v_fmac_f32_e32 v134, v119, v197
	v_add_f32_e32 v126, v126, v133
	;; [unrolled: 2-line block ×4, first 2 shown]
	v_add_f32_e32 v130, v126, v136
	ds_read_b128 v[126:129], v92 offset:496
	buffer_load_dword v231, off, s[0:3], 0 offset:248
	buffer_load_dword v232, off, s[0:3], 0 offset:252
	s_waitcnt vmcnt(35)
	v_mul_f32_e32 v131, v124, v199
	s_waitcnt vmcnt(29)
	v_fmac_f32_e32 v131, v125, v205
	v_add_f32_e32 v134, v130, v131
	ds_read_b128 v[130:133], v92 offset:512
	buffer_load_dword v233, off, s[0:3], 0 offset:256
	buffer_load_dword v234, off, s[0:3], 0 offset:260
	;; [unrolled: 1-line block ×14, first 2 shown]
	s_waitcnt vmcnt(42) lgkmcnt(1)
	v_mul_f32_e32 v135, v126, v206
	v_fmac_f32_e32 v135, v127, v204
	buffer_load_dword v247, off, s[0:3], 0 offset:312
	buffer_load_dword v248, off, s[0:3], 0 offset:316
	v_add_f32_e32 v134, v134, v135
	v_mul_f32_e32 v135, v128, v201
	v_fmac_f32_e32 v135, v129, v200
	v_add_f32_e32 v134, v134, v135
	s_waitcnt lgkmcnt(0)
	v_mul_f32_e32 v135, v130, v203
	v_fmac_f32_e32 v135, v131, v202
	v_add_f32_e32 v138, v134, v135
	ds_read_b128 v[134:137], v92 offset:528
	buffer_load_dword v249, off, s[0:3], 0 offset:320
	buffer_load_dword v250, off, s[0:3], 0 offset:324
	;; [unrolled: 1-line block ×6, first 2 shown]
	s_waitcnt vmcnt(46)
	v_mul_f32_e32 v139, v132, v208
	v_fmac_f32_e32 v139, v133, v207
	v_add_f32_e32 v142, v138, v139
	ds_read_b128 v[138:141], v92 offset:544
	buffer_load_dword v255, off, s[0:3], 0 offset:348
	buffer_load_dword v1, off, s[0:3], 0 offset:352
	;; [unrolled: 1-line block ×4, first 2 shown]
	s_waitcnt vmcnt(48) lgkmcnt(1)
	v_mul_f32_e32 v143, v134, v210
	v_fmac_f32_e32 v143, v135, v209
	v_add_f32_e32 v4, v142, v143
	s_waitcnt vmcnt(46)
	v_mul_f32_e32 v142, v136, v212
	v_fmac_f32_e32 v142, v137, v211
	v_add_f32_e32 v4, v4, v142
	s_waitcnt vmcnt(44) lgkmcnt(0)
	v_mul_f32_e32 v142, v138, v214
	v_fmac_f32_e32 v142, v139, v213
	v_add_f32_e32 v4, v4, v142
	ds_read_b128 v[142:145], v92 offset:560
	s_waitcnt vmcnt(42)
	v_mul_f32_e32 v146, v140, v216
	v_fmac_f32_e32 v146, v141, v215
	v_add_f32_e32 v4, v4, v146
	ds_read_b128 v[146:149], v92 offset:576
	s_waitcnt vmcnt(40) lgkmcnt(1)
	v_mul_f32_e32 v150, v142, v218
	v_fmac_f32_e32 v150, v143, v217
	v_add_f32_e32 v4, v4, v150
	s_waitcnt vmcnt(38)
	v_mul_f32_e32 v150, v144, v220
	v_fmac_f32_e32 v150, v145, v219
	v_add_f32_e32 v4, v4, v150
	s_waitcnt vmcnt(36) lgkmcnt(0)
	v_mul_f32_e32 v150, v146, v222
	v_fmac_f32_e32 v150, v147, v221
	v_add_f32_e32 v4, v4, v150
	ds_read_b128 v[150:153], v92 offset:592
	s_waitcnt vmcnt(34)
	v_mul_f32_e32 v154, v148, v224
	v_fmac_f32_e32 v154, v149, v223
	v_add_f32_e32 v4, v4, v154
	ds_read_b128 v[154:157], v92 offset:608
	s_waitcnt vmcnt(32) lgkmcnt(1)
	v_mul_f32_e32 v158, v150, v226
	v_fmac_f32_e32 v158, v151, v225
	v_add_f32_e32 v4, v4, v158
	s_waitcnt vmcnt(31)
	v_mul_f32_e32 v158, v152, v227
	s_waitcnt vmcnt(28)
	v_fmac_f32_e32 v158, v153, v230
	v_add_f32_e32 v4, v4, v158
	s_waitcnt lgkmcnt(0)
	v_mul_f32_e32 v158, v154, v229
	v_fmac_f32_e32 v158, v155, v228
	v_add_f32_e32 v4, v4, v158
	ds_read_b128 v[158:161], v92 offset:624
	v_mul_f32_e32 v6, v105, v100
	v_fma_f32 v6, v104, v189, -v6
	s_waitcnt vmcnt(26)
	v_mul_f32_e32 v162, v156, v232
	v_fmac_f32_e32 v162, v157, v231
	v_add_f32_e32 v4, v4, v162
	ds_read_b128 v[162:165], v92 offset:640
	s_waitcnt vmcnt(24) lgkmcnt(1)
	v_mul_f32_e32 v166, v158, v234
	v_fmac_f32_e32 v166, v159, v233
	v_add_f32_e32 v4, v4, v166
	s_waitcnt vmcnt(23)
	v_mul_f32_e32 v166, v160, v235
	s_waitcnt vmcnt(20)
	v_fmac_f32_e32 v166, v161, v238
	v_add_f32_e32 v4, v4, v166
	s_waitcnt lgkmcnt(0)
	v_mul_f32_e32 v166, v162, v237
	v_fmac_f32_e32 v166, v163, v236
	v_add_f32_e32 v4, v4, v166
	ds_read_b128 v[166:169], v92 offset:656
	s_waitcnt vmcnt(18)
	v_mul_f32_e32 v170, v164, v240
	v_fmac_f32_e32 v170, v165, v239
	v_add_f32_e32 v4, v4, v170
	ds_read_b128 v[170:173], v92 offset:672
	s_waitcnt vmcnt(16) lgkmcnt(1)
	v_mul_f32_e32 v174, v166, v242
	v_fmac_f32_e32 v174, v167, v241
	v_add_f32_e32 v4, v4, v174
	s_waitcnt vmcnt(15)
	v_mul_f32_e32 v174, v168, v243
	s_waitcnt vmcnt(12)
	v_fmac_f32_e32 v174, v169, v246
	v_add_f32_e32 v4, v4, v174
	s_waitcnt lgkmcnt(0)
	v_mul_f32_e32 v174, v170, v245
	v_fmac_f32_e32 v174, v171, v244
	v_add_f32_e32 v4, v4, v174
	ds_read_b128 v[174:177], v92 offset:688
	s_waitcnt vmcnt(10)
	v_mul_f32_e32 v178, v172, v248
	v_fmac_f32_e32 v178, v173, v247
	v_add_f32_e32 v4, v4, v178
	ds_read_b128 v[178:181], v92 offset:704
	s_waitcnt vmcnt(8) lgkmcnt(1)
	v_mul_f32_e32 v182, v174, v250
	v_fmac_f32_e32 v182, v175, v249
	v_add_f32_e32 v4, v4, v182
	s_waitcnt vmcnt(7)
	v_mul_f32_e32 v182, v176, v251
	s_waitcnt vmcnt(4)
	v_fmac_f32_e32 v182, v177, v254
	v_add_f32_e32 v4, v4, v182
	ds_read_b64 v[182:183], v92 offset:720
	s_waitcnt lgkmcnt(1)
	v_mul_f32_e32 v5, v178, v253
	v_fmac_f32_e32 v5, v179, v252
	v_add_f32_e32 v4, v4, v5
	s_waitcnt vmcnt(3)
	v_mul_f32_e32 v5, v180, v255
	s_waitcnt vmcnt(0)
	v_fmac_f32_e32 v5, v181, v3
	v_add_f32_e32 v4, v4, v5
	s_waitcnt lgkmcnt(0)
	v_mul_f32_e32 v5, v182, v2
	v_fmac_f32_e32 v5, v183, v1
	v_add_f32_e32 v4, v4, v5
	v_mul_f32_e32 v5, v103, v101
	v_fma_f32 v5, v102, v190, -v5
	v_add_f32_e32 v5, 0, v5
	v_add_f32_e32 v5, v5, v6
	v_mul_f32_e32 v6, v107, v99
	v_fma_f32 v6, v106, v188, -v6
	v_add_f32_e32 v5, v5, v6
	v_mul_f32_e32 v6, v109, v98
	v_fma_f32 v6, v108, v194, -v6
	;; [unrolled: 3-line block ×38, first 2 shown]
	v_mul_f32_e32 v2, v183, v2
	v_add_f32_e32 v3, v5, v3
	v_fma_f32 v1, v182, v1, -v2
	v_add_f32_e32 v1, v3, v1
	v_sub_f32_e32 v1, v93, v1
	v_sub_f32_e32 v2, v94, v4
	buffer_store_dword v1, off, s[0:3], 0 offset:24
	buffer_store_dword v2, off, s[0:3], 0 offset:28
	s_and_saveexec_b64 s[4:5], vcc
	s_cbranch_execz .LBB44_279
; %bb.278:
	buffer_load_dword v93, off, s[0:3], 0 offset:16
	buffer_load_dword v94, off, s[0:3], 0 offset:20
	s_waitcnt vmcnt(0)
	ds_write_b64 v91, v[93:94]
	buffer_store_dword v92, off, s[0:3], 0 offset:16
	buffer_store_dword v92, off, s[0:3], 0 offset:20
.LBB44_279:
	s_or_b64 exec, exec, s[4:5]
	s_waitcnt lgkmcnt(0)
	; wave barrier
	buffer_load_dword v1, off, s[0:3], 0 offset:28
	buffer_load_dword v2, off, s[0:3], 0 offset:36
	;; [unrolled: 1-line block ×32, first 2 shown]
	ds_read2_b64 v[93:96], v92 offset0:49 offset1:50
	ds_read2_b64 v[97:100], v92 offset0:51 offset1:52
	;; [unrolled: 1-line block ×6, first 2 shown]
	buffer_load_dword v203, off, s[0:3], 0 offset:144
	buffer_load_dword v204, off, s[0:3], 0 offset:148
	;; [unrolled: 1-line block ×18, first 2 shown]
	v_cmp_lt_u32_e32 vcc, 1, v0
	s_waitcnt vmcnt(49) lgkmcnt(5)
	v_mul_f32_e32 v117, v93, v1
	s_waitcnt vmcnt(48)
	v_mul_f32_e32 v118, v95, v2
	s_waitcnt vmcnt(47) lgkmcnt(4)
	v_mul_f32_e32 v119, v97, v3
	s_waitcnt vmcnt(46)
	v_mul_f32_e32 v120, v99, v4
	;; [unrolled: 4-line block ×6, first 2 shown]
	s_waitcnt vmcnt(37)
	v_fmac_f32_e32 v119, v98, v183
	s_waitcnt vmcnt(36)
	v_fmac_f32_e32 v118, v96, v184
	;; [unrolled: 2-line block ×3, first 2 shown]
	v_add_f32_e32 v117, 0, v117
	v_add_f32_e32 v117, v117, v118
	;; [unrolled: 1-line block ×3, first 2 shown]
	s_waitcnt vmcnt(31)
	v_fmac_f32_e32 v120, v100, v189
	v_fmac_f32_e32 v121, v102, v188
	v_add_f32_e32 v117, v117, v120
	v_fmac_f32_e32 v122, v104, v187
	v_add_f32_e32 v117, v117, v121
	;; [unrolled: 2-line block ×3, first 2 shown]
	s_waitcnt vmcnt(27)
	v_fmac_f32_e32 v124, v108, v193
	v_add_f32_e32 v117, v117, v123
	v_fmac_f32_e32 v125, v110, v192
	v_add_f32_e32 v117, v117, v124
	;; [unrolled: 2-line block ×3, first 2 shown]
	v_add_f32_e32 v121, v117, v126
	ds_read2_b64 v[117:120], v92 offset0:61 offset1:62
	buffer_load_dword v221, off, s[0:3], 0 offset:216
	buffer_load_dword v222, off, s[0:3], 0 offset:220
	;; [unrolled: 1-line block ×6, first 2 shown]
	v_fmac_f32_e32 v127, v114, v190
	s_waitcnt vmcnt(27)
	v_fmac_f32_e32 v128, v116, v199
	v_add_f32_e32 v121, v121, v127
	v_add_f32_e32 v125, v121, v128
	ds_read2_b64 v[121:124], v92 offset0:63 offset1:64
	buffer_load_dword v227, off, s[0:3], 0 offset:240
	buffer_load_dword v228, off, s[0:3], 0 offset:244
	;; [unrolled: 1-line block ×10, first 2 shown]
	s_waitcnt vmcnt(36) lgkmcnt(1)
	v_mul_f32_e32 v126, v117, v200
	buffer_load_dword v237, off, s[0:3], 0 offset:280
	buffer_load_dword v238, off, s[0:3], 0 offset:284
	;; [unrolled: 1-line block ×6, first 2 shown]
	v_fmac_f32_e32 v126, v118, v198
	v_add_f32_e32 v125, v125, v126
	v_mul_f32_e32 v126, v119, v195
	v_fmac_f32_e32 v126, v120, v194
	v_add_f32_e32 v125, v125, v126
	s_waitcnt lgkmcnt(0)
	v_mul_f32_e32 v126, v121, v197
	v_fmac_f32_e32 v126, v122, v196
	v_add_f32_e32 v129, v125, v126
	ds_read2_b64 v[125:128], v92 offset0:65 offset1:66
	buffer_load_dword v243, off, s[0:3], 0 offset:304
	buffer_load_dword v244, off, s[0:3], 0 offset:308
	s_waitcnt vmcnt(40)
	v_mul_f32_e32 v130, v123, v204
	v_fmac_f32_e32 v130, v124, v203
	v_add_f32_e32 v133, v129, v130
	ds_read2_b64 v[129:132], v92 offset0:67 offset1:68
	buffer_load_dword v245, off, s[0:3], 0 offset:312
	buffer_load_dword v246, off, s[0:3], 0 offset:316
	buffer_load_dword v247, off, s[0:3], 0 offset:324
	buffer_load_dword v248, off, s[0:3], 0 offset:328
	buffer_load_dword v249, off, s[0:3], 0 offset:332
	buffer_load_dword v250, off, s[0:3], 0 offset:320
	buffer_load_dword v251, off, s[0:3], 0 offset:336
	buffer_load_dword v252, off, s[0:3], 0 offset:340
	buffer_load_dword v253, off, s[0:3], 0 offset:348
	buffer_load_dword v254, off, s[0:3], 0 offset:352
	buffer_load_dword v255, off, s[0:3], 0 offset:356
	buffer_load_dword v7, off, s[0:3], 0 offset:344
	v_mul_f32_e32 v1, v94, v1
	v_fma_f32 v1, v93, v185, -v1
	v_mul_f32_e32 v2, v96, v2
	v_add_f32_e32 v1, 0, v1
	v_fma_f32 v2, v95, v184, -v2
	v_add_f32_e32 v1, v1, v2
	v_mul_f32_e32 v2, v98, v3
	v_fma_f32 v2, v97, v183, -v2
	v_add_f32_e32 v1, v1, v2
	v_mul_f32_e32 v2, v100, v4
	;; [unrolled: 3-line block ×6, first 2 shown]
	v_fma_f32 v2, v107, v193, -v2
	s_waitcnt vmcnt(50) lgkmcnt(1)
	v_mul_f32_e32 v134, v125, v206
	v_add_f32_e32 v1, v1, v2
	v_mul_f32_e32 v2, v110, v179
	v_fmac_f32_e32 v134, v126, v205
	v_fma_f32 v2, v109, v192, -v2
	v_add_f32_e32 v133, v133, v134
	s_waitcnt vmcnt(48)
	v_mul_f32_e32 v134, v127, v208
	v_add_f32_e32 v1, v1, v2
	v_mul_f32_e32 v2, v112, v180
	v_fmac_f32_e32 v134, v128, v207
	v_fma_f32 v2, v111, v191, -v2
	v_add_f32_e32 v8, v133, v134
	s_waitcnt vmcnt(46) lgkmcnt(0)
	v_mul_f32_e32 v133, v129, v210
	v_add_f32_e32 v1, v1, v2
	v_mul_f32_e32 v2, v114, v181
	v_fmac_f32_e32 v133, v130, v209
	v_fma_f32 v2, v113, v190, -v2
	v_add_f32_e32 v8, v8, v133
	ds_read2_b64 v[133:136], v92 offset0:69 offset1:70
	v_add_f32_e32 v1, v1, v2
	v_mul_f32_e32 v2, v116, v182
	v_fma_f32 v2, v115, v199, -v2
	s_waitcnt vmcnt(44)
	v_mul_f32_e32 v137, v131, v212
	v_add_f32_e32 v1, v1, v2
	v_mul_f32_e32 v2, v118, v200
	v_fmac_f32_e32 v137, v132, v211
	v_fma_f32 v2, v117, v198, -v2
	v_add_f32_e32 v8, v8, v137
	ds_read2_b64 v[137:140], v92 offset0:71 offset1:72
	v_add_f32_e32 v1, v1, v2
	v_mul_f32_e32 v2, v120, v195
	s_waitcnt vmcnt(42) lgkmcnt(1)
	v_mul_f32_e32 v141, v133, v214
	v_fma_f32 v2, v119, v194, -v2
	v_fmac_f32_e32 v141, v134, v213
	v_add_f32_e32 v1, v1, v2
	v_mul_f32_e32 v2, v122, v197
	v_add_f32_e32 v8, v8, v141
	s_waitcnt vmcnt(40)
	v_mul_f32_e32 v141, v135, v216
	v_fma_f32 v2, v121, v196, -v2
	v_fmac_f32_e32 v141, v136, v215
	v_add_f32_e32 v1, v1, v2
	v_mul_f32_e32 v2, v124, v204
	v_add_f32_e32 v8, v8, v141
	s_waitcnt vmcnt(38) lgkmcnt(0)
	v_mul_f32_e32 v141, v137, v218
	v_fma_f32 v2, v123, v203, -v2
	v_fmac_f32_e32 v141, v138, v217
	v_add_f32_e32 v1, v1, v2
	v_mul_f32_e32 v2, v126, v206
	v_add_f32_e32 v8, v8, v141
	ds_read2_b64 v[141:144], v92 offset0:73 offset1:74
	v_fma_f32 v2, v125, v205, -v2
	v_add_f32_e32 v1, v1, v2
	v_mul_f32_e32 v2, v128, v208
	s_waitcnt vmcnt(36)
	v_mul_f32_e32 v145, v139, v220
	v_fma_f32 v2, v127, v207, -v2
	v_fmac_f32_e32 v145, v140, v219
	v_add_f32_e32 v1, v1, v2
	v_mul_f32_e32 v2, v130, v210
	v_add_f32_e32 v8, v8, v145
	ds_read2_b64 v[145:148], v92 offset0:75 offset1:76
	v_fma_f32 v2, v129, v209, -v2
	s_waitcnt vmcnt(34) lgkmcnt(1)
	v_mul_f32_e32 v149, v141, v222
	v_add_f32_e32 v1, v1, v2
	v_mul_f32_e32 v2, v132, v212
	v_fmac_f32_e32 v149, v142, v221
	v_fma_f32 v2, v131, v211, -v2
	v_add_f32_e32 v8, v8, v149
	s_waitcnt vmcnt(33)
	v_mul_f32_e32 v149, v143, v223
	v_add_f32_e32 v1, v1, v2
	v_mul_f32_e32 v2, v134, v214
	s_waitcnt vmcnt(30)
	v_fmac_f32_e32 v149, v144, v226
	v_fma_f32 v2, v133, v213, -v2
	v_add_f32_e32 v8, v8, v149
	s_waitcnt lgkmcnt(0)
	v_mul_f32_e32 v149, v145, v225
	v_add_f32_e32 v1, v1, v2
	v_mul_f32_e32 v2, v136, v216
	v_fmac_f32_e32 v149, v146, v224
	v_fma_f32 v2, v135, v215, -v2
	v_add_f32_e32 v8, v8, v149
	ds_read2_b64 v[149:152], v92 offset0:77 offset1:78
	v_add_f32_e32 v1, v1, v2
	v_mul_f32_e32 v2, v138, v218
	v_fma_f32 v2, v137, v217, -v2
	s_waitcnt vmcnt(28)
	v_mul_f32_e32 v153, v147, v228
	v_add_f32_e32 v1, v1, v2
	v_mul_f32_e32 v2, v140, v220
	v_fmac_f32_e32 v153, v148, v227
	v_fma_f32 v2, v139, v219, -v2
	v_add_f32_e32 v8, v8, v153
	ds_read2_b64 v[153:156], v92 offset0:79 offset1:80
	v_add_f32_e32 v1, v1, v2
	v_mul_f32_e32 v2, v142, v222
	s_waitcnt vmcnt(26) lgkmcnt(1)
	v_mul_f32_e32 v157, v149, v230
	v_fma_f32 v2, v141, v221, -v2
	v_fmac_f32_e32 v157, v150, v229
	v_add_f32_e32 v1, v1, v2
	v_mul_f32_e32 v2, v144, v223
	v_add_f32_e32 v8, v8, v157
	s_waitcnt vmcnt(25)
	v_mul_f32_e32 v157, v151, v231
	v_fma_f32 v2, v143, v226, -v2
	s_waitcnt vmcnt(22)
	v_fmac_f32_e32 v157, v152, v234
	v_add_f32_e32 v1, v1, v2
	v_mul_f32_e32 v2, v146, v225
	v_add_f32_e32 v8, v8, v157
	s_waitcnt lgkmcnt(0)
	v_mul_f32_e32 v157, v153, v233
	v_fma_f32 v2, v145, v224, -v2
	v_fmac_f32_e32 v157, v154, v232
	v_add_f32_e32 v1, v1, v2
	v_mul_f32_e32 v2, v148, v228
	v_add_f32_e32 v8, v8, v157
	ds_read2_b64 v[157:160], v92 offset0:81 offset1:82
	v_fma_f32 v2, v147, v227, -v2
	v_add_f32_e32 v1, v1, v2
	v_mul_f32_e32 v2, v150, v230
	s_waitcnt vmcnt(20)
	v_mul_f32_e32 v161, v155, v236
	v_fma_f32 v2, v149, v229, -v2
	v_fmac_f32_e32 v161, v156, v235
	v_add_f32_e32 v1, v1, v2
	v_mul_f32_e32 v2, v152, v231
	v_add_f32_e32 v8, v8, v161
	ds_read2_b64 v[161:164], v92 offset0:83 offset1:84
	v_fma_f32 v2, v151, v234, -v2
	s_waitcnt vmcnt(18) lgkmcnt(1)
	v_mul_f32_e32 v165, v157, v238
	v_add_f32_e32 v1, v1, v2
	v_mul_f32_e32 v2, v154, v233
	v_fmac_f32_e32 v165, v158, v237
	v_fma_f32 v2, v153, v232, -v2
	v_add_f32_e32 v8, v8, v165
	s_waitcnt vmcnt(17)
	v_mul_f32_e32 v165, v159, v239
	v_add_f32_e32 v1, v1, v2
	v_mul_f32_e32 v2, v156, v236
	s_waitcnt vmcnt(14)
	v_fmac_f32_e32 v165, v160, v242
	v_fma_f32 v2, v155, v235, -v2
	v_add_f32_e32 v8, v8, v165
	s_waitcnt lgkmcnt(0)
	v_mul_f32_e32 v165, v161, v241
	v_add_f32_e32 v1, v1, v2
	v_mul_f32_e32 v2, v158, v238
	v_fmac_f32_e32 v165, v162, v240
	v_fma_f32 v2, v157, v237, -v2
	v_add_f32_e32 v8, v8, v165
	ds_read2_b64 v[165:168], v92 offset0:85 offset1:86
	v_add_f32_e32 v1, v1, v2
	v_mul_f32_e32 v2, v160, v239
	v_fma_f32 v2, v159, v242, -v2
	v_add_f32_e32 v1, v1, v2
	v_mul_f32_e32 v2, v162, v241
	s_waitcnt vmcnt(12)
	v_mul_f32_e32 v169, v163, v244
	v_fma_f32 v2, v161, v240, -v2
	v_fmac_f32_e32 v169, v164, v243
	v_add_f32_e32 v1, v1, v2
	v_mul_f32_e32 v2, v164, v244
	v_add_f32_e32 v8, v8, v169
	ds_read2_b64 v[169:172], v92 offset0:87 offset1:88
	s_waitcnt vmcnt(10) lgkmcnt(1)
	v_mul_f32_e32 v173, v165, v246
	v_fma_f32 v2, v163, v243, -v2
	v_fmac_f32_e32 v173, v166, v245
	v_add_f32_e32 v1, v1, v2
	v_mul_f32_e32 v2, v166, v246
	v_add_f32_e32 v8, v8, v173
	s_waitcnt vmcnt(9)
	v_mul_f32_e32 v173, v167, v247
	v_fma_f32 v2, v165, v245, -v2
	s_waitcnt vmcnt(6)
	v_fmac_f32_e32 v173, v168, v250
	v_add_f32_e32 v1, v1, v2
	v_mul_f32_e32 v2, v168, v247
	v_add_f32_e32 v8, v8, v173
	ds_read2_b64 v[173:176], v92 offset0:89 offset1:90
	v_fma_f32 v2, v167, v250, -v2
	v_add_f32_e32 v1, v1, v2
	s_waitcnt lgkmcnt(1)
	v_mul_f32_e32 v2, v170, v249
	v_mul_f32_e32 v9, v169, v249
	v_fma_f32 v2, v169, v248, -v2
	v_fmac_f32_e32 v9, v170, v248
	v_add_f32_e32 v1, v1, v2
	s_waitcnt vmcnt(4)
	v_mul_f32_e32 v2, v172, v252
	v_add_f32_e32 v8, v8, v9
	v_mul_f32_e32 v9, v171, v252
	v_fma_f32 v2, v171, v251, -v2
	v_fmac_f32_e32 v9, v172, v251
	v_add_f32_e32 v1, v1, v2
	s_waitcnt vmcnt(3) lgkmcnt(0)
	v_mul_f32_e32 v2, v174, v253
	v_add_f32_e32 v8, v8, v9
	v_mul_f32_e32 v9, v173, v253
	s_waitcnt vmcnt(0)
	v_fma_f32 v2, v173, v7, -v2
	v_fmac_f32_e32 v9, v174, v7
	v_add_f32_e32 v1, v1, v2
	v_mul_f32_e32 v2, v176, v255
	v_add_f32_e32 v8, v8, v9
	v_mul_f32_e32 v9, v175, v255
	v_fma_f32 v2, v175, v254, -v2
	v_fmac_f32_e32 v9, v176, v254
	v_add_f32_e32 v1, v1, v2
	v_add_f32_e32 v8, v8, v9
	v_sub_f32_e32 v1, v201, v1
	v_sub_f32_e32 v2, v202, v8
	buffer_store_dword v1, off, s[0:3], 0 offset:16
	buffer_store_dword v2, off, s[0:3], 0 offset:20
	s_and_saveexec_b64 s[4:5], vcc
	s_cbranch_execz .LBB44_281
; %bb.280:
	buffer_load_dword v92, off, s[0:3], 0 offset:8
	buffer_load_dword v93, off, s[0:3], 0 offset:12
	v_mov_b32_e32 v1, 0
	buffer_store_dword v1, off, s[0:3], 0 offset:8
	buffer_store_dword v1, off, s[0:3], 0 offset:12
	s_waitcnt vmcnt(2)
	ds_write_b64 v91, v[92:93]
.LBB44_281:
	s_or_b64 exec, exec, s[4:5]
	s_waitcnt lgkmcnt(0)
	; wave barrier
	buffer_load_dword v101, off, s[0:3], 0 offset:20
	buffer_load_dword v100, off, s[0:3], 0 offset:28
	;; [unrolled: 1-line block ×48, first 2 shown]
	v_mov_b32_e32 v92, 0
	ds_read_b128 v[107:110], v92 offset:384
	ds_read_b128 v[111:114], v92 offset:400
	;; [unrolled: 1-line block ×6, first 2 shown]
	buffer_load_dword v217, off, s[0:3], 0 offset:200
	buffer_load_dword v218, off, s[0:3], 0 offset:204
	v_cmp_ne_u32_e32 vcc, 0, v0
	s_waitcnt vmcnt(49) lgkmcnt(5)
	v_mul_f32_e32 v131, v107, v101
	s_waitcnt vmcnt(48)
	v_mul_f32_e32 v132, v109, v100
	s_waitcnt vmcnt(47) lgkmcnt(4)
	v_mul_f32_e32 v133, v111, v99
	s_waitcnt vmcnt(46)
	v_mul_f32_e32 v134, v113, v98
	s_waitcnt vmcnt(45) lgkmcnt(3)
	v_mul_f32_e32 v135, v115, v97
	s_waitcnt vmcnt(44)
	v_mul_f32_e32 v136, v117, v96
	s_waitcnt vmcnt(43) lgkmcnt(2)
	v_mul_f32_e32 v137, v119, v95
	s_waitcnt vmcnt(42)
	v_mul_f32_e32 v138, v121, v102
	s_waitcnt vmcnt(41) lgkmcnt(1)
	v_mul_f32_e32 v139, v123, v103
	s_waitcnt vmcnt(40)
	v_mul_f32_e32 v140, v125, v104
	s_waitcnt vmcnt(39) lgkmcnt(0)
	v_mul_f32_e32 v141, v127, v105
	s_waitcnt vmcnt(38)
	v_mul_f32_e32 v142, v129, v106
	s_waitcnt vmcnt(37)
	v_fmac_f32_e32 v133, v112, v1
	s_waitcnt vmcnt(36)
	v_fmac_f32_e32 v132, v110, v2
	;; [unrolled: 2-line block ×3, first 2 shown]
	v_add_f32_e32 v131, 0, v131
	v_add_f32_e32 v131, v131, v132
	;; [unrolled: 1-line block ×3, first 2 shown]
	s_waitcnt vmcnt(31)
	v_fmac_f32_e32 v134, v114, v7
	v_fmac_f32_e32 v135, v116, v6
	v_add_f32_e32 v131, v131, v134
	v_fmac_f32_e32 v136, v118, v5
	v_add_f32_e32 v131, v131, v135
	;; [unrolled: 2-line block ×3, first 2 shown]
	s_waitcnt vmcnt(27)
	v_fmac_f32_e32 v138, v122, v193
	v_add_f32_e32 v131, v131, v137
	v_fmac_f32_e32 v139, v124, v10
	v_add_f32_e32 v131, v131, v138
	;; [unrolled: 2-line block ×4, first 2 shown]
	v_add_f32_e32 v135, v131, v141
	ds_read_b128 v[131:134], v92 offset:480
	buffer_load_dword v219, off, s[0:3], 0 offset:208
	buffer_load_dword v220, off, s[0:3], 0 offset:212
	;; [unrolled: 1-line block ×6, first 2 shown]
	s_waitcnt vmcnt(28)
	v_fmac_f32_e32 v142, v130, v198
	v_add_f32_e32 v139, v135, v142
	ds_read_b128 v[135:138], v92 offset:496
	buffer_load_dword v225, off, s[0:3], 0 offset:232
	buffer_load_dword v226, off, s[0:3], 0 offset:236
	buffer_load_dword v227, off, s[0:3], 0 offset:240
	buffer_load_dword v228, off, s[0:3], 0 offset:244
	buffer_load_dword v229, off, s[0:3], 0 offset:252
	buffer_load_dword v230, off, s[0:3], 0 offset:256
	buffer_load_dword v231, off, s[0:3], 0 offset:260
	buffer_load_dword v232, off, s[0:3], 0 offset:248
	s_waitcnt vmcnt(35) lgkmcnt(1)
	v_mul_f32_e32 v140, v131, v199
	buffer_load_dword v233, off, s[0:3], 0 offset:264
	buffer_load_dword v234, off, s[0:3], 0 offset:268
	v_fmac_f32_e32 v140, v132, v197
	v_add_f32_e32 v139, v139, v140
	s_waitcnt vmcnt(36)
	v_mul_f32_e32 v140, v133, v200
	v_fmac_f32_e32 v140, v134, v196
	v_add_f32_e32 v139, v139, v140
	s_waitcnt lgkmcnt(0)
	v_mul_f32_e32 v140, v135, v195
	v_fmac_f32_e32 v140, v136, v194
	v_add_f32_e32 v143, v139, v140
	ds_read_b128 v[139:142], v92 offset:512
	buffer_load_dword v235, off, s[0:3], 0 offset:272
	buffer_load_dword v236, off, s[0:3], 0 offset:276
	;; [unrolled: 1-line block ×6, first 2 shown]
	s_waitcnt vmcnt(38)
	v_mul_f32_e32 v144, v137, v202
	v_fmac_f32_e32 v144, v138, v201
	v_add_f32_e32 v147, v143, v144
	ds_read_b128 v[143:146], v92 offset:528
	buffer_load_dword v241, off, s[0:3], 0 offset:296
	buffer_load_dword v242, off, s[0:3], 0 offset:300
	;; [unrolled: 1-line block ×16, first 2 shown]
	s_waitcnt vmcnt(52) lgkmcnt(1)
	v_mul_f32_e32 v148, v139, v204
	v_fmac_f32_e32 v148, v140, v203
	v_add_f32_e32 v147, v147, v148
	s_waitcnt vmcnt(50)
	v_mul_f32_e32 v148, v141, v206
	v_fmac_f32_e32 v148, v142, v205
	v_add_f32_e32 v147, v147, v148
	s_waitcnt vmcnt(48) lgkmcnt(0)
	v_mul_f32_e32 v148, v143, v208
	v_fmac_f32_e32 v148, v144, v207
	v_add_f32_e32 v151, v147, v148
	ds_read_b128 v[147:150], v92 offset:544
	s_waitcnt vmcnt(46)
	v_mul_f32_e32 v12, v145, v210
	v_fmac_f32_e32 v12, v146, v209
	v_add_f32_e32 v12, v151, v12
	ds_read_b128 v[151:154], v92 offset:560
	s_waitcnt vmcnt(44) lgkmcnt(1)
	v_mul_f32_e32 v155, v147, v212
	v_fmac_f32_e32 v155, v148, v211
	v_add_f32_e32 v12, v12, v155
	s_waitcnt vmcnt(42)
	v_mul_f32_e32 v155, v149, v214
	v_fmac_f32_e32 v155, v150, v213
	v_add_f32_e32 v12, v12, v155
	s_waitcnt vmcnt(40) lgkmcnt(0)
	v_mul_f32_e32 v155, v151, v216
	v_fmac_f32_e32 v155, v152, v215
	v_add_f32_e32 v12, v12, v155
	ds_read_b128 v[155:158], v92 offset:576
	s_waitcnt vmcnt(38)
	v_mul_f32_e32 v159, v153, v218
	v_fmac_f32_e32 v159, v154, v217
	v_add_f32_e32 v12, v12, v159
	ds_read_b128 v[159:162], v92 offset:592
	s_waitcnt vmcnt(36) lgkmcnt(1)
	v_mul_f32_e32 v163, v155, v220
	v_fmac_f32_e32 v163, v156, v219
	v_add_f32_e32 v12, v12, v163
	s_waitcnt vmcnt(35)
	v_mul_f32_e32 v163, v157, v221
	s_waitcnt vmcnt(32)
	v_fmac_f32_e32 v163, v158, v224
	v_add_f32_e32 v12, v12, v163
	s_waitcnt lgkmcnt(0)
	v_mul_f32_e32 v163, v159, v223
	v_fmac_f32_e32 v163, v160, v222
	v_add_f32_e32 v12, v12, v163
	ds_read_b128 v[163:166], v92 offset:608
	s_waitcnt vmcnt(30)
	v_mul_f32_e32 v167, v161, v226
	v_fmac_f32_e32 v167, v162, v225
	v_add_f32_e32 v12, v12, v167
	ds_read_b128 v[167:170], v92 offset:624
	s_waitcnt vmcnt(28) lgkmcnt(1)
	v_mul_f32_e32 v171, v163, v228
	v_fmac_f32_e32 v171, v164, v227
	v_add_f32_e32 v12, v12, v171
	s_waitcnt vmcnt(27)
	v_mul_f32_e32 v171, v165, v229
	s_waitcnt vmcnt(24)
	v_fmac_f32_e32 v171, v166, v232
	v_add_f32_e32 v12, v12, v171
	s_waitcnt lgkmcnt(0)
	;; [unrolled: 19-line block ×4, first 2 shown]
	v_mul_f32_e32 v187, v183, v247
	v_fmac_f32_e32 v187, v184, v246
	v_add_f32_e32 v12, v12, v187
	ds_read_b128 v[187:190], v92 offset:704
	s_waitcnt vmcnt(6)
	v_mul_f32_e32 v191, v185, v250
	v_fmac_f32_e32 v191, v186, v249
	v_add_f32_e32 v12, v12, v191
	ds_read_b64 v[191:192], v92 offset:720
	s_waitcnt vmcnt(4) lgkmcnt(1)
	v_mul_f32_e32 v13, v187, v252
	v_fmac_f32_e32 v13, v188, v251
	v_add_f32_e32 v12, v12, v13
	s_waitcnt vmcnt(3)
	v_mul_f32_e32 v13, v189, v253
	s_waitcnt vmcnt(0)
	v_fmac_f32_e32 v13, v190, v11
	v_add_f32_e32 v12, v12, v13
	s_waitcnt lgkmcnt(0)
	v_mul_f32_e32 v13, v191, v255
	v_fmac_f32_e32 v13, v192, v254
	v_add_f32_e32 v12, v12, v13
	v_mul_f32_e32 v13, v108, v101
	v_fma_f32 v3, v107, v3, -v13
	v_mul_f32_e32 v13, v110, v100
	v_add_f32_e32 v3, 0, v3
	v_fma_f32 v2, v109, v2, -v13
	v_add_f32_e32 v2, v3, v2
	v_mul_f32_e32 v3, v112, v99
	v_fma_f32 v1, v111, v1, -v3
	v_add_f32_e32 v1, v2, v1
	v_mul_f32_e32 v2, v114, v98
	;; [unrolled: 3-line block ×41, first 2 shown]
	v_fma_f32 v2, v191, v254, -v2
	v_add_f32_e32 v1, v1, v2
	v_sub_f32_e32 v1, v93, v1
	v_sub_f32_e32 v2, v94, v12
	buffer_store_dword v1, off, s[0:3], 0 offset:8
	buffer_store_dword v2, off, s[0:3], 0 offset:12
	s_and_saveexec_b64 s[4:5], vcc
	s_cbranch_execz .LBB44_283
; %bb.282:
	buffer_load_dword v93, off, s[0:3], 0
	buffer_load_dword v94, off, s[0:3], 0 offset:4
	s_waitcnt vmcnt(0)
	ds_write_b64 v91, v[93:94]
	buffer_store_dword v92, off, s[0:3], 0
	buffer_store_dword v92, off, s[0:3], 0 offset:4
.LBB44_283:
	s_or_b64 exec, exec, s[4:5]
	s_waitcnt lgkmcnt(0)
	; wave barrier
	buffer_load_dword v99, off, s[0:3], 0 offset:12
	buffer_load_dword v98, off, s[0:3], 0 offset:20
	;; [unrolled: 1-line block ×30, first 2 shown]
	buffer_load_dword v0, off, s[0:3], 0
	buffer_load_dword v91, off, s[0:3], 0 offset:4
	ds_read2_b64 v[105:108], v92 offset0:47 offset1:48
	ds_read2_b64 v[109:112], v92 offset0:49 offset1:50
	;; [unrolled: 1-line block ×4, first 2 shown]
	buffer_load_dword v197, off, s[0:3], 0 offset:128
	buffer_load_dword v198, off, s[0:3], 0 offset:132
	ds_read2_b64 v[121:124], v92 offset0:55 offset1:56
	ds_read2_b64 v[125:128], v92 offset0:57 offset1:58
	;; [unrolled: 1-line block ×3, first 2 shown]
	buffer_load_dword v199, off, s[0:3], 0 offset:136
	buffer_load_dword v200, off, s[0:3], 0 offset:140
	;; [unrolled: 1-line block ×16, first 2 shown]
	s_and_b64 vcc, exec, s[22:23]
	s_waitcnt vmcnt(49) lgkmcnt(6)
	v_mul_f32_e32 v133, v105, v99
	s_waitcnt vmcnt(48)
	v_mul_f32_e32 v134, v107, v98
	s_waitcnt vmcnt(47) lgkmcnt(5)
	v_mul_f32_e32 v135, v109, v97
	s_waitcnt vmcnt(46)
	v_mul_f32_e32 v136, v111, v96
	;; [unrolled: 4-line block ×6, first 2 shown]
	s_waitcnt vmcnt(37)
	v_fmac_f32_e32 v135, v110, v1
	s_waitcnt vmcnt(36)
	v_fmac_f32_e32 v134, v108, v2
	;; [unrolled: 2-line block ×3, first 2 shown]
	v_add_f32_e32 v133, 0, v133
	v_add_f32_e32 v133, v133, v134
	;; [unrolled: 1-line block ×3, first 2 shown]
	s_waitcnt vmcnt(31)
	v_fmac_f32_e32 v136, v112, v7
	v_fmac_f32_e32 v137, v114, v6
	v_add_f32_e32 v133, v133, v136
	v_fmac_f32_e32 v138, v116, v5
	v_add_f32_e32 v133, v133, v137
	v_fmac_f32_e32 v139, v118, v4
	v_add_f32_e32 v133, v133, v138
	s_waitcnt vmcnt(27)
	v_fmac_f32_e32 v140, v120, v11
	v_add_f32_e32 v133, v133, v139
	v_fmac_f32_e32 v141, v122, v10
	v_add_f32_e32 v133, v133, v140
	;; [unrolled: 2-line block ×4, first 2 shown]
	s_waitcnt vmcnt(23)
	v_fmac_f32_e32 v144, v128, v193
	v_add_f32_e32 v133, v133, v143
	v_add_f32_e32 v137, v133, v144
	ds_read2_b64 v[133:136], v92 offset0:61 offset1:62
	buffer_load_dword v215, off, s[0:3], 0 offset:200
	buffer_load_dword v216, off, s[0:3], 0 offset:204
	;; [unrolled: 1-line block ×14, first 2 shown]
	s_waitcnt vmcnt(36) lgkmcnt(1)
	v_mul_f32_e32 v138, v129, v194
	buffer_load_dword v229, off, s[0:3], 0 offset:256
	buffer_load_dword v230, off, s[0:3], 0 offset:260
	v_fmac_f32_e32 v138, v130, v14
	v_add_f32_e32 v137, v137, v138
	s_waitcnt vmcnt(37)
	v_mul_f32_e32 v138, v131, v195
	v_fmac_f32_e32 v138, v132, v13
	v_add_f32_e32 v137, v137, v138
	s_waitcnt vmcnt(36) lgkmcnt(0)
	v_mul_f32_e32 v138, v133, v196
	v_fmac_f32_e32 v138, v134, v12
	v_add_f32_e32 v141, v137, v138
	ds_read2_b64 v[137:140], v92 offset0:63 offset1:64
	buffer_load_dword v231, off, s[0:3], 0 offset:264
	buffer_load_dword v232, off, s[0:3], 0 offset:268
	buffer_load_dword v233, off, s[0:3], 0 offset:276
	buffer_load_dword v234, off, s[0:3], 0 offset:280
	buffer_load_dword v235, off, s[0:3], 0 offset:284
	buffer_load_dword v236, off, s[0:3], 0 offset:272
	s_waitcnt vmcnt(38)
	v_mul_f32_e32 v142, v135, v198
	v_fmac_f32_e32 v142, v136, v197
	v_add_f32_e32 v145, v141, v142
	ds_read2_b64 v[141:144], v92 offset0:65 offset1:66
	buffer_load_dword v237, off, s[0:3], 0 offset:288
	buffer_load_dword v238, off, s[0:3], 0 offset:292
	;; [unrolled: 1-line block ×10, first 2 shown]
	s_waitcnt vmcnt(46) lgkmcnt(1)
	v_mul_f32_e32 v146, v137, v200
	v_fmac_f32_e32 v146, v138, v199
	v_add_f32_e32 v145, v145, v146
	s_waitcnt vmcnt(44)
	v_mul_f32_e32 v146, v139, v202
	v_mul_f32_e32 v99, v106, v99
	v_fmac_f32_e32 v146, v140, v201
	v_fma_f32 v3, v105, v3, -v99
	v_mul_f32_e32 v98, v108, v98
	v_add_f32_e32 v145, v145, v146
	s_waitcnt vmcnt(42) lgkmcnt(0)
	v_mul_f32_e32 v146, v141, v204
	buffer_load_dword v247, off, s[0:3], 0 offset:328
	buffer_load_dword v248, off, s[0:3], 0 offset:332
	;; [unrolled: 1-line block ×6, first 2 shown]
	v_add_f32_e32 v3, 0, v3
	v_fma_f32 v2, v107, v2, -v98
	v_fmac_f32_e32 v146, v142, v203
	s_waitcnt vmcnt(46)
	v_mul_f32_e32 v150, v143, v206
	v_add_f32_e32 v2, v3, v2
	v_mul_f32_e32 v3, v110, v97
	v_add_f32_e32 v149, v145, v146
	v_fmac_f32_e32 v150, v144, v205
	v_fma_f32 v1, v109, v1, -v3
	ds_read2_b64 v[145:148], v92 offset0:67 offset1:68
	v_add_f32_e32 v153, v149, v150
	ds_read2_b64 v[149:152], v92 offset0:69 offset1:70
	buffer_load_dword v253, off, s[0:3], 0 offset:352
	buffer_load_dword v254, off, s[0:3], 0 offset:356
	v_add_f32_e32 v1, v2, v1
	v_mul_f32_e32 v2, v112, v96
	v_fma_f32 v2, v111, v7, -v2
	v_add_f32_e32 v1, v1, v2
	v_mul_f32_e32 v2, v114, v95
	v_fma_f32 v2, v113, v6, -v2
	;; [unrolled: 3-line block ×9, first 2 shown]
	v_add_f32_e32 v1, v1, v2
	v_mul_f32_e32 v2, v130, v194
	s_waitcnt vmcnt(46) lgkmcnt(1)
	v_mul_f32_e32 v154, v145, v208
	v_fma_f32 v2, v129, v14, -v2
	v_fmac_f32_e32 v154, v146, v207
	v_add_f32_e32 v1, v1, v2
	v_mul_f32_e32 v2, v132, v195
	v_add_f32_e32 v153, v153, v154
	s_waitcnt vmcnt(44)
	v_mul_f32_e32 v154, v147, v210
	v_fma_f32 v2, v131, v13, -v2
	v_fmac_f32_e32 v154, v148, v209
	v_add_f32_e32 v1, v1, v2
	v_mul_f32_e32 v2, v134, v196
	v_add_f32_e32 v153, v153, v154
	s_waitcnt vmcnt(42) lgkmcnt(0)
	v_mul_f32_e32 v154, v149, v212
	v_fma_f32 v2, v133, v12, -v2
	v_fmac_f32_e32 v154, v150, v211
	v_add_f32_e32 v1, v1, v2
	v_mul_f32_e32 v2, v136, v198
	v_add_f32_e32 v157, v153, v154
	ds_read2_b64 v[153:156], v92 offset0:71 offset1:72
	v_fma_f32 v2, v135, v197, -v2
	v_add_f32_e32 v1, v1, v2
	v_mul_f32_e32 v2, v138, v200
	s_waitcnt vmcnt(40)
	v_mul_f32_e32 v158, v151, v214
	v_fma_f32 v2, v137, v199, -v2
	v_fmac_f32_e32 v158, v152, v213
	v_add_f32_e32 v1, v1, v2
	v_mul_f32_e32 v2, v140, v202
	v_add_f32_e32 v161, v157, v158
	ds_read2_b64 v[157:160], v92 offset0:73 offset1:74
	v_fma_f32 v2, v139, v201, -v2
	s_waitcnt vmcnt(38) lgkmcnt(1)
	v_mul_f32_e32 v162, v153, v216
	v_add_f32_e32 v1, v1, v2
	v_mul_f32_e32 v2, v142, v204
	v_fmac_f32_e32 v162, v154, v215
	v_fma_f32 v2, v141, v203, -v2
	v_add_f32_e32 v161, v161, v162
	s_waitcnt vmcnt(37)
	v_mul_f32_e32 v162, v155, v217
	v_add_f32_e32 v1, v1, v2
	v_mul_f32_e32 v2, v144, v206
	s_waitcnt vmcnt(34)
	v_fmac_f32_e32 v162, v156, v220
	v_fma_f32 v2, v143, v205, -v2
	v_add_f32_e32 v161, v161, v162
	s_waitcnt lgkmcnt(0)
	v_mul_f32_e32 v162, v157, v219
	v_add_f32_e32 v1, v1, v2
	v_mul_f32_e32 v2, v146, v208
	v_fmac_f32_e32 v162, v158, v218
	v_fma_f32 v2, v145, v207, -v2
	v_add_f32_e32 v165, v161, v162
	ds_read2_b64 v[161:164], v92 offset0:75 offset1:76
	v_add_f32_e32 v1, v1, v2
	v_mul_f32_e32 v2, v148, v210
	v_fma_f32 v2, v147, v209, -v2
	s_waitcnt vmcnt(32)
	v_mul_f32_e32 v166, v159, v222
	v_add_f32_e32 v1, v1, v2
	v_mul_f32_e32 v2, v150, v212
	v_fmac_f32_e32 v166, v160, v221
	v_fma_f32 v2, v149, v211, -v2
	v_add_f32_e32 v169, v165, v166
	ds_read2_b64 v[165:168], v92 offset0:77 offset1:78
	v_add_f32_e32 v1, v1, v2
	v_mul_f32_e32 v2, v152, v214
	s_waitcnt vmcnt(30) lgkmcnt(1)
	v_mul_f32_e32 v170, v161, v224
	v_fma_f32 v2, v151, v213, -v2
	v_fmac_f32_e32 v170, v162, v223
	v_add_f32_e32 v1, v1, v2
	v_mul_f32_e32 v2, v154, v216
	v_add_f32_e32 v169, v169, v170
	s_waitcnt vmcnt(29)
	v_mul_f32_e32 v170, v163, v225
	v_fma_f32 v2, v153, v215, -v2
	s_waitcnt vmcnt(26)
	v_fmac_f32_e32 v170, v164, v228
	v_add_f32_e32 v1, v1, v2
	v_mul_f32_e32 v2, v156, v217
	v_add_f32_e32 v169, v169, v170
	s_waitcnt lgkmcnt(0)
	v_mul_f32_e32 v170, v165, v227
	v_fma_f32 v2, v155, v220, -v2
	v_fmac_f32_e32 v170, v166, v226
	v_add_f32_e32 v1, v1, v2
	v_mul_f32_e32 v2, v158, v219
	v_add_f32_e32 v173, v169, v170
	ds_read2_b64 v[169:172], v92 offset0:79 offset1:80
	v_fma_f32 v2, v157, v218, -v2
	v_add_f32_e32 v1, v1, v2
	v_mul_f32_e32 v2, v160, v222
	s_waitcnt vmcnt(24)
	v_mul_f32_e32 v174, v167, v230
	v_fma_f32 v2, v159, v221, -v2
	v_fmac_f32_e32 v174, v168, v229
	v_add_f32_e32 v1, v1, v2
	v_mul_f32_e32 v2, v162, v224
	v_add_f32_e32 v177, v173, v174
	ds_read2_b64 v[173:176], v92 offset0:81 offset1:82
	v_fma_f32 v2, v161, v223, -v2
	s_waitcnt vmcnt(22) lgkmcnt(1)
	v_mul_f32_e32 v178, v169, v232
	v_add_f32_e32 v1, v1, v2
	v_mul_f32_e32 v2, v164, v225
	v_fmac_f32_e32 v178, v170, v231
	v_fma_f32 v2, v163, v228, -v2
	v_add_f32_e32 v177, v177, v178
	s_waitcnt vmcnt(21)
	v_mul_f32_e32 v178, v171, v233
	v_add_f32_e32 v1, v1, v2
	v_mul_f32_e32 v2, v166, v227
	s_waitcnt vmcnt(18)
	v_fmac_f32_e32 v178, v172, v236
	v_fma_f32 v2, v165, v226, -v2
	v_add_f32_e32 v177, v177, v178
	s_waitcnt lgkmcnt(0)
	v_mul_f32_e32 v178, v173, v235
	v_add_f32_e32 v1, v1, v2
	v_mul_f32_e32 v2, v168, v230
	v_fmac_f32_e32 v178, v174, v234
	v_fma_f32 v2, v167, v229, -v2
	v_add_f32_e32 v181, v177, v178
	ds_read2_b64 v[177:180], v92 offset0:83 offset1:84
	v_add_f32_e32 v1, v1, v2
	v_mul_f32_e32 v2, v170, v232
	v_fma_f32 v2, v169, v231, -v2
	s_waitcnt vmcnt(16)
	v_mul_f32_e32 v182, v175, v238
	v_add_f32_e32 v1, v1, v2
	v_mul_f32_e32 v2, v172, v233
	v_fmac_f32_e32 v182, v176, v237
	v_fma_f32 v2, v171, v236, -v2
	v_add_f32_e32 v185, v181, v182
	ds_read2_b64 v[181:184], v92 offset0:85 offset1:86
	v_add_f32_e32 v1, v1, v2
	v_mul_f32_e32 v2, v174, v235
	s_waitcnt vmcnt(14) lgkmcnt(1)
	v_mul_f32_e32 v186, v177, v240
	v_fma_f32 v2, v173, v234, -v2
	v_fmac_f32_e32 v186, v178, v239
	v_add_f32_e32 v1, v1, v2
	v_mul_f32_e32 v2, v176, v238
	v_add_f32_e32 v185, v185, v186
	s_waitcnt vmcnt(13)
	v_mul_f32_e32 v186, v179, v241
	v_fma_f32 v2, v175, v237, -v2
	s_waitcnt vmcnt(10)
	v_fmac_f32_e32 v186, v180, v244
	v_add_f32_e32 v1, v1, v2
	v_mul_f32_e32 v2, v178, v240
	v_add_f32_e32 v185, v185, v186
	s_waitcnt lgkmcnt(0)
	v_mul_f32_e32 v186, v181, v243
	v_fma_f32 v2, v177, v239, -v2
	v_fmac_f32_e32 v186, v182, v242
	v_add_f32_e32 v1, v1, v2
	v_mul_f32_e32 v2, v180, v241
	v_add_f32_e32 v189, v185, v186
	ds_read2_b64 v[185:188], v92 offset0:87 offset1:88
	v_fma_f32 v2, v179, v244, -v2
	v_add_f32_e32 v1, v1, v2
	v_mul_f32_e32 v2, v182, v243
	s_waitcnt vmcnt(8)
	v_mul_f32_e32 v190, v183, v246
	v_fma_f32 v2, v181, v242, -v2
	v_fmac_f32_e32 v190, v184, v245
	v_add_f32_e32 v1, v1, v2
	v_mul_f32_e32 v2, v184, v246
	v_add_f32_e32 v255, v189, v190
	ds_read2_b64 v[189:192], v92 offset0:89 offset1:90
	v_fma_f32 v2, v183, v245, -v2
	v_add_f32_e32 v1, v1, v2
	s_waitcnt vmcnt(6) lgkmcnt(1)
	v_mul_f32_e32 v2, v186, v248
	v_mul_f32_e32 v92, v185, v248
	v_fma_f32 v2, v185, v247, -v2
	v_fmac_f32_e32 v92, v186, v247
	v_add_f32_e32 v1, v1, v2
	s_waitcnt vmcnt(5)
	v_mul_f32_e32 v2, v188, v249
	v_add_f32_e32 v92, v255, v92
	v_mul_f32_e32 v255, v187, v249
	s_waitcnt vmcnt(2)
	v_fma_f32 v2, v187, v252, -v2
	v_fmac_f32_e32 v255, v188, v252
	v_add_f32_e32 v1, v1, v2
	s_waitcnt lgkmcnt(0)
	v_mul_f32_e32 v2, v190, v251
	v_add_f32_e32 v92, v92, v255
	v_mul_f32_e32 v255, v189, v251
	v_fma_f32 v2, v189, v250, -v2
	v_fmac_f32_e32 v255, v190, v250
	v_add_f32_e32 v1, v1, v2
	s_waitcnt vmcnt(0)
	v_mul_f32_e32 v2, v192, v254
	v_add_f32_e32 v92, v92, v255
	v_mul_f32_e32 v255, v191, v254
	v_fma_f32 v2, v191, v253, -v2
	v_fmac_f32_e32 v255, v192, v253
	v_add_f32_e32 v1, v1, v2
	v_add_f32_e32 v92, v92, v255
	v_sub_f32_e32 v0, v0, v1
	v_sub_f32_e32 v1, v91, v92
	buffer_store_dword v0, off, s[0:3], 0
	buffer_store_dword v1, off, s[0:3], 0 offset:4
	s_cbranch_vccz .LBB44_372
; %bb.284:
	v_mov_b32_e32 v0, 0
	global_load_dword v91, v0, s[20:21] offset:172
	s_waitcnt vmcnt(0)
	v_add_u32_e32 v91, -1, v91
	v_cmp_ne_u32_e32 vcc, 43, v91
	s_cbranch_vccz .LBB44_286
; %bb.285:
	v_lshlrev_b32_e32 v1, 3, v91
	buffer_load_dword v2, v1, s[0:3], 0 offen
	buffer_load_dword v3, v1, s[0:3], 0 offen offset:4
	buffer_load_dword v4, off, s[0:3], 0 offset:344
	buffer_load_dword v5, off, s[0:3], 0 offset:348
	s_waitcnt vmcnt(3)
	buffer_store_dword v2, off, s[0:3], 0 offset:344
	s_waitcnt vmcnt(3)
	buffer_store_dword v3, off, s[0:3], 0 offset:348
	s_waitcnt vmcnt(3)
	buffer_store_dword v4, v1, s[0:3], 0 offen
	s_waitcnt vmcnt(3)
	buffer_store_dword v5, v1, s[0:3], 0 offen offset:4
.LBB44_286:
	global_load_dword v0, v0, s[20:21] offset:168
	s_waitcnt vmcnt(0)
	v_add_u32_e32 v0, -1, v0
	v_cmp_eq_u32_e32 vcc, 42, v0
	s_cbranch_vccnz .LBB44_288
; %bb.287:
	v_lshlrev_b32_e32 v0, 3, v0
	buffer_load_dword v1, v0, s[0:3], 0 offen
	buffer_load_dword v2, v0, s[0:3], 0 offen offset:4
	buffer_load_dword v3, off, s[0:3], 0 offset:340
	buffer_load_dword v4, off, s[0:3], 0 offset:336
	s_waitcnt vmcnt(3)
	buffer_store_dword v1, off, s[0:3], 0 offset:336
	s_waitcnt vmcnt(3)
	buffer_store_dword v2, off, s[0:3], 0 offset:340
	s_waitcnt vmcnt(3)
	buffer_store_dword v3, v0, s[0:3], 0 offen offset:4
	s_waitcnt vmcnt(3)
	buffer_store_dword v4, v0, s[0:3], 0 offen
.LBB44_288:
	v_mov_b32_e32 v0, 0
	global_load_dword v1, v0, s[20:21] offset:164
	s_waitcnt vmcnt(0)
	v_add_u32_e32 v91, -1, v1
	v_cmp_eq_u32_e32 vcc, 41, v91
	s_cbranch_vccnz .LBB44_290
; %bb.289:
	v_lshlrev_b32_e32 v1, 3, v91
	buffer_load_dword v2, v1, s[0:3], 0 offen
	buffer_load_dword v3, v1, s[0:3], 0 offen offset:4
	buffer_load_dword v4, off, s[0:3], 0 offset:328
	buffer_load_dword v5, off, s[0:3], 0 offset:332
	s_waitcnt vmcnt(3)
	buffer_store_dword v2, off, s[0:3], 0 offset:328
	s_waitcnt vmcnt(3)
	buffer_store_dword v3, off, s[0:3], 0 offset:332
	s_waitcnt vmcnt(3)
	buffer_store_dword v4, v1, s[0:3], 0 offen
	s_waitcnt vmcnt(3)
	buffer_store_dword v5, v1, s[0:3], 0 offen offset:4
.LBB44_290:
	global_load_dword v0, v0, s[20:21] offset:160
	s_waitcnt vmcnt(0)
	v_add_u32_e32 v0, -1, v0
	v_cmp_eq_u32_e32 vcc, 40, v0
	s_cbranch_vccnz .LBB44_292
; %bb.291:
	v_lshlrev_b32_e32 v0, 3, v0
	buffer_load_dword v1, v0, s[0:3], 0 offen
	buffer_load_dword v2, v0, s[0:3], 0 offen offset:4
	buffer_load_dword v3, off, s[0:3], 0 offset:324
	buffer_load_dword v4, off, s[0:3], 0 offset:320
	s_waitcnt vmcnt(3)
	buffer_store_dword v1, off, s[0:3], 0 offset:320
	s_waitcnt vmcnt(3)
	buffer_store_dword v2, off, s[0:3], 0 offset:324
	s_waitcnt vmcnt(3)
	buffer_store_dword v3, v0, s[0:3], 0 offen offset:4
	s_waitcnt vmcnt(3)
	buffer_store_dword v4, v0, s[0:3], 0 offen
.LBB44_292:
	v_mov_b32_e32 v0, 0
	global_load_dword v1, v0, s[20:21] offset:156
	s_waitcnt vmcnt(0)
	v_add_u32_e32 v91, -1, v1
	v_cmp_eq_u32_e32 vcc, 39, v91
	s_cbranch_vccnz .LBB44_294
; %bb.293:
	v_lshlrev_b32_e32 v1, 3, v91
	buffer_load_dword v2, v1, s[0:3], 0 offen
	buffer_load_dword v3, v1, s[0:3], 0 offen offset:4
	buffer_load_dword v4, off, s[0:3], 0 offset:312
	buffer_load_dword v5, off, s[0:3], 0 offset:316
	s_waitcnt vmcnt(3)
	buffer_store_dword v2, off, s[0:3], 0 offset:312
	s_waitcnt vmcnt(3)
	buffer_store_dword v3, off, s[0:3], 0 offset:316
	s_waitcnt vmcnt(3)
	buffer_store_dword v4, v1, s[0:3], 0 offen
	s_waitcnt vmcnt(3)
	buffer_store_dword v5, v1, s[0:3], 0 offen offset:4
.LBB44_294:
	;; [unrolled: 41-line block ×21, first 2 shown]
	global_load_dword v0, v0, s[20:21]
	s_waitcnt vmcnt(0)
	v_add_u32_e32 v0, -1, v0
	v_cmp_eq_u32_e32 vcc, 0, v0
	s_cbranch_vccnz .LBB44_372
; %bb.371:
	v_lshlrev_b32_e32 v0, 3, v0
	buffer_load_dword v1, v0, s[0:3], 0 offen
	buffer_load_dword v2, v0, s[0:3], 0 offen offset:4
	buffer_load_dword v3, off, s[0:3], 0 offset:4
	buffer_load_dword v4, off, s[0:3], 0
	s_waitcnt vmcnt(3)
	buffer_store_dword v1, off, s[0:3], 0
	s_waitcnt vmcnt(3)
	buffer_store_dword v2, off, s[0:3], 0 offset:4
	s_waitcnt vmcnt(3)
	buffer_store_dword v3, v0, s[0:3], 0 offen offset:4
	s_waitcnt vmcnt(3)
	buffer_store_dword v4, v0, s[0:3], 0 offen
.LBB44_372:
	buffer_load_dword v91, off, s[0:3], 0
	buffer_load_dword v92, off, s[0:3], 0 offset:4
	buffer_load_dword v93, off, s[0:3], 0 offset:8
	;; [unrolled: 1-line block ×89, first 2 shown]
	s_waitcnt vmcnt(62)
	global_store_dwordx2 v[79:80], v[91:92], off
	global_store_dwordx2 v[81:82], v[93:94], off
	buffer_load_dword v0, off, s[0:3], 0 offset:360 ; 4-byte Folded Reload
	buffer_load_dword v1, off, s[0:3], 0 offset:364 ; 4-byte Folded Reload
	s_waitcnt vmcnt(0)
	global_store_dwordx2 v[0:1], v[95:96], off
	buffer_load_dword v0, off, s[0:3], 0 offset:368 ; 4-byte Folded Reload
	s_nop 0
	buffer_load_dword v1, off, s[0:3], 0 offset:372 ; 4-byte Folded Reload
	s_waitcnt vmcnt(0)
	global_store_dwordx2 v[0:1], v[97:98], off
	buffer_load_dword v0, off, s[0:3], 0 offset:376 ; 4-byte Folded Reload
	s_nop 0
	;; [unrolled: 5-line block ×6, first 2 shown]
	buffer_load_dword v1, off, s[0:3], 0 offset:412 ; 4-byte Folded Reload
	s_waitcnt vmcnt(0)
	global_store_dwordx2 v[0:1], v[107:108], off
	global_store_dwordx2 v[15:16], v[109:110], off
	;; [unrolled: 1-line block ×37, first 2 shown]
	s_endpgm
	.section	.rodata,"a",@progbits
	.p2align	6, 0x0
	.amdhsa_kernel _ZN9rocsolver6v33100L18getri_kernel_smallILi45E19rocblas_complex_numIfEPS3_EEvT1_iilPiilS6_bb
		.amdhsa_group_segment_fixed_size 728
		.amdhsa_private_segment_fixed_size 432
		.amdhsa_kernarg_size 60
		.amdhsa_user_sgpr_count 6
		.amdhsa_user_sgpr_private_segment_buffer 1
		.amdhsa_user_sgpr_dispatch_ptr 0
		.amdhsa_user_sgpr_queue_ptr 0
		.amdhsa_user_sgpr_kernarg_segment_ptr 1
		.amdhsa_user_sgpr_dispatch_id 0
		.amdhsa_user_sgpr_flat_scratch_init 0
		.amdhsa_user_sgpr_private_segment_size 0
		.amdhsa_uses_dynamic_stack 0
		.amdhsa_system_sgpr_private_segment_wavefront_offset 1
		.amdhsa_system_sgpr_workgroup_id_x 1
		.amdhsa_system_sgpr_workgroup_id_y 0
		.amdhsa_system_sgpr_workgroup_id_z 0
		.amdhsa_system_sgpr_workgroup_info 0
		.amdhsa_system_vgpr_workitem_id 0
		.amdhsa_next_free_vgpr 256
		.amdhsa_next_free_sgpr 24
		.amdhsa_reserve_vcc 1
		.amdhsa_reserve_flat_scratch 0
		.amdhsa_float_round_mode_32 0
		.amdhsa_float_round_mode_16_64 0
		.amdhsa_float_denorm_mode_32 3
		.amdhsa_float_denorm_mode_16_64 3
		.amdhsa_dx10_clamp 1
		.amdhsa_ieee_mode 1
		.amdhsa_fp16_overflow 0
		.amdhsa_exception_fp_ieee_invalid_op 0
		.amdhsa_exception_fp_denorm_src 0
		.amdhsa_exception_fp_ieee_div_zero 0
		.amdhsa_exception_fp_ieee_overflow 0
		.amdhsa_exception_fp_ieee_underflow 0
		.amdhsa_exception_fp_ieee_inexact 0
		.amdhsa_exception_int_div_zero 0
	.end_amdhsa_kernel
	.section	.text._ZN9rocsolver6v33100L18getri_kernel_smallILi45E19rocblas_complex_numIfEPS3_EEvT1_iilPiilS6_bb,"axG",@progbits,_ZN9rocsolver6v33100L18getri_kernel_smallILi45E19rocblas_complex_numIfEPS3_EEvT1_iilPiilS6_bb,comdat
.Lfunc_end44:
	.size	_ZN9rocsolver6v33100L18getri_kernel_smallILi45E19rocblas_complex_numIfEPS3_EEvT1_iilPiilS6_bb, .Lfunc_end44-_ZN9rocsolver6v33100L18getri_kernel_smallILi45E19rocblas_complex_numIfEPS3_EEvT1_iilPiilS6_bb
                                        ; -- End function
	.set _ZN9rocsolver6v33100L18getri_kernel_smallILi45E19rocblas_complex_numIfEPS3_EEvT1_iilPiilS6_bb.num_vgpr, 256
	.set _ZN9rocsolver6v33100L18getri_kernel_smallILi45E19rocblas_complex_numIfEPS3_EEvT1_iilPiilS6_bb.num_agpr, 0
	.set _ZN9rocsolver6v33100L18getri_kernel_smallILi45E19rocblas_complex_numIfEPS3_EEvT1_iilPiilS6_bb.numbered_sgpr, 24
	.set _ZN9rocsolver6v33100L18getri_kernel_smallILi45E19rocblas_complex_numIfEPS3_EEvT1_iilPiilS6_bb.num_named_barrier, 0
	.set _ZN9rocsolver6v33100L18getri_kernel_smallILi45E19rocblas_complex_numIfEPS3_EEvT1_iilPiilS6_bb.private_seg_size, 432
	.set _ZN9rocsolver6v33100L18getri_kernel_smallILi45E19rocblas_complex_numIfEPS3_EEvT1_iilPiilS6_bb.uses_vcc, 1
	.set _ZN9rocsolver6v33100L18getri_kernel_smallILi45E19rocblas_complex_numIfEPS3_EEvT1_iilPiilS6_bb.uses_flat_scratch, 0
	.set _ZN9rocsolver6v33100L18getri_kernel_smallILi45E19rocblas_complex_numIfEPS3_EEvT1_iilPiilS6_bb.has_dyn_sized_stack, 0
	.set _ZN9rocsolver6v33100L18getri_kernel_smallILi45E19rocblas_complex_numIfEPS3_EEvT1_iilPiilS6_bb.has_recursion, 0
	.set _ZN9rocsolver6v33100L18getri_kernel_smallILi45E19rocblas_complex_numIfEPS3_EEvT1_iilPiilS6_bb.has_indirect_call, 0
	.section	.AMDGPU.csdata,"",@progbits
; Kernel info:
; codeLenInByte = 77868
; TotalNumSgprs: 28
; NumVgprs: 256
; ScratchSize: 432
; MemoryBound: 0
; FloatMode: 240
; IeeeMode: 1
; LDSByteSize: 728 bytes/workgroup (compile time only)
; SGPRBlocks: 3
; VGPRBlocks: 63
; NumSGPRsForWavesPerEU: 28
; NumVGPRsForWavesPerEU: 256
; Occupancy: 1
; WaveLimiterHint : 1
; COMPUTE_PGM_RSRC2:SCRATCH_EN: 1
; COMPUTE_PGM_RSRC2:USER_SGPR: 6
; COMPUTE_PGM_RSRC2:TRAP_HANDLER: 0
; COMPUTE_PGM_RSRC2:TGID_X_EN: 1
; COMPUTE_PGM_RSRC2:TGID_Y_EN: 0
; COMPUTE_PGM_RSRC2:TGID_Z_EN: 0
; COMPUTE_PGM_RSRC2:TIDIG_COMP_CNT: 0
	.section	.text._ZN9rocsolver6v33100L18getri_kernel_smallILi46E19rocblas_complex_numIfEPS3_EEvT1_iilPiilS6_bb,"axG",@progbits,_ZN9rocsolver6v33100L18getri_kernel_smallILi46E19rocblas_complex_numIfEPS3_EEvT1_iilPiilS6_bb,comdat
	.globl	_ZN9rocsolver6v33100L18getri_kernel_smallILi46E19rocblas_complex_numIfEPS3_EEvT1_iilPiilS6_bb ; -- Begin function _ZN9rocsolver6v33100L18getri_kernel_smallILi46E19rocblas_complex_numIfEPS3_EEvT1_iilPiilS6_bb
	.p2align	8
	.type	_ZN9rocsolver6v33100L18getri_kernel_smallILi46E19rocblas_complex_numIfEPS3_EEvT1_iilPiilS6_bb,@function
_ZN9rocsolver6v33100L18getri_kernel_smallILi46E19rocblas_complex_numIfEPS3_EEvT1_iilPiilS6_bb: ; @_ZN9rocsolver6v33100L18getri_kernel_smallILi46E19rocblas_complex_numIfEPS3_EEvT1_iilPiilS6_bb
; %bb.0:
	s_add_u32 s0, s0, s7
	s_addc_u32 s1, s1, 0
	v_cmp_gt_u32_e32 vcc, 46, v0
	s_and_saveexec_b64 s[8:9], vcc
	s_cbranch_execz .LBB45_198
; %bb.1:
	s_load_dword s12, s[4:5], 0x38
	s_load_dwordx4 s[16:19], s[4:5], 0x10
	s_load_dwordx4 s[8:11], s[4:5], 0x28
                                        ; implicit-def: $sgpr20_sgpr21
	s_waitcnt lgkmcnt(0)
	s_bitcmp1_b32 s12, 8
	s_cselect_b64 s[22:23], -1, 0
	s_ashr_i32 s7, s6, 31
	s_bfe_u32 s12, s12, 0x10008
	s_cmp_eq_u32 s12, 0
	s_cbranch_scc1 .LBB45_3
; %bb.2:
	s_load_dword s12, s[4:5], 0x20
	s_mul_i32 s13, s8, s7
	s_mul_hi_u32 s14, s8, s6
	s_mul_i32 s9, s9, s6
	s_add_i32 s14, s14, s13
	s_add_i32 s9, s14, s9
	s_mul_i32 s8, s8, s6
	s_waitcnt lgkmcnt(0)
	s_ashr_i32 s13, s12, 31
	s_lshl_b64 s[8:9], s[8:9], 2
	s_add_u32 s14, s18, s8
	s_addc_u32 s15, s19, s9
	s_lshl_b64 s[8:9], s[12:13], 2
	s_add_u32 s20, s14, s8
	s_addc_u32 s21, s15, s9
.LBB45_3:
	s_load_dwordx4 s[12:15], s[4:5], 0x0
	s_load_dword s8, s[4:5], 0x38
	s_mul_i32 s9, s16, s7
	s_mul_hi_u32 s18, s16, s6
	s_add_i32 s9, s18, s9
	s_waitcnt lgkmcnt(0)
	s_ashr_i32 s5, s14, 31
	s_mov_b32 s4, s14
	s_mul_i32 s14, s17, s6
	s_add_i32 s17, s9, s14
	s_mul_i32 s16, s16, s6
	s_lshl_b64 s[16:17], s[16:17], 3
	s_add_u32 s9, s12, s16
	s_addc_u32 s12, s13, s17
	s_lshl_b64 s[4:5], s[4:5], 3
	s_add_u32 s4, s9, s4
	s_addc_u32 s5, s12, s5
	s_add_i32 s9, s15, s15
	v_add_u32_e32 v3, s9, v0
	v_ashrrev_i32_e32 v4, 31, v3
	v_lshlrev_b64 v[1:2], 3, v[3:4]
	v_add_u32_e32 v5, s15, v3
	v_mov_b32_e32 v4, s5
	v_add_co_u32_e32 v1, vcc, s4, v1
	v_ashrrev_i32_e32 v6, 31, v5
	v_addc_co_u32_e32 v2, vcc, v4, v2, vcc
	v_lshlrev_b64 v[3:4], 3, v[5:6]
	v_add_u32_e32 v7, s15, v5
	v_mov_b32_e32 v6, s5
	v_add_co_u32_e32 v3, vcc, s4, v3
	v_ashrrev_i32_e32 v8, 31, v7
	v_addc_co_u32_e32 v4, vcc, v6, v4, vcc
	;; [unrolled: 6-line block ×8, first 2 shown]
	v_lshlrev_b64 v[17:18], 3, v[19:20]
	v_mov_b32_e32 v21, s5
	v_add_co_u32_e32 v17, vcc, s4, v17
	v_addc_co_u32_e32 v18, vcc, v21, v18, vcc
	v_add_u32_e32 v21, s15, v19
	v_ashrrev_i32_e32 v22, 31, v21
	v_lshlrev_b64 v[19:20], 3, v[21:22]
	v_mov_b32_e32 v23, s5
	v_add_co_u32_e32 v19, vcc, s4, v19
	v_addc_co_u32_e32 v20, vcc, v23, v20, vcc
	v_add_u32_e32 v23, s15, v21
	v_ashrrev_i32_e32 v24, 31, v23
	;; [unrolled: 6-line block ×30, first 2 shown]
	v_lshlrev_b32_e32 v95, 3, v0
	v_lshlrev_b64 v[77:78], 3, v[79:80]
	v_mov_b32_e32 v80, s5
	v_add_co_u32_e32 v81, vcc, s4, v95
	s_ashr_i32 s13, s15, 31
	s_mov_b32 s12, s15
	v_addc_co_u32_e32 v82, vcc, 0, v80, vcc
	s_lshl_b64 s[12:13], s[12:13], 3
	v_mov_b32_e32 v80, s13
	v_add_co_u32_e32 v85, vcc, s12, v81
	v_addc_co_u32_e32 v86, vcc, v82, v80, vcc
	global_load_dwordx2 v[93:94], v95, s[4:5]
	global_load_dwordx2 v[96:97], v[85:86], off
	s_nop 0
	buffer_store_dword v1, off, s[0:3], 0 offset:368 ; 4-byte Folded Spill
	s_nop 0
	buffer_store_dword v2, off, s[0:3], 0 offset:372 ; 4-byte Folded Spill
	v_mov_b32_e32 v83, s5
	v_add_co_u32_e32 v77, vcc, s4, v77
	v_addc_co_u32_e32 v78, vcc, v83, v78, vcc
	v_add_u32_e32 v83, s15, v79
	v_ashrrev_i32_e32 v84, 31, v83
	v_lshlrev_b64 v[79:80], 3, v[83:84]
	v_mov_b32_e32 v87, s5
	v_add_co_u32_e32 v79, vcc, s4, v79
	v_addc_co_u32_e32 v80, vcc, v87, v80, vcc
	v_add_u32_e32 v87, s15, v83
	v_ashrrev_i32_e32 v88, 31, v87
	v_lshlrev_b64 v[83:84], 3, v[87:88]
	;; [unrolled: 6-line block ×5, first 2 shown]
	v_mov_b32_e32 v162, s5
	v_add_co_u32_e32 v91, vcc, s4, v91
	v_addc_co_u32_e32 v92, vcc, v162, v92, vcc
	s_bitcmp0_b32 s8, 0
	s_mov_b64 s[8:9], -1
	global_load_dwordx2 v[98:99], v[1:2], off
	s_nop 0
	buffer_store_dword v3, off, s[0:3], 0 offset:376 ; 4-byte Folded Spill
	s_nop 0
	buffer_store_dword v4, off, s[0:3], 0 offset:380 ; 4-byte Folded Spill
	global_load_dwordx2 v[100:101], v[3:4], off
	s_nop 0
	buffer_store_dword v5, off, s[0:3], 0 offset:384 ; 4-byte Folded Spill
	s_nop 0
	buffer_store_dword v6, off, s[0:3], 0 offset:388 ; 4-byte Folded Spill
	;; [unrolled: 5-line block ×10, first 2 shown]
	global_load_dwordx2 v[120:121], v[23:24], off
	global_load_dwordx2 v[118:119], v[21:22], off
	;; [unrolled: 1-line block ×29, first 2 shown]
	s_waitcnt vmcnt(62)
	buffer_store_dword v94, off, s[0:3], 0 offset:4
	buffer_store_dword v93, off, s[0:3], 0
	global_load_dwordx2 v[93:94], v[69:70], off
	s_waitcnt vmcnt(62)
	buffer_store_dword v97, off, s[0:3], 0 offset:12
	buffer_store_dword v96, off, s[0:3], 0 offset:8
	global_load_dwordx2 v[96:97], v[73:74], off
	s_waitcnt vmcnt(62)
	buffer_store_dword v99, off, s[0:3], 0 offset:20
	buffer_store_dword v98, off, s[0:3], 0 offset:16
	;; [unrolled: 4-line block ×5, first 2 shown]
	s_waitcnt vmcnt(62)
	buffer_store_dword v107, off, s[0:3], 0 offset:52
	buffer_store_dword v106, off, s[0:3], 0 offset:48
	s_waitcnt vmcnt(62)
	buffer_store_dword v109, off, s[0:3], 0 offset:60
	buffer_store_dword v108, off, s[0:3], 0 offset:56
	;; [unrolled: 3-line block ×7, first 2 shown]
	buffer_store_dword v120, off, s[0:3], 0 offset:104
	buffer_store_dword v121, off, s[0:3], 0 offset:108
	s_waitcnt vmcnt(59)
	buffer_store_dword v123, off, s[0:3], 0 offset:116
	buffer_store_dword v122, off, s[0:3], 0 offset:112
	s_waitcnt vmcnt(60)
	;; [unrolled: 3-line block ×5, first 2 shown]
	buffer_store_dword v130, off, s[0:3], 0 offset:144
	buffer_store_dword v131, off, s[0:3], 0 offset:148
	;; [unrolled: 1-line block ×4, first 2 shown]
	s_waitcnt vmcnt(62)
	buffer_store_dword v135, off, s[0:3], 0 offset:164
	buffer_store_dword v134, off, s[0:3], 0 offset:160
	buffer_store_dword v136, off, s[0:3], 0 offset:168
	buffer_store_dword v137, off, s[0:3], 0 offset:172
	buffer_store_dword v138, off, s[0:3], 0 offset:176
	buffer_store_dword v139, off, s[0:3], 0 offset:180
	buffer_store_dword v140, off, s[0:3], 0 offset:184
	buffer_store_dword v141, off, s[0:3], 0 offset:188
	s_waitcnt vmcnt(62)
	buffer_store_dword v142, off, s[0:3], 0 offset:192
	buffer_store_dword v143, off, s[0:3], 0 offset:196
	buffer_store_dword v145, off, s[0:3], 0 offset:204
	buffer_store_dword v144, off, s[0:3], 0 offset:200
	buffer_store_dword v147, off, s[0:3], 0 offset:212
	buffer_store_dword v146, off, s[0:3], 0 offset:208
	buffer_store_dword v148, off, s[0:3], 0 offset:216
	buffer_store_dword v149, off, s[0:3], 0 offset:220
	buffer_store_dword v150, off, s[0:3], 0 offset:224
	buffer_store_dword v151, off, s[0:3], 0 offset:228
	buffer_store_dword v152, off, s[0:3], 0 offset:232
	buffer_store_dword v153, off, s[0:3], 0 offset:236
	buffer_store_dword v154, off, s[0:3], 0 offset:240
	buffer_store_dword v155, off, s[0:3], 0 offset:244
	buffer_store_dword v157, off, s[0:3], 0 offset:252
	buffer_store_dword v156, off, s[0:3], 0 offset:248
	s_waitcnt vmcnt(62)
	buffer_store_dword v159, off, s[0:3], 0 offset:260
	buffer_store_dword v158, off, s[0:3], 0 offset:256
	buffer_store_dword v160, off, s[0:3], 0 offset:264
	buffer_store_dword v161, off, s[0:3], 0 offset:268
	buffer_store_dword v162, off, s[0:3], 0 offset:272
	buffer_store_dword v163, off, s[0:3], 0 offset:276
	buffer_store_dword v164, off, s[0:3], 0 offset:280
	buffer_store_dword v165, off, s[0:3], 0 offset:284
	;; [unrolled: 17-line block ×3, first 2 shown]
	buffer_store_dword v103, off, s[0:3], 0 offset:356
	buffer_store_dword v102, off, s[0:3], 0 offset:352
	;; [unrolled: 1-line block ×4, first 2 shown]
	s_cbranch_scc1 .LBB45_196
; %bb.4:
	v_cmp_eq_u32_e64 s[4:5], 0, v0
	s_and_saveexec_b64 s[8:9], s[4:5]
; %bb.5:
	v_mov_b32_e32 v93, 0
	ds_write_b32 v93, v93 offset:736
; %bb.6:
	s_or_b64 exec, exec, s[8:9]
	v_mov_b32_e32 v93, 0
	v_lshl_add_u32 v97, v0, 3, v93
	s_waitcnt lgkmcnt(0)
	; wave barrier
	buffer_load_dword v93, v97, s[0:3], 0 offen
	buffer_load_dword v94, v97, s[0:3], 0 offen offset:4
	s_waitcnt vmcnt(1)
	v_cmp_eq_f32_e32 vcc, 0, v93
	s_waitcnt vmcnt(0)
	v_cmp_eq_f32_e64 s[8:9], 0, v94
	s_and_b64 s[8:9], vcc, s[8:9]
	s_and_saveexec_b64 s[12:13], s[8:9]
	s_cbranch_execz .LBB45_10
; %bb.7:
	v_mov_b32_e32 v93, 0
	ds_read_b32 v96, v93 offset:736
	v_add_u32_e32 v94, 1, v0
	s_waitcnt lgkmcnt(0)
	v_readfirstlane_b32 s8, v96
	s_cmp_eq_u32 s8, 0
	s_cselect_b64 s[14:15], -1, 0
	v_cmp_gt_i32_e32 vcc, s8, v94
	s_or_b64 s[14:15], s[14:15], vcc
	s_and_b64 exec, exec, s[14:15]
	s_cbranch_execz .LBB45_10
; %bb.8:
	s_mov_b64 s[14:15], 0
	v_mov_b32_e32 v96, s8
.LBB45_9:                               ; =>This Inner Loop Header: Depth=1
	ds_cmpst_rtn_b32 v96, v93, v96, v94 offset:736
	s_waitcnt lgkmcnt(0)
	v_cmp_ne_u32_e32 vcc, 0, v96
	v_cmp_le_i32_e64 s[8:9], v96, v94
	s_and_b64 s[8:9], vcc, s[8:9]
	s_and_b64 s[8:9], exec, s[8:9]
	s_or_b64 s[14:15], s[8:9], s[14:15]
	s_andn2_b64 exec, exec, s[14:15]
	s_cbranch_execnz .LBB45_9
.LBB45_10:
	s_or_b64 exec, exec, s[12:13]
	v_mov_b32_e32 v94, 0
	; wave barrier
	ds_read_b32 v93, v94 offset:736
	s_and_saveexec_b64 s[8:9], s[4:5]
	s_cbranch_execz .LBB45_12
; %bb.11:
	s_lshl_b64 s[12:13], s[6:7], 2
	s_add_u32 s12, s10, s12
	s_addc_u32 s13, s11, s13
	s_waitcnt lgkmcnt(0)
	global_store_dword v94, v93, s[12:13]
.LBB45_12:
	s_or_b64 exec, exec, s[8:9]
	s_waitcnt lgkmcnt(0)
	v_cmp_ne_u32_e32 vcc, 0, v93
	s_mov_b64 s[8:9], 0
	s_cbranch_vccnz .LBB45_196
; %bb.13:
	buffer_load_dword v94, v97, s[0:3], 0 offen
	buffer_load_dword v96, v97, s[0:3], 0 offen offset:4
                                        ; implicit-def: $vgpr99
                                        ; implicit-def: $vgpr98
                                        ; implicit-def: $vgpr93
	s_waitcnt vmcnt(0)
	v_cmp_ngt_f32_e64 s[8:9], |v94|, |v96|
	s_and_saveexec_b64 s[12:13], s[8:9]
	s_xor_b64 s[8:9], exec, s[12:13]
	s_cbranch_execz .LBB45_15
; %bb.14:
	v_div_scale_f32 v93, s[12:13], v96, v96, v94
	v_div_scale_f32 v98, vcc, v94, v96, v94
	v_rcp_f32_e32 v99, v93
	v_fma_f32 v100, -v93, v99, 1.0
	v_fmac_f32_e32 v99, v100, v99
	v_mul_f32_e32 v100, v98, v99
	v_fma_f32 v101, -v93, v100, v98
	v_fmac_f32_e32 v100, v101, v99
	v_fma_f32 v93, -v93, v100, v98
	v_div_fmas_f32 v93, v93, v99, v100
	v_div_fixup_f32 v93, v93, v96, v94
	v_fmac_f32_e32 v96, v94, v93
	v_div_scale_f32 v94, s[12:13], v96, v96, 1.0
	v_div_scale_f32 v98, vcc, 1.0, v96, 1.0
	v_rcp_f32_e32 v99, v94
	v_fma_f32 v100, -v94, v99, 1.0
	v_fmac_f32_e32 v99, v100, v99
	v_mul_f32_e32 v100, v98, v99
	v_fma_f32 v101, -v94, v100, v98
	v_fmac_f32_e32 v100, v101, v99
	v_fma_f32 v94, -v94, v100, v98
	v_div_fmas_f32 v94, v94, v99, v100
	v_div_fixup_f32 v94, v94, v96, 1.0
	v_mul_f32_e32 v99, v93, v94
	v_xor_b32_e32 v98, 0x80000000, v94
	v_xor_b32_e32 v93, 0x80000000, v99
                                        ; implicit-def: $vgpr94
                                        ; implicit-def: $vgpr96
.LBB45_15:
	s_andn2_saveexec_b64 s[8:9], s[8:9]
	s_cbranch_execz .LBB45_17
; %bb.16:
	v_div_scale_f32 v93, s[12:13], v94, v94, v96
	v_div_scale_f32 v98, vcc, v96, v94, v96
	v_rcp_f32_e32 v99, v93
	v_fma_f32 v100, -v93, v99, 1.0
	v_fmac_f32_e32 v99, v100, v99
	v_mul_f32_e32 v100, v98, v99
	v_fma_f32 v101, -v93, v100, v98
	v_fmac_f32_e32 v100, v101, v99
	v_fma_f32 v93, -v93, v100, v98
	v_div_fmas_f32 v93, v93, v99, v100
	v_div_fixup_f32 v98, v93, v94, v96
	v_fmac_f32_e32 v94, v96, v98
	v_div_scale_f32 v93, s[12:13], v94, v94, 1.0
	v_div_scale_f32 v96, vcc, 1.0, v94, 1.0
	v_rcp_f32_e32 v99, v93
	v_fma_f32 v100, -v93, v99, 1.0
	v_fmac_f32_e32 v99, v100, v99
	v_mul_f32_e32 v100, v96, v99
	v_fma_f32 v101, -v93, v100, v96
	v_fmac_f32_e32 v100, v101, v99
	v_fma_f32 v93, -v93, v100, v96
	v_div_fmas_f32 v93, v93, v99, v100
	v_div_fixup_f32 v99, v93, v94, 1.0
	v_xor_b32_e32 v93, 0x80000000, v99
	v_mul_f32_e64 v98, v98, -v99
.LBB45_17:
	s_or_b64 exec, exec, s[8:9]
	buffer_store_dword v99, v97, s[0:3], 0 offen
	buffer_store_dword v98, v97, s[0:3], 0 offen offset:4
	buffer_load_dword v100, off, s[0:3], 0 offset:12
	s_nop 0
	buffer_load_dword v99, off, s[0:3], 0 offset:8
	v_xor_b32_e32 v94, 0x80000000, v98
	v_add_u32_e32 v96, 0x170, v95
	s_waitcnt vmcnt(0)
	ds_write2_b64 v95, v[93:94], v[99:100] offset1:46
	s_waitcnt lgkmcnt(0)
	; wave barrier
	s_and_saveexec_b64 s[8:9], s[4:5]
	s_cbranch_execz .LBB45_19
; %bb.18:
	buffer_load_dword v100, v97, s[0:3], 0 offen offset:4
	buffer_load_dword v101, v97, s[0:3], 0 offen
	ds_read_b64 v[93:94], v96
	v_mov_b32_e32 v98, 0
	ds_read_b64 v[98:99], v98 offset:8
	s_waitcnt vmcnt(1) lgkmcnt(1)
	v_mul_f32_e32 v102, v94, v100
	v_mul_f32_e32 v100, v93, v100
	s_waitcnt vmcnt(0)
	v_fmac_f32_e32 v100, v94, v101
	v_fma_f32 v93, v93, v101, -v102
	v_add_f32_e32 v94, 0, v100
	v_add_f32_e32 v93, 0, v93
	s_waitcnt lgkmcnt(0)
	v_mul_f32_e32 v100, v94, v99
	v_mul_f32_e32 v99, v93, v99
	v_fma_f32 v93, v93, v98, -v100
	v_fmac_f32_e32 v99, v94, v98
	buffer_store_dword v93, off, s[0:3], 0 offset:8
	buffer_store_dword v99, off, s[0:3], 0 offset:12
.LBB45_19:
	s_or_b64 exec, exec, s[8:9]
	; wave barrier
	buffer_load_dword v93, off, s[0:3], 0 offset:16
	buffer_load_dword v94, off, s[0:3], 0 offset:20
	v_cmp_gt_u32_e32 vcc, 2, v0
	s_waitcnt vmcnt(0)
	ds_write_b64 v96, v[93:94]
	s_waitcnt lgkmcnt(0)
	; wave barrier
	s_and_saveexec_b64 s[8:9], vcc
	s_cbranch_execz .LBB45_23
; %bb.20:
	buffer_load_dword v98, v97, s[0:3], 0 offen offset:4
	buffer_load_dword v99, v97, s[0:3], 0 offen
	ds_read_b64 v[93:94], v96
	s_waitcnt vmcnt(1) lgkmcnt(0)
	v_mul_f32_e32 v97, v94, v98
	v_mul_f32_e32 v98, v93, v98
	s_waitcnt vmcnt(0)
	v_fma_f32 v93, v93, v99, -v97
	v_fmac_f32_e32 v98, v94, v99
	v_add_f32_e32 v94, 0, v93
	v_add_f32_e32 v93, 0, v98
	s_and_saveexec_b64 s[12:13], s[4:5]
	s_cbranch_execz .LBB45_22
; %bb.21:
	buffer_load_dword v99, off, s[0:3], 0 offset:12
	buffer_load_dword v100, off, s[0:3], 0 offset:8
	v_mov_b32_e32 v97, 0
	ds_read_b64 v[97:98], v97 offset:376
	s_waitcnt vmcnt(1) lgkmcnt(0)
	v_mul_f32_e32 v101, v97, v99
	v_mul_f32_e32 v99, v98, v99
	s_waitcnt vmcnt(0)
	v_fmac_f32_e32 v101, v98, v100
	v_fma_f32 v97, v97, v100, -v99
	v_add_f32_e32 v93, v93, v101
	v_add_f32_e32 v94, v94, v97
.LBB45_22:
	s_or_b64 exec, exec, s[12:13]
	v_mov_b32_e32 v97, 0
	ds_read_b64 v[97:98], v97 offset:16
	s_waitcnt lgkmcnt(0)
	v_mul_f32_e32 v99, v93, v98
	v_mul_f32_e32 v98, v94, v98
	v_fma_f32 v94, v94, v97, -v99
	v_fmac_f32_e32 v98, v93, v97
	buffer_store_dword v94, off, s[0:3], 0 offset:16
	buffer_store_dword v98, off, s[0:3], 0 offset:20
.LBB45_23:
	s_or_b64 exec, exec, s[8:9]
	; wave barrier
	buffer_load_dword v93, off, s[0:3], 0 offset:24
	buffer_load_dword v94, off, s[0:3], 0 offset:28
	v_cmp_gt_u32_e32 vcc, 3, v0
	s_waitcnt vmcnt(0)
	ds_write_b64 v96, v[93:94]
	v_add_u32_e32 v93, -1, v0
	s_waitcnt lgkmcnt(0)
	; wave barrier
	s_and_saveexec_b64 s[4:5], vcc
	s_cbranch_execz .LBB45_27
; %bb.24:
	v_add_u32_e32 v97, -1, v0
	v_add_u32_e32 v98, 0x170, v95
	v_mov_b32_e32 v99, v95
	v_mov_b32_e32 v94, 0
	s_mov_b64 s[8:9], 0
	v_mov_b32_e32 v100, 0
.LBB45_25:                              ; =>This Inner Loop Header: Depth=1
	buffer_load_dword v103, v99, s[0:3], 0 offen offset:4
	buffer_load_dword v104, v99, s[0:3], 0 offen
	ds_read_b64 v[101:102], v98
	v_add_u32_e32 v97, 1, v97
	v_cmp_lt_u32_e32 vcc, 1, v97
	v_add_u32_e32 v98, 8, v98
	v_add_u32_e32 v99, 8, v99
	s_or_b64 s[8:9], vcc, s[8:9]
	s_waitcnt vmcnt(1) lgkmcnt(0)
	v_mul_f32_e32 v105, v102, v103
	v_mul_f32_e32 v103, v101, v103
	s_waitcnt vmcnt(0)
	v_fma_f32 v101, v101, v104, -v105
	v_fmac_f32_e32 v103, v102, v104
	v_add_f32_e32 v100, v100, v101
	v_add_f32_e32 v94, v94, v103
	s_andn2_b64 exec, exec, s[8:9]
	s_cbranch_execnz .LBB45_25
; %bb.26:
	s_or_b64 exec, exec, s[8:9]
	v_mov_b32_e32 v97, 0
	ds_read_b64 v[97:98], v97 offset:24
	s_waitcnt lgkmcnt(0)
	v_mul_f32_e32 v99, v94, v98
	v_mul_f32_e32 v98, v100, v98
	v_fma_f32 v99, v100, v97, -v99
	v_fmac_f32_e32 v98, v94, v97
	buffer_store_dword v99, off, s[0:3], 0 offset:24
	buffer_store_dword v98, off, s[0:3], 0 offset:28
.LBB45_27:
	s_or_b64 exec, exec, s[4:5]
	; wave barrier
	buffer_load_dword v97, off, s[0:3], 0 offset:32
	buffer_load_dword v98, off, s[0:3], 0 offset:36
	v_cmp_gt_u32_e32 vcc, 4, v0
	s_waitcnt vmcnt(0)
	ds_write_b64 v96, v[97:98]
	s_waitcnt lgkmcnt(0)
	; wave barrier
	s_and_saveexec_b64 s[4:5], vcc
	s_cbranch_execz .LBB45_31
; %bb.28:
	v_add_u32_e32 v97, -1, v0
	v_add_u32_e32 v98, 0x170, v95
	v_mov_b32_e32 v99, v95
	v_mov_b32_e32 v94, 0
	s_mov_b64 s[8:9], 0
	v_mov_b32_e32 v100, 0
.LBB45_29:                              ; =>This Inner Loop Header: Depth=1
	buffer_load_dword v103, v99, s[0:3], 0 offen offset:4
	buffer_load_dword v104, v99, s[0:3], 0 offen
	ds_read_b64 v[101:102], v98
	v_add_u32_e32 v97, 1, v97
	v_cmp_lt_u32_e32 vcc, 2, v97
	v_add_u32_e32 v98, 8, v98
	v_add_u32_e32 v99, 8, v99
	s_or_b64 s[8:9], vcc, s[8:9]
	s_waitcnt vmcnt(1) lgkmcnt(0)
	v_mul_f32_e32 v105, v102, v103
	v_mul_f32_e32 v103, v101, v103
	s_waitcnt vmcnt(0)
	v_fma_f32 v101, v101, v104, -v105
	v_fmac_f32_e32 v103, v102, v104
	v_add_f32_e32 v100, v100, v101
	v_add_f32_e32 v94, v94, v103
	s_andn2_b64 exec, exec, s[8:9]
	s_cbranch_execnz .LBB45_29
; %bb.30:
	s_or_b64 exec, exec, s[8:9]
	v_mov_b32_e32 v97, 0
	ds_read_b64 v[97:98], v97 offset:32
	s_waitcnt lgkmcnt(0)
	v_mul_f32_e32 v99, v94, v98
	v_mul_f32_e32 v98, v100, v98
	v_fma_f32 v99, v100, v97, -v99
	v_fmac_f32_e32 v98, v94, v97
	buffer_store_dword v99, off, s[0:3], 0 offset:32
	buffer_store_dword v98, off, s[0:3], 0 offset:36
.LBB45_31:
	s_or_b64 exec, exec, s[4:5]
	; wave barrier
	buffer_load_dword v97, off, s[0:3], 0 offset:40
	buffer_load_dword v98, off, s[0:3], 0 offset:44
	v_cmp_gt_u32_e32 vcc, 5, v0
	s_waitcnt vmcnt(0)
	ds_write_b64 v96, v[97:98]
	;; [unrolled: 49-line block ×19, first 2 shown]
	s_waitcnt lgkmcnt(0)
	; wave barrier
	s_and_saveexec_b64 s[4:5], vcc
	s_cbranch_execz .LBB45_103
; %bb.100:
	v_add_u32_e32 v97, -1, v0
	v_add_u32_e32 v98, 0x170, v95
	v_mov_b32_e32 v99, v95
	v_mov_b32_e32 v94, 0
	s_mov_b64 s[8:9], 0
	v_mov_b32_e32 v100, 0
.LBB45_101:                             ; =>This Inner Loop Header: Depth=1
	buffer_load_dword v103, v99, s[0:3], 0 offen offset:4
	buffer_load_dword v104, v99, s[0:3], 0 offen
	ds_read_b64 v[101:102], v98
	v_add_u32_e32 v97, 1, v97
	v_cmp_lt_u32_e32 vcc, 20, v97
	v_add_u32_e32 v98, 8, v98
	v_add_u32_e32 v99, 8, v99
	s_or_b64 s[8:9], vcc, s[8:9]
	s_waitcnt vmcnt(1) lgkmcnt(0)
	v_mul_f32_e32 v105, v102, v103
	v_mul_f32_e32 v103, v101, v103
	s_waitcnt vmcnt(0)
	v_fma_f32 v101, v101, v104, -v105
	v_fmac_f32_e32 v103, v102, v104
	v_add_f32_e32 v100, v100, v101
	v_add_f32_e32 v94, v94, v103
	s_andn2_b64 exec, exec, s[8:9]
	s_cbranch_execnz .LBB45_101
; %bb.102:
	s_or_b64 exec, exec, s[8:9]
	v_mov_b32_e32 v97, 0
	ds_read_b64 v[97:98], v97 offset:176
	s_waitcnt lgkmcnt(0)
	v_mul_f32_e32 v99, v94, v98
	v_mul_f32_e32 v98, v100, v98
	v_fma_f32 v99, v100, v97, -v99
	v_fmac_f32_e32 v98, v94, v97
	buffer_store_dword v99, off, s[0:3], 0 offset:176
	buffer_store_dword v98, off, s[0:3], 0 offset:180
.LBB45_103:
	s_or_b64 exec, exec, s[4:5]
	; wave barrier
	buffer_load_dword v97, off, s[0:3], 0 offset:184
	buffer_load_dword v98, off, s[0:3], 0 offset:188
	v_cmp_gt_u32_e32 vcc, 23, v0
	s_waitcnt vmcnt(0)
	ds_write_b64 v96, v[97:98]
	s_waitcnt lgkmcnt(0)
	; wave barrier
	s_and_saveexec_b64 s[4:5], vcc
	s_cbranch_execz .LBB45_107
; %bb.104:
	v_add_u32_e32 v97, -1, v0
	v_add_u32_e32 v98, 0x170, v95
	v_mov_b32_e32 v99, v95
	v_mov_b32_e32 v94, 0
	s_mov_b64 s[8:9], 0
	v_mov_b32_e32 v100, 0
.LBB45_105:                             ; =>This Inner Loop Header: Depth=1
	buffer_load_dword v103, v99, s[0:3], 0 offen offset:4
	buffer_load_dword v104, v99, s[0:3], 0 offen
	ds_read_b64 v[101:102], v98
	v_add_u32_e32 v97, 1, v97
	v_cmp_lt_u32_e32 vcc, 21, v97
	v_add_u32_e32 v98, 8, v98
	v_add_u32_e32 v99, 8, v99
	s_or_b64 s[8:9], vcc, s[8:9]
	s_waitcnt vmcnt(1) lgkmcnt(0)
	v_mul_f32_e32 v105, v102, v103
	v_mul_f32_e32 v103, v101, v103
	s_waitcnt vmcnt(0)
	v_fma_f32 v101, v101, v104, -v105
	v_fmac_f32_e32 v103, v102, v104
	v_add_f32_e32 v100, v100, v101
	v_add_f32_e32 v94, v94, v103
	s_andn2_b64 exec, exec, s[8:9]
	s_cbranch_execnz .LBB45_105
; %bb.106:
	s_or_b64 exec, exec, s[8:9]
	v_mov_b32_e32 v97, 0
	ds_read_b64 v[97:98], v97 offset:184
	s_waitcnt lgkmcnt(0)
	v_mul_f32_e32 v99, v94, v98
	v_mul_f32_e32 v98, v100, v98
	v_fma_f32 v99, v100, v97, -v99
	v_fmac_f32_e32 v98, v94, v97
	buffer_store_dword v99, off, s[0:3], 0 offset:184
	buffer_store_dword v98, off, s[0:3], 0 offset:188
.LBB45_107:
	s_or_b64 exec, exec, s[4:5]
	; wave barrier
	buffer_load_dword v97, off, s[0:3], 0 offset:192
	buffer_load_dword v98, off, s[0:3], 0 offset:196
	v_cmp_gt_u32_e32 vcc, 24, v0
	s_waitcnt vmcnt(0)
	ds_write_b64 v96, v[97:98]
	s_waitcnt lgkmcnt(0)
	; wave barrier
	s_and_saveexec_b64 s[4:5], vcc
	s_cbranch_execz .LBB45_111
; %bb.108:
	v_add_u32_e32 v97, -1, v0
	v_add_u32_e32 v98, 0x170, v95
	v_mov_b32_e32 v99, v95
	v_mov_b32_e32 v94, 0
	s_mov_b64 s[8:9], 0
	v_mov_b32_e32 v100, 0
.LBB45_109:                             ; =>This Inner Loop Header: Depth=1
	buffer_load_dword v103, v99, s[0:3], 0 offen offset:4
	buffer_load_dword v104, v99, s[0:3], 0 offen
	ds_read_b64 v[101:102], v98
	v_add_u32_e32 v97, 1, v97
	v_cmp_lt_u32_e32 vcc, 22, v97
	v_add_u32_e32 v98, 8, v98
	v_add_u32_e32 v99, 8, v99
	s_or_b64 s[8:9], vcc, s[8:9]
	s_waitcnt vmcnt(1) lgkmcnt(0)
	v_mul_f32_e32 v105, v102, v103
	v_mul_f32_e32 v103, v101, v103
	s_waitcnt vmcnt(0)
	v_fma_f32 v101, v101, v104, -v105
	v_fmac_f32_e32 v103, v102, v104
	v_add_f32_e32 v100, v100, v101
	v_add_f32_e32 v94, v94, v103
	s_andn2_b64 exec, exec, s[8:9]
	s_cbranch_execnz .LBB45_109
; %bb.110:
	s_or_b64 exec, exec, s[8:9]
	v_mov_b32_e32 v97, 0
	ds_read_b64 v[97:98], v97 offset:192
	s_waitcnt lgkmcnt(0)
	v_mul_f32_e32 v99, v94, v98
	v_mul_f32_e32 v98, v100, v98
	v_fma_f32 v99, v100, v97, -v99
	v_fmac_f32_e32 v98, v94, v97
	buffer_store_dword v99, off, s[0:3], 0 offset:192
	buffer_store_dword v98, off, s[0:3], 0 offset:196
.LBB45_111:
	s_or_b64 exec, exec, s[4:5]
	; wave barrier
	buffer_load_dword v97, off, s[0:3], 0 offset:200
	buffer_load_dword v98, off, s[0:3], 0 offset:204
	v_cmp_gt_u32_e32 vcc, 25, v0
	s_waitcnt vmcnt(0)
	ds_write_b64 v96, v[97:98]
	s_waitcnt lgkmcnt(0)
	; wave barrier
	s_and_saveexec_b64 s[4:5], vcc
	s_cbranch_execz .LBB45_115
; %bb.112:
	v_add_u32_e32 v97, -1, v0
	v_add_u32_e32 v98, 0x170, v95
	v_mov_b32_e32 v99, v95
	v_mov_b32_e32 v94, 0
	s_mov_b64 s[8:9], 0
	v_mov_b32_e32 v100, 0
.LBB45_113:                             ; =>This Inner Loop Header: Depth=1
	buffer_load_dword v103, v99, s[0:3], 0 offen offset:4
	buffer_load_dword v104, v99, s[0:3], 0 offen
	ds_read_b64 v[101:102], v98
	v_add_u32_e32 v97, 1, v97
	v_cmp_lt_u32_e32 vcc, 23, v97
	v_add_u32_e32 v98, 8, v98
	v_add_u32_e32 v99, 8, v99
	s_or_b64 s[8:9], vcc, s[8:9]
	s_waitcnt vmcnt(1) lgkmcnt(0)
	v_mul_f32_e32 v105, v102, v103
	v_mul_f32_e32 v103, v101, v103
	s_waitcnt vmcnt(0)
	v_fma_f32 v101, v101, v104, -v105
	v_fmac_f32_e32 v103, v102, v104
	v_add_f32_e32 v100, v100, v101
	v_add_f32_e32 v94, v94, v103
	s_andn2_b64 exec, exec, s[8:9]
	s_cbranch_execnz .LBB45_113
; %bb.114:
	s_or_b64 exec, exec, s[8:9]
	v_mov_b32_e32 v97, 0
	ds_read_b64 v[97:98], v97 offset:200
	s_waitcnt lgkmcnt(0)
	v_mul_f32_e32 v99, v94, v98
	v_mul_f32_e32 v98, v100, v98
	v_fma_f32 v99, v100, v97, -v99
	v_fmac_f32_e32 v98, v94, v97
	buffer_store_dword v99, off, s[0:3], 0 offset:200
	buffer_store_dword v98, off, s[0:3], 0 offset:204
.LBB45_115:
	s_or_b64 exec, exec, s[4:5]
	; wave barrier
	buffer_load_dword v97, off, s[0:3], 0 offset:208
	buffer_load_dword v98, off, s[0:3], 0 offset:212
	v_cmp_gt_u32_e32 vcc, 26, v0
	s_waitcnt vmcnt(0)
	ds_write_b64 v96, v[97:98]
	s_waitcnt lgkmcnt(0)
	; wave barrier
	s_and_saveexec_b64 s[4:5], vcc
	s_cbranch_execz .LBB45_119
; %bb.116:
	v_add_u32_e32 v97, -1, v0
	v_add_u32_e32 v98, 0x170, v95
	v_mov_b32_e32 v99, v95
	v_mov_b32_e32 v94, 0
	s_mov_b64 s[8:9], 0
	v_mov_b32_e32 v100, 0
.LBB45_117:                             ; =>This Inner Loop Header: Depth=1
	buffer_load_dword v103, v99, s[0:3], 0 offen offset:4
	buffer_load_dword v104, v99, s[0:3], 0 offen
	ds_read_b64 v[101:102], v98
	v_add_u32_e32 v97, 1, v97
	v_cmp_lt_u32_e32 vcc, 24, v97
	v_add_u32_e32 v98, 8, v98
	v_add_u32_e32 v99, 8, v99
	s_or_b64 s[8:9], vcc, s[8:9]
	s_waitcnt vmcnt(1) lgkmcnt(0)
	v_mul_f32_e32 v105, v102, v103
	v_mul_f32_e32 v103, v101, v103
	s_waitcnt vmcnt(0)
	v_fma_f32 v101, v101, v104, -v105
	v_fmac_f32_e32 v103, v102, v104
	v_add_f32_e32 v100, v100, v101
	v_add_f32_e32 v94, v94, v103
	s_andn2_b64 exec, exec, s[8:9]
	s_cbranch_execnz .LBB45_117
; %bb.118:
	s_or_b64 exec, exec, s[8:9]
	v_mov_b32_e32 v97, 0
	ds_read_b64 v[97:98], v97 offset:208
	s_waitcnt lgkmcnt(0)
	v_mul_f32_e32 v99, v94, v98
	v_mul_f32_e32 v98, v100, v98
	v_fma_f32 v99, v100, v97, -v99
	v_fmac_f32_e32 v98, v94, v97
	buffer_store_dword v99, off, s[0:3], 0 offset:208
	buffer_store_dword v98, off, s[0:3], 0 offset:212
.LBB45_119:
	s_or_b64 exec, exec, s[4:5]
	; wave barrier
	buffer_load_dword v97, off, s[0:3], 0 offset:216
	buffer_load_dword v98, off, s[0:3], 0 offset:220
	v_cmp_gt_u32_e32 vcc, 27, v0
	s_waitcnt vmcnt(0)
	ds_write_b64 v96, v[97:98]
	s_waitcnt lgkmcnt(0)
	; wave barrier
	s_and_saveexec_b64 s[4:5], vcc
	s_cbranch_execz .LBB45_123
; %bb.120:
	v_add_u32_e32 v97, -1, v0
	v_add_u32_e32 v98, 0x170, v95
	v_mov_b32_e32 v99, v95
	v_mov_b32_e32 v94, 0
	s_mov_b64 s[8:9], 0
	v_mov_b32_e32 v100, 0
.LBB45_121:                             ; =>This Inner Loop Header: Depth=1
	buffer_load_dword v103, v99, s[0:3], 0 offen offset:4
	buffer_load_dword v104, v99, s[0:3], 0 offen
	ds_read_b64 v[101:102], v98
	v_add_u32_e32 v97, 1, v97
	v_cmp_lt_u32_e32 vcc, 25, v97
	v_add_u32_e32 v98, 8, v98
	v_add_u32_e32 v99, 8, v99
	s_or_b64 s[8:9], vcc, s[8:9]
	s_waitcnt vmcnt(1) lgkmcnt(0)
	v_mul_f32_e32 v105, v102, v103
	v_mul_f32_e32 v103, v101, v103
	s_waitcnt vmcnt(0)
	v_fma_f32 v101, v101, v104, -v105
	v_fmac_f32_e32 v103, v102, v104
	v_add_f32_e32 v100, v100, v101
	v_add_f32_e32 v94, v94, v103
	s_andn2_b64 exec, exec, s[8:9]
	s_cbranch_execnz .LBB45_121
; %bb.122:
	s_or_b64 exec, exec, s[8:9]
	v_mov_b32_e32 v97, 0
	ds_read_b64 v[97:98], v97 offset:216
	s_waitcnt lgkmcnt(0)
	v_mul_f32_e32 v99, v94, v98
	v_mul_f32_e32 v98, v100, v98
	v_fma_f32 v99, v100, v97, -v99
	v_fmac_f32_e32 v98, v94, v97
	buffer_store_dword v99, off, s[0:3], 0 offset:216
	buffer_store_dword v98, off, s[0:3], 0 offset:220
.LBB45_123:
	s_or_b64 exec, exec, s[4:5]
	; wave barrier
	buffer_load_dword v97, off, s[0:3], 0 offset:224
	buffer_load_dword v98, off, s[0:3], 0 offset:228
	v_cmp_gt_u32_e32 vcc, 28, v0
	s_waitcnt vmcnt(0)
	ds_write_b64 v96, v[97:98]
	s_waitcnt lgkmcnt(0)
	; wave barrier
	s_and_saveexec_b64 s[4:5], vcc
	s_cbranch_execz .LBB45_127
; %bb.124:
	v_add_u32_e32 v97, -1, v0
	v_add_u32_e32 v98, 0x170, v95
	v_mov_b32_e32 v99, v95
	v_mov_b32_e32 v94, 0
	s_mov_b64 s[8:9], 0
	v_mov_b32_e32 v100, 0
.LBB45_125:                             ; =>This Inner Loop Header: Depth=1
	buffer_load_dword v103, v99, s[0:3], 0 offen offset:4
	buffer_load_dword v104, v99, s[0:3], 0 offen
	ds_read_b64 v[101:102], v98
	v_add_u32_e32 v97, 1, v97
	v_cmp_lt_u32_e32 vcc, 26, v97
	v_add_u32_e32 v98, 8, v98
	v_add_u32_e32 v99, 8, v99
	s_or_b64 s[8:9], vcc, s[8:9]
	s_waitcnt vmcnt(1) lgkmcnt(0)
	v_mul_f32_e32 v105, v102, v103
	v_mul_f32_e32 v103, v101, v103
	s_waitcnt vmcnt(0)
	v_fma_f32 v101, v101, v104, -v105
	v_fmac_f32_e32 v103, v102, v104
	v_add_f32_e32 v100, v100, v101
	v_add_f32_e32 v94, v94, v103
	s_andn2_b64 exec, exec, s[8:9]
	s_cbranch_execnz .LBB45_125
; %bb.126:
	s_or_b64 exec, exec, s[8:9]
	v_mov_b32_e32 v97, 0
	ds_read_b64 v[97:98], v97 offset:224
	s_waitcnt lgkmcnt(0)
	v_mul_f32_e32 v99, v94, v98
	v_mul_f32_e32 v98, v100, v98
	v_fma_f32 v99, v100, v97, -v99
	v_fmac_f32_e32 v98, v94, v97
	buffer_store_dword v99, off, s[0:3], 0 offset:224
	buffer_store_dword v98, off, s[0:3], 0 offset:228
.LBB45_127:
	s_or_b64 exec, exec, s[4:5]
	; wave barrier
	buffer_load_dword v97, off, s[0:3], 0 offset:232
	buffer_load_dword v98, off, s[0:3], 0 offset:236
	v_cmp_gt_u32_e32 vcc, 29, v0
	s_waitcnt vmcnt(0)
	ds_write_b64 v96, v[97:98]
	s_waitcnt lgkmcnt(0)
	; wave barrier
	s_and_saveexec_b64 s[4:5], vcc
	s_cbranch_execz .LBB45_131
; %bb.128:
	v_add_u32_e32 v97, -1, v0
	v_add_u32_e32 v98, 0x170, v95
	v_mov_b32_e32 v99, v95
	v_mov_b32_e32 v94, 0
	s_mov_b64 s[8:9], 0
	v_mov_b32_e32 v100, 0
.LBB45_129:                             ; =>This Inner Loop Header: Depth=1
	buffer_load_dword v103, v99, s[0:3], 0 offen offset:4
	buffer_load_dword v104, v99, s[0:3], 0 offen
	ds_read_b64 v[101:102], v98
	v_add_u32_e32 v97, 1, v97
	v_cmp_lt_u32_e32 vcc, 27, v97
	v_add_u32_e32 v98, 8, v98
	v_add_u32_e32 v99, 8, v99
	s_or_b64 s[8:9], vcc, s[8:9]
	s_waitcnt vmcnt(1) lgkmcnt(0)
	v_mul_f32_e32 v105, v102, v103
	v_mul_f32_e32 v103, v101, v103
	s_waitcnt vmcnt(0)
	v_fma_f32 v101, v101, v104, -v105
	v_fmac_f32_e32 v103, v102, v104
	v_add_f32_e32 v100, v100, v101
	v_add_f32_e32 v94, v94, v103
	s_andn2_b64 exec, exec, s[8:9]
	s_cbranch_execnz .LBB45_129
; %bb.130:
	s_or_b64 exec, exec, s[8:9]
	v_mov_b32_e32 v97, 0
	ds_read_b64 v[97:98], v97 offset:232
	s_waitcnt lgkmcnt(0)
	v_mul_f32_e32 v99, v94, v98
	v_mul_f32_e32 v98, v100, v98
	v_fma_f32 v99, v100, v97, -v99
	v_fmac_f32_e32 v98, v94, v97
	buffer_store_dword v99, off, s[0:3], 0 offset:232
	buffer_store_dword v98, off, s[0:3], 0 offset:236
.LBB45_131:
	s_or_b64 exec, exec, s[4:5]
	; wave barrier
	buffer_load_dword v97, off, s[0:3], 0 offset:240
	buffer_load_dword v98, off, s[0:3], 0 offset:244
	v_cmp_gt_u32_e32 vcc, 30, v0
	s_waitcnt vmcnt(0)
	ds_write_b64 v96, v[97:98]
	s_waitcnt lgkmcnt(0)
	; wave barrier
	s_and_saveexec_b64 s[4:5], vcc
	s_cbranch_execz .LBB45_135
; %bb.132:
	v_add_u32_e32 v97, -1, v0
	v_add_u32_e32 v98, 0x170, v95
	v_mov_b32_e32 v99, v95
	v_mov_b32_e32 v94, 0
	s_mov_b64 s[8:9], 0
	v_mov_b32_e32 v100, 0
.LBB45_133:                             ; =>This Inner Loop Header: Depth=1
	buffer_load_dword v103, v99, s[0:3], 0 offen offset:4
	buffer_load_dword v104, v99, s[0:3], 0 offen
	ds_read_b64 v[101:102], v98
	v_add_u32_e32 v97, 1, v97
	v_cmp_lt_u32_e32 vcc, 28, v97
	v_add_u32_e32 v98, 8, v98
	v_add_u32_e32 v99, 8, v99
	s_or_b64 s[8:9], vcc, s[8:9]
	s_waitcnt vmcnt(1) lgkmcnt(0)
	v_mul_f32_e32 v105, v102, v103
	v_mul_f32_e32 v103, v101, v103
	s_waitcnt vmcnt(0)
	v_fma_f32 v101, v101, v104, -v105
	v_fmac_f32_e32 v103, v102, v104
	v_add_f32_e32 v100, v100, v101
	v_add_f32_e32 v94, v94, v103
	s_andn2_b64 exec, exec, s[8:9]
	s_cbranch_execnz .LBB45_133
; %bb.134:
	s_or_b64 exec, exec, s[8:9]
	v_mov_b32_e32 v97, 0
	ds_read_b64 v[97:98], v97 offset:240
	s_waitcnt lgkmcnt(0)
	v_mul_f32_e32 v99, v94, v98
	v_mul_f32_e32 v98, v100, v98
	v_fma_f32 v99, v100, v97, -v99
	v_fmac_f32_e32 v98, v94, v97
	buffer_store_dword v99, off, s[0:3], 0 offset:240
	buffer_store_dword v98, off, s[0:3], 0 offset:244
.LBB45_135:
	s_or_b64 exec, exec, s[4:5]
	; wave barrier
	buffer_load_dword v97, off, s[0:3], 0 offset:248
	buffer_load_dword v98, off, s[0:3], 0 offset:252
	v_cmp_gt_u32_e32 vcc, 31, v0
	s_waitcnt vmcnt(0)
	ds_write_b64 v96, v[97:98]
	s_waitcnt lgkmcnt(0)
	; wave barrier
	s_and_saveexec_b64 s[4:5], vcc
	s_cbranch_execz .LBB45_139
; %bb.136:
	v_add_u32_e32 v97, -1, v0
	v_add_u32_e32 v98, 0x170, v95
	v_mov_b32_e32 v99, v95
	v_mov_b32_e32 v94, 0
	s_mov_b64 s[8:9], 0
	v_mov_b32_e32 v100, 0
.LBB45_137:                             ; =>This Inner Loop Header: Depth=1
	buffer_load_dword v103, v99, s[0:3], 0 offen offset:4
	buffer_load_dword v104, v99, s[0:3], 0 offen
	ds_read_b64 v[101:102], v98
	v_add_u32_e32 v97, 1, v97
	v_cmp_lt_u32_e32 vcc, 29, v97
	v_add_u32_e32 v98, 8, v98
	v_add_u32_e32 v99, 8, v99
	s_or_b64 s[8:9], vcc, s[8:9]
	s_waitcnt vmcnt(1) lgkmcnt(0)
	v_mul_f32_e32 v105, v102, v103
	v_mul_f32_e32 v103, v101, v103
	s_waitcnt vmcnt(0)
	v_fma_f32 v101, v101, v104, -v105
	v_fmac_f32_e32 v103, v102, v104
	v_add_f32_e32 v100, v100, v101
	v_add_f32_e32 v94, v94, v103
	s_andn2_b64 exec, exec, s[8:9]
	s_cbranch_execnz .LBB45_137
; %bb.138:
	s_or_b64 exec, exec, s[8:9]
	v_mov_b32_e32 v97, 0
	ds_read_b64 v[97:98], v97 offset:248
	s_waitcnt lgkmcnt(0)
	v_mul_f32_e32 v99, v94, v98
	v_mul_f32_e32 v98, v100, v98
	v_fma_f32 v99, v100, v97, -v99
	v_fmac_f32_e32 v98, v94, v97
	buffer_store_dword v99, off, s[0:3], 0 offset:248
	buffer_store_dword v98, off, s[0:3], 0 offset:252
.LBB45_139:
	s_or_b64 exec, exec, s[4:5]
	; wave barrier
	buffer_load_dword v97, off, s[0:3], 0 offset:256
	buffer_load_dword v98, off, s[0:3], 0 offset:260
	v_cmp_gt_u32_e32 vcc, 32, v0
	s_waitcnt vmcnt(0)
	ds_write_b64 v96, v[97:98]
	s_waitcnt lgkmcnt(0)
	; wave barrier
	s_and_saveexec_b64 s[4:5], vcc
	s_cbranch_execz .LBB45_143
; %bb.140:
	v_add_u32_e32 v97, -1, v0
	v_add_u32_e32 v98, 0x170, v95
	v_mov_b32_e32 v99, v95
	v_mov_b32_e32 v94, 0
	s_mov_b64 s[8:9], 0
	v_mov_b32_e32 v100, 0
.LBB45_141:                             ; =>This Inner Loop Header: Depth=1
	buffer_load_dword v103, v99, s[0:3], 0 offen offset:4
	buffer_load_dword v104, v99, s[0:3], 0 offen
	ds_read_b64 v[101:102], v98
	v_add_u32_e32 v97, 1, v97
	v_cmp_lt_u32_e32 vcc, 30, v97
	v_add_u32_e32 v98, 8, v98
	v_add_u32_e32 v99, 8, v99
	s_or_b64 s[8:9], vcc, s[8:9]
	s_waitcnt vmcnt(1) lgkmcnt(0)
	v_mul_f32_e32 v105, v102, v103
	v_mul_f32_e32 v103, v101, v103
	s_waitcnt vmcnt(0)
	v_fma_f32 v101, v101, v104, -v105
	v_fmac_f32_e32 v103, v102, v104
	v_add_f32_e32 v100, v100, v101
	v_add_f32_e32 v94, v94, v103
	s_andn2_b64 exec, exec, s[8:9]
	s_cbranch_execnz .LBB45_141
; %bb.142:
	s_or_b64 exec, exec, s[8:9]
	v_mov_b32_e32 v97, 0
	ds_read_b64 v[97:98], v97 offset:256
	s_waitcnt lgkmcnt(0)
	v_mul_f32_e32 v99, v94, v98
	v_mul_f32_e32 v98, v100, v98
	v_fma_f32 v99, v100, v97, -v99
	v_fmac_f32_e32 v98, v94, v97
	buffer_store_dword v99, off, s[0:3], 0 offset:256
	buffer_store_dword v98, off, s[0:3], 0 offset:260
.LBB45_143:
	s_or_b64 exec, exec, s[4:5]
	; wave barrier
	buffer_load_dword v97, off, s[0:3], 0 offset:264
	buffer_load_dword v98, off, s[0:3], 0 offset:268
	v_cmp_gt_u32_e32 vcc, 33, v0
	s_waitcnt vmcnt(0)
	ds_write_b64 v96, v[97:98]
	s_waitcnt lgkmcnt(0)
	; wave barrier
	s_and_saveexec_b64 s[4:5], vcc
	s_cbranch_execz .LBB45_147
; %bb.144:
	v_add_u32_e32 v97, -1, v0
	v_add_u32_e32 v98, 0x170, v95
	v_mov_b32_e32 v99, v95
	v_mov_b32_e32 v94, 0
	s_mov_b64 s[8:9], 0
	v_mov_b32_e32 v100, 0
.LBB45_145:                             ; =>This Inner Loop Header: Depth=1
	buffer_load_dword v103, v99, s[0:3], 0 offen offset:4
	buffer_load_dword v104, v99, s[0:3], 0 offen
	ds_read_b64 v[101:102], v98
	v_add_u32_e32 v97, 1, v97
	v_cmp_lt_u32_e32 vcc, 31, v97
	v_add_u32_e32 v98, 8, v98
	v_add_u32_e32 v99, 8, v99
	s_or_b64 s[8:9], vcc, s[8:9]
	s_waitcnt vmcnt(1) lgkmcnt(0)
	v_mul_f32_e32 v105, v102, v103
	v_mul_f32_e32 v103, v101, v103
	s_waitcnt vmcnt(0)
	v_fma_f32 v101, v101, v104, -v105
	v_fmac_f32_e32 v103, v102, v104
	v_add_f32_e32 v100, v100, v101
	v_add_f32_e32 v94, v94, v103
	s_andn2_b64 exec, exec, s[8:9]
	s_cbranch_execnz .LBB45_145
; %bb.146:
	s_or_b64 exec, exec, s[8:9]
	v_mov_b32_e32 v97, 0
	ds_read_b64 v[97:98], v97 offset:264
	s_waitcnt lgkmcnt(0)
	v_mul_f32_e32 v99, v94, v98
	v_mul_f32_e32 v98, v100, v98
	v_fma_f32 v99, v100, v97, -v99
	v_fmac_f32_e32 v98, v94, v97
	buffer_store_dword v99, off, s[0:3], 0 offset:264
	buffer_store_dword v98, off, s[0:3], 0 offset:268
.LBB45_147:
	s_or_b64 exec, exec, s[4:5]
	; wave barrier
	buffer_load_dword v97, off, s[0:3], 0 offset:272
	buffer_load_dword v98, off, s[0:3], 0 offset:276
	v_cmp_gt_u32_e32 vcc, 34, v0
	s_waitcnt vmcnt(0)
	ds_write_b64 v96, v[97:98]
	s_waitcnt lgkmcnt(0)
	; wave barrier
	s_and_saveexec_b64 s[4:5], vcc
	s_cbranch_execz .LBB45_151
; %bb.148:
	v_add_u32_e32 v97, -1, v0
	v_add_u32_e32 v98, 0x170, v95
	v_mov_b32_e32 v99, v95
	v_mov_b32_e32 v94, 0
	s_mov_b64 s[8:9], 0
	v_mov_b32_e32 v100, 0
.LBB45_149:                             ; =>This Inner Loop Header: Depth=1
	buffer_load_dword v103, v99, s[0:3], 0 offen offset:4
	buffer_load_dword v104, v99, s[0:3], 0 offen
	ds_read_b64 v[101:102], v98
	v_add_u32_e32 v97, 1, v97
	v_cmp_lt_u32_e32 vcc, 32, v97
	v_add_u32_e32 v98, 8, v98
	v_add_u32_e32 v99, 8, v99
	s_or_b64 s[8:9], vcc, s[8:9]
	s_waitcnt vmcnt(1) lgkmcnt(0)
	v_mul_f32_e32 v105, v102, v103
	v_mul_f32_e32 v103, v101, v103
	s_waitcnt vmcnt(0)
	v_fma_f32 v101, v101, v104, -v105
	v_fmac_f32_e32 v103, v102, v104
	v_add_f32_e32 v100, v100, v101
	v_add_f32_e32 v94, v94, v103
	s_andn2_b64 exec, exec, s[8:9]
	s_cbranch_execnz .LBB45_149
; %bb.150:
	s_or_b64 exec, exec, s[8:9]
	v_mov_b32_e32 v97, 0
	ds_read_b64 v[97:98], v97 offset:272
	s_waitcnt lgkmcnt(0)
	v_mul_f32_e32 v99, v94, v98
	v_mul_f32_e32 v98, v100, v98
	v_fma_f32 v99, v100, v97, -v99
	v_fmac_f32_e32 v98, v94, v97
	buffer_store_dword v99, off, s[0:3], 0 offset:272
	buffer_store_dword v98, off, s[0:3], 0 offset:276
.LBB45_151:
	s_or_b64 exec, exec, s[4:5]
	; wave barrier
	buffer_load_dword v97, off, s[0:3], 0 offset:280
	buffer_load_dword v98, off, s[0:3], 0 offset:284
	v_cmp_gt_u32_e32 vcc, 35, v0
	s_waitcnt vmcnt(0)
	ds_write_b64 v96, v[97:98]
	s_waitcnt lgkmcnt(0)
	; wave barrier
	s_and_saveexec_b64 s[4:5], vcc
	s_cbranch_execz .LBB45_155
; %bb.152:
	v_add_u32_e32 v97, -1, v0
	v_add_u32_e32 v98, 0x170, v95
	v_mov_b32_e32 v99, v95
	v_mov_b32_e32 v94, 0
	s_mov_b64 s[8:9], 0
	v_mov_b32_e32 v100, 0
.LBB45_153:                             ; =>This Inner Loop Header: Depth=1
	buffer_load_dword v103, v99, s[0:3], 0 offen offset:4
	buffer_load_dword v104, v99, s[0:3], 0 offen
	ds_read_b64 v[101:102], v98
	v_add_u32_e32 v97, 1, v97
	v_cmp_lt_u32_e32 vcc, 33, v97
	v_add_u32_e32 v98, 8, v98
	v_add_u32_e32 v99, 8, v99
	s_or_b64 s[8:9], vcc, s[8:9]
	s_waitcnt vmcnt(1) lgkmcnt(0)
	v_mul_f32_e32 v105, v102, v103
	v_mul_f32_e32 v103, v101, v103
	s_waitcnt vmcnt(0)
	v_fma_f32 v101, v101, v104, -v105
	v_fmac_f32_e32 v103, v102, v104
	v_add_f32_e32 v100, v100, v101
	v_add_f32_e32 v94, v94, v103
	s_andn2_b64 exec, exec, s[8:9]
	s_cbranch_execnz .LBB45_153
; %bb.154:
	s_or_b64 exec, exec, s[8:9]
	v_mov_b32_e32 v97, 0
	ds_read_b64 v[97:98], v97 offset:280
	s_waitcnt lgkmcnt(0)
	v_mul_f32_e32 v99, v94, v98
	v_mul_f32_e32 v98, v100, v98
	v_fma_f32 v99, v100, v97, -v99
	v_fmac_f32_e32 v98, v94, v97
	buffer_store_dword v99, off, s[0:3], 0 offset:280
	buffer_store_dword v98, off, s[0:3], 0 offset:284
.LBB45_155:
	s_or_b64 exec, exec, s[4:5]
	; wave barrier
	buffer_load_dword v97, off, s[0:3], 0 offset:288
	buffer_load_dword v98, off, s[0:3], 0 offset:292
	v_cmp_gt_u32_e32 vcc, 36, v0
	s_waitcnt vmcnt(0)
	ds_write_b64 v96, v[97:98]
	s_waitcnt lgkmcnt(0)
	; wave barrier
	s_and_saveexec_b64 s[4:5], vcc
	s_cbranch_execz .LBB45_159
; %bb.156:
	v_add_u32_e32 v97, -1, v0
	v_add_u32_e32 v98, 0x170, v95
	v_mov_b32_e32 v99, v95
	v_mov_b32_e32 v94, 0
	s_mov_b64 s[8:9], 0
	v_mov_b32_e32 v100, 0
.LBB45_157:                             ; =>This Inner Loop Header: Depth=1
	buffer_load_dword v103, v99, s[0:3], 0 offen offset:4
	buffer_load_dword v104, v99, s[0:3], 0 offen
	ds_read_b64 v[101:102], v98
	v_add_u32_e32 v97, 1, v97
	v_cmp_lt_u32_e32 vcc, 34, v97
	v_add_u32_e32 v98, 8, v98
	v_add_u32_e32 v99, 8, v99
	s_or_b64 s[8:9], vcc, s[8:9]
	s_waitcnt vmcnt(1) lgkmcnt(0)
	v_mul_f32_e32 v105, v102, v103
	v_mul_f32_e32 v103, v101, v103
	s_waitcnt vmcnt(0)
	v_fma_f32 v101, v101, v104, -v105
	v_fmac_f32_e32 v103, v102, v104
	v_add_f32_e32 v100, v100, v101
	v_add_f32_e32 v94, v94, v103
	s_andn2_b64 exec, exec, s[8:9]
	s_cbranch_execnz .LBB45_157
; %bb.158:
	s_or_b64 exec, exec, s[8:9]
	v_mov_b32_e32 v97, 0
	ds_read_b64 v[97:98], v97 offset:288
	s_waitcnt lgkmcnt(0)
	v_mul_f32_e32 v99, v94, v98
	v_mul_f32_e32 v98, v100, v98
	v_fma_f32 v99, v100, v97, -v99
	v_fmac_f32_e32 v98, v94, v97
	buffer_store_dword v99, off, s[0:3], 0 offset:288
	buffer_store_dword v98, off, s[0:3], 0 offset:292
.LBB45_159:
	s_or_b64 exec, exec, s[4:5]
	; wave barrier
	buffer_load_dword v97, off, s[0:3], 0 offset:296
	buffer_load_dword v98, off, s[0:3], 0 offset:300
	v_cmp_gt_u32_e32 vcc, 37, v0
	s_waitcnt vmcnt(0)
	ds_write_b64 v96, v[97:98]
	s_waitcnt lgkmcnt(0)
	; wave barrier
	s_and_saveexec_b64 s[4:5], vcc
	s_cbranch_execz .LBB45_163
; %bb.160:
	v_add_u32_e32 v97, -1, v0
	v_add_u32_e32 v98, 0x170, v95
	v_mov_b32_e32 v99, v95
	v_mov_b32_e32 v94, 0
	s_mov_b64 s[8:9], 0
	v_mov_b32_e32 v100, 0
.LBB45_161:                             ; =>This Inner Loop Header: Depth=1
	buffer_load_dword v103, v99, s[0:3], 0 offen offset:4
	buffer_load_dword v104, v99, s[0:3], 0 offen
	ds_read_b64 v[101:102], v98
	v_add_u32_e32 v97, 1, v97
	v_cmp_lt_u32_e32 vcc, 35, v97
	v_add_u32_e32 v98, 8, v98
	v_add_u32_e32 v99, 8, v99
	s_or_b64 s[8:9], vcc, s[8:9]
	s_waitcnt vmcnt(1) lgkmcnt(0)
	v_mul_f32_e32 v105, v102, v103
	v_mul_f32_e32 v103, v101, v103
	s_waitcnt vmcnt(0)
	v_fma_f32 v101, v101, v104, -v105
	v_fmac_f32_e32 v103, v102, v104
	v_add_f32_e32 v100, v100, v101
	v_add_f32_e32 v94, v94, v103
	s_andn2_b64 exec, exec, s[8:9]
	s_cbranch_execnz .LBB45_161
; %bb.162:
	s_or_b64 exec, exec, s[8:9]
	v_mov_b32_e32 v97, 0
	ds_read_b64 v[97:98], v97 offset:296
	s_waitcnt lgkmcnt(0)
	v_mul_f32_e32 v99, v94, v98
	v_mul_f32_e32 v98, v100, v98
	v_fma_f32 v99, v100, v97, -v99
	v_fmac_f32_e32 v98, v94, v97
	buffer_store_dword v99, off, s[0:3], 0 offset:296
	buffer_store_dword v98, off, s[0:3], 0 offset:300
.LBB45_163:
	s_or_b64 exec, exec, s[4:5]
	; wave barrier
	buffer_load_dword v97, off, s[0:3], 0 offset:304
	buffer_load_dword v98, off, s[0:3], 0 offset:308
	v_cmp_gt_u32_e32 vcc, 38, v0
	s_waitcnt vmcnt(0)
	ds_write_b64 v96, v[97:98]
	s_waitcnt lgkmcnt(0)
	; wave barrier
	s_and_saveexec_b64 s[4:5], vcc
	s_cbranch_execz .LBB45_167
; %bb.164:
	v_add_u32_e32 v97, -1, v0
	v_add_u32_e32 v98, 0x170, v95
	v_mov_b32_e32 v99, v95
	v_mov_b32_e32 v94, 0
	s_mov_b64 s[8:9], 0
	v_mov_b32_e32 v100, 0
.LBB45_165:                             ; =>This Inner Loop Header: Depth=1
	buffer_load_dword v103, v99, s[0:3], 0 offen offset:4
	buffer_load_dword v104, v99, s[0:3], 0 offen
	ds_read_b64 v[101:102], v98
	v_add_u32_e32 v97, 1, v97
	v_cmp_lt_u32_e32 vcc, 36, v97
	v_add_u32_e32 v98, 8, v98
	v_add_u32_e32 v99, 8, v99
	s_or_b64 s[8:9], vcc, s[8:9]
	s_waitcnt vmcnt(1) lgkmcnt(0)
	v_mul_f32_e32 v105, v102, v103
	v_mul_f32_e32 v103, v101, v103
	s_waitcnt vmcnt(0)
	v_fma_f32 v101, v101, v104, -v105
	v_fmac_f32_e32 v103, v102, v104
	v_add_f32_e32 v100, v100, v101
	v_add_f32_e32 v94, v94, v103
	s_andn2_b64 exec, exec, s[8:9]
	s_cbranch_execnz .LBB45_165
; %bb.166:
	s_or_b64 exec, exec, s[8:9]
	v_mov_b32_e32 v97, 0
	ds_read_b64 v[97:98], v97 offset:304
	s_waitcnt lgkmcnt(0)
	v_mul_f32_e32 v99, v94, v98
	v_mul_f32_e32 v98, v100, v98
	v_fma_f32 v99, v100, v97, -v99
	v_fmac_f32_e32 v98, v94, v97
	buffer_store_dword v99, off, s[0:3], 0 offset:304
	buffer_store_dword v98, off, s[0:3], 0 offset:308
.LBB45_167:
	s_or_b64 exec, exec, s[4:5]
	; wave barrier
	buffer_load_dword v97, off, s[0:3], 0 offset:312
	buffer_load_dword v98, off, s[0:3], 0 offset:316
	v_cmp_gt_u32_e32 vcc, 39, v0
	s_waitcnt vmcnt(0)
	ds_write_b64 v96, v[97:98]
	s_waitcnt lgkmcnt(0)
	; wave barrier
	s_and_saveexec_b64 s[4:5], vcc
	s_cbranch_execz .LBB45_171
; %bb.168:
	v_add_u32_e32 v97, -1, v0
	v_add_u32_e32 v98, 0x170, v95
	v_mov_b32_e32 v99, v95
	v_mov_b32_e32 v94, 0
	s_mov_b64 s[8:9], 0
	v_mov_b32_e32 v100, 0
.LBB45_169:                             ; =>This Inner Loop Header: Depth=1
	buffer_load_dword v103, v99, s[0:3], 0 offen offset:4
	buffer_load_dword v104, v99, s[0:3], 0 offen
	ds_read_b64 v[101:102], v98
	v_add_u32_e32 v97, 1, v97
	v_cmp_lt_u32_e32 vcc, 37, v97
	v_add_u32_e32 v98, 8, v98
	v_add_u32_e32 v99, 8, v99
	s_or_b64 s[8:9], vcc, s[8:9]
	s_waitcnt vmcnt(1) lgkmcnt(0)
	v_mul_f32_e32 v105, v102, v103
	v_mul_f32_e32 v103, v101, v103
	s_waitcnt vmcnt(0)
	v_fma_f32 v101, v101, v104, -v105
	v_fmac_f32_e32 v103, v102, v104
	v_add_f32_e32 v100, v100, v101
	v_add_f32_e32 v94, v94, v103
	s_andn2_b64 exec, exec, s[8:9]
	s_cbranch_execnz .LBB45_169
; %bb.170:
	s_or_b64 exec, exec, s[8:9]
	v_mov_b32_e32 v97, 0
	ds_read_b64 v[97:98], v97 offset:312
	s_waitcnt lgkmcnt(0)
	v_mul_f32_e32 v99, v94, v98
	v_mul_f32_e32 v98, v100, v98
	v_fma_f32 v99, v100, v97, -v99
	v_fmac_f32_e32 v98, v94, v97
	buffer_store_dword v99, off, s[0:3], 0 offset:312
	buffer_store_dword v98, off, s[0:3], 0 offset:316
.LBB45_171:
	s_or_b64 exec, exec, s[4:5]
	; wave barrier
	buffer_load_dword v97, off, s[0:3], 0 offset:320
	buffer_load_dword v98, off, s[0:3], 0 offset:324
	v_cmp_gt_u32_e32 vcc, 40, v0
	s_waitcnt vmcnt(0)
	ds_write_b64 v96, v[97:98]
	s_waitcnt lgkmcnt(0)
	; wave barrier
	s_and_saveexec_b64 s[4:5], vcc
	s_cbranch_execz .LBB45_175
; %bb.172:
	v_add_u32_e32 v97, -1, v0
	v_add_u32_e32 v98, 0x170, v95
	v_mov_b32_e32 v99, v95
	v_mov_b32_e32 v94, 0
	s_mov_b64 s[8:9], 0
	v_mov_b32_e32 v100, 0
.LBB45_173:                             ; =>This Inner Loop Header: Depth=1
	buffer_load_dword v103, v99, s[0:3], 0 offen offset:4
	buffer_load_dword v104, v99, s[0:3], 0 offen
	ds_read_b64 v[101:102], v98
	v_add_u32_e32 v97, 1, v97
	v_cmp_lt_u32_e32 vcc, 38, v97
	v_add_u32_e32 v98, 8, v98
	v_add_u32_e32 v99, 8, v99
	s_or_b64 s[8:9], vcc, s[8:9]
	s_waitcnt vmcnt(1) lgkmcnt(0)
	v_mul_f32_e32 v105, v102, v103
	v_mul_f32_e32 v103, v101, v103
	s_waitcnt vmcnt(0)
	v_fma_f32 v101, v101, v104, -v105
	v_fmac_f32_e32 v103, v102, v104
	v_add_f32_e32 v100, v100, v101
	v_add_f32_e32 v94, v94, v103
	s_andn2_b64 exec, exec, s[8:9]
	s_cbranch_execnz .LBB45_173
; %bb.174:
	s_or_b64 exec, exec, s[8:9]
	v_mov_b32_e32 v97, 0
	ds_read_b64 v[97:98], v97 offset:320
	s_waitcnt lgkmcnt(0)
	v_mul_f32_e32 v99, v94, v98
	v_mul_f32_e32 v98, v100, v98
	v_fma_f32 v99, v100, v97, -v99
	v_fmac_f32_e32 v98, v94, v97
	buffer_store_dword v99, off, s[0:3], 0 offset:320
	buffer_store_dword v98, off, s[0:3], 0 offset:324
.LBB45_175:
	s_or_b64 exec, exec, s[4:5]
	; wave barrier
	buffer_load_dword v97, off, s[0:3], 0 offset:328
	buffer_load_dword v98, off, s[0:3], 0 offset:332
	v_cmp_gt_u32_e32 vcc, 41, v0
	s_waitcnt vmcnt(0)
	ds_write_b64 v96, v[97:98]
	s_waitcnt lgkmcnt(0)
	; wave barrier
	s_and_saveexec_b64 s[4:5], vcc
	s_cbranch_execz .LBB45_179
; %bb.176:
	v_add_u32_e32 v97, -1, v0
	v_add_u32_e32 v98, 0x170, v95
	v_mov_b32_e32 v99, v95
	v_mov_b32_e32 v94, 0
	s_mov_b64 s[8:9], 0
	v_mov_b32_e32 v100, 0
.LBB45_177:                             ; =>This Inner Loop Header: Depth=1
	buffer_load_dword v103, v99, s[0:3], 0 offen offset:4
	buffer_load_dword v104, v99, s[0:3], 0 offen
	ds_read_b64 v[101:102], v98
	v_add_u32_e32 v97, 1, v97
	v_cmp_lt_u32_e32 vcc, 39, v97
	v_add_u32_e32 v98, 8, v98
	v_add_u32_e32 v99, 8, v99
	s_or_b64 s[8:9], vcc, s[8:9]
	s_waitcnt vmcnt(1) lgkmcnt(0)
	v_mul_f32_e32 v105, v102, v103
	v_mul_f32_e32 v103, v101, v103
	s_waitcnt vmcnt(0)
	v_fma_f32 v101, v101, v104, -v105
	v_fmac_f32_e32 v103, v102, v104
	v_add_f32_e32 v100, v100, v101
	v_add_f32_e32 v94, v94, v103
	s_andn2_b64 exec, exec, s[8:9]
	s_cbranch_execnz .LBB45_177
; %bb.178:
	s_or_b64 exec, exec, s[8:9]
	v_mov_b32_e32 v97, 0
	ds_read_b64 v[97:98], v97 offset:328
	s_waitcnt lgkmcnt(0)
	v_mul_f32_e32 v99, v94, v98
	v_mul_f32_e32 v98, v100, v98
	v_fma_f32 v99, v100, v97, -v99
	v_fmac_f32_e32 v98, v94, v97
	buffer_store_dword v99, off, s[0:3], 0 offset:328
	buffer_store_dword v98, off, s[0:3], 0 offset:332
.LBB45_179:
	s_or_b64 exec, exec, s[4:5]
	; wave barrier
	buffer_load_dword v97, off, s[0:3], 0 offset:336
	buffer_load_dword v98, off, s[0:3], 0 offset:340
	v_cmp_gt_u32_e32 vcc, 42, v0
	s_waitcnt vmcnt(0)
	ds_write_b64 v96, v[97:98]
	s_waitcnt lgkmcnt(0)
	; wave barrier
	s_and_saveexec_b64 s[4:5], vcc
	s_cbranch_execz .LBB45_183
; %bb.180:
	v_add_u32_e32 v97, -1, v0
	v_add_u32_e32 v98, 0x170, v95
	v_mov_b32_e32 v99, v95
	v_mov_b32_e32 v94, 0
	s_mov_b64 s[8:9], 0
	v_mov_b32_e32 v100, 0
.LBB45_181:                             ; =>This Inner Loop Header: Depth=1
	buffer_load_dword v103, v99, s[0:3], 0 offen offset:4
	buffer_load_dword v104, v99, s[0:3], 0 offen
	ds_read_b64 v[101:102], v98
	v_add_u32_e32 v97, 1, v97
	v_cmp_lt_u32_e32 vcc, 40, v97
	v_add_u32_e32 v98, 8, v98
	v_add_u32_e32 v99, 8, v99
	s_or_b64 s[8:9], vcc, s[8:9]
	s_waitcnt vmcnt(1) lgkmcnt(0)
	v_mul_f32_e32 v105, v102, v103
	v_mul_f32_e32 v103, v101, v103
	s_waitcnt vmcnt(0)
	v_fma_f32 v101, v101, v104, -v105
	v_fmac_f32_e32 v103, v102, v104
	v_add_f32_e32 v100, v100, v101
	v_add_f32_e32 v94, v94, v103
	s_andn2_b64 exec, exec, s[8:9]
	s_cbranch_execnz .LBB45_181
; %bb.182:
	s_or_b64 exec, exec, s[8:9]
	v_mov_b32_e32 v97, 0
	ds_read_b64 v[97:98], v97 offset:336
	s_waitcnt lgkmcnt(0)
	v_mul_f32_e32 v99, v94, v98
	v_mul_f32_e32 v98, v100, v98
	v_fma_f32 v99, v100, v97, -v99
	v_fmac_f32_e32 v98, v94, v97
	buffer_store_dword v99, off, s[0:3], 0 offset:336
	buffer_store_dword v98, off, s[0:3], 0 offset:340
.LBB45_183:
	s_or_b64 exec, exec, s[4:5]
	; wave barrier
	buffer_load_dword v97, off, s[0:3], 0 offset:344
	buffer_load_dword v98, off, s[0:3], 0 offset:348
	v_cmp_gt_u32_e32 vcc, 43, v0
	s_waitcnt vmcnt(0)
	ds_write_b64 v96, v[97:98]
	s_waitcnt lgkmcnt(0)
	; wave barrier
	s_and_saveexec_b64 s[4:5], vcc
	s_cbranch_execz .LBB45_187
; %bb.184:
	v_add_u32_e32 v97, -1, v0
	v_add_u32_e32 v98, 0x170, v95
	v_mov_b32_e32 v99, v95
	v_mov_b32_e32 v94, 0
	s_mov_b64 s[8:9], 0
	v_mov_b32_e32 v100, 0
.LBB45_185:                             ; =>This Inner Loop Header: Depth=1
	buffer_load_dword v103, v99, s[0:3], 0 offen offset:4
	buffer_load_dword v104, v99, s[0:3], 0 offen
	ds_read_b64 v[101:102], v98
	v_add_u32_e32 v97, 1, v97
	v_cmp_lt_u32_e32 vcc, 41, v97
	v_add_u32_e32 v98, 8, v98
	v_add_u32_e32 v99, 8, v99
	s_or_b64 s[8:9], vcc, s[8:9]
	s_waitcnt vmcnt(1) lgkmcnt(0)
	v_mul_f32_e32 v105, v102, v103
	v_mul_f32_e32 v103, v101, v103
	s_waitcnt vmcnt(0)
	v_fma_f32 v101, v101, v104, -v105
	v_fmac_f32_e32 v103, v102, v104
	v_add_f32_e32 v100, v100, v101
	v_add_f32_e32 v94, v94, v103
	s_andn2_b64 exec, exec, s[8:9]
	s_cbranch_execnz .LBB45_185
; %bb.186:
	s_or_b64 exec, exec, s[8:9]
	v_mov_b32_e32 v97, 0
	ds_read_b64 v[97:98], v97 offset:344
	s_waitcnt lgkmcnt(0)
	v_mul_f32_e32 v99, v94, v98
	v_mul_f32_e32 v98, v100, v98
	v_fma_f32 v99, v100, v97, -v99
	v_fmac_f32_e32 v98, v94, v97
	buffer_store_dword v99, off, s[0:3], 0 offset:344
	buffer_store_dword v98, off, s[0:3], 0 offset:348
.LBB45_187:
	s_or_b64 exec, exec, s[4:5]
	; wave barrier
	buffer_load_dword v97, off, s[0:3], 0 offset:352
	buffer_load_dword v98, off, s[0:3], 0 offset:356
	v_cmp_gt_u32_e32 vcc, 44, v0
	s_waitcnt vmcnt(0)
	ds_write_b64 v96, v[97:98]
	s_waitcnt lgkmcnt(0)
	; wave barrier
	s_and_saveexec_b64 s[4:5], vcc
	s_cbranch_execz .LBB45_191
; %bb.188:
	v_add_u32_e32 v97, -1, v0
	v_add_u32_e32 v98, 0x170, v95
	v_mov_b32_e32 v99, v95
	v_mov_b32_e32 v94, 0
	s_mov_b64 s[8:9], 0
	v_mov_b32_e32 v100, 0
.LBB45_189:                             ; =>This Inner Loop Header: Depth=1
	buffer_load_dword v103, v99, s[0:3], 0 offen offset:4
	buffer_load_dword v104, v99, s[0:3], 0 offen
	ds_read_b64 v[101:102], v98
	v_add_u32_e32 v97, 1, v97
	v_cmp_lt_u32_e32 vcc, 42, v97
	v_add_u32_e32 v98, 8, v98
	v_add_u32_e32 v99, 8, v99
	s_or_b64 s[8:9], vcc, s[8:9]
	s_waitcnt vmcnt(1) lgkmcnt(0)
	v_mul_f32_e32 v105, v102, v103
	v_mul_f32_e32 v103, v101, v103
	s_waitcnt vmcnt(0)
	v_fma_f32 v101, v101, v104, -v105
	v_fmac_f32_e32 v103, v102, v104
	v_add_f32_e32 v100, v100, v101
	v_add_f32_e32 v94, v94, v103
	s_andn2_b64 exec, exec, s[8:9]
	s_cbranch_execnz .LBB45_189
; %bb.190:
	s_or_b64 exec, exec, s[8:9]
	v_mov_b32_e32 v97, 0
	ds_read_b64 v[97:98], v97 offset:352
	s_waitcnt lgkmcnt(0)
	v_mul_f32_e32 v99, v94, v98
	v_mul_f32_e32 v98, v100, v98
	v_fma_f32 v99, v100, v97, -v99
	v_fmac_f32_e32 v98, v94, v97
	buffer_store_dword v99, off, s[0:3], 0 offset:352
	buffer_store_dword v98, off, s[0:3], 0 offset:356
.LBB45_191:
	s_or_b64 exec, exec, s[4:5]
	; wave barrier
	buffer_load_dword v97, off, s[0:3], 0 offset:360
	buffer_load_dword v98, off, s[0:3], 0 offset:364
	v_cmp_ne_u32_e32 vcc, 45, v0
	s_waitcnt vmcnt(0)
	ds_write_b64 v96, v[97:98]
	s_waitcnt lgkmcnt(0)
	; wave barrier
	s_and_saveexec_b64 s[4:5], vcc
	s_cbranch_execz .LBB45_195
; %bb.192:
	v_add_u32_e32 v96, 0x170, v95
	v_mov_b32_e32 v94, 0
	s_mov_b64 s[8:9], 0
	v_mov_b32_e32 v97, 0
.LBB45_193:                             ; =>This Inner Loop Header: Depth=1
	buffer_load_dword v100, v95, s[0:3], 0 offen offset:4
	buffer_load_dword v101, v95, s[0:3], 0 offen
	ds_read_b64 v[98:99], v96
	v_add_u32_e32 v93, 1, v93
	v_cmp_lt_u32_e32 vcc, 43, v93
	v_add_u32_e32 v96, 8, v96
	v_add_u32_e32 v95, 8, v95
	s_or_b64 s[8:9], vcc, s[8:9]
	s_waitcnt vmcnt(1) lgkmcnt(0)
	v_mul_f32_e32 v102, v99, v100
	v_mul_f32_e32 v100, v98, v100
	s_waitcnt vmcnt(0)
	v_fma_f32 v98, v98, v101, -v102
	v_fmac_f32_e32 v100, v99, v101
	v_add_f32_e32 v97, v97, v98
	v_add_f32_e32 v94, v94, v100
	s_andn2_b64 exec, exec, s[8:9]
	s_cbranch_execnz .LBB45_193
; %bb.194:
	s_or_b64 exec, exec, s[8:9]
	v_mov_b32_e32 v93, 0
	ds_read_b64 v[95:96], v93 offset:360
	s_waitcnt lgkmcnt(0)
	v_mul_f32_e32 v93, v94, v96
	v_mul_f32_e32 v96, v97, v96
	v_fma_f32 v93, v97, v95, -v93
	v_fmac_f32_e32 v96, v94, v95
	buffer_store_dword v93, off, s[0:3], 0 offset:360
	buffer_store_dword v96, off, s[0:3], 0 offset:364
.LBB45_195:
	s_or_b64 exec, exec, s[4:5]
	s_mov_b64 s[8:9], -1
	; wave barrier
.LBB45_196:
	s_and_b64 vcc, exec, s[8:9]
	s_cbranch_vccz .LBB45_198
; %bb.197:
	s_lshl_b64 s[4:5], s[6:7], 2
	s_add_u32 s4, s10, s4
	s_addc_u32 s5, s11, s5
	v_mov_b32_e32 v93, 0
	global_load_dword v93, v93, s[4:5]
	s_waitcnt vmcnt(0)
	v_cmp_ne_u32_e32 vcc, 0, v93
	s_cbranch_vccz .LBB45_199
.LBB45_198:
	s_endpgm
.LBB45_199:
	v_mov_b32_e32 v93, 0x170
	v_lshl_add_u32 v93, v0, 3, v93
	v_cmp_eq_u32_e32 vcc, 45, v0
	s_and_saveexec_b64 s[4:5], vcc
	s_cbranch_execz .LBB45_201
; %bb.200:
	buffer_load_dword v94, off, s[0:3], 0 offset:352
	buffer_load_dword v95, off, s[0:3], 0 offset:356
	v_mov_b32_e32 v96, 0
	buffer_store_dword v96, off, s[0:3], 0 offset:352
	buffer_store_dword v96, off, s[0:3], 0 offset:356
	s_waitcnt vmcnt(2)
	ds_write_b64 v93, v[94:95]
.LBB45_201:
	s_or_b64 exec, exec, s[4:5]
	s_waitcnt lgkmcnt(0)
	; wave barrier
	buffer_load_dword v97, off, s[0:3], 0 offset:364
	buffer_load_dword v98, off, s[0:3], 0 offset:360
	;; [unrolled: 1-line block ×4, first 2 shown]
	v_mov_b32_e32 v94, 0
	ds_read_b64 v[95:96], v94 offset:728
	v_cmp_lt_u32_e32 vcc, 43, v0
	s_waitcnt vmcnt(3) lgkmcnt(0)
	v_mul_f32_e32 v101, v95, v97
	v_mul_f32_e32 v97, v96, v97
	s_waitcnt vmcnt(2)
	v_fma_f32 v95, v95, v98, -v97
	v_fmac_f32_e32 v101, v96, v98
	v_add_f32_e32 v95, 0, v95
	v_add_f32_e32 v96, 0, v101
	s_waitcnt vmcnt(1)
	v_sub_f32_e32 v95, v99, v95
	s_waitcnt vmcnt(0)
	v_sub_f32_e32 v96, v100, v96
	buffer_store_dword v95, off, s[0:3], 0 offset:352
	buffer_store_dword v96, off, s[0:3], 0 offset:356
	s_and_saveexec_b64 s[4:5], vcc
	s_cbranch_execz .LBB45_203
; %bb.202:
	buffer_load_dword v95, off, s[0:3], 0 offset:344
	buffer_load_dword v96, off, s[0:3], 0 offset:348
	s_waitcnt vmcnt(0)
	ds_write_b64 v93, v[95:96]
	buffer_store_dword v94, off, s[0:3], 0 offset:344
	buffer_store_dword v94, off, s[0:3], 0 offset:348
.LBB45_203:
	s_or_b64 exec, exec, s[4:5]
	s_waitcnt lgkmcnt(0)
	; wave barrier
	buffer_load_dword v98, off, s[0:3], 0 offset:356
	buffer_load_dword v99, off, s[0:3], 0 offset:364
	;; [unrolled: 1-line block ×6, first 2 shown]
	ds_read_b128 v[94:97], v94 offset:720
	v_cmp_lt_u32_e32 vcc, 42, v0
	s_waitcnt vmcnt(5) lgkmcnt(0)
	v_mul_f32_e32 v104, v94, v98
	v_mul_f32_e32 v98, v95, v98
	s_waitcnt vmcnt(4)
	v_mul_f32_e32 v105, v96, v99
	v_mul_f32_e32 v99, v97, v99
	s_waitcnt vmcnt(3)
	v_fma_f32 v94, v94, v100, -v98
	v_fmac_f32_e32 v104, v95, v100
	s_waitcnt vmcnt(2)
	v_fma_f32 v95, v96, v101, -v99
	v_add_f32_e32 v94, 0, v94
	v_fmac_f32_e32 v105, v97, v101
	v_add_f32_e32 v96, 0, v104
	v_add_f32_e32 v94, v94, v95
	;; [unrolled: 1-line block ×3, first 2 shown]
	s_waitcnt vmcnt(1)
	v_sub_f32_e32 v94, v102, v94
	s_waitcnt vmcnt(0)
	v_sub_f32_e32 v95, v103, v96
	buffer_store_dword v94, off, s[0:3], 0 offset:344
	buffer_store_dword v95, off, s[0:3], 0 offset:348
	s_and_saveexec_b64 s[4:5], vcc
	s_cbranch_execz .LBB45_205
; %bb.204:
	buffer_load_dword v94, off, s[0:3], 0 offset:336
	buffer_load_dword v95, off, s[0:3], 0 offset:340
	v_mov_b32_e32 v96, 0
	buffer_store_dword v96, off, s[0:3], 0 offset:336
	buffer_store_dword v96, off, s[0:3], 0 offset:340
	s_waitcnt vmcnt(2)
	ds_write_b64 v93, v[94:95]
.LBB45_205:
	s_or_b64 exec, exec, s[4:5]
	s_waitcnt lgkmcnt(0)
	; wave barrier
	buffer_load_dword v101, off, s[0:3], 0 offset:348
	buffer_load_dword v102, off, s[0:3], 0 offset:356
	;; [unrolled: 1-line block ×8, first 2 shown]
	v_mov_b32_e32 v94, 0
	ds_read2_b64 v[95:98], v94 offset0:89 offset1:90
	ds_read_b64 v[99:100], v94 offset:728
	v_cmp_lt_u32_e32 vcc, 41, v0
	s_waitcnt vmcnt(7) lgkmcnt(1)
	v_mul_f32_e32 v109, v95, v101
	v_mul_f32_e32 v101, v96, v101
	s_waitcnt vmcnt(6)
	v_mul_f32_e32 v110, v97, v102
	v_mul_f32_e32 v102, v98, v102
	s_waitcnt vmcnt(4)
	v_fma_f32 v95, v95, v104, -v101
	s_waitcnt lgkmcnt(0)
	v_mul_f32_e32 v111, v99, v103
	v_mul_f32_e32 v103, v100, v103
	v_fmac_f32_e32 v109, v96, v104
	s_waitcnt vmcnt(3)
	v_fma_f32 v96, v97, v105, -v102
	v_add_f32_e32 v95, 0, v95
	v_fmac_f32_e32 v110, v98, v105
	s_waitcnt vmcnt(2)
	v_fma_f32 v97, v99, v106, -v103
	v_add_f32_e32 v98, 0, v109
	v_add_f32_e32 v95, v95, v96
	v_fmac_f32_e32 v111, v100, v106
	v_add_f32_e32 v98, v98, v110
	v_add_f32_e32 v95, v95, v97
	;; [unrolled: 1-line block ×3, first 2 shown]
	s_waitcnt vmcnt(1)
	v_sub_f32_e32 v95, v107, v95
	s_waitcnt vmcnt(0)
	v_sub_f32_e32 v96, v108, v96
	buffer_store_dword v95, off, s[0:3], 0 offset:336
	buffer_store_dword v96, off, s[0:3], 0 offset:340
	s_and_saveexec_b64 s[4:5], vcc
	s_cbranch_execz .LBB45_207
; %bb.206:
	buffer_load_dword v95, off, s[0:3], 0 offset:328
	buffer_load_dword v96, off, s[0:3], 0 offset:332
	s_waitcnt vmcnt(0)
	ds_write_b64 v93, v[95:96]
	buffer_store_dword v94, off, s[0:3], 0 offset:328
	buffer_store_dword v94, off, s[0:3], 0 offset:332
.LBB45_207:
	s_or_b64 exec, exec, s[4:5]
	s_waitcnt lgkmcnt(0)
	; wave barrier
	buffer_load_dword v103, off, s[0:3], 0 offset:340
	buffer_load_dword v104, off, s[0:3], 0 offset:348
	;; [unrolled: 1-line block ×10, first 2 shown]
	ds_read_b128 v[95:98], v94 offset:704
	ds_read_b128 v[99:102], v94 offset:720
	v_cmp_lt_u32_e32 vcc, 40, v0
	s_waitcnt vmcnt(9) lgkmcnt(1)
	v_mul_f32_e32 v94, v95, v103
	v_mul_f32_e32 v103, v96, v103
	s_waitcnt vmcnt(8)
	v_mul_f32_e32 v113, v97, v104
	v_mul_f32_e32 v104, v98, v104
	s_waitcnt vmcnt(5)
	v_fma_f32 v95, v95, v107, -v103
	s_waitcnt lgkmcnt(0)
	v_mul_f32_e32 v114, v99, v105
	v_mul_f32_e32 v105, v100, v105
	v_fmac_f32_e32 v94, v96, v107
	s_waitcnt vmcnt(4)
	v_fma_f32 v96, v97, v108, -v104
	v_add_f32_e32 v95, 0, v95
	v_mul_f32_e32 v115, v101, v106
	v_mul_f32_e32 v106, v102, v106
	v_fmac_f32_e32 v113, v98, v108
	s_waitcnt vmcnt(3)
	v_fma_f32 v97, v99, v109, -v105
	v_add_f32_e32 v94, 0, v94
	v_add_f32_e32 v95, v95, v96
	v_fmac_f32_e32 v114, v100, v109
	s_waitcnt vmcnt(2)
	v_fma_f32 v98, v101, v110, -v106
	v_add_f32_e32 v94, v94, v113
	v_add_f32_e32 v95, v95, v97
	v_fmac_f32_e32 v115, v102, v110
	v_add_f32_e32 v94, v94, v114
	v_add_f32_e32 v95, v95, v98
	;; [unrolled: 1-line block ×3, first 2 shown]
	s_waitcnt vmcnt(1)
	v_sub_f32_e32 v95, v111, v95
	s_waitcnt vmcnt(0)
	v_sub_f32_e32 v94, v112, v94
	buffer_store_dword v95, off, s[0:3], 0 offset:328
	buffer_store_dword v94, off, s[0:3], 0 offset:332
	s_and_saveexec_b64 s[4:5], vcc
	s_cbranch_execz .LBB45_209
; %bb.208:
	buffer_load_dword v94, off, s[0:3], 0 offset:320
	buffer_load_dword v95, off, s[0:3], 0 offset:324
	v_mov_b32_e32 v96, 0
	buffer_store_dword v96, off, s[0:3], 0 offset:320
	buffer_store_dword v96, off, s[0:3], 0 offset:324
	s_waitcnt vmcnt(2)
	ds_write_b64 v93, v[94:95]
.LBB45_209:
	s_or_b64 exec, exec, s[4:5]
	s_waitcnt lgkmcnt(0)
	; wave barrier
	buffer_load_dword v105, off, s[0:3], 0 offset:332
	buffer_load_dword v106, off, s[0:3], 0 offset:340
	;; [unrolled: 1-line block ×12, first 2 shown]
	v_mov_b32_e32 v94, 0
	ds_read2_b64 v[95:98], v94 offset0:87 offset1:88
	ds_read2_b64 v[99:102], v94 offset0:89 offset1:90
	ds_read_b64 v[103:104], v94 offset:728
	v_cmp_lt_u32_e32 vcc, 39, v0
	s_waitcnt vmcnt(11) lgkmcnt(2)
	v_mul_f32_e32 v117, v95, v105
	v_mul_f32_e32 v105, v96, v105
	s_waitcnt vmcnt(10)
	v_mul_f32_e32 v118, v97, v106
	v_mul_f32_e32 v106, v98, v106
	s_waitcnt vmcnt(9) lgkmcnt(1)
	v_mul_f32_e32 v119, v99, v107
	s_waitcnt vmcnt(6)
	v_fma_f32 v95, v95, v110, -v105
	v_mul_f32_e32 v107, v100, v107
	v_fmac_f32_e32 v117, v96, v110
	s_waitcnt vmcnt(5)
	v_fma_f32 v96, v97, v111, -v106
	v_add_f32_e32 v95, 0, v95
	v_mul_f32_e32 v120, v101, v108
	v_mul_f32_e32 v108, v102, v108
	v_fmac_f32_e32 v118, v98, v111
	s_waitcnt vmcnt(4)
	v_fmac_f32_e32 v119, v100, v112
	v_fma_f32 v97, v99, v112, -v107
	v_add_f32_e32 v100, 0, v117
	v_add_f32_e32 v95, v95, v96
	s_waitcnt lgkmcnt(0)
	v_mul_f32_e32 v121, v103, v109
	v_mul_f32_e32 v109, v104, v109
	s_waitcnt vmcnt(3)
	v_fma_f32 v98, v101, v113, -v108
	v_add_f32_e32 v100, v100, v118
	v_add_f32_e32 v95, v95, v97
	v_fmac_f32_e32 v120, v102, v113
	s_waitcnt vmcnt(2)
	v_fma_f32 v99, v103, v114, -v109
	v_add_f32_e32 v96, v100, v119
	v_add_f32_e32 v95, v95, v98
	v_fmac_f32_e32 v121, v104, v114
	v_add_f32_e32 v96, v96, v120
	v_add_f32_e32 v95, v95, v99
	;; [unrolled: 1-line block ×3, first 2 shown]
	s_waitcnt vmcnt(1)
	v_sub_f32_e32 v95, v115, v95
	s_waitcnt vmcnt(0)
	v_sub_f32_e32 v96, v116, v96
	buffer_store_dword v95, off, s[0:3], 0 offset:320
	buffer_store_dword v96, off, s[0:3], 0 offset:324
	s_and_saveexec_b64 s[4:5], vcc
	s_cbranch_execz .LBB45_211
; %bb.210:
	buffer_load_dword v95, off, s[0:3], 0 offset:312
	buffer_load_dword v96, off, s[0:3], 0 offset:316
	s_waitcnt vmcnt(0)
	ds_write_b64 v93, v[95:96]
	buffer_store_dword v94, off, s[0:3], 0 offset:312
	buffer_store_dword v94, off, s[0:3], 0 offset:316
.LBB45_211:
	s_or_b64 exec, exec, s[4:5]
	s_waitcnt lgkmcnt(0)
	; wave barrier
	buffer_load_dword v107, off, s[0:3], 0 offset:324
	buffer_load_dword v108, off, s[0:3], 0 offset:332
	;; [unrolled: 1-line block ×14, first 2 shown]
	ds_read_b128 v[95:98], v94 offset:688
	ds_read_b128 v[99:102], v94 offset:704
	;; [unrolled: 1-line block ×3, first 2 shown]
	v_cmp_lt_u32_e32 vcc, 38, v0
	s_waitcnt vmcnt(13) lgkmcnt(2)
	v_mul_f32_e32 v94, v95, v107
	v_mul_f32_e32 v107, v96, v107
	s_waitcnt vmcnt(12)
	v_mul_f32_e32 v121, v97, v108
	v_mul_f32_e32 v108, v98, v108
	s_waitcnt vmcnt(11) lgkmcnt(1)
	v_mul_f32_e32 v122, v99, v109
	v_mul_f32_e32 v109, v100, v109
	s_waitcnt vmcnt(7)
	v_fma_f32 v95, v95, v113, -v107
	v_fmac_f32_e32 v94, v96, v113
	s_waitcnt vmcnt(6)
	v_fma_f32 v96, v97, v114, -v108
	v_add_f32_e32 v95, 0, v95
	v_mul_f32_e32 v123, v101, v110
	v_mul_f32_e32 v110, v102, v110
	v_fmac_f32_e32 v121, v98, v114
	s_waitcnt vmcnt(5)
	v_fma_f32 v97, v99, v115, -v109
	v_add_f32_e32 v94, 0, v94
	v_add_f32_e32 v95, v95, v96
	s_waitcnt lgkmcnt(0)
	v_mul_f32_e32 v124, v103, v111
	v_mul_f32_e32 v111, v104, v111
	v_fmac_f32_e32 v122, v100, v115
	s_waitcnt vmcnt(4)
	v_fma_f32 v98, v101, v116, -v110
	v_add_f32_e32 v94, v94, v121
	v_add_f32_e32 v95, v95, v97
	v_mul_f32_e32 v125, v105, v112
	v_mul_f32_e32 v112, v106, v112
	v_fmac_f32_e32 v123, v102, v116
	s_waitcnt vmcnt(3)
	v_fma_f32 v99, v103, v117, -v111
	v_add_f32_e32 v94, v94, v122
	v_add_f32_e32 v95, v95, v98
	v_fmac_f32_e32 v124, v104, v117
	s_waitcnt vmcnt(2)
	v_fma_f32 v100, v105, v118, -v112
	v_add_f32_e32 v94, v94, v123
	v_add_f32_e32 v95, v95, v99
	v_fmac_f32_e32 v125, v106, v118
	v_add_f32_e32 v94, v94, v124
	v_add_f32_e32 v95, v95, v100
	;; [unrolled: 1-line block ×3, first 2 shown]
	s_waitcnt vmcnt(1)
	v_sub_f32_e32 v95, v119, v95
	s_waitcnt vmcnt(0)
	v_sub_f32_e32 v94, v120, v94
	buffer_store_dword v95, off, s[0:3], 0 offset:312
	buffer_store_dword v94, off, s[0:3], 0 offset:316
	s_and_saveexec_b64 s[4:5], vcc
	s_cbranch_execz .LBB45_213
; %bb.212:
	buffer_load_dword v94, off, s[0:3], 0 offset:304
	buffer_load_dword v95, off, s[0:3], 0 offset:308
	v_mov_b32_e32 v96, 0
	buffer_store_dword v96, off, s[0:3], 0 offset:304
	buffer_store_dword v96, off, s[0:3], 0 offset:308
	s_waitcnt vmcnt(2)
	ds_write_b64 v93, v[94:95]
.LBB45_213:
	s_or_b64 exec, exec, s[4:5]
	v_mov_b32_e32 v94, 0
	s_waitcnt lgkmcnt(0)
	; wave barrier
	ds_read2_b64 v[95:98], v94 offset0:85 offset1:86
	buffer_load_dword v109, off, s[0:3], 0 offset:304
	buffer_load_dword v110, off, s[0:3], 0 offset:308
	;; [unrolled: 1-line block ×16, first 2 shown]
	v_cmp_lt_u32_e32 vcc, 37, v0
	s_waitcnt vmcnt(12) lgkmcnt(0)
	v_mul_f32_e32 v99, v95, v112
	v_fmac_f32_e32 v99, v96, v111
	s_waitcnt vmcnt(10)
	v_mul_f32_e32 v100, v97, v114
	v_add_f32_e32 v99, 0, v99
	v_fmac_f32_e32 v100, v98, v113
	v_add_f32_e32 v103, v99, v100
	ds_read2_b64 v[99:102], v94 offset0:87 offset1:88
	v_mul_f32_e32 v96, v96, v112
	v_fma_f32 v95, v95, v111, -v96
	v_mul_f32_e32 v96, v98, v114
	v_add_f32_e32 v95, 0, v95
	s_waitcnt vmcnt(8) lgkmcnt(0)
	v_mul_f32_e32 v104, v99, v116
	v_fmac_f32_e32 v104, v100, v115
	v_add_f32_e32 v103, v103, v104
	s_waitcnt vmcnt(6)
	v_mul_f32_e32 v104, v101, v118
	v_fmac_f32_e32 v104, v102, v117
	v_add_f32_e32 v107, v103, v104
	ds_read2_b64 v[103:106], v94 offset0:89 offset1:90
	v_fma_f32 v96, v97, v113, -v96
	v_add_f32_e32 v95, v95, v96
	v_mul_f32_e32 v96, v100, v116
	v_fma_f32 v96, v99, v115, -v96
	s_waitcnt vmcnt(4) lgkmcnt(0)
	v_mul_f32_e32 v108, v103, v120
	v_fmac_f32_e32 v108, v104, v119
	v_add_f32_e32 v107, v107, v108
	s_waitcnt vmcnt(2)
	v_mul_f32_e32 v108, v105, v122
	v_fmac_f32_e32 v108, v106, v121
	v_add_f32_e32 v95, v95, v96
	v_mul_f32_e32 v96, v102, v118
	v_add_f32_e32 v125, v107, v108
	ds_read_b64 v[107:108], v94 offset:728
	v_fma_f32 v96, v101, v117, -v96
	v_add_f32_e32 v95, v95, v96
	v_mul_f32_e32 v96, v104, v120
	v_fma_f32 v96, v103, v119, -v96
	v_add_f32_e32 v95, v95, v96
	v_mul_f32_e32 v96, v106, v122
	v_fma_f32 v96, v105, v121, -v96
	v_add_f32_e32 v95, v95, v96
	s_waitcnt vmcnt(0) lgkmcnt(0)
	v_mul_f32_e32 v96, v108, v124
	v_mul_f32_e32 v126, v107, v124
	v_fma_f32 v96, v107, v123, -v96
	v_fmac_f32_e32 v126, v108, v123
	v_add_f32_e32 v95, v95, v96
	v_add_f32_e32 v125, v125, v126
	v_sub_f32_e32 v95, v109, v95
	v_sub_f32_e32 v96, v110, v125
	buffer_store_dword v95, off, s[0:3], 0 offset:304
	buffer_store_dword v96, off, s[0:3], 0 offset:308
	s_and_saveexec_b64 s[4:5], vcc
	s_cbranch_execz .LBB45_215
; %bb.214:
	buffer_load_dword v95, off, s[0:3], 0 offset:296
	buffer_load_dword v96, off, s[0:3], 0 offset:300
	s_waitcnt vmcnt(0)
	ds_write_b64 v93, v[95:96]
	buffer_store_dword v94, off, s[0:3], 0 offset:296
	buffer_store_dword v94, off, s[0:3], 0 offset:300
.LBB45_215:
	s_or_b64 exec, exec, s[4:5]
	s_waitcnt lgkmcnt(0)
	; wave barrier
	buffer_load_dword v111, off, s[0:3], 0 offset:308
	buffer_load_dword v112, off, s[0:3], 0 offset:316
	;; [unrolled: 1-line block ×18, first 2 shown]
	ds_read_b128 v[95:98], v94 offset:672
	ds_read_b128 v[99:102], v94 offset:688
	;; [unrolled: 1-line block ×4, first 2 shown]
	v_cmp_lt_u32_e32 vcc, 36, v0
	s_waitcnt vmcnt(17) lgkmcnt(3)
	v_mul_f32_e32 v94, v95, v111
	v_mul_f32_e32 v111, v96, v111
	s_waitcnt vmcnt(16)
	v_mul_f32_e32 v129, v97, v112
	v_mul_f32_e32 v112, v98, v112
	s_waitcnt vmcnt(15) lgkmcnt(2)
	v_mul_f32_e32 v130, v99, v113
	v_mul_f32_e32 v113, v100, v113
	s_waitcnt vmcnt(14)
	v_mul_f32_e32 v131, v101, v114
	v_mul_f32_e32 v114, v102, v114
	s_waitcnt vmcnt(9)
	v_fma_f32 v95, v95, v119, -v111
	v_fmac_f32_e32 v94, v96, v119
	s_waitcnt vmcnt(8)
	v_fma_f32 v96, v97, v120, -v112
	v_add_f32_e32 v95, 0, v95
	v_fmac_f32_e32 v129, v98, v120
	s_waitcnt vmcnt(7)
	v_fma_f32 v97, v99, v121, -v113
	v_add_f32_e32 v94, 0, v94
	v_add_f32_e32 v95, v95, v96
	s_waitcnt lgkmcnt(1)
	v_mul_f32_e32 v132, v103, v115
	v_mul_f32_e32 v115, v104, v115
	v_fmac_f32_e32 v130, v100, v121
	s_waitcnt vmcnt(6)
	v_fma_f32 v98, v101, v122, -v114
	v_add_f32_e32 v94, v94, v129
	v_add_f32_e32 v95, v95, v97
	v_mul_f32_e32 v133, v105, v116
	v_mul_f32_e32 v116, v106, v116
	v_fmac_f32_e32 v131, v102, v122
	s_waitcnt vmcnt(5)
	v_fma_f32 v99, v103, v123, -v115
	v_add_f32_e32 v94, v94, v130
	v_add_f32_e32 v95, v95, v98
	s_waitcnt lgkmcnt(0)
	v_mul_f32_e32 v134, v107, v117
	v_mul_f32_e32 v117, v108, v117
	v_fmac_f32_e32 v132, v104, v123
	s_waitcnt vmcnt(4)
	v_fma_f32 v100, v105, v124, -v116
	v_add_f32_e32 v94, v94, v131
	v_add_f32_e32 v95, v95, v99
	v_mul_f32_e32 v135, v109, v118
	v_mul_f32_e32 v118, v110, v118
	v_fmac_f32_e32 v133, v106, v124
	s_waitcnt vmcnt(3)
	v_fma_f32 v101, v107, v125, -v117
	v_add_f32_e32 v94, v94, v132
	v_add_f32_e32 v95, v95, v100
	v_fmac_f32_e32 v134, v108, v125
	s_waitcnt vmcnt(2)
	v_fma_f32 v102, v109, v126, -v118
	v_add_f32_e32 v94, v94, v133
	v_add_f32_e32 v95, v95, v101
	v_fmac_f32_e32 v135, v110, v126
	v_add_f32_e32 v94, v94, v134
	v_add_f32_e32 v95, v95, v102
	;; [unrolled: 1-line block ×3, first 2 shown]
	s_waitcnt vmcnt(1)
	v_sub_f32_e32 v95, v127, v95
	s_waitcnt vmcnt(0)
	v_sub_f32_e32 v94, v128, v94
	buffer_store_dword v95, off, s[0:3], 0 offset:296
	buffer_store_dword v94, off, s[0:3], 0 offset:300
	s_and_saveexec_b64 s[4:5], vcc
	s_cbranch_execz .LBB45_217
; %bb.216:
	buffer_load_dword v94, off, s[0:3], 0 offset:288
	buffer_load_dword v95, off, s[0:3], 0 offset:292
	v_mov_b32_e32 v96, 0
	buffer_store_dword v96, off, s[0:3], 0 offset:288
	buffer_store_dword v96, off, s[0:3], 0 offset:292
	s_waitcnt vmcnt(2)
	ds_write_b64 v93, v[94:95]
.LBB45_217:
	s_or_b64 exec, exec, s[4:5]
	s_waitcnt lgkmcnt(0)
	; wave barrier
	buffer_load_dword v113, off, s[0:3], 0 offset:300
	buffer_load_dword v114, off, s[0:3], 0 offset:308
	;; [unrolled: 1-line block ×20, first 2 shown]
	v_mov_b32_e32 v94, 0
	ds_read2_b64 v[95:98], v94 offset0:83 offset1:84
	ds_read2_b64 v[99:102], v94 offset0:85 offset1:86
	;; [unrolled: 1-line block ×4, first 2 shown]
	ds_read_b64 v[111:112], v94 offset:728
	v_cmp_lt_u32_e32 vcc, 35, v0
	s_waitcnt vmcnt(19) lgkmcnt(4)
	v_mul_f32_e32 v133, v95, v113
	v_mul_f32_e32 v113, v96, v113
	s_waitcnt vmcnt(18)
	v_mul_f32_e32 v134, v97, v114
	v_mul_f32_e32 v114, v98, v114
	s_waitcnt vmcnt(17) lgkmcnt(3)
	v_mul_f32_e32 v135, v99, v115
	s_waitcnt vmcnt(15) lgkmcnt(2)
	v_mul_f32_e32 v137, v103, v117
	v_mul_f32_e32 v115, v100, v115
	;; [unrolled: 1-line block ×4, first 2 shown]
	s_waitcnt vmcnt(10)
	v_fma_f32 v95, v95, v122, -v113
	v_fmac_f32_e32 v133, v96, v122
	s_waitcnt vmcnt(9)
	v_fma_f32 v96, v97, v123, -v114
	v_add_f32_e32 v95, 0, v95
	v_mul_f32_e32 v117, v104, v117
	v_fmac_f32_e32 v134, v98, v123
	s_waitcnt vmcnt(6)
	v_fmac_f32_e32 v137, v104, v126
	v_fma_f32 v97, v99, v124, -v115
	v_add_f32_e32 v104, 0, v133
	v_add_f32_e32 v95, v95, v96
	v_fmac_f32_e32 v135, v100, v124
	v_fma_f32 v98, v101, v125, -v116
	v_add_f32_e32 v104, v104, v134
	v_add_f32_e32 v95, v95, v97
	v_mul_f32_e32 v138, v105, v118
	v_mul_f32_e32 v118, v106, v118
	v_fmac_f32_e32 v136, v102, v125
	v_fma_f32 v99, v103, v126, -v117
	v_add_f32_e32 v96, v104, v135
	v_add_f32_e32 v95, v95, v98
	s_waitcnt lgkmcnt(1)
	v_mul_f32_e32 v139, v107, v119
	v_mul_f32_e32 v119, v108, v119
	s_waitcnt vmcnt(5)
	v_fma_f32 v100, v105, v127, -v118
	v_add_f32_e32 v96, v96, v136
	v_add_f32_e32 v95, v95, v99
	v_mul_f32_e32 v140, v109, v120
	v_mul_f32_e32 v120, v110, v120
	v_fmac_f32_e32 v138, v106, v127
	s_waitcnt vmcnt(4)
	v_fma_f32 v101, v107, v128, -v119
	v_add_f32_e32 v96, v96, v137
	v_add_f32_e32 v95, v95, v100
	s_waitcnt lgkmcnt(0)
	v_mul_f32_e32 v141, v111, v121
	v_mul_f32_e32 v121, v112, v121
	v_fmac_f32_e32 v139, v108, v128
	s_waitcnt vmcnt(3)
	v_fma_f32 v102, v109, v129, -v120
	v_add_f32_e32 v96, v96, v138
	v_add_f32_e32 v95, v95, v101
	v_fmac_f32_e32 v140, v110, v129
	s_waitcnt vmcnt(2)
	v_fma_f32 v103, v111, v130, -v121
	v_add_f32_e32 v96, v96, v139
	v_add_f32_e32 v95, v95, v102
	v_fmac_f32_e32 v141, v112, v130
	v_add_f32_e32 v96, v96, v140
	v_add_f32_e32 v95, v95, v103
	;; [unrolled: 1-line block ×3, first 2 shown]
	s_waitcnt vmcnt(1)
	v_sub_f32_e32 v95, v131, v95
	s_waitcnt vmcnt(0)
	v_sub_f32_e32 v96, v132, v96
	buffer_store_dword v95, off, s[0:3], 0 offset:288
	buffer_store_dword v96, off, s[0:3], 0 offset:292
	s_and_saveexec_b64 s[4:5], vcc
	s_cbranch_execz .LBB45_219
; %bb.218:
	buffer_load_dword v95, off, s[0:3], 0 offset:280
	buffer_load_dword v96, off, s[0:3], 0 offset:284
	s_waitcnt vmcnt(0)
	ds_write_b64 v93, v[95:96]
	buffer_store_dword v94, off, s[0:3], 0 offset:280
	buffer_store_dword v94, off, s[0:3], 0 offset:284
.LBB45_219:
	s_or_b64 exec, exec, s[4:5]
	s_waitcnt lgkmcnt(0)
	; wave barrier
	buffer_load_dword v115, off, s[0:3], 0 offset:292
	buffer_load_dword v116, off, s[0:3], 0 offset:300
	;; [unrolled: 1-line block ×22, first 2 shown]
	ds_read_b128 v[95:98], v94 offset:656
	ds_read_b128 v[99:102], v94 offset:672
	;; [unrolled: 1-line block ×5, first 2 shown]
	v_cmp_lt_u32_e32 vcc, 34, v0
	s_waitcnt vmcnt(21) lgkmcnt(4)
	v_mul_f32_e32 v94, v95, v115
	v_mul_f32_e32 v115, v96, v115
	s_waitcnt vmcnt(20)
	v_mul_f32_e32 v137, v97, v116
	v_mul_f32_e32 v116, v98, v116
	s_waitcnt vmcnt(19) lgkmcnt(3)
	v_mul_f32_e32 v138, v99, v117
	v_mul_f32_e32 v117, v100, v117
	s_waitcnt vmcnt(18)
	v_mul_f32_e32 v139, v101, v118
	v_mul_f32_e32 v118, v102, v118
	s_waitcnt vmcnt(17) lgkmcnt(2)
	v_mul_f32_e32 v140, v103, v119
	v_mul_f32_e32 v119, v104, v119
	s_waitcnt vmcnt(11)
	v_fma_f32 v95, v95, v125, -v115
	v_fmac_f32_e32 v94, v96, v125
	s_waitcnt vmcnt(10)
	v_fma_f32 v96, v97, v126, -v116
	v_add_f32_e32 v95, 0, v95
	v_fmac_f32_e32 v137, v98, v126
	s_waitcnt vmcnt(9)
	v_fma_f32 v97, v99, v127, -v117
	v_add_f32_e32 v94, 0, v94
	v_add_f32_e32 v95, v95, v96
	v_fmac_f32_e32 v138, v100, v127
	s_waitcnt vmcnt(8)
	v_fma_f32 v98, v101, v128, -v118
	v_add_f32_e32 v94, v94, v137
	v_add_f32_e32 v95, v95, v97
	v_mul_f32_e32 v141, v105, v120
	v_mul_f32_e32 v120, v106, v120
	v_fmac_f32_e32 v139, v102, v128
	s_waitcnt vmcnt(7)
	v_fma_f32 v99, v103, v129, -v119
	v_add_f32_e32 v94, v94, v138
	v_add_f32_e32 v95, v95, v98
	s_waitcnt lgkmcnt(1)
	v_mul_f32_e32 v142, v107, v121
	v_mul_f32_e32 v121, v108, v121
	v_fmac_f32_e32 v140, v104, v129
	s_waitcnt vmcnt(6)
	v_fma_f32 v100, v105, v130, -v120
	v_add_f32_e32 v94, v94, v139
	v_add_f32_e32 v95, v95, v99
	v_mul_f32_e32 v143, v109, v122
	v_mul_f32_e32 v122, v110, v122
	v_fmac_f32_e32 v141, v106, v130
	s_waitcnt vmcnt(5)
	v_fma_f32 v101, v107, v131, -v121
	v_add_f32_e32 v94, v94, v140
	v_add_f32_e32 v95, v95, v100
	s_waitcnt lgkmcnt(0)
	v_mul_f32_e32 v144, v111, v123
	v_mul_f32_e32 v123, v112, v123
	v_fmac_f32_e32 v142, v108, v131
	s_waitcnt vmcnt(4)
	v_fma_f32 v102, v109, v132, -v122
	v_add_f32_e32 v94, v94, v141
	v_add_f32_e32 v95, v95, v101
	v_mul_f32_e32 v145, v113, v124
	v_mul_f32_e32 v124, v114, v124
	v_fmac_f32_e32 v143, v110, v132
	s_waitcnt vmcnt(3)
	v_fma_f32 v103, v111, v133, -v123
	v_add_f32_e32 v94, v94, v142
	v_add_f32_e32 v95, v95, v102
	v_fmac_f32_e32 v144, v112, v133
	s_waitcnt vmcnt(2)
	v_fma_f32 v104, v113, v134, -v124
	v_add_f32_e32 v94, v94, v143
	v_add_f32_e32 v95, v95, v103
	v_fmac_f32_e32 v145, v114, v134
	v_add_f32_e32 v94, v94, v144
	v_add_f32_e32 v95, v95, v104
	;; [unrolled: 1-line block ×3, first 2 shown]
	s_waitcnt vmcnt(1)
	v_sub_f32_e32 v95, v135, v95
	s_waitcnt vmcnt(0)
	v_sub_f32_e32 v94, v136, v94
	buffer_store_dword v95, off, s[0:3], 0 offset:280
	buffer_store_dword v94, off, s[0:3], 0 offset:284
	s_and_saveexec_b64 s[4:5], vcc
	s_cbranch_execz .LBB45_221
; %bb.220:
	buffer_load_dword v94, off, s[0:3], 0 offset:272
	buffer_load_dword v95, off, s[0:3], 0 offset:276
	v_mov_b32_e32 v96, 0
	buffer_store_dword v96, off, s[0:3], 0 offset:272
	buffer_store_dword v96, off, s[0:3], 0 offset:276
	s_waitcnt vmcnt(2)
	ds_write_b64 v93, v[94:95]
.LBB45_221:
	s_or_b64 exec, exec, s[4:5]
	s_waitcnt lgkmcnt(0)
	; wave barrier
	buffer_load_dword v117, off, s[0:3], 0 offset:284
	buffer_load_dword v118, off, s[0:3], 0 offset:292
	;; [unrolled: 1-line block ×24, first 2 shown]
	v_mov_b32_e32 v94, 0
	ds_read2_b64 v[95:98], v94 offset0:81 offset1:82
	ds_read2_b64 v[99:102], v94 offset0:83 offset1:84
	;; [unrolled: 1-line block ×5, first 2 shown]
	ds_read_b64 v[115:116], v94 offset:728
	v_cmp_lt_u32_e32 vcc, 33, v0
	s_waitcnt vmcnt(23) lgkmcnt(5)
	v_mul_f32_e32 v141, v95, v117
	v_mul_f32_e32 v117, v96, v117
	s_waitcnt vmcnt(22)
	v_mul_f32_e32 v142, v97, v118
	v_mul_f32_e32 v118, v98, v118
	s_waitcnt vmcnt(21) lgkmcnt(4)
	v_mul_f32_e32 v143, v99, v119
	v_mul_f32_e32 v119, v100, v119
	s_waitcnt vmcnt(20)
	v_mul_f32_e32 v144, v101, v120
	s_waitcnt vmcnt(19) lgkmcnt(3)
	v_mul_f32_e32 v145, v103, v121
	v_mul_f32_e32 v120, v102, v120
	;; [unrolled: 1-line block ×3, first 2 shown]
	s_waitcnt vmcnt(18)
	v_mul_f32_e32 v146, v105, v122
	s_waitcnt vmcnt(12)
	v_fma_f32 v95, v95, v128, -v117
	v_fmac_f32_e32 v141, v96, v128
	s_waitcnt vmcnt(11)
	v_fma_f32 v96, v97, v129, -v118
	v_add_f32_e32 v95, 0, v95
	s_waitcnt vmcnt(10)
	v_fma_f32 v97, v99, v130, -v119
	v_add_f32_e32 v95, v95, v96
	v_fmac_f32_e32 v142, v98, v129
	s_waitcnt vmcnt(8)
	v_fmac_f32_e32 v145, v104, v132
	v_fma_f32 v98, v101, v131, -v120
	v_add_f32_e32 v104, 0, v141
	v_add_f32_e32 v95, v95, v97
	v_mul_f32_e32 v122, v106, v122
	v_fmac_f32_e32 v143, v100, v130
	v_fma_f32 v99, v103, v132, -v121
	v_add_f32_e32 v104, v104, v142
	v_add_f32_e32 v95, v95, v98
	s_waitcnt lgkmcnt(2)
	v_mul_f32_e32 v147, v107, v123
	v_mul_f32_e32 v123, v108, v123
	v_fmac_f32_e32 v144, v102, v131
	s_waitcnt vmcnt(7)
	v_fma_f32 v100, v105, v133, -v122
	v_add_f32_e32 v96, v104, v143
	v_add_f32_e32 v95, v95, v99
	v_mul_f32_e32 v148, v109, v124
	v_mul_f32_e32 v124, v110, v124
	s_waitcnt vmcnt(6)
	v_fma_f32 v101, v107, v134, -v123
	v_add_f32_e32 v96, v96, v144
	v_add_f32_e32 v95, v95, v100
	s_waitcnt lgkmcnt(1)
	v_mul_f32_e32 v149, v111, v125
	v_mul_f32_e32 v125, v112, v125
	v_fmac_f32_e32 v146, v106, v133
	s_waitcnt vmcnt(5)
	v_fma_f32 v102, v109, v135, -v124
	v_add_f32_e32 v96, v96, v145
	v_add_f32_e32 v95, v95, v101
	v_fmac_f32_e32 v147, v108, v134
	s_waitcnt vmcnt(4)
	v_fma_f32 v103, v111, v136, -v125
	v_add_f32_e32 v96, v96, v146
	v_add_f32_e32 v95, v95, v102
	v_mul_f32_e32 v97, v114, v126
	v_fmac_f32_e32 v148, v110, v135
	v_add_f32_e32 v96, v96, v147
	v_add_f32_e32 v95, v95, v103
	s_waitcnt vmcnt(3)
	v_fma_f32 v97, v113, v137, -v97
	v_mul_f32_e32 v150, v113, v126
	v_fmac_f32_e32 v149, v112, v136
	v_add_f32_e32 v96, v96, v148
	v_add_f32_e32 v95, v95, v97
	s_waitcnt lgkmcnt(0)
	v_mul_f32_e32 v97, v116, v127
	v_mul_f32_e32 v151, v115, v127
	v_fmac_f32_e32 v150, v114, v137
	v_add_f32_e32 v96, v96, v149
	s_waitcnt vmcnt(2)
	v_fma_f32 v97, v115, v138, -v97
	v_fmac_f32_e32 v151, v116, v138
	v_add_f32_e32 v96, v96, v150
	v_add_f32_e32 v95, v95, v97
	v_add_f32_e32 v96, v96, v151
	s_waitcnt vmcnt(1)
	v_sub_f32_e32 v95, v139, v95
	s_waitcnt vmcnt(0)
	v_sub_f32_e32 v96, v140, v96
	buffer_store_dword v95, off, s[0:3], 0 offset:272
	buffer_store_dword v96, off, s[0:3], 0 offset:276
	s_and_saveexec_b64 s[4:5], vcc
	s_cbranch_execz .LBB45_223
; %bb.222:
	buffer_load_dword v95, off, s[0:3], 0 offset:264
	buffer_load_dword v96, off, s[0:3], 0 offset:268
	s_waitcnt vmcnt(0)
	ds_write_b64 v93, v[95:96]
	buffer_store_dword v94, off, s[0:3], 0 offset:264
	buffer_store_dword v94, off, s[0:3], 0 offset:268
.LBB45_223:
	s_or_b64 exec, exec, s[4:5]
	s_waitcnt lgkmcnt(0)
	; wave barrier
	buffer_load_dword v119, off, s[0:3], 0 offset:276
	buffer_load_dword v120, off, s[0:3], 0 offset:284
	buffer_load_dword v121, off, s[0:3], 0 offset:292
	buffer_load_dword v122, off, s[0:3], 0 offset:300
	buffer_load_dword v123, off, s[0:3], 0 offset:308
	buffer_load_dword v124, off, s[0:3], 0 offset:316
	buffer_load_dword v125, off, s[0:3], 0 offset:324
	buffer_load_dword v126, off, s[0:3], 0 offset:332
	buffer_load_dword v127, off, s[0:3], 0 offset:340
	buffer_load_dword v128, off, s[0:3], 0 offset:348
	buffer_load_dword v129, off, s[0:3], 0 offset:356
	buffer_load_dword v130, off, s[0:3], 0 offset:364
	buffer_load_dword v131, off, s[0:3], 0 offset:272
	buffer_load_dword v132, off, s[0:3], 0 offset:280
	buffer_load_dword v133, off, s[0:3], 0 offset:288
	buffer_load_dword v134, off, s[0:3], 0 offset:296
	buffer_load_dword v135, off, s[0:3], 0 offset:304
	buffer_load_dword v136, off, s[0:3], 0 offset:312
	buffer_load_dword v137, off, s[0:3], 0 offset:320
	buffer_load_dword v138, off, s[0:3], 0 offset:328
	buffer_load_dword v139, off, s[0:3], 0 offset:336
	buffer_load_dword v140, off, s[0:3], 0 offset:344
	buffer_load_dword v141, off, s[0:3], 0 offset:352
	buffer_load_dword v142, off, s[0:3], 0 offset:360
	buffer_load_dword v143, off, s[0:3], 0 offset:264
	buffer_load_dword v144, off, s[0:3], 0 offset:268
	ds_read_b128 v[95:98], v94 offset:640
	ds_read_b128 v[99:102], v94 offset:656
	;; [unrolled: 1-line block ×6, first 2 shown]
	v_cmp_lt_u32_e32 vcc, 32, v0
	s_waitcnt vmcnt(25) lgkmcnt(5)
	v_mul_f32_e32 v94, v95, v119
	v_mul_f32_e32 v119, v96, v119
	s_waitcnt vmcnt(24)
	v_mul_f32_e32 v145, v97, v120
	v_mul_f32_e32 v120, v98, v120
	s_waitcnt vmcnt(23) lgkmcnt(4)
	v_mul_f32_e32 v146, v99, v121
	v_mul_f32_e32 v121, v100, v121
	s_waitcnt vmcnt(22)
	v_mul_f32_e32 v147, v101, v122
	v_mul_f32_e32 v122, v102, v122
	s_waitcnt vmcnt(21) lgkmcnt(3)
	v_mul_f32_e32 v148, v103, v123
	v_mul_f32_e32 v123, v104, v123
	s_waitcnt vmcnt(20)
	v_mul_f32_e32 v149, v105, v124
	v_mul_f32_e32 v124, v106, v124
	s_waitcnt vmcnt(13)
	v_fma_f32 v95, v95, v131, -v119
	v_fmac_f32_e32 v94, v96, v131
	s_waitcnt vmcnt(12)
	v_fma_f32 v96, v97, v132, -v120
	v_add_f32_e32 v95, 0, v95
	s_waitcnt vmcnt(11)
	v_fma_f32 v97, v99, v133, -v121
	v_add_f32_e32 v95, v95, v96
	v_fmac_f32_e32 v145, v98, v132
	s_waitcnt vmcnt(10)
	v_fma_f32 v98, v101, v134, -v122
	v_add_f32_e32 v95, v95, v97
	s_waitcnt vmcnt(9)
	v_fma_f32 v99, v103, v135, -v123
	v_add_f32_e32 v95, v95, v98
	s_waitcnt lgkmcnt(2)
	v_mul_f32_e32 v150, v107, v125
	v_mul_f32_e32 v125, v108, v125
	v_fmac_f32_e32 v146, v100, v133
	s_waitcnt vmcnt(8)
	v_fma_f32 v100, v105, v136, -v124
	v_add_f32_e32 v94, 0, v94
	v_add_f32_e32 v95, v95, v99
	v_mul_f32_e32 v151, v109, v126
	v_mul_f32_e32 v126, v110, v126
	s_waitcnt vmcnt(7)
	v_fma_f32 v101, v107, v137, -v125
	v_add_f32_e32 v94, v94, v145
	v_add_f32_e32 v95, v95, v100
	v_fmac_f32_e32 v147, v102, v134
	s_waitcnt vmcnt(6)
	v_fma_f32 v102, v109, v138, -v126
	v_add_f32_e32 v94, v94, v146
	v_add_f32_e32 v95, v95, v101
	s_waitcnt lgkmcnt(1)
	v_mul_f32_e32 v96, v112, v127
	v_fmac_f32_e32 v148, v104, v135
	v_add_f32_e32 v94, v94, v147
	v_add_f32_e32 v95, v95, v102
	s_waitcnt vmcnt(5)
	v_fma_f32 v96, v111, v139, -v96
	v_fmac_f32_e32 v149, v106, v136
	v_add_f32_e32 v94, v94, v148
	v_add_f32_e32 v95, v95, v96
	v_mul_f32_e32 v96, v114, v128
	v_fmac_f32_e32 v150, v108, v137
	v_add_f32_e32 v94, v94, v149
	s_waitcnt vmcnt(4)
	v_fma_f32 v96, v113, v140, -v96
	v_mul_f32_e32 v152, v111, v127
	v_fmac_f32_e32 v151, v110, v138
	v_add_f32_e32 v94, v94, v150
	v_add_f32_e32 v95, v95, v96
	s_waitcnt lgkmcnt(0)
	v_mul_f32_e32 v96, v116, v129
	v_mul_f32_e32 v153, v113, v128
	v_fmac_f32_e32 v152, v112, v139
	v_add_f32_e32 v94, v94, v151
	s_waitcnt vmcnt(3)
	v_fma_f32 v96, v115, v141, -v96
	v_mul_f32_e32 v154, v115, v129
	v_fmac_f32_e32 v153, v114, v140
	v_add_f32_e32 v94, v94, v152
	v_add_f32_e32 v95, v95, v96
	v_mul_f32_e32 v96, v118, v130
	v_mul_f32_e32 v155, v117, v130
	v_fmac_f32_e32 v154, v116, v141
	v_add_f32_e32 v94, v94, v153
	s_waitcnt vmcnt(2)
	v_fma_f32 v96, v117, v142, -v96
	v_fmac_f32_e32 v155, v118, v142
	v_add_f32_e32 v94, v94, v154
	v_add_f32_e32 v95, v95, v96
	;; [unrolled: 1-line block ×3, first 2 shown]
	s_waitcnt vmcnt(1)
	v_sub_f32_e32 v95, v143, v95
	s_waitcnt vmcnt(0)
	v_sub_f32_e32 v94, v144, v94
	buffer_store_dword v95, off, s[0:3], 0 offset:264
	buffer_store_dword v94, off, s[0:3], 0 offset:268
	s_and_saveexec_b64 s[4:5], vcc
	s_cbranch_execz .LBB45_225
; %bb.224:
	buffer_load_dword v94, off, s[0:3], 0 offset:256
	buffer_load_dword v95, off, s[0:3], 0 offset:260
	v_mov_b32_e32 v96, 0
	buffer_store_dword v96, off, s[0:3], 0 offset:256
	buffer_store_dword v96, off, s[0:3], 0 offset:260
	s_waitcnt vmcnt(2)
	ds_write_b64 v93, v[94:95]
.LBB45_225:
	s_or_b64 exec, exec, s[4:5]
	s_waitcnt lgkmcnt(0)
	; wave barrier
	buffer_load_dword v121, off, s[0:3], 0 offset:268
	buffer_load_dword v122, off, s[0:3], 0 offset:276
	;; [unrolled: 1-line block ×28, first 2 shown]
	v_mov_b32_e32 v94, 0
	ds_read2_b64 v[95:98], v94 offset0:79 offset1:80
	ds_read2_b64 v[99:102], v94 offset0:81 offset1:82
	ds_read2_b64 v[103:106], v94 offset0:83 offset1:84
	ds_read2_b64 v[107:110], v94 offset0:85 offset1:86
	ds_read2_b64 v[111:114], v94 offset0:87 offset1:88
	ds_read2_b64 v[115:118], v94 offset0:89 offset1:90
	ds_read_b64 v[119:120], v94 offset:728
	v_cmp_lt_u32_e32 vcc, 31, v0
	s_waitcnt vmcnt(27) lgkmcnt(6)
	v_mul_f32_e32 v149, v95, v121
	v_mul_f32_e32 v121, v96, v121
	s_waitcnt vmcnt(26)
	v_mul_f32_e32 v150, v97, v122
	v_mul_f32_e32 v122, v98, v122
	s_waitcnt vmcnt(25) lgkmcnt(5)
	v_mul_f32_e32 v151, v99, v123
	v_mul_f32_e32 v123, v100, v123
	s_waitcnt vmcnt(24)
	v_mul_f32_e32 v152, v101, v124
	v_mul_f32_e32 v124, v102, v124
	;; [unrolled: 6-line block ×3, first 2 shown]
	s_waitcnt vmcnt(21) lgkmcnt(3)
	v_mul_f32_e32 v155, v107, v127
	s_waitcnt vmcnt(14)
	v_fma_f32 v95, v95, v134, -v121
	v_fmac_f32_e32 v149, v96, v134
	s_waitcnt vmcnt(13)
	v_fma_f32 v96, v97, v135, -v122
	v_add_f32_e32 v95, 0, v95
	s_waitcnt vmcnt(12)
	v_fma_f32 v97, v99, v136, -v123
	v_add_f32_e32 v95, v95, v96
	v_fmac_f32_e32 v150, v98, v135
	s_waitcnt vmcnt(11)
	v_fma_f32 v98, v101, v137, -v124
	v_add_f32_e32 v95, v95, v97
	s_waitcnt vmcnt(10)
	v_fma_f32 v99, v103, v138, -v125
	v_add_f32_e32 v95, v95, v98
	v_fmac_f32_e32 v151, v100, v136
	s_waitcnt vmcnt(9)
	v_fma_f32 v100, v105, v139, -v126
	v_add_f32_e32 v95, v95, v99
	v_mul_f32_e32 v97, v108, v127
	v_add_f32_e32 v95, v95, v100
	s_waitcnt vmcnt(8)
	v_fma_f32 v97, v107, v140, -v97
	v_add_f32_e32 v95, v95, v97
	v_mul_f32_e32 v97, v110, v128
	v_add_f32_e32 v101, 0, v149
	s_waitcnt vmcnt(7)
	v_fma_f32 v97, v109, v141, -v97
	v_add_f32_e32 v101, v101, v150
	v_add_f32_e32 v95, v95, v97
	s_waitcnt lgkmcnt(2)
	v_mul_f32_e32 v97, v112, v129
	v_fmac_f32_e32 v152, v102, v137
	v_add_f32_e32 v96, v101, v151
	s_waitcnt vmcnt(6)
	v_fma_f32 v97, v111, v142, -v97
	v_fmac_f32_e32 v153, v104, v138
	v_add_f32_e32 v96, v96, v152
	v_add_f32_e32 v95, v95, v97
	v_mul_f32_e32 v97, v114, v130
	v_fmac_f32_e32 v154, v106, v139
	v_add_f32_e32 v96, v96, v153
	s_waitcnt vmcnt(5)
	v_fma_f32 v97, v113, v143, -v97
	v_mul_f32_e32 v156, v109, v128
	v_fmac_f32_e32 v155, v108, v140
	v_add_f32_e32 v96, v96, v154
	v_add_f32_e32 v95, v95, v97
	s_waitcnt lgkmcnt(1)
	v_mul_f32_e32 v97, v116, v131
	v_mul_f32_e32 v157, v111, v129
	v_fmac_f32_e32 v156, v110, v141
	v_add_f32_e32 v96, v96, v155
	s_waitcnt vmcnt(4)
	v_fma_f32 v97, v115, v144, -v97
	v_mul_f32_e32 v158, v113, v130
	v_fmac_f32_e32 v157, v112, v142
	v_add_f32_e32 v96, v96, v156
	v_add_f32_e32 v95, v95, v97
	v_mul_f32_e32 v97, v118, v132
	v_mul_f32_e32 v159, v115, v131
	v_fmac_f32_e32 v158, v114, v143
	v_add_f32_e32 v96, v96, v157
	s_waitcnt vmcnt(3)
	v_fma_f32 v97, v117, v145, -v97
	v_mul_f32_e32 v160, v117, v132
	v_fmac_f32_e32 v159, v116, v144
	v_add_f32_e32 v96, v96, v158
	v_add_f32_e32 v95, v95, v97
	s_waitcnt lgkmcnt(0)
	v_mul_f32_e32 v97, v120, v133
	v_mul_f32_e32 v161, v119, v133
	v_fmac_f32_e32 v160, v118, v145
	v_add_f32_e32 v96, v96, v159
	s_waitcnt vmcnt(2)
	v_fma_f32 v97, v119, v146, -v97
	v_fmac_f32_e32 v161, v120, v146
	v_add_f32_e32 v96, v96, v160
	v_add_f32_e32 v95, v95, v97
	;; [unrolled: 1-line block ×3, first 2 shown]
	s_waitcnt vmcnt(1)
	v_sub_f32_e32 v95, v147, v95
	s_waitcnt vmcnt(0)
	v_sub_f32_e32 v96, v148, v96
	buffer_store_dword v95, off, s[0:3], 0 offset:256
	buffer_store_dword v96, off, s[0:3], 0 offset:260
	s_and_saveexec_b64 s[4:5], vcc
	s_cbranch_execz .LBB45_227
; %bb.226:
	buffer_load_dword v95, off, s[0:3], 0 offset:248
	buffer_load_dword v96, off, s[0:3], 0 offset:252
	s_waitcnt vmcnt(0)
	ds_write_b64 v93, v[95:96]
	buffer_store_dword v94, off, s[0:3], 0 offset:248
	buffer_store_dword v94, off, s[0:3], 0 offset:252
.LBB45_227:
	s_or_b64 exec, exec, s[4:5]
	s_waitcnt lgkmcnt(0)
	; wave barrier
	buffer_load_dword v123, off, s[0:3], 0 offset:260
	buffer_load_dword v124, off, s[0:3], 0 offset:268
	buffer_load_dword v125, off, s[0:3], 0 offset:276
	buffer_load_dword v126, off, s[0:3], 0 offset:284
	buffer_load_dword v127, off, s[0:3], 0 offset:292
	buffer_load_dword v128, off, s[0:3], 0 offset:300
	buffer_load_dword v129, off, s[0:3], 0 offset:308
	buffer_load_dword v130, off, s[0:3], 0 offset:316
	buffer_load_dword v131, off, s[0:3], 0 offset:324
	buffer_load_dword v132, off, s[0:3], 0 offset:332
	buffer_load_dword v133, off, s[0:3], 0 offset:340
	buffer_load_dword v134, off, s[0:3], 0 offset:348
	buffer_load_dword v135, off, s[0:3], 0 offset:356
	buffer_load_dword v136, off, s[0:3], 0 offset:364
	buffer_load_dword v137, off, s[0:3], 0 offset:256
	buffer_load_dword v138, off, s[0:3], 0 offset:264
	buffer_load_dword v139, off, s[0:3], 0 offset:272
	buffer_load_dword v140, off, s[0:3], 0 offset:280
	buffer_load_dword v141, off, s[0:3], 0 offset:288
	buffer_load_dword v142, off, s[0:3], 0 offset:296
	buffer_load_dword v143, off, s[0:3], 0 offset:304
	buffer_load_dword v144, off, s[0:3], 0 offset:312
	buffer_load_dword v145, off, s[0:3], 0 offset:320
	buffer_load_dword v146, off, s[0:3], 0 offset:328
	buffer_load_dword v147, off, s[0:3], 0 offset:336
	buffer_load_dword v148, off, s[0:3], 0 offset:344
	buffer_load_dword v149, off, s[0:3], 0 offset:352
	buffer_load_dword v150, off, s[0:3], 0 offset:360
	buffer_load_dword v151, off, s[0:3], 0 offset:248
	buffer_load_dword v152, off, s[0:3], 0 offset:252
	ds_read_b128 v[95:98], v94 offset:624
	ds_read_b128 v[99:102], v94 offset:640
	;; [unrolled: 1-line block ×7, first 2 shown]
	v_cmp_lt_u32_e32 vcc, 30, v0
	s_waitcnt vmcnt(29) lgkmcnt(6)
	v_mul_f32_e32 v94, v95, v123
	v_mul_f32_e32 v123, v96, v123
	s_waitcnt vmcnt(28)
	v_mul_f32_e32 v153, v97, v124
	v_mul_f32_e32 v124, v98, v124
	s_waitcnt vmcnt(27) lgkmcnt(5)
	v_mul_f32_e32 v154, v99, v125
	v_mul_f32_e32 v125, v100, v125
	s_waitcnt vmcnt(26)
	v_mul_f32_e32 v155, v101, v126
	v_mul_f32_e32 v126, v102, v126
	s_waitcnt vmcnt(25) lgkmcnt(4)
	v_mul_f32_e32 v156, v103, v127
	v_mul_f32_e32 v127, v104, v127
	s_waitcnt vmcnt(24)
	v_mul_f32_e32 v157, v105, v128
	s_waitcnt vmcnt(23) lgkmcnt(3)
	v_mul_f32_e32 v158, v107, v129
	s_waitcnt vmcnt(22)
	v_mul_f32_e32 v159, v109, v130
	s_waitcnt vmcnt(21) lgkmcnt(2)
	v_mul_f32_e32 v160, v111, v131
	s_waitcnt vmcnt(15)
	v_fma_f32 v95, v95, v137, -v123
	v_fmac_f32_e32 v94, v96, v137
	s_waitcnt vmcnt(14)
	v_fma_f32 v96, v97, v138, -v124
	v_add_f32_e32 v95, 0, v95
	s_waitcnt vmcnt(13)
	v_fma_f32 v97, v99, v139, -v125
	v_add_f32_e32 v95, v95, v96
	v_fmac_f32_e32 v153, v98, v138
	s_waitcnt vmcnt(12)
	v_fma_f32 v98, v101, v140, -v126
	v_add_f32_e32 v95, v95, v97
	s_waitcnt vmcnt(11)
	v_fma_f32 v99, v103, v141, -v127
	v_add_f32_e32 v95, v95, v98
	v_mul_f32_e32 v96, v106, v128
	v_add_f32_e32 v95, v95, v99
	s_waitcnt vmcnt(10)
	v_fma_f32 v96, v105, v142, -v96
	v_add_f32_e32 v95, v95, v96
	v_mul_f32_e32 v96, v108, v129
	s_waitcnt vmcnt(9)
	v_fma_f32 v96, v107, v143, -v96
	v_add_f32_e32 v95, v95, v96
	v_mul_f32_e32 v96, v110, v130
	s_waitcnt vmcnt(8)
	v_fma_f32 v96, v109, v144, -v96
	v_add_f32_e32 v94, 0, v94
	v_add_f32_e32 v95, v95, v96
	v_mul_f32_e32 v96, v112, v131
	v_fmac_f32_e32 v154, v100, v139
	v_add_f32_e32 v94, v94, v153
	s_waitcnt vmcnt(7)
	v_fma_f32 v96, v111, v145, -v96
	v_fmac_f32_e32 v155, v102, v140
	v_add_f32_e32 v94, v94, v154
	v_add_f32_e32 v95, v95, v96
	v_mul_f32_e32 v96, v114, v132
	v_fmac_f32_e32 v156, v104, v141
	v_add_f32_e32 v94, v94, v155
	s_waitcnt vmcnt(6)
	v_fma_f32 v96, v113, v146, -v96
	v_fmac_f32_e32 v157, v106, v142
	v_add_f32_e32 v94, v94, v156
	v_add_f32_e32 v95, v95, v96
	s_waitcnt lgkmcnt(1)
	v_mul_f32_e32 v96, v116, v133
	v_fmac_f32_e32 v158, v108, v143
	v_add_f32_e32 v94, v94, v157
	s_waitcnt vmcnt(5)
	v_fma_f32 v96, v115, v147, -v96
	v_fmac_f32_e32 v159, v110, v144
	v_add_f32_e32 v94, v94, v158
	v_add_f32_e32 v95, v95, v96
	v_mul_f32_e32 v96, v118, v134
	v_mul_f32_e32 v161, v113, v132
	v_fmac_f32_e32 v160, v112, v145
	v_add_f32_e32 v94, v94, v159
	s_waitcnt vmcnt(4)
	v_fma_f32 v96, v117, v148, -v96
	v_mul_f32_e32 v162, v115, v133
	v_fmac_f32_e32 v161, v114, v146
	v_add_f32_e32 v94, v94, v160
	v_add_f32_e32 v95, v95, v96
	s_waitcnt lgkmcnt(0)
	v_mul_f32_e32 v96, v120, v135
	v_mul_f32_e32 v163, v117, v134
	v_fmac_f32_e32 v162, v116, v147
	v_add_f32_e32 v94, v94, v161
	s_waitcnt vmcnt(3)
	v_fma_f32 v96, v119, v149, -v96
	v_mul_f32_e32 v164, v119, v135
	v_fmac_f32_e32 v163, v118, v148
	v_add_f32_e32 v94, v94, v162
	v_add_f32_e32 v95, v95, v96
	v_mul_f32_e32 v96, v122, v136
	v_mul_f32_e32 v165, v121, v136
	v_fmac_f32_e32 v164, v120, v149
	v_add_f32_e32 v94, v94, v163
	s_waitcnt vmcnt(2)
	v_fma_f32 v96, v121, v150, -v96
	v_fmac_f32_e32 v165, v122, v150
	v_add_f32_e32 v94, v94, v164
	v_add_f32_e32 v95, v95, v96
	;; [unrolled: 1-line block ×3, first 2 shown]
	s_waitcnt vmcnt(1)
	v_sub_f32_e32 v95, v151, v95
	s_waitcnt vmcnt(0)
	v_sub_f32_e32 v94, v152, v94
	buffer_store_dword v95, off, s[0:3], 0 offset:248
	buffer_store_dword v94, off, s[0:3], 0 offset:252
	s_and_saveexec_b64 s[4:5], vcc
	s_cbranch_execz .LBB45_229
; %bb.228:
	buffer_load_dword v94, off, s[0:3], 0 offset:240
	buffer_load_dword v95, off, s[0:3], 0 offset:244
	v_mov_b32_e32 v96, 0
	buffer_store_dword v96, off, s[0:3], 0 offset:240
	buffer_store_dword v96, off, s[0:3], 0 offset:244
	s_waitcnt vmcnt(2)
	ds_write_b64 v93, v[94:95]
.LBB45_229:
	s_or_b64 exec, exec, s[4:5]
	s_waitcnt lgkmcnt(0)
	; wave barrier
	buffer_load_dword v125, off, s[0:3], 0 offset:252
	buffer_load_dword v126, off, s[0:3], 0 offset:260
	;; [unrolled: 1-line block ×32, first 2 shown]
	v_mov_b32_e32 v94, 0
	ds_read2_b64 v[95:98], v94 offset0:77 offset1:78
	ds_read2_b64 v[99:102], v94 offset0:79 offset1:80
	;; [unrolled: 1-line block ×7, first 2 shown]
	ds_read_b64 v[123:124], v94 offset:728
	v_cmp_lt_u32_e32 vcc, 29, v0
	s_waitcnt vmcnt(31) lgkmcnt(7)
	v_mul_f32_e32 v157, v95, v125
	v_mul_f32_e32 v125, v96, v125
	s_waitcnt vmcnt(30)
	v_mul_f32_e32 v158, v97, v126
	v_mul_f32_e32 v126, v98, v126
	s_waitcnt vmcnt(29) lgkmcnt(6)
	v_mul_f32_e32 v159, v99, v127
	v_mul_f32_e32 v127, v100, v127
	s_waitcnt vmcnt(28)
	v_mul_f32_e32 v160, v101, v128
	s_waitcnt vmcnt(27) lgkmcnt(5)
	v_mul_f32_e32 v161, v103, v129
	s_waitcnt vmcnt(26)
	v_mul_f32_e32 v162, v105, v130
	s_waitcnt vmcnt(25) lgkmcnt(4)
	;; [unrolled: 4-line block ×4, first 2 shown]
	v_mul_f32_e32 v167, v115, v135
	s_waitcnt vmcnt(20)
	v_mul_f32_e32 v168, v117, v136
	s_waitcnt vmcnt(16)
	v_fma_f32 v95, v95, v140, -v125
	v_fmac_f32_e32 v157, v96, v140
	s_waitcnt vmcnt(15)
	v_fma_f32 v96, v97, v141, -v126
	v_add_f32_e32 v95, 0, v95
	s_waitcnt vmcnt(14)
	v_fma_f32 v97, v99, v142, -v127
	v_add_f32_e32 v95, v95, v96
	v_add_f32_e32 v95, v95, v97
	v_mul_f32_e32 v97, v102, v128
	s_waitcnt vmcnt(13)
	v_fma_f32 v97, v101, v143, -v97
	v_add_f32_e32 v95, v95, v97
	v_mul_f32_e32 v97, v104, v129
	s_waitcnt vmcnt(12)
	v_fma_f32 v97, v103, v144, -v97
	v_add_f32_e32 v95, v95, v97
	v_mul_f32_e32 v97, v106, v130
	s_waitcnt vmcnt(11)
	v_fma_f32 v97, v105, v145, -v97
	v_add_f32_e32 v95, v95, v97
	v_mul_f32_e32 v97, v108, v131
	s_waitcnt vmcnt(10)
	v_fma_f32 v97, v107, v146, -v97
	v_add_f32_e32 v95, v95, v97
	v_mul_f32_e32 v97, v110, v132
	s_waitcnt vmcnt(9)
	v_fma_f32 v97, v109, v147, -v97
	v_add_f32_e32 v95, v95, v97
	v_mul_f32_e32 v97, v112, v133
	v_fmac_f32_e32 v158, v98, v141
	v_add_f32_e32 v98, 0, v157
	s_waitcnt vmcnt(8)
	v_fma_f32 v97, v111, v148, -v97
	v_fmac_f32_e32 v159, v100, v142
	v_add_f32_e32 v98, v98, v158
	v_add_f32_e32 v95, v95, v97
	v_mul_f32_e32 v97, v114, v134
	v_fmac_f32_e32 v160, v102, v143
	v_add_f32_e32 v96, v98, v159
	s_waitcnt vmcnt(7)
	v_fma_f32 v97, v113, v149, -v97
	v_fmac_f32_e32 v161, v104, v144
	v_add_f32_e32 v96, v96, v160
	;; [unrolled: 8-line block ×4, first 2 shown]
	v_add_f32_e32 v95, v95, v97
	s_waitcnt lgkmcnt(1)
	v_mul_f32_e32 v97, v120, v137
	v_fmac_f32_e32 v166, v114, v149
	v_add_f32_e32 v96, v96, v165
	s_waitcnt vmcnt(4)
	v_fma_f32 v97, v119, v152, -v97
	v_fmac_f32_e32 v167, v116, v150
	v_add_f32_e32 v96, v96, v166
	v_add_f32_e32 v95, v95, v97
	v_mul_f32_e32 v97, v122, v138
	v_mul_f32_e32 v169, v119, v137
	v_fmac_f32_e32 v168, v118, v151
	v_add_f32_e32 v96, v96, v167
	s_waitcnt vmcnt(3)
	v_fma_f32 v97, v121, v153, -v97
	v_mul_f32_e32 v170, v121, v138
	v_fmac_f32_e32 v169, v120, v152
	v_add_f32_e32 v96, v96, v168
	v_add_f32_e32 v95, v95, v97
	s_waitcnt lgkmcnt(0)
	v_mul_f32_e32 v97, v124, v139
	v_mul_f32_e32 v171, v123, v139
	v_fmac_f32_e32 v170, v122, v153
	v_add_f32_e32 v96, v96, v169
	s_waitcnt vmcnt(2)
	v_fma_f32 v97, v123, v154, -v97
	v_fmac_f32_e32 v171, v124, v154
	v_add_f32_e32 v96, v96, v170
	v_add_f32_e32 v95, v95, v97
	;; [unrolled: 1-line block ×3, first 2 shown]
	s_waitcnt vmcnt(1)
	v_sub_f32_e32 v95, v155, v95
	s_waitcnt vmcnt(0)
	v_sub_f32_e32 v96, v156, v96
	buffer_store_dword v95, off, s[0:3], 0 offset:240
	buffer_store_dword v96, off, s[0:3], 0 offset:244
	s_and_saveexec_b64 s[4:5], vcc
	s_cbranch_execz .LBB45_231
; %bb.230:
	buffer_load_dword v95, off, s[0:3], 0 offset:232
	buffer_load_dword v96, off, s[0:3], 0 offset:236
	s_waitcnt vmcnt(0)
	ds_write_b64 v93, v[95:96]
	buffer_store_dword v94, off, s[0:3], 0 offset:232
	buffer_store_dword v94, off, s[0:3], 0 offset:236
.LBB45_231:
	s_or_b64 exec, exec, s[4:5]
	s_waitcnt lgkmcnt(0)
	; wave barrier
	buffer_load_dword v127, off, s[0:3], 0 offset:244
	buffer_load_dword v128, off, s[0:3], 0 offset:252
	buffer_load_dword v129, off, s[0:3], 0 offset:260
	buffer_load_dword v130, off, s[0:3], 0 offset:268
	buffer_load_dword v131, off, s[0:3], 0 offset:276
	buffer_load_dword v132, off, s[0:3], 0 offset:284
	buffer_load_dword v133, off, s[0:3], 0 offset:292
	buffer_load_dword v134, off, s[0:3], 0 offset:300
	buffer_load_dword v135, off, s[0:3], 0 offset:308
	buffer_load_dword v136, off, s[0:3], 0 offset:316
	buffer_load_dword v137, off, s[0:3], 0 offset:324
	buffer_load_dword v138, off, s[0:3], 0 offset:332
	buffer_load_dword v139, off, s[0:3], 0 offset:340
	buffer_load_dword v140, off, s[0:3], 0 offset:348
	buffer_load_dword v141, off, s[0:3], 0 offset:356
	buffer_load_dword v142, off, s[0:3], 0 offset:364
	buffer_load_dword v143, off, s[0:3], 0 offset:240
	buffer_load_dword v144, off, s[0:3], 0 offset:248
	buffer_load_dword v145, off, s[0:3], 0 offset:256
	buffer_load_dword v146, off, s[0:3], 0 offset:264
	buffer_load_dword v147, off, s[0:3], 0 offset:272
	buffer_load_dword v148, off, s[0:3], 0 offset:280
	buffer_load_dword v149, off, s[0:3], 0 offset:288
	buffer_load_dword v150, off, s[0:3], 0 offset:296
	buffer_load_dword v151, off, s[0:3], 0 offset:304
	buffer_load_dword v152, off, s[0:3], 0 offset:312
	buffer_load_dword v153, off, s[0:3], 0 offset:320
	buffer_load_dword v154, off, s[0:3], 0 offset:328
	buffer_load_dword v155, off, s[0:3], 0 offset:336
	buffer_load_dword v156, off, s[0:3], 0 offset:344
	buffer_load_dword v157, off, s[0:3], 0 offset:352
	buffer_load_dword v158, off, s[0:3], 0 offset:360
	buffer_load_dword v159, off, s[0:3], 0 offset:232
	buffer_load_dword v160, off, s[0:3], 0 offset:236
	ds_read_b128 v[95:98], v94 offset:608
	ds_read_b128 v[99:102], v94 offset:624
	;; [unrolled: 1-line block ×8, first 2 shown]
	v_cmp_lt_u32_e32 vcc, 28, v0
	s_waitcnt vmcnt(33) lgkmcnt(7)
	v_mul_f32_e32 v94, v95, v127
	v_mul_f32_e32 v127, v96, v127
	s_waitcnt vmcnt(32)
	v_mul_f32_e32 v161, v97, v128
	v_mul_f32_e32 v128, v98, v128
	s_waitcnt vmcnt(31) lgkmcnt(6)
	v_mul_f32_e32 v162, v99, v129
	s_waitcnt vmcnt(30)
	v_mul_f32_e32 v163, v101, v130
	s_waitcnt vmcnt(29) lgkmcnt(5)
	v_mul_f32_e32 v164, v103, v131
	s_waitcnt vmcnt(28)
	;; [unrolled: 4-line block ×6, first 2 shown]
	v_mul_f32_e32 v173, v121, v140
	s_waitcnt vmcnt(17)
	v_fma_f32 v95, v95, v143, -v127
	v_fmac_f32_e32 v94, v96, v143
	s_waitcnt vmcnt(16)
	v_fma_f32 v96, v97, v144, -v128
	v_add_f32_e32 v95, 0, v95
	v_add_f32_e32 v95, v95, v96
	v_mul_f32_e32 v96, v100, v129
	s_waitcnt vmcnt(15)
	v_fma_f32 v96, v99, v145, -v96
	v_add_f32_e32 v95, v95, v96
	v_mul_f32_e32 v96, v102, v130
	s_waitcnt vmcnt(14)
	v_fma_f32 v96, v101, v146, -v96
	;; [unrolled: 4-line block ×7, first 2 shown]
	v_fmac_f32_e32 v161, v98, v144
	v_add_f32_e32 v94, 0, v94
	v_add_f32_e32 v95, v95, v96
	v_mul_f32_e32 v96, v114, v136
	v_fmac_f32_e32 v162, v100, v145
	v_add_f32_e32 v94, v94, v161
	s_waitcnt vmcnt(8)
	v_fma_f32 v96, v113, v152, -v96
	v_fmac_f32_e32 v163, v102, v146
	v_add_f32_e32 v94, v94, v162
	v_add_f32_e32 v95, v95, v96
	v_mul_f32_e32 v96, v116, v137
	v_fmac_f32_e32 v164, v104, v147
	v_add_f32_e32 v94, v94, v163
	s_waitcnt vmcnt(7)
	v_fma_f32 v96, v115, v153, -v96
	;; [unrolled: 8-line block ×5, first 2 shown]
	v_fmac_f32_e32 v171, v118, v154
	v_add_f32_e32 v94, v94, v170
	v_add_f32_e32 v95, v95, v96
	s_waitcnt lgkmcnt(0)
	v_mul_f32_e32 v96, v124, v141
	v_fmac_f32_e32 v172, v120, v155
	v_add_f32_e32 v94, v94, v171
	s_waitcnt vmcnt(3)
	v_fma_f32 v96, v123, v157, -v96
	v_mul_f32_e32 v174, v123, v141
	v_fmac_f32_e32 v173, v122, v156
	v_add_f32_e32 v94, v94, v172
	v_add_f32_e32 v95, v95, v96
	v_mul_f32_e32 v96, v126, v142
	v_mul_f32_e32 v175, v125, v142
	v_fmac_f32_e32 v174, v124, v157
	v_add_f32_e32 v94, v94, v173
	s_waitcnt vmcnt(2)
	v_fma_f32 v96, v125, v158, -v96
	v_fmac_f32_e32 v175, v126, v158
	v_add_f32_e32 v94, v94, v174
	v_add_f32_e32 v95, v95, v96
	;; [unrolled: 1-line block ×3, first 2 shown]
	s_waitcnt vmcnt(1)
	v_sub_f32_e32 v95, v159, v95
	s_waitcnt vmcnt(0)
	v_sub_f32_e32 v94, v160, v94
	buffer_store_dword v95, off, s[0:3], 0 offset:232
	buffer_store_dword v94, off, s[0:3], 0 offset:236
	s_and_saveexec_b64 s[4:5], vcc
	s_cbranch_execz .LBB45_233
; %bb.232:
	buffer_load_dword v94, off, s[0:3], 0 offset:224
	buffer_load_dword v95, off, s[0:3], 0 offset:228
	v_mov_b32_e32 v96, 0
	buffer_store_dword v96, off, s[0:3], 0 offset:224
	buffer_store_dword v96, off, s[0:3], 0 offset:228
	s_waitcnt vmcnt(2)
	ds_write_b64 v93, v[94:95]
.LBB45_233:
	s_or_b64 exec, exec, s[4:5]
	s_waitcnt lgkmcnt(0)
	; wave barrier
	buffer_load_dword v129, off, s[0:3], 0 offset:236
	buffer_load_dword v130, off, s[0:3], 0 offset:244
	;; [unrolled: 1-line block ×36, first 2 shown]
	v_mov_b32_e32 v94, 0
	ds_read2_b64 v[95:98], v94 offset0:75 offset1:76
	ds_read2_b64 v[99:102], v94 offset0:77 offset1:78
	;; [unrolled: 1-line block ×8, first 2 shown]
	ds_read_b64 v[127:128], v94 offset:728
	v_cmp_lt_u32_e32 vcc, 27, v0
	s_waitcnt vmcnt(35) lgkmcnt(8)
	v_mul_f32_e32 v165, v95, v129
	s_waitcnt vmcnt(34)
	v_mul_f32_e32 v166, v97, v130
	s_waitcnt vmcnt(33) lgkmcnt(7)
	v_mul_f32_e32 v167, v99, v131
	s_waitcnt vmcnt(32)
	v_mul_f32_e32 v168, v101, v132
	;; [unrolled: 4-line block ×8, first 2 shown]
	s_waitcnt vmcnt(19) lgkmcnt(0)
	v_mul_f32_e32 v181, v127, v145
	s_waitcnt vmcnt(18)
	v_fmac_f32_e32 v165, v96, v146
	v_mul_f32_e32 v96, v96, v129
	v_fma_f32 v95, v95, v146, -v96
	v_mul_f32_e32 v96, v98, v130
	v_add_f32_e32 v95, 0, v95
	s_waitcnt vmcnt(17)
	v_fma_f32 v96, v97, v147, -v96
	v_add_f32_e32 v95, v95, v96
	v_mul_f32_e32 v96, v100, v131
	s_waitcnt vmcnt(16)
	v_fma_f32 v96, v99, v148, -v96
	v_add_f32_e32 v95, v95, v96
	v_mul_f32_e32 v96, v102, v132
	;; [unrolled: 4-line block ×8, first 2 shown]
	v_fmac_f32_e32 v166, v98, v147
	v_add_f32_e32 v165, 0, v165
	s_waitcnt vmcnt(9)
	v_fma_f32 v96, v113, v155, -v96
	v_fmac_f32_e32 v167, v100, v148
	v_add_f32_e32 v165, v165, v166
	v_add_f32_e32 v95, v95, v96
	v_mul_f32_e32 v96, v116, v139
	v_fmac_f32_e32 v168, v102, v149
	v_add_f32_e32 v165, v165, v167
	s_waitcnt vmcnt(8)
	v_fma_f32 v96, v115, v156, -v96
	v_fmac_f32_e32 v169, v104, v150
	v_add_f32_e32 v165, v165, v168
	v_add_f32_e32 v95, v95, v96
	v_mul_f32_e32 v96, v118, v140
	;; [unrolled: 8-line block ×7, first 2 shown]
	v_fmac_f32_e32 v180, v126, v161
	v_add_f32_e32 v165, v165, v179
	s_waitcnt vmcnt(2)
	v_fma_f32 v96, v127, v162, -v96
	v_fmac_f32_e32 v181, v128, v162
	v_add_f32_e32 v165, v165, v180
	v_add_f32_e32 v95, v95, v96
	;; [unrolled: 1-line block ×3, first 2 shown]
	s_waitcnt vmcnt(1)
	v_sub_f32_e32 v95, v163, v95
	s_waitcnt vmcnt(0)
	v_sub_f32_e32 v96, v164, v165
	buffer_store_dword v95, off, s[0:3], 0 offset:224
	buffer_store_dword v96, off, s[0:3], 0 offset:228
	s_and_saveexec_b64 s[4:5], vcc
	s_cbranch_execz .LBB45_235
; %bb.234:
	buffer_load_dword v95, off, s[0:3], 0 offset:216
	buffer_load_dword v96, off, s[0:3], 0 offset:220
	s_waitcnt vmcnt(0)
	ds_write_b64 v93, v[95:96]
	buffer_store_dword v94, off, s[0:3], 0 offset:216
	buffer_store_dword v94, off, s[0:3], 0 offset:220
.LBB45_235:
	s_or_b64 exec, exec, s[4:5]
	s_waitcnt lgkmcnt(0)
	; wave barrier
	buffer_load_dword v131, off, s[0:3], 0 offset:228
	buffer_load_dword v132, off, s[0:3], 0 offset:236
	;; [unrolled: 1-line block ×38, first 2 shown]
	ds_read_b128 v[95:98], v94 offset:592
	ds_read_b128 v[99:102], v94 offset:608
	;; [unrolled: 1-line block ×9, first 2 shown]
	v_cmp_lt_u32_e32 vcc, 26, v0
	s_waitcnt vmcnt(37) lgkmcnt(8)
	v_mul_f32_e32 v94, v95, v131
	s_waitcnt vmcnt(36)
	v_mul_f32_e32 v169, v97, v132
	s_waitcnt vmcnt(35) lgkmcnt(7)
	v_mul_f32_e32 v170, v99, v133
	s_waitcnt vmcnt(34)
	v_mul_f32_e32 v171, v101, v134
	;; [unrolled: 4-line block ×8, first 2 shown]
	s_waitcnt vmcnt(21) lgkmcnt(0)
	v_mul_f32_e32 v184, v127, v147
	s_waitcnt vmcnt(20)
	v_fmac_f32_e32 v94, v96, v148
	v_mul_f32_e32 v96, v96, v131
	v_fma_f32 v95, v95, v148, -v96
	v_mul_f32_e32 v96, v98, v132
	v_add_f32_e32 v95, 0, v95
	s_waitcnt vmcnt(19)
	v_fma_f32 v96, v97, v149, -v96
	v_add_f32_e32 v95, v95, v96
	v_mul_f32_e32 v96, v100, v133
	s_waitcnt vmcnt(18)
	v_fma_f32 v96, v99, v150, -v96
	v_add_f32_e32 v95, v95, v96
	v_mul_f32_e32 v96, v102, v134
	;; [unrolled: 4-line block ×8, first 2 shown]
	s_waitcnt vmcnt(11)
	v_fma_f32 v96, v113, v157, -v96
	v_fmac_f32_e32 v169, v98, v149
	v_add_f32_e32 v94, 0, v94
	v_add_f32_e32 v95, v95, v96
	v_mul_f32_e32 v96, v116, v141
	v_fmac_f32_e32 v170, v100, v150
	v_add_f32_e32 v94, v94, v169
	s_waitcnt vmcnt(10)
	v_fma_f32 v96, v115, v158, -v96
	v_fmac_f32_e32 v171, v102, v151
	v_add_f32_e32 v94, v94, v170
	v_add_f32_e32 v95, v95, v96
	v_mul_f32_e32 v96, v118, v142
	v_fmac_f32_e32 v172, v104, v152
	v_add_f32_e32 v94, v94, v171
	s_waitcnt vmcnt(9)
	v_fma_f32 v96, v117, v159, -v96
	v_fmac_f32_e32 v173, v106, v153
	v_add_f32_e32 v94, v94, v172
	v_add_f32_e32 v95, v95, v96
	v_mul_f32_e32 v96, v120, v143
	v_fmac_f32_e32 v174, v108, v154
	v_add_f32_e32 v94, v94, v173
	s_waitcnt vmcnt(8)
	v_fma_f32 v96, v119, v160, -v96
	v_fmac_f32_e32 v175, v110, v155
	v_add_f32_e32 v94, v94, v174
	v_add_f32_e32 v95, v95, v96
	v_mul_f32_e32 v96, v122, v144
	v_fmac_f32_e32 v176, v112, v156
	v_add_f32_e32 v94, v94, v175
	s_waitcnt vmcnt(7)
	v_fma_f32 v96, v121, v161, -v96
	v_fmac_f32_e32 v177, v114, v157
	v_add_f32_e32 v94, v94, v176
	v_add_f32_e32 v95, v95, v96
	v_mul_f32_e32 v96, v124, v145
	v_fmac_f32_e32 v178, v116, v158
	v_add_f32_e32 v94, v94, v177
	s_waitcnt vmcnt(6)
	v_fma_f32 v96, v123, v162, -v96
	v_fmac_f32_e32 v179, v118, v159
	v_add_f32_e32 v94, v94, v178
	v_add_f32_e32 v95, v95, v96
	v_mul_f32_e32 v96, v126, v146
	v_fmac_f32_e32 v180, v120, v160
	v_add_f32_e32 v94, v94, v179
	s_waitcnt vmcnt(5)
	v_fma_f32 v96, v125, v163, -v96
	v_fmac_f32_e32 v181, v122, v161
	v_add_f32_e32 v94, v94, v180
	v_add_f32_e32 v95, v95, v96
	v_mul_f32_e32 v96, v128, v147
	v_fmac_f32_e32 v182, v124, v162
	v_add_f32_e32 v94, v94, v181
	s_waitcnt vmcnt(4)
	v_fma_f32 v96, v127, v164, -v96
	v_fmac_f32_e32 v183, v126, v163
	v_add_f32_e32 v94, v94, v182
	v_add_f32_e32 v95, v95, v96
	s_waitcnt vmcnt(3)
	v_mul_f32_e32 v96, v130, v165
	v_add_f32_e32 v94, v94, v183
	v_fmac_f32_e32 v184, v128, v164
	v_mul_f32_e32 v169, v129, v165
	s_waitcnt vmcnt(2)
	v_fma_f32 v96, v129, v166, -v96
	v_add_f32_e32 v94, v94, v184
	v_fmac_f32_e32 v169, v130, v166
	v_add_f32_e32 v95, v95, v96
	v_add_f32_e32 v94, v94, v169
	s_waitcnt vmcnt(1)
	v_sub_f32_e32 v95, v167, v95
	s_waitcnt vmcnt(0)
	v_sub_f32_e32 v94, v168, v94
	buffer_store_dword v95, off, s[0:3], 0 offset:216
	buffer_store_dword v94, off, s[0:3], 0 offset:220
	s_and_saveexec_b64 s[4:5], vcc
	s_cbranch_execz .LBB45_237
; %bb.236:
	buffer_load_dword v94, off, s[0:3], 0 offset:208
	buffer_load_dword v95, off, s[0:3], 0 offset:212
	v_mov_b32_e32 v96, 0
	buffer_store_dword v96, off, s[0:3], 0 offset:208
	buffer_store_dword v96, off, s[0:3], 0 offset:212
	s_waitcnt vmcnt(2)
	ds_write_b64 v93, v[94:95]
.LBB45_237:
	s_or_b64 exec, exec, s[4:5]
	s_waitcnt lgkmcnt(0)
	; wave barrier
	buffer_load_dword v133, off, s[0:3], 0 offset:220
	buffer_load_dword v134, off, s[0:3], 0 offset:228
	;; [unrolled: 1-line block ×40, first 2 shown]
	v_mov_b32_e32 v94, 0
	ds_read2_b64 v[95:98], v94 offset0:73 offset1:74
	ds_read2_b64 v[99:102], v94 offset0:75 offset1:76
	;; [unrolled: 1-line block ×9, first 2 shown]
	v_cmp_lt_u32_e32 vcc, 25, v0
	s_waitcnt vmcnt(39) lgkmcnt(8)
	v_mul_f32_e32 v131, v95, v133
	s_waitcnt vmcnt(38)
	v_mul_f32_e32 v132, v97, v134
	s_waitcnt vmcnt(37) lgkmcnt(7)
	v_mul_f32_e32 v173, v99, v135
	s_waitcnt vmcnt(36)
	v_mul_f32_e32 v174, v101, v136
	;; [unrolled: 4-line block ×7, first 2 shown]
	s_waitcnt vmcnt(25) lgkmcnt(1)
	v_mul_f32_e32 v185, v123, v147
	s_waitcnt vmcnt(24)
	v_fmac_f32_e32 v131, v96, v148
	v_mul_f32_e32 v96, v96, v133
	v_fma_f32 v95, v95, v148, -v96
	v_mul_f32_e32 v96, v98, v134
	v_add_f32_e32 v95, 0, v95
	s_waitcnt vmcnt(23)
	v_fma_f32 v96, v97, v149, -v96
	v_add_f32_e32 v95, v95, v96
	v_mul_f32_e32 v96, v100, v135
	s_waitcnt vmcnt(22)
	v_fma_f32 v96, v99, v150, -v96
	v_add_f32_e32 v95, v95, v96
	v_mul_f32_e32 v96, v102, v136
	;; [unrolled: 4-line block ×6, first 2 shown]
	s_waitcnt vmcnt(17)
	v_fma_f32 v96, v109, v155, -v96
	v_fmac_f32_e32 v132, v98, v149
	v_add_f32_e32 v131, 0, v131
	v_add_f32_e32 v95, v95, v96
	v_mul_f32_e32 v96, v112, v141
	v_fmac_f32_e32 v173, v100, v150
	v_add_f32_e32 v131, v131, v132
	s_waitcnt vmcnt(16)
	v_fma_f32 v96, v111, v156, -v96
	v_fmac_f32_e32 v174, v102, v151
	v_add_f32_e32 v131, v131, v173
	v_add_f32_e32 v95, v95, v96
	v_mul_f32_e32 v96, v114, v142
	v_fmac_f32_e32 v175, v104, v152
	v_add_f32_e32 v131, v131, v174
	;; [unrolled: 8-line block ×6, first 2 shown]
	s_waitcnt vmcnt(11)
	v_fma_f32 v96, v121, v161, -v96
	v_fmac_f32_e32 v184, v122, v161
	v_add_f32_e32 v131, v131, v183
	v_add_f32_e32 v95, v95, v96
	v_mul_f32_e32 v96, v124, v147
	s_waitcnt vmcnt(10)
	v_fmac_f32_e32 v185, v124, v162
	v_add_f32_e32 v131, v131, v184
	s_waitcnt vmcnt(9)
	v_mul_f32_e32 v132, v125, v163
	v_fma_f32 v96, v123, v162, -v96
	v_add_f32_e32 v131, v131, v185
	s_waitcnt vmcnt(8)
	v_fmac_f32_e32 v132, v126, v164
	v_add_f32_e32 v95, v95, v96
	v_mul_f32_e32 v96, v126, v163
	v_add_f32_e32 v173, v131, v132
	ds_read_b64 v[131:132], v94 offset:728
	v_fma_f32 v96, v125, v164, -v96
	v_add_f32_e32 v95, v95, v96
	s_waitcnt vmcnt(7) lgkmcnt(1)
	v_mul_f32_e32 v96, v128, v165
	v_mul_f32_e32 v174, v127, v165
	s_waitcnt vmcnt(6)
	v_fma_f32 v96, v127, v166, -v96
	v_fmac_f32_e32 v174, v128, v166
	v_add_f32_e32 v95, v95, v96
	s_waitcnt vmcnt(5)
	v_mul_f32_e32 v96, v130, v167
	v_add_f32_e32 v173, v173, v174
	v_mul_f32_e32 v174, v129, v167
	s_waitcnt vmcnt(4)
	v_fma_f32 v96, v129, v168, -v96
	v_fmac_f32_e32 v174, v130, v168
	v_add_f32_e32 v95, v95, v96
	s_waitcnt vmcnt(3) lgkmcnt(0)
	v_mul_f32_e32 v96, v132, v169
	v_add_f32_e32 v173, v173, v174
	v_mul_f32_e32 v174, v131, v169
	s_waitcnt vmcnt(2)
	v_fma_f32 v96, v131, v170, -v96
	v_fmac_f32_e32 v174, v132, v170
	v_add_f32_e32 v95, v95, v96
	v_add_f32_e32 v173, v173, v174
	s_waitcnt vmcnt(1)
	v_sub_f32_e32 v95, v171, v95
	s_waitcnt vmcnt(0)
	v_sub_f32_e32 v96, v172, v173
	buffer_store_dword v95, off, s[0:3], 0 offset:208
	buffer_store_dword v96, off, s[0:3], 0 offset:212
	s_and_saveexec_b64 s[4:5], vcc
	s_cbranch_execz .LBB45_239
; %bb.238:
	buffer_load_dword v95, off, s[0:3], 0 offset:200
	buffer_load_dword v96, off, s[0:3], 0 offset:204
	s_waitcnt vmcnt(0)
	ds_write_b64 v93, v[95:96]
	buffer_store_dword v94, off, s[0:3], 0 offset:200
	buffer_store_dword v94, off, s[0:3], 0 offset:204
.LBB45_239:
	s_or_b64 exec, exec, s[4:5]
	s_waitcnt lgkmcnt(0)
	; wave barrier
	buffer_load_dword v135, off, s[0:3], 0 offset:212
	buffer_load_dword v136, off, s[0:3], 0 offset:220
	;; [unrolled: 1-line block ×42, first 2 shown]
	ds_read_b128 v[95:98], v94 offset:576
	ds_read_b128 v[99:102], v94 offset:592
	;; [unrolled: 1-line block ×8, first 2 shown]
	v_cmp_lt_u32_e32 vcc, 24, v0
	s_waitcnt vmcnt(41) lgkmcnt(7)
	v_mul_f32_e32 v127, v95, v135
	s_waitcnt vmcnt(40)
	v_mul_f32_e32 v128, v97, v136
	s_waitcnt vmcnt(39) lgkmcnt(6)
	v_mul_f32_e32 v129, v99, v137
	s_waitcnt vmcnt(38)
	v_mul_f32_e32 v130, v101, v138
	;; [unrolled: 4-line block ×7, first 2 shown]
	s_waitcnt vmcnt(27) lgkmcnt(0)
	v_mul_f32_e32 v183, v123, v149
	s_waitcnt vmcnt(26)
	v_fmac_f32_e32 v127, v96, v150
	v_mul_f32_e32 v96, v96, v135
	v_fma_f32 v95, v95, v150, -v96
	v_mul_f32_e32 v96, v98, v136
	v_add_f32_e32 v95, 0, v95
	s_waitcnt vmcnt(25)
	v_fma_f32 v96, v97, v151, -v96
	v_add_f32_e32 v95, v95, v96
	v_mul_f32_e32 v96, v100, v137
	s_waitcnt vmcnt(24)
	v_fma_f32 v96, v99, v152, -v96
	v_add_f32_e32 v95, v95, v96
	v_mul_f32_e32 v96, v102, v138
	s_waitcnt vmcnt(23)
	v_fma_f32 v96, v101, v153, -v96
	v_add_f32_e32 v95, v95, v96
	v_mul_f32_e32 v96, v104, v139
	s_waitcnt vmcnt(22)
	v_fma_f32 v96, v103, v154, -v96
	v_add_f32_e32 v95, v95, v96
	v_mul_f32_e32 v96, v106, v140
	s_waitcnt vmcnt(21)
	v_fma_f32 v96, v105, v155, -v96
	v_add_f32_e32 v95, v95, v96
	v_mul_f32_e32 v96, v108, v141
	v_fmac_f32_e32 v128, v98, v151
	v_add_f32_e32 v127, 0, v127
	s_waitcnt vmcnt(20)
	v_fma_f32 v96, v107, v156, -v96
	v_fmac_f32_e32 v129, v100, v152
	v_add_f32_e32 v127, v127, v128
	v_add_f32_e32 v95, v95, v96
	v_mul_f32_e32 v96, v110, v142
	v_fmac_f32_e32 v130, v102, v153
	v_add_f32_e32 v127, v127, v129
	s_waitcnt vmcnt(19)
	v_fma_f32 v96, v109, v157, -v96
	v_fmac_f32_e32 v131, v104, v154
	v_add_f32_e32 v127, v127, v130
	v_add_f32_e32 v95, v95, v96
	v_mul_f32_e32 v96, v112, v143
	;; [unrolled: 8-line block ×5, first 2 shown]
	s_waitcnt vmcnt(15)
	v_fmac_f32_e32 v180, v118, v161
	v_add_f32_e32 v127, v127, v179
	v_fma_f32 v96, v117, v161, -v96
	s_waitcnt vmcnt(14)
	v_fmac_f32_e32 v181, v120, v162
	v_add_f32_e32 v127, v127, v180
	v_add_f32_e32 v95, v95, v96
	v_mul_f32_e32 v96, v120, v147
	s_waitcnt vmcnt(13)
	v_fmac_f32_e32 v182, v122, v163
	v_add_f32_e32 v127, v127, v181
	v_fma_f32 v96, v119, v162, -v96
	s_waitcnt vmcnt(12)
	v_fmac_f32_e32 v183, v124, v164
	v_add_f32_e32 v127, v127, v182
	v_add_f32_e32 v95, v95, v96
	v_mul_f32_e32 v96, v122, v148
	v_add_f32_e32 v131, v127, v183
	ds_read_b128 v[127:130], v94 offset:704
	v_fma_f32 v96, v121, v163, -v96
	v_add_f32_e32 v95, v95, v96
	v_mul_f32_e32 v96, v124, v149
	s_waitcnt vmcnt(11)
	v_mul_f32_e32 v132, v125, v165
	v_fma_f32 v96, v123, v164, -v96
	s_waitcnt vmcnt(10)
	v_fmac_f32_e32 v132, v126, v166
	v_add_f32_e32 v95, v95, v96
	v_mul_f32_e32 v96, v126, v165
	v_add_f32_e32 v177, v131, v132
	ds_read_b128 v[131:134], v94 offset:720
	v_fma_f32 v96, v125, v166, -v96
	v_add_f32_e32 v95, v95, v96
	s_waitcnt vmcnt(9) lgkmcnt(1)
	v_mul_f32_e32 v96, v128, v167
	v_mul_f32_e32 v94, v127, v167
	s_waitcnt vmcnt(8)
	v_fma_f32 v96, v127, v168, -v96
	v_fmac_f32_e32 v94, v128, v168
	v_add_f32_e32 v95, v95, v96
	s_waitcnt vmcnt(7)
	v_mul_f32_e32 v96, v130, v169
	v_add_f32_e32 v94, v177, v94
	v_mul_f32_e32 v177, v129, v169
	s_waitcnt vmcnt(6)
	v_fma_f32 v96, v129, v170, -v96
	v_fmac_f32_e32 v177, v130, v170
	v_add_f32_e32 v95, v95, v96
	s_waitcnt vmcnt(5) lgkmcnt(0)
	v_mul_f32_e32 v96, v132, v171
	v_add_f32_e32 v94, v94, v177
	v_mul_f32_e32 v177, v131, v171
	s_waitcnt vmcnt(4)
	v_fma_f32 v96, v131, v172, -v96
	v_fmac_f32_e32 v177, v132, v172
	v_add_f32_e32 v95, v95, v96
	s_waitcnt vmcnt(3)
	v_mul_f32_e32 v96, v134, v173
	v_add_f32_e32 v94, v94, v177
	v_mul_f32_e32 v177, v133, v173
	s_waitcnt vmcnt(2)
	v_fma_f32 v96, v133, v174, -v96
	v_fmac_f32_e32 v177, v134, v174
	v_add_f32_e32 v95, v95, v96
	v_add_f32_e32 v94, v94, v177
	s_waitcnt vmcnt(1)
	v_sub_f32_e32 v95, v175, v95
	s_waitcnt vmcnt(0)
	v_sub_f32_e32 v94, v176, v94
	buffer_store_dword v95, off, s[0:3], 0 offset:200
	buffer_store_dword v94, off, s[0:3], 0 offset:204
	s_and_saveexec_b64 s[4:5], vcc
	s_cbranch_execz .LBB45_241
; %bb.240:
	buffer_load_dword v94, off, s[0:3], 0 offset:192
	buffer_load_dword v95, off, s[0:3], 0 offset:196
	v_mov_b32_e32 v96, 0
	buffer_store_dword v96, off, s[0:3], 0 offset:192
	buffer_store_dword v96, off, s[0:3], 0 offset:196
	s_waitcnt vmcnt(2)
	ds_write_b64 v93, v[94:95]
.LBB45_241:
	s_or_b64 exec, exec, s[4:5]
	s_waitcnt lgkmcnt(0)
	; wave barrier
	buffer_load_dword v137, off, s[0:3], 0 offset:204
	buffer_load_dword v138, off, s[0:3], 0 offset:212
	;; [unrolled: 1-line block ×44, first 2 shown]
	v_mov_b32_e32 v94, 0
	ds_read2_b64 v[95:98], v94 offset0:71 offset1:72
	ds_read2_b64 v[99:102], v94 offset0:73 offset1:74
	ds_read2_b64 v[103:106], v94 offset0:75 offset1:76
	ds_read2_b64 v[107:110], v94 offset0:77 offset1:78
	ds_read2_b64 v[111:114], v94 offset0:79 offset1:80
	ds_read2_b64 v[115:118], v94 offset0:81 offset1:82
	ds_read2_b64 v[119:122], v94 offset0:83 offset1:84
	ds_read2_b64 v[123:126], v94 offset0:85 offset1:86
	v_cmp_lt_u32_e32 vcc, 23, v0
	s_waitcnt vmcnt(43) lgkmcnt(7)
	v_mul_f32_e32 v127, v95, v137
	s_waitcnt vmcnt(42)
	v_mul_f32_e32 v128, v97, v138
	s_waitcnt vmcnt(41) lgkmcnt(6)
	v_mul_f32_e32 v129, v99, v139
	s_waitcnt vmcnt(40)
	v_mul_f32_e32 v130, v101, v140
	;; [unrolled: 4-line block ×7, first 2 shown]
	s_waitcnt vmcnt(29)
	v_fmac_f32_e32 v127, v96, v151
	v_mul_f32_e32 v96, v96, v137
	v_fma_f32 v95, v95, v151, -v96
	v_mul_f32_e32 v96, v98, v138
	v_add_f32_e32 v95, 0, v95
	s_waitcnt vmcnt(28)
	v_fma_f32 v96, v97, v152, -v96
	v_add_f32_e32 v95, v95, v96
	v_mul_f32_e32 v96, v100, v139
	s_waitcnt vmcnt(27)
	v_fma_f32 v96, v99, v153, -v96
	v_add_f32_e32 v95, v95, v96
	v_mul_f32_e32 v96, v102, v140
	;; [unrolled: 4-line block ×4, first 2 shown]
	s_waitcnt vmcnt(24)
	v_fma_f32 v96, v105, v156, -v96
	v_fmac_f32_e32 v128, v98, v152
	v_add_f32_e32 v127, 0, v127
	v_add_f32_e32 v95, v95, v96
	v_mul_f32_e32 v96, v108, v143
	v_fmac_f32_e32 v129, v100, v153
	v_add_f32_e32 v127, v127, v128
	s_waitcnt vmcnt(23)
	v_fma_f32 v96, v107, v157, -v96
	v_fmac_f32_e32 v130, v102, v154
	v_add_f32_e32 v127, v127, v129
	v_add_f32_e32 v95, v95, v96
	v_mul_f32_e32 v96, v110, v144
	v_fmac_f32_e32 v131, v104, v155
	v_add_f32_e32 v127, v127, v130
	s_waitcnt vmcnt(22)
	v_fma_f32 v96, v109, v158, -v96
	v_fmac_f32_e32 v132, v106, v156
	v_add_f32_e32 v127, v127, v131
	v_add_f32_e32 v95, v95, v96
	v_mul_f32_e32 v96, v112, v145
	v_fmac_f32_e32 v133, v108, v157
	v_add_f32_e32 v127, v127, v132
	s_waitcnt vmcnt(21)
	v_fma_f32 v96, v111, v159, -v96
	v_fmac_f32_e32 v134, v110, v158
	v_add_f32_e32 v127, v127, v133
	v_add_f32_e32 v95, v95, v96
	v_mul_f32_e32 v96, v114, v146
	v_fmac_f32_e32 v135, v112, v159
	v_add_f32_e32 v127, v127, v134
	s_waitcnt vmcnt(20)
	v_fma_f32 v96, v113, v160, -v96
	v_fmac_f32_e32 v136, v114, v160
	v_add_f32_e32 v127, v127, v135
	v_add_f32_e32 v95, v95, v96
	v_mul_f32_e32 v96, v116, v147
	s_waitcnt vmcnt(19)
	v_fmac_f32_e32 v181, v116, v161
	v_add_f32_e32 v127, v127, v136
	v_fma_f32 v96, v115, v161, -v96
	s_waitcnt vmcnt(18)
	v_fmac_f32_e32 v182, v118, v162
	v_add_f32_e32 v127, v127, v181
	v_add_f32_e32 v95, v95, v96
	v_mul_f32_e32 v96, v118, v148
	s_waitcnt vmcnt(17)
	v_fmac_f32_e32 v183, v120, v163
	v_add_f32_e32 v127, v127, v182
	v_fma_f32 v96, v117, v162, -v96
	v_add_f32_e32 v127, v127, v183
	s_waitcnt vmcnt(16)
	v_fmac_f32_e32 v184, v122, v164
	s_waitcnt vmcnt(15) lgkmcnt(0)
	v_mul_f32_e32 v128, v123, v165
	v_add_f32_e32 v95, v95, v96
	v_mul_f32_e32 v96, v120, v149
	v_add_f32_e32 v127, v127, v184
	s_waitcnt vmcnt(14)
	v_fmac_f32_e32 v128, v124, v166
	v_fma_f32 v96, v119, v163, -v96
	v_add_f32_e32 v131, v127, v128
	ds_read2_b64 v[127:130], v94 offset0:87 offset1:88
	v_add_f32_e32 v95, v95, v96
	v_mul_f32_e32 v96, v122, v150
	v_fma_f32 v96, v121, v164, -v96
	v_add_f32_e32 v95, v95, v96
	v_mul_f32_e32 v96, v124, v165
	s_waitcnt vmcnt(13)
	v_mul_f32_e32 v132, v125, v167
	v_fma_f32 v96, v123, v166, -v96
	s_waitcnt vmcnt(12)
	v_fmac_f32_e32 v132, v126, v168
	v_add_f32_e32 v95, v95, v96
	v_mul_f32_e32 v96, v126, v167
	v_add_f32_e32 v135, v131, v132
	ds_read2_b64 v[131:134], v94 offset0:89 offset1:90
	s_waitcnt vmcnt(11) lgkmcnt(1)
	v_mul_f32_e32 v136, v127, v169
	v_fma_f32 v96, v125, v168, -v96
	s_waitcnt vmcnt(10)
	v_fmac_f32_e32 v136, v128, v170
	v_add_f32_e32 v95, v95, v96
	v_mul_f32_e32 v96, v128, v169
	v_add_f32_e32 v135, v135, v136
	s_waitcnt vmcnt(9)
	v_mul_f32_e32 v136, v129, v171
	v_fma_f32 v96, v127, v170, -v96
	s_waitcnt vmcnt(8)
	v_fmac_f32_e32 v136, v130, v172
	v_add_f32_e32 v95, v95, v96
	v_mul_f32_e32 v96, v130, v171
	v_add_f32_e32 v181, v135, v136
	ds_read_b64 v[135:136], v94 offset:728
	v_fma_f32 v96, v129, v172, -v96
	v_add_f32_e32 v95, v95, v96
	s_waitcnt vmcnt(7) lgkmcnt(1)
	v_mul_f32_e32 v96, v132, v173
	v_mul_f32_e32 v182, v131, v173
	s_waitcnt vmcnt(6)
	v_fma_f32 v96, v131, v174, -v96
	v_fmac_f32_e32 v182, v132, v174
	v_add_f32_e32 v95, v95, v96
	s_waitcnt vmcnt(5)
	v_mul_f32_e32 v96, v134, v175
	v_add_f32_e32 v181, v181, v182
	v_mul_f32_e32 v182, v133, v175
	s_waitcnt vmcnt(4)
	v_fma_f32 v96, v133, v176, -v96
	v_fmac_f32_e32 v182, v134, v176
	v_add_f32_e32 v95, v95, v96
	s_waitcnt vmcnt(3) lgkmcnt(0)
	v_mul_f32_e32 v96, v136, v177
	v_add_f32_e32 v181, v181, v182
	v_mul_f32_e32 v182, v135, v177
	s_waitcnt vmcnt(2)
	v_fma_f32 v96, v135, v178, -v96
	v_fmac_f32_e32 v182, v136, v178
	v_add_f32_e32 v95, v95, v96
	v_add_f32_e32 v181, v181, v182
	s_waitcnt vmcnt(1)
	v_sub_f32_e32 v95, v179, v95
	s_waitcnt vmcnt(0)
	v_sub_f32_e32 v96, v180, v181
	buffer_store_dword v95, off, s[0:3], 0 offset:192
	buffer_store_dword v96, off, s[0:3], 0 offset:196
	s_and_saveexec_b64 s[4:5], vcc
	s_cbranch_execz .LBB45_243
; %bb.242:
	buffer_load_dword v95, off, s[0:3], 0 offset:184
	buffer_load_dword v96, off, s[0:3], 0 offset:188
	s_waitcnt vmcnt(0)
	ds_write_b64 v93, v[95:96]
	buffer_store_dword v94, off, s[0:3], 0 offset:184
	buffer_store_dword v94, off, s[0:3], 0 offset:188
.LBB45_243:
	s_or_b64 exec, exec, s[4:5]
	s_waitcnt lgkmcnt(0)
	; wave barrier
	buffer_load_dword v139, off, s[0:3], 0 offset:196
	buffer_load_dword v140, off, s[0:3], 0 offset:204
	;; [unrolled: 1-line block ×46, first 2 shown]
	ds_read_b128 v[95:98], v94 offset:560
	ds_read_b128 v[99:102], v94 offset:576
	;; [unrolled: 1-line block ×8, first 2 shown]
	v_cmp_lt_u32_e32 vcc, 22, v0
	s_waitcnt vmcnt(45) lgkmcnt(7)
	v_mul_f32_e32 v127, v95, v139
	s_waitcnt vmcnt(44)
	v_mul_f32_e32 v128, v97, v140
	s_waitcnt vmcnt(43) lgkmcnt(6)
	v_mul_f32_e32 v129, v99, v141
	s_waitcnt vmcnt(42)
	v_mul_f32_e32 v130, v101, v142
	;; [unrolled: 4-line block ×6, first 2 shown]
	s_waitcnt vmcnt(33) lgkmcnt(1)
	v_mul_f32_e32 v185, v119, v151
	s_waitcnt vmcnt(32)
	v_fmac_f32_e32 v127, v96, v152
	v_mul_f32_e32 v96, v96, v139
	v_fma_f32 v95, v95, v152, -v96
	v_mul_f32_e32 v96, v98, v140
	v_add_f32_e32 v95, 0, v95
	s_waitcnt vmcnt(31)
	v_fma_f32 v96, v97, v153, -v96
	v_add_f32_e32 v95, v95, v96
	v_mul_f32_e32 v96, v100, v141
	s_waitcnt vmcnt(30)
	v_fma_f32 v96, v99, v154, -v96
	v_add_f32_e32 v95, v95, v96
	v_mul_f32_e32 v96, v102, v142
	;; [unrolled: 4-line block ×4, first 2 shown]
	v_fmac_f32_e32 v128, v98, v153
	v_add_f32_e32 v127, 0, v127
	s_waitcnt vmcnt(27)
	v_fma_f32 v96, v105, v157, -v96
	v_fmac_f32_e32 v129, v100, v154
	v_add_f32_e32 v127, v127, v128
	v_add_f32_e32 v95, v95, v96
	v_mul_f32_e32 v96, v108, v145
	v_fmac_f32_e32 v130, v102, v155
	v_add_f32_e32 v127, v127, v129
	s_waitcnt vmcnt(26)
	v_fma_f32 v96, v107, v158, -v96
	v_fmac_f32_e32 v131, v104, v156
	v_add_f32_e32 v127, v127, v130
	v_add_f32_e32 v95, v95, v96
	v_mul_f32_e32 v96, v110, v146
	;; [unrolled: 8-line block ×4, first 2 shown]
	s_waitcnt vmcnt(23)
	v_fmac_f32_e32 v136, v114, v161
	v_add_f32_e32 v127, v127, v135
	v_fma_f32 v96, v113, v161, -v96
	s_waitcnt vmcnt(22)
	v_fmac_f32_e32 v137, v116, v162
	v_add_f32_e32 v127, v127, v136
	v_add_f32_e32 v95, v95, v96
	v_mul_f32_e32 v96, v116, v149
	s_waitcnt vmcnt(21)
	v_fmac_f32_e32 v138, v118, v163
	v_add_f32_e32 v127, v127, v137
	v_fma_f32 v96, v115, v162, -v96
	s_waitcnt vmcnt(20)
	v_fmac_f32_e32 v185, v120, v164
	v_add_f32_e32 v127, v127, v138
	s_waitcnt vmcnt(19)
	v_mul_f32_e32 v128, v121, v165
	v_add_f32_e32 v95, v95, v96
	v_mul_f32_e32 v96, v118, v150
	v_add_f32_e32 v127, v127, v185
	s_waitcnt vmcnt(18)
	v_fmac_f32_e32 v128, v122, v166
	v_fma_f32 v96, v117, v163, -v96
	v_add_f32_e32 v127, v127, v128
	s_waitcnt vmcnt(17) lgkmcnt(0)
	v_mul_f32_e32 v128, v123, v167
	v_add_f32_e32 v95, v95, v96
	v_mul_f32_e32 v96, v120, v151
	s_waitcnt vmcnt(16)
	v_fmac_f32_e32 v128, v124, v168
	v_fma_f32 v96, v119, v164, -v96
	v_add_f32_e32 v131, v127, v128
	ds_read_b128 v[127:130], v94 offset:688
	v_add_f32_e32 v95, v95, v96
	v_mul_f32_e32 v96, v122, v165
	v_fma_f32 v96, v121, v166, -v96
	v_add_f32_e32 v95, v95, v96
	v_mul_f32_e32 v96, v124, v167
	s_waitcnt vmcnt(15)
	v_mul_f32_e32 v132, v125, v169
	v_fma_f32 v96, v123, v168, -v96
	s_waitcnt vmcnt(14)
	v_fmac_f32_e32 v132, v126, v170
	v_add_f32_e32 v95, v95, v96
	v_mul_f32_e32 v96, v126, v169
	v_add_f32_e32 v135, v131, v132
	ds_read_b128 v[131:134], v94 offset:704
	s_waitcnt vmcnt(13) lgkmcnt(1)
	v_mul_f32_e32 v136, v127, v171
	v_fma_f32 v96, v125, v170, -v96
	s_waitcnt vmcnt(12)
	v_fmac_f32_e32 v136, v128, v172
	v_add_f32_e32 v95, v95, v96
	v_mul_f32_e32 v96, v128, v171
	v_add_f32_e32 v135, v135, v136
	s_waitcnt vmcnt(11)
	v_mul_f32_e32 v136, v129, v173
	v_fma_f32 v96, v127, v172, -v96
	s_waitcnt vmcnt(10)
	v_fmac_f32_e32 v136, v130, v174
	v_add_f32_e32 v95, v95, v96
	v_mul_f32_e32 v96, v130, v173
	v_add_f32_e32 v185, v135, v136
	ds_read_b128 v[135:138], v94 offset:720
	v_fma_f32 v96, v129, v174, -v96
	v_add_f32_e32 v95, v95, v96
	s_waitcnt vmcnt(9) lgkmcnt(1)
	v_mul_f32_e32 v96, v132, v175
	v_mul_f32_e32 v186, v131, v175
	s_waitcnt vmcnt(8)
	v_fma_f32 v96, v131, v176, -v96
	v_fmac_f32_e32 v186, v132, v176
	v_add_f32_e32 v95, v95, v96
	s_waitcnt vmcnt(7)
	v_mul_f32_e32 v96, v134, v177
	v_add_f32_e32 v94, v185, v186
	v_mul_f32_e32 v185, v133, v177
	s_waitcnt vmcnt(6)
	v_fma_f32 v96, v133, v178, -v96
	v_fmac_f32_e32 v185, v134, v178
	v_add_f32_e32 v95, v95, v96
	s_waitcnt vmcnt(5) lgkmcnt(0)
	v_mul_f32_e32 v96, v136, v179
	v_add_f32_e32 v94, v94, v185
	v_mul_f32_e32 v185, v135, v179
	s_waitcnt vmcnt(4)
	v_fma_f32 v96, v135, v180, -v96
	v_fmac_f32_e32 v185, v136, v180
	v_add_f32_e32 v95, v95, v96
	s_waitcnt vmcnt(3)
	v_mul_f32_e32 v96, v138, v181
	v_add_f32_e32 v94, v94, v185
	v_mul_f32_e32 v185, v137, v181
	s_waitcnt vmcnt(2)
	v_fma_f32 v96, v137, v182, -v96
	v_fmac_f32_e32 v185, v138, v182
	v_add_f32_e32 v95, v95, v96
	v_add_f32_e32 v94, v94, v185
	s_waitcnt vmcnt(1)
	v_sub_f32_e32 v95, v183, v95
	s_waitcnt vmcnt(0)
	v_sub_f32_e32 v94, v184, v94
	buffer_store_dword v95, off, s[0:3], 0 offset:184
	buffer_store_dword v94, off, s[0:3], 0 offset:188
	s_and_saveexec_b64 s[4:5], vcc
	s_cbranch_execz .LBB45_245
; %bb.244:
	buffer_load_dword v94, off, s[0:3], 0 offset:176
	buffer_load_dword v95, off, s[0:3], 0 offset:180
	v_mov_b32_e32 v96, 0
	buffer_store_dword v96, off, s[0:3], 0 offset:176
	buffer_store_dword v96, off, s[0:3], 0 offset:180
	s_waitcnt vmcnt(2)
	ds_write_b64 v93, v[94:95]
.LBB45_245:
	s_or_b64 exec, exec, s[4:5]
	s_waitcnt lgkmcnt(0)
	; wave barrier
	buffer_load_dword v141, off, s[0:3], 0 offset:188
	buffer_load_dword v142, off, s[0:3], 0 offset:196
	buffer_load_dword v143, off, s[0:3], 0 offset:204
	buffer_load_dword v144, off, s[0:3], 0 offset:212
	buffer_load_dword v145, off, s[0:3], 0 offset:220
	buffer_load_dword v146, off, s[0:3], 0 offset:228
	buffer_load_dword v147, off, s[0:3], 0 offset:236
	buffer_load_dword v148, off, s[0:3], 0 offset:244
	buffer_load_dword v149, off, s[0:3], 0 offset:252
	buffer_load_dword v150, off, s[0:3], 0 offset:260
	buffer_load_dword v151, off, s[0:3], 0 offset:268
	buffer_load_dword v152, off, s[0:3], 0 offset:276
	buffer_load_dword v153, off, s[0:3], 0 offset:184
	buffer_load_dword v154, off, s[0:3], 0 offset:192
	buffer_load_dword v155, off, s[0:3], 0 offset:200
	buffer_load_dword v156, off, s[0:3], 0 offset:208
	buffer_load_dword v157, off, s[0:3], 0 offset:216
	buffer_load_dword v158, off, s[0:3], 0 offset:224
	buffer_load_dword v159, off, s[0:3], 0 offset:232
	buffer_load_dword v160, off, s[0:3], 0 offset:240
	buffer_load_dword v161, off, s[0:3], 0 offset:248
	buffer_load_dword v162, off, s[0:3], 0 offset:256
	buffer_load_dword v163, off, s[0:3], 0 offset:264
	buffer_load_dword v164, off, s[0:3], 0 offset:272
	buffer_load_dword v165, off, s[0:3], 0 offset:284
	buffer_load_dword v166, off, s[0:3], 0 offset:280
	buffer_load_dword v167, off, s[0:3], 0 offset:292
	buffer_load_dword v168, off, s[0:3], 0 offset:288
	buffer_load_dword v169, off, s[0:3], 0 offset:300
	buffer_load_dword v170, off, s[0:3], 0 offset:296
	buffer_load_dword v171, off, s[0:3], 0 offset:308
	buffer_load_dword v172, off, s[0:3], 0 offset:304
	buffer_load_dword v173, off, s[0:3], 0 offset:316
	buffer_load_dword v174, off, s[0:3], 0 offset:312
	buffer_load_dword v175, off, s[0:3], 0 offset:324
	buffer_load_dword v176, off, s[0:3], 0 offset:320
	buffer_load_dword v177, off, s[0:3], 0 offset:332
	buffer_load_dword v178, off, s[0:3], 0 offset:328
	buffer_load_dword v179, off, s[0:3], 0 offset:340
	buffer_load_dword v180, off, s[0:3], 0 offset:336
	buffer_load_dword v181, off, s[0:3], 0 offset:344
	buffer_load_dword v182, off, s[0:3], 0 offset:348
	buffer_load_dword v183, off, s[0:3], 0 offset:176
	buffer_load_dword v184, off, s[0:3], 0 offset:180
	buffer_load_dword v185, off, s[0:3], 0 offset:356
	buffer_load_dword v186, off, s[0:3], 0 offset:352
	buffer_load_dword v187, off, s[0:3], 0 offset:360
	buffer_load_dword v188, off, s[0:3], 0 offset:364
	v_mov_b32_e32 v94, 0
	ds_read2_b64 v[95:98], v94 offset0:69 offset1:70
	ds_read2_b64 v[99:102], v94 offset0:71 offset1:72
	;; [unrolled: 1-line block ×7, first 2 shown]
	v_cmp_lt_u32_e32 vcc, 21, v0
	s_waitcnt vmcnt(47) lgkmcnt(6)
	v_mul_f32_e32 v123, v95, v141
	s_waitcnt vmcnt(46)
	v_mul_f32_e32 v124, v97, v142
	s_waitcnt vmcnt(45) lgkmcnt(5)
	v_mul_f32_e32 v125, v99, v143
	s_waitcnt vmcnt(44)
	v_mul_f32_e32 v126, v101, v144
	;; [unrolled: 4-line block ×6, first 2 shown]
	s_waitcnt vmcnt(35)
	v_fmac_f32_e32 v123, v96, v153
	v_mul_f32_e32 v96, v96, v141
	v_fma_f32 v95, v95, v153, -v96
	v_mul_f32_e32 v96, v98, v142
	v_add_f32_e32 v95, 0, v95
	s_waitcnt vmcnt(34)
	v_fma_f32 v96, v97, v154, -v96
	v_add_f32_e32 v95, v95, v96
	v_mul_f32_e32 v96, v100, v143
	s_waitcnt vmcnt(33)
	v_fma_f32 v96, v99, v155, -v96
	v_fmac_f32_e32 v124, v98, v154
	v_add_f32_e32 v123, 0, v123
	v_add_f32_e32 v95, v95, v96
	v_mul_f32_e32 v96, v102, v144
	v_fmac_f32_e32 v125, v100, v155
	v_add_f32_e32 v123, v123, v124
	s_waitcnt vmcnt(32)
	v_fma_f32 v96, v101, v156, -v96
	v_fmac_f32_e32 v126, v102, v156
	v_add_f32_e32 v123, v123, v125
	v_add_f32_e32 v95, v95, v96
	v_mul_f32_e32 v96, v104, v145
	s_waitcnt vmcnt(31)
	v_fmac_f32_e32 v127, v104, v157
	v_add_f32_e32 v123, v123, v126
	v_fma_f32 v96, v103, v157, -v96
	s_waitcnt vmcnt(30)
	v_fmac_f32_e32 v128, v106, v158
	v_add_f32_e32 v123, v123, v127
	v_add_f32_e32 v95, v95, v96
	v_mul_f32_e32 v96, v106, v146
	s_waitcnt vmcnt(29)
	v_fmac_f32_e32 v129, v108, v159
	v_add_f32_e32 v123, v123, v128
	v_fma_f32 v96, v105, v158, -v96
	s_waitcnt vmcnt(28)
	;; [unrolled: 9-line block ×4, first 2 shown]
	v_fmac_f32_e32 v134, v118, v164
	v_add_f32_e32 v123, v123, v133
	v_add_f32_e32 v95, v95, v96
	v_mul_f32_e32 v96, v112, v149
	v_add_f32_e32 v127, v123, v134
	ds_read2_b64 v[123:126], v94 offset0:83 offset1:84
	v_fma_f32 v96, v111, v161, -v96
	s_waitcnt vmcnt(23) lgkmcnt(1)
	v_mul_f32_e32 v128, v119, v165
	v_add_f32_e32 v95, v95, v96
	v_mul_f32_e32 v96, v114, v150
	s_waitcnt vmcnt(22)
	v_fmac_f32_e32 v128, v120, v166
	v_fma_f32 v96, v113, v162, -v96
	v_add_f32_e32 v127, v127, v128
	s_waitcnt vmcnt(21)
	v_mul_f32_e32 v128, v121, v167
	v_add_f32_e32 v95, v95, v96
	v_mul_f32_e32 v96, v116, v151
	s_waitcnt vmcnt(20)
	v_fmac_f32_e32 v128, v122, v168
	v_fma_f32 v96, v115, v163, -v96
	v_add_f32_e32 v127, v127, v128
	s_waitcnt vmcnt(19) lgkmcnt(0)
	v_mul_f32_e32 v128, v123, v169
	v_add_f32_e32 v95, v95, v96
	v_mul_f32_e32 v96, v118, v152
	s_waitcnt vmcnt(18)
	v_fmac_f32_e32 v128, v124, v170
	v_fma_f32 v96, v117, v164, -v96
	v_add_f32_e32 v131, v127, v128
	ds_read2_b64 v[127:130], v94 offset0:85 offset1:86
	v_add_f32_e32 v95, v95, v96
	v_mul_f32_e32 v96, v120, v165
	v_fma_f32 v96, v119, v166, -v96
	s_waitcnt vmcnt(17)
	v_mul_f32_e32 v132, v125, v171
	v_add_f32_e32 v95, v95, v96
	v_mul_f32_e32 v96, v122, v167
	s_waitcnt vmcnt(16)
	v_fmac_f32_e32 v132, v126, v172
	v_fma_f32 v96, v121, v168, -v96
	v_add_f32_e32 v135, v131, v132
	ds_read2_b64 v[131:134], v94 offset0:87 offset1:88
	v_add_f32_e32 v95, v95, v96
	v_mul_f32_e32 v96, v124, v169
	s_waitcnt vmcnt(15) lgkmcnt(1)
	v_mul_f32_e32 v136, v127, v173
	v_fma_f32 v96, v123, v170, -v96
	s_waitcnt vmcnt(14)
	v_fmac_f32_e32 v136, v128, v174
	v_add_f32_e32 v95, v95, v96
	v_mul_f32_e32 v96, v126, v171
	v_add_f32_e32 v135, v135, v136
	s_waitcnt vmcnt(13)
	v_mul_f32_e32 v136, v129, v175
	v_fma_f32 v96, v125, v172, -v96
	s_waitcnt vmcnt(12)
	v_fmac_f32_e32 v136, v130, v176
	v_add_f32_e32 v95, v95, v96
	v_mul_f32_e32 v96, v128, v173
	v_add_f32_e32 v135, v135, v136
	s_waitcnt vmcnt(11) lgkmcnt(0)
	v_mul_f32_e32 v136, v131, v177
	v_fma_f32 v96, v127, v174, -v96
	s_waitcnt vmcnt(10)
	v_fmac_f32_e32 v136, v132, v178
	v_add_f32_e32 v95, v95, v96
	v_mul_f32_e32 v96, v130, v175
	v_add_f32_e32 v139, v135, v136
	ds_read2_b64 v[135:138], v94 offset0:89 offset1:90
	v_fma_f32 v96, v129, v176, -v96
	v_add_f32_e32 v95, v95, v96
	v_mul_f32_e32 v96, v132, v177
	s_waitcnt vmcnt(9)
	v_mul_f32_e32 v140, v133, v179
	v_fma_f32 v96, v131, v178, -v96
	s_waitcnt vmcnt(8)
	v_fmac_f32_e32 v140, v134, v180
	v_add_f32_e32 v95, v95, v96
	v_mul_f32_e32 v96, v134, v179
	v_add_f32_e32 v189, v139, v140
	ds_read_b64 v[139:140], v94 offset:728
	v_fma_f32 v96, v133, v180, -v96
	v_add_f32_e32 v95, v95, v96
	s_waitcnt vmcnt(6) lgkmcnt(1)
	v_mul_f32_e32 v96, v136, v182
	v_mul_f32_e32 v190, v135, v182
	v_fma_f32 v96, v135, v181, -v96
	v_fmac_f32_e32 v190, v136, v181
	v_add_f32_e32 v95, v95, v96
	s_waitcnt vmcnt(3)
	v_mul_f32_e32 v96, v138, v185
	v_add_f32_e32 v189, v189, v190
	v_mul_f32_e32 v190, v137, v185
	s_waitcnt vmcnt(2)
	v_fma_f32 v96, v137, v186, -v96
	v_fmac_f32_e32 v190, v138, v186
	v_add_f32_e32 v95, v95, v96
	s_waitcnt vmcnt(0) lgkmcnt(0)
	v_mul_f32_e32 v96, v140, v188
	v_add_f32_e32 v189, v189, v190
	v_mul_f32_e32 v190, v139, v188
	v_fma_f32 v96, v139, v187, -v96
	v_fmac_f32_e32 v190, v140, v187
	v_add_f32_e32 v95, v95, v96
	v_add_f32_e32 v189, v189, v190
	v_sub_f32_e32 v95, v183, v95
	v_sub_f32_e32 v96, v184, v189
	buffer_store_dword v95, off, s[0:3], 0 offset:176
	buffer_store_dword v96, off, s[0:3], 0 offset:180
	s_and_saveexec_b64 s[4:5], vcc
	s_cbranch_execz .LBB45_247
; %bb.246:
	buffer_load_dword v95, off, s[0:3], 0 offset:168
	buffer_load_dword v96, off, s[0:3], 0 offset:172
	s_waitcnt vmcnt(0)
	ds_write_b64 v93, v[95:96]
	buffer_store_dword v94, off, s[0:3], 0 offset:168
	buffer_store_dword v94, off, s[0:3], 0 offset:172
.LBB45_247:
	s_or_b64 exec, exec, s[4:5]
	s_waitcnt lgkmcnt(0)
	; wave barrier
	buffer_load_dword v143, off, s[0:3], 0 offset:180
	buffer_load_dword v144, off, s[0:3], 0 offset:188
	;; [unrolled: 1-line block ×48, first 2 shown]
	ds_read_b128 v[95:98], v94 offset:544
	ds_read_b128 v[99:102], v94 offset:560
	buffer_load_dword v191, off, s[0:3], 0 offset:360
	buffer_load_dword v192, off, s[0:3], 0 offset:364
	ds_read_b128 v[103:106], v94 offset:576
	ds_read_b128 v[107:110], v94 offset:592
	;; [unrolled: 1-line block ×5, first 2 shown]
	v_cmp_lt_u32_e32 vcc, 20, v0
	s_waitcnt vmcnt(49) lgkmcnt(6)
	v_mul_f32_e32 v123, v95, v143
	s_waitcnt vmcnt(48)
	v_mul_f32_e32 v124, v97, v144
	s_waitcnt vmcnt(47) lgkmcnt(5)
	v_mul_f32_e32 v125, v99, v145
	s_waitcnt vmcnt(46)
	v_mul_f32_e32 v126, v101, v146
	;; [unrolled: 4-line block ×6, first 2 shown]
	s_waitcnt vmcnt(37)
	v_fmac_f32_e32 v123, v96, v155
	v_mul_f32_e32 v96, v96, v143
	v_fma_f32 v95, v95, v155, -v96
	v_mul_f32_e32 v96, v98, v144
	v_add_f32_e32 v95, 0, v95
	s_waitcnt vmcnt(36)
	v_fma_f32 v96, v97, v156, -v96
	v_add_f32_e32 v95, v95, v96
	v_mul_f32_e32 v96, v100, v145
	s_waitcnt vmcnt(35)
	v_fma_f32 v96, v99, v157, -v96
	v_fmac_f32_e32 v124, v98, v156
	v_add_f32_e32 v123, 0, v123
	v_add_f32_e32 v95, v95, v96
	v_mul_f32_e32 v96, v102, v146
	v_fmac_f32_e32 v125, v100, v157
	v_add_f32_e32 v123, v123, v124
	s_waitcnt vmcnt(34)
	v_fma_f32 v96, v101, v158, -v96
	v_fmac_f32_e32 v126, v102, v158
	v_add_f32_e32 v123, v123, v125
	v_add_f32_e32 v95, v95, v96
	v_mul_f32_e32 v96, v104, v147
	s_waitcnt vmcnt(33)
	v_fmac_f32_e32 v127, v104, v159
	v_add_f32_e32 v123, v123, v126
	v_fma_f32 v96, v103, v159, -v96
	s_waitcnt vmcnt(32)
	v_fmac_f32_e32 v128, v106, v160
	v_add_f32_e32 v123, v123, v127
	v_add_f32_e32 v95, v95, v96
	v_mul_f32_e32 v96, v106, v148
	s_waitcnt vmcnt(31)
	v_fmac_f32_e32 v129, v108, v161
	v_add_f32_e32 v123, v123, v128
	v_fma_f32 v96, v105, v160, -v96
	s_waitcnt vmcnt(30)
	;; [unrolled: 9-line block ×3, first 2 shown]
	v_fmac_f32_e32 v132, v114, v164
	v_add_f32_e32 v123, v123, v131
	v_add_f32_e32 v95, v95, v96
	v_mul_f32_e32 v96, v110, v150
	s_waitcnt vmcnt(27)
	v_fmac_f32_e32 v133, v116, v165
	v_add_f32_e32 v123, v123, v132
	v_fma_f32 v96, v109, v162, -v96
	v_add_f32_e32 v123, v123, v133
	s_waitcnt vmcnt(26)
	v_fmac_f32_e32 v134, v118, v166
	v_add_f32_e32 v95, v95, v96
	v_mul_f32_e32 v96, v112, v151
	v_add_f32_e32 v127, v123, v134
	ds_read_b128 v[123:126], v94 offset:656
	v_fma_f32 v96, v111, v163, -v96
	s_waitcnt vmcnt(25) lgkmcnt(1)
	v_mul_f32_e32 v128, v119, v167
	v_add_f32_e32 v95, v95, v96
	v_mul_f32_e32 v96, v114, v152
	s_waitcnt vmcnt(24)
	v_fmac_f32_e32 v128, v120, v168
	v_fma_f32 v96, v113, v164, -v96
	v_add_f32_e32 v127, v127, v128
	s_waitcnt vmcnt(23)
	v_mul_f32_e32 v128, v121, v169
	v_add_f32_e32 v95, v95, v96
	v_mul_f32_e32 v96, v116, v153
	s_waitcnt vmcnt(22)
	v_fmac_f32_e32 v128, v122, v170
	v_fma_f32 v96, v115, v165, -v96
	v_add_f32_e32 v127, v127, v128
	s_waitcnt vmcnt(21) lgkmcnt(0)
	v_mul_f32_e32 v128, v123, v171
	v_add_f32_e32 v95, v95, v96
	v_mul_f32_e32 v96, v118, v154
	s_waitcnt vmcnt(20)
	v_fmac_f32_e32 v128, v124, v172
	v_fma_f32 v96, v117, v166, -v96
	v_add_f32_e32 v131, v127, v128
	ds_read_b128 v[127:130], v94 offset:672
	v_add_f32_e32 v95, v95, v96
	v_mul_f32_e32 v96, v120, v167
	v_fma_f32 v96, v119, v168, -v96
	s_waitcnt vmcnt(19)
	v_mul_f32_e32 v132, v125, v173
	v_add_f32_e32 v95, v95, v96
	v_mul_f32_e32 v96, v122, v169
	s_waitcnt vmcnt(18)
	v_fmac_f32_e32 v132, v126, v174
	v_fma_f32 v96, v121, v170, -v96
	v_add_f32_e32 v135, v131, v132
	ds_read_b128 v[131:134], v94 offset:688
	v_add_f32_e32 v95, v95, v96
	v_mul_f32_e32 v96, v124, v171
	s_waitcnt vmcnt(17) lgkmcnt(1)
	v_mul_f32_e32 v136, v127, v175
	v_fma_f32 v96, v123, v172, -v96
	s_waitcnt vmcnt(16)
	v_fmac_f32_e32 v136, v128, v176
	v_add_f32_e32 v95, v95, v96
	v_mul_f32_e32 v96, v126, v173
	v_add_f32_e32 v135, v135, v136
	s_waitcnt vmcnt(15)
	v_mul_f32_e32 v136, v129, v177
	v_fma_f32 v96, v125, v174, -v96
	s_waitcnt vmcnt(14)
	v_fmac_f32_e32 v136, v130, v178
	v_add_f32_e32 v95, v95, v96
	v_mul_f32_e32 v96, v128, v175
	v_add_f32_e32 v135, v135, v136
	s_waitcnt vmcnt(13) lgkmcnt(0)
	v_mul_f32_e32 v136, v131, v179
	v_fma_f32 v96, v127, v176, -v96
	s_waitcnt vmcnt(12)
	v_fmac_f32_e32 v136, v132, v180
	v_add_f32_e32 v95, v95, v96
	v_mul_f32_e32 v96, v130, v177
	v_add_f32_e32 v139, v135, v136
	ds_read_b128 v[135:138], v94 offset:704
	v_fma_f32 v96, v129, v178, -v96
	v_add_f32_e32 v95, v95, v96
	v_mul_f32_e32 v96, v132, v179
	s_waitcnt vmcnt(11)
	v_mul_f32_e32 v140, v133, v181
	v_fma_f32 v96, v131, v180, -v96
	s_waitcnt vmcnt(10)
	v_fmac_f32_e32 v140, v134, v182
	v_add_f32_e32 v95, v95, v96
	v_mul_f32_e32 v96, v134, v181
	v_add_f32_e32 v193, v139, v140
	ds_read_b128 v[139:142], v94 offset:720
	v_fma_f32 v96, v133, v182, -v96
	v_add_f32_e32 v95, v95, v96
	s_waitcnt vmcnt(7) lgkmcnt(1)
	v_mul_f32_e32 v96, v136, v185
	v_mul_f32_e32 v94, v135, v185
	s_waitcnt vmcnt(6)
	v_fma_f32 v96, v135, v186, -v96
	v_fmac_f32_e32 v94, v136, v186
	v_add_f32_e32 v95, v95, v96
	s_waitcnt vmcnt(4)
	v_mul_f32_e32 v96, v138, v188
	v_add_f32_e32 v94, v193, v94
	v_mul_f32_e32 v193, v137, v188
	v_fma_f32 v96, v137, v187, -v96
	v_fmac_f32_e32 v193, v138, v187
	v_add_f32_e32 v95, v95, v96
	s_waitcnt vmcnt(2) lgkmcnt(0)
	v_mul_f32_e32 v96, v140, v190
	v_add_f32_e32 v94, v94, v193
	v_mul_f32_e32 v193, v139, v190
	v_fma_f32 v96, v139, v189, -v96
	v_fmac_f32_e32 v193, v140, v189
	v_add_f32_e32 v95, v95, v96
	s_waitcnt vmcnt(0)
	v_mul_f32_e32 v96, v142, v192
	v_add_f32_e32 v94, v94, v193
	v_mul_f32_e32 v193, v141, v192
	v_fma_f32 v96, v141, v191, -v96
	v_fmac_f32_e32 v193, v142, v191
	v_add_f32_e32 v95, v95, v96
	v_add_f32_e32 v94, v94, v193
	v_sub_f32_e32 v95, v183, v95
	v_sub_f32_e32 v94, v184, v94
	buffer_store_dword v95, off, s[0:3], 0 offset:168
	buffer_store_dword v94, off, s[0:3], 0 offset:172
	s_and_saveexec_b64 s[4:5], vcc
	s_cbranch_execz .LBB45_249
; %bb.248:
	buffer_load_dword v94, off, s[0:3], 0 offset:160
	buffer_load_dword v95, off, s[0:3], 0 offset:164
	v_mov_b32_e32 v96, 0
	buffer_store_dword v96, off, s[0:3], 0 offset:160
	buffer_store_dword v96, off, s[0:3], 0 offset:164
	s_waitcnt vmcnt(2)
	ds_write_b64 v93, v[94:95]
.LBB45_249:
	s_or_b64 exec, exec, s[4:5]
	s_waitcnt lgkmcnt(0)
	; wave barrier
	buffer_load_dword v145, off, s[0:3], 0 offset:172
	buffer_load_dword v146, off, s[0:3], 0 offset:180
	;; [unrolled: 1-line block ×52, first 2 shown]
	v_mov_b32_e32 v94, 0
	ds_read2_b64 v[95:98], v94 offset0:67 offset1:68
	ds_read2_b64 v[99:102], v94 offset0:69 offset1:70
	;; [unrolled: 1-line block ×6, first 2 shown]
	v_cmp_lt_u32_e32 vcc, 19, v0
	s_waitcnt vmcnt(51) lgkmcnt(5)
	v_mul_f32_e32 v119, v95, v145
	s_waitcnt vmcnt(50)
	v_mul_f32_e32 v120, v97, v146
	s_waitcnt vmcnt(49) lgkmcnt(4)
	v_mul_f32_e32 v121, v99, v147
	s_waitcnt vmcnt(48)
	v_mul_f32_e32 v122, v101, v148
	;; [unrolled: 4-line block ×5, first 2 shown]
	s_waitcnt vmcnt(41) lgkmcnt(0)
	v_mul_f32_e32 v129, v115, v155
	s_waitcnt vmcnt(40)
	v_fmac_f32_e32 v119, v96, v156
	v_mul_f32_e32 v96, v96, v145
	s_waitcnt vmcnt(39)
	v_fmac_f32_e32 v120, v98, v157
	v_add_f32_e32 v119, 0, v119
	v_fma_f32 v95, v95, v156, -v96
	v_mul_f32_e32 v96, v98, v146
	s_waitcnt vmcnt(38)
	v_fmac_f32_e32 v121, v100, v158
	v_add_f32_e32 v119, v119, v120
	v_add_f32_e32 v95, 0, v95
	v_fma_f32 v96, v97, v157, -v96
	s_waitcnt vmcnt(37)
	v_fmac_f32_e32 v122, v102, v159
	v_add_f32_e32 v119, v119, v121
	v_add_f32_e32 v95, v95, v96
	v_mul_f32_e32 v96, v100, v147
	s_waitcnt vmcnt(36)
	v_fmac_f32_e32 v123, v104, v160
	v_add_f32_e32 v119, v119, v122
	v_fma_f32 v96, v99, v158, -v96
	s_waitcnt vmcnt(35)
	v_fmac_f32_e32 v124, v106, v161
	v_add_f32_e32 v119, v119, v123
	v_add_f32_e32 v95, v95, v96
	v_mul_f32_e32 v96, v102, v148
	s_waitcnt vmcnt(34)
	v_fmac_f32_e32 v125, v108, v162
	;; [unrolled: 9-line block ×3, first 2 shown]
	v_add_f32_e32 v119, v119, v126
	v_fma_f32 v96, v103, v160, -v96
	s_waitcnt vmcnt(31)
	v_fmac_f32_e32 v128, v114, v165
	v_add_f32_e32 v119, v119, v127
	v_add_f32_e32 v95, v95, v96
	v_mul_f32_e32 v96, v106, v150
	v_add_f32_e32 v119, v119, v128
	s_waitcnt vmcnt(30)
	v_fmac_f32_e32 v129, v116, v166
	v_fma_f32 v96, v105, v161, -v96
	v_add_f32_e32 v123, v119, v129
	ds_read2_b64 v[119:122], v94 offset0:79 offset1:80
	v_add_f32_e32 v95, v95, v96
	v_mul_f32_e32 v96, v108, v151
	v_fma_f32 v96, v107, v162, -v96
	s_waitcnt vmcnt(29)
	v_mul_f32_e32 v124, v117, v167
	v_add_f32_e32 v95, v95, v96
	v_mul_f32_e32 v96, v110, v152
	s_waitcnt vmcnt(28)
	v_fmac_f32_e32 v124, v118, v168
	v_fma_f32 v96, v109, v163, -v96
	v_add_f32_e32 v127, v123, v124
	ds_read2_b64 v[123:126], v94 offset0:81 offset1:82
	v_add_f32_e32 v95, v95, v96
	v_mul_f32_e32 v96, v112, v153
	s_waitcnt vmcnt(27) lgkmcnt(1)
	v_mul_f32_e32 v128, v119, v169
	v_fma_f32 v96, v111, v164, -v96
	s_waitcnt vmcnt(26)
	v_fmac_f32_e32 v128, v120, v170
	v_add_f32_e32 v95, v95, v96
	v_mul_f32_e32 v96, v114, v154
	v_add_f32_e32 v127, v127, v128
	s_waitcnt vmcnt(25)
	v_mul_f32_e32 v128, v121, v171
	v_fma_f32 v96, v113, v165, -v96
	s_waitcnt vmcnt(24)
	v_fmac_f32_e32 v128, v122, v172
	v_add_f32_e32 v95, v95, v96
	v_mul_f32_e32 v96, v116, v155
	v_add_f32_e32 v127, v127, v128
	s_waitcnt vmcnt(23) lgkmcnt(0)
	v_mul_f32_e32 v128, v123, v173
	v_fma_f32 v96, v115, v166, -v96
	s_waitcnt vmcnt(22)
	v_fmac_f32_e32 v128, v124, v174
	v_add_f32_e32 v95, v95, v96
	v_mul_f32_e32 v96, v118, v167
	v_add_f32_e32 v131, v127, v128
	ds_read2_b64 v[127:130], v94 offset0:83 offset1:84
	v_fma_f32 v96, v117, v168, -v96
	v_add_f32_e32 v95, v95, v96
	v_mul_f32_e32 v96, v120, v169
	s_waitcnt vmcnt(21)
	v_mul_f32_e32 v132, v125, v175
	v_fma_f32 v96, v119, v170, -v96
	s_waitcnt vmcnt(20)
	v_fmac_f32_e32 v132, v126, v176
	v_add_f32_e32 v95, v95, v96
	v_mul_f32_e32 v96, v122, v171
	v_add_f32_e32 v135, v131, v132
	ds_read2_b64 v[131:134], v94 offset0:85 offset1:86
	v_fma_f32 v96, v121, v172, -v96
	s_waitcnt vmcnt(19) lgkmcnt(1)
	v_mul_f32_e32 v136, v127, v177
	v_add_f32_e32 v95, v95, v96
	v_mul_f32_e32 v96, v124, v173
	s_waitcnt vmcnt(18)
	v_fmac_f32_e32 v136, v128, v178
	v_fma_f32 v96, v123, v174, -v96
	v_add_f32_e32 v135, v135, v136
	s_waitcnt vmcnt(17)
	v_mul_f32_e32 v136, v129, v179
	v_add_f32_e32 v95, v95, v96
	v_mul_f32_e32 v96, v126, v175
	s_waitcnt vmcnt(16)
	v_fmac_f32_e32 v136, v130, v180
	v_fma_f32 v96, v125, v176, -v96
	v_add_f32_e32 v135, v135, v136
	s_waitcnt vmcnt(14) lgkmcnt(0)
	v_mul_f32_e32 v136, v131, v182
	v_add_f32_e32 v95, v95, v96
	v_mul_f32_e32 v96, v128, v177
	v_fmac_f32_e32 v136, v132, v181
	v_fma_f32 v96, v127, v178, -v96
	v_add_f32_e32 v139, v135, v136
	ds_read2_b64 v[135:138], v94 offset0:87 offset1:88
	v_add_f32_e32 v95, v95, v96
	v_mul_f32_e32 v96, v130, v179
	v_fma_f32 v96, v129, v180, -v96
	v_add_f32_e32 v95, v95, v96
	v_mul_f32_e32 v96, v132, v182
	s_waitcnt vmcnt(11)
	v_mul_f32_e32 v140, v133, v185
	v_fma_f32 v96, v131, v181, -v96
	s_waitcnt vmcnt(10)
	v_fmac_f32_e32 v140, v134, v186
	v_add_f32_e32 v95, v95, v96
	v_mul_f32_e32 v96, v134, v185
	v_add_f32_e32 v143, v139, v140
	ds_read2_b64 v[139:142], v94 offset0:89 offset1:90
	s_waitcnt vmcnt(8) lgkmcnt(1)
	v_mul_f32_e32 v144, v135, v188
	v_fma_f32 v96, v133, v186, -v96
	v_fmac_f32_e32 v144, v136, v187
	v_add_f32_e32 v95, v95, v96
	v_mul_f32_e32 v96, v136, v188
	v_add_f32_e32 v143, v143, v144
	s_waitcnt vmcnt(6)
	v_mul_f32_e32 v144, v137, v190
	v_fma_f32 v96, v135, v187, -v96
	v_fmac_f32_e32 v144, v138, v189
	v_add_f32_e32 v95, v95, v96
	v_mul_f32_e32 v96, v138, v190
	v_add_f32_e32 v197, v143, v144
	ds_read_b64 v[143:144], v94 offset:728
	v_fma_f32 v96, v137, v189, -v96
	v_add_f32_e32 v95, v95, v96
	s_waitcnt vmcnt(4) lgkmcnt(1)
	v_mul_f32_e32 v96, v140, v192
	v_mul_f32_e32 v198, v139, v192
	v_fma_f32 v96, v139, v191, -v96
	v_fmac_f32_e32 v198, v140, v191
	v_add_f32_e32 v95, v95, v96
	s_waitcnt vmcnt(2)
	v_mul_f32_e32 v96, v142, v194
	v_add_f32_e32 v197, v197, v198
	v_mul_f32_e32 v198, v141, v194
	v_fma_f32 v96, v141, v193, -v96
	v_fmac_f32_e32 v198, v142, v193
	v_add_f32_e32 v95, v95, v96
	s_waitcnt vmcnt(0) lgkmcnt(0)
	v_mul_f32_e32 v96, v144, v196
	v_add_f32_e32 v197, v197, v198
	v_mul_f32_e32 v198, v143, v196
	v_fma_f32 v96, v143, v195, -v96
	v_fmac_f32_e32 v198, v144, v195
	v_add_f32_e32 v95, v95, v96
	v_add_f32_e32 v197, v197, v198
	v_sub_f32_e32 v95, v183, v95
	v_sub_f32_e32 v96, v184, v197
	buffer_store_dword v95, off, s[0:3], 0 offset:160
	buffer_store_dword v96, off, s[0:3], 0 offset:164
	s_and_saveexec_b64 s[4:5], vcc
	s_cbranch_execz .LBB45_251
; %bb.250:
	buffer_load_dword v95, off, s[0:3], 0 offset:152
	buffer_load_dword v96, off, s[0:3], 0 offset:156
	s_waitcnt vmcnt(0)
	ds_write_b64 v93, v[95:96]
	buffer_store_dword v94, off, s[0:3], 0 offset:152
	buffer_store_dword v94, off, s[0:3], 0 offset:156
.LBB45_251:
	s_or_b64 exec, exec, s[4:5]
	s_waitcnt lgkmcnt(0)
	; wave barrier
	buffer_load_dword v147, off, s[0:3], 0 offset:164
	buffer_load_dword v148, off, s[0:3], 0 offset:172
	;; [unrolled: 1-line block ×42, first 2 shown]
	ds_read_b128 v[95:98], v94 offset:528
	ds_read_b128 v[99:102], v94 offset:544
	;; [unrolled: 1-line block ×4, first 2 shown]
	buffer_load_dword v189, off, s[0:3], 0 offset:324
	buffer_load_dword v190, off, s[0:3], 0 offset:320
	;; [unrolled: 1-line block ×6, first 2 shown]
	ds_read_b128 v[111:114], v94 offset:592
	ds_read_b128 v[115:118], v94 offset:608
	buffer_load_dword v195, off, s[0:3], 0 offset:344
	buffer_load_dword v196, off, s[0:3], 0 offset:348
	;; [unrolled: 1-line block ×6, first 2 shown]
	v_cmp_lt_u32_e32 vcc, 18, v0
	s_waitcnt vmcnt(53) lgkmcnt(5)
	v_mul_f32_e32 v119, v95, v147
	s_waitcnt vmcnt(52)
	v_mul_f32_e32 v120, v97, v148
	s_waitcnt vmcnt(51) lgkmcnt(4)
	v_mul_f32_e32 v121, v99, v149
	s_waitcnt vmcnt(50)
	v_mul_f32_e32 v122, v101, v150
	;; [unrolled: 4-line block ×5, first 2 shown]
	s_waitcnt vmcnt(43)
	v_fmac_f32_e32 v119, v96, v157
	v_mul_f32_e32 v96, v96, v147
	s_waitcnt vmcnt(42)
	v_fmac_f32_e32 v120, v98, v158
	v_add_f32_e32 v119, 0, v119
	v_fma_f32 v95, v95, v157, -v96
	v_mul_f32_e32 v96, v98, v148
	s_waitcnt vmcnt(41)
	v_fmac_f32_e32 v121, v100, v159
	v_add_f32_e32 v119, v119, v120
	v_add_f32_e32 v95, 0, v95
	v_fma_f32 v96, v97, v158, -v96
	s_waitcnt vmcnt(40)
	v_fmac_f32_e32 v122, v102, v160
	v_add_f32_e32 v119, v119, v121
	v_add_f32_e32 v95, v95, v96
	v_mul_f32_e32 v96, v100, v149
	s_waitcnt vmcnt(39)
	v_fmac_f32_e32 v123, v104, v161
	v_add_f32_e32 v119, v119, v122
	v_fma_f32 v96, v99, v159, -v96
	s_waitcnt vmcnt(38)
	v_fmac_f32_e32 v124, v106, v162
	v_add_f32_e32 v119, v119, v123
	v_add_f32_e32 v95, v95, v96
	v_mul_f32_e32 v96, v102, v150
	s_waitcnt vmcnt(37)
	v_fmac_f32_e32 v125, v108, v163
	;; [unrolled: 9-line block ×3, first 2 shown]
	v_add_f32_e32 v119, v119, v126
	v_fma_f32 v96, v103, v161, -v96
	s_waitcnt vmcnt(34)
	v_fmac_f32_e32 v128, v114, v166
	v_add_f32_e32 v119, v119, v127
	s_waitcnt vmcnt(33) lgkmcnt(0)
	v_mul_f32_e32 v120, v115, v167
	v_add_f32_e32 v95, v95, v96
	v_mul_f32_e32 v96, v106, v152
	v_add_f32_e32 v119, v119, v128
	s_waitcnt vmcnt(32)
	v_fmac_f32_e32 v120, v116, v168
	v_fma_f32 v96, v105, v162, -v96
	v_add_f32_e32 v123, v119, v120
	ds_read_b128 v[119:122], v94 offset:624
	v_add_f32_e32 v95, v95, v96
	v_mul_f32_e32 v96, v108, v153
	v_fma_f32 v96, v107, v163, -v96
	s_waitcnt vmcnt(31)
	v_mul_f32_e32 v124, v117, v169
	v_add_f32_e32 v95, v95, v96
	v_mul_f32_e32 v96, v110, v154
	s_waitcnt vmcnt(30)
	v_fmac_f32_e32 v124, v118, v170
	v_fma_f32 v96, v109, v164, -v96
	v_add_f32_e32 v127, v123, v124
	ds_read_b128 v[123:126], v94 offset:640
	v_add_f32_e32 v95, v95, v96
	v_mul_f32_e32 v96, v112, v155
	s_waitcnt vmcnt(29) lgkmcnt(1)
	v_mul_f32_e32 v128, v119, v171
	v_fma_f32 v96, v111, v165, -v96
	s_waitcnt vmcnt(28)
	v_fmac_f32_e32 v128, v120, v172
	v_add_f32_e32 v95, v95, v96
	v_mul_f32_e32 v96, v114, v156
	v_add_f32_e32 v127, v127, v128
	s_waitcnt vmcnt(27)
	v_mul_f32_e32 v128, v121, v173
	v_fma_f32 v96, v113, v166, -v96
	s_waitcnt vmcnt(26)
	v_fmac_f32_e32 v128, v122, v174
	v_add_f32_e32 v95, v95, v96
	v_mul_f32_e32 v96, v116, v167
	v_add_f32_e32 v127, v127, v128
	s_waitcnt vmcnt(25) lgkmcnt(0)
	v_mul_f32_e32 v128, v123, v175
	v_fma_f32 v96, v115, v168, -v96
	s_waitcnt vmcnt(24)
	v_fmac_f32_e32 v128, v124, v176
	v_add_f32_e32 v95, v95, v96
	v_mul_f32_e32 v96, v118, v169
	v_add_f32_e32 v131, v127, v128
	ds_read_b128 v[127:130], v94 offset:656
	v_fma_f32 v96, v117, v170, -v96
	v_add_f32_e32 v95, v95, v96
	v_mul_f32_e32 v96, v120, v171
	s_waitcnt vmcnt(23)
	v_mul_f32_e32 v132, v125, v177
	v_fma_f32 v96, v119, v172, -v96
	s_waitcnt vmcnt(22)
	v_fmac_f32_e32 v132, v126, v178
	v_add_f32_e32 v95, v95, v96
	v_mul_f32_e32 v96, v122, v173
	v_add_f32_e32 v135, v131, v132
	ds_read_b128 v[131:134], v94 offset:672
	v_fma_f32 v96, v121, v174, -v96
	s_waitcnt vmcnt(21) lgkmcnt(1)
	v_mul_f32_e32 v136, v127, v179
	v_add_f32_e32 v95, v95, v96
	v_mul_f32_e32 v96, v124, v175
	s_waitcnt vmcnt(20)
	v_fmac_f32_e32 v136, v128, v180
	v_fma_f32 v96, v123, v176, -v96
	v_add_f32_e32 v135, v135, v136
	s_waitcnt vmcnt(18)
	v_mul_f32_e32 v136, v129, v182
	v_add_f32_e32 v95, v95, v96
	v_mul_f32_e32 v96, v126, v177
	v_fmac_f32_e32 v136, v130, v181
	v_fma_f32 v96, v125, v178, -v96
	v_add_f32_e32 v135, v135, v136
	s_waitcnt vmcnt(15) lgkmcnt(0)
	v_mul_f32_e32 v136, v131, v185
	v_add_f32_e32 v95, v95, v96
	v_mul_f32_e32 v96, v128, v179
	s_waitcnt vmcnt(14)
	v_fmac_f32_e32 v136, v132, v186
	v_fma_f32 v96, v127, v180, -v96
	v_add_f32_e32 v139, v135, v136
	ds_read_b128 v[135:138], v94 offset:688
	v_add_f32_e32 v95, v95, v96
	v_mul_f32_e32 v96, v130, v182
	v_fma_f32 v96, v129, v181, -v96
	v_add_f32_e32 v95, v95, v96
	v_mul_f32_e32 v96, v132, v185
	s_waitcnt vmcnt(12)
	v_mul_f32_e32 v140, v133, v188
	v_fma_f32 v96, v131, v186, -v96
	v_fmac_f32_e32 v140, v134, v187
	v_add_f32_e32 v95, v95, v96
	v_mul_f32_e32 v96, v134, v188
	v_add_f32_e32 v143, v139, v140
	ds_read_b128 v[139:142], v94 offset:704
	s_waitcnt vmcnt(11) lgkmcnt(1)
	v_mul_f32_e32 v144, v135, v189
	v_fma_f32 v96, v133, v187, -v96
	s_waitcnt vmcnt(10)
	v_fmac_f32_e32 v144, v136, v190
	v_add_f32_e32 v95, v95, v96
	v_mul_f32_e32 v96, v136, v189
	v_add_f32_e32 v143, v143, v144
	s_waitcnt vmcnt(8)
	v_mul_f32_e32 v144, v137, v192
	v_fma_f32 v96, v135, v190, -v96
	v_fmac_f32_e32 v144, v138, v191
	v_add_f32_e32 v95, v95, v96
	v_mul_f32_e32 v96, v138, v192
	v_add_f32_e32 v201, v143, v144
	ds_read_b128 v[143:146], v94 offset:720
	v_fma_f32 v96, v137, v191, -v96
	v_add_f32_e32 v95, v95, v96
	s_waitcnt vmcnt(6) lgkmcnt(1)
	v_mul_f32_e32 v96, v140, v194
	v_mul_f32_e32 v202, v139, v194
	v_fma_f32 v96, v139, v193, -v96
	v_fmac_f32_e32 v202, v140, v193
	v_add_f32_e32 v95, v95, v96
	s_waitcnt vmcnt(4)
	v_mul_f32_e32 v96, v142, v196
	v_add_f32_e32 v94, v201, v202
	v_mul_f32_e32 v201, v141, v196
	v_fma_f32 v96, v141, v195, -v96
	v_fmac_f32_e32 v201, v142, v195
	v_add_f32_e32 v95, v95, v96
	s_waitcnt vmcnt(2) lgkmcnt(0)
	v_mul_f32_e32 v96, v144, v198
	v_add_f32_e32 v94, v94, v201
	v_mul_f32_e32 v201, v143, v198
	v_fma_f32 v96, v143, v197, -v96
	v_fmac_f32_e32 v201, v144, v197
	v_add_f32_e32 v95, v95, v96
	s_waitcnt vmcnt(0)
	v_mul_f32_e32 v96, v146, v200
	v_add_f32_e32 v94, v94, v201
	v_mul_f32_e32 v201, v145, v200
	v_fma_f32 v96, v145, v199, -v96
	v_fmac_f32_e32 v201, v146, v199
	v_add_f32_e32 v95, v95, v96
	v_add_f32_e32 v94, v94, v201
	v_sub_f32_e32 v95, v183, v95
	v_sub_f32_e32 v94, v184, v94
	buffer_store_dword v95, off, s[0:3], 0 offset:152
	buffer_store_dword v94, off, s[0:3], 0 offset:156
	s_and_saveexec_b64 s[4:5], vcc
	s_cbranch_execz .LBB45_253
; %bb.252:
	buffer_load_dword v94, off, s[0:3], 0 offset:144
	buffer_load_dword v95, off, s[0:3], 0 offset:148
	v_mov_b32_e32 v96, 0
	buffer_store_dword v96, off, s[0:3], 0 offset:144
	buffer_store_dword v96, off, s[0:3], 0 offset:148
	s_waitcnt vmcnt(2)
	ds_write_b64 v93, v[94:95]
.LBB45_253:
	s_or_b64 exec, exec, s[4:5]
	s_waitcnt lgkmcnt(0)
	; wave barrier
	buffer_load_dword v149, off, s[0:3], 0 offset:156
	buffer_load_dword v150, off, s[0:3], 0 offset:164
	;; [unrolled: 1-line block ×56, first 2 shown]
	v_mov_b32_e32 v94, 0
	ds_read2_b64 v[95:98], v94 offset0:65 offset1:66
	ds_read2_b64 v[99:102], v94 offset0:67 offset1:68
	;; [unrolled: 1-line block ×6, first 2 shown]
	v_cmp_lt_u32_e32 vcc, 17, v0
	s_waitcnt vmcnt(55) lgkmcnt(5)
	v_mul_f32_e32 v119, v95, v149
	s_waitcnt vmcnt(54)
	v_mul_f32_e32 v120, v97, v150
	s_waitcnt vmcnt(53) lgkmcnt(4)
	v_mul_f32_e32 v121, v99, v151
	s_waitcnt vmcnt(52)
	v_mul_f32_e32 v122, v101, v152
	;; [unrolled: 4-line block ×4, first 2 shown]
	s_waitcnt vmcnt(47) lgkmcnt(1)
	v_mul_f32_e32 v127, v111, v157
	s_waitcnt vmcnt(46)
	v_fmac_f32_e32 v119, v96, v158
	s_waitcnt vmcnt(45)
	v_fmac_f32_e32 v120, v98, v159
	v_add_f32_e32 v119, 0, v119
	s_waitcnt vmcnt(44)
	v_fmac_f32_e32 v121, v100, v160
	v_add_f32_e32 v119, v119, v120
	;; [unrolled: 3-line block ×3, first 2 shown]
	v_mul_f32_e32 v96, v96, v149
	s_waitcnt vmcnt(42)
	v_fmac_f32_e32 v123, v104, v162
	v_add_f32_e32 v119, v119, v122
	v_fma_f32 v95, v95, v158, -v96
	v_mul_f32_e32 v96, v98, v150
	s_waitcnt vmcnt(41)
	v_fmac_f32_e32 v124, v106, v163
	v_add_f32_e32 v119, v119, v123
	v_add_f32_e32 v95, 0, v95
	v_fma_f32 v96, v97, v159, -v96
	s_waitcnt vmcnt(40)
	v_fmac_f32_e32 v125, v108, v164
	v_add_f32_e32 v119, v119, v124
	v_add_f32_e32 v95, v95, v96
	v_mul_f32_e32 v96, v100, v151
	s_waitcnt vmcnt(39)
	v_fmac_f32_e32 v126, v110, v165
	v_add_f32_e32 v119, v119, v125
	v_fma_f32 v96, v99, v160, -v96
	v_add_f32_e32 v119, v119, v126
	s_waitcnt vmcnt(38)
	v_fmac_f32_e32 v127, v112, v166
	s_waitcnt vmcnt(37)
	v_mul_f32_e32 v120, v113, v167
	v_add_f32_e32 v95, v95, v96
	v_mul_f32_e32 v96, v102, v152
	v_add_f32_e32 v119, v119, v127
	s_waitcnt vmcnt(36)
	v_fmac_f32_e32 v120, v114, v168
	v_fma_f32 v96, v101, v161, -v96
	v_add_f32_e32 v119, v119, v120
	s_waitcnt vmcnt(35) lgkmcnt(0)
	v_mul_f32_e32 v120, v115, v169
	v_add_f32_e32 v95, v95, v96
	v_mul_f32_e32 v96, v104, v153
	s_waitcnt vmcnt(34)
	v_fmac_f32_e32 v120, v116, v170
	v_fma_f32 v96, v103, v162, -v96
	v_add_f32_e32 v123, v119, v120
	ds_read2_b64 v[119:122], v94 offset0:77 offset1:78
	v_add_f32_e32 v95, v95, v96
	v_mul_f32_e32 v96, v106, v154
	v_fma_f32 v96, v105, v163, -v96
	s_waitcnt vmcnt(33)
	v_mul_f32_e32 v124, v117, v171
	v_add_f32_e32 v95, v95, v96
	v_mul_f32_e32 v96, v108, v155
	s_waitcnt vmcnt(32)
	v_fmac_f32_e32 v124, v118, v172
	v_fma_f32 v96, v107, v164, -v96
	v_add_f32_e32 v127, v123, v124
	ds_read2_b64 v[123:126], v94 offset0:79 offset1:80
	v_add_f32_e32 v95, v95, v96
	v_mul_f32_e32 v96, v110, v156
	s_waitcnt vmcnt(31) lgkmcnt(1)
	v_mul_f32_e32 v128, v119, v173
	v_fma_f32 v96, v109, v165, -v96
	s_waitcnt vmcnt(30)
	v_fmac_f32_e32 v128, v120, v174
	v_add_f32_e32 v95, v95, v96
	v_mul_f32_e32 v96, v112, v157
	v_add_f32_e32 v127, v127, v128
	s_waitcnt vmcnt(29)
	v_mul_f32_e32 v128, v121, v175
	v_fma_f32 v96, v111, v166, -v96
	s_waitcnt vmcnt(28)
	v_fmac_f32_e32 v128, v122, v176
	v_add_f32_e32 v95, v95, v96
	v_mul_f32_e32 v96, v114, v167
	v_add_f32_e32 v127, v127, v128
	s_waitcnt vmcnt(27) lgkmcnt(0)
	v_mul_f32_e32 v128, v123, v177
	v_fma_f32 v96, v113, v168, -v96
	s_waitcnt vmcnt(26)
	v_fmac_f32_e32 v128, v124, v178
	v_add_f32_e32 v95, v95, v96
	v_mul_f32_e32 v96, v116, v169
	v_add_f32_e32 v131, v127, v128
	ds_read2_b64 v[127:130], v94 offset0:81 offset1:82
	v_fma_f32 v96, v115, v170, -v96
	v_add_f32_e32 v95, v95, v96
	v_mul_f32_e32 v96, v118, v171
	s_waitcnt vmcnt(24)
	v_mul_f32_e32 v132, v125, v180
	v_fma_f32 v96, v117, v172, -v96
	v_fmac_f32_e32 v132, v126, v179
	v_add_f32_e32 v95, v95, v96
	v_mul_f32_e32 v96, v120, v173
	v_add_f32_e32 v135, v131, v132
	ds_read2_b64 v[131:134], v94 offset0:83 offset1:84
	v_fma_f32 v96, v119, v174, -v96
	s_waitcnt vmcnt(21) lgkmcnt(1)
	v_mul_f32_e32 v136, v127, v183
	v_add_f32_e32 v95, v95, v96
	v_mul_f32_e32 v96, v122, v175
	s_waitcnt vmcnt(20)
	v_fmac_f32_e32 v136, v128, v184
	v_fma_f32 v96, v121, v176, -v96
	v_add_f32_e32 v135, v135, v136
	s_waitcnt vmcnt(18)
	v_mul_f32_e32 v136, v129, v186
	v_add_f32_e32 v95, v95, v96
	v_mul_f32_e32 v96, v124, v177
	v_fmac_f32_e32 v136, v130, v185
	v_fma_f32 v96, v123, v178, -v96
	v_add_f32_e32 v135, v135, v136
	s_waitcnt vmcnt(16) lgkmcnt(0)
	v_mul_f32_e32 v136, v131, v188
	v_add_f32_e32 v95, v95, v96
	v_mul_f32_e32 v96, v126, v180
	v_fmac_f32_e32 v136, v132, v187
	v_fma_f32 v96, v125, v179, -v96
	v_add_f32_e32 v139, v135, v136
	ds_read2_b64 v[135:138], v94 offset0:85 offset1:86
	v_add_f32_e32 v95, v95, v96
	v_mul_f32_e32 v96, v128, v183
	v_fma_f32 v96, v127, v184, -v96
	s_waitcnt vmcnt(14)
	v_mul_f32_e32 v140, v133, v190
	v_add_f32_e32 v95, v95, v96
	v_mul_f32_e32 v96, v130, v186
	v_fmac_f32_e32 v140, v134, v189
	v_fma_f32 v96, v129, v185, -v96
	v_add_f32_e32 v143, v139, v140
	ds_read2_b64 v[139:142], v94 offset0:87 offset1:88
	v_add_f32_e32 v95, v95, v96
	v_mul_f32_e32 v96, v132, v188
	s_waitcnt vmcnt(12) lgkmcnt(1)
	v_mul_f32_e32 v144, v135, v192
	v_fma_f32 v96, v131, v187, -v96
	v_fmac_f32_e32 v144, v136, v191
	v_add_f32_e32 v95, v95, v96
	v_mul_f32_e32 v96, v134, v190
	v_add_f32_e32 v143, v143, v144
	s_waitcnt vmcnt(10)
	v_mul_f32_e32 v144, v137, v194
	v_fma_f32 v96, v133, v189, -v96
	v_fmac_f32_e32 v144, v138, v193
	v_add_f32_e32 v95, v95, v96
	v_mul_f32_e32 v96, v136, v192
	v_add_f32_e32 v143, v143, v144
	s_waitcnt vmcnt(8) lgkmcnt(0)
	v_mul_f32_e32 v144, v139, v196
	v_fma_f32 v96, v135, v191, -v96
	v_fmac_f32_e32 v144, v140, v195
	v_add_f32_e32 v95, v95, v96
	v_mul_f32_e32 v96, v138, v194
	v_add_f32_e32 v147, v143, v144
	ds_read2_b64 v[143:146], v94 offset0:89 offset1:90
	v_fma_f32 v96, v137, v193, -v96
	v_add_f32_e32 v95, v95, v96
	v_mul_f32_e32 v96, v140, v196
	s_waitcnt vmcnt(6)
	v_mul_f32_e32 v148, v141, v198
	v_fma_f32 v96, v139, v195, -v96
	v_fmac_f32_e32 v148, v142, v197
	v_add_f32_e32 v95, v95, v96
	v_mul_f32_e32 v96, v142, v198
	v_add_f32_e32 v205, v147, v148
	ds_read_b64 v[147:148], v94 offset:728
	v_fma_f32 v96, v141, v197, -v96
	v_add_f32_e32 v95, v95, v96
	s_waitcnt vmcnt(4) lgkmcnt(1)
	v_mul_f32_e32 v96, v144, v200
	v_mul_f32_e32 v206, v143, v200
	v_fma_f32 v96, v143, v199, -v96
	v_fmac_f32_e32 v206, v144, v199
	v_add_f32_e32 v95, v95, v96
	s_waitcnt vmcnt(2)
	v_mul_f32_e32 v96, v146, v202
	v_add_f32_e32 v205, v205, v206
	v_mul_f32_e32 v206, v145, v202
	v_fma_f32 v96, v145, v201, -v96
	v_fmac_f32_e32 v206, v146, v201
	v_add_f32_e32 v95, v95, v96
	s_waitcnt vmcnt(0) lgkmcnt(0)
	v_mul_f32_e32 v96, v148, v204
	v_add_f32_e32 v205, v205, v206
	v_mul_f32_e32 v206, v147, v204
	v_fma_f32 v96, v147, v203, -v96
	v_fmac_f32_e32 v206, v148, v203
	v_add_f32_e32 v95, v95, v96
	v_add_f32_e32 v205, v205, v206
	v_sub_f32_e32 v95, v181, v95
	v_sub_f32_e32 v96, v182, v205
	buffer_store_dword v95, off, s[0:3], 0 offset:144
	buffer_store_dword v96, off, s[0:3], 0 offset:148
	s_and_saveexec_b64 s[4:5], vcc
	s_cbranch_execz .LBB45_255
; %bb.254:
	buffer_load_dword v95, off, s[0:3], 0 offset:136
	buffer_load_dword v96, off, s[0:3], 0 offset:140
	s_waitcnt vmcnt(0)
	ds_write_b64 v93, v[95:96]
	buffer_store_dword v94, off, s[0:3], 0 offset:136
	buffer_store_dword v94, off, s[0:3], 0 offset:140
.LBB45_255:
	s_or_b64 exec, exec, s[4:5]
	s_waitcnt lgkmcnt(0)
	; wave barrier
	buffer_load_dword v151, off, s[0:3], 0 offset:148
	buffer_load_dword v152, off, s[0:3], 0 offset:156
	;; [unrolled: 1-line block ×34, first 2 shown]
	ds_read_b128 v[95:98], v94 offset:512
	ds_read_b128 v[99:102], v94 offset:528
	buffer_load_dword v185, off, s[0:3], 0 offset:276
	buffer_load_dword v186, off, s[0:3], 0 offset:272
	;; [unrolled: 1-line block ×6, first 2 shown]
	ds_read_b128 v[103:106], v94 offset:544
	ds_read_b128 v[107:110], v94 offset:560
	;; [unrolled: 1-line block ×4, first 2 shown]
	buffer_load_dword v191, off, s[0:3], 0 offset:300
	buffer_load_dword v192, off, s[0:3], 0 offset:296
	;; [unrolled: 1-line block ×18, first 2 shown]
	v_cmp_lt_u32_e32 vcc, 16, v0
	s_waitcnt vmcnt(57) lgkmcnt(5)
	v_mul_f32_e32 v119, v95, v151
	s_waitcnt vmcnt(56)
	v_mul_f32_e32 v120, v97, v152
	s_waitcnt vmcnt(55) lgkmcnt(4)
	v_mul_f32_e32 v121, v99, v153
	s_waitcnt vmcnt(54)
	v_mul_f32_e32 v122, v101, v154
	s_waitcnt vmcnt(53) lgkmcnt(3)
	v_mul_f32_e32 v123, v103, v155
	s_waitcnt vmcnt(52)
	v_mul_f32_e32 v124, v105, v156
	s_waitcnt vmcnt(51) lgkmcnt(2)
	v_mul_f32_e32 v125, v107, v157
	s_waitcnt vmcnt(50)
	v_mul_f32_e32 v126, v109, v158
	s_waitcnt vmcnt(49)
	v_fmac_f32_e32 v119, v96, v159
	s_waitcnt vmcnt(48)
	v_fmac_f32_e32 v120, v98, v160
	v_add_f32_e32 v119, 0, v119
	s_waitcnt vmcnt(47)
	v_fmac_f32_e32 v121, v100, v161
	v_add_f32_e32 v119, v119, v120
	;; [unrolled: 3-line block ×4, first 2 shown]
	v_mul_f32_e32 v96, v96, v151
	s_waitcnt vmcnt(44)
	v_fmac_f32_e32 v124, v106, v164
	v_add_f32_e32 v119, v119, v123
	v_fma_f32 v95, v95, v159, -v96
	v_mul_f32_e32 v96, v98, v152
	s_waitcnt vmcnt(43)
	v_fmac_f32_e32 v125, v108, v165
	v_add_f32_e32 v119, v119, v124
	v_add_f32_e32 v95, 0, v95
	v_fma_f32 v96, v97, v160, -v96
	s_waitcnt vmcnt(42)
	v_fmac_f32_e32 v126, v110, v166
	v_add_f32_e32 v119, v119, v125
	s_waitcnt vmcnt(41) lgkmcnt(1)
	v_mul_f32_e32 v120, v111, v167
	v_add_f32_e32 v95, v95, v96
	v_mul_f32_e32 v96, v100, v153
	v_add_f32_e32 v119, v119, v126
	s_waitcnt vmcnt(40)
	v_fmac_f32_e32 v120, v112, v168
	v_fma_f32 v96, v99, v161, -v96
	v_add_f32_e32 v119, v119, v120
	s_waitcnt vmcnt(39)
	v_mul_f32_e32 v120, v113, v169
	v_add_f32_e32 v95, v95, v96
	v_mul_f32_e32 v96, v102, v154
	s_waitcnt vmcnt(38)
	v_fmac_f32_e32 v120, v114, v170
	v_fma_f32 v96, v101, v162, -v96
	v_add_f32_e32 v119, v119, v120
	s_waitcnt vmcnt(37) lgkmcnt(0)
	v_mul_f32_e32 v120, v115, v171
	v_add_f32_e32 v95, v95, v96
	v_mul_f32_e32 v96, v104, v155
	s_waitcnt vmcnt(36)
	v_fmac_f32_e32 v120, v116, v172
	v_fma_f32 v96, v103, v163, -v96
	v_add_f32_e32 v123, v119, v120
	ds_read_b128 v[119:122], v94 offset:608
	v_add_f32_e32 v95, v95, v96
	v_mul_f32_e32 v96, v106, v156
	v_fma_f32 v96, v105, v164, -v96
	s_waitcnt vmcnt(35)
	v_mul_f32_e32 v124, v117, v173
	v_add_f32_e32 v95, v95, v96
	v_mul_f32_e32 v96, v108, v157
	s_waitcnt vmcnt(34)
	v_fmac_f32_e32 v124, v118, v174
	v_fma_f32 v96, v107, v165, -v96
	v_add_f32_e32 v127, v123, v124
	ds_read_b128 v[123:126], v94 offset:624
	v_add_f32_e32 v95, v95, v96
	v_mul_f32_e32 v96, v110, v158
	s_waitcnt vmcnt(33) lgkmcnt(1)
	v_mul_f32_e32 v128, v119, v175
	v_fma_f32 v96, v109, v166, -v96
	s_waitcnt vmcnt(32)
	v_fmac_f32_e32 v128, v120, v176
	v_add_f32_e32 v95, v95, v96
	v_mul_f32_e32 v96, v112, v167
	v_add_f32_e32 v127, v127, v128
	s_waitcnt vmcnt(31)
	v_mul_f32_e32 v128, v121, v177
	v_fma_f32 v96, v111, v168, -v96
	s_waitcnt vmcnt(30)
	v_fmac_f32_e32 v128, v122, v178
	v_add_f32_e32 v95, v95, v96
	v_mul_f32_e32 v96, v114, v169
	v_add_f32_e32 v127, v127, v128
	s_waitcnt vmcnt(29) lgkmcnt(0)
	v_mul_f32_e32 v128, v123, v179
	v_fma_f32 v96, v113, v170, -v96
	s_waitcnt vmcnt(28)
	v_fmac_f32_e32 v128, v124, v180
	v_add_f32_e32 v95, v95, v96
	v_mul_f32_e32 v96, v116, v171
	v_add_f32_e32 v131, v127, v128
	ds_read_b128 v[127:130], v94 offset:640
	v_fma_f32 v96, v115, v172, -v96
	v_add_f32_e32 v95, v95, v96
	v_mul_f32_e32 v96, v118, v173
	s_waitcnt vmcnt(25)
	v_mul_f32_e32 v132, v125, v183
	v_fma_f32 v96, v117, v174, -v96
	s_waitcnt vmcnt(24)
	v_fmac_f32_e32 v132, v126, v184
	v_add_f32_e32 v95, v95, v96
	v_mul_f32_e32 v96, v120, v175
	v_add_f32_e32 v135, v131, v132
	ds_read_b128 v[131:134], v94 offset:656
	v_fma_f32 v96, v119, v176, -v96
	s_waitcnt vmcnt(23) lgkmcnt(1)
	v_mul_f32_e32 v136, v127, v185
	v_add_f32_e32 v95, v95, v96
	v_mul_f32_e32 v96, v122, v177
	s_waitcnt vmcnt(22)
	v_fmac_f32_e32 v136, v128, v186
	v_fma_f32 v96, v121, v178, -v96
	v_add_f32_e32 v135, v135, v136
	s_waitcnt vmcnt(20)
	v_mul_f32_e32 v136, v129, v188
	v_add_f32_e32 v95, v95, v96
	v_mul_f32_e32 v96, v124, v179
	v_fmac_f32_e32 v136, v130, v187
	v_fma_f32 v96, v123, v180, -v96
	v_add_f32_e32 v135, v135, v136
	s_waitcnt vmcnt(18) lgkmcnt(0)
	v_mul_f32_e32 v136, v131, v190
	v_add_f32_e32 v95, v95, v96
	v_mul_f32_e32 v96, v126, v183
	v_fmac_f32_e32 v136, v132, v189
	v_fma_f32 v96, v125, v184, -v96
	v_add_f32_e32 v139, v135, v136
	ds_read_b128 v[135:138], v94 offset:672
	v_add_f32_e32 v95, v95, v96
	v_mul_f32_e32 v96, v128, v185
	v_fma_f32 v96, v127, v186, -v96
	s_waitcnt vmcnt(17)
	v_mul_f32_e32 v140, v133, v191
	v_add_f32_e32 v95, v95, v96
	v_mul_f32_e32 v96, v130, v188
	s_waitcnt vmcnt(16)
	v_fmac_f32_e32 v140, v134, v192
	v_fma_f32 v96, v129, v187, -v96
	v_add_f32_e32 v143, v139, v140
	ds_read_b128 v[139:142], v94 offset:688
	v_add_f32_e32 v95, v95, v96
	v_mul_f32_e32 v96, v132, v190
	s_waitcnt vmcnt(14) lgkmcnt(1)
	v_mul_f32_e32 v144, v135, v194
	v_fma_f32 v96, v131, v189, -v96
	v_fmac_f32_e32 v144, v136, v193
	v_add_f32_e32 v95, v95, v96
	v_mul_f32_e32 v96, v134, v191
	v_add_f32_e32 v143, v143, v144
	s_waitcnt vmcnt(12)
	v_mul_f32_e32 v144, v137, v196
	v_fma_f32 v96, v133, v192, -v96
	v_fmac_f32_e32 v144, v138, v195
	v_add_f32_e32 v95, v95, v96
	v_mul_f32_e32 v96, v136, v194
	v_add_f32_e32 v143, v143, v144
	s_waitcnt vmcnt(10) lgkmcnt(0)
	v_mul_f32_e32 v144, v139, v198
	v_fma_f32 v96, v135, v193, -v96
	v_fmac_f32_e32 v144, v140, v197
	v_add_f32_e32 v95, v95, v96
	v_mul_f32_e32 v96, v138, v196
	v_add_f32_e32 v147, v143, v144
	ds_read_b128 v[143:146], v94 offset:704
	v_fma_f32 v96, v137, v195, -v96
	v_add_f32_e32 v95, v95, v96
	v_mul_f32_e32 v96, v140, v198
	s_waitcnt vmcnt(8)
	v_mul_f32_e32 v148, v141, v200
	v_fma_f32 v96, v139, v197, -v96
	v_fmac_f32_e32 v148, v142, v199
	v_add_f32_e32 v95, v95, v96
	v_mul_f32_e32 v96, v142, v200
	v_add_f32_e32 v209, v147, v148
	ds_read_b128 v[147:150], v94 offset:720
	v_fma_f32 v96, v141, v199, -v96
	v_add_f32_e32 v95, v95, v96
	s_waitcnt vmcnt(6) lgkmcnt(1)
	v_mul_f32_e32 v96, v144, v202
	v_mul_f32_e32 v94, v143, v202
	v_fma_f32 v96, v143, v201, -v96
	v_fmac_f32_e32 v94, v144, v201
	v_add_f32_e32 v95, v95, v96
	s_waitcnt vmcnt(4)
	v_mul_f32_e32 v96, v146, v204
	v_add_f32_e32 v94, v209, v94
	v_mul_f32_e32 v209, v145, v204
	v_fma_f32 v96, v145, v203, -v96
	v_fmac_f32_e32 v209, v146, v203
	v_add_f32_e32 v95, v95, v96
	s_waitcnt vmcnt(2) lgkmcnt(0)
	v_mul_f32_e32 v96, v148, v206
	v_add_f32_e32 v94, v94, v209
	v_mul_f32_e32 v209, v147, v206
	v_fma_f32 v96, v147, v205, -v96
	v_fmac_f32_e32 v209, v148, v205
	v_add_f32_e32 v95, v95, v96
	s_waitcnt vmcnt(0)
	v_mul_f32_e32 v96, v150, v208
	v_add_f32_e32 v94, v94, v209
	v_mul_f32_e32 v209, v149, v208
	v_fma_f32 v96, v149, v207, -v96
	v_fmac_f32_e32 v209, v150, v207
	v_add_f32_e32 v95, v95, v96
	v_add_f32_e32 v94, v94, v209
	v_sub_f32_e32 v95, v181, v95
	v_sub_f32_e32 v94, v182, v94
	buffer_store_dword v95, off, s[0:3], 0 offset:136
	buffer_store_dword v94, off, s[0:3], 0 offset:140
	s_and_saveexec_b64 s[4:5], vcc
	s_cbranch_execz .LBB45_257
; %bb.256:
	buffer_load_dword v94, off, s[0:3], 0 offset:128
	buffer_load_dword v95, off, s[0:3], 0 offset:132
	v_mov_b32_e32 v96, 0
	buffer_store_dword v96, off, s[0:3], 0 offset:128
	buffer_store_dword v96, off, s[0:3], 0 offset:132
	s_waitcnt vmcnt(2)
	ds_write_b64 v93, v[94:95]
.LBB45_257:
	s_or_b64 exec, exec, s[4:5]
	s_waitcnt lgkmcnt(0)
	; wave barrier
	buffer_load_dword v153, off, s[0:3], 0 offset:140
	buffer_load_dword v154, off, s[0:3], 0 offset:148
	buffer_load_dword v155, off, s[0:3], 0 offset:156
	buffer_load_dword v156, off, s[0:3], 0 offset:164
	buffer_load_dword v157, off, s[0:3], 0 offset:172
	buffer_load_dword v158, off, s[0:3], 0 offset:180
	buffer_load_dword v159, off, s[0:3], 0 offset:188
	buffer_load_dword v160, off, s[0:3], 0 offset:136
	buffer_load_dword v161, off, s[0:3], 0 offset:144
	buffer_load_dword v162, off, s[0:3], 0 offset:152
	buffer_load_dword v163, off, s[0:3], 0 offset:160
	buffer_load_dword v164, off, s[0:3], 0 offset:168
	buffer_load_dword v165, off, s[0:3], 0 offset:176
	buffer_load_dword v166, off, s[0:3], 0 offset:184
	buffer_load_dword v167, off, s[0:3], 0 offset:196
	buffer_load_dword v168, off, s[0:3], 0 offset:192
	buffer_load_dword v169, off, s[0:3], 0 offset:204
	buffer_load_dword v170, off, s[0:3], 0 offset:200
	buffer_load_dword v171, off, s[0:3], 0 offset:212
	buffer_load_dword v172, off, s[0:3], 0 offset:208
	buffer_load_dword v173, off, s[0:3], 0 offset:220
	buffer_load_dword v174, off, s[0:3], 0 offset:216
	buffer_load_dword v175, off, s[0:3], 0 offset:228
	buffer_load_dword v176, off, s[0:3], 0 offset:224
	buffer_load_dword v177, off, s[0:3], 0 offset:232
	buffer_load_dword v178, off, s[0:3], 0 offset:236
	buffer_load_dword v179, off, s[0:3], 0 offset:128
	buffer_load_dword v180, off, s[0:3], 0 offset:132
	buffer_load_dword v181, off, s[0:3], 0 offset:244
	buffer_load_dword v182, off, s[0:3], 0 offset:240
	buffer_load_dword v183, off, s[0:3], 0 offset:248
	buffer_load_dword v184, off, s[0:3], 0 offset:252
	buffer_load_dword v185, off, s[0:3], 0 offset:256
	buffer_load_dword v186, off, s[0:3], 0 offset:260
	buffer_load_dword v187, off, s[0:3], 0 offset:264
	buffer_load_dword v188, off, s[0:3], 0 offset:268
	buffer_load_dword v189, off, s[0:3], 0 offset:272
	buffer_load_dword v190, off, s[0:3], 0 offset:276
	buffer_load_dword v191, off, s[0:3], 0 offset:280
	buffer_load_dword v192, off, s[0:3], 0 offset:284
	buffer_load_dword v193, off, s[0:3], 0 offset:288
	buffer_load_dword v194, off, s[0:3], 0 offset:292
	buffer_load_dword v195, off, s[0:3], 0 offset:296
	buffer_load_dword v196, off, s[0:3], 0 offset:300
	buffer_load_dword v197, off, s[0:3], 0 offset:304
	buffer_load_dword v198, off, s[0:3], 0 offset:308
	buffer_load_dword v199, off, s[0:3], 0 offset:312
	buffer_load_dword v200, off, s[0:3], 0 offset:316
	buffer_load_dword v201, off, s[0:3], 0 offset:320
	buffer_load_dword v202, off, s[0:3], 0 offset:324
	buffer_load_dword v203, off, s[0:3], 0 offset:328
	buffer_load_dword v204, off, s[0:3], 0 offset:332
	buffer_load_dword v205, off, s[0:3], 0 offset:336
	buffer_load_dword v206, off, s[0:3], 0 offset:340
	buffer_load_dword v207, off, s[0:3], 0 offset:344
	buffer_load_dword v208, off, s[0:3], 0 offset:348
	buffer_load_dword v209, off, s[0:3], 0 offset:352
	buffer_load_dword v210, off, s[0:3], 0 offset:356
	buffer_load_dword v211, off, s[0:3], 0 offset:360
	buffer_load_dword v212, off, s[0:3], 0 offset:364
	v_mov_b32_e32 v94, 0
	ds_read2_b64 v[95:98], v94 offset0:63 offset1:64
	ds_read2_b64 v[99:102], v94 offset0:65 offset1:66
	;; [unrolled: 1-line block ×5, first 2 shown]
	v_cmp_lt_u32_e32 vcc, 15, v0
	s_waitcnt vmcnt(59) lgkmcnt(4)
	v_mul_f32_e32 v115, v95, v153
	s_waitcnt vmcnt(58)
	v_mul_f32_e32 v116, v97, v154
	s_waitcnt vmcnt(57) lgkmcnt(3)
	v_mul_f32_e32 v117, v99, v155
	s_waitcnt vmcnt(56)
	v_mul_f32_e32 v118, v101, v156
	;; [unrolled: 4-line block ×3, first 2 shown]
	s_waitcnt vmcnt(53) lgkmcnt(1)
	v_mul_f32_e32 v121, v107, v159
	s_waitcnt vmcnt(52)
	v_fmac_f32_e32 v115, v96, v160
	s_waitcnt vmcnt(51)
	v_fmac_f32_e32 v116, v98, v161
	v_add_f32_e32 v115, 0, v115
	s_waitcnt vmcnt(50)
	v_fmac_f32_e32 v117, v100, v162
	v_add_f32_e32 v115, v115, v116
	;; [unrolled: 3-line block ×6, first 2 shown]
	s_waitcnt vmcnt(45)
	v_mul_f32_e32 v116, v109, v167
	v_add_f32_e32 v115, v115, v121
	s_waitcnt vmcnt(44)
	v_fmac_f32_e32 v116, v110, v168
	v_mul_f32_e32 v96, v96, v153
	v_add_f32_e32 v119, v115, v116
	ds_read2_b64 v[115:118], v94 offset0:73 offset1:74
	v_fma_f32 v95, v95, v160, -v96
	v_mul_f32_e32 v96, v98, v154
	s_waitcnt vmcnt(43) lgkmcnt(1)
	v_mul_f32_e32 v120, v111, v169
	v_add_f32_e32 v95, 0, v95
	v_fma_f32 v96, v97, v161, -v96
	s_waitcnt vmcnt(42)
	v_fmac_f32_e32 v120, v112, v170
	v_add_f32_e32 v95, v95, v96
	v_mul_f32_e32 v96, v100, v155
	v_add_f32_e32 v119, v119, v120
	s_waitcnt vmcnt(41)
	v_mul_f32_e32 v120, v113, v171
	v_fma_f32 v96, v99, v162, -v96
	s_waitcnt vmcnt(40)
	v_fmac_f32_e32 v120, v114, v172
	v_add_f32_e32 v95, v95, v96
	v_mul_f32_e32 v96, v102, v156
	v_add_f32_e32 v119, v119, v120
	s_waitcnt vmcnt(39) lgkmcnt(0)
	v_mul_f32_e32 v120, v115, v173
	v_fma_f32 v96, v101, v163, -v96
	s_waitcnt vmcnt(38)
	v_fmac_f32_e32 v120, v116, v174
	v_add_f32_e32 v95, v95, v96
	v_mul_f32_e32 v96, v104, v157
	v_add_f32_e32 v123, v119, v120
	ds_read2_b64 v[119:122], v94 offset0:75 offset1:76
	v_fma_f32 v96, v103, v164, -v96
	v_add_f32_e32 v95, v95, v96
	v_mul_f32_e32 v96, v106, v158
	s_waitcnt vmcnt(37)
	v_mul_f32_e32 v124, v117, v175
	v_fma_f32 v96, v105, v165, -v96
	s_waitcnt vmcnt(36)
	v_fmac_f32_e32 v124, v118, v176
	v_add_f32_e32 v95, v95, v96
	v_mul_f32_e32 v96, v108, v159
	v_add_f32_e32 v127, v123, v124
	ds_read2_b64 v[123:126], v94 offset0:77 offset1:78
	v_fma_f32 v96, v107, v166, -v96
	s_waitcnt vmcnt(34) lgkmcnt(1)
	v_mul_f32_e32 v128, v119, v178
	v_add_f32_e32 v95, v95, v96
	v_mul_f32_e32 v96, v110, v167
	v_fmac_f32_e32 v128, v120, v177
	v_fma_f32 v96, v109, v168, -v96
	v_add_f32_e32 v127, v127, v128
	s_waitcnt vmcnt(31)
	v_mul_f32_e32 v128, v121, v181
	v_add_f32_e32 v95, v95, v96
	v_mul_f32_e32 v96, v112, v169
	s_waitcnt vmcnt(30)
	v_fmac_f32_e32 v128, v122, v182
	v_fma_f32 v96, v111, v170, -v96
	v_add_f32_e32 v127, v127, v128
	s_waitcnt vmcnt(28) lgkmcnt(0)
	v_mul_f32_e32 v128, v123, v184
	v_add_f32_e32 v95, v95, v96
	v_mul_f32_e32 v96, v114, v171
	v_fmac_f32_e32 v128, v124, v183
	v_fma_f32 v96, v113, v172, -v96
	v_add_f32_e32 v131, v127, v128
	ds_read2_b64 v[127:130], v94 offset0:79 offset1:80
	v_add_f32_e32 v95, v95, v96
	v_mul_f32_e32 v96, v116, v173
	v_fma_f32 v96, v115, v174, -v96
	s_waitcnt vmcnt(26)
	v_mul_f32_e32 v132, v125, v186
	v_add_f32_e32 v95, v95, v96
	v_mul_f32_e32 v96, v118, v175
	v_fmac_f32_e32 v132, v126, v185
	v_fma_f32 v96, v117, v176, -v96
	v_add_f32_e32 v135, v131, v132
	ds_read2_b64 v[131:134], v94 offset0:81 offset1:82
	v_add_f32_e32 v95, v95, v96
	v_mul_f32_e32 v96, v120, v178
	s_waitcnt vmcnt(24) lgkmcnt(1)
	v_mul_f32_e32 v136, v127, v188
	v_fma_f32 v96, v119, v177, -v96
	v_fmac_f32_e32 v136, v128, v187
	v_add_f32_e32 v95, v95, v96
	v_mul_f32_e32 v96, v122, v181
	v_add_f32_e32 v135, v135, v136
	s_waitcnt vmcnt(22)
	v_mul_f32_e32 v136, v129, v190
	v_fma_f32 v96, v121, v182, -v96
	v_fmac_f32_e32 v136, v130, v189
	v_add_f32_e32 v95, v95, v96
	v_mul_f32_e32 v96, v124, v184
	v_add_f32_e32 v135, v135, v136
	s_waitcnt vmcnt(20) lgkmcnt(0)
	v_mul_f32_e32 v136, v131, v192
	v_fma_f32 v96, v123, v183, -v96
	v_fmac_f32_e32 v136, v132, v191
	v_add_f32_e32 v95, v95, v96
	v_mul_f32_e32 v96, v126, v186
	v_add_f32_e32 v139, v135, v136
	ds_read2_b64 v[135:138], v94 offset0:83 offset1:84
	v_fma_f32 v96, v125, v185, -v96
	v_add_f32_e32 v95, v95, v96
	v_mul_f32_e32 v96, v128, v188
	s_waitcnt vmcnt(18)
	v_mul_f32_e32 v140, v133, v194
	v_fma_f32 v96, v127, v187, -v96
	v_fmac_f32_e32 v140, v134, v193
	v_add_f32_e32 v95, v95, v96
	v_mul_f32_e32 v96, v130, v190
	v_add_f32_e32 v143, v139, v140
	ds_read2_b64 v[139:142], v94 offset0:85 offset1:86
	v_fma_f32 v96, v129, v189, -v96
	s_waitcnt vmcnt(16) lgkmcnt(1)
	v_mul_f32_e32 v144, v135, v196
	v_add_f32_e32 v95, v95, v96
	v_mul_f32_e32 v96, v132, v192
	v_fmac_f32_e32 v144, v136, v195
	v_fma_f32 v96, v131, v191, -v96
	v_add_f32_e32 v143, v143, v144
	s_waitcnt vmcnt(14)
	v_mul_f32_e32 v144, v137, v198
	v_add_f32_e32 v95, v95, v96
	v_mul_f32_e32 v96, v134, v194
	v_fmac_f32_e32 v144, v138, v197
	v_fma_f32 v96, v133, v193, -v96
	v_add_f32_e32 v143, v143, v144
	s_waitcnt vmcnt(12) lgkmcnt(0)
	v_mul_f32_e32 v144, v139, v200
	v_add_f32_e32 v95, v95, v96
	v_mul_f32_e32 v96, v136, v196
	v_fmac_f32_e32 v144, v140, v199
	v_fma_f32 v96, v135, v195, -v96
	v_add_f32_e32 v147, v143, v144
	ds_read2_b64 v[143:146], v94 offset0:87 offset1:88
	v_add_f32_e32 v95, v95, v96
	v_mul_f32_e32 v96, v138, v198
	v_fma_f32 v96, v137, v197, -v96
	v_add_f32_e32 v95, v95, v96
	v_mul_f32_e32 v96, v140, v200
	s_waitcnt vmcnt(10)
	v_mul_f32_e32 v148, v141, v202
	v_fma_f32 v96, v139, v199, -v96
	v_fmac_f32_e32 v148, v142, v201
	v_add_f32_e32 v95, v95, v96
	v_mul_f32_e32 v96, v142, v202
	v_add_f32_e32 v151, v147, v148
	ds_read2_b64 v[147:150], v94 offset0:89 offset1:90
	s_waitcnt vmcnt(8) lgkmcnt(1)
	v_mul_f32_e32 v152, v143, v204
	v_fma_f32 v96, v141, v201, -v96
	v_fmac_f32_e32 v152, v144, v203
	v_add_f32_e32 v95, v95, v96
	v_mul_f32_e32 v96, v144, v204
	v_add_f32_e32 v151, v151, v152
	s_waitcnt vmcnt(6)
	v_mul_f32_e32 v152, v145, v206
	v_fma_f32 v96, v143, v203, -v96
	v_fmac_f32_e32 v152, v146, v205
	v_add_f32_e32 v95, v95, v96
	v_mul_f32_e32 v96, v146, v206
	v_add_f32_e32 v213, v151, v152
	ds_read_b64 v[151:152], v94 offset:728
	v_fma_f32 v96, v145, v205, -v96
	v_add_f32_e32 v95, v95, v96
	s_waitcnt vmcnt(4) lgkmcnt(1)
	v_mul_f32_e32 v96, v148, v208
	v_mul_f32_e32 v214, v147, v208
	v_fma_f32 v96, v147, v207, -v96
	v_fmac_f32_e32 v214, v148, v207
	v_add_f32_e32 v95, v95, v96
	s_waitcnt vmcnt(2)
	v_mul_f32_e32 v96, v150, v210
	v_add_f32_e32 v213, v213, v214
	v_mul_f32_e32 v214, v149, v210
	v_fma_f32 v96, v149, v209, -v96
	v_fmac_f32_e32 v214, v150, v209
	v_add_f32_e32 v95, v95, v96
	s_waitcnt vmcnt(0) lgkmcnt(0)
	v_mul_f32_e32 v96, v152, v212
	v_add_f32_e32 v213, v213, v214
	v_mul_f32_e32 v214, v151, v212
	v_fma_f32 v96, v151, v211, -v96
	v_fmac_f32_e32 v214, v152, v211
	v_add_f32_e32 v95, v95, v96
	v_add_f32_e32 v213, v213, v214
	v_sub_f32_e32 v95, v179, v95
	v_sub_f32_e32 v96, v180, v213
	buffer_store_dword v95, off, s[0:3], 0 offset:128
	buffer_store_dword v96, off, s[0:3], 0 offset:132
	s_and_saveexec_b64 s[4:5], vcc
	s_cbranch_execz .LBB45_259
; %bb.258:
	buffer_load_dword v95, off, s[0:3], 0 offset:120
	buffer_load_dword v96, off, s[0:3], 0 offset:124
	s_waitcnt vmcnt(0)
	ds_write_b64 v93, v[95:96]
	buffer_store_dword v94, off, s[0:3], 0 offset:120
	buffer_store_dword v94, off, s[0:3], 0 offset:124
.LBB45_259:
	s_or_b64 exec, exec, s[4:5]
	s_waitcnt lgkmcnt(0)
	; wave barrier
	buffer_load_dword v155, off, s[0:3], 0 offset:132
	buffer_load_dword v156, off, s[0:3], 0 offset:140
	;; [unrolled: 1-line block ×32, first 2 shown]
	ds_read_b128 v[95:98], v94 offset:496
	ds_read_b128 v[99:102], v94 offset:512
	;; [unrolled: 1-line block ×4, first 2 shown]
	buffer_load_dword v187, off, s[0:3], 0 offset:252
	buffer_load_dword v188, off, s[0:3], 0 offset:248
	;; [unrolled: 1-line block ×30, first 2 shown]
	v_cmp_lt_u32_e32 vcc, 14, v0
	s_waitcnt vmcnt(61) lgkmcnt(3)
	v_mul_f32_e32 v111, v95, v155
	s_waitcnt vmcnt(60)
	v_mul_f32_e32 v112, v97, v156
	s_waitcnt vmcnt(59) lgkmcnt(2)
	v_mul_f32_e32 v113, v99, v157
	s_waitcnt vmcnt(58)
	v_mul_f32_e32 v114, v101, v158
	;; [unrolled: 4-line block ×3, first 2 shown]
	s_waitcnt vmcnt(55) lgkmcnt(0)
	v_mul_f32_e32 v117, v107, v161
	s_waitcnt vmcnt(54)
	v_fmac_f32_e32 v111, v96, v162
	s_waitcnt vmcnt(53)
	v_fmac_f32_e32 v112, v98, v163
	v_add_f32_e32 v111, 0, v111
	s_waitcnt vmcnt(52)
	v_fmac_f32_e32 v113, v100, v164
	v_add_f32_e32 v111, v111, v112
	;; [unrolled: 3-line block ×6, first 2 shown]
	v_add_f32_e32 v115, v111, v117
	ds_read_b128 v[111:114], v94 offset:560
	s_waitcnt vmcnt(47)
	v_mul_f32_e32 v116, v109, v169
	s_waitcnt vmcnt(46)
	v_fmac_f32_e32 v116, v110, v170
	v_mul_f32_e32 v96, v96, v155
	v_add_f32_e32 v119, v115, v116
	ds_read_b128 v[115:118], v94 offset:576
	v_fma_f32 v95, v95, v162, -v96
	v_mul_f32_e32 v96, v98, v156
	s_waitcnt vmcnt(45) lgkmcnt(1)
	v_mul_f32_e32 v120, v111, v171
	v_add_f32_e32 v95, 0, v95
	v_fma_f32 v96, v97, v163, -v96
	s_waitcnt vmcnt(44)
	v_fmac_f32_e32 v120, v112, v172
	v_add_f32_e32 v95, v95, v96
	v_mul_f32_e32 v96, v100, v157
	v_add_f32_e32 v119, v119, v120
	s_waitcnt vmcnt(43)
	v_mul_f32_e32 v120, v113, v173
	v_fma_f32 v96, v99, v164, -v96
	s_waitcnt vmcnt(42)
	v_fmac_f32_e32 v120, v114, v174
	v_add_f32_e32 v95, v95, v96
	v_mul_f32_e32 v96, v102, v158
	v_add_f32_e32 v119, v119, v120
	s_waitcnt vmcnt(41) lgkmcnt(0)
	v_mul_f32_e32 v120, v115, v175
	v_fma_f32 v96, v101, v165, -v96
	s_waitcnt vmcnt(40)
	v_fmac_f32_e32 v120, v116, v176
	v_add_f32_e32 v95, v95, v96
	v_mul_f32_e32 v96, v104, v159
	v_add_f32_e32 v123, v119, v120
	ds_read_b128 v[119:122], v94 offset:592
	v_fma_f32 v96, v103, v166, -v96
	v_add_f32_e32 v95, v95, v96
	v_mul_f32_e32 v96, v106, v160
	s_waitcnt vmcnt(39)
	v_mul_f32_e32 v124, v117, v177
	v_fma_f32 v96, v105, v167, -v96
	s_waitcnt vmcnt(38)
	v_fmac_f32_e32 v124, v118, v178
	v_add_f32_e32 v95, v95, v96
	v_mul_f32_e32 v96, v108, v161
	v_add_f32_e32 v127, v123, v124
	ds_read_b128 v[123:126], v94 offset:608
	v_fma_f32 v96, v107, v168, -v96
	s_waitcnt vmcnt(35) lgkmcnt(1)
	v_mul_f32_e32 v128, v119, v181
	v_add_f32_e32 v95, v95, v96
	v_mul_f32_e32 v96, v110, v169
	s_waitcnt vmcnt(34)
	v_fmac_f32_e32 v128, v120, v182
	v_fma_f32 v96, v109, v170, -v96
	v_add_f32_e32 v127, v127, v128
	s_waitcnt vmcnt(32)
	v_mul_f32_e32 v128, v121, v184
	v_add_f32_e32 v95, v95, v96
	v_mul_f32_e32 v96, v112, v171
	v_fmac_f32_e32 v128, v122, v183
	v_fma_f32 v96, v111, v172, -v96
	v_add_f32_e32 v127, v127, v128
	s_waitcnt vmcnt(30) lgkmcnt(0)
	v_mul_f32_e32 v128, v123, v186
	v_add_f32_e32 v95, v95, v96
	v_mul_f32_e32 v96, v114, v173
	v_fmac_f32_e32 v128, v124, v185
	v_fma_f32 v96, v113, v174, -v96
	v_add_f32_e32 v131, v127, v128
	ds_read_b128 v[127:130], v94 offset:624
	v_add_f32_e32 v95, v95, v96
	v_mul_f32_e32 v96, v116, v175
	v_fma_f32 v96, v115, v176, -v96
	s_waitcnt vmcnt(29)
	v_mul_f32_e32 v132, v125, v187
	v_add_f32_e32 v95, v95, v96
	v_mul_f32_e32 v96, v118, v177
	s_waitcnt vmcnt(28)
	v_fmac_f32_e32 v132, v126, v188
	v_fma_f32 v96, v117, v178, -v96
	v_add_f32_e32 v135, v131, v132
	ds_read_b128 v[131:134], v94 offset:640
	v_add_f32_e32 v95, v95, v96
	v_mul_f32_e32 v96, v120, v181
	s_waitcnt vmcnt(26) lgkmcnt(1)
	v_mul_f32_e32 v136, v127, v190
	v_fma_f32 v96, v119, v182, -v96
	v_fmac_f32_e32 v136, v128, v189
	v_add_f32_e32 v95, v95, v96
	v_mul_f32_e32 v96, v122, v184
	v_add_f32_e32 v135, v135, v136
	s_waitcnt vmcnt(24)
	v_mul_f32_e32 v136, v129, v192
	v_fma_f32 v96, v121, v183, -v96
	v_fmac_f32_e32 v136, v130, v191
	v_add_f32_e32 v95, v95, v96
	v_mul_f32_e32 v96, v124, v186
	v_add_f32_e32 v135, v135, v136
	s_waitcnt vmcnt(22) lgkmcnt(0)
	v_mul_f32_e32 v136, v131, v194
	v_fma_f32 v96, v123, v185, -v96
	v_fmac_f32_e32 v136, v132, v193
	v_add_f32_e32 v95, v95, v96
	v_mul_f32_e32 v96, v126, v187
	v_add_f32_e32 v139, v135, v136
	ds_read_b128 v[135:138], v94 offset:656
	v_fma_f32 v96, v125, v188, -v96
	v_add_f32_e32 v95, v95, v96
	v_mul_f32_e32 v96, v128, v190
	s_waitcnt vmcnt(20)
	v_mul_f32_e32 v140, v133, v196
	v_fma_f32 v96, v127, v189, -v96
	v_fmac_f32_e32 v140, v134, v195
	v_add_f32_e32 v95, v95, v96
	v_mul_f32_e32 v96, v130, v192
	v_add_f32_e32 v143, v139, v140
	ds_read_b128 v[139:142], v94 offset:672
	v_fma_f32 v96, v129, v191, -v96
	s_waitcnt vmcnt(18) lgkmcnt(1)
	v_mul_f32_e32 v144, v135, v198
	v_add_f32_e32 v95, v95, v96
	v_mul_f32_e32 v96, v132, v194
	v_fmac_f32_e32 v144, v136, v197
	v_fma_f32 v96, v131, v193, -v96
	v_add_f32_e32 v143, v143, v144
	s_waitcnt vmcnt(16)
	v_mul_f32_e32 v144, v137, v200
	v_add_f32_e32 v95, v95, v96
	v_mul_f32_e32 v96, v134, v196
	v_fmac_f32_e32 v144, v138, v199
	v_fma_f32 v96, v133, v195, -v96
	v_add_f32_e32 v143, v143, v144
	s_waitcnt vmcnt(14) lgkmcnt(0)
	v_mul_f32_e32 v144, v139, v202
	v_add_f32_e32 v95, v95, v96
	v_mul_f32_e32 v96, v136, v198
	v_fmac_f32_e32 v144, v140, v201
	v_fma_f32 v96, v135, v197, -v96
	v_add_f32_e32 v147, v143, v144
	ds_read_b128 v[143:146], v94 offset:688
	v_add_f32_e32 v95, v95, v96
	v_mul_f32_e32 v96, v138, v200
	v_fma_f32 v96, v137, v199, -v96
	v_add_f32_e32 v95, v95, v96
	v_mul_f32_e32 v96, v140, v202
	s_waitcnt vmcnt(12)
	v_mul_f32_e32 v148, v141, v204
	v_fma_f32 v96, v139, v201, -v96
	v_fmac_f32_e32 v148, v142, v203
	v_add_f32_e32 v95, v95, v96
	v_mul_f32_e32 v96, v142, v204
	v_add_f32_e32 v151, v147, v148
	ds_read_b128 v[147:150], v94 offset:704
	s_waitcnt vmcnt(10) lgkmcnt(1)
	v_mul_f32_e32 v152, v143, v206
	v_fma_f32 v96, v141, v203, -v96
	v_fmac_f32_e32 v152, v144, v205
	v_add_f32_e32 v95, v95, v96
	v_mul_f32_e32 v96, v144, v206
	v_add_f32_e32 v151, v151, v152
	s_waitcnt vmcnt(8)
	v_mul_f32_e32 v152, v145, v208
	v_fma_f32 v96, v143, v205, -v96
	v_fmac_f32_e32 v152, v146, v207
	v_add_f32_e32 v95, v95, v96
	v_mul_f32_e32 v96, v146, v208
	v_add_f32_e32 v217, v151, v152
	ds_read_b128 v[151:154], v94 offset:720
	v_fma_f32 v96, v145, v207, -v96
	v_add_f32_e32 v95, v95, v96
	s_waitcnt vmcnt(6) lgkmcnt(1)
	v_mul_f32_e32 v96, v148, v210
	v_mul_f32_e32 v218, v147, v210
	v_fma_f32 v96, v147, v209, -v96
	v_fmac_f32_e32 v218, v148, v209
	v_add_f32_e32 v95, v95, v96
	s_waitcnt vmcnt(4)
	v_mul_f32_e32 v96, v150, v212
	v_add_f32_e32 v94, v217, v218
	v_mul_f32_e32 v217, v149, v212
	v_fma_f32 v96, v149, v211, -v96
	v_fmac_f32_e32 v217, v150, v211
	v_add_f32_e32 v95, v95, v96
	s_waitcnt vmcnt(2) lgkmcnt(0)
	v_mul_f32_e32 v96, v152, v214
	v_add_f32_e32 v94, v94, v217
	v_mul_f32_e32 v217, v151, v214
	v_fma_f32 v96, v151, v213, -v96
	v_fmac_f32_e32 v217, v152, v213
	v_add_f32_e32 v95, v95, v96
	s_waitcnt vmcnt(0)
	v_mul_f32_e32 v96, v154, v216
	v_add_f32_e32 v94, v94, v217
	v_mul_f32_e32 v217, v153, v216
	v_fma_f32 v96, v153, v215, -v96
	v_fmac_f32_e32 v217, v154, v215
	v_add_f32_e32 v95, v95, v96
	v_add_f32_e32 v94, v94, v217
	v_sub_f32_e32 v95, v179, v95
	v_sub_f32_e32 v94, v180, v94
	buffer_store_dword v95, off, s[0:3], 0 offset:120
	buffer_store_dword v94, off, s[0:3], 0 offset:124
	s_and_saveexec_b64 s[4:5], vcc
	s_cbranch_execz .LBB45_261
; %bb.260:
	buffer_load_dword v94, off, s[0:3], 0 offset:112
	buffer_load_dword v95, off, s[0:3], 0 offset:116
	v_mov_b32_e32 v96, 0
	buffer_store_dword v96, off, s[0:3], 0 offset:112
	buffer_store_dword v96, off, s[0:3], 0 offset:116
	s_waitcnt vmcnt(2)
	ds_write_b64 v93, v[94:95]
.LBB45_261:
	s_or_b64 exec, exec, s[4:5]
	s_waitcnt lgkmcnt(0)
	; wave barrier
	buffer_load_dword v157, off, s[0:3], 0 offset:124
	buffer_load_dword v158, off, s[0:3], 0 offset:132
	;; [unrolled: 1-line block ×56, first 2 shown]
	v_mov_b32_e32 v94, 0
	ds_read2_b64 v[95:98], v94 offset0:61 offset1:62
	buffer_load_dword v213, off, s[0:3], 0 offset:336
	buffer_load_dword v214, off, s[0:3], 0 offset:340
	;; [unrolled: 1-line block ×4, first 2 shown]
	ds_read2_b64 v[99:102], v94 offset0:63 offset1:64
	ds_read2_b64 v[103:106], v94 offset0:65 offset1:66
	;; [unrolled: 1-line block ×3, first 2 shown]
	v_cmp_lt_u32_e32 vcc, 13, v0
	s_waitcnt vmcnt(59) lgkmcnt(3)
	v_mul_f32_e32 v111, v95, v157
	s_waitcnt vmcnt(58)
	v_mul_f32_e32 v112, v97, v158
	s_waitcnt vmcnt(57) lgkmcnt(2)
	v_mul_f32_e32 v113, v99, v159
	s_waitcnt vmcnt(56)
	v_mul_f32_e32 v114, v101, v160
	;; [unrolled: 4-line block ×4, first 2 shown]
	s_waitcnt vmcnt(51)
	v_fmac_f32_e32 v111, v96, v165
	s_waitcnt vmcnt(50)
	v_fmac_f32_e32 v112, v98, v166
	v_add_f32_e32 v111, 0, v111
	s_waitcnt vmcnt(49)
	v_fmac_f32_e32 v113, v100, v167
	v_add_f32_e32 v111, v111, v112
	;; [unrolled: 3-line block ×6, first 2 shown]
	v_add_f32_e32 v115, v111, v117
	ds_read2_b64 v[111:114], v94 offset0:69 offset1:70
	buffer_load_dword v217, off, s[0:3], 0 offset:356
	buffer_load_dword v218, off, s[0:3], 0 offset:352
	;; [unrolled: 1-line block ×4, first 2 shown]
	s_waitcnt vmcnt(48)
	v_fmac_f32_e32 v118, v110, v172
	v_add_f32_e32 v119, v115, v118
	ds_read2_b64 v[115:118], v94 offset0:71 offset1:72
	s_waitcnt vmcnt(47) lgkmcnt(1)
	v_mul_f32_e32 v120, v111, v173
	v_mul_f32_e32 v96, v96, v157
	s_waitcnt vmcnt(46)
	v_fmac_f32_e32 v120, v112, v174
	v_fma_f32 v95, v95, v165, -v96
	v_mul_f32_e32 v96, v98, v158
	v_add_f32_e32 v119, v119, v120
	s_waitcnt vmcnt(45)
	v_mul_f32_e32 v120, v113, v175
	v_add_f32_e32 v95, 0, v95
	v_fma_f32 v96, v97, v166, -v96
	s_waitcnt vmcnt(44)
	v_fmac_f32_e32 v120, v114, v176
	v_add_f32_e32 v95, v95, v96
	v_mul_f32_e32 v96, v100, v159
	v_add_f32_e32 v119, v119, v120
	s_waitcnt vmcnt(42) lgkmcnt(0)
	v_mul_f32_e32 v120, v115, v178
	v_fma_f32 v96, v99, v167, -v96
	v_fmac_f32_e32 v120, v116, v177
	v_add_f32_e32 v95, v95, v96
	v_mul_f32_e32 v96, v102, v160
	v_add_f32_e32 v123, v119, v120
	ds_read2_b64 v[119:122], v94 offset0:73 offset1:74
	v_fma_f32 v96, v101, v168, -v96
	v_add_f32_e32 v95, v95, v96
	v_mul_f32_e32 v96, v104, v161
	s_waitcnt vmcnt(39)
	v_mul_f32_e32 v124, v117, v181
	v_fma_f32 v96, v103, v169, -v96
	s_waitcnt vmcnt(38)
	v_fmac_f32_e32 v124, v118, v182
	v_add_f32_e32 v95, v95, v96
	v_mul_f32_e32 v96, v106, v162
	v_add_f32_e32 v127, v123, v124
	ds_read2_b64 v[123:126], v94 offset0:75 offset1:76
	v_fma_f32 v96, v105, v170, -v96
	s_waitcnt vmcnt(36) lgkmcnt(1)
	v_mul_f32_e32 v128, v119, v184
	v_add_f32_e32 v95, v95, v96
	v_mul_f32_e32 v96, v108, v163
	v_fmac_f32_e32 v128, v120, v183
	v_fma_f32 v96, v107, v171, -v96
	v_add_f32_e32 v127, v127, v128
	s_waitcnt vmcnt(34)
	v_mul_f32_e32 v128, v121, v186
	v_add_f32_e32 v95, v95, v96
	v_mul_f32_e32 v96, v110, v164
	v_fmac_f32_e32 v128, v122, v185
	v_fma_f32 v96, v109, v172, -v96
	v_add_f32_e32 v127, v127, v128
	s_waitcnt vmcnt(32) lgkmcnt(0)
	v_mul_f32_e32 v128, v123, v188
	v_add_f32_e32 v95, v95, v96
	v_mul_f32_e32 v96, v112, v173
	v_fmac_f32_e32 v128, v124, v187
	v_fma_f32 v96, v111, v174, -v96
	v_add_f32_e32 v131, v127, v128
	ds_read2_b64 v[127:130], v94 offset0:77 offset1:78
	v_add_f32_e32 v95, v95, v96
	v_mul_f32_e32 v96, v114, v175
	v_fma_f32 v96, v113, v176, -v96
	s_waitcnt vmcnt(30)
	v_mul_f32_e32 v132, v125, v190
	v_add_f32_e32 v95, v95, v96
	v_mul_f32_e32 v96, v116, v178
	v_fmac_f32_e32 v132, v126, v189
	v_fma_f32 v96, v115, v177, -v96
	v_add_f32_e32 v135, v131, v132
	ds_read2_b64 v[131:134], v94 offset0:79 offset1:80
	v_add_f32_e32 v95, v95, v96
	v_mul_f32_e32 v96, v118, v181
	s_waitcnt vmcnt(28) lgkmcnt(1)
	v_mul_f32_e32 v136, v127, v192
	v_fma_f32 v96, v117, v182, -v96
	v_fmac_f32_e32 v136, v128, v191
	v_add_f32_e32 v95, v95, v96
	v_mul_f32_e32 v96, v120, v184
	v_add_f32_e32 v135, v135, v136
	s_waitcnt vmcnt(26)
	v_mul_f32_e32 v136, v129, v194
	v_fma_f32 v96, v119, v183, -v96
	v_fmac_f32_e32 v136, v130, v193
	v_add_f32_e32 v95, v95, v96
	v_mul_f32_e32 v96, v122, v186
	v_add_f32_e32 v135, v135, v136
	s_waitcnt vmcnt(24) lgkmcnt(0)
	v_mul_f32_e32 v136, v131, v196
	v_fma_f32 v96, v121, v185, -v96
	v_fmac_f32_e32 v136, v132, v195
	v_add_f32_e32 v95, v95, v96
	v_mul_f32_e32 v96, v124, v188
	v_add_f32_e32 v139, v135, v136
	ds_read2_b64 v[135:138], v94 offset0:81 offset1:82
	v_fma_f32 v96, v123, v187, -v96
	v_add_f32_e32 v95, v95, v96
	v_mul_f32_e32 v96, v126, v190
	s_waitcnt vmcnt(22)
	v_mul_f32_e32 v140, v133, v198
	v_fma_f32 v96, v125, v189, -v96
	v_fmac_f32_e32 v140, v134, v197
	v_add_f32_e32 v95, v95, v96
	v_mul_f32_e32 v96, v128, v192
	v_add_f32_e32 v143, v139, v140
	ds_read2_b64 v[139:142], v94 offset0:83 offset1:84
	v_fma_f32 v96, v127, v191, -v96
	s_waitcnt vmcnt(20) lgkmcnt(1)
	v_mul_f32_e32 v144, v135, v200
	v_add_f32_e32 v95, v95, v96
	v_mul_f32_e32 v96, v130, v194
	v_fmac_f32_e32 v144, v136, v199
	v_fma_f32 v96, v129, v193, -v96
	v_add_f32_e32 v143, v143, v144
	s_waitcnt vmcnt(18)
	v_mul_f32_e32 v144, v137, v202
	v_add_f32_e32 v95, v95, v96
	v_mul_f32_e32 v96, v132, v196
	v_fmac_f32_e32 v144, v138, v201
	v_fma_f32 v96, v131, v195, -v96
	v_add_f32_e32 v143, v143, v144
	s_waitcnt vmcnt(16) lgkmcnt(0)
	v_mul_f32_e32 v144, v139, v204
	v_add_f32_e32 v95, v95, v96
	v_mul_f32_e32 v96, v134, v198
	v_fmac_f32_e32 v144, v140, v203
	v_fma_f32 v96, v133, v197, -v96
	v_add_f32_e32 v147, v143, v144
	ds_read2_b64 v[143:146], v94 offset0:85 offset1:86
	v_add_f32_e32 v95, v95, v96
	v_mul_f32_e32 v96, v136, v200
	v_fma_f32 v96, v135, v199, -v96
	s_waitcnt vmcnt(14)
	v_mul_f32_e32 v148, v141, v206
	v_add_f32_e32 v95, v95, v96
	v_mul_f32_e32 v96, v138, v202
	v_fmac_f32_e32 v148, v142, v205
	v_fma_f32 v96, v137, v201, -v96
	v_add_f32_e32 v151, v147, v148
	ds_read2_b64 v[147:150], v94 offset0:87 offset1:88
	v_add_f32_e32 v95, v95, v96
	v_mul_f32_e32 v96, v140, v204
	s_waitcnt vmcnt(12) lgkmcnt(1)
	v_mul_f32_e32 v152, v143, v208
	v_fma_f32 v96, v139, v203, -v96
	v_fmac_f32_e32 v152, v144, v207
	v_add_f32_e32 v95, v95, v96
	v_mul_f32_e32 v96, v142, v206
	v_add_f32_e32 v151, v151, v152
	s_waitcnt vmcnt(10)
	v_mul_f32_e32 v152, v145, v210
	v_fma_f32 v96, v141, v205, -v96
	v_fmac_f32_e32 v152, v146, v209
	v_add_f32_e32 v95, v95, v96
	v_mul_f32_e32 v96, v144, v208
	v_add_f32_e32 v151, v151, v152
	s_waitcnt vmcnt(8) lgkmcnt(0)
	v_mul_f32_e32 v152, v147, v212
	v_fma_f32 v96, v143, v207, -v96
	v_fmac_f32_e32 v152, v148, v211
	v_add_f32_e32 v95, v95, v96
	v_mul_f32_e32 v96, v146, v210
	v_add_f32_e32 v155, v151, v152
	ds_read2_b64 v[151:154], v94 offset0:89 offset1:90
	v_fma_f32 v96, v145, v209, -v96
	v_add_f32_e32 v95, v95, v96
	v_mul_f32_e32 v96, v148, v212
	s_waitcnt vmcnt(6)
	v_mul_f32_e32 v156, v149, v214
	v_fma_f32 v96, v147, v211, -v96
	v_fmac_f32_e32 v156, v150, v213
	v_add_f32_e32 v95, v95, v96
	v_mul_f32_e32 v96, v150, v214
	v_add_f32_e32 v221, v155, v156
	ds_read_b64 v[155:156], v94 offset:728
	v_fma_f32 v96, v149, v213, -v96
	v_add_f32_e32 v95, v95, v96
	s_waitcnt vmcnt(4) lgkmcnt(1)
	v_mul_f32_e32 v96, v152, v216
	v_mul_f32_e32 v222, v151, v216
	v_fma_f32 v96, v151, v215, -v96
	v_fmac_f32_e32 v222, v152, v215
	v_add_f32_e32 v95, v95, v96
	s_waitcnt vmcnt(3)
	v_mul_f32_e32 v96, v154, v217
	v_add_f32_e32 v221, v221, v222
	v_mul_f32_e32 v222, v153, v217
	s_waitcnt vmcnt(2)
	v_fma_f32 v96, v153, v218, -v96
	v_fmac_f32_e32 v222, v154, v218
	v_add_f32_e32 v95, v95, v96
	s_waitcnt vmcnt(0) lgkmcnt(0)
	v_mul_f32_e32 v96, v156, v220
	v_add_f32_e32 v221, v221, v222
	v_mul_f32_e32 v222, v155, v220
	v_fma_f32 v96, v155, v219, -v96
	v_fmac_f32_e32 v222, v156, v219
	v_add_f32_e32 v95, v95, v96
	v_add_f32_e32 v221, v221, v222
	v_sub_f32_e32 v95, v179, v95
	v_sub_f32_e32 v96, v180, v221
	buffer_store_dword v95, off, s[0:3], 0 offset:112
	buffer_store_dword v96, off, s[0:3], 0 offset:116
	s_and_saveexec_b64 s[4:5], vcc
	s_cbranch_execz .LBB45_263
; %bb.262:
	buffer_load_dword v95, off, s[0:3], 0 offset:104
	buffer_load_dword v96, off, s[0:3], 0 offset:108
	s_waitcnt vmcnt(0)
	ds_write_b64 v93, v[95:96]
	buffer_store_dword v94, off, s[0:3], 0 offset:104
	buffer_store_dword v94, off, s[0:3], 0 offset:108
.LBB45_263:
	s_or_b64 exec, exec, s[4:5]
	s_waitcnt lgkmcnt(0)
	; wave barrier
	buffer_load_dword v159, off, s[0:3], 0 offset:116
	buffer_load_dword v160, off, s[0:3], 0 offset:124
	;; [unrolled: 1-line block ×26, first 2 shown]
	ds_read_b128 v[95:98], v94 offset:480
	ds_read_b128 v[99:102], v94 offset:496
	;; [unrolled: 1-line block ×4, first 2 shown]
	buffer_load_dword v185, off, s[0:3], 0 offset:212
	buffer_load_dword v186, off, s[0:3], 0 offset:208
	;; [unrolled: 1-line block ×34, first 2 shown]
	v_cmp_lt_u32_e32 vcc, 12, v0
	s_waitcnt vmcnt(59) lgkmcnt(3)
	v_mul_f32_e32 v111, v95, v159
	s_waitcnt vmcnt(58)
	v_mul_f32_e32 v112, v97, v160
	s_waitcnt vmcnt(57) lgkmcnt(2)
	v_mul_f32_e32 v113, v99, v161
	s_waitcnt vmcnt(56)
	v_mul_f32_e32 v114, v101, v162
	s_waitcnt vmcnt(55) lgkmcnt(1)
	v_mul_f32_e32 v115, v103, v163
	s_waitcnt vmcnt(54)
	v_mul_f32_e32 v116, v105, v164
	s_waitcnt vmcnt(53) lgkmcnt(0)
	v_mul_f32_e32 v117, v107, v165
	s_waitcnt vmcnt(52)
	v_mul_f32_e32 v118, v109, v166
	s_waitcnt vmcnt(51)
	v_fmac_f32_e32 v111, v96, v167
	s_waitcnt vmcnt(50)
	v_fmac_f32_e32 v112, v98, v168
	v_add_f32_e32 v111, 0, v111
	s_waitcnt vmcnt(49)
	v_fmac_f32_e32 v113, v100, v169
	v_add_f32_e32 v111, v111, v112
	;; [unrolled: 3-line block ×7, first 2 shown]
	v_add_f32_e32 v119, v111, v118
	ds_read_b128 v[111:114], v94 offset:544
	buffer_load_dword v219, off, s[0:3], 0 offset:348
	buffer_load_dword v220, off, s[0:3], 0 offset:344
	;; [unrolled: 1-line block ×4, first 2 shown]
	ds_read_b128 v[115:118], v94 offset:560
	buffer_load_dword v223, off, s[0:3], 0 offset:360
	buffer_load_dword v224, off, s[0:3], 0 offset:364
	v_mul_f32_e32 v96, v96, v159
	s_waitcnt vmcnt(49) lgkmcnt(1)
	v_mul_f32_e32 v120, v111, v175
	s_waitcnt vmcnt(48)
	v_fmac_f32_e32 v120, v112, v176
	v_fma_f32 v95, v95, v167, -v96
	v_mul_f32_e32 v96, v98, v160
	v_add_f32_e32 v119, v119, v120
	s_waitcnt vmcnt(46)
	v_mul_f32_e32 v120, v113, v178
	v_add_f32_e32 v95, 0, v95
	v_fma_f32 v96, v97, v168, -v96
	v_fmac_f32_e32 v120, v114, v177
	v_add_f32_e32 v95, v95, v96
	v_mul_f32_e32 v96, v100, v161
	v_add_f32_e32 v119, v119, v120
	s_waitcnt vmcnt(43) lgkmcnt(0)
	v_mul_f32_e32 v120, v115, v181
	v_fma_f32 v96, v99, v169, -v96
	s_waitcnt vmcnt(42)
	v_fmac_f32_e32 v120, v116, v182
	v_add_f32_e32 v95, v95, v96
	v_mul_f32_e32 v96, v102, v162
	v_add_f32_e32 v123, v119, v120
	ds_read_b128 v[119:122], v94 offset:576
	v_fma_f32 v96, v101, v170, -v96
	v_add_f32_e32 v95, v95, v96
	v_mul_f32_e32 v96, v104, v163
	s_waitcnt vmcnt(40)
	v_mul_f32_e32 v124, v117, v184
	v_fma_f32 v96, v103, v171, -v96
	v_fmac_f32_e32 v124, v118, v183
	v_add_f32_e32 v95, v95, v96
	v_mul_f32_e32 v96, v106, v164
	v_add_f32_e32 v127, v123, v124
	ds_read_b128 v[123:126], v94 offset:592
	v_fma_f32 v96, v105, v172, -v96
	s_waitcnt vmcnt(39) lgkmcnt(1)
	v_mul_f32_e32 v128, v119, v185
	v_add_f32_e32 v95, v95, v96
	v_mul_f32_e32 v96, v108, v165
	s_waitcnt vmcnt(38)
	v_fmac_f32_e32 v128, v120, v186
	v_fma_f32 v96, v107, v173, -v96
	v_add_f32_e32 v127, v127, v128
	s_waitcnt vmcnt(36)
	v_mul_f32_e32 v128, v121, v188
	v_add_f32_e32 v95, v95, v96
	v_mul_f32_e32 v96, v110, v166
	v_fmac_f32_e32 v128, v122, v187
	v_fma_f32 v96, v109, v174, -v96
	v_add_f32_e32 v127, v127, v128
	s_waitcnt vmcnt(34) lgkmcnt(0)
	v_mul_f32_e32 v128, v123, v190
	v_add_f32_e32 v95, v95, v96
	v_mul_f32_e32 v96, v112, v175
	v_fmac_f32_e32 v128, v124, v189
	v_fma_f32 v96, v111, v176, -v96
	v_add_f32_e32 v131, v127, v128
	ds_read_b128 v[127:130], v94 offset:608
	v_add_f32_e32 v95, v95, v96
	v_mul_f32_e32 v96, v114, v178
	v_fma_f32 v96, v113, v177, -v96
	s_waitcnt vmcnt(32)
	v_mul_f32_e32 v132, v125, v192
	v_add_f32_e32 v95, v95, v96
	v_mul_f32_e32 v96, v116, v181
	v_fmac_f32_e32 v132, v126, v191
	v_fma_f32 v96, v115, v182, -v96
	v_add_f32_e32 v135, v131, v132
	ds_read_b128 v[131:134], v94 offset:624
	v_add_f32_e32 v95, v95, v96
	v_mul_f32_e32 v96, v118, v184
	s_waitcnt vmcnt(30) lgkmcnt(1)
	v_mul_f32_e32 v136, v127, v194
	v_fma_f32 v96, v117, v183, -v96
	v_fmac_f32_e32 v136, v128, v193
	v_add_f32_e32 v95, v95, v96
	v_mul_f32_e32 v96, v120, v185
	v_add_f32_e32 v135, v135, v136
	s_waitcnt vmcnt(28)
	v_mul_f32_e32 v136, v129, v196
	v_fma_f32 v96, v119, v186, -v96
	v_fmac_f32_e32 v136, v130, v195
	v_add_f32_e32 v95, v95, v96
	v_mul_f32_e32 v96, v122, v188
	v_add_f32_e32 v135, v135, v136
	s_waitcnt vmcnt(26) lgkmcnt(0)
	v_mul_f32_e32 v136, v131, v198
	v_fma_f32 v96, v121, v187, -v96
	v_fmac_f32_e32 v136, v132, v197
	v_add_f32_e32 v95, v95, v96
	v_mul_f32_e32 v96, v124, v190
	v_add_f32_e32 v139, v135, v136
	ds_read_b128 v[135:138], v94 offset:640
	v_fma_f32 v96, v123, v189, -v96
	v_add_f32_e32 v95, v95, v96
	v_mul_f32_e32 v96, v126, v192
	s_waitcnt vmcnt(24)
	v_mul_f32_e32 v140, v133, v200
	v_fma_f32 v96, v125, v191, -v96
	v_fmac_f32_e32 v140, v134, v199
	v_add_f32_e32 v95, v95, v96
	v_mul_f32_e32 v96, v128, v194
	v_add_f32_e32 v143, v139, v140
	ds_read_b128 v[139:142], v94 offset:656
	v_fma_f32 v96, v127, v193, -v96
	s_waitcnt vmcnt(22) lgkmcnt(1)
	v_mul_f32_e32 v144, v135, v202
	v_add_f32_e32 v95, v95, v96
	v_mul_f32_e32 v96, v130, v196
	v_fmac_f32_e32 v144, v136, v201
	v_fma_f32 v96, v129, v195, -v96
	v_add_f32_e32 v143, v143, v144
	s_waitcnt vmcnt(20)
	v_mul_f32_e32 v144, v137, v204
	v_add_f32_e32 v95, v95, v96
	v_mul_f32_e32 v96, v132, v198
	v_fmac_f32_e32 v144, v138, v203
	v_fma_f32 v96, v131, v197, -v96
	v_add_f32_e32 v143, v143, v144
	s_waitcnt vmcnt(18) lgkmcnt(0)
	v_mul_f32_e32 v144, v139, v206
	v_add_f32_e32 v95, v95, v96
	v_mul_f32_e32 v96, v134, v200
	v_fmac_f32_e32 v144, v140, v205
	v_fma_f32 v96, v133, v199, -v96
	v_add_f32_e32 v147, v143, v144
	ds_read_b128 v[143:146], v94 offset:672
	v_add_f32_e32 v95, v95, v96
	v_mul_f32_e32 v96, v136, v202
	v_fma_f32 v96, v135, v201, -v96
	s_waitcnt vmcnt(16)
	v_mul_f32_e32 v148, v141, v208
	v_add_f32_e32 v95, v95, v96
	v_mul_f32_e32 v96, v138, v204
	v_fmac_f32_e32 v148, v142, v207
	v_fma_f32 v96, v137, v203, -v96
	v_add_f32_e32 v151, v147, v148
	ds_read_b128 v[147:150], v94 offset:688
	v_add_f32_e32 v95, v95, v96
	v_mul_f32_e32 v96, v140, v206
	s_waitcnt vmcnt(14) lgkmcnt(1)
	v_mul_f32_e32 v152, v143, v210
	v_fma_f32 v96, v139, v205, -v96
	v_fmac_f32_e32 v152, v144, v209
	v_add_f32_e32 v95, v95, v96
	v_mul_f32_e32 v96, v142, v208
	v_add_f32_e32 v151, v151, v152
	s_waitcnt vmcnt(12)
	v_mul_f32_e32 v152, v145, v212
	v_fma_f32 v96, v141, v207, -v96
	v_fmac_f32_e32 v152, v146, v211
	v_add_f32_e32 v95, v95, v96
	v_mul_f32_e32 v96, v144, v210
	v_add_f32_e32 v151, v151, v152
	s_waitcnt vmcnt(10) lgkmcnt(0)
	v_mul_f32_e32 v152, v147, v214
	v_fma_f32 v96, v143, v209, -v96
	v_fmac_f32_e32 v152, v148, v213
	v_add_f32_e32 v95, v95, v96
	v_mul_f32_e32 v96, v146, v212
	v_add_f32_e32 v155, v151, v152
	ds_read_b128 v[151:154], v94 offset:704
	v_fma_f32 v96, v145, v211, -v96
	v_add_f32_e32 v95, v95, v96
	v_mul_f32_e32 v96, v148, v214
	s_waitcnt vmcnt(8)
	v_mul_f32_e32 v156, v149, v216
	v_fma_f32 v96, v147, v213, -v96
	v_fmac_f32_e32 v156, v150, v215
	v_add_f32_e32 v95, v95, v96
	v_mul_f32_e32 v96, v150, v216
	v_add_f32_e32 v225, v155, v156
	ds_read_b128 v[155:158], v94 offset:720
	v_fma_f32 v96, v149, v215, -v96
	v_add_f32_e32 v95, v95, v96
	s_waitcnt vmcnt(6) lgkmcnt(1)
	v_mul_f32_e32 v96, v152, v218
	v_mul_f32_e32 v94, v151, v218
	v_fma_f32 v96, v151, v217, -v96
	v_fmac_f32_e32 v94, v152, v217
	v_add_f32_e32 v95, v95, v96
	s_waitcnt vmcnt(5)
	v_mul_f32_e32 v96, v154, v219
	v_add_f32_e32 v94, v225, v94
	v_mul_f32_e32 v225, v153, v219
	s_waitcnt vmcnt(4)
	v_fma_f32 v96, v153, v220, -v96
	v_fmac_f32_e32 v225, v154, v220
	v_add_f32_e32 v95, v95, v96
	s_waitcnt vmcnt(2) lgkmcnt(0)
	v_mul_f32_e32 v96, v156, v222
	v_add_f32_e32 v94, v94, v225
	v_mul_f32_e32 v225, v155, v222
	v_fma_f32 v96, v155, v221, -v96
	v_fmac_f32_e32 v225, v156, v221
	v_add_f32_e32 v95, v95, v96
	s_waitcnt vmcnt(0)
	v_mul_f32_e32 v96, v158, v224
	v_add_f32_e32 v94, v94, v225
	v_mul_f32_e32 v225, v157, v224
	v_fma_f32 v96, v157, v223, -v96
	v_fmac_f32_e32 v225, v158, v223
	v_add_f32_e32 v95, v95, v96
	v_add_f32_e32 v94, v94, v225
	v_sub_f32_e32 v95, v179, v95
	v_sub_f32_e32 v94, v180, v94
	buffer_store_dword v95, off, s[0:3], 0 offset:104
	buffer_store_dword v94, off, s[0:3], 0 offset:108
	s_and_saveexec_b64 s[4:5], vcc
	s_cbranch_execz .LBB45_265
; %bb.264:
	buffer_load_dword v94, off, s[0:3], 0 offset:96
	buffer_load_dword v95, off, s[0:3], 0 offset:100
	v_mov_b32_e32 v96, 0
	buffer_store_dword v96, off, s[0:3], 0 offset:96
	buffer_store_dword v96, off, s[0:3], 0 offset:100
	s_waitcnt vmcnt(2)
	ds_write_b64 v93, v[94:95]
.LBB45_265:
	s_or_b64 exec, exec, s[4:5]
	s_waitcnt lgkmcnt(0)
	; wave barrier
	buffer_load_dword v161, off, s[0:3], 0 offset:108
	buffer_load_dword v162, off, s[0:3], 0 offset:116
	buffer_load_dword v163, off, s[0:3], 0 offset:124
	buffer_load_dword v164, off, s[0:3], 0 offset:132
	buffer_load_dword v165, off, s[0:3], 0 offset:140
	buffer_load_dword v166, off, s[0:3], 0 offset:148
	buffer_load_dword v167, off, s[0:3], 0 offset:156
	buffer_load_dword v168, off, s[0:3], 0 offset:164
	buffer_load_dword v169, off, s[0:3], 0 offset:104
	buffer_load_dword v170, off, s[0:3], 0 offset:112
	buffer_load_dword v171, off, s[0:3], 0 offset:120
	buffer_load_dword v172, off, s[0:3], 0 offset:128
	buffer_load_dword v173, off, s[0:3], 0 offset:136
	buffer_load_dword v174, off, s[0:3], 0 offset:144
	buffer_load_dword v175, off, s[0:3], 0 offset:152
	buffer_load_dword v176, off, s[0:3], 0 offset:160
	buffer_load_dword v177, off, s[0:3], 0 offset:172
	buffer_load_dword v178, off, s[0:3], 0 offset:168
	buffer_load_dword v179, off, s[0:3], 0 offset:180
	buffer_load_dword v180, off, s[0:3], 0 offset:96
	buffer_load_dword v181, off, s[0:3], 0 offset:100
	buffer_load_dword v182, off, s[0:3], 0 offset:176
	buffer_load_dword v183, off, s[0:3], 0 offset:184
	buffer_load_dword v184, off, s[0:3], 0 offset:188
	buffer_load_dword v185, off, s[0:3], 0 offset:192
	buffer_load_dword v186, off, s[0:3], 0 offset:196
	buffer_load_dword v187, off, s[0:3], 0 offset:200
	buffer_load_dword v188, off, s[0:3], 0 offset:204
	buffer_load_dword v189, off, s[0:3], 0 offset:208
	buffer_load_dword v190, off, s[0:3], 0 offset:212
	buffer_load_dword v191, off, s[0:3], 0 offset:216
	buffer_load_dword v192, off, s[0:3], 0 offset:220
	buffer_load_dword v193, off, s[0:3], 0 offset:224
	buffer_load_dword v194, off, s[0:3], 0 offset:228
	buffer_load_dword v195, off, s[0:3], 0 offset:232
	buffer_load_dword v196, off, s[0:3], 0 offset:236
	buffer_load_dword v197, off, s[0:3], 0 offset:240
	buffer_load_dword v198, off, s[0:3], 0 offset:244
	buffer_load_dword v199, off, s[0:3], 0 offset:248
	buffer_load_dword v200, off, s[0:3], 0 offset:252
	buffer_load_dword v201, off, s[0:3], 0 offset:256
	buffer_load_dword v202, off, s[0:3], 0 offset:260
	buffer_load_dword v203, off, s[0:3], 0 offset:264
	buffer_load_dword v204, off, s[0:3], 0 offset:268
	buffer_load_dword v205, off, s[0:3], 0 offset:272
	buffer_load_dword v206, off, s[0:3], 0 offset:276
	buffer_load_dword v207, off, s[0:3], 0 offset:280
	buffer_load_dword v208, off, s[0:3], 0 offset:284
	buffer_load_dword v209, off, s[0:3], 0 offset:288
	buffer_load_dword v210, off, s[0:3], 0 offset:292
	buffer_load_dword v211, off, s[0:3], 0 offset:296
	buffer_load_dword v212, off, s[0:3], 0 offset:300
	buffer_load_dword v213, off, s[0:3], 0 offset:304
	buffer_load_dword v214, off, s[0:3], 0 offset:308
	buffer_load_dword v215, off, s[0:3], 0 offset:312
	buffer_load_dword v216, off, s[0:3], 0 offset:316
	buffer_load_dword v217, off, s[0:3], 0 offset:320
	buffer_load_dword v218, off, s[0:3], 0 offset:324
	v_mov_b32_e32 v94, 0
	ds_read2_b64 v[95:98], v94 offset0:59 offset1:60
	ds_read2_b64 v[99:102], v94 offset0:61 offset1:62
	;; [unrolled: 1-line block ×5, first 2 shown]
	buffer_load_dword v219, off, s[0:3], 0 offset:328
	buffer_load_dword v220, off, s[0:3], 0 offset:332
	v_cmp_lt_u32_e32 vcc, 11, v0
	s_waitcnt vmcnt(59) lgkmcnt(4)
	v_mul_f32_e32 v115, v95, v161
	s_waitcnt vmcnt(58)
	v_mul_f32_e32 v116, v97, v162
	s_waitcnt vmcnt(57) lgkmcnt(3)
	v_mul_f32_e32 v117, v99, v163
	s_waitcnt vmcnt(56)
	v_mul_f32_e32 v118, v101, v164
	;; [unrolled: 4-line block ×4, first 2 shown]
	s_waitcnt vmcnt(51)
	v_fmac_f32_e32 v115, v96, v169
	s_waitcnt vmcnt(50)
	v_fmac_f32_e32 v116, v98, v170
	v_add_f32_e32 v115, 0, v115
	s_waitcnt vmcnt(49)
	v_fmac_f32_e32 v117, v100, v171
	v_add_f32_e32 v115, v115, v116
	;; [unrolled: 3-line block ×7, first 2 shown]
	v_add_f32_e32 v119, v115, v122
	ds_read2_b64 v[115:118], v94 offset0:69 offset1:70
	buffer_load_dword v221, off, s[0:3], 0 offset:340
	buffer_load_dword v222, off, s[0:3], 0 offset:336
	;; [unrolled: 1-line block ×8, first 2 shown]
	s_waitcnt vmcnt(51) lgkmcnt(1)
	v_mul_f32_e32 v120, v111, v177
	s_waitcnt vmcnt(50)
	v_fmac_f32_e32 v120, v112, v178
	v_mul_f32_e32 v96, v96, v161
	v_add_f32_e32 v119, v119, v120
	s_waitcnt vmcnt(49)
	v_mul_f32_e32 v120, v113, v179
	v_fma_f32 v95, v95, v169, -v96
	v_mul_f32_e32 v96, v98, v162
	s_waitcnt vmcnt(46)
	v_fmac_f32_e32 v120, v114, v182
	v_add_f32_e32 v95, 0, v95
	v_fma_f32 v96, v97, v170, -v96
	v_add_f32_e32 v119, v119, v120
	s_waitcnt vmcnt(44) lgkmcnt(0)
	v_mul_f32_e32 v120, v115, v184
	v_add_f32_e32 v95, v95, v96
	v_mul_f32_e32 v96, v100, v163
	v_fmac_f32_e32 v120, v116, v183
	v_fma_f32 v96, v99, v171, -v96
	v_add_f32_e32 v123, v119, v120
	ds_read2_b64 v[119:122], v94 offset0:71 offset1:72
	v_add_f32_e32 v95, v95, v96
	v_mul_f32_e32 v96, v102, v164
	v_fma_f32 v96, v101, v172, -v96
	s_waitcnt vmcnt(42)
	v_mul_f32_e32 v124, v117, v186
	v_add_f32_e32 v95, v95, v96
	v_mul_f32_e32 v96, v104, v165
	v_fmac_f32_e32 v124, v118, v185
	v_fma_f32 v96, v103, v173, -v96
	v_add_f32_e32 v127, v123, v124
	ds_read2_b64 v[123:126], v94 offset0:73 offset1:74
	v_add_f32_e32 v95, v95, v96
	v_mul_f32_e32 v96, v106, v166
	s_waitcnt vmcnt(40) lgkmcnt(1)
	v_mul_f32_e32 v128, v119, v188
	v_fma_f32 v96, v105, v174, -v96
	v_fmac_f32_e32 v128, v120, v187
	v_add_f32_e32 v95, v95, v96
	v_mul_f32_e32 v96, v108, v167
	v_add_f32_e32 v127, v127, v128
	s_waitcnt vmcnt(38)
	v_mul_f32_e32 v128, v121, v190
	v_fma_f32 v96, v107, v175, -v96
	v_fmac_f32_e32 v128, v122, v189
	v_add_f32_e32 v95, v95, v96
	v_mul_f32_e32 v96, v110, v168
	v_add_f32_e32 v127, v127, v128
	s_waitcnt vmcnt(36) lgkmcnt(0)
	v_mul_f32_e32 v128, v123, v192
	v_fma_f32 v96, v109, v176, -v96
	v_fmac_f32_e32 v128, v124, v191
	v_add_f32_e32 v95, v95, v96
	v_mul_f32_e32 v96, v112, v177
	v_add_f32_e32 v131, v127, v128
	ds_read2_b64 v[127:130], v94 offset0:75 offset1:76
	v_fma_f32 v96, v111, v178, -v96
	v_add_f32_e32 v95, v95, v96
	v_mul_f32_e32 v96, v114, v179
	s_waitcnt vmcnt(34)
	v_mul_f32_e32 v132, v125, v194
	v_fma_f32 v96, v113, v182, -v96
	v_fmac_f32_e32 v132, v126, v193
	v_add_f32_e32 v95, v95, v96
	v_mul_f32_e32 v96, v116, v184
	v_add_f32_e32 v135, v131, v132
	ds_read2_b64 v[131:134], v94 offset0:77 offset1:78
	v_fma_f32 v96, v115, v183, -v96
	s_waitcnt vmcnt(32) lgkmcnt(1)
	v_mul_f32_e32 v136, v127, v196
	v_add_f32_e32 v95, v95, v96
	v_mul_f32_e32 v96, v118, v186
	v_fmac_f32_e32 v136, v128, v195
	v_fma_f32 v96, v117, v185, -v96
	v_add_f32_e32 v135, v135, v136
	s_waitcnt vmcnt(30)
	v_mul_f32_e32 v136, v129, v198
	v_add_f32_e32 v95, v95, v96
	v_mul_f32_e32 v96, v120, v188
	v_fmac_f32_e32 v136, v130, v197
	v_fma_f32 v96, v119, v187, -v96
	v_add_f32_e32 v135, v135, v136
	s_waitcnt vmcnt(28) lgkmcnt(0)
	v_mul_f32_e32 v136, v131, v200
	v_add_f32_e32 v95, v95, v96
	v_mul_f32_e32 v96, v122, v190
	v_fmac_f32_e32 v136, v132, v199
	v_fma_f32 v96, v121, v189, -v96
	v_add_f32_e32 v139, v135, v136
	ds_read2_b64 v[135:138], v94 offset0:79 offset1:80
	v_add_f32_e32 v95, v95, v96
	v_mul_f32_e32 v96, v124, v192
	v_fma_f32 v96, v123, v191, -v96
	s_waitcnt vmcnt(26)
	v_mul_f32_e32 v140, v133, v202
	v_add_f32_e32 v95, v95, v96
	v_mul_f32_e32 v96, v126, v194
	v_fmac_f32_e32 v140, v134, v201
	v_fma_f32 v96, v125, v193, -v96
	v_add_f32_e32 v143, v139, v140
	ds_read2_b64 v[139:142], v94 offset0:81 offset1:82
	v_add_f32_e32 v95, v95, v96
	v_mul_f32_e32 v96, v128, v196
	s_waitcnt vmcnt(24) lgkmcnt(1)
	v_mul_f32_e32 v144, v135, v204
	v_fma_f32 v96, v127, v195, -v96
	v_fmac_f32_e32 v144, v136, v203
	v_add_f32_e32 v95, v95, v96
	v_mul_f32_e32 v96, v130, v198
	v_add_f32_e32 v143, v143, v144
	s_waitcnt vmcnt(22)
	v_mul_f32_e32 v144, v137, v206
	v_fma_f32 v96, v129, v197, -v96
	v_fmac_f32_e32 v144, v138, v205
	v_add_f32_e32 v95, v95, v96
	v_mul_f32_e32 v96, v132, v200
	v_add_f32_e32 v143, v143, v144
	s_waitcnt vmcnt(20) lgkmcnt(0)
	v_mul_f32_e32 v144, v139, v208
	v_fma_f32 v96, v131, v199, -v96
	v_fmac_f32_e32 v144, v140, v207
	v_add_f32_e32 v95, v95, v96
	v_mul_f32_e32 v96, v134, v202
	v_add_f32_e32 v147, v143, v144
	ds_read2_b64 v[143:146], v94 offset0:83 offset1:84
	v_fma_f32 v96, v133, v201, -v96
	v_add_f32_e32 v95, v95, v96
	v_mul_f32_e32 v96, v136, v204
	s_waitcnt vmcnt(18)
	v_mul_f32_e32 v148, v141, v210
	v_fma_f32 v96, v135, v203, -v96
	v_fmac_f32_e32 v148, v142, v209
	v_add_f32_e32 v95, v95, v96
	v_mul_f32_e32 v96, v138, v206
	v_add_f32_e32 v151, v147, v148
	ds_read2_b64 v[147:150], v94 offset0:85 offset1:86
	v_fma_f32 v96, v137, v205, -v96
	s_waitcnt vmcnt(16) lgkmcnt(1)
	v_mul_f32_e32 v152, v143, v212
	v_add_f32_e32 v95, v95, v96
	v_mul_f32_e32 v96, v140, v208
	v_fmac_f32_e32 v152, v144, v211
	v_fma_f32 v96, v139, v207, -v96
	v_add_f32_e32 v151, v151, v152
	s_waitcnt vmcnt(14)
	v_mul_f32_e32 v152, v145, v214
	v_add_f32_e32 v95, v95, v96
	v_mul_f32_e32 v96, v142, v210
	v_fmac_f32_e32 v152, v146, v213
	v_fma_f32 v96, v141, v209, -v96
	v_add_f32_e32 v151, v151, v152
	s_waitcnt vmcnt(12) lgkmcnt(0)
	v_mul_f32_e32 v152, v147, v216
	v_add_f32_e32 v95, v95, v96
	v_mul_f32_e32 v96, v144, v212
	v_fmac_f32_e32 v152, v148, v215
	v_fma_f32 v96, v143, v211, -v96
	v_add_f32_e32 v155, v151, v152
	ds_read2_b64 v[151:154], v94 offset0:87 offset1:88
	v_add_f32_e32 v95, v95, v96
	v_mul_f32_e32 v96, v146, v214
	v_fma_f32 v96, v145, v213, -v96
	v_add_f32_e32 v95, v95, v96
	v_mul_f32_e32 v96, v148, v216
	s_waitcnt vmcnt(10)
	v_mul_f32_e32 v156, v149, v218
	v_fma_f32 v96, v147, v215, -v96
	v_fmac_f32_e32 v156, v150, v217
	v_add_f32_e32 v95, v95, v96
	v_mul_f32_e32 v96, v150, v218
	v_add_f32_e32 v159, v155, v156
	ds_read2_b64 v[155:158], v94 offset0:89 offset1:90
	s_waitcnt vmcnt(8) lgkmcnt(1)
	v_mul_f32_e32 v160, v151, v220
	v_fma_f32 v96, v149, v217, -v96
	v_fmac_f32_e32 v160, v152, v219
	v_add_f32_e32 v95, v95, v96
	v_mul_f32_e32 v96, v152, v220
	v_add_f32_e32 v159, v159, v160
	s_waitcnt vmcnt(7)
	v_mul_f32_e32 v160, v153, v221
	v_fma_f32 v96, v151, v219, -v96
	s_waitcnt vmcnt(6)
	v_fmac_f32_e32 v160, v154, v222
	v_add_f32_e32 v95, v95, v96
	v_mul_f32_e32 v96, v154, v221
	v_add_f32_e32 v229, v159, v160
	ds_read_b64 v[159:160], v94 offset:728
	v_fma_f32 v96, v153, v222, -v96
	v_add_f32_e32 v95, v95, v96
	s_waitcnt vmcnt(4) lgkmcnt(1)
	v_mul_f32_e32 v96, v156, v224
	v_mul_f32_e32 v230, v155, v224
	v_fma_f32 v96, v155, v223, -v96
	v_fmac_f32_e32 v230, v156, v223
	v_add_f32_e32 v95, v95, v96
	s_waitcnt vmcnt(3)
	v_mul_f32_e32 v96, v158, v225
	v_add_f32_e32 v229, v229, v230
	v_mul_f32_e32 v230, v157, v225
	s_waitcnt vmcnt(2)
	v_fma_f32 v96, v157, v226, -v96
	v_fmac_f32_e32 v230, v158, v226
	v_add_f32_e32 v95, v95, v96
	s_waitcnt vmcnt(0) lgkmcnt(0)
	v_mul_f32_e32 v96, v160, v228
	v_add_f32_e32 v229, v229, v230
	v_mul_f32_e32 v230, v159, v228
	v_fma_f32 v96, v159, v227, -v96
	v_fmac_f32_e32 v230, v160, v227
	v_add_f32_e32 v95, v95, v96
	v_add_f32_e32 v229, v229, v230
	v_sub_f32_e32 v95, v180, v95
	v_sub_f32_e32 v96, v181, v229
	buffer_store_dword v95, off, s[0:3], 0 offset:96
	buffer_store_dword v96, off, s[0:3], 0 offset:100
	s_and_saveexec_b64 s[4:5], vcc
	s_cbranch_execz .LBB45_267
; %bb.266:
	buffer_load_dword v95, off, s[0:3], 0 offset:88
	buffer_load_dword v96, off, s[0:3], 0 offset:92
	s_waitcnt vmcnt(0)
	ds_write_b64 v93, v[95:96]
	buffer_store_dword v94, off, s[0:3], 0 offset:88
	buffer_store_dword v94, off, s[0:3], 0 offset:92
.LBB45_267:
	s_or_b64 exec, exec, s[4:5]
	s_waitcnt lgkmcnt(0)
	; wave barrier
	buffer_load_dword v163, off, s[0:3], 0 offset:100
	buffer_load_dword v164, off, s[0:3], 0 offset:108
	;; [unrolled: 1-line block ×24, first 2 shown]
	ds_read_b128 v[95:98], v94 offset:464
	ds_read_b128 v[99:102], v94 offset:480
	;; [unrolled: 1-line block ×6, first 2 shown]
	buffer_load_dword v187, off, s[0:3], 0 offset:188
	buffer_load_dword v188, off, s[0:3], 0 offset:184
	;; [unrolled: 1-line block ×46, first 2 shown]
	v_cmp_lt_u32_e32 vcc, 10, v0
	s_waitcnt vmcnt(62) lgkmcnt(5)
	v_mul_f32_e32 v119, v95, v163
	v_mul_f32_e32 v120, v97, v164
	s_waitcnt lgkmcnt(4)
	v_mul_f32_e32 v121, v99, v165
	v_mul_f32_e32 v122, v101, v166
	s_waitcnt lgkmcnt(3)
	;; [unrolled: 3-line block ×3, first 2 shown]
	v_mul_f32_e32 v125, v107, v169
	v_mul_f32_e32 v126, v109, v170
	s_waitcnt vmcnt(61)
	v_fmac_f32_e32 v119, v96, v171
	s_waitcnt vmcnt(60)
	v_fmac_f32_e32 v120, v98, v172
	v_add_f32_e32 v119, 0, v119
	s_waitcnt vmcnt(59)
	v_fmac_f32_e32 v121, v100, v173
	v_add_f32_e32 v119, v119, v120
	;; [unrolled: 3-line block ×7, first 2 shown]
	s_waitcnt vmcnt(53) lgkmcnt(1)
	v_mul_f32_e32 v120, v111, v179
	v_add_f32_e32 v119, v119, v126
	s_waitcnt vmcnt(52)
	v_fmac_f32_e32 v120, v112, v180
	v_mul_f32_e32 v96, v96, v163
	v_add_f32_e32 v119, v119, v120
	s_waitcnt vmcnt(51)
	v_mul_f32_e32 v120, v113, v181
	v_fma_f32 v95, v95, v171, -v96
	v_mul_f32_e32 v96, v98, v164
	s_waitcnt vmcnt(50)
	v_fmac_f32_e32 v120, v114, v182
	v_add_f32_e32 v95, 0, v95
	v_fma_f32 v96, v97, v172, -v96
	v_add_f32_e32 v119, v119, v120
	s_waitcnt vmcnt(47) lgkmcnt(0)
	v_mul_f32_e32 v120, v115, v185
	v_add_f32_e32 v95, v95, v96
	v_mul_f32_e32 v96, v100, v165
	s_waitcnt vmcnt(46)
	v_fmac_f32_e32 v120, v116, v186
	v_fma_f32 v96, v99, v173, -v96
	v_add_f32_e32 v123, v119, v120
	ds_read_b128 v[119:122], v94 offset:560
	v_add_f32_e32 v95, v95, v96
	v_mul_f32_e32 v96, v102, v166
	v_fma_f32 v96, v101, v174, -v96
	s_waitcnt vmcnt(45)
	v_mul_f32_e32 v124, v117, v187
	v_add_f32_e32 v95, v95, v96
	v_mul_f32_e32 v96, v104, v167
	s_waitcnt vmcnt(44)
	v_fmac_f32_e32 v124, v118, v188
	v_fma_f32 v96, v103, v175, -v96
	v_add_f32_e32 v127, v123, v124
	ds_read_b128 v[123:126], v94 offset:576
	v_add_f32_e32 v95, v95, v96
	v_mul_f32_e32 v96, v106, v168
	s_waitcnt vmcnt(42) lgkmcnt(1)
	v_mul_f32_e32 v128, v119, v190
	v_fma_f32 v96, v105, v176, -v96
	v_fmac_f32_e32 v128, v120, v189
	v_add_f32_e32 v95, v95, v96
	v_mul_f32_e32 v96, v108, v169
	v_add_f32_e32 v127, v127, v128
	s_waitcnt vmcnt(40)
	v_mul_f32_e32 v128, v121, v192
	v_fma_f32 v96, v107, v177, -v96
	v_fmac_f32_e32 v128, v122, v191
	v_add_f32_e32 v95, v95, v96
	v_mul_f32_e32 v96, v110, v170
	v_add_f32_e32 v127, v127, v128
	s_waitcnt vmcnt(38) lgkmcnt(0)
	v_mul_f32_e32 v128, v123, v194
	v_fma_f32 v96, v109, v178, -v96
	v_fmac_f32_e32 v128, v124, v193
	v_add_f32_e32 v95, v95, v96
	v_mul_f32_e32 v96, v112, v179
	v_add_f32_e32 v131, v127, v128
	ds_read_b128 v[127:130], v94 offset:592
	v_fma_f32 v96, v111, v180, -v96
	v_add_f32_e32 v95, v95, v96
	v_mul_f32_e32 v96, v114, v181
	s_waitcnt vmcnt(36)
	v_mul_f32_e32 v132, v125, v196
	v_fma_f32 v96, v113, v182, -v96
	v_fmac_f32_e32 v132, v126, v195
	v_add_f32_e32 v95, v95, v96
	v_mul_f32_e32 v96, v116, v185
	v_add_f32_e32 v135, v131, v132
	ds_read_b128 v[131:134], v94 offset:608
	v_fma_f32 v96, v115, v186, -v96
	s_waitcnt vmcnt(34) lgkmcnt(1)
	v_mul_f32_e32 v136, v127, v198
	v_add_f32_e32 v95, v95, v96
	v_mul_f32_e32 v96, v118, v187
	v_fmac_f32_e32 v136, v128, v197
	v_fma_f32 v96, v117, v188, -v96
	v_add_f32_e32 v135, v135, v136
	s_waitcnt vmcnt(32)
	v_mul_f32_e32 v136, v129, v200
	v_add_f32_e32 v95, v95, v96
	v_mul_f32_e32 v96, v120, v190
	v_fmac_f32_e32 v136, v130, v199
	v_fma_f32 v96, v119, v189, -v96
	v_add_f32_e32 v135, v135, v136
	s_waitcnt vmcnt(30) lgkmcnt(0)
	v_mul_f32_e32 v136, v131, v202
	v_add_f32_e32 v95, v95, v96
	v_mul_f32_e32 v96, v122, v192
	v_fmac_f32_e32 v136, v132, v201
	v_fma_f32 v96, v121, v191, -v96
	v_add_f32_e32 v139, v135, v136
	ds_read_b128 v[135:138], v94 offset:624
	v_add_f32_e32 v95, v95, v96
	v_mul_f32_e32 v96, v124, v194
	v_fma_f32 v96, v123, v193, -v96
	s_waitcnt vmcnt(28)
	v_mul_f32_e32 v140, v133, v204
	v_add_f32_e32 v95, v95, v96
	v_mul_f32_e32 v96, v126, v196
	v_fmac_f32_e32 v140, v134, v203
	v_fma_f32 v96, v125, v195, -v96
	v_add_f32_e32 v143, v139, v140
	ds_read_b128 v[139:142], v94 offset:640
	v_add_f32_e32 v95, v95, v96
	v_mul_f32_e32 v96, v128, v198
	s_waitcnt vmcnt(26) lgkmcnt(1)
	v_mul_f32_e32 v144, v135, v206
	v_fma_f32 v96, v127, v197, -v96
	v_fmac_f32_e32 v144, v136, v205
	v_add_f32_e32 v95, v95, v96
	v_mul_f32_e32 v96, v130, v200
	v_add_f32_e32 v143, v143, v144
	s_waitcnt vmcnt(24)
	v_mul_f32_e32 v144, v137, v208
	v_fma_f32 v96, v129, v199, -v96
	v_fmac_f32_e32 v144, v138, v207
	v_add_f32_e32 v95, v95, v96
	v_mul_f32_e32 v96, v132, v202
	v_add_f32_e32 v143, v143, v144
	s_waitcnt vmcnt(22) lgkmcnt(0)
	v_mul_f32_e32 v144, v139, v210
	v_fma_f32 v96, v131, v201, -v96
	v_fmac_f32_e32 v144, v140, v209
	v_add_f32_e32 v95, v95, v96
	v_mul_f32_e32 v96, v134, v204
	v_add_f32_e32 v147, v143, v144
	ds_read_b128 v[143:146], v94 offset:656
	v_fma_f32 v96, v133, v203, -v96
	v_add_f32_e32 v95, v95, v96
	v_mul_f32_e32 v96, v136, v206
	s_waitcnt vmcnt(20)
	v_mul_f32_e32 v148, v141, v212
	v_fma_f32 v96, v135, v205, -v96
	v_fmac_f32_e32 v148, v142, v211
	v_add_f32_e32 v95, v95, v96
	v_mul_f32_e32 v96, v138, v208
	v_add_f32_e32 v151, v147, v148
	ds_read_b128 v[147:150], v94 offset:672
	v_fma_f32 v96, v137, v207, -v96
	s_waitcnt vmcnt(18) lgkmcnt(1)
	v_mul_f32_e32 v152, v143, v214
	v_add_f32_e32 v95, v95, v96
	v_mul_f32_e32 v96, v140, v210
	v_fmac_f32_e32 v152, v144, v213
	v_fma_f32 v96, v139, v209, -v96
	v_add_f32_e32 v151, v151, v152
	s_waitcnt vmcnt(16)
	v_mul_f32_e32 v152, v145, v216
	v_add_f32_e32 v95, v95, v96
	v_mul_f32_e32 v96, v142, v212
	v_fmac_f32_e32 v152, v146, v215
	v_fma_f32 v96, v141, v211, -v96
	v_add_f32_e32 v151, v151, v152
	s_waitcnt vmcnt(14) lgkmcnt(0)
	v_mul_f32_e32 v152, v147, v218
	v_add_f32_e32 v95, v95, v96
	v_mul_f32_e32 v96, v144, v214
	v_fmac_f32_e32 v152, v148, v217
	v_fma_f32 v96, v143, v213, -v96
	v_add_f32_e32 v155, v151, v152
	ds_read_b128 v[151:154], v94 offset:688
	v_add_f32_e32 v95, v95, v96
	v_mul_f32_e32 v96, v146, v216
	v_fma_f32 v96, v145, v215, -v96
	v_add_f32_e32 v95, v95, v96
	v_mul_f32_e32 v96, v148, v218
	s_waitcnt vmcnt(12)
	v_mul_f32_e32 v156, v149, v220
	v_fma_f32 v96, v147, v217, -v96
	v_fmac_f32_e32 v156, v150, v219
	v_add_f32_e32 v95, v95, v96
	v_mul_f32_e32 v96, v150, v220
	v_add_f32_e32 v159, v155, v156
	ds_read_b128 v[155:158], v94 offset:704
	s_waitcnt vmcnt(10) lgkmcnt(1)
	v_mul_f32_e32 v160, v151, v222
	v_fma_f32 v96, v149, v219, -v96
	v_fmac_f32_e32 v160, v152, v221
	v_add_f32_e32 v95, v95, v96
	v_mul_f32_e32 v96, v152, v222
	v_add_f32_e32 v159, v159, v160
	s_waitcnt vmcnt(9)
	v_mul_f32_e32 v160, v153, v223
	v_fma_f32 v96, v151, v221, -v96
	s_waitcnt vmcnt(8)
	v_fmac_f32_e32 v160, v154, v224
	v_add_f32_e32 v95, v95, v96
	v_mul_f32_e32 v96, v154, v223
	v_add_f32_e32 v233, v159, v160
	ds_read_b128 v[159:162], v94 offset:720
	v_fma_f32 v96, v153, v224, -v96
	v_add_f32_e32 v95, v95, v96
	s_waitcnt vmcnt(6) lgkmcnt(1)
	v_mul_f32_e32 v96, v156, v226
	v_mul_f32_e32 v234, v155, v226
	v_fma_f32 v96, v155, v225, -v96
	v_fmac_f32_e32 v234, v156, v225
	v_add_f32_e32 v95, v95, v96
	s_waitcnt vmcnt(4)
	v_mul_f32_e32 v96, v158, v228
	v_add_f32_e32 v94, v233, v234
	v_mul_f32_e32 v233, v157, v228
	v_fma_f32 v96, v157, v227, -v96
	v_fmac_f32_e32 v233, v158, v227
	v_add_f32_e32 v95, v95, v96
	s_waitcnt vmcnt(3) lgkmcnt(0)
	v_mul_f32_e32 v96, v160, v229
	v_add_f32_e32 v94, v94, v233
	v_mul_f32_e32 v233, v159, v229
	s_waitcnt vmcnt(2)
	v_fma_f32 v96, v159, v230, -v96
	v_fmac_f32_e32 v233, v160, v230
	v_add_f32_e32 v95, v95, v96
	s_waitcnt vmcnt(0)
	v_mul_f32_e32 v96, v162, v232
	v_add_f32_e32 v94, v94, v233
	v_mul_f32_e32 v233, v161, v232
	v_fma_f32 v96, v161, v231, -v96
	v_fmac_f32_e32 v233, v162, v231
	v_add_f32_e32 v95, v95, v96
	v_add_f32_e32 v94, v94, v233
	v_sub_f32_e32 v95, v183, v95
	v_sub_f32_e32 v94, v184, v94
	buffer_store_dword v95, off, s[0:3], 0 offset:88
	buffer_store_dword v94, off, s[0:3], 0 offset:92
	s_and_saveexec_b64 s[4:5], vcc
	s_cbranch_execz .LBB45_269
; %bb.268:
	buffer_load_dword v94, off, s[0:3], 0 offset:80
	buffer_load_dword v95, off, s[0:3], 0 offset:84
	v_mov_b32_e32 v96, 0
	buffer_store_dword v96, off, s[0:3], 0 offset:80
	buffer_store_dword v96, off, s[0:3], 0 offset:84
	s_waitcnt vmcnt(2)
	ds_write_b64 v93, v[94:95]
.LBB45_269:
	s_or_b64 exec, exec, s[4:5]
	s_waitcnt lgkmcnt(0)
	; wave barrier
	buffer_load_dword v165, off, s[0:3], 0 offset:92
	buffer_load_dword v166, off, s[0:3], 0 offset:100
	;; [unrolled: 1-line block ×56, first 2 shown]
	v_mov_b32_e32 v94, 0
	ds_read2_b64 v[95:98], v94 offset0:57 offset1:58
	ds_read2_b64 v[99:102], v94 offset0:59 offset1:60
	;; [unrolled: 1-line block ×6, first 2 shown]
	buffer_load_dword v221, off, s[0:3], 0 offset:304
	buffer_load_dword v222, off, s[0:3], 0 offset:308
	buffer_load_dword v223, off, s[0:3], 0 offset:312
	buffer_load_dword v224, off, s[0:3], 0 offset:316
	buffer_load_dword v225, off, s[0:3], 0 offset:324
	buffer_load_dword v226, off, s[0:3], 0 offset:320
	buffer_load_dword v227, off, s[0:3], 0 offset:328
	buffer_load_dword v228, off, s[0:3], 0 offset:332
	buffer_load_dword v229, off, s[0:3], 0 offset:336
	buffer_load_dword v230, off, s[0:3], 0 offset:340
	buffer_load_dword v231, off, s[0:3], 0 offset:344
	buffer_load_dword v232, off, s[0:3], 0 offset:348
	v_cmp_lt_u32_e32 vcc, 9, v0
	s_waitcnt vmcnt(62) lgkmcnt(5)
	v_mul_f32_e32 v119, v95, v165
	v_mul_f32_e32 v120, v97, v166
	s_waitcnt lgkmcnt(4)
	v_mul_f32_e32 v121, v99, v167
	v_mul_f32_e32 v122, v101, v168
	s_waitcnt lgkmcnt(3)
	v_mul_f32_e32 v123, v103, v169
	v_mul_f32_e32 v124, v105, v170
	s_waitcnt vmcnt(61) lgkmcnt(2)
	v_mul_f32_e32 v125, v107, v171
	s_waitcnt vmcnt(60)
	v_mul_f32_e32 v126, v109, v172
	s_waitcnt vmcnt(59) lgkmcnt(1)
	v_mul_f32_e32 v127, v111, v173
	s_waitcnt vmcnt(58)
	v_fmac_f32_e32 v119, v96, v174
	s_waitcnt vmcnt(57)
	v_fmac_f32_e32 v120, v98, v175
	v_add_f32_e32 v119, 0, v119
	s_waitcnt vmcnt(56)
	v_fmac_f32_e32 v121, v100, v176
	v_add_f32_e32 v119, v119, v120
	;; [unrolled: 3-line block ×7, first 2 shown]
	v_add_f32_e32 v119, v119, v126
	s_waitcnt vmcnt(50)
	v_fmac_f32_e32 v127, v112, v182
	s_waitcnt vmcnt(49)
	v_mul_f32_e32 v120, v113, v183
	v_add_f32_e32 v119, v119, v127
	s_waitcnt vmcnt(48)
	v_fmac_f32_e32 v120, v114, v184
	v_add_f32_e32 v119, v119, v120
	s_waitcnt vmcnt(47) lgkmcnt(0)
	v_mul_f32_e32 v120, v115, v185
	s_waitcnt vmcnt(44)
	v_fmac_f32_e32 v120, v116, v188
	v_add_f32_e32 v123, v119, v120
	ds_read2_b64 v[119:122], v94 offset0:69 offset1:70
	buffer_load_dword v233, off, s[0:3], 0 offset:356
	buffer_load_dword v234, off, s[0:3], 0 offset:352
	;; [unrolled: 1-line block ×4, first 2 shown]
	v_mul_f32_e32 v96, v96, v165
	v_fma_f32 v95, v95, v174, -v96
	v_mul_f32_e32 v96, v98, v166
	v_add_f32_e32 v95, 0, v95
	v_fma_f32 v96, v97, v175, -v96
	v_add_f32_e32 v95, v95, v96
	v_mul_f32_e32 v96, v100, v167
	v_fma_f32 v96, v99, v176, -v96
	s_waitcnt vmcnt(46)
	v_mul_f32_e32 v124, v117, v190
	v_add_f32_e32 v95, v95, v96
	v_mul_f32_e32 v96, v102, v168
	v_fmac_f32_e32 v124, v118, v189
	v_fma_f32 v96, v101, v177, -v96
	v_add_f32_e32 v127, v123, v124
	ds_read2_b64 v[123:126], v94 offset0:71 offset1:72
	v_add_f32_e32 v95, v95, v96
	v_mul_f32_e32 v96, v104, v169
	s_waitcnt vmcnt(44) lgkmcnt(1)
	v_mul_f32_e32 v128, v119, v192
	v_fma_f32 v96, v103, v178, -v96
	v_fmac_f32_e32 v128, v120, v191
	v_add_f32_e32 v95, v95, v96
	v_mul_f32_e32 v96, v106, v170
	v_add_f32_e32 v127, v127, v128
	s_waitcnt vmcnt(42)
	v_mul_f32_e32 v128, v121, v194
	v_fma_f32 v96, v105, v179, -v96
	v_fmac_f32_e32 v128, v122, v193
	v_add_f32_e32 v95, v95, v96
	v_mul_f32_e32 v96, v108, v171
	v_add_f32_e32 v127, v127, v128
	s_waitcnt vmcnt(40) lgkmcnt(0)
	v_mul_f32_e32 v128, v123, v196
	v_fma_f32 v96, v107, v180, -v96
	v_fmac_f32_e32 v128, v124, v195
	v_add_f32_e32 v95, v95, v96
	v_mul_f32_e32 v96, v110, v172
	v_add_f32_e32 v131, v127, v128
	ds_read2_b64 v[127:130], v94 offset0:73 offset1:74
	v_fma_f32 v96, v109, v181, -v96
	v_add_f32_e32 v95, v95, v96
	v_mul_f32_e32 v96, v112, v173
	s_waitcnt vmcnt(38)
	v_mul_f32_e32 v132, v125, v198
	v_fma_f32 v96, v111, v182, -v96
	v_fmac_f32_e32 v132, v126, v197
	v_add_f32_e32 v95, v95, v96
	v_mul_f32_e32 v96, v114, v183
	v_add_f32_e32 v135, v131, v132
	ds_read2_b64 v[131:134], v94 offset0:75 offset1:76
	v_fma_f32 v96, v113, v184, -v96
	s_waitcnt vmcnt(36) lgkmcnt(1)
	v_mul_f32_e32 v136, v127, v200
	v_add_f32_e32 v95, v95, v96
	v_mul_f32_e32 v96, v116, v185
	v_fmac_f32_e32 v136, v128, v199
	v_fma_f32 v96, v115, v188, -v96
	v_add_f32_e32 v135, v135, v136
	s_waitcnt vmcnt(34)
	v_mul_f32_e32 v136, v129, v202
	v_add_f32_e32 v95, v95, v96
	v_mul_f32_e32 v96, v118, v190
	v_fmac_f32_e32 v136, v130, v201
	v_fma_f32 v96, v117, v189, -v96
	v_add_f32_e32 v135, v135, v136
	s_waitcnt vmcnt(32) lgkmcnt(0)
	v_mul_f32_e32 v136, v131, v204
	v_add_f32_e32 v95, v95, v96
	v_mul_f32_e32 v96, v120, v192
	v_fmac_f32_e32 v136, v132, v203
	v_fma_f32 v96, v119, v191, -v96
	v_add_f32_e32 v139, v135, v136
	ds_read2_b64 v[135:138], v94 offset0:77 offset1:78
	v_add_f32_e32 v95, v95, v96
	v_mul_f32_e32 v96, v122, v194
	v_fma_f32 v96, v121, v193, -v96
	s_waitcnt vmcnt(30)
	v_mul_f32_e32 v140, v133, v206
	v_add_f32_e32 v95, v95, v96
	v_mul_f32_e32 v96, v124, v196
	v_fmac_f32_e32 v140, v134, v205
	v_fma_f32 v96, v123, v195, -v96
	v_add_f32_e32 v143, v139, v140
	ds_read2_b64 v[139:142], v94 offset0:79 offset1:80
	v_add_f32_e32 v95, v95, v96
	v_mul_f32_e32 v96, v126, v198
	s_waitcnt vmcnt(28) lgkmcnt(1)
	v_mul_f32_e32 v144, v135, v208
	v_fma_f32 v96, v125, v197, -v96
	v_fmac_f32_e32 v144, v136, v207
	v_add_f32_e32 v95, v95, v96
	v_mul_f32_e32 v96, v128, v200
	v_add_f32_e32 v143, v143, v144
	s_waitcnt vmcnt(26)
	v_mul_f32_e32 v144, v137, v210
	v_fma_f32 v96, v127, v199, -v96
	v_fmac_f32_e32 v144, v138, v209
	v_add_f32_e32 v95, v95, v96
	v_mul_f32_e32 v96, v130, v202
	v_add_f32_e32 v143, v143, v144
	s_waitcnt vmcnt(24) lgkmcnt(0)
	v_mul_f32_e32 v144, v139, v212
	v_fma_f32 v96, v129, v201, -v96
	v_fmac_f32_e32 v144, v140, v211
	v_add_f32_e32 v95, v95, v96
	v_mul_f32_e32 v96, v132, v204
	v_add_f32_e32 v147, v143, v144
	ds_read2_b64 v[143:146], v94 offset0:81 offset1:82
	v_fma_f32 v96, v131, v203, -v96
	v_add_f32_e32 v95, v95, v96
	v_mul_f32_e32 v96, v134, v206
	s_waitcnt vmcnt(22)
	v_mul_f32_e32 v148, v141, v214
	v_fma_f32 v96, v133, v205, -v96
	v_fmac_f32_e32 v148, v142, v213
	v_add_f32_e32 v95, v95, v96
	v_mul_f32_e32 v96, v136, v208
	v_add_f32_e32 v151, v147, v148
	ds_read2_b64 v[147:150], v94 offset0:83 offset1:84
	v_fma_f32 v96, v135, v207, -v96
	s_waitcnt vmcnt(20) lgkmcnt(1)
	v_mul_f32_e32 v152, v143, v216
	v_add_f32_e32 v95, v95, v96
	v_mul_f32_e32 v96, v138, v210
	v_fmac_f32_e32 v152, v144, v215
	v_fma_f32 v96, v137, v209, -v96
	v_add_f32_e32 v151, v151, v152
	s_waitcnt vmcnt(18)
	v_mul_f32_e32 v152, v145, v218
	v_add_f32_e32 v95, v95, v96
	v_mul_f32_e32 v96, v140, v212
	v_fmac_f32_e32 v152, v146, v217
	v_fma_f32 v96, v139, v211, -v96
	v_add_f32_e32 v151, v151, v152
	s_waitcnt vmcnt(16) lgkmcnt(0)
	v_mul_f32_e32 v152, v147, v220
	v_add_f32_e32 v95, v95, v96
	v_mul_f32_e32 v96, v142, v214
	v_fmac_f32_e32 v152, v148, v219
	v_fma_f32 v96, v141, v213, -v96
	v_add_f32_e32 v155, v151, v152
	ds_read2_b64 v[151:154], v94 offset0:85 offset1:86
	v_add_f32_e32 v95, v95, v96
	v_mul_f32_e32 v96, v144, v216
	v_fma_f32 v96, v143, v215, -v96
	s_waitcnt vmcnt(14)
	v_mul_f32_e32 v156, v149, v222
	v_add_f32_e32 v95, v95, v96
	v_mul_f32_e32 v96, v146, v218
	v_fmac_f32_e32 v156, v150, v221
	v_fma_f32 v96, v145, v217, -v96
	v_add_f32_e32 v159, v155, v156
	ds_read2_b64 v[155:158], v94 offset0:87 offset1:88
	v_add_f32_e32 v95, v95, v96
	v_mul_f32_e32 v96, v148, v220
	s_waitcnt vmcnt(12) lgkmcnt(1)
	v_mul_f32_e32 v160, v151, v224
	v_fma_f32 v96, v147, v219, -v96
	v_fmac_f32_e32 v160, v152, v223
	v_add_f32_e32 v95, v95, v96
	v_mul_f32_e32 v96, v150, v222
	v_add_f32_e32 v159, v159, v160
	s_waitcnt vmcnt(11)
	v_mul_f32_e32 v160, v153, v225
	v_fma_f32 v96, v149, v221, -v96
	s_waitcnt vmcnt(10)
	v_fmac_f32_e32 v160, v154, v226
	v_add_f32_e32 v95, v95, v96
	v_mul_f32_e32 v96, v152, v224
	v_add_f32_e32 v159, v159, v160
	s_waitcnt vmcnt(8) lgkmcnt(0)
	v_mul_f32_e32 v160, v155, v228
	v_fma_f32 v96, v151, v223, -v96
	v_fmac_f32_e32 v160, v156, v227
	v_add_f32_e32 v95, v95, v96
	v_mul_f32_e32 v96, v154, v225
	v_add_f32_e32 v163, v159, v160
	ds_read2_b64 v[159:162], v94 offset0:89 offset1:90
	v_fma_f32 v96, v153, v226, -v96
	v_add_f32_e32 v95, v95, v96
	v_mul_f32_e32 v96, v156, v228
	s_waitcnt vmcnt(6)
	v_mul_f32_e32 v164, v157, v230
	v_fma_f32 v96, v155, v227, -v96
	v_fmac_f32_e32 v164, v158, v229
	v_add_f32_e32 v95, v95, v96
	v_mul_f32_e32 v96, v158, v230
	v_add_f32_e32 v237, v163, v164
	ds_read_b64 v[163:164], v94 offset:728
	v_fma_f32 v96, v157, v229, -v96
	v_add_f32_e32 v95, v95, v96
	s_waitcnt vmcnt(4) lgkmcnt(1)
	v_mul_f32_e32 v96, v160, v232
	v_mul_f32_e32 v238, v159, v232
	v_fma_f32 v96, v159, v231, -v96
	v_fmac_f32_e32 v238, v160, v231
	v_add_f32_e32 v95, v95, v96
	s_waitcnt vmcnt(3)
	v_mul_f32_e32 v96, v162, v233
	v_add_f32_e32 v237, v237, v238
	v_mul_f32_e32 v238, v161, v233
	s_waitcnt vmcnt(2)
	v_fma_f32 v96, v161, v234, -v96
	v_fmac_f32_e32 v238, v162, v234
	v_add_f32_e32 v95, v95, v96
	s_waitcnt vmcnt(0) lgkmcnt(0)
	v_mul_f32_e32 v96, v164, v236
	v_add_f32_e32 v237, v237, v238
	v_mul_f32_e32 v238, v163, v236
	v_fma_f32 v96, v163, v235, -v96
	v_fmac_f32_e32 v238, v164, v235
	v_add_f32_e32 v95, v95, v96
	v_add_f32_e32 v237, v237, v238
	v_sub_f32_e32 v95, v186, v95
	v_sub_f32_e32 v96, v187, v237
	buffer_store_dword v95, off, s[0:3], 0 offset:80
	buffer_store_dword v96, off, s[0:3], 0 offset:84
	s_and_saveexec_b64 s[4:5], vcc
	s_cbranch_execz .LBB45_271
; %bb.270:
	buffer_load_dword v95, off, s[0:3], 0 offset:72
	buffer_load_dword v96, off, s[0:3], 0 offset:76
	s_waitcnt vmcnt(0)
	ds_write_b64 v93, v[95:96]
	buffer_store_dword v94, off, s[0:3], 0 offset:72
	buffer_store_dword v94, off, s[0:3], 0 offset:76
.LBB45_271:
	s_or_b64 exec, exec, s[4:5]
	s_waitcnt lgkmcnt(0)
	; wave barrier
	buffer_load_dword v167, off, s[0:3], 0 offset:84
	buffer_load_dword v168, off, s[0:3], 0 offset:92
	;; [unrolled: 1-line block ×26, first 2 shown]
	ds_read_b128 v[95:98], v94 offset:448
	ds_read_b128 v[99:102], v94 offset:464
	;; [unrolled: 1-line block ×6, first 2 shown]
	buffer_load_dword v193, off, s[0:3], 0 offset:176
	buffer_load_dword v194, off, s[0:3], 0 offset:180
	;; [unrolled: 1-line block ×42, first 2 shown]
	v_cmp_lt_u32_e32 vcc, 8, v0
	s_waitcnt vmcnt(62) lgkmcnt(5)
	v_mul_f32_e32 v119, v95, v167
	v_mul_f32_e32 v120, v97, v168
	s_waitcnt lgkmcnt(4)
	v_mul_f32_e32 v121, v99, v169
	v_mul_f32_e32 v122, v101, v170
	s_waitcnt lgkmcnt(3)
	v_mul_f32_e32 v123, v103, v171
	v_mul_f32_e32 v124, v105, v172
	s_waitcnt vmcnt(61) lgkmcnt(2)
	v_mul_f32_e32 v125, v107, v173
	s_waitcnt vmcnt(60)
	v_mul_f32_e32 v126, v109, v174
	s_waitcnt vmcnt(59) lgkmcnt(1)
	v_mul_f32_e32 v127, v111, v175
	s_waitcnt vmcnt(58)
	v_fmac_f32_e32 v119, v96, v176
	s_waitcnt vmcnt(57)
	v_fmac_f32_e32 v120, v98, v177
	v_add_f32_e32 v119, 0, v119
	s_waitcnt vmcnt(56)
	v_fmac_f32_e32 v121, v100, v178
	v_add_f32_e32 v119, v119, v120
	;; [unrolled: 3-line block ×8, first 2 shown]
	s_waitcnt vmcnt(49)
	v_mul_f32_e32 v120, v113, v185
	v_add_f32_e32 v119, v119, v127
	s_waitcnt vmcnt(48)
	v_fmac_f32_e32 v120, v114, v186
	v_add_f32_e32 v119, v119, v120
	s_waitcnt vmcnt(47) lgkmcnt(0)
	v_mul_f32_e32 v120, v115, v187
	s_waitcnt vmcnt(46)
	v_fmac_f32_e32 v120, v116, v188
	v_add_f32_e32 v119, v119, v120
	s_waitcnt vmcnt(42)
	v_mul_f32_e32 v120, v117, v192
	v_fmac_f32_e32 v120, v118, v191
	v_add_f32_e32 v127, v119, v120
	ds_read_b128 v[119:122], v94 offset:544
	buffer_load_dword v235, off, s[0:3], 0 offset:348
	buffer_load_dword v236, off, s[0:3], 0 offset:344
	;; [unrolled: 1-line block ×4, first 2 shown]
	ds_read_b128 v[123:126], v94 offset:560
	buffer_load_dword v239, off, s[0:3], 0 offset:360
	buffer_load_dword v240, off, s[0:3], 0 offset:364
	v_mul_f32_e32 v96, v96, v167
	v_fma_f32 v95, v95, v176, -v96
	v_mul_f32_e32 v96, v98, v168
	v_add_f32_e32 v95, 0, v95
	v_fma_f32 v96, v97, v177, -v96
	v_add_f32_e32 v95, v95, v96
	v_mul_f32_e32 v96, v100, v169
	v_fma_f32 v96, v99, v178, -v96
	v_add_f32_e32 v95, v95, v96
	v_mul_f32_e32 v96, v102, v170
	;; [unrolled: 3-line block ×3, first 2 shown]
	s_waitcnt vmcnt(46) lgkmcnt(1)
	v_mul_f32_e32 v128, v119, v194
	v_fma_f32 v96, v103, v180, -v96
	v_fmac_f32_e32 v128, v120, v193
	v_add_f32_e32 v95, v95, v96
	v_mul_f32_e32 v96, v106, v172
	v_add_f32_e32 v127, v127, v128
	s_waitcnt vmcnt(44)
	v_mul_f32_e32 v128, v121, v196
	v_fma_f32 v96, v105, v181, -v96
	v_fmac_f32_e32 v128, v122, v195
	v_add_f32_e32 v95, v95, v96
	v_mul_f32_e32 v96, v108, v173
	v_add_f32_e32 v127, v127, v128
	s_waitcnt vmcnt(42) lgkmcnt(0)
	v_mul_f32_e32 v128, v123, v198
	v_fma_f32 v96, v107, v182, -v96
	v_fmac_f32_e32 v128, v124, v197
	v_add_f32_e32 v95, v95, v96
	v_mul_f32_e32 v96, v110, v174
	v_add_f32_e32 v131, v127, v128
	ds_read_b128 v[127:130], v94 offset:576
	v_fma_f32 v96, v109, v183, -v96
	v_add_f32_e32 v95, v95, v96
	v_mul_f32_e32 v96, v112, v175
	s_waitcnt vmcnt(40)
	v_mul_f32_e32 v132, v125, v200
	v_fma_f32 v96, v111, v184, -v96
	v_fmac_f32_e32 v132, v126, v199
	v_add_f32_e32 v95, v95, v96
	v_mul_f32_e32 v96, v114, v185
	v_add_f32_e32 v135, v131, v132
	ds_read_b128 v[131:134], v94 offset:592
	v_fma_f32 v96, v113, v186, -v96
	s_waitcnt vmcnt(38) lgkmcnt(1)
	v_mul_f32_e32 v136, v127, v202
	v_add_f32_e32 v95, v95, v96
	v_mul_f32_e32 v96, v116, v187
	v_fmac_f32_e32 v136, v128, v201
	v_fma_f32 v96, v115, v188, -v96
	v_add_f32_e32 v135, v135, v136
	s_waitcnt vmcnt(36)
	v_mul_f32_e32 v136, v129, v204
	v_add_f32_e32 v95, v95, v96
	v_mul_f32_e32 v96, v118, v192
	v_fmac_f32_e32 v136, v130, v203
	v_fma_f32 v96, v117, v191, -v96
	v_add_f32_e32 v135, v135, v136
	s_waitcnt vmcnt(34) lgkmcnt(0)
	v_mul_f32_e32 v136, v131, v206
	v_add_f32_e32 v95, v95, v96
	v_mul_f32_e32 v96, v120, v194
	v_fmac_f32_e32 v136, v132, v205
	v_fma_f32 v96, v119, v193, -v96
	v_add_f32_e32 v139, v135, v136
	ds_read_b128 v[135:138], v94 offset:608
	v_add_f32_e32 v95, v95, v96
	v_mul_f32_e32 v96, v122, v196
	v_fma_f32 v96, v121, v195, -v96
	s_waitcnt vmcnt(32)
	v_mul_f32_e32 v140, v133, v208
	v_add_f32_e32 v95, v95, v96
	v_mul_f32_e32 v96, v124, v198
	v_fmac_f32_e32 v140, v134, v207
	v_fma_f32 v96, v123, v197, -v96
	v_add_f32_e32 v143, v139, v140
	ds_read_b128 v[139:142], v94 offset:624
	v_add_f32_e32 v95, v95, v96
	v_mul_f32_e32 v96, v126, v200
	s_waitcnt vmcnt(30) lgkmcnt(1)
	v_mul_f32_e32 v144, v135, v210
	v_fma_f32 v96, v125, v199, -v96
	v_fmac_f32_e32 v144, v136, v209
	v_add_f32_e32 v95, v95, v96
	v_mul_f32_e32 v96, v128, v202
	v_add_f32_e32 v143, v143, v144
	s_waitcnt vmcnt(28)
	v_mul_f32_e32 v144, v137, v212
	v_fma_f32 v96, v127, v201, -v96
	v_fmac_f32_e32 v144, v138, v211
	v_add_f32_e32 v95, v95, v96
	v_mul_f32_e32 v96, v130, v204
	v_add_f32_e32 v143, v143, v144
	s_waitcnt vmcnt(26) lgkmcnt(0)
	v_mul_f32_e32 v144, v139, v214
	v_fma_f32 v96, v129, v203, -v96
	v_fmac_f32_e32 v144, v140, v213
	v_add_f32_e32 v95, v95, v96
	v_mul_f32_e32 v96, v132, v206
	v_add_f32_e32 v147, v143, v144
	ds_read_b128 v[143:146], v94 offset:640
	v_fma_f32 v96, v131, v205, -v96
	v_add_f32_e32 v95, v95, v96
	v_mul_f32_e32 v96, v134, v208
	s_waitcnt vmcnt(24)
	v_mul_f32_e32 v148, v141, v216
	v_fma_f32 v96, v133, v207, -v96
	v_fmac_f32_e32 v148, v142, v215
	v_add_f32_e32 v95, v95, v96
	v_mul_f32_e32 v96, v136, v210
	v_add_f32_e32 v151, v147, v148
	ds_read_b128 v[147:150], v94 offset:656
	v_fma_f32 v96, v135, v209, -v96
	s_waitcnt vmcnt(22) lgkmcnt(1)
	v_mul_f32_e32 v152, v143, v218
	v_add_f32_e32 v95, v95, v96
	v_mul_f32_e32 v96, v138, v212
	v_fmac_f32_e32 v152, v144, v217
	v_fma_f32 v96, v137, v211, -v96
	v_add_f32_e32 v151, v151, v152
	s_waitcnt vmcnt(20)
	v_mul_f32_e32 v152, v145, v220
	v_add_f32_e32 v95, v95, v96
	v_mul_f32_e32 v96, v140, v214
	v_fmac_f32_e32 v152, v146, v219
	v_fma_f32 v96, v139, v213, -v96
	v_add_f32_e32 v151, v151, v152
	s_waitcnt vmcnt(18) lgkmcnt(0)
	v_mul_f32_e32 v152, v147, v222
	v_add_f32_e32 v95, v95, v96
	v_mul_f32_e32 v96, v142, v216
	v_fmac_f32_e32 v152, v148, v221
	v_fma_f32 v96, v141, v215, -v96
	v_add_f32_e32 v155, v151, v152
	ds_read_b128 v[151:154], v94 offset:672
	v_add_f32_e32 v95, v95, v96
	v_mul_f32_e32 v96, v144, v218
	v_fma_f32 v96, v143, v217, -v96
	s_waitcnt vmcnt(16)
	v_mul_f32_e32 v156, v149, v224
	v_add_f32_e32 v95, v95, v96
	v_mul_f32_e32 v96, v146, v220
	v_fmac_f32_e32 v156, v150, v223
	v_fma_f32 v96, v145, v219, -v96
	v_add_f32_e32 v159, v155, v156
	ds_read_b128 v[155:158], v94 offset:688
	v_add_f32_e32 v95, v95, v96
	v_mul_f32_e32 v96, v148, v222
	s_waitcnt vmcnt(14) lgkmcnt(1)
	v_mul_f32_e32 v160, v151, v226
	v_fma_f32 v96, v147, v221, -v96
	v_fmac_f32_e32 v160, v152, v225
	v_add_f32_e32 v95, v95, v96
	v_mul_f32_e32 v96, v150, v224
	v_add_f32_e32 v159, v159, v160
	s_waitcnt vmcnt(13)
	v_mul_f32_e32 v160, v153, v227
	v_fma_f32 v96, v149, v223, -v96
	s_waitcnt vmcnt(12)
	v_fmac_f32_e32 v160, v154, v228
	v_add_f32_e32 v95, v95, v96
	v_mul_f32_e32 v96, v152, v226
	v_add_f32_e32 v159, v159, v160
	s_waitcnt vmcnt(10) lgkmcnt(0)
	v_mul_f32_e32 v160, v155, v230
	v_fma_f32 v96, v151, v225, -v96
	v_fmac_f32_e32 v160, v156, v229
	v_add_f32_e32 v95, v95, v96
	v_mul_f32_e32 v96, v154, v227
	v_add_f32_e32 v163, v159, v160
	ds_read_b128 v[159:162], v94 offset:704
	v_fma_f32 v96, v153, v228, -v96
	v_add_f32_e32 v95, v95, v96
	v_mul_f32_e32 v96, v156, v230
	s_waitcnt vmcnt(8)
	v_mul_f32_e32 v164, v157, v232
	v_fma_f32 v96, v155, v229, -v96
	v_fmac_f32_e32 v164, v158, v231
	v_add_f32_e32 v95, v95, v96
	v_mul_f32_e32 v96, v158, v232
	v_add_f32_e32 v241, v163, v164
	ds_read_b128 v[163:166], v94 offset:720
	v_fma_f32 v96, v157, v231, -v96
	v_add_f32_e32 v95, v95, v96
	s_waitcnt vmcnt(6) lgkmcnt(1)
	v_mul_f32_e32 v96, v160, v234
	v_mul_f32_e32 v94, v159, v234
	v_fma_f32 v96, v159, v233, -v96
	v_fmac_f32_e32 v94, v160, v233
	v_add_f32_e32 v95, v95, v96
	s_waitcnt vmcnt(5)
	v_mul_f32_e32 v96, v162, v235
	v_add_f32_e32 v94, v241, v94
	v_mul_f32_e32 v241, v161, v235
	s_waitcnt vmcnt(4)
	v_fma_f32 v96, v161, v236, -v96
	v_fmac_f32_e32 v241, v162, v236
	v_add_f32_e32 v95, v95, v96
	s_waitcnt vmcnt(2) lgkmcnt(0)
	v_mul_f32_e32 v96, v164, v238
	v_add_f32_e32 v94, v94, v241
	v_mul_f32_e32 v241, v163, v238
	v_fma_f32 v96, v163, v237, -v96
	v_fmac_f32_e32 v241, v164, v237
	v_add_f32_e32 v95, v95, v96
	s_waitcnt vmcnt(0)
	v_mul_f32_e32 v96, v166, v240
	v_add_f32_e32 v94, v94, v241
	v_mul_f32_e32 v241, v165, v240
	v_fma_f32 v96, v165, v239, -v96
	v_fmac_f32_e32 v241, v166, v239
	v_add_f32_e32 v95, v95, v96
	v_add_f32_e32 v94, v94, v241
	v_sub_f32_e32 v95, v189, v95
	v_sub_f32_e32 v94, v190, v94
	buffer_store_dword v95, off, s[0:3], 0 offset:72
	buffer_store_dword v94, off, s[0:3], 0 offset:76
	s_and_saveexec_b64 s[4:5], vcc
	s_cbranch_execz .LBB45_273
; %bb.272:
	buffer_load_dword v94, off, s[0:3], 0 offset:64
	buffer_load_dword v95, off, s[0:3], 0 offset:68
	v_mov_b32_e32 v96, 0
	buffer_store_dword v96, off, s[0:3], 0 offset:64
	buffer_store_dword v96, off, s[0:3], 0 offset:68
	s_waitcnt vmcnt(2)
	ds_write_b64 v93, v[94:95]
.LBB45_273:
	s_or_b64 exec, exec, s[4:5]
	s_waitcnt lgkmcnt(0)
	; wave barrier
	buffer_load_dword v169, off, s[0:3], 0 offset:76
	buffer_load_dword v170, off, s[0:3], 0 offset:84
	;; [unrolled: 1-line block ×52, first 2 shown]
	v_mov_b32_e32 v94, 0
	ds_read2_b64 v[95:98], v94 offset0:55 offset1:56
	ds_read2_b64 v[99:102], v94 offset0:57 offset1:58
	;; [unrolled: 1-line block ×6, first 2 shown]
	buffer_load_dword v221, off, s[0:3], 0 offset:276
	buffer_load_dword v222, off, s[0:3], 0 offset:272
	;; [unrolled: 1-line block ×14, first 2 shown]
	v_cmp_lt_u32_e32 vcc, 7, v0
	s_waitcnt vmcnt(62) lgkmcnt(5)
	v_mul_f32_e32 v119, v95, v169
	v_mul_f32_e32 v120, v97, v170
	s_waitcnt lgkmcnt(4)
	v_mul_f32_e32 v121, v99, v171
	v_mul_f32_e32 v122, v101, v172
	s_waitcnt vmcnt(61) lgkmcnt(3)
	v_mul_f32_e32 v123, v103, v173
	s_waitcnt vmcnt(60)
	v_mul_f32_e32 v124, v105, v174
	s_waitcnt vmcnt(59) lgkmcnt(2)
	v_mul_f32_e32 v125, v107, v175
	s_waitcnt vmcnt(58)
	;; [unrolled: 4-line block ×3, first 2 shown]
	v_fmac_f32_e32 v119, v96, v178
	s_waitcnt vmcnt(55)
	v_fmac_f32_e32 v120, v98, v179
	v_add_f32_e32 v119, 0, v119
	s_waitcnt vmcnt(54)
	v_fmac_f32_e32 v121, v100, v180
	v_add_f32_e32 v119, v119, v120
	;; [unrolled: 3-line block ×8, first 2 shown]
	s_waitcnt vmcnt(47)
	v_mul_f32_e32 v120, v113, v187
	v_add_f32_e32 v119, v119, v127
	s_waitcnt vmcnt(46)
	v_fmac_f32_e32 v120, v114, v188
	v_add_f32_e32 v119, v119, v120
	s_waitcnt vmcnt(45) lgkmcnt(0)
	v_mul_f32_e32 v120, v115, v189
	s_waitcnt vmcnt(44)
	v_fmac_f32_e32 v120, v116, v190
	v_add_f32_e32 v123, v119, v120
	ds_read2_b64 v[119:122], v94 offset0:67 offset1:68
	buffer_load_dword v235, off, s[0:3], 0 offset:328
	buffer_load_dword v236, off, s[0:3], 0 offset:332
	s_waitcnt vmcnt(43)
	v_mul_f32_e32 v124, v117, v193
	s_waitcnt vmcnt(42)
	v_fmac_f32_e32 v124, v118, v194
	v_add_f32_e32 v127, v123, v124
	ds_read2_b64 v[123:126], v94 offset0:69 offset1:70
	buffer_load_dword v237, off, s[0:3], 0 offset:340
	buffer_load_dword v238, off, s[0:3], 0 offset:336
	;; [unrolled: 1-line block ×8, first 2 shown]
	v_mul_f32_e32 v96, v96, v169
	v_fma_f32 v95, v95, v178, -v96
	v_mul_f32_e32 v96, v98, v170
	v_add_f32_e32 v95, 0, v95
	v_fma_f32 v96, v97, v179, -v96
	v_add_f32_e32 v95, v95, v96
	v_mul_f32_e32 v96, v100, v171
	v_fma_f32 v96, v99, v180, -v96
	v_add_f32_e32 v95, v95, v96
	v_mul_f32_e32 v96, v102, v172
	v_fma_f32 v96, v101, v181, -v96
	s_waitcnt vmcnt(48) lgkmcnt(1)
	v_mul_f32_e32 v128, v119, v196
	v_add_f32_e32 v95, v95, v96
	v_mul_f32_e32 v96, v104, v173
	v_fmac_f32_e32 v128, v120, v195
	v_fma_f32 v96, v103, v182, -v96
	v_add_f32_e32 v127, v127, v128
	s_waitcnt vmcnt(46)
	v_mul_f32_e32 v128, v121, v198
	v_add_f32_e32 v95, v95, v96
	v_mul_f32_e32 v96, v106, v174
	v_fmac_f32_e32 v128, v122, v197
	v_fma_f32 v96, v105, v183, -v96
	v_add_f32_e32 v127, v127, v128
	s_waitcnt vmcnt(44) lgkmcnt(0)
	v_mul_f32_e32 v128, v123, v200
	v_add_f32_e32 v95, v95, v96
	v_mul_f32_e32 v96, v108, v175
	v_fmac_f32_e32 v128, v124, v199
	v_fma_f32 v96, v107, v184, -v96
	v_add_f32_e32 v131, v127, v128
	ds_read2_b64 v[127:130], v94 offset0:71 offset1:72
	v_add_f32_e32 v95, v95, v96
	v_mul_f32_e32 v96, v110, v176
	v_fma_f32 v96, v109, v185, -v96
	s_waitcnt vmcnt(42)
	v_mul_f32_e32 v132, v125, v202
	v_add_f32_e32 v95, v95, v96
	v_mul_f32_e32 v96, v112, v177
	v_fmac_f32_e32 v132, v126, v201
	v_fma_f32 v96, v111, v186, -v96
	v_add_f32_e32 v135, v131, v132
	ds_read2_b64 v[131:134], v94 offset0:73 offset1:74
	v_add_f32_e32 v95, v95, v96
	v_mul_f32_e32 v96, v114, v187
	s_waitcnt vmcnt(40) lgkmcnt(1)
	v_mul_f32_e32 v136, v127, v204
	v_fma_f32 v96, v113, v188, -v96
	v_fmac_f32_e32 v136, v128, v203
	v_add_f32_e32 v95, v95, v96
	v_mul_f32_e32 v96, v116, v189
	v_add_f32_e32 v135, v135, v136
	s_waitcnt vmcnt(38)
	v_mul_f32_e32 v136, v129, v206
	v_fma_f32 v96, v115, v190, -v96
	v_fmac_f32_e32 v136, v130, v205
	v_add_f32_e32 v95, v95, v96
	v_mul_f32_e32 v96, v118, v193
	v_add_f32_e32 v135, v135, v136
	s_waitcnt vmcnt(36) lgkmcnt(0)
	v_mul_f32_e32 v136, v131, v208
	v_fma_f32 v96, v117, v194, -v96
	v_fmac_f32_e32 v136, v132, v207
	v_add_f32_e32 v95, v95, v96
	v_mul_f32_e32 v96, v120, v196
	v_add_f32_e32 v139, v135, v136
	ds_read2_b64 v[135:138], v94 offset0:75 offset1:76
	v_fma_f32 v96, v119, v195, -v96
	v_add_f32_e32 v95, v95, v96
	v_mul_f32_e32 v96, v122, v198
	s_waitcnt vmcnt(34)
	v_mul_f32_e32 v140, v133, v210
	v_fma_f32 v96, v121, v197, -v96
	v_fmac_f32_e32 v140, v134, v209
	v_add_f32_e32 v95, v95, v96
	v_mul_f32_e32 v96, v124, v200
	v_add_f32_e32 v143, v139, v140
	ds_read2_b64 v[139:142], v94 offset0:77 offset1:78
	v_fma_f32 v96, v123, v199, -v96
	s_waitcnt vmcnt(32) lgkmcnt(1)
	v_mul_f32_e32 v144, v135, v212
	v_add_f32_e32 v95, v95, v96
	v_mul_f32_e32 v96, v126, v202
	v_fmac_f32_e32 v144, v136, v211
	v_fma_f32 v96, v125, v201, -v96
	v_add_f32_e32 v143, v143, v144
	s_waitcnt vmcnt(30)
	v_mul_f32_e32 v144, v137, v214
	v_add_f32_e32 v95, v95, v96
	v_mul_f32_e32 v96, v128, v204
	v_fmac_f32_e32 v144, v138, v213
	v_fma_f32 v96, v127, v203, -v96
	v_add_f32_e32 v143, v143, v144
	s_waitcnt vmcnt(28) lgkmcnt(0)
	v_mul_f32_e32 v144, v139, v216
	v_add_f32_e32 v95, v95, v96
	v_mul_f32_e32 v96, v130, v206
	v_fmac_f32_e32 v144, v140, v215
	v_fma_f32 v96, v129, v205, -v96
	v_add_f32_e32 v147, v143, v144
	ds_read2_b64 v[143:146], v94 offset0:79 offset1:80
	v_add_f32_e32 v95, v95, v96
	v_mul_f32_e32 v96, v132, v208
	v_fma_f32 v96, v131, v207, -v96
	s_waitcnt vmcnt(26)
	v_mul_f32_e32 v148, v141, v218
	v_add_f32_e32 v95, v95, v96
	v_mul_f32_e32 v96, v134, v210
	v_fmac_f32_e32 v148, v142, v217
	v_fma_f32 v96, v133, v209, -v96
	v_add_f32_e32 v151, v147, v148
	ds_read2_b64 v[147:150], v94 offset0:81 offset1:82
	v_add_f32_e32 v95, v95, v96
	v_mul_f32_e32 v96, v136, v212
	s_waitcnt vmcnt(24) lgkmcnt(1)
	v_mul_f32_e32 v152, v143, v220
	v_fma_f32 v96, v135, v211, -v96
	v_fmac_f32_e32 v152, v144, v219
	v_add_f32_e32 v95, v95, v96
	v_mul_f32_e32 v96, v138, v214
	v_add_f32_e32 v151, v151, v152
	s_waitcnt vmcnt(23)
	v_mul_f32_e32 v152, v145, v221
	v_fma_f32 v96, v137, v213, -v96
	s_waitcnt vmcnt(22)
	v_fmac_f32_e32 v152, v146, v222
	v_add_f32_e32 v95, v95, v96
	v_mul_f32_e32 v96, v140, v216
	v_add_f32_e32 v151, v151, v152
	s_waitcnt vmcnt(20) lgkmcnt(0)
	v_mul_f32_e32 v152, v147, v224
	v_fma_f32 v96, v139, v215, -v96
	v_fmac_f32_e32 v152, v148, v223
	v_add_f32_e32 v95, v95, v96
	v_mul_f32_e32 v96, v142, v218
	v_add_f32_e32 v155, v151, v152
	ds_read2_b64 v[151:154], v94 offset0:83 offset1:84
	v_fma_f32 v96, v141, v217, -v96
	v_add_f32_e32 v95, v95, v96
	v_mul_f32_e32 v96, v144, v220
	s_waitcnt vmcnt(18)
	v_mul_f32_e32 v156, v149, v226
	v_fma_f32 v96, v143, v219, -v96
	v_fmac_f32_e32 v156, v150, v225
	v_add_f32_e32 v95, v95, v96
	v_mul_f32_e32 v96, v146, v221
	v_add_f32_e32 v159, v155, v156
	ds_read2_b64 v[155:158], v94 offset0:85 offset1:86
	v_fma_f32 v96, v145, v222, -v96
	s_waitcnt vmcnt(16) lgkmcnt(1)
	v_mul_f32_e32 v160, v151, v228
	v_add_f32_e32 v95, v95, v96
	v_mul_f32_e32 v96, v148, v224
	v_fmac_f32_e32 v160, v152, v227
	v_fma_f32 v96, v147, v223, -v96
	v_add_f32_e32 v159, v159, v160
	s_waitcnt vmcnt(15)
	v_mul_f32_e32 v160, v153, v229
	v_add_f32_e32 v95, v95, v96
	v_mul_f32_e32 v96, v150, v226
	s_waitcnt vmcnt(14)
	v_fmac_f32_e32 v160, v154, v230
	v_fma_f32 v96, v149, v225, -v96
	v_add_f32_e32 v159, v159, v160
	s_waitcnt vmcnt(12) lgkmcnt(0)
	v_mul_f32_e32 v160, v155, v232
	v_add_f32_e32 v95, v95, v96
	v_mul_f32_e32 v96, v152, v228
	v_fmac_f32_e32 v160, v156, v231
	v_fma_f32 v96, v151, v227, -v96
	v_add_f32_e32 v163, v159, v160
	ds_read2_b64 v[159:162], v94 offset0:87 offset1:88
	v_add_f32_e32 v95, v95, v96
	v_mul_f32_e32 v96, v154, v229
	v_fma_f32 v96, v153, v230, -v96
	v_add_f32_e32 v95, v95, v96
	v_mul_f32_e32 v96, v156, v232
	s_waitcnt vmcnt(10)
	v_mul_f32_e32 v164, v157, v234
	v_fma_f32 v96, v155, v231, -v96
	v_fmac_f32_e32 v164, v158, v233
	v_add_f32_e32 v95, v95, v96
	v_mul_f32_e32 v96, v158, v234
	v_add_f32_e32 v167, v163, v164
	ds_read2_b64 v[163:166], v94 offset0:89 offset1:90
	s_waitcnt vmcnt(8) lgkmcnt(1)
	v_mul_f32_e32 v168, v159, v236
	v_fma_f32 v96, v157, v233, -v96
	v_fmac_f32_e32 v168, v160, v235
	v_add_f32_e32 v95, v95, v96
	v_mul_f32_e32 v96, v160, v236
	v_add_f32_e32 v167, v167, v168
	s_waitcnt vmcnt(7)
	v_mul_f32_e32 v168, v161, v237
	v_fma_f32 v96, v159, v235, -v96
	s_waitcnt vmcnt(6)
	v_fmac_f32_e32 v168, v162, v238
	v_add_f32_e32 v95, v95, v96
	v_mul_f32_e32 v96, v162, v237
	v_add_f32_e32 v245, v167, v168
	ds_read_b64 v[167:168], v94 offset:728
	v_fma_f32 v96, v161, v238, -v96
	v_add_f32_e32 v95, v95, v96
	s_waitcnt vmcnt(4) lgkmcnt(1)
	v_mul_f32_e32 v96, v164, v240
	v_mul_f32_e32 v246, v163, v240
	v_fma_f32 v96, v163, v239, -v96
	v_fmac_f32_e32 v246, v164, v239
	v_add_f32_e32 v95, v95, v96
	s_waitcnt vmcnt(3)
	v_mul_f32_e32 v96, v166, v241
	v_add_f32_e32 v245, v245, v246
	v_mul_f32_e32 v246, v165, v241
	s_waitcnt vmcnt(2)
	v_fma_f32 v96, v165, v242, -v96
	v_fmac_f32_e32 v246, v166, v242
	v_add_f32_e32 v95, v95, v96
	s_waitcnt vmcnt(0) lgkmcnt(0)
	v_mul_f32_e32 v96, v168, v244
	v_add_f32_e32 v245, v245, v246
	v_mul_f32_e32 v246, v167, v244
	v_fma_f32 v96, v167, v243, -v96
	v_fmac_f32_e32 v246, v168, v243
	v_add_f32_e32 v95, v95, v96
	v_add_f32_e32 v245, v245, v246
	v_sub_f32_e32 v95, v191, v95
	v_sub_f32_e32 v96, v192, v245
	buffer_store_dword v95, off, s[0:3], 0 offset:64
	buffer_store_dword v96, off, s[0:3], 0 offset:68
	s_and_saveexec_b64 s[4:5], vcc
	s_cbranch_execz .LBB45_275
; %bb.274:
	buffer_load_dword v95, off, s[0:3], 0 offset:56
	buffer_load_dword v96, off, s[0:3], 0 offset:60
	s_waitcnt vmcnt(0)
	ds_write_b64 v93, v[95:96]
	buffer_store_dword v94, off, s[0:3], 0 offset:56
	buffer_store_dword v94, off, s[0:3], 0 offset:60
.LBB45_275:
	s_or_b64 exec, exec, s[4:5]
	s_waitcnt lgkmcnt(0)
	; wave barrier
	buffer_load_dword v171, off, s[0:3], 0 offset:68
	buffer_load_dword v172, off, s[0:3], 0 offset:76
	;; [unrolled: 1-line block ×26, first 2 shown]
	ds_read_b128 v[95:98], v94 offset:432
	ds_read_b128 v[99:102], v94 offset:448
	;; [unrolled: 1-line block ×4, first 2 shown]
	buffer_load_dword v197, off, s[0:3], 0 offset:164
	ds_read_b128 v[111:114], v94 offset:496
	ds_read_b128 v[115:118], v94 offset:512
	buffer_load_dword v198, off, s[0:3], 0 offset:160
	buffer_load_dword v199, off, s[0:3], 0 offset:168
	;; [unrolled: 1-line block ×37, first 2 shown]
	v_cmp_lt_u32_e32 vcc, 6, v0
	s_waitcnt vmcnt(62) lgkmcnt(5)
	v_mul_f32_e32 v119, v95, v171
	v_mul_f32_e32 v120, v97, v172
	s_waitcnt vmcnt(61) lgkmcnt(4)
	v_mul_f32_e32 v121, v99, v173
	s_waitcnt vmcnt(60)
	v_mul_f32_e32 v122, v101, v174
	s_waitcnt vmcnt(59) lgkmcnt(3)
	v_mul_f32_e32 v123, v103, v175
	s_waitcnt vmcnt(58)
	v_mul_f32_e32 v124, v105, v176
	s_waitcnt vmcnt(57) lgkmcnt(2)
	v_mul_f32_e32 v125, v107, v177
	s_waitcnt vmcnt(56)
	v_mul_f32_e32 v126, v109, v178
	s_waitcnt vmcnt(55) lgkmcnt(1)
	v_mul_f32_e32 v127, v111, v179
	s_waitcnt vmcnt(54)
	v_mul_f32_e32 v128, v113, v180
	s_waitcnt vmcnt(53)
	v_fmac_f32_e32 v119, v96, v181
	s_waitcnt vmcnt(52)
	v_fmac_f32_e32 v120, v98, v182
	v_add_f32_e32 v119, 0, v119
	s_waitcnt vmcnt(51)
	v_fmac_f32_e32 v121, v100, v183
	v_add_f32_e32 v119, v119, v120
	;; [unrolled: 3-line block ×9, first 2 shown]
	s_waitcnt vmcnt(43) lgkmcnt(0)
	v_mul_f32_e32 v120, v115, v191
	v_add_f32_e32 v119, v119, v128
	s_waitcnt vmcnt(42)
	v_fmac_f32_e32 v120, v116, v192
	v_add_f32_e32 v123, v119, v120
	s_waitcnt vmcnt(41)
	v_mul_f32_e32 v124, v117, v193
	ds_read_b128 v[119:122], v94 offset:528
	buffer_load_dword v235, off, s[0:3], 0 offset:312
	buffer_load_dword v236, off, s[0:3], 0 offset:316
	s_waitcnt vmcnt(42)
	v_fmac_f32_e32 v124, v118, v194
	v_add_f32_e32 v127, v123, v124
	ds_read_b128 v[123:126], v94 offset:544
	buffer_load_dword v237, off, s[0:3], 0 offset:320
	buffer_load_dword v238, off, s[0:3], 0 offset:324
	;; [unrolled: 1-line block ×12, first 2 shown]
	v_mul_f32_e32 v96, v96, v171
	v_fma_f32 v95, v95, v181, -v96
	v_mul_f32_e32 v96, v98, v172
	v_add_f32_e32 v95, 0, v95
	v_fma_f32 v96, v97, v182, -v96
	v_add_f32_e32 v95, v95, v96
	v_mul_f32_e32 v96, v100, v173
	v_fma_f32 v96, v99, v183, -v96
	v_add_f32_e32 v95, v95, v96
	v_mul_f32_e32 v96, v102, v174
	v_fma_f32 v96, v101, v184, -v96
	s_waitcnt vmcnt(51) lgkmcnt(1)
	v_mul_f32_e32 v128, v119, v197
	v_add_f32_e32 v95, v95, v96
	v_mul_f32_e32 v96, v104, v175
	s_waitcnt vmcnt(50)
	v_fmac_f32_e32 v128, v120, v198
	v_fma_f32 v96, v103, v185, -v96
	v_add_f32_e32 v127, v127, v128
	s_waitcnt vmcnt(48)
	v_mul_f32_e32 v128, v121, v200
	v_add_f32_e32 v95, v95, v96
	v_mul_f32_e32 v96, v106, v176
	v_fmac_f32_e32 v128, v122, v199
	v_fma_f32 v96, v105, v186, -v96
	v_add_f32_e32 v127, v127, v128
	s_waitcnt vmcnt(46) lgkmcnt(0)
	v_mul_f32_e32 v128, v123, v202
	v_add_f32_e32 v95, v95, v96
	v_mul_f32_e32 v96, v108, v177
	v_fmac_f32_e32 v128, v124, v201
	v_fma_f32 v96, v107, v187, -v96
	v_add_f32_e32 v131, v127, v128
	ds_read_b128 v[127:130], v94 offset:560
	v_add_f32_e32 v95, v95, v96
	v_mul_f32_e32 v96, v110, v178
	v_fma_f32 v96, v109, v188, -v96
	s_waitcnt vmcnt(44)
	v_mul_f32_e32 v132, v125, v204
	v_add_f32_e32 v95, v95, v96
	v_mul_f32_e32 v96, v112, v179
	v_fmac_f32_e32 v132, v126, v203
	v_fma_f32 v96, v111, v189, -v96
	v_add_f32_e32 v135, v131, v132
	ds_read_b128 v[131:134], v94 offset:576
	v_add_f32_e32 v95, v95, v96
	v_mul_f32_e32 v96, v114, v180
	s_waitcnt vmcnt(42) lgkmcnt(1)
	v_mul_f32_e32 v136, v127, v206
	v_fma_f32 v96, v113, v190, -v96
	v_fmac_f32_e32 v136, v128, v205
	v_add_f32_e32 v95, v95, v96
	v_mul_f32_e32 v96, v116, v191
	v_add_f32_e32 v135, v135, v136
	s_waitcnt vmcnt(40)
	v_mul_f32_e32 v136, v129, v208
	v_fma_f32 v96, v115, v192, -v96
	v_fmac_f32_e32 v136, v130, v207
	v_add_f32_e32 v95, v95, v96
	v_mul_f32_e32 v96, v118, v193
	v_add_f32_e32 v135, v135, v136
	s_waitcnt vmcnt(38) lgkmcnt(0)
	v_mul_f32_e32 v136, v131, v210
	v_fma_f32 v96, v117, v194, -v96
	v_fmac_f32_e32 v136, v132, v209
	v_add_f32_e32 v95, v95, v96
	v_mul_f32_e32 v96, v120, v197
	v_add_f32_e32 v139, v135, v136
	ds_read_b128 v[135:138], v94 offset:592
	v_fma_f32 v96, v119, v198, -v96
	v_add_f32_e32 v95, v95, v96
	v_mul_f32_e32 v96, v122, v200
	s_waitcnt vmcnt(36)
	v_mul_f32_e32 v140, v133, v212
	v_fma_f32 v96, v121, v199, -v96
	v_fmac_f32_e32 v140, v134, v211
	v_add_f32_e32 v95, v95, v96
	v_mul_f32_e32 v96, v124, v202
	v_add_f32_e32 v143, v139, v140
	ds_read_b128 v[139:142], v94 offset:608
	v_fma_f32 v96, v123, v201, -v96
	s_waitcnt vmcnt(34) lgkmcnt(1)
	v_mul_f32_e32 v144, v135, v214
	v_add_f32_e32 v95, v95, v96
	v_mul_f32_e32 v96, v126, v204
	v_fmac_f32_e32 v144, v136, v213
	v_fma_f32 v96, v125, v203, -v96
	v_add_f32_e32 v143, v143, v144
	s_waitcnt vmcnt(32)
	v_mul_f32_e32 v144, v137, v216
	v_add_f32_e32 v95, v95, v96
	v_mul_f32_e32 v96, v128, v206
	v_fmac_f32_e32 v144, v138, v215
	v_fma_f32 v96, v127, v205, -v96
	v_add_f32_e32 v143, v143, v144
	s_waitcnt vmcnt(30) lgkmcnt(0)
	v_mul_f32_e32 v144, v139, v218
	v_add_f32_e32 v95, v95, v96
	v_mul_f32_e32 v96, v130, v208
	v_fmac_f32_e32 v144, v140, v217
	v_fma_f32 v96, v129, v207, -v96
	v_add_f32_e32 v147, v143, v144
	ds_read_b128 v[143:146], v94 offset:624
	v_add_f32_e32 v95, v95, v96
	v_mul_f32_e32 v96, v132, v210
	v_fma_f32 v96, v131, v209, -v96
	s_waitcnt vmcnt(28)
	v_mul_f32_e32 v148, v141, v220
	v_add_f32_e32 v95, v95, v96
	v_mul_f32_e32 v96, v134, v212
	v_fmac_f32_e32 v148, v142, v219
	v_fma_f32 v96, v133, v211, -v96
	v_add_f32_e32 v151, v147, v148
	ds_read_b128 v[147:150], v94 offset:640
	v_add_f32_e32 v95, v95, v96
	v_mul_f32_e32 v96, v136, v214
	s_waitcnt vmcnt(26) lgkmcnt(1)
	v_mul_f32_e32 v152, v143, v222
	v_fma_f32 v96, v135, v213, -v96
	v_fmac_f32_e32 v152, v144, v221
	v_add_f32_e32 v95, v95, v96
	v_mul_f32_e32 v96, v138, v216
	v_add_f32_e32 v151, v151, v152
	s_waitcnt vmcnt(25)
	v_mul_f32_e32 v152, v145, v223
	v_fma_f32 v96, v137, v215, -v96
	s_waitcnt vmcnt(24)
	v_fmac_f32_e32 v152, v146, v224
	v_add_f32_e32 v95, v95, v96
	v_mul_f32_e32 v96, v140, v218
	v_add_f32_e32 v151, v151, v152
	s_waitcnt vmcnt(22) lgkmcnt(0)
	v_mul_f32_e32 v152, v147, v226
	v_fma_f32 v96, v139, v217, -v96
	v_fmac_f32_e32 v152, v148, v225
	v_add_f32_e32 v95, v95, v96
	v_mul_f32_e32 v96, v142, v220
	v_add_f32_e32 v155, v151, v152
	ds_read_b128 v[151:154], v94 offset:656
	v_fma_f32 v96, v141, v219, -v96
	v_add_f32_e32 v95, v95, v96
	v_mul_f32_e32 v96, v144, v222
	s_waitcnt vmcnt(20)
	v_mul_f32_e32 v156, v149, v228
	v_fma_f32 v96, v143, v221, -v96
	v_fmac_f32_e32 v156, v150, v227
	v_add_f32_e32 v95, v95, v96
	v_mul_f32_e32 v96, v146, v223
	v_add_f32_e32 v159, v155, v156
	ds_read_b128 v[155:158], v94 offset:672
	v_fma_f32 v96, v145, v224, -v96
	s_waitcnt vmcnt(18) lgkmcnt(1)
	v_mul_f32_e32 v160, v151, v230
	v_add_f32_e32 v95, v95, v96
	v_mul_f32_e32 v96, v148, v226
	v_fmac_f32_e32 v160, v152, v229
	v_fma_f32 v96, v147, v225, -v96
	v_add_f32_e32 v159, v159, v160
	s_waitcnt vmcnt(17)
	v_mul_f32_e32 v160, v153, v231
	v_add_f32_e32 v95, v95, v96
	v_mul_f32_e32 v96, v150, v228
	s_waitcnt vmcnt(16)
	v_fmac_f32_e32 v160, v154, v232
	v_fma_f32 v96, v149, v227, -v96
	v_add_f32_e32 v159, v159, v160
	s_waitcnt vmcnt(14) lgkmcnt(0)
	v_mul_f32_e32 v160, v155, v234
	v_add_f32_e32 v95, v95, v96
	v_mul_f32_e32 v96, v152, v230
	v_fmac_f32_e32 v160, v156, v233
	v_fma_f32 v96, v151, v229, -v96
	v_add_f32_e32 v163, v159, v160
	ds_read_b128 v[159:162], v94 offset:688
	v_add_f32_e32 v95, v95, v96
	v_mul_f32_e32 v96, v154, v231
	v_fma_f32 v96, v153, v232, -v96
	v_add_f32_e32 v95, v95, v96
	v_mul_f32_e32 v96, v156, v234
	s_waitcnt vmcnt(12)
	v_mul_f32_e32 v164, v157, v236
	v_fma_f32 v96, v155, v233, -v96
	v_fmac_f32_e32 v164, v158, v235
	v_add_f32_e32 v95, v95, v96
	v_mul_f32_e32 v96, v158, v236
	v_add_f32_e32 v167, v163, v164
	ds_read_b128 v[163:166], v94 offset:704
	s_waitcnt vmcnt(10) lgkmcnt(1)
	v_mul_f32_e32 v168, v159, v238
	v_fma_f32 v96, v157, v235, -v96
	v_fmac_f32_e32 v168, v160, v237
	v_add_f32_e32 v95, v95, v96
	v_mul_f32_e32 v96, v160, v238
	v_add_f32_e32 v167, v167, v168
	s_waitcnt vmcnt(9)
	v_mul_f32_e32 v168, v161, v239
	v_fma_f32 v96, v159, v237, -v96
	s_waitcnt vmcnt(8)
	v_fmac_f32_e32 v168, v162, v240
	v_add_f32_e32 v95, v95, v96
	v_mul_f32_e32 v96, v162, v239
	v_add_f32_e32 v249, v167, v168
	ds_read_b128 v[167:170], v94 offset:720
	v_fma_f32 v96, v161, v240, -v96
	v_add_f32_e32 v95, v95, v96
	s_waitcnt vmcnt(6) lgkmcnt(1)
	v_mul_f32_e32 v96, v164, v242
	v_mul_f32_e32 v250, v163, v242
	v_fma_f32 v96, v163, v241, -v96
	v_fmac_f32_e32 v250, v164, v241
	v_add_f32_e32 v95, v95, v96
	s_waitcnt vmcnt(4)
	v_mul_f32_e32 v96, v166, v244
	v_add_f32_e32 v94, v249, v250
	v_mul_f32_e32 v249, v165, v244
	v_fma_f32 v96, v165, v243, -v96
	v_fmac_f32_e32 v249, v166, v243
	v_add_f32_e32 v95, v95, v96
	s_waitcnt vmcnt(3) lgkmcnt(0)
	v_mul_f32_e32 v96, v168, v245
	v_add_f32_e32 v94, v94, v249
	v_mul_f32_e32 v249, v167, v245
	s_waitcnt vmcnt(2)
	v_fma_f32 v96, v167, v246, -v96
	v_fmac_f32_e32 v249, v168, v246
	v_add_f32_e32 v95, v95, v96
	s_waitcnt vmcnt(0)
	v_mul_f32_e32 v96, v170, v248
	v_add_f32_e32 v94, v94, v249
	v_mul_f32_e32 v249, v169, v248
	v_fma_f32 v96, v169, v247, -v96
	v_fmac_f32_e32 v249, v170, v247
	v_add_f32_e32 v95, v95, v96
	v_add_f32_e32 v94, v94, v249
	v_sub_f32_e32 v95, v195, v95
	v_sub_f32_e32 v94, v196, v94
	buffer_store_dword v95, off, s[0:3], 0 offset:56
	buffer_store_dword v94, off, s[0:3], 0 offset:60
	s_and_saveexec_b64 s[4:5], vcc
	s_cbranch_execz .LBB45_277
; %bb.276:
	buffer_load_dword v94, off, s[0:3], 0 offset:48
	buffer_load_dword v95, off, s[0:3], 0 offset:52
	v_mov_b32_e32 v96, 0
	buffer_store_dword v96, off, s[0:3], 0 offset:48
	buffer_store_dword v96, off, s[0:3], 0 offset:52
	s_waitcnt vmcnt(2)
	ds_write_b64 v93, v[94:95]
.LBB45_277:
	s_or_b64 exec, exec, s[4:5]
	s_waitcnt lgkmcnt(0)
	; wave barrier
	buffer_load_dword v173, off, s[0:3], 0 offset:60
	buffer_load_dword v174, off, s[0:3], 0 offset:68
	;; [unrolled: 1-line block ×52, first 2 shown]
	v_mov_b32_e32 v94, 0
	ds_read2_b64 v[95:98], v94 offset0:53 offset1:54
	ds_read2_b64 v[99:102], v94 offset0:55 offset1:56
	;; [unrolled: 1-line block ×6, first 2 shown]
	buffer_load_dword v225, off, s[0:3], 0 offset:260
	buffer_load_dword v226, off, s[0:3], 0 offset:256
	;; [unrolled: 1-line block ×8, first 2 shown]
	v_cmp_lt_u32_e32 vcc, 5, v0
	s_waitcnt vmcnt(59) lgkmcnt(5)
	v_mul_f32_e32 v119, v95, v173
	s_waitcnt vmcnt(58)
	v_mul_f32_e32 v120, v97, v174
	s_waitcnt vmcnt(57) lgkmcnt(4)
	v_mul_f32_e32 v121, v99, v175
	s_waitcnt vmcnt(56)
	v_mul_f32_e32 v122, v101, v176
	;; [unrolled: 4-line block ×5, first 2 shown]
	s_waitcnt vmcnt(49) lgkmcnt(0)
	v_mul_f32_e32 v129, v115, v183
	s_waitcnt vmcnt(48)
	v_fmac_f32_e32 v119, v96, v184
	s_waitcnt vmcnt(47)
	v_fmac_f32_e32 v120, v98, v185
	v_add_f32_e32 v119, 0, v119
	s_waitcnt vmcnt(46)
	v_fmac_f32_e32 v121, v100, v186
	v_add_f32_e32 v119, v119, v120
	;; [unrolled: 3-line block ×9, first 2 shown]
	v_add_f32_e32 v119, v119, v128
	s_waitcnt vmcnt(38)
	v_fmac_f32_e32 v129, v116, v194
	s_waitcnt vmcnt(37)
	v_mul_f32_e32 v120, v117, v195
	v_add_f32_e32 v119, v119, v129
	s_waitcnt vmcnt(36)
	v_fmac_f32_e32 v120, v118, v196
	v_add_f32_e32 v127, v119, v120
	ds_read2_b64 v[119:122], v94 offset0:65 offset1:66
	buffer_load_dword v233, off, s[0:3], 0 offset:292
	buffer_load_dword v234, off, s[0:3], 0 offset:288
	;; [unrolled: 1-line block ×4, first 2 shown]
	ds_read2_b64 v[123:126], v94 offset0:67 offset1:68
	buffer_load_dword v237, off, s[0:3], 0 offset:304
	buffer_load_dword v238, off, s[0:3], 0 offset:308
	;; [unrolled: 1-line block ×10, first 2 shown]
	s_waitcnt vmcnt(46) lgkmcnt(1)
	v_mul_f32_e32 v128, v119, v200
	v_fmac_f32_e32 v128, v120, v199
	v_add_f32_e32 v127, v127, v128
	s_waitcnt vmcnt(44)
	v_mul_f32_e32 v128, v121, v202
	buffer_load_dword v247, off, s[0:3], 0 offset:344
	buffer_load_dword v248, off, s[0:3], 0 offset:348
	v_fmac_f32_e32 v128, v122, v201
	v_add_f32_e32 v127, v127, v128
	s_waitcnt vmcnt(44) lgkmcnt(0)
	v_mul_f32_e32 v128, v123, v204
	v_fmac_f32_e32 v128, v124, v203
	v_add_f32_e32 v131, v127, v128
	ds_read2_b64 v[127:130], v94 offset0:69 offset1:70
	buffer_load_dword v249, off, s[0:3], 0 offset:356
	buffer_load_dword v250, off, s[0:3], 0 offset:352
	;; [unrolled: 1-line block ×4, first 2 shown]
	v_mul_f32_e32 v96, v96, v173
	v_fma_f32 v95, v95, v184, -v96
	v_mul_f32_e32 v96, v98, v174
	v_add_f32_e32 v95, 0, v95
	v_fma_f32 v96, v97, v185, -v96
	v_add_f32_e32 v95, v95, v96
	v_mul_f32_e32 v96, v100, v175
	v_fma_f32 v96, v99, v186, -v96
	v_add_f32_e32 v95, v95, v96
	v_mul_f32_e32 v96, v102, v176
	;; [unrolled: 3-line block ×5, first 2 shown]
	v_fma_f32 v96, v107, v190, -v96
	s_waitcnt vmcnt(46)
	v_mul_f32_e32 v132, v125, v206
	v_add_f32_e32 v95, v95, v96
	v_mul_f32_e32 v96, v110, v180
	v_fmac_f32_e32 v132, v126, v205
	v_fma_f32 v96, v109, v191, -v96
	v_add_f32_e32 v135, v131, v132
	ds_read2_b64 v[131:134], v94 offset0:71 offset1:72
	v_add_f32_e32 v95, v95, v96
	v_mul_f32_e32 v96, v112, v181
	s_waitcnt vmcnt(44) lgkmcnt(1)
	v_mul_f32_e32 v136, v127, v208
	v_fma_f32 v96, v111, v192, -v96
	v_fmac_f32_e32 v136, v128, v207
	v_add_f32_e32 v95, v95, v96
	v_mul_f32_e32 v96, v114, v182
	v_add_f32_e32 v135, v135, v136
	s_waitcnt vmcnt(42)
	v_mul_f32_e32 v136, v129, v210
	v_fma_f32 v96, v113, v193, -v96
	v_fmac_f32_e32 v136, v130, v209
	v_add_f32_e32 v95, v95, v96
	v_mul_f32_e32 v96, v116, v183
	v_add_f32_e32 v135, v135, v136
	s_waitcnt vmcnt(40) lgkmcnt(0)
	v_mul_f32_e32 v136, v131, v212
	v_fma_f32 v96, v115, v194, -v96
	v_fmac_f32_e32 v136, v132, v211
	v_add_f32_e32 v95, v95, v96
	v_mul_f32_e32 v96, v118, v195
	v_add_f32_e32 v139, v135, v136
	ds_read2_b64 v[135:138], v94 offset0:73 offset1:74
	v_fma_f32 v96, v117, v196, -v96
	v_add_f32_e32 v95, v95, v96
	v_mul_f32_e32 v96, v120, v200
	s_waitcnt vmcnt(38)
	v_mul_f32_e32 v140, v133, v214
	v_fma_f32 v96, v119, v199, -v96
	v_fmac_f32_e32 v140, v134, v213
	v_add_f32_e32 v95, v95, v96
	v_mul_f32_e32 v96, v122, v202
	v_add_f32_e32 v143, v139, v140
	ds_read2_b64 v[139:142], v94 offset0:75 offset1:76
	v_fma_f32 v96, v121, v201, -v96
	s_waitcnt vmcnt(36) lgkmcnt(1)
	v_mul_f32_e32 v144, v135, v216
	v_add_f32_e32 v95, v95, v96
	v_mul_f32_e32 v96, v124, v204
	v_fmac_f32_e32 v144, v136, v215
	v_fma_f32 v96, v123, v203, -v96
	v_add_f32_e32 v143, v143, v144
	s_waitcnt vmcnt(34)
	v_mul_f32_e32 v144, v137, v218
	v_add_f32_e32 v95, v95, v96
	v_mul_f32_e32 v96, v126, v206
	v_fmac_f32_e32 v144, v138, v217
	v_fma_f32 v96, v125, v205, -v96
	v_add_f32_e32 v143, v143, v144
	s_waitcnt vmcnt(32) lgkmcnt(0)
	v_mul_f32_e32 v144, v139, v220
	v_add_f32_e32 v95, v95, v96
	v_mul_f32_e32 v96, v128, v208
	v_fmac_f32_e32 v144, v140, v219
	v_fma_f32 v96, v127, v207, -v96
	v_add_f32_e32 v147, v143, v144
	ds_read2_b64 v[143:146], v94 offset0:77 offset1:78
	v_add_f32_e32 v95, v95, v96
	v_mul_f32_e32 v96, v130, v210
	v_fma_f32 v96, v129, v209, -v96
	s_waitcnt vmcnt(30)
	v_mul_f32_e32 v148, v141, v222
	v_add_f32_e32 v95, v95, v96
	v_mul_f32_e32 v96, v132, v212
	v_fmac_f32_e32 v148, v142, v221
	v_fma_f32 v96, v131, v211, -v96
	v_add_f32_e32 v151, v147, v148
	ds_read2_b64 v[147:150], v94 offset0:79 offset1:80
	v_add_f32_e32 v95, v95, v96
	v_mul_f32_e32 v96, v134, v214
	s_waitcnt vmcnt(28) lgkmcnt(1)
	v_mul_f32_e32 v152, v143, v224
	v_fma_f32 v96, v133, v213, -v96
	v_fmac_f32_e32 v152, v144, v223
	v_add_f32_e32 v95, v95, v96
	v_mul_f32_e32 v96, v136, v216
	v_add_f32_e32 v151, v151, v152
	s_waitcnt vmcnt(27)
	v_mul_f32_e32 v152, v145, v225
	v_fma_f32 v96, v135, v215, -v96
	s_waitcnt vmcnt(26)
	v_fmac_f32_e32 v152, v146, v226
	v_add_f32_e32 v95, v95, v96
	v_mul_f32_e32 v96, v138, v218
	v_add_f32_e32 v151, v151, v152
	s_waitcnt vmcnt(24) lgkmcnt(0)
	v_mul_f32_e32 v152, v147, v228
	v_fma_f32 v96, v137, v217, -v96
	v_fmac_f32_e32 v152, v148, v227
	v_add_f32_e32 v95, v95, v96
	v_mul_f32_e32 v96, v140, v220
	v_add_f32_e32 v155, v151, v152
	ds_read2_b64 v[151:154], v94 offset0:81 offset1:82
	v_fma_f32 v96, v139, v219, -v96
	v_add_f32_e32 v95, v95, v96
	v_mul_f32_e32 v96, v142, v222
	s_waitcnt vmcnt(22)
	v_mul_f32_e32 v156, v149, v230
	v_fma_f32 v96, v141, v221, -v96
	v_fmac_f32_e32 v156, v150, v229
	v_add_f32_e32 v95, v95, v96
	v_mul_f32_e32 v96, v144, v224
	v_add_f32_e32 v159, v155, v156
	ds_read2_b64 v[155:158], v94 offset0:83 offset1:84
	v_fma_f32 v96, v143, v223, -v96
	s_waitcnt vmcnt(20) lgkmcnt(1)
	v_mul_f32_e32 v160, v151, v232
	v_add_f32_e32 v95, v95, v96
	v_mul_f32_e32 v96, v146, v225
	v_fmac_f32_e32 v160, v152, v231
	v_fma_f32 v96, v145, v226, -v96
	v_add_f32_e32 v159, v159, v160
	s_waitcnt vmcnt(19)
	v_mul_f32_e32 v160, v153, v233
	v_add_f32_e32 v95, v95, v96
	v_mul_f32_e32 v96, v148, v228
	s_waitcnt vmcnt(18)
	v_fmac_f32_e32 v160, v154, v234
	v_fma_f32 v96, v147, v227, -v96
	v_add_f32_e32 v159, v159, v160
	s_waitcnt vmcnt(16) lgkmcnt(0)
	v_mul_f32_e32 v160, v155, v236
	v_add_f32_e32 v95, v95, v96
	v_mul_f32_e32 v96, v150, v230
	v_fmac_f32_e32 v160, v156, v235
	v_fma_f32 v96, v149, v229, -v96
	v_add_f32_e32 v163, v159, v160
	ds_read2_b64 v[159:162], v94 offset0:85 offset1:86
	v_add_f32_e32 v95, v95, v96
	v_mul_f32_e32 v96, v152, v232
	v_fma_f32 v96, v151, v231, -v96
	s_waitcnt vmcnt(14)
	v_mul_f32_e32 v164, v157, v238
	v_add_f32_e32 v95, v95, v96
	v_mul_f32_e32 v96, v154, v233
	v_fmac_f32_e32 v164, v158, v237
	v_fma_f32 v96, v153, v234, -v96
	v_add_f32_e32 v167, v163, v164
	ds_read2_b64 v[163:166], v94 offset0:87 offset1:88
	v_add_f32_e32 v95, v95, v96
	v_mul_f32_e32 v96, v156, v236
	s_waitcnt vmcnt(12) lgkmcnt(1)
	v_mul_f32_e32 v168, v159, v240
	v_fma_f32 v96, v155, v235, -v96
	v_fmac_f32_e32 v168, v160, v239
	v_add_f32_e32 v95, v95, v96
	v_mul_f32_e32 v96, v158, v238
	v_add_f32_e32 v167, v167, v168
	s_waitcnt vmcnt(11)
	v_mul_f32_e32 v168, v161, v241
	v_fma_f32 v96, v157, v237, -v96
	s_waitcnt vmcnt(10)
	v_fmac_f32_e32 v168, v162, v242
	v_add_f32_e32 v95, v95, v96
	v_mul_f32_e32 v96, v160, v240
	v_add_f32_e32 v167, v167, v168
	s_waitcnt vmcnt(8) lgkmcnt(0)
	v_mul_f32_e32 v168, v163, v244
	v_fma_f32 v96, v159, v239, -v96
	v_fmac_f32_e32 v168, v164, v243
	v_add_f32_e32 v95, v95, v96
	v_mul_f32_e32 v96, v162, v241
	v_add_f32_e32 v171, v167, v168
	ds_read2_b64 v[167:170], v94 offset0:89 offset1:90
	v_fma_f32 v96, v161, v242, -v96
	v_add_f32_e32 v95, v95, v96
	v_mul_f32_e32 v96, v164, v244
	s_waitcnt vmcnt(6)
	v_mul_f32_e32 v172, v165, v246
	v_fma_f32 v96, v163, v243, -v96
	v_fmac_f32_e32 v172, v166, v245
	v_add_f32_e32 v95, v95, v96
	v_mul_f32_e32 v96, v166, v246
	v_add_f32_e32 v253, v171, v172
	ds_read_b64 v[171:172], v94 offset:728
	v_fma_f32 v96, v165, v245, -v96
	v_add_f32_e32 v95, v95, v96
	s_waitcnt vmcnt(4) lgkmcnt(1)
	v_mul_f32_e32 v96, v168, v248
	v_mul_f32_e32 v254, v167, v248
	v_fma_f32 v96, v167, v247, -v96
	v_fmac_f32_e32 v254, v168, v247
	v_add_f32_e32 v95, v95, v96
	s_waitcnt vmcnt(3)
	v_mul_f32_e32 v96, v170, v249
	v_add_f32_e32 v253, v253, v254
	v_mul_f32_e32 v254, v169, v249
	s_waitcnt vmcnt(2)
	v_fma_f32 v96, v169, v250, -v96
	v_fmac_f32_e32 v254, v170, v250
	v_add_f32_e32 v95, v95, v96
	s_waitcnt vmcnt(0) lgkmcnt(0)
	v_mul_f32_e32 v96, v172, v252
	v_add_f32_e32 v253, v253, v254
	v_mul_f32_e32 v254, v171, v252
	v_fma_f32 v96, v171, v251, -v96
	v_fmac_f32_e32 v254, v172, v251
	v_add_f32_e32 v95, v95, v96
	v_add_f32_e32 v253, v253, v254
	v_sub_f32_e32 v95, v197, v95
	v_sub_f32_e32 v96, v198, v253
	buffer_store_dword v95, off, s[0:3], 0 offset:48
	buffer_store_dword v96, off, s[0:3], 0 offset:52
	s_and_saveexec_b64 s[4:5], vcc
	s_cbranch_execz .LBB45_279
; %bb.278:
	buffer_load_dword v95, off, s[0:3], 0 offset:40
	buffer_load_dword v96, off, s[0:3], 0 offset:44
	s_waitcnt vmcnt(0)
	ds_write_b64 v93, v[95:96]
	buffer_store_dword v94, off, s[0:3], 0 offset:40
	buffer_store_dword v94, off, s[0:3], 0 offset:44
.LBB45_279:
	s_or_b64 exec, exec, s[4:5]
	s_waitcnt lgkmcnt(0)
	; wave barrier
	buffer_load_dword v175, off, s[0:3], 0 offset:52
	buffer_load_dword v176, off, s[0:3], 0 offset:60
	;; [unrolled: 1-line block ×32, first 2 shown]
	ds_read_b128 v[95:98], v94 offset:416
	ds_read_b128 v[99:102], v94 offset:432
	;; [unrolled: 1-line block ×6, first 2 shown]
	buffer_load_dword v207, off, s[0:3], 0 offset:168
	buffer_load_dword v208, off, s[0:3], 0 offset:172
	;; [unrolled: 1-line block ×26, first 2 shown]
	v_cmp_lt_u32_e32 vcc, 4, v0
	s_waitcnt vmcnt(57) lgkmcnt(5)
	v_mul_f32_e32 v119, v95, v175
	s_waitcnt vmcnt(56)
	v_mul_f32_e32 v120, v97, v176
	s_waitcnt vmcnt(55) lgkmcnt(4)
	v_mul_f32_e32 v121, v99, v177
	s_waitcnt vmcnt(54)
	v_mul_f32_e32 v122, v101, v178
	;; [unrolled: 4-line block ×5, first 2 shown]
	s_waitcnt vmcnt(47) lgkmcnt(0)
	v_mul_f32_e32 v129, v115, v185
	s_waitcnt vmcnt(46)
	v_fmac_f32_e32 v121, v100, v186
	s_waitcnt vmcnt(45)
	v_fmac_f32_e32 v120, v98, v187
	;; [unrolled: 2-line block ×3, first 2 shown]
	v_add_f32_e32 v119, 0, v119
	v_add_f32_e32 v119, v119, v120
	;; [unrolled: 1-line block ×3, first 2 shown]
	s_waitcnt vmcnt(40)
	v_fmac_f32_e32 v122, v102, v192
	v_fmac_f32_e32 v123, v104, v191
	v_add_f32_e32 v119, v119, v122
	v_fmac_f32_e32 v124, v106, v190
	v_add_f32_e32 v119, v119, v123
	;; [unrolled: 2-line block ×3, first 2 shown]
	s_waitcnt vmcnt(36)
	v_fmac_f32_e32 v126, v110, v196
	v_add_f32_e32 v119, v119, v125
	v_fmac_f32_e32 v127, v112, v195
	v_add_f32_e32 v119, v119, v126
	v_fmac_f32_e32 v128, v114, v194
	v_add_f32_e32 v119, v119, v127
	v_fmac_f32_e32 v129, v116, v193
	v_add_f32_e32 v119, v119, v128
	v_add_f32_e32 v123, v119, v129
	ds_read_b128 v[119:122], v94 offset:512
	buffer_load_dword v233, off, s[0:3], 0 offset:272
	buffer_load_dword v234, off, s[0:3], 0 offset:276
	;; [unrolled: 1-line block ×6, first 2 shown]
	s_waitcnt vmcnt(41)
	v_mul_f32_e32 v124, v117, v197
	s_waitcnt vmcnt(35)
	v_fmac_f32_e32 v124, v118, v203
	v_add_f32_e32 v127, v123, v124
	ds_read_b128 v[123:126], v94 offset:528
	buffer_load_dword v239, off, s[0:3], 0 offset:296
	buffer_load_dword v240, off, s[0:3], 0 offset:300
	;; [unrolled: 1-line block ×10, first 2 shown]
	s_waitcnt vmcnt(44) lgkmcnt(1)
	v_mul_f32_e32 v128, v119, v204
	v_fmac_f32_e32 v128, v120, v202
	v_add_f32_e32 v127, v127, v128
	v_mul_f32_e32 v128, v121, v199
	v_fmac_f32_e32 v128, v122, v198
	v_add_f32_e32 v127, v127, v128
	s_waitcnt lgkmcnt(0)
	v_mul_f32_e32 v128, v123, v201
	buffer_load_dword v249, off, s[0:3], 0 offset:336
	buffer_load_dword v250, off, s[0:3], 0 offset:340
	buffer_load_dword v251, off, s[0:3], 0 offset:348
	buffer_load_dword v252, off, s[0:3], 0 offset:352
	buffer_load_dword v253, off, s[0:3], 0 offset:356
	buffer_load_dword v254, off, s[0:3], 0 offset:344
	v_fmac_f32_e32 v128, v124, v200
	s_waitcnt vmcnt(46)
	v_mul_f32_e32 v132, v125, v208
	v_add_f32_e32 v131, v127, v128
	v_fmac_f32_e32 v132, v126, v207
	ds_read_b128 v[127:130], v94 offset:544
	v_add_f32_e32 v135, v131, v132
	ds_read_b128 v[131:134], v94 offset:560
	buffer_load_dword v255, off, s[0:3], 0 offset:360
	buffer_load_dword v1, off, s[0:3], 0 offset:364
	s_waitcnt vmcnt(46) lgkmcnt(1)
	v_mul_f32_e32 v2, v127, v210
	v_fmac_f32_e32 v2, v128, v209
	v_add_f32_e32 v2, v135, v2
	s_waitcnt vmcnt(44)
	v_mul_f32_e32 v135, v129, v212
	v_fmac_f32_e32 v135, v130, v211
	v_add_f32_e32 v2, v2, v135
	s_waitcnt vmcnt(42) lgkmcnt(0)
	v_mul_f32_e32 v135, v131, v214
	v_fmac_f32_e32 v135, v132, v213
	v_add_f32_e32 v2, v2, v135
	ds_read_b128 v[135:138], v94 offset:576
	s_waitcnt vmcnt(40)
	v_mul_f32_e32 v139, v133, v216
	v_fmac_f32_e32 v139, v134, v215
	v_add_f32_e32 v2, v2, v139
	ds_read_b128 v[139:142], v94 offset:592
	s_waitcnt vmcnt(38) lgkmcnt(1)
	v_mul_f32_e32 v143, v135, v218
	v_fmac_f32_e32 v143, v136, v217
	v_add_f32_e32 v2, v2, v143
	s_waitcnt vmcnt(36)
	v_mul_f32_e32 v143, v137, v220
	v_fmac_f32_e32 v143, v138, v219
	v_add_f32_e32 v2, v2, v143
	s_waitcnt vmcnt(34) lgkmcnt(0)
	v_mul_f32_e32 v143, v139, v222
	v_fmac_f32_e32 v143, v140, v221
	v_add_f32_e32 v2, v2, v143
	ds_read_b128 v[143:146], v94 offset:608
	s_waitcnt vmcnt(32)
	v_mul_f32_e32 v147, v141, v224
	v_fmac_f32_e32 v147, v142, v223
	v_add_f32_e32 v2, v2, v147
	ds_read_b128 v[147:150], v94 offset:624
	s_waitcnt vmcnt(30) lgkmcnt(1)
	v_mul_f32_e32 v151, v143, v226
	v_fmac_f32_e32 v151, v144, v225
	v_add_f32_e32 v2, v2, v151
	s_waitcnt vmcnt(29)
	v_mul_f32_e32 v151, v145, v227
	s_waitcnt vmcnt(26)
	v_fmac_f32_e32 v151, v146, v230
	v_add_f32_e32 v2, v2, v151
	s_waitcnt lgkmcnt(0)
	v_mul_f32_e32 v151, v147, v229
	v_fmac_f32_e32 v151, v148, v228
	v_add_f32_e32 v2, v2, v151
	ds_read_b128 v[151:154], v94 offset:640
	s_waitcnt vmcnt(24)
	v_mul_f32_e32 v155, v149, v232
	v_fmac_f32_e32 v155, v150, v231
	v_add_f32_e32 v2, v2, v155
	ds_read_b128 v[155:158], v94 offset:656
	s_waitcnt vmcnt(22) lgkmcnt(1)
	v_mul_f32_e32 v159, v151, v234
	v_fmac_f32_e32 v159, v152, v233
	v_add_f32_e32 v2, v2, v159
	s_waitcnt vmcnt(21)
	v_mul_f32_e32 v159, v153, v235
	s_waitcnt vmcnt(18)
	v_fmac_f32_e32 v159, v154, v238
	v_add_f32_e32 v2, v2, v159
	s_waitcnt lgkmcnt(0)
	;; [unrolled: 19-line block ×4, first 2 shown]
	v_mul_f32_e32 v94, v171, v253
	v_fmac_f32_e32 v94, v172, v252
	v_add_f32_e32 v2, v2, v94
	s_waitcnt vmcnt(0)
	v_mul_f32_e32 v94, v173, v1
	v_fmac_f32_e32 v94, v174, v255
	v_add_f32_e32 v2, v2, v94
	v_mul_f32_e32 v94, v96, v175
	v_fma_f32 v94, v95, v188, -v94
	v_mul_f32_e32 v95, v98, v176
	v_add_f32_e32 v94, 0, v94
	v_fma_f32 v95, v97, v187, -v95
	v_add_f32_e32 v94, v94, v95
	v_mul_f32_e32 v95, v100, v177
	v_fma_f32 v95, v99, v186, -v95
	v_add_f32_e32 v94, v94, v95
	v_mul_f32_e32 v95, v102, v178
	;; [unrolled: 3-line block ×37, first 2 shown]
	v_fma_f32 v95, v171, v252, -v95
	v_mul_f32_e32 v1, v174, v1
	v_add_f32_e32 v94, v94, v95
	v_fma_f32 v1, v173, v255, -v1
	v_add_f32_e32 v1, v94, v1
	v_sub_f32_e32 v1, v205, v1
	v_sub_f32_e32 v2, v206, v2
	buffer_store_dword v1, off, s[0:3], 0 offset:40
	buffer_store_dword v2, off, s[0:3], 0 offset:44
	s_and_saveexec_b64 s[4:5], vcc
	s_cbranch_execz .LBB45_281
; %bb.280:
	buffer_load_dword v94, off, s[0:3], 0 offset:32
	buffer_load_dword v95, off, s[0:3], 0 offset:36
	v_mov_b32_e32 v1, 0
	buffer_store_dword v1, off, s[0:3], 0 offset:32
	buffer_store_dword v1, off, s[0:3], 0 offset:36
	s_waitcnt vmcnt(2)
	ds_write_b64 v93, v[94:95]
.LBB45_281:
	s_or_b64 exec, exec, s[4:5]
	s_waitcnt lgkmcnt(0)
	; wave barrier
	buffer_load_dword v103, off, s[0:3], 0 offset:44
	buffer_load_dword v102, off, s[0:3], 0 offset:52
	;; [unrolled: 1-line block ×50, first 2 shown]
	v_mov_b32_e32 v94, 0
	ds_read2_b64 v[104:107], v94 offset0:51 offset1:52
	ds_read2_b64 v[108:111], v94 offset0:53 offset1:54
	;; [unrolled: 1-line block ×6, first 2 shown]
	buffer_load_dword v225, off, s[0:3], 0 offset:232
	buffer_load_dword v226, off, s[0:3], 0 offset:236
	;; [unrolled: 1-line block ×6, first 2 shown]
	v_cmp_lt_u32_e32 vcc, 3, v0
	s_waitcnt vmcnt(55) lgkmcnt(5)
	v_mul_f32_e32 v128, v104, v103
	s_waitcnt vmcnt(54)
	v_mul_f32_e32 v129, v106, v102
	s_waitcnt vmcnt(53) lgkmcnt(4)
	v_mul_f32_e32 v130, v108, v101
	s_waitcnt vmcnt(52)
	v_mul_f32_e32 v131, v110, v100
	;; [unrolled: 4-line block ×5, first 2 shown]
	s_waitcnt vmcnt(45) lgkmcnt(0)
	v_mul_f32_e32 v138, v124, v187
	s_waitcnt vmcnt(44)
	v_fmac_f32_e32 v130, v109, v188
	s_waitcnt vmcnt(43)
	v_fmac_f32_e32 v129, v107, v189
	s_waitcnt vmcnt(42)
	v_fmac_f32_e32 v128, v105, v190
	v_add_f32_e32 v128, 0, v128
	v_add_f32_e32 v128, v128, v129
	;; [unrolled: 1-line block ×3, first 2 shown]
	s_waitcnt vmcnt(38)
	v_fmac_f32_e32 v131, v111, v194
	v_fmac_f32_e32 v132, v113, v193
	v_add_f32_e32 v128, v128, v131
	v_fmac_f32_e32 v133, v115, v192
	v_add_f32_e32 v128, v128, v132
	;; [unrolled: 2-line block ×3, first 2 shown]
	s_waitcnt vmcnt(34)
	v_fmac_f32_e32 v135, v119, v198
	v_add_f32_e32 v128, v128, v134
	v_fmac_f32_e32 v136, v121, v197
	v_add_f32_e32 v128, v128, v135
	;; [unrolled: 2-line block ×4, first 2 shown]
	v_add_f32_e32 v132, v128, v138
	ds_read2_b64 v[128:131], v94 offset0:63 offset1:64
	buffer_load_dword v231, off, s[0:3], 0 offset:256
	buffer_load_dword v232, off, s[0:3], 0 offset:260
	s_waitcnt vmcnt(35)
	v_mul_f32_e32 v133, v126, v199
	s_waitcnt vmcnt(29)
	v_fmac_f32_e32 v133, v127, v205
	v_add_f32_e32 v136, v132, v133
	ds_read2_b64 v[132:135], v94 offset0:65 offset1:66
	buffer_load_dword v233, off, s[0:3], 0 offset:264
	buffer_load_dword v234, off, s[0:3], 0 offset:268
	;; [unrolled: 1-line block ×14, first 2 shown]
	s_waitcnt vmcnt(42) lgkmcnt(1)
	v_mul_f32_e32 v137, v128, v206
	v_fmac_f32_e32 v137, v129, v204
	buffer_load_dword v247, off, s[0:3], 0 offset:320
	buffer_load_dword v248, off, s[0:3], 0 offset:324
	v_add_f32_e32 v136, v136, v137
	v_mul_f32_e32 v137, v130, v201
	v_fmac_f32_e32 v137, v131, v200
	v_add_f32_e32 v136, v136, v137
	s_waitcnt lgkmcnt(0)
	v_mul_f32_e32 v137, v132, v203
	v_fmac_f32_e32 v137, v133, v202
	v_add_f32_e32 v140, v136, v137
	ds_read2_b64 v[136:139], v94 offset0:67 offset1:68
	buffer_load_dword v249, off, s[0:3], 0 offset:328
	buffer_load_dword v250, off, s[0:3], 0 offset:332
	;; [unrolled: 1-line block ×6, first 2 shown]
	s_waitcnt vmcnt(46)
	v_mul_f32_e32 v141, v134, v208
	v_fmac_f32_e32 v141, v135, v207
	v_add_f32_e32 v144, v140, v141
	ds_read2_b64 v[140:143], v94 offset0:69 offset1:70
	buffer_load_dword v255, off, s[0:3], 0 offset:356
	buffer_load_dword v3, off, s[0:3], 0 offset:360
	;; [unrolled: 1-line block ×4, first 2 shown]
	s_waitcnt vmcnt(48) lgkmcnt(1)
	v_mul_f32_e32 v145, v136, v210
	v_fmac_f32_e32 v145, v137, v209
	v_add_f32_e32 v6, v144, v145
	s_waitcnt vmcnt(46)
	v_mul_f32_e32 v144, v138, v212
	v_fmac_f32_e32 v144, v139, v211
	v_add_f32_e32 v6, v6, v144
	s_waitcnt vmcnt(44) lgkmcnt(0)
	v_mul_f32_e32 v144, v140, v214
	v_fmac_f32_e32 v144, v141, v213
	v_add_f32_e32 v6, v6, v144
	ds_read2_b64 v[144:147], v94 offset0:71 offset1:72
	s_waitcnt vmcnt(42)
	v_mul_f32_e32 v148, v142, v216
	v_fmac_f32_e32 v148, v143, v215
	v_add_f32_e32 v6, v6, v148
	ds_read2_b64 v[148:151], v94 offset0:73 offset1:74
	s_waitcnt vmcnt(40) lgkmcnt(1)
	v_mul_f32_e32 v152, v144, v218
	v_fmac_f32_e32 v152, v145, v217
	v_add_f32_e32 v6, v6, v152
	s_waitcnt vmcnt(38)
	v_mul_f32_e32 v152, v146, v220
	v_fmac_f32_e32 v152, v147, v219
	v_add_f32_e32 v6, v6, v152
	s_waitcnt vmcnt(36) lgkmcnt(0)
	v_mul_f32_e32 v152, v148, v222
	v_fmac_f32_e32 v152, v149, v221
	v_add_f32_e32 v6, v6, v152
	ds_read2_b64 v[152:155], v94 offset0:75 offset1:76
	s_waitcnt vmcnt(34)
	v_mul_f32_e32 v156, v150, v224
	v_fmac_f32_e32 v156, v151, v223
	v_add_f32_e32 v6, v6, v156
	ds_read2_b64 v[156:159], v94 offset0:77 offset1:78
	s_waitcnt vmcnt(32) lgkmcnt(1)
	v_mul_f32_e32 v160, v152, v226
	v_fmac_f32_e32 v160, v153, v225
	v_add_f32_e32 v6, v6, v160
	s_waitcnt vmcnt(31)
	v_mul_f32_e32 v160, v154, v227
	s_waitcnt vmcnt(28)
	v_fmac_f32_e32 v160, v155, v230
	v_add_f32_e32 v6, v6, v160
	s_waitcnt lgkmcnt(0)
	v_mul_f32_e32 v160, v156, v229
	v_fmac_f32_e32 v160, v157, v228
	v_add_f32_e32 v6, v6, v160
	ds_read2_b64 v[160:163], v94 offset0:79 offset1:80
	v_mul_f32_e32 v8, v107, v102
	v_fma_f32 v8, v106, v189, -v8
	v_mul_f32_e32 v1, v119, v1
	v_fma_f32 v1, v118, v198, -v1
	;; [unrolled: 2-line block ×3, first 2 shown]
	s_waitcnt vmcnt(26)
	v_mul_f32_e32 v164, v158, v232
	v_fmac_f32_e32 v164, v159, v231
	v_add_f32_e32 v6, v6, v164
	ds_read2_b64 v[164:167], v94 offset0:81 offset1:82
	s_waitcnt vmcnt(24) lgkmcnt(1)
	v_mul_f32_e32 v168, v160, v234
	v_fmac_f32_e32 v168, v161, v233
	v_add_f32_e32 v6, v6, v168
	s_waitcnt vmcnt(23)
	v_mul_f32_e32 v168, v162, v235
	s_waitcnt vmcnt(20)
	v_fmac_f32_e32 v168, v163, v238
	v_add_f32_e32 v6, v6, v168
	s_waitcnt lgkmcnt(0)
	v_mul_f32_e32 v168, v164, v237
	v_fmac_f32_e32 v168, v165, v236
	v_add_f32_e32 v6, v6, v168
	ds_read2_b64 v[168:171], v94 offset0:83 offset1:84
	s_waitcnt vmcnt(18)
	v_mul_f32_e32 v172, v166, v240
	v_fmac_f32_e32 v172, v167, v239
	v_add_f32_e32 v6, v6, v172
	ds_read2_b64 v[172:175], v94 offset0:85 offset1:86
	s_waitcnt vmcnt(16) lgkmcnt(1)
	v_mul_f32_e32 v176, v168, v242
	v_fmac_f32_e32 v176, v169, v241
	v_add_f32_e32 v6, v6, v176
	s_waitcnt vmcnt(15)
	v_mul_f32_e32 v176, v170, v243
	s_waitcnt vmcnt(12)
	v_fmac_f32_e32 v176, v171, v246
	v_add_f32_e32 v6, v6, v176
	s_waitcnt lgkmcnt(0)
	v_mul_f32_e32 v176, v172, v245
	v_fmac_f32_e32 v176, v173, v244
	v_add_f32_e32 v6, v6, v176
	ds_read2_b64 v[176:179], v94 offset0:87 offset1:88
	s_waitcnt vmcnt(10)
	v_mul_f32_e32 v180, v174, v248
	v_fmac_f32_e32 v180, v175, v247
	v_add_f32_e32 v6, v6, v180
	ds_read2_b64 v[180:183], v94 offset0:89 offset1:90
	s_waitcnt vmcnt(8) lgkmcnt(1)
	v_mul_f32_e32 v184, v176, v250
	v_fmac_f32_e32 v184, v177, v249
	v_add_f32_e32 v6, v6, v184
	s_waitcnt vmcnt(7)
	v_mul_f32_e32 v184, v178, v251
	s_waitcnt vmcnt(4)
	v_fmac_f32_e32 v184, v179, v254
	v_add_f32_e32 v6, v6, v184
	ds_read_b64 v[184:185], v94 offset:728
	s_waitcnt lgkmcnt(1)
	v_mul_f32_e32 v7, v180, v253
	v_fmac_f32_e32 v7, v181, v252
	v_add_f32_e32 v6, v6, v7
	s_waitcnt vmcnt(3)
	v_mul_f32_e32 v7, v182, v255
	s_waitcnt vmcnt(0)
	v_fmac_f32_e32 v7, v183, v5
	v_add_f32_e32 v6, v6, v7
	s_waitcnt lgkmcnt(0)
	v_mul_f32_e32 v7, v184, v4
	v_fmac_f32_e32 v7, v185, v3
	v_add_f32_e32 v6, v6, v7
	v_mul_f32_e32 v7, v105, v103
	v_fma_f32 v7, v104, v190, -v7
	v_add_f32_e32 v7, 0, v7
	v_add_f32_e32 v7, v7, v8
	v_mul_f32_e32 v8, v109, v101
	v_fma_f32 v8, v108, v188, -v8
	v_add_f32_e32 v7, v7, v8
	v_mul_f32_e32 v8, v111, v100
	v_fma_f32 v8, v110, v194, -v8
	;; [unrolled: 3-line block ×5, first 2 shown]
	v_add_f32_e32 v7, v7, v8
	v_add_f32_e32 v1, v7, v1
	;; [unrolled: 1-line block ×3, first 2 shown]
	v_mul_f32_e32 v2, v123, v186
	v_fma_f32 v2, v122, v196, -v2
	v_add_f32_e32 v1, v1, v2
	v_mul_f32_e32 v2, v125, v187
	v_fma_f32 v2, v124, v195, -v2
	v_add_f32_e32 v1, v1, v2
	;; [unrolled: 3-line block ×32, first 2 shown]
	v_sub_f32_e32 v1, v97, v1
	v_sub_f32_e32 v2, v98, v6
	buffer_store_dword v1, off, s[0:3], 0 offset:32
	buffer_store_dword v2, off, s[0:3], 0 offset:36
	s_and_saveexec_b64 s[4:5], vcc
	s_cbranch_execz .LBB45_283
; %bb.282:
	buffer_load_dword v95, off, s[0:3], 0 offset:24
	buffer_load_dword v96, off, s[0:3], 0 offset:28
	s_waitcnt vmcnt(0)
	ds_write_b64 v93, v[95:96]
	buffer_store_dword v94, off, s[0:3], 0 offset:24
	buffer_store_dword v94, off, s[0:3], 0 offset:28
.LBB45_283:
	s_or_b64 exec, exec, s[4:5]
	s_waitcnt lgkmcnt(0)
	; wave barrier
	buffer_load_dword v1, off, s[0:3], 0 offset:36
	buffer_load_dword v2, off, s[0:3], 0 offset:44
	;; [unrolled: 1-line block ×32, first 2 shown]
	ds_read_b128 v[95:98], v94 offset:400
	ds_read_b128 v[99:102], v94 offset:416
	;; [unrolled: 1-line block ×6, first 2 shown]
	buffer_load_dword v203, off, s[0:3], 0 offset:152
	buffer_load_dword v204, off, s[0:3], 0 offset:156
	;; [unrolled: 1-line block ×18, first 2 shown]
	v_cmp_lt_u32_e32 vcc, 2, v0
	s_waitcnt vmcnt(49) lgkmcnt(5)
	v_mul_f32_e32 v119, v95, v1
	s_waitcnt vmcnt(48)
	v_mul_f32_e32 v120, v97, v2
	s_waitcnt vmcnt(47) lgkmcnt(4)
	v_mul_f32_e32 v121, v99, v3
	s_waitcnt vmcnt(46)
	v_mul_f32_e32 v122, v101, v4
	;; [unrolled: 4-line block ×6, first 2 shown]
	s_waitcnt vmcnt(37)
	v_fmac_f32_e32 v121, v100, v183
	s_waitcnt vmcnt(36)
	v_fmac_f32_e32 v120, v98, v184
	;; [unrolled: 2-line block ×3, first 2 shown]
	v_add_f32_e32 v119, 0, v119
	v_add_f32_e32 v119, v119, v120
	;; [unrolled: 1-line block ×3, first 2 shown]
	s_waitcnt vmcnt(31)
	v_fmac_f32_e32 v122, v102, v189
	v_fmac_f32_e32 v123, v104, v188
	v_add_f32_e32 v119, v119, v122
	v_fmac_f32_e32 v124, v106, v187
	v_add_f32_e32 v119, v119, v123
	;; [unrolled: 2-line block ×3, first 2 shown]
	s_waitcnt vmcnt(27)
	v_fmac_f32_e32 v126, v110, v193
	v_add_f32_e32 v119, v119, v125
	v_fmac_f32_e32 v127, v112, v192
	v_add_f32_e32 v119, v119, v126
	;; [unrolled: 2-line block ×3, first 2 shown]
	v_add_f32_e32 v123, v119, v128
	ds_read_b128 v[119:122], v94 offset:496
	buffer_load_dword v221, off, s[0:3], 0 offset:224
	buffer_load_dword v222, off, s[0:3], 0 offset:228
	buffer_load_dword v223, off, s[0:3], 0 offset:236
	buffer_load_dword v224, off, s[0:3], 0 offset:240
	buffer_load_dword v225, off, s[0:3], 0 offset:244
	buffer_load_dword v226, off, s[0:3], 0 offset:232
	v_fmac_f32_e32 v129, v116, v190
	s_waitcnt vmcnt(27)
	v_fmac_f32_e32 v130, v118, v199
	v_add_f32_e32 v123, v123, v129
	v_add_f32_e32 v127, v123, v130
	ds_read_b128 v[123:126], v94 offset:512
	buffer_load_dword v227, off, s[0:3], 0 offset:248
	buffer_load_dword v228, off, s[0:3], 0 offset:252
	;; [unrolled: 1-line block ×10, first 2 shown]
	s_waitcnt vmcnt(36) lgkmcnt(1)
	v_mul_f32_e32 v128, v119, v200
	buffer_load_dword v237, off, s[0:3], 0 offset:288
	buffer_load_dword v238, off, s[0:3], 0 offset:292
	;; [unrolled: 1-line block ×6, first 2 shown]
	v_fmac_f32_e32 v128, v120, v198
	v_add_f32_e32 v127, v127, v128
	v_mul_f32_e32 v128, v121, v195
	v_fmac_f32_e32 v128, v122, v194
	v_add_f32_e32 v127, v127, v128
	s_waitcnt lgkmcnt(0)
	v_mul_f32_e32 v128, v123, v197
	v_fmac_f32_e32 v128, v124, v196
	v_add_f32_e32 v131, v127, v128
	ds_read_b128 v[127:130], v94 offset:528
	buffer_load_dword v243, off, s[0:3], 0 offset:312
	buffer_load_dword v244, off, s[0:3], 0 offset:316
	s_waitcnt vmcnt(40)
	v_mul_f32_e32 v132, v125, v204
	v_fmac_f32_e32 v132, v126, v203
	v_add_f32_e32 v135, v131, v132
	ds_read_b128 v[131:134], v94 offset:544
	buffer_load_dword v245, off, s[0:3], 0 offset:320
	buffer_load_dword v246, off, s[0:3], 0 offset:324
	;; [unrolled: 1-line block ×12, first 2 shown]
	v_mul_f32_e32 v1, v96, v1
	v_fma_f32 v1, v95, v185, -v1
	v_mul_f32_e32 v2, v98, v2
	v_add_f32_e32 v1, 0, v1
	v_fma_f32 v2, v97, v184, -v2
	v_add_f32_e32 v1, v1, v2
	v_mul_f32_e32 v2, v100, v3
	v_fma_f32 v2, v99, v183, -v2
	v_add_f32_e32 v1, v1, v2
	v_mul_f32_e32 v2, v102, v4
	;; [unrolled: 3-line block ×6, first 2 shown]
	v_fma_f32 v2, v109, v193, -v2
	s_waitcnt vmcnt(50) lgkmcnt(1)
	v_mul_f32_e32 v136, v127, v206
	v_add_f32_e32 v1, v1, v2
	v_mul_f32_e32 v2, v112, v179
	v_fmac_f32_e32 v136, v128, v205
	v_fma_f32 v2, v111, v192, -v2
	v_add_f32_e32 v135, v135, v136
	s_waitcnt vmcnt(48)
	v_mul_f32_e32 v136, v129, v208
	v_add_f32_e32 v1, v1, v2
	v_mul_f32_e32 v2, v114, v180
	v_fmac_f32_e32 v136, v130, v207
	v_fma_f32 v2, v113, v191, -v2
	v_add_f32_e32 v10, v135, v136
	s_waitcnt vmcnt(46) lgkmcnt(0)
	v_mul_f32_e32 v135, v131, v210
	v_add_f32_e32 v1, v1, v2
	v_mul_f32_e32 v2, v116, v181
	v_fmac_f32_e32 v135, v132, v209
	v_fma_f32 v2, v115, v190, -v2
	v_add_f32_e32 v10, v10, v135
	ds_read_b128 v[135:138], v94 offset:560
	v_add_f32_e32 v1, v1, v2
	v_mul_f32_e32 v2, v118, v182
	v_fma_f32 v2, v117, v199, -v2
	s_waitcnt vmcnt(44)
	v_mul_f32_e32 v139, v133, v212
	v_add_f32_e32 v1, v1, v2
	v_mul_f32_e32 v2, v120, v200
	v_fmac_f32_e32 v139, v134, v211
	v_fma_f32 v2, v119, v198, -v2
	v_add_f32_e32 v10, v10, v139
	ds_read_b128 v[139:142], v94 offset:576
	v_add_f32_e32 v1, v1, v2
	v_mul_f32_e32 v2, v122, v195
	s_waitcnt vmcnt(42) lgkmcnt(1)
	v_mul_f32_e32 v143, v135, v214
	v_fma_f32 v2, v121, v194, -v2
	v_fmac_f32_e32 v143, v136, v213
	v_add_f32_e32 v1, v1, v2
	v_mul_f32_e32 v2, v124, v197
	v_add_f32_e32 v10, v10, v143
	s_waitcnt vmcnt(40)
	v_mul_f32_e32 v143, v137, v216
	v_fma_f32 v2, v123, v196, -v2
	v_fmac_f32_e32 v143, v138, v215
	v_add_f32_e32 v1, v1, v2
	v_mul_f32_e32 v2, v126, v204
	v_add_f32_e32 v10, v10, v143
	s_waitcnt vmcnt(38) lgkmcnt(0)
	v_mul_f32_e32 v143, v139, v218
	v_fma_f32 v2, v125, v203, -v2
	v_fmac_f32_e32 v143, v140, v217
	v_add_f32_e32 v1, v1, v2
	v_mul_f32_e32 v2, v128, v206
	v_add_f32_e32 v10, v10, v143
	ds_read_b128 v[143:146], v94 offset:592
	v_fma_f32 v2, v127, v205, -v2
	v_add_f32_e32 v1, v1, v2
	v_mul_f32_e32 v2, v130, v208
	s_waitcnt vmcnt(36)
	v_mul_f32_e32 v147, v141, v220
	v_fma_f32 v2, v129, v207, -v2
	v_fmac_f32_e32 v147, v142, v219
	v_add_f32_e32 v1, v1, v2
	v_mul_f32_e32 v2, v132, v210
	v_add_f32_e32 v10, v10, v147
	ds_read_b128 v[147:150], v94 offset:608
	v_fma_f32 v2, v131, v209, -v2
	s_waitcnt vmcnt(34) lgkmcnt(1)
	v_mul_f32_e32 v151, v143, v222
	v_add_f32_e32 v1, v1, v2
	v_mul_f32_e32 v2, v134, v212
	v_fmac_f32_e32 v151, v144, v221
	v_fma_f32 v2, v133, v211, -v2
	v_add_f32_e32 v10, v10, v151
	s_waitcnt vmcnt(33)
	v_mul_f32_e32 v151, v145, v223
	v_add_f32_e32 v1, v1, v2
	v_mul_f32_e32 v2, v136, v214
	s_waitcnt vmcnt(30)
	v_fmac_f32_e32 v151, v146, v226
	v_fma_f32 v2, v135, v213, -v2
	v_add_f32_e32 v10, v10, v151
	s_waitcnt lgkmcnt(0)
	v_mul_f32_e32 v151, v147, v225
	v_add_f32_e32 v1, v1, v2
	v_mul_f32_e32 v2, v138, v216
	v_fmac_f32_e32 v151, v148, v224
	v_fma_f32 v2, v137, v215, -v2
	v_add_f32_e32 v10, v10, v151
	ds_read_b128 v[151:154], v94 offset:624
	v_add_f32_e32 v1, v1, v2
	v_mul_f32_e32 v2, v140, v218
	v_fma_f32 v2, v139, v217, -v2
	s_waitcnt vmcnt(28)
	v_mul_f32_e32 v155, v149, v228
	v_add_f32_e32 v1, v1, v2
	v_mul_f32_e32 v2, v142, v220
	v_fmac_f32_e32 v155, v150, v227
	v_fma_f32 v2, v141, v219, -v2
	v_add_f32_e32 v10, v10, v155
	ds_read_b128 v[155:158], v94 offset:640
	v_add_f32_e32 v1, v1, v2
	v_mul_f32_e32 v2, v144, v222
	s_waitcnt vmcnt(26) lgkmcnt(1)
	v_mul_f32_e32 v159, v151, v230
	v_fma_f32 v2, v143, v221, -v2
	v_fmac_f32_e32 v159, v152, v229
	v_add_f32_e32 v1, v1, v2
	v_mul_f32_e32 v2, v146, v223
	v_add_f32_e32 v10, v10, v159
	s_waitcnt vmcnt(25)
	v_mul_f32_e32 v159, v153, v231
	v_fma_f32 v2, v145, v226, -v2
	s_waitcnt vmcnt(22)
	v_fmac_f32_e32 v159, v154, v234
	v_add_f32_e32 v1, v1, v2
	v_mul_f32_e32 v2, v148, v225
	v_add_f32_e32 v10, v10, v159
	s_waitcnt lgkmcnt(0)
	v_mul_f32_e32 v159, v155, v233
	v_fma_f32 v2, v147, v224, -v2
	v_fmac_f32_e32 v159, v156, v232
	v_add_f32_e32 v1, v1, v2
	v_mul_f32_e32 v2, v150, v228
	v_add_f32_e32 v10, v10, v159
	ds_read_b128 v[159:162], v94 offset:656
	v_fma_f32 v2, v149, v227, -v2
	v_add_f32_e32 v1, v1, v2
	v_mul_f32_e32 v2, v152, v230
	s_waitcnt vmcnt(20)
	v_mul_f32_e32 v163, v157, v236
	v_fma_f32 v2, v151, v229, -v2
	v_fmac_f32_e32 v163, v158, v235
	v_add_f32_e32 v1, v1, v2
	v_mul_f32_e32 v2, v154, v231
	v_add_f32_e32 v10, v10, v163
	ds_read_b128 v[163:166], v94 offset:672
	v_fma_f32 v2, v153, v234, -v2
	s_waitcnt vmcnt(18) lgkmcnt(1)
	v_mul_f32_e32 v167, v159, v238
	v_add_f32_e32 v1, v1, v2
	v_mul_f32_e32 v2, v156, v233
	v_fmac_f32_e32 v167, v160, v237
	v_fma_f32 v2, v155, v232, -v2
	v_add_f32_e32 v10, v10, v167
	s_waitcnt vmcnt(17)
	v_mul_f32_e32 v167, v161, v239
	v_add_f32_e32 v1, v1, v2
	v_mul_f32_e32 v2, v158, v236
	s_waitcnt vmcnt(14)
	v_fmac_f32_e32 v167, v162, v242
	v_fma_f32 v2, v157, v235, -v2
	v_add_f32_e32 v10, v10, v167
	s_waitcnt lgkmcnt(0)
	v_mul_f32_e32 v167, v163, v241
	v_add_f32_e32 v1, v1, v2
	v_mul_f32_e32 v2, v160, v238
	v_fmac_f32_e32 v167, v164, v240
	v_fma_f32 v2, v159, v237, -v2
	v_add_f32_e32 v10, v10, v167
	ds_read_b128 v[167:170], v94 offset:688
	v_add_f32_e32 v1, v1, v2
	v_mul_f32_e32 v2, v162, v239
	v_fma_f32 v2, v161, v242, -v2
	v_add_f32_e32 v1, v1, v2
	v_mul_f32_e32 v2, v164, v241
	s_waitcnt vmcnt(12)
	v_mul_f32_e32 v171, v165, v244
	v_fma_f32 v2, v163, v240, -v2
	v_fmac_f32_e32 v171, v166, v243
	v_add_f32_e32 v1, v1, v2
	v_mul_f32_e32 v2, v166, v244
	v_add_f32_e32 v10, v10, v171
	ds_read_b128 v[171:174], v94 offset:704
	s_waitcnt vmcnt(10) lgkmcnt(1)
	v_mul_f32_e32 v175, v167, v246
	v_fma_f32 v2, v165, v243, -v2
	v_fmac_f32_e32 v175, v168, v245
	v_add_f32_e32 v1, v1, v2
	v_mul_f32_e32 v2, v168, v246
	v_add_f32_e32 v10, v10, v175
	s_waitcnt vmcnt(9)
	v_mul_f32_e32 v175, v169, v247
	v_fma_f32 v2, v167, v245, -v2
	s_waitcnt vmcnt(6)
	v_fmac_f32_e32 v175, v170, v250
	v_add_f32_e32 v1, v1, v2
	v_mul_f32_e32 v2, v170, v247
	v_add_f32_e32 v10, v10, v175
	ds_read_b128 v[175:178], v94 offset:720
	v_fma_f32 v2, v169, v250, -v2
	v_add_f32_e32 v1, v1, v2
	s_waitcnt lgkmcnt(1)
	v_mul_f32_e32 v2, v172, v249
	v_mul_f32_e32 v11, v171, v249
	v_fma_f32 v2, v171, v248, -v2
	v_fmac_f32_e32 v11, v172, v248
	v_add_f32_e32 v1, v1, v2
	s_waitcnt vmcnt(4)
	v_mul_f32_e32 v2, v174, v252
	v_add_f32_e32 v10, v10, v11
	v_mul_f32_e32 v11, v173, v252
	v_fma_f32 v2, v173, v251, -v2
	v_fmac_f32_e32 v11, v174, v251
	v_add_f32_e32 v1, v1, v2
	s_waitcnt vmcnt(3) lgkmcnt(0)
	v_mul_f32_e32 v2, v176, v253
	v_add_f32_e32 v10, v10, v11
	v_mul_f32_e32 v11, v175, v253
	s_waitcnt vmcnt(0)
	v_fma_f32 v2, v175, v9, -v2
	v_fmac_f32_e32 v11, v176, v9
	v_add_f32_e32 v1, v1, v2
	v_mul_f32_e32 v2, v178, v255
	v_add_f32_e32 v10, v10, v11
	v_mul_f32_e32 v11, v177, v255
	v_fma_f32 v2, v177, v254, -v2
	v_fmac_f32_e32 v11, v178, v254
	v_add_f32_e32 v1, v1, v2
	v_add_f32_e32 v10, v10, v11
	v_sub_f32_e32 v1, v201, v1
	v_sub_f32_e32 v2, v202, v10
	buffer_store_dword v1, off, s[0:3], 0 offset:24
	buffer_store_dword v2, off, s[0:3], 0 offset:28
	s_and_saveexec_b64 s[4:5], vcc
	s_cbranch_execz .LBB45_285
; %bb.284:
	buffer_load_dword v94, off, s[0:3], 0 offset:16
	buffer_load_dword v95, off, s[0:3], 0 offset:20
	v_mov_b32_e32 v1, 0
	buffer_store_dword v1, off, s[0:3], 0 offset:16
	buffer_store_dword v1, off, s[0:3], 0 offset:20
	s_waitcnt vmcnt(2)
	ds_write_b64 v93, v[94:95]
.LBB45_285:
	s_or_b64 exec, exec, s[4:5]
	s_waitcnt lgkmcnt(0)
	; wave barrier
	buffer_load_dword v103, off, s[0:3], 0 offset:28
	buffer_load_dword v102, off, s[0:3], 0 offset:36
	;; [unrolled: 1-line block ×48, first 2 shown]
	v_mov_b32_e32 v94, 0
	ds_read2_b64 v[109:112], v94 offset0:49 offset1:50
	ds_read2_b64 v[113:116], v94 offset0:51 offset1:52
	;; [unrolled: 1-line block ×6, first 2 shown]
	buffer_load_dword v217, off, s[0:3], 0 offset:208
	buffer_load_dword v218, off, s[0:3], 0 offset:212
	v_cmp_lt_u32_e32 vcc, 1, v0
	s_waitcnt vmcnt(49) lgkmcnt(5)
	v_mul_f32_e32 v133, v109, v103
	s_waitcnt vmcnt(48)
	v_mul_f32_e32 v134, v111, v102
	s_waitcnt vmcnt(47) lgkmcnt(4)
	v_mul_f32_e32 v135, v113, v101
	s_waitcnt vmcnt(46)
	v_mul_f32_e32 v136, v115, v100
	;; [unrolled: 4-line block ×6, first 2 shown]
	s_waitcnt vmcnt(37)
	v_fmac_f32_e32 v135, v114, v1
	s_waitcnt vmcnt(36)
	v_fmac_f32_e32 v134, v112, v2
	;; [unrolled: 2-line block ×3, first 2 shown]
	v_add_f32_e32 v133, 0, v133
	v_add_f32_e32 v133, v133, v134
	;; [unrolled: 1-line block ×3, first 2 shown]
	s_waitcnt vmcnt(31)
	v_fmac_f32_e32 v136, v116, v7
	v_fmac_f32_e32 v137, v118, v6
	v_add_f32_e32 v133, v133, v136
	v_fmac_f32_e32 v138, v120, v5
	v_add_f32_e32 v133, v133, v137
	;; [unrolled: 2-line block ×3, first 2 shown]
	s_waitcnt vmcnt(27)
	v_fmac_f32_e32 v140, v124, v11
	v_add_f32_e32 v133, v133, v139
	v_fmac_f32_e32 v141, v126, v10
	v_add_f32_e32 v133, v133, v140
	;; [unrolled: 2-line block ×4, first 2 shown]
	v_add_f32_e32 v137, v133, v143
	ds_read2_b64 v[133:136], v94 offset0:61 offset1:62
	buffer_load_dword v219, off, s[0:3], 0 offset:216
	buffer_load_dword v220, off, s[0:3], 0 offset:220
	;; [unrolled: 1-line block ×6, first 2 shown]
	s_waitcnt vmcnt(28)
	v_fmac_f32_e32 v144, v132, v198
	v_add_f32_e32 v141, v137, v144
	ds_read2_b64 v[137:140], v94 offset0:63 offset1:64
	buffer_load_dword v225, off, s[0:3], 0 offset:240
	buffer_load_dword v226, off, s[0:3], 0 offset:244
	;; [unrolled: 1-line block ×8, first 2 shown]
	s_waitcnt vmcnt(35) lgkmcnt(1)
	v_mul_f32_e32 v142, v133, v199
	buffer_load_dword v233, off, s[0:3], 0 offset:272
	buffer_load_dword v234, off, s[0:3], 0 offset:276
	v_fmac_f32_e32 v142, v134, v197
	v_add_f32_e32 v141, v141, v142
	s_waitcnt vmcnt(36)
	v_mul_f32_e32 v142, v135, v200
	v_fmac_f32_e32 v142, v136, v196
	v_add_f32_e32 v141, v141, v142
	s_waitcnt lgkmcnt(0)
	v_mul_f32_e32 v142, v137, v195
	v_fmac_f32_e32 v142, v138, v12
	v_add_f32_e32 v145, v141, v142
	ds_read2_b64 v[141:144], v94 offset0:65 offset1:66
	buffer_load_dword v235, off, s[0:3], 0 offset:280
	buffer_load_dword v236, off, s[0:3], 0 offset:284
	;; [unrolled: 1-line block ×6, first 2 shown]
	s_waitcnt vmcnt(38)
	v_mul_f32_e32 v146, v139, v202
	v_fmac_f32_e32 v146, v140, v201
	v_add_f32_e32 v149, v145, v146
	ds_read2_b64 v[145:148], v94 offset0:67 offset1:68
	buffer_load_dword v241, off, s[0:3], 0 offset:304
	buffer_load_dword v242, off, s[0:3], 0 offset:308
	;; [unrolled: 1-line block ×16, first 2 shown]
	s_waitcnt vmcnt(52) lgkmcnt(1)
	v_mul_f32_e32 v150, v141, v204
	v_fmac_f32_e32 v150, v142, v203
	v_add_f32_e32 v149, v149, v150
	s_waitcnt vmcnt(50)
	v_mul_f32_e32 v150, v143, v206
	v_fmac_f32_e32 v150, v144, v205
	v_add_f32_e32 v149, v149, v150
	s_waitcnt vmcnt(48) lgkmcnt(0)
	v_mul_f32_e32 v150, v145, v208
	v_fmac_f32_e32 v150, v146, v207
	v_add_f32_e32 v153, v149, v150
	ds_read2_b64 v[149:152], v94 offset0:69 offset1:70
	s_waitcnt vmcnt(46)
	v_mul_f32_e32 v14, v147, v210
	v_fmac_f32_e32 v14, v148, v209
	v_add_f32_e32 v14, v153, v14
	ds_read2_b64 v[153:156], v94 offset0:71 offset1:72
	s_waitcnt vmcnt(44) lgkmcnt(1)
	v_mul_f32_e32 v157, v149, v212
	v_fmac_f32_e32 v157, v150, v211
	v_add_f32_e32 v14, v14, v157
	s_waitcnt vmcnt(42)
	v_mul_f32_e32 v157, v151, v214
	v_fmac_f32_e32 v157, v152, v213
	v_add_f32_e32 v14, v14, v157
	s_waitcnt vmcnt(40) lgkmcnt(0)
	v_mul_f32_e32 v157, v153, v216
	v_fmac_f32_e32 v157, v154, v215
	v_add_f32_e32 v14, v14, v157
	ds_read2_b64 v[157:160], v94 offset0:73 offset1:74
	s_waitcnt vmcnt(38)
	v_mul_f32_e32 v161, v155, v218
	v_fmac_f32_e32 v161, v156, v217
	v_add_f32_e32 v14, v14, v161
	ds_read2_b64 v[161:164], v94 offset0:75 offset1:76
	s_waitcnt vmcnt(36) lgkmcnt(1)
	v_mul_f32_e32 v165, v157, v220
	v_fmac_f32_e32 v165, v158, v219
	v_add_f32_e32 v14, v14, v165
	s_waitcnt vmcnt(35)
	v_mul_f32_e32 v165, v159, v221
	s_waitcnt vmcnt(32)
	v_fmac_f32_e32 v165, v160, v224
	v_add_f32_e32 v14, v14, v165
	s_waitcnt lgkmcnt(0)
	v_mul_f32_e32 v165, v161, v223
	v_fmac_f32_e32 v165, v162, v222
	v_add_f32_e32 v14, v14, v165
	ds_read2_b64 v[165:168], v94 offset0:77 offset1:78
	s_waitcnt vmcnt(30)
	v_mul_f32_e32 v169, v163, v226
	v_fmac_f32_e32 v169, v164, v225
	v_add_f32_e32 v14, v14, v169
	ds_read2_b64 v[169:172], v94 offset0:79 offset1:80
	s_waitcnt vmcnt(28) lgkmcnt(1)
	v_mul_f32_e32 v173, v165, v228
	v_fmac_f32_e32 v173, v166, v227
	v_add_f32_e32 v14, v14, v173
	s_waitcnt vmcnt(27)
	v_mul_f32_e32 v173, v167, v229
	s_waitcnt vmcnt(24)
	v_fmac_f32_e32 v173, v168, v232
	v_add_f32_e32 v14, v14, v173
	s_waitcnt lgkmcnt(0)
	;; [unrolled: 19-line block ×4, first 2 shown]
	v_mul_f32_e32 v189, v185, v247
	v_fmac_f32_e32 v189, v186, v246
	v_add_f32_e32 v14, v14, v189
	ds_read2_b64 v[189:192], v94 offset0:89 offset1:90
	s_waitcnt vmcnt(6)
	v_mul_f32_e32 v193, v187, v250
	v_fmac_f32_e32 v193, v188, v249
	v_add_f32_e32 v14, v14, v193
	ds_read_b64 v[193:194], v94 offset:728
	s_waitcnt vmcnt(4) lgkmcnt(1)
	v_mul_f32_e32 v15, v189, v252
	v_fmac_f32_e32 v15, v190, v251
	v_add_f32_e32 v14, v14, v15
	s_waitcnt vmcnt(3)
	v_mul_f32_e32 v15, v191, v253
	s_waitcnt vmcnt(0)
	v_fmac_f32_e32 v15, v192, v13
	v_add_f32_e32 v14, v14, v15
	s_waitcnt lgkmcnt(0)
	v_mul_f32_e32 v15, v193, v255
	v_fmac_f32_e32 v15, v194, v254
	v_add_f32_e32 v14, v14, v15
	v_mul_f32_e32 v15, v110, v103
	v_fma_f32 v3, v109, v3, -v15
	v_mul_f32_e32 v15, v112, v102
	v_add_f32_e32 v3, 0, v3
	v_fma_f32 v2, v111, v2, -v15
	v_add_f32_e32 v2, v3, v2
	v_mul_f32_e32 v3, v114, v101
	v_fma_f32 v1, v113, v1, -v3
	v_add_f32_e32 v1, v2, v1
	v_mul_f32_e32 v2, v116, v100
	;; [unrolled: 3-line block ×41, first 2 shown]
	v_fma_f32 v2, v193, v254, -v2
	v_add_f32_e32 v1, v1, v2
	v_sub_f32_e32 v1, v95, v1
	v_sub_f32_e32 v2, v96, v14
	buffer_store_dword v1, off, s[0:3], 0 offset:16
	buffer_store_dword v2, off, s[0:3], 0 offset:20
	s_and_saveexec_b64 s[4:5], vcc
	s_cbranch_execz .LBB45_287
; %bb.286:
	buffer_load_dword v95, off, s[0:3], 0 offset:8
	buffer_load_dword v96, off, s[0:3], 0 offset:12
	s_waitcnt vmcnt(0)
	ds_write_b64 v93, v[95:96]
	buffer_store_dword v94, off, s[0:3], 0 offset:8
	buffer_store_dword v94, off, s[0:3], 0 offset:12
.LBB45_287:
	s_or_b64 exec, exec, s[4:5]
	s_waitcnt lgkmcnt(0)
	; wave barrier
	buffer_load_dword v103, off, s[0:3], 0 offset:20
	buffer_load_dword v102, off, s[0:3], 0 offset:28
	;; [unrolled: 1-line block ×32, first 2 shown]
	ds_read_b128 v[109:112], v94 offset:384
	ds_read_b128 v[113:116], v94 offset:400
	;; [unrolled: 1-line block ×4, first 2 shown]
	buffer_load_dword v199, off, s[0:3], 0 offset:136
	buffer_load_dword v200, off, s[0:3], 0 offset:140
	ds_read_b128 v[125:128], v94 offset:448
	ds_read_b128 v[129:132], v94 offset:464
	;; [unrolled: 1-line block ×3, first 2 shown]
	buffer_load_dword v201, off, s[0:3], 0 offset:144
	buffer_load_dword v202, off, s[0:3], 0 offset:148
	;; [unrolled: 1-line block ×16, first 2 shown]
	v_cmp_ne_u32_e32 vcc, 0, v0
	s_waitcnt vmcnt(49) lgkmcnt(6)
	v_mul_f32_e32 v137, v109, v103
	s_waitcnt vmcnt(48)
	v_mul_f32_e32 v138, v111, v102
	s_waitcnt vmcnt(47) lgkmcnt(5)
	v_mul_f32_e32 v139, v113, v101
	s_waitcnt vmcnt(46)
	v_mul_f32_e32 v140, v115, v100
	;; [unrolled: 4-line block ×6, first 2 shown]
	s_waitcnt vmcnt(37)
	v_fmac_f32_e32 v139, v114, v1
	s_waitcnt vmcnt(36)
	v_fmac_f32_e32 v138, v112, v2
	;; [unrolled: 2-line block ×3, first 2 shown]
	v_add_f32_e32 v137, 0, v137
	v_add_f32_e32 v137, v137, v138
	;; [unrolled: 1-line block ×3, first 2 shown]
	s_waitcnt vmcnt(31)
	v_fmac_f32_e32 v140, v116, v7
	v_fmac_f32_e32 v141, v118, v6
	v_add_f32_e32 v137, v137, v140
	v_fmac_f32_e32 v142, v120, v5
	v_add_f32_e32 v137, v137, v141
	;; [unrolled: 2-line block ×3, first 2 shown]
	s_waitcnt vmcnt(27)
	v_fmac_f32_e32 v144, v124, v11
	v_add_f32_e32 v137, v137, v143
	v_fmac_f32_e32 v145, v126, v10
	v_add_f32_e32 v137, v137, v144
	;; [unrolled: 2-line block ×4, first 2 shown]
	s_waitcnt vmcnt(23)
	v_fmac_f32_e32 v148, v132, v15
	v_add_f32_e32 v137, v137, v147
	v_add_f32_e32 v141, v137, v148
	ds_read_b128 v[137:140], v94 offset:496
	buffer_load_dword v217, off, s[0:3], 0 offset:208
	buffer_load_dword v218, off, s[0:3], 0 offset:212
	;; [unrolled: 1-line block ×14, first 2 shown]
	s_waitcnt vmcnt(36) lgkmcnt(1)
	v_mul_f32_e32 v142, v133, v16
	buffer_load_dword v231, off, s[0:3], 0 offset:264
	buffer_load_dword v232, off, s[0:3], 0 offset:268
	v_fmac_f32_e32 v142, v134, v14
	v_add_f32_e32 v141, v141, v142
	s_waitcnt vmcnt(37)
	v_mul_f32_e32 v142, v135, v197
	v_fmac_f32_e32 v142, v136, v13
	v_add_f32_e32 v141, v141, v142
	s_waitcnt vmcnt(36) lgkmcnt(0)
	v_mul_f32_e32 v142, v137, v198
	v_fmac_f32_e32 v142, v138, v12
	v_add_f32_e32 v145, v141, v142
	ds_read_b128 v[141:144], v94 offset:512
	buffer_load_dword v233, off, s[0:3], 0 offset:272
	buffer_load_dword v234, off, s[0:3], 0 offset:276
	;; [unrolled: 1-line block ×6, first 2 shown]
	s_waitcnt vmcnt(38)
	v_mul_f32_e32 v146, v139, v200
	v_fmac_f32_e32 v146, v140, v199
	v_add_f32_e32 v149, v145, v146
	ds_read_b128 v[145:148], v94 offset:528
	buffer_load_dword v239, off, s[0:3], 0 offset:296
	buffer_load_dword v240, off, s[0:3], 0 offset:300
	;; [unrolled: 1-line block ×10, first 2 shown]
	s_waitcnt vmcnt(46) lgkmcnt(1)
	v_mul_f32_e32 v150, v141, v202
	v_fmac_f32_e32 v150, v142, v201
	v_add_f32_e32 v149, v149, v150
	s_waitcnt vmcnt(44)
	v_mul_f32_e32 v150, v143, v204
	v_fmac_f32_e32 v150, v144, v203
	v_add_f32_e32 v149, v149, v150
	s_waitcnt vmcnt(42) lgkmcnt(0)
	v_mul_f32_e32 v150, v145, v206
	buffer_load_dword v249, off, s[0:3], 0 offset:336
	buffer_load_dword v250, off, s[0:3], 0 offset:340
	;; [unrolled: 1-line block ×6, first 2 shown]
	v_fmac_f32_e32 v150, v146, v205
	s_waitcnt vmcnt(46)
	v_mul_f32_e32 v154, v147, v208
	v_add_f32_e32 v153, v149, v150
	v_fmac_f32_e32 v154, v148, v207
	ds_read_b128 v[149:152], v94 offset:544
	v_add_f32_e32 v157, v153, v154
	ds_read_b128 v[153:156], v94 offset:560
	buffer_load_dword v255, off, s[0:3], 0 offset:360
	buffer_load_dword v17, off, s[0:3], 0 offset:364
	s_waitcnt vmcnt(46) lgkmcnt(1)
	v_mul_f32_e32 v18, v149, v210
	v_fmac_f32_e32 v18, v150, v209
	v_add_f32_e32 v18, v157, v18
	s_waitcnt vmcnt(44)
	v_mul_f32_e32 v157, v151, v212
	v_fmac_f32_e32 v157, v152, v211
	v_add_f32_e32 v18, v18, v157
	s_waitcnt vmcnt(42) lgkmcnt(0)
	v_mul_f32_e32 v157, v153, v214
	v_fmac_f32_e32 v157, v154, v213
	v_add_f32_e32 v18, v18, v157
	ds_read_b128 v[157:160], v94 offset:576
	s_waitcnt vmcnt(40)
	v_mul_f32_e32 v161, v155, v216
	v_fmac_f32_e32 v161, v156, v215
	v_add_f32_e32 v18, v18, v161
	ds_read_b128 v[161:164], v94 offset:592
	s_waitcnt vmcnt(38) lgkmcnt(1)
	v_mul_f32_e32 v165, v157, v218
	v_fmac_f32_e32 v165, v158, v217
	v_add_f32_e32 v18, v18, v165
	s_waitcnt vmcnt(37)
	v_mul_f32_e32 v165, v159, v219
	s_waitcnt vmcnt(34)
	v_fmac_f32_e32 v165, v160, v222
	v_add_f32_e32 v18, v18, v165
	s_waitcnt lgkmcnt(0)
	v_mul_f32_e32 v165, v161, v221
	v_fmac_f32_e32 v165, v162, v220
	v_add_f32_e32 v18, v18, v165
	ds_read_b128 v[165:168], v94 offset:608
	s_waitcnt vmcnt(32)
	v_mul_f32_e32 v169, v163, v224
	v_fmac_f32_e32 v169, v164, v223
	v_add_f32_e32 v18, v18, v169
	ds_read_b128 v[169:172], v94 offset:624
	s_waitcnt vmcnt(30) lgkmcnt(1)
	v_mul_f32_e32 v173, v165, v226
	v_fmac_f32_e32 v173, v166, v225
	v_add_f32_e32 v18, v18, v173
	s_waitcnt vmcnt(29)
	v_mul_f32_e32 v173, v167, v227
	s_waitcnt vmcnt(26)
	v_fmac_f32_e32 v173, v168, v230
	v_add_f32_e32 v18, v18, v173
	s_waitcnt lgkmcnt(0)
	v_mul_f32_e32 v173, v169, v229
	v_fmac_f32_e32 v173, v170, v228
	v_add_f32_e32 v18, v18, v173
	ds_read_b128 v[173:176], v94 offset:640
	s_waitcnt vmcnt(24)
	v_mul_f32_e32 v177, v171, v232
	v_fmac_f32_e32 v177, v172, v231
	v_add_f32_e32 v18, v18, v177
	ds_read_b128 v[177:180], v94 offset:656
	s_waitcnt vmcnt(22) lgkmcnt(1)
	v_mul_f32_e32 v181, v173, v234
	v_fmac_f32_e32 v181, v174, v233
	v_add_f32_e32 v18, v18, v181
	s_waitcnt vmcnt(21)
	v_mul_f32_e32 v181, v175, v235
	s_waitcnt vmcnt(18)
	v_fmac_f32_e32 v181, v176, v238
	v_add_f32_e32 v18, v18, v181
	s_waitcnt lgkmcnt(0)
	v_mul_f32_e32 v181, v177, v237
	v_fmac_f32_e32 v181, v178, v236
	v_add_f32_e32 v18, v18, v181
	ds_read_b128 v[181:184], v94 offset:672
	s_waitcnt vmcnt(16)
	v_mul_f32_e32 v185, v179, v240
	v_fmac_f32_e32 v185, v180, v239
	v_add_f32_e32 v18, v18, v185
	ds_read_b128 v[185:188], v94 offset:688
	s_waitcnt vmcnt(14) lgkmcnt(1)
	v_mul_f32_e32 v189, v181, v242
	v_fmac_f32_e32 v189, v182, v241
	v_add_f32_e32 v18, v18, v189
	s_waitcnt vmcnt(13)
	v_mul_f32_e32 v189, v183, v243
	s_waitcnt vmcnt(10)
	v_fmac_f32_e32 v189, v184, v246
	v_add_f32_e32 v18, v18, v189
	s_waitcnt lgkmcnt(0)
	v_mul_f32_e32 v189, v185, v245
	v_fmac_f32_e32 v189, v186, v244
	v_add_f32_e32 v18, v18, v189
	ds_read_b128 v[189:192], v94 offset:704
	s_waitcnt vmcnt(8)
	v_mul_f32_e32 v193, v187, v248
	v_fmac_f32_e32 v193, v188, v247
	v_add_f32_e32 v18, v18, v193
	ds_read_b128 v[193:196], v94 offset:720
	s_waitcnt vmcnt(6) lgkmcnt(1)
	v_mul_f32_e32 v94, v189, v250
	v_fmac_f32_e32 v94, v190, v249
	v_add_f32_e32 v18, v18, v94
	s_waitcnt vmcnt(5)
	v_mul_f32_e32 v94, v191, v251
	s_waitcnt vmcnt(2)
	v_fmac_f32_e32 v94, v192, v254
	v_add_f32_e32 v18, v18, v94
	s_waitcnt lgkmcnt(0)
	v_mul_f32_e32 v94, v193, v253
	v_fmac_f32_e32 v94, v194, v252
	v_add_f32_e32 v18, v18, v94
	s_waitcnt vmcnt(0)
	v_mul_f32_e32 v94, v195, v17
	v_fmac_f32_e32 v94, v196, v255
	v_add_f32_e32 v18, v18, v94
	v_mul_f32_e32 v94, v110, v103
	v_fma_f32 v3, v109, v3, -v94
	v_mul_f32_e32 v94, v112, v102
	v_add_f32_e32 v3, 0, v3
	v_fma_f32 v2, v111, v2, -v94
	v_add_f32_e32 v2, v3, v2
	v_mul_f32_e32 v3, v114, v101
	v_fma_f32 v1, v113, v1, -v3
	v_add_f32_e32 v1, v2, v1
	v_mul_f32_e32 v2, v116, v100
	;; [unrolled: 3-line block ×42, first 2 shown]
	v_fma_f32 v2, v195, v255, -v2
	v_add_f32_e32 v1, v1, v2
	v_sub_f32_e32 v1, v95, v1
	v_sub_f32_e32 v2, v96, v18
	buffer_store_dword v1, off, s[0:3], 0 offset:8
	buffer_store_dword v2, off, s[0:3], 0 offset:12
	s_and_saveexec_b64 s[4:5], vcc
	s_cbranch_execz .LBB45_289
; %bb.288:
	buffer_load_dword v94, off, s[0:3], 0
	buffer_load_dword v95, off, s[0:3], 0 offset:4
	v_mov_b32_e32 v0, 0
	buffer_store_dword v0, off, s[0:3], 0
	buffer_store_dword v0, off, s[0:3], 0 offset:4
	s_waitcnt vmcnt(2)
	ds_write_b64 v93, v[94:95]
.LBB45_289:
	s_or_b64 exec, exec, s[4:5]
	s_waitcnt lgkmcnt(0)
	; wave barrier
	buffer_load_dword v1, off, s[0:3], 0 offset:12
	buffer_load_dword v2, off, s[0:3], 0 offset:20
	buffer_load_dword v3, off, s[0:3], 0 offset:28
	buffer_load_dword v4, off, s[0:3], 0 offset:36
	buffer_load_dword v5, off, s[0:3], 0 offset:44
	buffer_load_dword v6, off, s[0:3], 0 offset:52
	buffer_load_dword v7, off, s[0:3], 0 offset:60
	buffer_load_dword v8, off, s[0:3], 0 offset:68
	buffer_load_dword v9, off, s[0:3], 0 offset:76
	buffer_load_dword v10, off, s[0:3], 0 offset:84
	buffer_load_dword v11, off, s[0:3], 0 offset:92
	buffer_load_dword v12, off, s[0:3], 0 offset:100
	buffer_load_dword v13, off, s[0:3], 0 offset:24
	buffer_load_dword v14, off, s[0:3], 0 offset:16
	buffer_load_dword v15, off, s[0:3], 0 offset:8
	buffer_load_dword v16, off, s[0:3], 0 offset:56
	buffer_load_dword v17, off, s[0:3], 0 offset:48
	buffer_load_dword v18, off, s[0:3], 0 offset:40
	buffer_load_dword v185, off, s[0:3], 0 offset:32
	buffer_load_dword v186, off, s[0:3], 0 offset:88
	buffer_load_dword v187, off, s[0:3], 0 offset:80
	buffer_load_dword v188, off, s[0:3], 0 offset:72
	buffer_load_dword v189, off, s[0:3], 0 offset:64
	buffer_load_dword v190, off, s[0:3], 0 offset:120
	buffer_load_dword v191, off, s[0:3], 0 offset:112
	buffer_load_dword v192, off, s[0:3], 0 offset:104
	buffer_load_dword v193, off, s[0:3], 0 offset:96
	buffer_load_dword v194, off, s[0:3], 0 offset:108
	buffer_load_dword v195, off, s[0:3], 0 offset:116
	buffer_load_dword v196, off, s[0:3], 0 offset:124
	buffer_load_dword v93, off, s[0:3], 0
	buffer_load_dword v94, off, s[0:3], 0 offset:4
	buffer_load_dword v197, off, s[0:3], 0 offset:128
	;; [unrolled: 1-line block ×17, first 2 shown]
	v_mov_b32_e32 v0, 0
	ds_read2_b64 v[95:98], v0 offset0:47 offset1:48
	ds_read2_b64 v[99:102], v0 offset0:49 offset1:50
	;; [unrolled: 1-line block ×7, first 2 shown]
	s_and_b64 vcc, exec, s[22:23]
	s_waitcnt vmcnt(47) lgkmcnt(6)
	v_mul_f32_e32 v123, v95, v1
	s_waitcnt vmcnt(46)
	v_mul_f32_e32 v124, v97, v2
	s_waitcnt vmcnt(45) lgkmcnt(5)
	v_mul_f32_e32 v125, v99, v3
	s_waitcnt vmcnt(44)
	v_mul_f32_e32 v126, v101, v4
	;; [unrolled: 4-line block ×6, first 2 shown]
	s_waitcnt vmcnt(35)
	v_fmac_f32_e32 v125, v100, v13
	s_waitcnt vmcnt(34)
	v_fmac_f32_e32 v124, v98, v14
	;; [unrolled: 2-line block ×3, first 2 shown]
	v_add_f32_e32 v123, 0, v123
	v_add_f32_e32 v123, v123, v124
	;; [unrolled: 1-line block ×3, first 2 shown]
	s_waitcnt vmcnt(29)
	v_fmac_f32_e32 v126, v102, v185
	v_fmac_f32_e32 v127, v104, v18
	v_add_f32_e32 v123, v123, v126
	v_fmac_f32_e32 v128, v106, v17
	v_add_f32_e32 v123, v123, v127
	;; [unrolled: 2-line block ×3, first 2 shown]
	s_waitcnt vmcnt(25)
	v_fmac_f32_e32 v130, v110, v189
	v_add_f32_e32 v123, v123, v129
	v_fmac_f32_e32 v131, v112, v188
	v_add_f32_e32 v123, v123, v130
	;; [unrolled: 2-line block ×4, first 2 shown]
	s_waitcnt vmcnt(21)
	v_fmac_f32_e32 v134, v118, v193
	v_add_f32_e32 v123, v123, v133
	v_add_f32_e32 v127, v123, v134
	ds_read2_b64 v[123:126], v0 offset0:61 offset1:62
	buffer_load_dword v213, off, s[0:3], 0 offset:192
	buffer_load_dword v214, off, s[0:3], 0 offset:196
	;; [unrolled: 1-line block ×10, first 2 shown]
	s_waitcnt vmcnt(30) lgkmcnt(1)
	v_mul_f32_e32 v128, v119, v194
	v_fmac_f32_e32 v128, v120, v192
	buffer_load_dword v223, off, s[0:3], 0 offset:232
	buffer_load_dword v224, off, s[0:3], 0 offset:236
	;; [unrolled: 1-line block ×6, first 2 shown]
	v_add_f32_e32 v127, v127, v128
	s_waitcnt vmcnt(35)
	v_mul_f32_e32 v128, v121, v195
	v_fmac_f32_e32 v128, v122, v191
	v_add_f32_e32 v127, v127, v128
	s_waitcnt vmcnt(34) lgkmcnt(0)
	v_mul_f32_e32 v128, v123, v196
	v_fmac_f32_e32 v128, v124, v190
	v_add_f32_e32 v131, v127, v128
	ds_read2_b64 v[127:130], v0 offset0:63 offset1:64
	buffer_load_dword v229, off, s[0:3], 0 offset:256
	buffer_load_dword v230, off, s[0:3], 0 offset:260
	s_waitcnt vmcnt(32)
	v_mul_f32_e32 v132, v125, v198
	v_fmac_f32_e32 v132, v126, v197
	v_add_f32_e32 v135, v131, v132
	ds_read2_b64 v[131:134], v0 offset0:65 offset1:66
	buffer_load_dword v231, off, s[0:3], 0 offset:264
	buffer_load_dword v232, off, s[0:3], 0 offset:268
	buffer_load_dword v233, off, s[0:3], 0 offset:276
	buffer_load_dword v234, off, s[0:3], 0 offset:280
	buffer_load_dword v235, off, s[0:3], 0 offset:284
	buffer_load_dword v236, off, s[0:3], 0 offset:272
	buffer_load_dword v237, off, s[0:3], 0 offset:288
	buffer_load_dword v238, off, s[0:3], 0 offset:292
	buffer_load_dword v239, off, s[0:3], 0 offset:296
	buffer_load_dword v240, off, s[0:3], 0 offset:300
	buffer_load_dword v241, off, s[0:3], 0 offset:308
	buffer_load_dword v242, off, s[0:3], 0 offset:312
	buffer_load_dword v243, off, s[0:3], 0 offset:316
	buffer_load_dword v244, off, s[0:3], 0 offset:304
	s_waitcnt vmcnt(44) lgkmcnt(1)
	v_mul_f32_e32 v136, v127, v200
	v_fmac_f32_e32 v136, v128, v199
	buffer_load_dword v245, off, s[0:3], 0 offset:320
	buffer_load_dword v246, off, s[0:3], 0 offset:324
	v_add_f32_e32 v135, v135, v136
	s_waitcnt vmcnt(44)
	v_mul_f32_e32 v136, v129, v202
	v_fmac_f32_e32 v136, v130, v201
	v_add_f32_e32 v135, v135, v136
	s_waitcnt vmcnt(42) lgkmcnt(0)
	v_mul_f32_e32 v136, v131, v204
	v_fmac_f32_e32 v136, v132, v203
	v_mul_f32_e32 v1, v96, v1
	v_add_f32_e32 v139, v135, v136
	ds_read2_b64 v[135:138], v0 offset0:67 offset1:68
	buffer_load_dword v247, off, s[0:3], 0 offset:328
	buffer_load_dword v248, off, s[0:3], 0 offset:332
	;; [unrolled: 1-line block ×6, first 2 shown]
	v_fma_f32 v1, v95, v15, -v1
	v_mul_f32_e32 v2, v98, v2
	v_add_f32_e32 v1, 0, v1
	v_fma_f32 v2, v97, v14, -v2
	v_add_f32_e32 v1, v1, v2
	v_mul_f32_e32 v2, v100, v3
	s_waitcnt vmcnt(46)
	v_mul_f32_e32 v140, v133, v206
	v_fma_f32 v2, v99, v13, -v2
	v_fmac_f32_e32 v140, v134, v205
	v_add_f32_e32 v1, v1, v2
	v_mul_f32_e32 v2, v102, v4
	v_add_f32_e32 v143, v139, v140
	ds_read2_b64 v[139:142], v0 offset0:69 offset1:70
	buffer_load_dword v253, off, s[0:3], 0 offset:356
	buffer_load_dword v254, off, s[0:3], 0 offset:360
	;; [unrolled: 1-line block ×4, first 2 shown]
	v_fma_f32 v2, v101, v185, -v2
	v_add_f32_e32 v1, v1, v2
	v_mul_f32_e32 v2, v104, v5
	v_fma_f32 v2, v103, v18, -v2
	v_add_f32_e32 v1, v1, v2
	v_mul_f32_e32 v2, v106, v6
	;; [unrolled: 3-line block ×8, first 2 shown]
	v_fma_f32 v2, v117, v193, -v2
	s_waitcnt vmcnt(48) lgkmcnt(1)
	v_mul_f32_e32 v144, v135, v208
	v_add_f32_e32 v1, v1, v2
	v_mul_f32_e32 v2, v120, v194
	v_fmac_f32_e32 v144, v136, v207
	v_fma_f32 v2, v119, v192, -v2
	v_add_f32_e32 v20, v143, v144
	s_waitcnt vmcnt(46)
	v_mul_f32_e32 v143, v137, v210
	v_add_f32_e32 v1, v1, v2
	v_mul_f32_e32 v2, v122, v195
	v_fmac_f32_e32 v143, v138, v209
	v_fma_f32 v2, v121, v191, -v2
	v_add_f32_e32 v20, v20, v143
	s_waitcnt vmcnt(44) lgkmcnt(0)
	v_mul_f32_e32 v143, v139, v212
	v_add_f32_e32 v1, v1, v2
	v_mul_f32_e32 v2, v124, v196
	v_fmac_f32_e32 v143, v140, v211
	v_fma_f32 v2, v123, v190, -v2
	v_add_f32_e32 v20, v20, v143
	ds_read2_b64 v[143:146], v0 offset0:71 offset1:72
	v_add_f32_e32 v1, v1, v2
	v_mul_f32_e32 v2, v126, v198
	v_fma_f32 v2, v125, v197, -v2
	s_waitcnt vmcnt(42)
	v_mul_f32_e32 v147, v141, v214
	v_add_f32_e32 v1, v1, v2
	v_mul_f32_e32 v2, v128, v200
	v_fmac_f32_e32 v147, v142, v213
	v_fma_f32 v2, v127, v199, -v2
	v_add_f32_e32 v20, v20, v147
	ds_read2_b64 v[147:150], v0 offset0:73 offset1:74
	v_add_f32_e32 v1, v1, v2
	v_mul_f32_e32 v2, v130, v202
	s_waitcnt vmcnt(40) lgkmcnt(1)
	v_mul_f32_e32 v151, v143, v216
	v_fma_f32 v2, v129, v201, -v2
	v_fmac_f32_e32 v151, v144, v215
	v_add_f32_e32 v1, v1, v2
	v_mul_f32_e32 v2, v132, v204
	v_add_f32_e32 v20, v20, v151
	s_waitcnt vmcnt(39)
	v_mul_f32_e32 v151, v145, v217
	v_fma_f32 v2, v131, v203, -v2
	s_waitcnt vmcnt(36)
	v_fmac_f32_e32 v151, v146, v220
	v_add_f32_e32 v1, v1, v2
	v_mul_f32_e32 v2, v134, v206
	v_add_f32_e32 v20, v20, v151
	s_waitcnt lgkmcnt(0)
	v_mul_f32_e32 v151, v147, v219
	v_fma_f32 v2, v133, v205, -v2
	v_fmac_f32_e32 v151, v148, v218
	v_add_f32_e32 v1, v1, v2
	v_mul_f32_e32 v2, v136, v208
	v_add_f32_e32 v20, v20, v151
	ds_read2_b64 v[151:154], v0 offset0:75 offset1:76
	v_fma_f32 v2, v135, v207, -v2
	v_add_f32_e32 v1, v1, v2
	v_mul_f32_e32 v2, v138, v210
	s_waitcnt vmcnt(34)
	v_mul_f32_e32 v155, v149, v222
	v_fma_f32 v2, v137, v209, -v2
	v_fmac_f32_e32 v155, v150, v221
	v_add_f32_e32 v1, v1, v2
	v_mul_f32_e32 v2, v140, v212
	v_add_f32_e32 v20, v20, v155
	ds_read2_b64 v[155:158], v0 offset0:77 offset1:78
	v_fma_f32 v2, v139, v211, -v2
	s_waitcnt vmcnt(32) lgkmcnt(1)
	v_mul_f32_e32 v159, v151, v224
	v_add_f32_e32 v1, v1, v2
	v_mul_f32_e32 v2, v142, v214
	v_fmac_f32_e32 v159, v152, v223
	v_fma_f32 v2, v141, v213, -v2
	v_add_f32_e32 v20, v20, v159
	s_waitcnt vmcnt(31)
	v_mul_f32_e32 v159, v153, v225
	v_add_f32_e32 v1, v1, v2
	v_mul_f32_e32 v2, v144, v216
	s_waitcnt vmcnt(28)
	v_fmac_f32_e32 v159, v154, v228
	v_fma_f32 v2, v143, v215, -v2
	v_add_f32_e32 v20, v20, v159
	s_waitcnt lgkmcnt(0)
	v_mul_f32_e32 v159, v155, v227
	v_add_f32_e32 v1, v1, v2
	v_mul_f32_e32 v2, v146, v217
	v_fmac_f32_e32 v159, v156, v226
	v_fma_f32 v2, v145, v220, -v2
	v_add_f32_e32 v20, v20, v159
	ds_read2_b64 v[159:162], v0 offset0:79 offset1:80
	v_add_f32_e32 v1, v1, v2
	v_mul_f32_e32 v2, v148, v219
	v_fma_f32 v2, v147, v218, -v2
	s_waitcnt vmcnt(26)
	v_mul_f32_e32 v163, v157, v230
	v_add_f32_e32 v1, v1, v2
	v_mul_f32_e32 v2, v150, v222
	v_fmac_f32_e32 v163, v158, v229
	v_fma_f32 v2, v149, v221, -v2
	v_add_f32_e32 v20, v20, v163
	ds_read2_b64 v[163:166], v0 offset0:81 offset1:82
	v_add_f32_e32 v1, v1, v2
	v_mul_f32_e32 v2, v152, v224
	s_waitcnt vmcnt(24) lgkmcnt(1)
	v_mul_f32_e32 v167, v159, v232
	v_fma_f32 v2, v151, v223, -v2
	v_fmac_f32_e32 v167, v160, v231
	v_add_f32_e32 v1, v1, v2
	v_mul_f32_e32 v2, v154, v225
	v_add_f32_e32 v20, v20, v167
	s_waitcnt vmcnt(23)
	v_mul_f32_e32 v167, v161, v233
	v_fma_f32 v2, v153, v228, -v2
	s_waitcnt vmcnt(20)
	v_fmac_f32_e32 v167, v162, v236
	v_add_f32_e32 v1, v1, v2
	v_mul_f32_e32 v2, v156, v227
	v_add_f32_e32 v20, v20, v167
	s_waitcnt lgkmcnt(0)
	v_mul_f32_e32 v167, v163, v235
	v_fma_f32 v2, v155, v226, -v2
	v_fmac_f32_e32 v167, v164, v234
	v_add_f32_e32 v1, v1, v2
	v_mul_f32_e32 v2, v158, v230
	v_add_f32_e32 v20, v20, v167
	ds_read2_b64 v[167:170], v0 offset0:83 offset1:84
	v_fma_f32 v2, v157, v229, -v2
	v_add_f32_e32 v1, v1, v2
	v_mul_f32_e32 v2, v160, v232
	s_waitcnt vmcnt(18)
	v_mul_f32_e32 v171, v165, v238
	v_fma_f32 v2, v159, v231, -v2
	v_fmac_f32_e32 v171, v166, v237
	v_add_f32_e32 v1, v1, v2
	v_mul_f32_e32 v2, v162, v233
	v_add_f32_e32 v20, v20, v171
	ds_read2_b64 v[171:174], v0 offset0:85 offset1:86
	v_fma_f32 v2, v161, v236, -v2
	s_waitcnt vmcnt(16) lgkmcnt(1)
	v_mul_f32_e32 v175, v167, v240
	v_add_f32_e32 v1, v1, v2
	v_mul_f32_e32 v2, v164, v235
	v_fmac_f32_e32 v175, v168, v239
	v_fma_f32 v2, v163, v234, -v2
	v_add_f32_e32 v20, v20, v175
	s_waitcnt vmcnt(15)
	v_mul_f32_e32 v175, v169, v241
	v_add_f32_e32 v1, v1, v2
	v_mul_f32_e32 v2, v166, v238
	s_waitcnt vmcnt(12)
	v_fmac_f32_e32 v175, v170, v244
	v_fma_f32 v2, v165, v237, -v2
	v_add_f32_e32 v20, v20, v175
	s_waitcnt lgkmcnt(0)
	v_mul_f32_e32 v175, v171, v243
	v_add_f32_e32 v1, v1, v2
	v_mul_f32_e32 v2, v168, v240
	v_fmac_f32_e32 v175, v172, v242
	v_fma_f32 v2, v167, v239, -v2
	v_add_f32_e32 v20, v20, v175
	ds_read2_b64 v[175:178], v0 offset0:87 offset1:88
	v_add_f32_e32 v1, v1, v2
	v_mul_f32_e32 v2, v170, v241
	v_fma_f32 v2, v169, v244, -v2
	v_add_f32_e32 v1, v1, v2
	v_mul_f32_e32 v2, v172, v243
	s_waitcnt vmcnt(10)
	v_mul_f32_e32 v179, v173, v246
	v_fma_f32 v2, v171, v242, -v2
	v_fmac_f32_e32 v179, v174, v245
	v_add_f32_e32 v1, v1, v2
	v_mul_f32_e32 v2, v174, v246
	v_add_f32_e32 v20, v20, v179
	ds_read2_b64 v[179:182], v0 offset0:89 offset1:90
	s_waitcnt vmcnt(8) lgkmcnt(1)
	v_mul_f32_e32 v183, v175, v248
	v_fma_f32 v2, v173, v245, -v2
	v_fmac_f32_e32 v183, v176, v247
	v_add_f32_e32 v1, v1, v2
	v_mul_f32_e32 v2, v176, v248
	v_add_f32_e32 v20, v20, v183
	s_waitcnt vmcnt(7)
	v_mul_f32_e32 v183, v177, v249
	v_fma_f32 v2, v175, v247, -v2
	s_waitcnt vmcnt(4)
	v_fmac_f32_e32 v183, v178, v252
	v_add_f32_e32 v1, v1, v2
	v_mul_f32_e32 v2, v178, v249
	v_add_f32_e32 v20, v20, v183
	ds_read_b64 v[183:184], v0 offset:728
	v_fma_f32 v2, v177, v252, -v2
	v_add_f32_e32 v1, v1, v2
	s_waitcnt lgkmcnt(1)
	v_mul_f32_e32 v2, v180, v251
	v_mul_f32_e32 v21, v179, v251
	v_fma_f32 v2, v179, v250, -v2
	v_fmac_f32_e32 v21, v180, v250
	v_add_f32_e32 v1, v1, v2
	s_waitcnt vmcnt(3)
	v_mul_f32_e32 v2, v182, v253
	v_add_f32_e32 v20, v20, v21
	v_mul_f32_e32 v21, v181, v253
	s_waitcnt vmcnt(0)
	v_fma_f32 v2, v181, v19, -v2
	v_fmac_f32_e32 v21, v182, v19
	v_add_f32_e32 v1, v1, v2
	s_waitcnt lgkmcnt(0)
	v_mul_f32_e32 v2, v184, v255
	v_add_f32_e32 v20, v20, v21
	v_mul_f32_e32 v21, v183, v255
	v_fma_f32 v2, v183, v254, -v2
	v_fmac_f32_e32 v21, v184, v254
	v_add_f32_e32 v1, v1, v2
	v_add_f32_e32 v20, v20, v21
	v_sub_f32_e32 v1, v93, v1
	v_sub_f32_e32 v2, v94, v20
	buffer_store_dword v1, off, s[0:3], 0
	buffer_store_dword v2, off, s[0:3], 0 offset:4
	s_cbranch_vccz .LBB45_380
; %bb.290:
	global_load_dword v0, v0, s[20:21] offset:176
	s_waitcnt vmcnt(0)
	v_add_u32_e32 v0, -1, v0
	v_cmp_ne_u32_e32 vcc, 44, v0
	s_cbranch_vccz .LBB45_292
; %bb.291:
	v_lshlrev_b32_e32 v0, 3, v0
	buffer_load_dword v1, v0, s[0:3], 0 offen
	buffer_load_dword v2, v0, s[0:3], 0 offen offset:4
	buffer_load_dword v3, off, s[0:3], 0 offset:356
	buffer_load_dword v4, off, s[0:3], 0 offset:352
	s_waitcnt vmcnt(3)
	buffer_store_dword v1, off, s[0:3], 0 offset:352
	s_waitcnt vmcnt(3)
	buffer_store_dword v2, off, s[0:3], 0 offset:356
	s_waitcnt vmcnt(3)
	buffer_store_dword v3, v0, s[0:3], 0 offen offset:4
	s_waitcnt vmcnt(3)
	buffer_store_dword v4, v0, s[0:3], 0 offen
.LBB45_292:
	v_mov_b32_e32 v0, 0
	global_load_dword v1, v0, s[20:21] offset:172
	s_waitcnt vmcnt(0)
	v_add_u32_e32 v93, -1, v1
	v_cmp_eq_u32_e32 vcc, 43, v93
	s_cbranch_vccnz .LBB45_294
; %bb.293:
	v_lshlrev_b32_e32 v1, 3, v93
	buffer_load_dword v2, v1, s[0:3], 0 offen
	buffer_load_dword v3, v1, s[0:3], 0 offen offset:4
	buffer_load_dword v4, off, s[0:3], 0 offset:344
	buffer_load_dword v5, off, s[0:3], 0 offset:348
	s_waitcnt vmcnt(3)
	buffer_store_dword v2, off, s[0:3], 0 offset:344
	s_waitcnt vmcnt(3)
	buffer_store_dword v3, off, s[0:3], 0 offset:348
	s_waitcnt vmcnt(3)
	buffer_store_dword v4, v1, s[0:3], 0 offen
	s_waitcnt vmcnt(3)
	buffer_store_dword v5, v1, s[0:3], 0 offen offset:4
.LBB45_294:
	global_load_dword v0, v0, s[20:21] offset:168
	s_waitcnt vmcnt(0)
	v_add_u32_e32 v0, -1, v0
	v_cmp_eq_u32_e32 vcc, 42, v0
	s_cbranch_vccnz .LBB45_296
; %bb.295:
	v_lshlrev_b32_e32 v0, 3, v0
	buffer_load_dword v1, v0, s[0:3], 0 offen
	buffer_load_dword v2, v0, s[0:3], 0 offen offset:4
	buffer_load_dword v3, off, s[0:3], 0 offset:340
	buffer_load_dword v4, off, s[0:3], 0 offset:336
	s_waitcnt vmcnt(3)
	buffer_store_dword v1, off, s[0:3], 0 offset:336
	s_waitcnt vmcnt(3)
	buffer_store_dword v2, off, s[0:3], 0 offset:340
	s_waitcnt vmcnt(3)
	buffer_store_dword v3, v0, s[0:3], 0 offen offset:4
	s_waitcnt vmcnt(3)
	buffer_store_dword v4, v0, s[0:3], 0 offen
.LBB45_296:
	v_mov_b32_e32 v0, 0
	global_load_dword v1, v0, s[20:21] offset:164
	s_waitcnt vmcnt(0)
	v_add_u32_e32 v93, -1, v1
	v_cmp_eq_u32_e32 vcc, 41, v93
	s_cbranch_vccnz .LBB45_298
; %bb.297:
	v_lshlrev_b32_e32 v1, 3, v93
	buffer_load_dword v2, v1, s[0:3], 0 offen
	buffer_load_dword v3, v1, s[0:3], 0 offen offset:4
	buffer_load_dword v4, off, s[0:3], 0 offset:328
	buffer_load_dword v5, off, s[0:3], 0 offset:332
	s_waitcnt vmcnt(3)
	buffer_store_dword v2, off, s[0:3], 0 offset:328
	s_waitcnt vmcnt(3)
	buffer_store_dword v3, off, s[0:3], 0 offset:332
	s_waitcnt vmcnt(3)
	buffer_store_dword v4, v1, s[0:3], 0 offen
	s_waitcnt vmcnt(3)
	buffer_store_dword v5, v1, s[0:3], 0 offen offset:4
.LBB45_298:
	global_load_dword v0, v0, s[20:21] offset:160
	s_waitcnt vmcnt(0)
	v_add_u32_e32 v0, -1, v0
	v_cmp_eq_u32_e32 vcc, 40, v0
	s_cbranch_vccnz .LBB45_300
; %bb.299:
	v_lshlrev_b32_e32 v0, 3, v0
	buffer_load_dword v1, v0, s[0:3], 0 offen
	buffer_load_dword v2, v0, s[0:3], 0 offen offset:4
	buffer_load_dword v3, off, s[0:3], 0 offset:324
	buffer_load_dword v4, off, s[0:3], 0 offset:320
	s_waitcnt vmcnt(3)
	buffer_store_dword v1, off, s[0:3], 0 offset:320
	s_waitcnt vmcnt(3)
	buffer_store_dword v2, off, s[0:3], 0 offset:324
	s_waitcnt vmcnt(3)
	buffer_store_dword v3, v0, s[0:3], 0 offen offset:4
	s_waitcnt vmcnt(3)
	buffer_store_dword v4, v0, s[0:3], 0 offen
.LBB45_300:
	;; [unrolled: 41-line block ×21, first 2 shown]
	v_mov_b32_e32 v0, 0
	global_load_dword v1, v0, s[20:21] offset:4
	s_waitcnt vmcnt(0)
	v_add_u32_e32 v93, -1, v1
	v_cmp_eq_u32_e32 vcc, 1, v93
	s_cbranch_vccnz .LBB45_378
; %bb.377:
	v_lshlrev_b32_e32 v1, 3, v93
	buffer_load_dword v2, v1, s[0:3], 0 offen
	buffer_load_dword v3, v1, s[0:3], 0 offen offset:4
	buffer_load_dword v4, off, s[0:3], 0 offset:8
	buffer_load_dword v5, off, s[0:3], 0 offset:12
	s_waitcnt vmcnt(3)
	buffer_store_dword v2, off, s[0:3], 0 offset:8
	s_waitcnt vmcnt(3)
	buffer_store_dword v3, off, s[0:3], 0 offset:12
	s_waitcnt vmcnt(3)
	buffer_store_dword v4, v1, s[0:3], 0 offen
	s_waitcnt vmcnt(3)
	buffer_store_dword v5, v1, s[0:3], 0 offen offset:4
.LBB45_378:
	global_load_dword v0, v0, s[20:21]
	s_waitcnt vmcnt(0)
	v_add_u32_e32 v0, -1, v0
	v_cmp_eq_u32_e32 vcc, 0, v0
	s_cbranch_vccnz .LBB45_380
; %bb.379:
	v_lshlrev_b32_e32 v0, 3, v0
	buffer_load_dword v1, v0, s[0:3], 0 offen
	buffer_load_dword v2, v0, s[0:3], 0 offen offset:4
	buffer_load_dword v3, off, s[0:3], 0 offset:4
	buffer_load_dword v4, off, s[0:3], 0
	s_waitcnt vmcnt(3)
	buffer_store_dword v1, off, s[0:3], 0
	s_waitcnt vmcnt(3)
	buffer_store_dword v2, off, s[0:3], 0 offset:4
	s_waitcnt vmcnt(3)
	buffer_store_dword v3, v0, s[0:3], 0 offen offset:4
	s_waitcnt vmcnt(3)
	buffer_store_dword v4, v0, s[0:3], 0 offen
.LBB45_380:
	buffer_load_dword v93, off, s[0:3], 0
	buffer_load_dword v94, off, s[0:3], 0 offset:4
	buffer_load_dword v95, off, s[0:3], 0 offset:8
	;; [unrolled: 1-line block ×91, first 2 shown]
	s_waitcnt vmcnt(62)
	global_store_dwordx2 v[81:82], v[93:94], off
	global_store_dwordx2 v[85:86], v[95:96], off
	buffer_load_dword v0, off, s[0:3], 0 offset:368 ; 4-byte Folded Reload
	buffer_load_dword v1, off, s[0:3], 0 offset:372 ; 4-byte Folded Reload
	s_waitcnt vmcnt(0)
	global_store_dwordx2 v[0:1], v[97:98], off
	buffer_load_dword v0, off, s[0:3], 0 offset:376 ; 4-byte Folded Reload
	s_nop 0
	buffer_load_dword v1, off, s[0:3], 0 offset:380 ; 4-byte Folded Reload
	s_waitcnt vmcnt(0)
	global_store_dwordx2 v[0:1], v[99:100], off
	buffer_load_dword v0, off, s[0:3], 0 offset:384 ; 4-byte Folded Reload
	s_nop 0
	;; [unrolled: 5-line block ×10, first 2 shown]
	buffer_load_dword v1, off, s[0:3], 0 offset:452 ; 4-byte Folded Reload
	s_waitcnt vmcnt(0)
	global_store_dwordx2 v[0:1], v[117:118], off
	global_store_dwordx2 v[23:24], v[119:120], off
	;; [unrolled: 1-line block ×34, first 2 shown]
	s_endpgm
	.section	.rodata,"a",@progbits
	.p2align	6, 0x0
	.amdhsa_kernel _ZN9rocsolver6v33100L18getri_kernel_smallILi46E19rocblas_complex_numIfEPS3_EEvT1_iilPiilS6_bb
		.amdhsa_group_segment_fixed_size 740
		.amdhsa_private_segment_fixed_size 464
		.amdhsa_kernarg_size 60
		.amdhsa_user_sgpr_count 6
		.amdhsa_user_sgpr_private_segment_buffer 1
		.amdhsa_user_sgpr_dispatch_ptr 0
		.amdhsa_user_sgpr_queue_ptr 0
		.amdhsa_user_sgpr_kernarg_segment_ptr 1
		.amdhsa_user_sgpr_dispatch_id 0
		.amdhsa_user_sgpr_flat_scratch_init 0
		.amdhsa_user_sgpr_private_segment_size 0
		.amdhsa_uses_dynamic_stack 0
		.amdhsa_system_sgpr_private_segment_wavefront_offset 1
		.amdhsa_system_sgpr_workgroup_id_x 1
		.amdhsa_system_sgpr_workgroup_id_y 0
		.amdhsa_system_sgpr_workgroup_id_z 0
		.amdhsa_system_sgpr_workgroup_info 0
		.amdhsa_system_vgpr_workitem_id 0
		.amdhsa_next_free_vgpr 256
		.amdhsa_next_free_sgpr 24
		.amdhsa_reserve_vcc 1
		.amdhsa_reserve_flat_scratch 0
		.amdhsa_float_round_mode_32 0
		.amdhsa_float_round_mode_16_64 0
		.amdhsa_float_denorm_mode_32 3
		.amdhsa_float_denorm_mode_16_64 3
		.amdhsa_dx10_clamp 1
		.amdhsa_ieee_mode 1
		.amdhsa_fp16_overflow 0
		.amdhsa_exception_fp_ieee_invalid_op 0
		.amdhsa_exception_fp_denorm_src 0
		.amdhsa_exception_fp_ieee_div_zero 0
		.amdhsa_exception_fp_ieee_overflow 0
		.amdhsa_exception_fp_ieee_underflow 0
		.amdhsa_exception_fp_ieee_inexact 0
		.amdhsa_exception_int_div_zero 0
	.end_amdhsa_kernel
	.section	.text._ZN9rocsolver6v33100L18getri_kernel_smallILi46E19rocblas_complex_numIfEPS3_EEvT1_iilPiilS6_bb,"axG",@progbits,_ZN9rocsolver6v33100L18getri_kernel_smallILi46E19rocblas_complex_numIfEPS3_EEvT1_iilPiilS6_bb,comdat
.Lfunc_end45:
	.size	_ZN9rocsolver6v33100L18getri_kernel_smallILi46E19rocblas_complex_numIfEPS3_EEvT1_iilPiilS6_bb, .Lfunc_end45-_ZN9rocsolver6v33100L18getri_kernel_smallILi46E19rocblas_complex_numIfEPS3_EEvT1_iilPiilS6_bb
                                        ; -- End function
	.set _ZN9rocsolver6v33100L18getri_kernel_smallILi46E19rocblas_complex_numIfEPS3_EEvT1_iilPiilS6_bb.num_vgpr, 256
	.set _ZN9rocsolver6v33100L18getri_kernel_smallILi46E19rocblas_complex_numIfEPS3_EEvT1_iilPiilS6_bb.num_agpr, 0
	.set _ZN9rocsolver6v33100L18getri_kernel_smallILi46E19rocblas_complex_numIfEPS3_EEvT1_iilPiilS6_bb.numbered_sgpr, 24
	.set _ZN9rocsolver6v33100L18getri_kernel_smallILi46E19rocblas_complex_numIfEPS3_EEvT1_iilPiilS6_bb.num_named_barrier, 0
	.set _ZN9rocsolver6v33100L18getri_kernel_smallILi46E19rocblas_complex_numIfEPS3_EEvT1_iilPiilS6_bb.private_seg_size, 464
	.set _ZN9rocsolver6v33100L18getri_kernel_smallILi46E19rocblas_complex_numIfEPS3_EEvT1_iilPiilS6_bb.uses_vcc, 1
	.set _ZN9rocsolver6v33100L18getri_kernel_smallILi46E19rocblas_complex_numIfEPS3_EEvT1_iilPiilS6_bb.uses_flat_scratch, 0
	.set _ZN9rocsolver6v33100L18getri_kernel_smallILi46E19rocblas_complex_numIfEPS3_EEvT1_iilPiilS6_bb.has_dyn_sized_stack, 0
	.set _ZN9rocsolver6v33100L18getri_kernel_smallILi46E19rocblas_complex_numIfEPS3_EEvT1_iilPiilS6_bb.has_recursion, 0
	.set _ZN9rocsolver6v33100L18getri_kernel_smallILi46E19rocblas_complex_numIfEPS3_EEvT1_iilPiilS6_bb.has_indirect_call, 0
	.section	.AMDGPU.csdata,"",@progbits
; Kernel info:
; codeLenInByte = 80960
; TotalNumSgprs: 28
; NumVgprs: 256
; ScratchSize: 464
; MemoryBound: 0
; FloatMode: 240
; IeeeMode: 1
; LDSByteSize: 740 bytes/workgroup (compile time only)
; SGPRBlocks: 3
; VGPRBlocks: 63
; NumSGPRsForWavesPerEU: 28
; NumVGPRsForWavesPerEU: 256
; Occupancy: 1
; WaveLimiterHint : 1
; COMPUTE_PGM_RSRC2:SCRATCH_EN: 1
; COMPUTE_PGM_RSRC2:USER_SGPR: 6
; COMPUTE_PGM_RSRC2:TRAP_HANDLER: 0
; COMPUTE_PGM_RSRC2:TGID_X_EN: 1
; COMPUTE_PGM_RSRC2:TGID_Y_EN: 0
; COMPUTE_PGM_RSRC2:TGID_Z_EN: 0
; COMPUTE_PGM_RSRC2:TIDIG_COMP_CNT: 0
	.section	.text._ZN9rocsolver6v33100L18getri_kernel_smallILi47E19rocblas_complex_numIfEPS3_EEvT1_iilPiilS6_bb,"axG",@progbits,_ZN9rocsolver6v33100L18getri_kernel_smallILi47E19rocblas_complex_numIfEPS3_EEvT1_iilPiilS6_bb,comdat
	.globl	_ZN9rocsolver6v33100L18getri_kernel_smallILi47E19rocblas_complex_numIfEPS3_EEvT1_iilPiilS6_bb ; -- Begin function _ZN9rocsolver6v33100L18getri_kernel_smallILi47E19rocblas_complex_numIfEPS3_EEvT1_iilPiilS6_bb
	.p2align	8
	.type	_ZN9rocsolver6v33100L18getri_kernel_smallILi47E19rocblas_complex_numIfEPS3_EEvT1_iilPiilS6_bb,@function
_ZN9rocsolver6v33100L18getri_kernel_smallILi47E19rocblas_complex_numIfEPS3_EEvT1_iilPiilS6_bb: ; @_ZN9rocsolver6v33100L18getri_kernel_smallILi47E19rocblas_complex_numIfEPS3_EEvT1_iilPiilS6_bb
; %bb.0:
	s_add_u32 s0, s0, s7
	s_addc_u32 s1, s1, 0
	v_cmp_gt_u32_e32 vcc, 47, v0
	s_and_saveexec_b64 s[8:9], vcc
	s_cbranch_execz .LBB46_202
; %bb.1:
	s_load_dword s12, s[4:5], 0x38
	s_load_dwordx4 s[16:19], s[4:5], 0x10
	s_load_dwordx4 s[8:11], s[4:5], 0x28
                                        ; implicit-def: $sgpr20_sgpr21
	s_waitcnt lgkmcnt(0)
	s_bitcmp1_b32 s12, 8
	s_cselect_b64 s[22:23], -1, 0
	s_ashr_i32 s7, s6, 31
	s_bfe_u32 s12, s12, 0x10008
	s_cmp_eq_u32 s12, 0
	s_cbranch_scc1 .LBB46_3
; %bb.2:
	s_load_dword s12, s[4:5], 0x20
	s_mul_i32 s13, s8, s7
	s_mul_hi_u32 s14, s8, s6
	s_mul_i32 s9, s9, s6
	s_add_i32 s14, s14, s13
	s_add_i32 s9, s14, s9
	s_mul_i32 s8, s8, s6
	s_waitcnt lgkmcnt(0)
	s_ashr_i32 s13, s12, 31
	s_lshl_b64 s[8:9], s[8:9], 2
	s_add_u32 s14, s18, s8
	s_addc_u32 s15, s19, s9
	s_lshl_b64 s[8:9], s[12:13], 2
	s_add_u32 s20, s14, s8
	s_addc_u32 s21, s15, s9
.LBB46_3:
	s_load_dwordx4 s[12:15], s[4:5], 0x0
	s_load_dword s8, s[4:5], 0x38
	s_mul_i32 s9, s16, s7
	s_mul_hi_u32 s18, s16, s6
	s_add_i32 s9, s18, s9
	s_waitcnt lgkmcnt(0)
	s_ashr_i32 s5, s14, 31
	s_mov_b32 s4, s14
	s_mul_i32 s14, s17, s6
	s_add_i32 s17, s9, s14
	s_mul_i32 s16, s16, s6
	s_lshl_b64 s[16:17], s[16:17], 3
	s_add_u32 s9, s12, s16
	s_addc_u32 s12, s13, s17
	s_lshl_b64 s[4:5], s[4:5], 3
	s_add_u32 s4, s9, s4
	s_addc_u32 s5, s12, s5
	s_add_i32 s9, s15, s15
	v_add_u32_e32 v3, s9, v0
	v_ashrrev_i32_e32 v4, 31, v3
	v_lshlrev_b64 v[1:2], 3, v[3:4]
	v_add_u32_e32 v5, s15, v3
	v_mov_b32_e32 v4, s5
	v_add_co_u32_e32 v1, vcc, s4, v1
	v_ashrrev_i32_e32 v6, 31, v5
	v_addc_co_u32_e32 v2, vcc, v4, v2, vcc
	v_lshlrev_b64 v[3:4], 3, v[5:6]
	v_add_u32_e32 v7, s15, v5
	v_mov_b32_e32 v6, s5
	v_add_co_u32_e32 v3, vcc, s4, v3
	v_ashrrev_i32_e32 v8, 31, v7
	v_addc_co_u32_e32 v4, vcc, v6, v4, vcc
	;; [unrolled: 6-line block ×8, first 2 shown]
	v_lshlrev_b64 v[17:18], 3, v[19:20]
	v_mov_b32_e32 v21, s5
	v_add_co_u32_e32 v17, vcc, s4, v17
	v_addc_co_u32_e32 v18, vcc, v21, v18, vcc
	v_add_u32_e32 v21, s15, v19
	v_ashrrev_i32_e32 v22, 31, v21
	v_lshlrev_b64 v[19:20], 3, v[21:22]
	v_mov_b32_e32 v23, s5
	v_add_co_u32_e32 v19, vcc, s4, v19
	v_addc_co_u32_e32 v20, vcc, v23, v20, vcc
	v_add_u32_e32 v23, s15, v21
	v_ashrrev_i32_e32 v24, 31, v23
	;; [unrolled: 6-line block ×31, first 2 shown]
	v_lshlrev_b32_e32 v97, 3, v0
	v_lshlrev_b64 v[79:80], 3, v[81:82]
	v_mov_b32_e32 v82, s5
	v_add_co_u32_e32 v85, vcc, s4, v97
	s_ashr_i32 s13, s15, 31
	s_mov_b32 s12, s15
	v_addc_co_u32_e32 v86, vcc, 0, v82, vcc
	s_lshl_b64 s[12:13], s[12:13], 3
	v_mov_b32_e32 v82, s13
	v_add_co_u32_e32 v87, vcc, s12, v85
	v_addc_co_u32_e32 v88, vcc, v86, v82, vcc
	global_load_dwordx2 v[95:96], v97, s[4:5]
	global_load_dwordx2 v[98:99], v[87:88], off
	s_nop 0
	buffer_store_dword v1, off, s[0:3], 0 offset:376 ; 4-byte Folded Spill
	s_nop 0
	buffer_store_dword v2, off, s[0:3], 0 offset:380 ; 4-byte Folded Spill
	v_mov_b32_e32 v83, s5
	v_add_co_u32_e32 v79, vcc, s4, v79
	v_addc_co_u32_e32 v80, vcc, v83, v80, vcc
	v_add_u32_e32 v83, s15, v81
	v_ashrrev_i32_e32 v84, 31, v83
	v_lshlrev_b64 v[81:82], 3, v[83:84]
	v_mov_b32_e32 v89, s5
	v_add_co_u32_e32 v81, vcc, s4, v81
	v_addc_co_u32_e32 v82, vcc, v89, v82, vcc
	v_add_u32_e32 v89, s15, v83
	v_ashrrev_i32_e32 v90, 31, v89
	v_lshlrev_b64 v[83:84], 3, v[89:90]
	;; [unrolled: 6-line block ×5, first 2 shown]
	v_mov_b32_e32 v162, s5
	v_add_co_u32_e32 v93, vcc, s4, v93
	v_addc_co_u32_e32 v94, vcc, v162, v94, vcc
	s_bitcmp0_b32 s8, 0
	s_mov_b64 s[8:9], -1
	global_load_dwordx2 v[100:101], v[1:2], off
	s_nop 0
	buffer_store_dword v3, off, s[0:3], 0 offset:384 ; 4-byte Folded Spill
	s_nop 0
	buffer_store_dword v4, off, s[0:3], 0 offset:388 ; 4-byte Folded Spill
	global_load_dwordx2 v[102:103], v[3:4], off
	s_nop 0
	buffer_store_dword v5, off, s[0:3], 0 offset:392 ; 4-byte Folded Spill
	s_nop 0
	buffer_store_dword v6, off, s[0:3], 0 offset:396 ; 4-byte Folded Spill
	;; [unrolled: 5-line block ×13, first 2 shown]
	global_load_dwordx2 v[126:127], v[27:28], off
	global_load_dwordx2 v[128:129], v[29:30], off
	;; [unrolled: 1-line block ×26, first 2 shown]
	s_waitcnt vmcnt(62)
	buffer_store_dword v96, off, s[0:3], 0 offset:4
	buffer_store_dword v95, off, s[0:3], 0
	global_load_dwordx2 v[95:96], v[67:68], off
	s_nop 0
	buffer_store_dword v99, off, s[0:3], 0 offset:12
	buffer_store_dword v98, off, s[0:3], 0 offset:8
	global_load_dwordx2 v[98:99], v[71:72], off
	s_nop 0
	buffer_store_dword v101, off, s[0:3], 0 offset:20
	buffer_store_dword v100, off, s[0:3], 0 offset:16
	global_load_dwordx2 v[100:101], v[75:76], off
	s_waitcnt vmcnt(62)
	buffer_store_dword v103, off, s[0:3], 0 offset:28
	buffer_store_dword v102, off, s[0:3], 0 offset:24
	global_load_dwordx2 v[102:103], v[79:80], off
	s_nop 0
	buffer_store_dword v105, off, s[0:3], 0 offset:36
	buffer_store_dword v104, off, s[0:3], 0 offset:32
	global_load_dwordx2 v[104:105], v[83:84], off
	s_nop 0
	buffer_store_dword v107, off, s[0:3], 0 offset:44
	buffer_store_dword v106, off, s[0:3], 0 offset:40
	global_load_dwordx2 v[106:107], v[91:92], off
	s_waitcnt vmcnt(62)
	buffer_store_dword v109, off, s[0:3], 0 offset:52
	buffer_store_dword v108, off, s[0:3], 0 offset:48
	;; [unrolled: 1-line block ×6, first 2 shown]
	s_waitcnt vmcnt(62)
	buffer_store_dword v114, off, s[0:3], 0 offset:72
	buffer_store_dword v115, off, s[0:3], 0 offset:76
	buffer_store_dword v116, off, s[0:3], 0 offset:80
	buffer_store_dword v117, off, s[0:3], 0 offset:84
	s_waitcnt vmcnt(62)
	buffer_store_dword v118, off, s[0:3], 0 offset:88
	buffer_store_dword v119, off, s[0:3], 0 offset:92
	;; [unrolled: 1-line block ×4, first 2 shown]
	s_waitcnt vmcnt(62)
	buffer_store_dword v122, off, s[0:3], 0 offset:104
	buffer_store_dword v123, off, s[0:3], 0 offset:108
	s_waitcnt vmcnt(62)
	buffer_store_dword v125, off, s[0:3], 0 offset:116
	buffer_store_dword v124, off, s[0:3], 0 offset:112
	;; [unrolled: 3-line block ×5, first 2 shown]
	buffer_store_dword v132, off, s[0:3], 0 offset:144
	buffer_store_dword v133, off, s[0:3], 0 offset:148
	s_waitcnt vmcnt(62)
	buffer_store_dword v135, off, s[0:3], 0 offset:156
	buffer_store_dword v134, off, s[0:3], 0 offset:152
	buffer_store_dword v137, off, s[0:3], 0 offset:164
	buffer_store_dword v136, off, s[0:3], 0 offset:160
	buffer_store_dword v138, off, s[0:3], 0 offset:168
	buffer_store_dword v139, off, s[0:3], 0 offset:172
	buffer_store_dword v140, off, s[0:3], 0 offset:176
	buffer_store_dword v141, off, s[0:3], 0 offset:180
	s_waitcnt vmcnt(62)
	buffer_store_dword v142, off, s[0:3], 0 offset:184
	buffer_store_dword v143, off, s[0:3], 0 offset:188
	buffer_store_dword v144, off, s[0:3], 0 offset:192
	buffer_store_dword v145, off, s[0:3], 0 offset:196
	buffer_store_dword v147, off, s[0:3], 0 offset:204
	buffer_store_dword v146, off, s[0:3], 0 offset:200
	buffer_store_dword v149, off, s[0:3], 0 offset:212
	buffer_store_dword v148, off, s[0:3], 0 offset:208
	buffer_store_dword v150, off, s[0:3], 0 offset:216
	buffer_store_dword v151, off, s[0:3], 0 offset:220
	buffer_store_dword v152, off, s[0:3], 0 offset:224
	buffer_store_dword v153, off, s[0:3], 0 offset:228
	buffer_store_dword v154, off, s[0:3], 0 offset:232
	buffer_store_dword v155, off, s[0:3], 0 offset:236
	buffer_store_dword v156, off, s[0:3], 0 offset:240
	buffer_store_dword v157, off, s[0:3], 0 offset:244
	s_waitcnt vmcnt(62)
	buffer_store_dword v159, off, s[0:3], 0 offset:252
	buffer_store_dword v158, off, s[0:3], 0 offset:248
	buffer_store_dword v161, off, s[0:3], 0 offset:260
	buffer_store_dword v160, off, s[0:3], 0 offset:256
	buffer_store_dword v162, off, s[0:3], 0 offset:264
	buffer_store_dword v163, off, s[0:3], 0 offset:268
	buffer_store_dword v164, off, s[0:3], 0 offset:272
	buffer_store_dword v165, off, s[0:3], 0 offset:276
	;; [unrolled: 17-line block ×3, first 2 shown]
	buffer_store_dword v105, off, s[0:3], 0 offset:348
	buffer_store_dword v104, off, s[0:3], 0 offset:344
	;; [unrolled: 1-line block ×8, first 2 shown]
	s_cbranch_scc1 .LBB46_200
; %bb.4:
	v_cmp_eq_u32_e64 s[4:5], 0, v0
	s_and_saveexec_b64 s[8:9], s[4:5]
; %bb.5:
	v_mov_b32_e32 v95, 0
	ds_write_b32 v95, v95 offset:376
; %bb.6:
	s_or_b64 exec, exec, s[8:9]
	v_mov_b32_e32 v95, 0
	v_lshl_add_u32 v99, v0, 3, v95
	s_waitcnt lgkmcnt(0)
	; wave barrier
	buffer_load_dword v95, v99, s[0:3], 0 offen
	buffer_load_dword v96, v99, s[0:3], 0 offen offset:4
	s_waitcnt vmcnt(1)
	v_cmp_eq_f32_e32 vcc, 0, v95
	s_waitcnt vmcnt(0)
	v_cmp_eq_f32_e64 s[8:9], 0, v96
	s_and_b64 s[8:9], vcc, s[8:9]
	s_and_saveexec_b64 s[12:13], s[8:9]
	s_cbranch_execz .LBB46_10
; %bb.7:
	v_mov_b32_e32 v95, 0
	ds_read_b32 v98, v95 offset:376
	v_add_u32_e32 v96, 1, v0
	s_waitcnt lgkmcnt(0)
	v_readfirstlane_b32 s8, v98
	s_cmp_eq_u32 s8, 0
	s_cselect_b64 s[14:15], -1, 0
	v_cmp_gt_i32_e32 vcc, s8, v96
	s_or_b64 s[14:15], s[14:15], vcc
	s_and_b64 exec, exec, s[14:15]
	s_cbranch_execz .LBB46_10
; %bb.8:
	s_mov_b64 s[14:15], 0
	v_mov_b32_e32 v98, s8
.LBB46_9:                               ; =>This Inner Loop Header: Depth=1
	ds_cmpst_rtn_b32 v98, v95, v98, v96 offset:376
	s_waitcnt lgkmcnt(0)
	v_cmp_ne_u32_e32 vcc, 0, v98
	v_cmp_le_i32_e64 s[8:9], v98, v96
	s_and_b64 s[8:9], vcc, s[8:9]
	s_and_b64 s[8:9], exec, s[8:9]
	s_or_b64 s[14:15], s[8:9], s[14:15]
	s_andn2_b64 exec, exec, s[14:15]
	s_cbranch_execnz .LBB46_9
.LBB46_10:
	s_or_b64 exec, exec, s[12:13]
	v_mov_b32_e32 v96, 0
	; wave barrier
	ds_read_b32 v95, v96 offset:376
	s_and_saveexec_b64 s[8:9], s[4:5]
	s_cbranch_execz .LBB46_12
; %bb.11:
	s_lshl_b64 s[12:13], s[6:7], 2
	s_add_u32 s12, s10, s12
	s_addc_u32 s13, s11, s13
	s_waitcnt lgkmcnt(0)
	global_store_dword v96, v95, s[12:13]
.LBB46_12:
	s_or_b64 exec, exec, s[8:9]
	s_waitcnt lgkmcnt(0)
	v_cmp_ne_u32_e32 vcc, 0, v95
	s_mov_b64 s[8:9], 0
	s_cbranch_vccnz .LBB46_200
; %bb.13:
	buffer_load_dword v96, v99, s[0:3], 0 offen
	buffer_load_dword v98, v99, s[0:3], 0 offen offset:4
                                        ; implicit-def: $vgpr101
                                        ; implicit-def: $vgpr100
                                        ; implicit-def: $vgpr95
	s_waitcnt vmcnt(0)
	v_cmp_ngt_f32_e64 s[8:9], |v96|, |v98|
	s_and_saveexec_b64 s[12:13], s[8:9]
	s_xor_b64 s[8:9], exec, s[12:13]
	s_cbranch_execz .LBB46_15
; %bb.14:
	v_div_scale_f32 v95, s[12:13], v98, v98, v96
	v_div_scale_f32 v100, vcc, v96, v98, v96
	v_rcp_f32_e32 v101, v95
	v_fma_f32 v102, -v95, v101, 1.0
	v_fmac_f32_e32 v101, v102, v101
	v_mul_f32_e32 v102, v100, v101
	v_fma_f32 v103, -v95, v102, v100
	v_fmac_f32_e32 v102, v103, v101
	v_fma_f32 v95, -v95, v102, v100
	v_div_fmas_f32 v95, v95, v101, v102
	v_div_fixup_f32 v95, v95, v98, v96
	v_fmac_f32_e32 v98, v96, v95
	v_div_scale_f32 v96, s[12:13], v98, v98, 1.0
	v_div_scale_f32 v100, vcc, 1.0, v98, 1.0
	v_rcp_f32_e32 v101, v96
	v_fma_f32 v102, -v96, v101, 1.0
	v_fmac_f32_e32 v101, v102, v101
	v_mul_f32_e32 v102, v100, v101
	v_fma_f32 v103, -v96, v102, v100
	v_fmac_f32_e32 v102, v103, v101
	v_fma_f32 v96, -v96, v102, v100
	v_div_fmas_f32 v96, v96, v101, v102
	v_div_fixup_f32 v96, v96, v98, 1.0
	v_mul_f32_e32 v101, v95, v96
	v_xor_b32_e32 v100, 0x80000000, v96
	v_xor_b32_e32 v95, 0x80000000, v101
                                        ; implicit-def: $vgpr96
                                        ; implicit-def: $vgpr98
.LBB46_15:
	s_andn2_saveexec_b64 s[8:9], s[8:9]
	s_cbranch_execz .LBB46_17
; %bb.16:
	v_div_scale_f32 v95, s[12:13], v96, v96, v98
	v_div_scale_f32 v100, vcc, v98, v96, v98
	v_rcp_f32_e32 v101, v95
	v_fma_f32 v102, -v95, v101, 1.0
	v_fmac_f32_e32 v101, v102, v101
	v_mul_f32_e32 v102, v100, v101
	v_fma_f32 v103, -v95, v102, v100
	v_fmac_f32_e32 v102, v103, v101
	v_fma_f32 v95, -v95, v102, v100
	v_div_fmas_f32 v95, v95, v101, v102
	v_div_fixup_f32 v100, v95, v96, v98
	v_fmac_f32_e32 v96, v98, v100
	v_div_scale_f32 v95, s[12:13], v96, v96, 1.0
	v_div_scale_f32 v98, vcc, 1.0, v96, 1.0
	v_rcp_f32_e32 v101, v95
	v_fma_f32 v102, -v95, v101, 1.0
	v_fmac_f32_e32 v101, v102, v101
	v_mul_f32_e32 v102, v98, v101
	v_fma_f32 v103, -v95, v102, v98
	v_fmac_f32_e32 v102, v103, v101
	v_fma_f32 v95, -v95, v102, v98
	v_div_fmas_f32 v95, v95, v101, v102
	v_div_fixup_f32 v101, v95, v96, 1.0
	v_xor_b32_e32 v95, 0x80000000, v101
	v_mul_f32_e64 v100, v100, -v101
.LBB46_17:
	s_or_b64 exec, exec, s[8:9]
	buffer_store_dword v101, v99, s[0:3], 0 offen
	buffer_store_dword v100, v99, s[0:3], 0 offen offset:4
	buffer_load_dword v102, off, s[0:3], 0 offset:12
	s_nop 0
	buffer_load_dword v101, off, s[0:3], 0 offset:8
	v_xor_b32_e32 v96, 0x80000000, v100
	v_add_u32_e32 v98, 0x180, v97
	s_waitcnt vmcnt(0)
	ds_write2_b64 v97, v[95:96], v[101:102] offset1:48
	s_waitcnt lgkmcnt(0)
	; wave barrier
	s_and_saveexec_b64 s[8:9], s[4:5]
	s_cbranch_execz .LBB46_19
; %bb.18:
	buffer_load_dword v102, v99, s[0:3], 0 offen offset:4
	buffer_load_dword v103, v99, s[0:3], 0 offen
	ds_read_b64 v[95:96], v98
	v_mov_b32_e32 v100, 0
	ds_read_b64 v[100:101], v100 offset:8
	s_waitcnt vmcnt(1) lgkmcnt(1)
	v_mul_f32_e32 v104, v96, v102
	v_mul_f32_e32 v102, v95, v102
	s_waitcnt vmcnt(0)
	v_fmac_f32_e32 v102, v96, v103
	v_fma_f32 v95, v95, v103, -v104
	v_add_f32_e32 v96, 0, v102
	v_add_f32_e32 v95, 0, v95
	s_waitcnt lgkmcnt(0)
	v_mul_f32_e32 v102, v96, v101
	v_mul_f32_e32 v101, v95, v101
	v_fma_f32 v95, v95, v100, -v102
	v_fmac_f32_e32 v101, v96, v100
	buffer_store_dword v95, off, s[0:3], 0 offset:8
	buffer_store_dword v101, off, s[0:3], 0 offset:12
.LBB46_19:
	s_or_b64 exec, exec, s[8:9]
	; wave barrier
	buffer_load_dword v95, off, s[0:3], 0 offset:16
	buffer_load_dword v96, off, s[0:3], 0 offset:20
	v_cmp_gt_u32_e32 vcc, 2, v0
	s_waitcnt vmcnt(0)
	ds_write_b64 v98, v[95:96]
	s_waitcnt lgkmcnt(0)
	; wave barrier
	s_and_saveexec_b64 s[8:9], vcc
	s_cbranch_execz .LBB46_23
; %bb.20:
	buffer_load_dword v100, v99, s[0:3], 0 offen offset:4
	buffer_load_dword v101, v99, s[0:3], 0 offen
	ds_read_b64 v[95:96], v98
	s_waitcnt vmcnt(1) lgkmcnt(0)
	v_mul_f32_e32 v99, v96, v100
	v_mul_f32_e32 v100, v95, v100
	s_waitcnt vmcnt(0)
	v_fma_f32 v95, v95, v101, -v99
	v_fmac_f32_e32 v100, v96, v101
	v_add_f32_e32 v96, 0, v95
	v_add_f32_e32 v95, 0, v100
	s_and_saveexec_b64 s[12:13], s[4:5]
	s_cbranch_execz .LBB46_22
; %bb.21:
	buffer_load_dword v101, off, s[0:3], 0 offset:12
	buffer_load_dword v102, off, s[0:3], 0 offset:8
	v_mov_b32_e32 v99, 0
	ds_read_b64 v[99:100], v99 offset:392
	s_waitcnt vmcnt(1) lgkmcnt(0)
	v_mul_f32_e32 v103, v99, v101
	v_mul_f32_e32 v101, v100, v101
	s_waitcnt vmcnt(0)
	v_fmac_f32_e32 v103, v100, v102
	v_fma_f32 v99, v99, v102, -v101
	v_add_f32_e32 v95, v95, v103
	v_add_f32_e32 v96, v96, v99
.LBB46_22:
	s_or_b64 exec, exec, s[12:13]
	v_mov_b32_e32 v99, 0
	ds_read_b64 v[99:100], v99 offset:16
	s_waitcnt lgkmcnt(0)
	v_mul_f32_e32 v101, v95, v100
	v_mul_f32_e32 v100, v96, v100
	v_fma_f32 v96, v96, v99, -v101
	v_fmac_f32_e32 v100, v95, v99
	buffer_store_dword v96, off, s[0:3], 0 offset:16
	buffer_store_dword v100, off, s[0:3], 0 offset:20
.LBB46_23:
	s_or_b64 exec, exec, s[8:9]
	; wave barrier
	buffer_load_dword v95, off, s[0:3], 0 offset:24
	buffer_load_dword v96, off, s[0:3], 0 offset:28
	v_cmp_gt_u32_e32 vcc, 3, v0
	s_waitcnt vmcnt(0)
	ds_write_b64 v98, v[95:96]
	v_add_u32_e32 v95, -1, v0
	s_waitcnt lgkmcnt(0)
	; wave barrier
	s_and_saveexec_b64 s[4:5], vcc
	s_cbranch_execz .LBB46_27
; %bb.24:
	v_add_u32_e32 v99, -1, v0
	v_add_u32_e32 v100, 0x180, v97
	v_mov_b32_e32 v101, v97
	v_mov_b32_e32 v96, 0
	s_mov_b64 s[8:9], 0
	v_mov_b32_e32 v102, 0
.LBB46_25:                              ; =>This Inner Loop Header: Depth=1
	buffer_load_dword v105, v101, s[0:3], 0 offen offset:4
	buffer_load_dword v106, v101, s[0:3], 0 offen
	ds_read_b64 v[103:104], v100
	v_add_u32_e32 v99, 1, v99
	v_cmp_lt_u32_e32 vcc, 1, v99
	v_add_u32_e32 v100, 8, v100
	v_add_u32_e32 v101, 8, v101
	s_or_b64 s[8:9], vcc, s[8:9]
	s_waitcnt vmcnt(1) lgkmcnt(0)
	v_mul_f32_e32 v107, v104, v105
	v_mul_f32_e32 v105, v103, v105
	s_waitcnt vmcnt(0)
	v_fma_f32 v103, v103, v106, -v107
	v_fmac_f32_e32 v105, v104, v106
	v_add_f32_e32 v102, v102, v103
	v_add_f32_e32 v96, v96, v105
	s_andn2_b64 exec, exec, s[8:9]
	s_cbranch_execnz .LBB46_25
; %bb.26:
	s_or_b64 exec, exec, s[8:9]
	v_mov_b32_e32 v99, 0
	ds_read_b64 v[99:100], v99 offset:24
	s_waitcnt lgkmcnt(0)
	v_mul_f32_e32 v101, v96, v100
	v_mul_f32_e32 v100, v102, v100
	v_fma_f32 v101, v102, v99, -v101
	v_fmac_f32_e32 v100, v96, v99
	buffer_store_dword v101, off, s[0:3], 0 offset:24
	buffer_store_dword v100, off, s[0:3], 0 offset:28
.LBB46_27:
	s_or_b64 exec, exec, s[4:5]
	; wave barrier
	buffer_load_dword v99, off, s[0:3], 0 offset:32
	buffer_load_dword v100, off, s[0:3], 0 offset:36
	v_cmp_gt_u32_e32 vcc, 4, v0
	s_waitcnt vmcnt(0)
	ds_write_b64 v98, v[99:100]
	s_waitcnt lgkmcnt(0)
	; wave barrier
	s_and_saveexec_b64 s[4:5], vcc
	s_cbranch_execz .LBB46_31
; %bb.28:
	v_add_u32_e32 v99, -1, v0
	v_add_u32_e32 v100, 0x180, v97
	v_mov_b32_e32 v101, v97
	v_mov_b32_e32 v96, 0
	s_mov_b64 s[8:9], 0
	v_mov_b32_e32 v102, 0
.LBB46_29:                              ; =>This Inner Loop Header: Depth=1
	buffer_load_dword v105, v101, s[0:3], 0 offen offset:4
	buffer_load_dword v106, v101, s[0:3], 0 offen
	ds_read_b64 v[103:104], v100
	v_add_u32_e32 v99, 1, v99
	v_cmp_lt_u32_e32 vcc, 2, v99
	v_add_u32_e32 v100, 8, v100
	v_add_u32_e32 v101, 8, v101
	s_or_b64 s[8:9], vcc, s[8:9]
	s_waitcnt vmcnt(1) lgkmcnt(0)
	v_mul_f32_e32 v107, v104, v105
	v_mul_f32_e32 v105, v103, v105
	s_waitcnt vmcnt(0)
	v_fma_f32 v103, v103, v106, -v107
	v_fmac_f32_e32 v105, v104, v106
	v_add_f32_e32 v102, v102, v103
	v_add_f32_e32 v96, v96, v105
	s_andn2_b64 exec, exec, s[8:9]
	s_cbranch_execnz .LBB46_29
; %bb.30:
	s_or_b64 exec, exec, s[8:9]
	v_mov_b32_e32 v99, 0
	ds_read_b64 v[99:100], v99 offset:32
	s_waitcnt lgkmcnt(0)
	v_mul_f32_e32 v101, v96, v100
	v_mul_f32_e32 v100, v102, v100
	v_fma_f32 v101, v102, v99, -v101
	v_fmac_f32_e32 v100, v96, v99
	buffer_store_dword v101, off, s[0:3], 0 offset:32
	buffer_store_dword v100, off, s[0:3], 0 offset:36
.LBB46_31:
	s_or_b64 exec, exec, s[4:5]
	; wave barrier
	buffer_load_dword v99, off, s[0:3], 0 offset:40
	buffer_load_dword v100, off, s[0:3], 0 offset:44
	v_cmp_gt_u32_e32 vcc, 5, v0
	s_waitcnt vmcnt(0)
	ds_write_b64 v98, v[99:100]
	;; [unrolled: 49-line block ×19, first 2 shown]
	s_waitcnt lgkmcnt(0)
	; wave barrier
	s_and_saveexec_b64 s[4:5], vcc
	s_cbranch_execz .LBB46_103
; %bb.100:
	v_add_u32_e32 v99, -1, v0
	v_add_u32_e32 v100, 0x180, v97
	v_mov_b32_e32 v101, v97
	v_mov_b32_e32 v96, 0
	s_mov_b64 s[8:9], 0
	v_mov_b32_e32 v102, 0
.LBB46_101:                             ; =>This Inner Loop Header: Depth=1
	buffer_load_dword v105, v101, s[0:3], 0 offen offset:4
	buffer_load_dword v106, v101, s[0:3], 0 offen
	ds_read_b64 v[103:104], v100
	v_add_u32_e32 v99, 1, v99
	v_cmp_lt_u32_e32 vcc, 20, v99
	v_add_u32_e32 v100, 8, v100
	v_add_u32_e32 v101, 8, v101
	s_or_b64 s[8:9], vcc, s[8:9]
	s_waitcnt vmcnt(1) lgkmcnt(0)
	v_mul_f32_e32 v107, v104, v105
	v_mul_f32_e32 v105, v103, v105
	s_waitcnt vmcnt(0)
	v_fma_f32 v103, v103, v106, -v107
	v_fmac_f32_e32 v105, v104, v106
	v_add_f32_e32 v102, v102, v103
	v_add_f32_e32 v96, v96, v105
	s_andn2_b64 exec, exec, s[8:9]
	s_cbranch_execnz .LBB46_101
; %bb.102:
	s_or_b64 exec, exec, s[8:9]
	v_mov_b32_e32 v99, 0
	ds_read_b64 v[99:100], v99 offset:176
	s_waitcnt lgkmcnt(0)
	v_mul_f32_e32 v101, v96, v100
	v_mul_f32_e32 v100, v102, v100
	v_fma_f32 v101, v102, v99, -v101
	v_fmac_f32_e32 v100, v96, v99
	buffer_store_dword v101, off, s[0:3], 0 offset:176
	buffer_store_dword v100, off, s[0:3], 0 offset:180
.LBB46_103:
	s_or_b64 exec, exec, s[4:5]
	; wave barrier
	buffer_load_dword v99, off, s[0:3], 0 offset:184
	buffer_load_dword v100, off, s[0:3], 0 offset:188
	v_cmp_gt_u32_e32 vcc, 23, v0
	s_waitcnt vmcnt(0)
	ds_write_b64 v98, v[99:100]
	s_waitcnt lgkmcnt(0)
	; wave barrier
	s_and_saveexec_b64 s[4:5], vcc
	s_cbranch_execz .LBB46_107
; %bb.104:
	v_add_u32_e32 v99, -1, v0
	v_add_u32_e32 v100, 0x180, v97
	v_mov_b32_e32 v101, v97
	v_mov_b32_e32 v96, 0
	s_mov_b64 s[8:9], 0
	v_mov_b32_e32 v102, 0
.LBB46_105:                             ; =>This Inner Loop Header: Depth=1
	buffer_load_dword v105, v101, s[0:3], 0 offen offset:4
	buffer_load_dword v106, v101, s[0:3], 0 offen
	ds_read_b64 v[103:104], v100
	v_add_u32_e32 v99, 1, v99
	v_cmp_lt_u32_e32 vcc, 21, v99
	v_add_u32_e32 v100, 8, v100
	v_add_u32_e32 v101, 8, v101
	s_or_b64 s[8:9], vcc, s[8:9]
	s_waitcnt vmcnt(1) lgkmcnt(0)
	v_mul_f32_e32 v107, v104, v105
	v_mul_f32_e32 v105, v103, v105
	s_waitcnt vmcnt(0)
	v_fma_f32 v103, v103, v106, -v107
	v_fmac_f32_e32 v105, v104, v106
	v_add_f32_e32 v102, v102, v103
	v_add_f32_e32 v96, v96, v105
	s_andn2_b64 exec, exec, s[8:9]
	s_cbranch_execnz .LBB46_105
; %bb.106:
	s_or_b64 exec, exec, s[8:9]
	v_mov_b32_e32 v99, 0
	ds_read_b64 v[99:100], v99 offset:184
	s_waitcnt lgkmcnt(0)
	v_mul_f32_e32 v101, v96, v100
	v_mul_f32_e32 v100, v102, v100
	v_fma_f32 v101, v102, v99, -v101
	v_fmac_f32_e32 v100, v96, v99
	buffer_store_dword v101, off, s[0:3], 0 offset:184
	buffer_store_dword v100, off, s[0:3], 0 offset:188
.LBB46_107:
	s_or_b64 exec, exec, s[4:5]
	; wave barrier
	buffer_load_dword v99, off, s[0:3], 0 offset:192
	buffer_load_dword v100, off, s[0:3], 0 offset:196
	v_cmp_gt_u32_e32 vcc, 24, v0
	s_waitcnt vmcnt(0)
	ds_write_b64 v98, v[99:100]
	;; [unrolled: 49-line block ×23, first 2 shown]
	s_waitcnt lgkmcnt(0)
	; wave barrier
	s_and_saveexec_b64 s[4:5], vcc
	s_cbranch_execz .LBB46_195
; %bb.192:
	v_add_u32_e32 v99, -1, v0
	v_add_u32_e32 v100, 0x180, v97
	v_mov_b32_e32 v101, v97
	v_mov_b32_e32 v96, 0
	s_mov_b64 s[8:9], 0
	v_mov_b32_e32 v102, 0
.LBB46_193:                             ; =>This Inner Loop Header: Depth=1
	buffer_load_dword v105, v101, s[0:3], 0 offen offset:4
	buffer_load_dword v106, v101, s[0:3], 0 offen
	ds_read_b64 v[103:104], v100
	v_add_u32_e32 v99, 1, v99
	v_cmp_lt_u32_e32 vcc, 43, v99
	v_add_u32_e32 v100, 8, v100
	v_add_u32_e32 v101, 8, v101
	s_or_b64 s[8:9], vcc, s[8:9]
	s_waitcnt vmcnt(1) lgkmcnt(0)
	v_mul_f32_e32 v107, v104, v105
	v_mul_f32_e32 v105, v103, v105
	s_waitcnt vmcnt(0)
	v_fma_f32 v103, v103, v106, -v107
	v_fmac_f32_e32 v105, v104, v106
	v_add_f32_e32 v102, v102, v103
	v_add_f32_e32 v96, v96, v105
	s_andn2_b64 exec, exec, s[8:9]
	s_cbranch_execnz .LBB46_193
; %bb.194:
	s_or_b64 exec, exec, s[8:9]
	v_mov_b32_e32 v99, 0
	ds_read_b64 v[99:100], v99 offset:360
	s_waitcnt lgkmcnt(0)
	v_mul_f32_e32 v101, v96, v100
	v_mul_f32_e32 v100, v102, v100
	v_fma_f32 v101, v102, v99, -v101
	v_fmac_f32_e32 v100, v96, v99
	buffer_store_dword v101, off, s[0:3], 0 offset:360
	buffer_store_dword v100, off, s[0:3], 0 offset:364
.LBB46_195:
	s_or_b64 exec, exec, s[4:5]
	; wave barrier
	buffer_load_dword v99, off, s[0:3], 0 offset:368
	buffer_load_dword v100, off, s[0:3], 0 offset:372
	v_cmp_ne_u32_e32 vcc, 46, v0
	s_waitcnt vmcnt(0)
	ds_write_b64 v98, v[99:100]
	s_waitcnt lgkmcnt(0)
	; wave barrier
	s_and_saveexec_b64 s[4:5], vcc
	s_cbranch_execz .LBB46_199
; %bb.196:
	v_add_u32_e32 v98, 0x180, v97
	v_mov_b32_e32 v96, 0
	s_mov_b64 s[8:9], 0
	v_mov_b32_e32 v99, 0
.LBB46_197:                             ; =>This Inner Loop Header: Depth=1
	buffer_load_dword v102, v97, s[0:3], 0 offen offset:4
	buffer_load_dword v103, v97, s[0:3], 0 offen
	ds_read_b64 v[100:101], v98
	v_add_u32_e32 v95, 1, v95
	v_cmp_lt_u32_e32 vcc, 44, v95
	v_add_u32_e32 v98, 8, v98
	v_add_u32_e32 v97, 8, v97
	s_or_b64 s[8:9], vcc, s[8:9]
	s_waitcnt vmcnt(1) lgkmcnt(0)
	v_mul_f32_e32 v104, v101, v102
	v_mul_f32_e32 v102, v100, v102
	s_waitcnt vmcnt(0)
	v_fma_f32 v100, v100, v103, -v104
	v_fmac_f32_e32 v102, v101, v103
	v_add_f32_e32 v99, v99, v100
	v_add_f32_e32 v96, v96, v102
	s_andn2_b64 exec, exec, s[8:9]
	s_cbranch_execnz .LBB46_197
; %bb.198:
	s_or_b64 exec, exec, s[8:9]
	v_mov_b32_e32 v95, 0
	ds_read_b64 v[97:98], v95 offset:368
	s_waitcnt lgkmcnt(0)
	v_mul_f32_e32 v95, v96, v98
	v_mul_f32_e32 v98, v99, v98
	v_fma_f32 v95, v99, v97, -v95
	v_fmac_f32_e32 v98, v96, v97
	buffer_store_dword v95, off, s[0:3], 0 offset:368
	buffer_store_dword v98, off, s[0:3], 0 offset:372
.LBB46_199:
	s_or_b64 exec, exec, s[4:5]
	s_mov_b64 s[8:9], -1
	; wave barrier
.LBB46_200:
	s_and_b64 vcc, exec, s[8:9]
	s_cbranch_vccz .LBB46_202
; %bb.201:
	s_lshl_b64 s[4:5], s[6:7], 2
	s_add_u32 s4, s10, s4
	s_addc_u32 s5, s11, s5
	v_mov_b32_e32 v95, 0
	global_load_dword v95, v95, s[4:5]
	s_waitcnt vmcnt(0)
	v_cmp_ne_u32_e32 vcc, 0, v95
	s_cbranch_vccz .LBB46_203
.LBB46_202:
	s_endpgm
.LBB46_203:
	v_mov_b32_e32 v95, 0x180
	v_lshl_add_u32 v95, v0, 3, v95
	v_cmp_eq_u32_e32 vcc, 46, v0
	s_and_saveexec_b64 s[4:5], vcc
	s_cbranch_execz .LBB46_205
; %bb.204:
	buffer_load_dword v96, off, s[0:3], 0 offset:360
	buffer_load_dword v97, off, s[0:3], 0 offset:364
	v_mov_b32_e32 v98, 0
	buffer_store_dword v98, off, s[0:3], 0 offset:360
	buffer_store_dword v98, off, s[0:3], 0 offset:364
	s_waitcnt vmcnt(2)
	ds_write_b64 v95, v[96:97]
.LBB46_205:
	s_or_b64 exec, exec, s[4:5]
	s_waitcnt lgkmcnt(0)
	; wave barrier
	buffer_load_dword v99, off, s[0:3], 0 offset:372
	buffer_load_dword v100, off, s[0:3], 0 offset:368
	;; [unrolled: 1-line block ×4, first 2 shown]
	v_mov_b32_e32 v96, 0
	ds_read_b64 v[97:98], v96 offset:752
	v_cmp_lt_u32_e32 vcc, 44, v0
	s_waitcnt vmcnt(3) lgkmcnt(0)
	v_mul_f32_e32 v103, v97, v99
	v_mul_f32_e32 v99, v98, v99
	s_waitcnt vmcnt(2)
	v_fma_f32 v97, v97, v100, -v99
	v_fmac_f32_e32 v103, v98, v100
	v_add_f32_e32 v97, 0, v97
	v_add_f32_e32 v98, 0, v103
	s_waitcnt vmcnt(1)
	v_sub_f32_e32 v97, v101, v97
	s_waitcnt vmcnt(0)
	v_sub_f32_e32 v98, v102, v98
	buffer_store_dword v97, off, s[0:3], 0 offset:360
	buffer_store_dword v98, off, s[0:3], 0 offset:364
	s_and_saveexec_b64 s[4:5], vcc
	s_cbranch_execz .LBB46_207
; %bb.206:
	buffer_load_dword v97, off, s[0:3], 0 offset:352
	buffer_load_dword v98, off, s[0:3], 0 offset:356
	s_waitcnt vmcnt(0)
	ds_write_b64 v95, v[97:98]
	buffer_store_dword v96, off, s[0:3], 0 offset:352
	buffer_store_dword v96, off, s[0:3], 0 offset:356
.LBB46_207:
	s_or_b64 exec, exec, s[4:5]
	s_waitcnt lgkmcnt(0)
	; wave barrier
	buffer_load_dword v100, off, s[0:3], 0 offset:364
	buffer_load_dword v101, off, s[0:3], 0 offset:372
	buffer_load_dword v102, off, s[0:3], 0 offset:360
	buffer_load_dword v103, off, s[0:3], 0 offset:368
	buffer_load_dword v104, off, s[0:3], 0 offset:352
	buffer_load_dword v105, off, s[0:3], 0 offset:356
	ds_read2_b64 v[96:99], v96 offset0:93 offset1:94
	v_cmp_lt_u32_e32 vcc, 43, v0
	s_waitcnt vmcnt(5) lgkmcnt(0)
	v_mul_f32_e32 v106, v96, v100
	v_mul_f32_e32 v100, v97, v100
	s_waitcnt vmcnt(4)
	v_mul_f32_e32 v107, v98, v101
	v_mul_f32_e32 v101, v99, v101
	s_waitcnt vmcnt(3)
	v_fma_f32 v96, v96, v102, -v100
	v_fmac_f32_e32 v106, v97, v102
	s_waitcnt vmcnt(2)
	v_fma_f32 v97, v98, v103, -v101
	v_add_f32_e32 v96, 0, v96
	v_fmac_f32_e32 v107, v99, v103
	v_add_f32_e32 v98, 0, v106
	v_add_f32_e32 v96, v96, v97
	;; [unrolled: 1-line block ×3, first 2 shown]
	s_waitcnt vmcnt(1)
	v_sub_f32_e32 v96, v104, v96
	s_waitcnt vmcnt(0)
	v_sub_f32_e32 v97, v105, v98
	buffer_store_dword v96, off, s[0:3], 0 offset:352
	buffer_store_dword v97, off, s[0:3], 0 offset:356
	s_and_saveexec_b64 s[4:5], vcc
	s_cbranch_execz .LBB46_209
; %bb.208:
	buffer_load_dword v96, off, s[0:3], 0 offset:344
	buffer_load_dword v97, off, s[0:3], 0 offset:348
	v_mov_b32_e32 v98, 0
	buffer_store_dword v98, off, s[0:3], 0 offset:344
	buffer_store_dword v98, off, s[0:3], 0 offset:348
	s_waitcnt vmcnt(2)
	ds_write_b64 v95, v[96:97]
.LBB46_209:
	s_or_b64 exec, exec, s[4:5]
	s_waitcnt lgkmcnt(0)
	; wave barrier
	buffer_load_dword v103, off, s[0:3], 0 offset:356
	buffer_load_dword v104, off, s[0:3], 0 offset:364
	;; [unrolled: 1-line block ×8, first 2 shown]
	v_mov_b32_e32 v96, 0
	ds_read_b128 v[97:100], v96 offset:736
	ds_read_b64 v[101:102], v96 offset:752
	v_cmp_lt_u32_e32 vcc, 42, v0
	s_waitcnt vmcnt(7) lgkmcnt(1)
	v_mul_f32_e32 v111, v97, v103
	v_mul_f32_e32 v103, v98, v103
	s_waitcnt vmcnt(6)
	v_mul_f32_e32 v112, v99, v104
	v_mul_f32_e32 v104, v100, v104
	s_waitcnt vmcnt(4)
	v_fma_f32 v97, v97, v106, -v103
	s_waitcnt lgkmcnt(0)
	v_mul_f32_e32 v113, v101, v105
	v_mul_f32_e32 v105, v102, v105
	v_fmac_f32_e32 v111, v98, v106
	s_waitcnt vmcnt(3)
	v_fma_f32 v98, v99, v107, -v104
	v_add_f32_e32 v97, 0, v97
	v_fmac_f32_e32 v112, v100, v107
	s_waitcnt vmcnt(2)
	v_fma_f32 v99, v101, v108, -v105
	v_add_f32_e32 v100, 0, v111
	v_add_f32_e32 v97, v97, v98
	v_fmac_f32_e32 v113, v102, v108
	v_add_f32_e32 v100, v100, v112
	v_add_f32_e32 v97, v97, v99
	;; [unrolled: 1-line block ×3, first 2 shown]
	s_waitcnt vmcnt(1)
	v_sub_f32_e32 v97, v109, v97
	s_waitcnt vmcnt(0)
	v_sub_f32_e32 v98, v110, v98
	buffer_store_dword v97, off, s[0:3], 0 offset:344
	buffer_store_dword v98, off, s[0:3], 0 offset:348
	s_and_saveexec_b64 s[4:5], vcc
	s_cbranch_execz .LBB46_211
; %bb.210:
	buffer_load_dword v97, off, s[0:3], 0 offset:336
	buffer_load_dword v98, off, s[0:3], 0 offset:340
	s_waitcnt vmcnt(0)
	ds_write_b64 v95, v[97:98]
	buffer_store_dword v96, off, s[0:3], 0 offset:336
	buffer_store_dword v96, off, s[0:3], 0 offset:340
.LBB46_211:
	s_or_b64 exec, exec, s[4:5]
	s_waitcnt lgkmcnt(0)
	; wave barrier
	buffer_load_dword v105, off, s[0:3], 0 offset:348
	buffer_load_dword v106, off, s[0:3], 0 offset:356
	;; [unrolled: 1-line block ×10, first 2 shown]
	ds_read2_b64 v[97:100], v96 offset0:91 offset1:92
	ds_read2_b64 v[101:104], v96 offset0:93 offset1:94
	v_cmp_lt_u32_e32 vcc, 41, v0
	s_waitcnt vmcnt(9) lgkmcnt(1)
	v_mul_f32_e32 v96, v97, v105
	v_mul_f32_e32 v105, v98, v105
	s_waitcnt vmcnt(8)
	v_mul_f32_e32 v115, v99, v106
	v_mul_f32_e32 v106, v100, v106
	s_waitcnt vmcnt(5)
	v_fma_f32 v97, v97, v109, -v105
	s_waitcnt lgkmcnt(0)
	v_mul_f32_e32 v116, v101, v107
	v_mul_f32_e32 v107, v102, v107
	v_fmac_f32_e32 v96, v98, v109
	s_waitcnt vmcnt(4)
	v_fma_f32 v98, v99, v110, -v106
	v_add_f32_e32 v97, 0, v97
	v_mul_f32_e32 v117, v103, v108
	v_mul_f32_e32 v108, v104, v108
	v_fmac_f32_e32 v115, v100, v110
	s_waitcnt vmcnt(3)
	v_fma_f32 v99, v101, v111, -v107
	v_add_f32_e32 v96, 0, v96
	v_add_f32_e32 v97, v97, v98
	v_fmac_f32_e32 v116, v102, v111
	s_waitcnt vmcnt(2)
	v_fma_f32 v100, v103, v112, -v108
	v_add_f32_e32 v96, v96, v115
	v_add_f32_e32 v97, v97, v99
	v_fmac_f32_e32 v117, v104, v112
	v_add_f32_e32 v96, v96, v116
	v_add_f32_e32 v97, v97, v100
	;; [unrolled: 1-line block ×3, first 2 shown]
	s_waitcnt vmcnt(1)
	v_sub_f32_e32 v97, v113, v97
	s_waitcnt vmcnt(0)
	v_sub_f32_e32 v96, v114, v96
	buffer_store_dword v97, off, s[0:3], 0 offset:336
	buffer_store_dword v96, off, s[0:3], 0 offset:340
	s_and_saveexec_b64 s[4:5], vcc
	s_cbranch_execz .LBB46_213
; %bb.212:
	buffer_load_dword v96, off, s[0:3], 0 offset:328
	buffer_load_dword v97, off, s[0:3], 0 offset:332
	v_mov_b32_e32 v98, 0
	buffer_store_dword v98, off, s[0:3], 0 offset:328
	buffer_store_dword v98, off, s[0:3], 0 offset:332
	s_waitcnt vmcnt(2)
	ds_write_b64 v95, v[96:97]
.LBB46_213:
	s_or_b64 exec, exec, s[4:5]
	s_waitcnt lgkmcnt(0)
	; wave barrier
	buffer_load_dword v107, off, s[0:3], 0 offset:340
	buffer_load_dword v108, off, s[0:3], 0 offset:348
	buffer_load_dword v109, off, s[0:3], 0 offset:356
	buffer_load_dword v110, off, s[0:3], 0 offset:364
	buffer_load_dword v111, off, s[0:3], 0 offset:372
	buffer_load_dword v112, off, s[0:3], 0 offset:336
	buffer_load_dword v113, off, s[0:3], 0 offset:344
	buffer_load_dword v114, off, s[0:3], 0 offset:352
	buffer_load_dword v115, off, s[0:3], 0 offset:360
	buffer_load_dword v116, off, s[0:3], 0 offset:368
	buffer_load_dword v117, off, s[0:3], 0 offset:328
	buffer_load_dword v118, off, s[0:3], 0 offset:332
	v_mov_b32_e32 v96, 0
	ds_read_b128 v[97:100], v96 offset:720
	ds_read_b128 v[101:104], v96 offset:736
	ds_read_b64 v[105:106], v96 offset:752
	v_cmp_lt_u32_e32 vcc, 40, v0
	s_waitcnt vmcnt(11) lgkmcnt(2)
	v_mul_f32_e32 v119, v97, v107
	v_mul_f32_e32 v107, v98, v107
	s_waitcnt vmcnt(10)
	v_mul_f32_e32 v120, v99, v108
	v_mul_f32_e32 v108, v100, v108
	s_waitcnt vmcnt(9) lgkmcnt(1)
	v_mul_f32_e32 v121, v101, v109
	s_waitcnt vmcnt(6)
	v_fma_f32 v97, v97, v112, -v107
	v_mul_f32_e32 v109, v102, v109
	v_fmac_f32_e32 v119, v98, v112
	s_waitcnt vmcnt(5)
	v_fma_f32 v98, v99, v113, -v108
	v_add_f32_e32 v97, 0, v97
	v_mul_f32_e32 v122, v103, v110
	v_mul_f32_e32 v110, v104, v110
	v_fmac_f32_e32 v120, v100, v113
	s_waitcnt vmcnt(4)
	v_fmac_f32_e32 v121, v102, v114
	v_fma_f32 v99, v101, v114, -v109
	v_add_f32_e32 v102, 0, v119
	v_add_f32_e32 v97, v97, v98
	s_waitcnt lgkmcnt(0)
	v_mul_f32_e32 v123, v105, v111
	v_mul_f32_e32 v111, v106, v111
	s_waitcnt vmcnt(3)
	v_fma_f32 v100, v103, v115, -v110
	v_add_f32_e32 v102, v102, v120
	v_add_f32_e32 v97, v97, v99
	v_fmac_f32_e32 v122, v104, v115
	s_waitcnt vmcnt(2)
	v_fma_f32 v101, v105, v116, -v111
	v_add_f32_e32 v98, v102, v121
	v_add_f32_e32 v97, v97, v100
	v_fmac_f32_e32 v123, v106, v116
	v_add_f32_e32 v98, v98, v122
	v_add_f32_e32 v97, v97, v101
	v_add_f32_e32 v98, v98, v123
	s_waitcnt vmcnt(1)
	v_sub_f32_e32 v97, v117, v97
	s_waitcnt vmcnt(0)
	v_sub_f32_e32 v98, v118, v98
	buffer_store_dword v97, off, s[0:3], 0 offset:328
	buffer_store_dword v98, off, s[0:3], 0 offset:332
	s_and_saveexec_b64 s[4:5], vcc
	s_cbranch_execz .LBB46_215
; %bb.214:
	buffer_load_dword v97, off, s[0:3], 0 offset:320
	buffer_load_dword v98, off, s[0:3], 0 offset:324
	s_waitcnt vmcnt(0)
	ds_write_b64 v95, v[97:98]
	buffer_store_dword v96, off, s[0:3], 0 offset:320
	buffer_store_dword v96, off, s[0:3], 0 offset:324
.LBB46_215:
	s_or_b64 exec, exec, s[4:5]
	s_waitcnt lgkmcnt(0)
	; wave barrier
	ds_read2_b64 v[97:100], v96 offset0:89 offset1:90
	buffer_load_dword v109, off, s[0:3], 0 offset:320
	buffer_load_dword v110, off, s[0:3], 0 offset:324
	buffer_load_dword v111, off, s[0:3], 0 offset:328
	buffer_load_dword v112, off, s[0:3], 0 offset:332
	buffer_load_dword v113, off, s[0:3], 0 offset:336
	buffer_load_dword v114, off, s[0:3], 0 offset:340
	buffer_load_dword v115, off, s[0:3], 0 offset:344
	buffer_load_dword v116, off, s[0:3], 0 offset:348
	buffer_load_dword v117, off, s[0:3], 0 offset:352
	buffer_load_dword v118, off, s[0:3], 0 offset:356
	buffer_load_dword v119, off, s[0:3], 0 offset:360
	buffer_load_dword v120, off, s[0:3], 0 offset:364
	buffer_load_dword v121, off, s[0:3], 0 offset:368
	buffer_load_dword v122, off, s[0:3], 0 offset:372
	v_cmp_lt_u32_e32 vcc, 39, v0
	s_waitcnt vmcnt(10) lgkmcnt(0)
	v_mul_f32_e32 v101, v97, v112
	v_fmac_f32_e32 v101, v98, v111
	s_waitcnt vmcnt(8)
	v_mul_f32_e32 v102, v99, v114
	v_add_f32_e32 v101, 0, v101
	v_fmac_f32_e32 v102, v100, v113
	v_add_f32_e32 v105, v101, v102
	ds_read2_b64 v[101:104], v96 offset0:91 offset1:92
	v_mul_f32_e32 v98, v98, v112
	v_fma_f32 v97, v97, v111, -v98
	v_mul_f32_e32 v98, v100, v114
	v_add_f32_e32 v97, 0, v97
	s_waitcnt vmcnt(6) lgkmcnt(0)
	v_mul_f32_e32 v106, v101, v116
	v_fmac_f32_e32 v106, v102, v115
	v_add_f32_e32 v105, v105, v106
	s_waitcnt vmcnt(4)
	v_mul_f32_e32 v106, v103, v118
	v_fmac_f32_e32 v106, v104, v117
	v_add_f32_e32 v123, v105, v106
	ds_read2_b64 v[105:108], v96 offset0:93 offset1:94
	v_fma_f32 v98, v99, v113, -v98
	v_add_f32_e32 v97, v97, v98
	v_mul_f32_e32 v98, v102, v116
	v_fma_f32 v98, v101, v115, -v98
	v_add_f32_e32 v97, v97, v98
	v_mul_f32_e32 v98, v104, v118
	v_fma_f32 v98, v103, v117, -v98
	v_add_f32_e32 v97, v97, v98
	s_waitcnt vmcnt(2) lgkmcnt(0)
	v_mul_f32_e32 v98, v106, v120
	v_mul_f32_e32 v96, v105, v120
	v_fma_f32 v98, v105, v119, -v98
	v_fmac_f32_e32 v96, v106, v119
	v_add_f32_e32 v97, v97, v98
	s_waitcnt vmcnt(0)
	v_mul_f32_e32 v98, v108, v122
	v_add_f32_e32 v96, v123, v96
	v_mul_f32_e32 v123, v107, v122
	v_fma_f32 v98, v107, v121, -v98
	v_fmac_f32_e32 v123, v108, v121
	v_add_f32_e32 v97, v97, v98
	v_add_f32_e32 v96, v96, v123
	v_sub_f32_e32 v97, v109, v97
	v_sub_f32_e32 v96, v110, v96
	buffer_store_dword v97, off, s[0:3], 0 offset:320
	buffer_store_dword v96, off, s[0:3], 0 offset:324
	s_and_saveexec_b64 s[4:5], vcc
	s_cbranch_execz .LBB46_217
; %bb.216:
	buffer_load_dword v96, off, s[0:3], 0 offset:312
	buffer_load_dword v97, off, s[0:3], 0 offset:316
	v_mov_b32_e32 v98, 0
	buffer_store_dword v98, off, s[0:3], 0 offset:312
	buffer_store_dword v98, off, s[0:3], 0 offset:316
	s_waitcnt vmcnt(2)
	ds_write_b64 v95, v[96:97]
.LBB46_217:
	s_or_b64 exec, exec, s[4:5]
	s_waitcnt lgkmcnt(0)
	; wave barrier
	buffer_load_dword v111, off, s[0:3], 0 offset:324
	buffer_load_dword v112, off, s[0:3], 0 offset:332
	;; [unrolled: 1-line block ×16, first 2 shown]
	v_mov_b32_e32 v96, 0
	ds_read_b128 v[97:100], v96 offset:704
	ds_read_b128 v[101:104], v96 offset:720
	;; [unrolled: 1-line block ×3, first 2 shown]
	ds_read_b64 v[109:110], v96 offset:752
	v_cmp_lt_u32_e32 vcc, 38, v0
	s_waitcnt vmcnt(15) lgkmcnt(3)
	v_mul_f32_e32 v127, v97, v111
	v_mul_f32_e32 v111, v98, v111
	s_waitcnt vmcnt(14)
	v_mul_f32_e32 v128, v99, v112
	v_mul_f32_e32 v112, v100, v112
	s_waitcnt vmcnt(13) lgkmcnt(2)
	v_mul_f32_e32 v129, v101, v113
	s_waitcnt vmcnt(12)
	v_mul_f32_e32 v130, v103, v114
	v_mul_f32_e32 v113, v102, v113
	s_waitcnt vmcnt(8)
	v_fma_f32 v97, v97, v118, -v111
	v_fmac_f32_e32 v127, v98, v118
	s_waitcnt vmcnt(7)
	v_fma_f32 v98, v99, v119, -v112
	v_add_f32_e32 v97, 0, v97
	v_mul_f32_e32 v114, v104, v114
	v_fmac_f32_e32 v128, v100, v119
	s_waitcnt vmcnt(5)
	v_fmac_f32_e32 v130, v104, v121
	v_fma_f32 v99, v101, v120, -v113
	v_add_f32_e32 v104, 0, v127
	v_add_f32_e32 v97, v97, v98
	s_waitcnt lgkmcnt(1)
	v_mul_f32_e32 v131, v105, v115
	v_mul_f32_e32 v115, v106, v115
	v_fmac_f32_e32 v129, v102, v120
	v_fma_f32 v100, v103, v121, -v114
	v_add_f32_e32 v104, v104, v128
	v_add_f32_e32 v97, v97, v99
	v_mul_f32_e32 v132, v107, v116
	v_mul_f32_e32 v116, v108, v116
	s_waitcnt vmcnt(4)
	v_fma_f32 v101, v105, v122, -v115
	v_add_f32_e32 v98, v104, v129
	v_add_f32_e32 v97, v97, v100
	s_waitcnt lgkmcnt(0)
	v_mul_f32_e32 v133, v109, v117
	v_mul_f32_e32 v117, v110, v117
	v_fmac_f32_e32 v131, v106, v122
	s_waitcnt vmcnt(3)
	v_fma_f32 v102, v107, v123, -v116
	v_add_f32_e32 v98, v98, v130
	v_add_f32_e32 v97, v97, v101
	v_fmac_f32_e32 v132, v108, v123
	s_waitcnt vmcnt(2)
	v_fma_f32 v103, v109, v124, -v117
	v_add_f32_e32 v98, v98, v131
	v_add_f32_e32 v97, v97, v102
	v_fmac_f32_e32 v133, v110, v124
	v_add_f32_e32 v98, v98, v132
	v_add_f32_e32 v97, v97, v103
	;; [unrolled: 1-line block ×3, first 2 shown]
	s_waitcnt vmcnt(1)
	v_sub_f32_e32 v97, v125, v97
	s_waitcnt vmcnt(0)
	v_sub_f32_e32 v98, v126, v98
	buffer_store_dword v97, off, s[0:3], 0 offset:312
	buffer_store_dword v98, off, s[0:3], 0 offset:316
	s_and_saveexec_b64 s[4:5], vcc
	s_cbranch_execz .LBB46_219
; %bb.218:
	buffer_load_dword v97, off, s[0:3], 0 offset:304
	buffer_load_dword v98, off, s[0:3], 0 offset:308
	s_waitcnt vmcnt(0)
	ds_write_b64 v95, v[97:98]
	buffer_store_dword v96, off, s[0:3], 0 offset:304
	buffer_store_dword v96, off, s[0:3], 0 offset:308
.LBB46_219:
	s_or_b64 exec, exec, s[4:5]
	s_waitcnt lgkmcnt(0)
	; wave barrier
	buffer_load_dword v113, off, s[0:3], 0 offset:316
	buffer_load_dword v114, off, s[0:3], 0 offset:324
	;; [unrolled: 1-line block ×18, first 2 shown]
	ds_read2_b64 v[97:100], v96 offset0:87 offset1:88
	ds_read2_b64 v[101:104], v96 offset0:89 offset1:90
	ds_read2_b64 v[105:108], v96 offset0:91 offset1:92
	ds_read2_b64 v[109:112], v96 offset0:93 offset1:94
	v_cmp_lt_u32_e32 vcc, 37, v0
	s_waitcnt vmcnt(17) lgkmcnt(3)
	v_mul_f32_e32 v96, v97, v113
	v_mul_f32_e32 v113, v98, v113
	s_waitcnt vmcnt(16)
	v_mul_f32_e32 v131, v99, v114
	v_mul_f32_e32 v114, v100, v114
	s_waitcnt vmcnt(15) lgkmcnt(2)
	v_mul_f32_e32 v132, v101, v115
	v_mul_f32_e32 v115, v102, v115
	s_waitcnt vmcnt(14)
	v_mul_f32_e32 v133, v103, v116
	v_mul_f32_e32 v116, v104, v116
	s_waitcnt vmcnt(9)
	v_fma_f32 v97, v97, v121, -v113
	v_fmac_f32_e32 v96, v98, v121
	s_waitcnt vmcnt(8)
	v_fma_f32 v98, v99, v122, -v114
	v_add_f32_e32 v97, 0, v97
	v_fmac_f32_e32 v131, v100, v122
	s_waitcnt vmcnt(7)
	v_fma_f32 v99, v101, v123, -v115
	v_add_f32_e32 v96, 0, v96
	v_add_f32_e32 v97, v97, v98
	s_waitcnt lgkmcnt(1)
	v_mul_f32_e32 v134, v105, v117
	v_mul_f32_e32 v117, v106, v117
	v_fmac_f32_e32 v132, v102, v123
	s_waitcnt vmcnt(6)
	v_fma_f32 v100, v103, v124, -v116
	v_add_f32_e32 v96, v96, v131
	v_add_f32_e32 v97, v97, v99
	v_mul_f32_e32 v135, v107, v118
	v_mul_f32_e32 v118, v108, v118
	v_fmac_f32_e32 v133, v104, v124
	s_waitcnt vmcnt(5)
	v_fma_f32 v101, v105, v125, -v117
	v_add_f32_e32 v96, v96, v132
	v_add_f32_e32 v97, v97, v100
	s_waitcnt lgkmcnt(0)
	v_mul_f32_e32 v136, v109, v119
	v_mul_f32_e32 v119, v110, v119
	v_fmac_f32_e32 v134, v106, v125
	s_waitcnt vmcnt(4)
	v_fma_f32 v102, v107, v126, -v118
	v_add_f32_e32 v96, v96, v133
	v_add_f32_e32 v97, v97, v101
	v_mul_f32_e32 v137, v111, v120
	v_mul_f32_e32 v120, v112, v120
	v_fmac_f32_e32 v135, v108, v126
	s_waitcnt vmcnt(3)
	v_fma_f32 v103, v109, v127, -v119
	v_add_f32_e32 v96, v96, v134
	v_add_f32_e32 v97, v97, v102
	v_fmac_f32_e32 v136, v110, v127
	s_waitcnt vmcnt(2)
	v_fma_f32 v104, v111, v128, -v120
	v_add_f32_e32 v96, v96, v135
	v_add_f32_e32 v97, v97, v103
	v_fmac_f32_e32 v137, v112, v128
	v_add_f32_e32 v96, v96, v136
	v_add_f32_e32 v97, v97, v104
	;; [unrolled: 1-line block ×3, first 2 shown]
	s_waitcnt vmcnt(1)
	v_sub_f32_e32 v97, v129, v97
	s_waitcnt vmcnt(0)
	v_sub_f32_e32 v96, v130, v96
	buffer_store_dword v97, off, s[0:3], 0 offset:304
	buffer_store_dword v96, off, s[0:3], 0 offset:308
	s_and_saveexec_b64 s[4:5], vcc
	s_cbranch_execz .LBB46_221
; %bb.220:
	buffer_load_dword v96, off, s[0:3], 0 offset:296
	buffer_load_dword v97, off, s[0:3], 0 offset:300
	v_mov_b32_e32 v98, 0
	buffer_store_dword v98, off, s[0:3], 0 offset:296
	buffer_store_dword v98, off, s[0:3], 0 offset:300
	s_waitcnt vmcnt(2)
	ds_write_b64 v95, v[96:97]
.LBB46_221:
	s_or_b64 exec, exec, s[4:5]
	s_waitcnt lgkmcnt(0)
	; wave barrier
	buffer_load_dword v115, off, s[0:3], 0 offset:308
	buffer_load_dword v116, off, s[0:3], 0 offset:316
	;; [unrolled: 1-line block ×20, first 2 shown]
	v_mov_b32_e32 v96, 0
	ds_read_b128 v[97:100], v96 offset:688
	ds_read_b128 v[101:104], v96 offset:704
	;; [unrolled: 1-line block ×4, first 2 shown]
	ds_read_b64 v[113:114], v96 offset:752
	v_cmp_lt_u32_e32 vcc, 36, v0
	s_waitcnt vmcnt(19) lgkmcnt(4)
	v_mul_f32_e32 v135, v97, v115
	v_mul_f32_e32 v115, v98, v115
	s_waitcnt vmcnt(18)
	v_mul_f32_e32 v136, v99, v116
	v_mul_f32_e32 v116, v100, v116
	s_waitcnt vmcnt(17) lgkmcnt(3)
	v_mul_f32_e32 v137, v101, v117
	s_waitcnt vmcnt(15) lgkmcnt(2)
	v_mul_f32_e32 v139, v105, v119
	v_mul_f32_e32 v117, v102, v117
	;; [unrolled: 1-line block ×4, first 2 shown]
	s_waitcnt vmcnt(10)
	v_fma_f32 v97, v97, v124, -v115
	v_fmac_f32_e32 v135, v98, v124
	s_waitcnt vmcnt(9)
	v_fma_f32 v98, v99, v125, -v116
	v_add_f32_e32 v97, 0, v97
	v_mul_f32_e32 v119, v106, v119
	v_fmac_f32_e32 v136, v100, v125
	s_waitcnt vmcnt(6)
	v_fmac_f32_e32 v139, v106, v128
	v_fma_f32 v99, v101, v126, -v117
	v_add_f32_e32 v106, 0, v135
	v_add_f32_e32 v97, v97, v98
	v_fmac_f32_e32 v137, v102, v126
	v_fma_f32 v100, v103, v127, -v118
	v_add_f32_e32 v106, v106, v136
	v_add_f32_e32 v97, v97, v99
	v_mul_f32_e32 v140, v107, v120
	v_mul_f32_e32 v120, v108, v120
	v_fmac_f32_e32 v138, v104, v127
	v_fma_f32 v101, v105, v128, -v119
	v_add_f32_e32 v98, v106, v137
	v_add_f32_e32 v97, v97, v100
	s_waitcnt lgkmcnt(1)
	v_mul_f32_e32 v141, v109, v121
	v_mul_f32_e32 v121, v110, v121
	s_waitcnt vmcnt(5)
	v_fma_f32 v102, v107, v129, -v120
	v_add_f32_e32 v98, v98, v138
	v_add_f32_e32 v97, v97, v101
	v_mul_f32_e32 v142, v111, v122
	v_mul_f32_e32 v122, v112, v122
	v_fmac_f32_e32 v140, v108, v129
	s_waitcnt vmcnt(4)
	v_fma_f32 v103, v109, v130, -v121
	v_add_f32_e32 v98, v98, v139
	v_add_f32_e32 v97, v97, v102
	s_waitcnt lgkmcnt(0)
	v_mul_f32_e32 v143, v113, v123
	v_mul_f32_e32 v123, v114, v123
	v_fmac_f32_e32 v141, v110, v130
	s_waitcnt vmcnt(3)
	v_fma_f32 v104, v111, v131, -v122
	v_add_f32_e32 v98, v98, v140
	v_add_f32_e32 v97, v97, v103
	v_fmac_f32_e32 v142, v112, v131
	s_waitcnt vmcnt(2)
	v_fma_f32 v105, v113, v132, -v123
	v_add_f32_e32 v98, v98, v141
	v_add_f32_e32 v97, v97, v104
	v_fmac_f32_e32 v143, v114, v132
	v_add_f32_e32 v98, v98, v142
	v_add_f32_e32 v97, v97, v105
	;; [unrolled: 1-line block ×3, first 2 shown]
	s_waitcnt vmcnt(1)
	v_sub_f32_e32 v97, v133, v97
	s_waitcnt vmcnt(0)
	v_sub_f32_e32 v98, v134, v98
	buffer_store_dword v97, off, s[0:3], 0 offset:296
	buffer_store_dword v98, off, s[0:3], 0 offset:300
	s_and_saveexec_b64 s[4:5], vcc
	s_cbranch_execz .LBB46_223
; %bb.222:
	buffer_load_dword v97, off, s[0:3], 0 offset:288
	buffer_load_dword v98, off, s[0:3], 0 offset:292
	s_waitcnt vmcnt(0)
	ds_write_b64 v95, v[97:98]
	buffer_store_dword v96, off, s[0:3], 0 offset:288
	buffer_store_dword v96, off, s[0:3], 0 offset:292
.LBB46_223:
	s_or_b64 exec, exec, s[4:5]
	s_waitcnt lgkmcnt(0)
	; wave barrier
	buffer_load_dword v117, off, s[0:3], 0 offset:300
	buffer_load_dword v118, off, s[0:3], 0 offset:308
	;; [unrolled: 1-line block ×22, first 2 shown]
	ds_read2_b64 v[97:100], v96 offset0:85 offset1:86
	ds_read2_b64 v[101:104], v96 offset0:87 offset1:88
	;; [unrolled: 1-line block ×5, first 2 shown]
	v_cmp_lt_u32_e32 vcc, 35, v0
	s_waitcnt vmcnt(21) lgkmcnt(4)
	v_mul_f32_e32 v96, v97, v117
	v_mul_f32_e32 v117, v98, v117
	s_waitcnt vmcnt(20)
	v_mul_f32_e32 v139, v99, v118
	v_mul_f32_e32 v118, v100, v118
	s_waitcnt vmcnt(19) lgkmcnt(3)
	v_mul_f32_e32 v140, v101, v119
	v_mul_f32_e32 v119, v102, v119
	s_waitcnt vmcnt(18)
	v_mul_f32_e32 v141, v103, v120
	v_mul_f32_e32 v120, v104, v120
	s_waitcnt vmcnt(17) lgkmcnt(2)
	v_mul_f32_e32 v142, v105, v121
	v_mul_f32_e32 v121, v106, v121
	s_waitcnt vmcnt(11)
	v_fma_f32 v97, v97, v127, -v117
	v_fmac_f32_e32 v96, v98, v127
	s_waitcnt vmcnt(10)
	v_fma_f32 v98, v99, v128, -v118
	v_add_f32_e32 v97, 0, v97
	v_fmac_f32_e32 v139, v100, v128
	s_waitcnt vmcnt(9)
	v_fma_f32 v99, v101, v129, -v119
	v_add_f32_e32 v96, 0, v96
	v_add_f32_e32 v97, v97, v98
	v_fmac_f32_e32 v140, v102, v129
	s_waitcnt vmcnt(8)
	v_fma_f32 v100, v103, v130, -v120
	v_add_f32_e32 v96, v96, v139
	v_add_f32_e32 v97, v97, v99
	v_mul_f32_e32 v143, v107, v122
	v_mul_f32_e32 v122, v108, v122
	v_fmac_f32_e32 v141, v104, v130
	s_waitcnt vmcnt(7)
	v_fma_f32 v101, v105, v131, -v121
	v_add_f32_e32 v96, v96, v140
	v_add_f32_e32 v97, v97, v100
	s_waitcnt lgkmcnt(1)
	v_mul_f32_e32 v144, v109, v123
	v_mul_f32_e32 v123, v110, v123
	v_fmac_f32_e32 v142, v106, v131
	s_waitcnt vmcnt(6)
	v_fma_f32 v102, v107, v132, -v122
	v_add_f32_e32 v96, v96, v141
	v_add_f32_e32 v97, v97, v101
	v_mul_f32_e32 v145, v111, v124
	v_mul_f32_e32 v124, v112, v124
	v_fmac_f32_e32 v143, v108, v132
	s_waitcnt vmcnt(5)
	v_fma_f32 v103, v109, v133, -v123
	v_add_f32_e32 v96, v96, v142
	v_add_f32_e32 v97, v97, v102
	s_waitcnt lgkmcnt(0)
	v_mul_f32_e32 v146, v113, v125
	v_mul_f32_e32 v125, v114, v125
	v_fmac_f32_e32 v144, v110, v133
	s_waitcnt vmcnt(4)
	v_fma_f32 v104, v111, v134, -v124
	v_add_f32_e32 v96, v96, v143
	v_add_f32_e32 v97, v97, v103
	v_mul_f32_e32 v147, v115, v126
	v_mul_f32_e32 v126, v116, v126
	v_fmac_f32_e32 v145, v112, v134
	s_waitcnt vmcnt(3)
	v_fma_f32 v105, v113, v135, -v125
	v_add_f32_e32 v96, v96, v144
	v_add_f32_e32 v97, v97, v104
	v_fmac_f32_e32 v146, v114, v135
	s_waitcnt vmcnt(2)
	v_fma_f32 v106, v115, v136, -v126
	v_add_f32_e32 v96, v96, v145
	v_add_f32_e32 v97, v97, v105
	v_fmac_f32_e32 v147, v116, v136
	v_add_f32_e32 v96, v96, v146
	v_add_f32_e32 v97, v97, v106
	;; [unrolled: 1-line block ×3, first 2 shown]
	s_waitcnt vmcnt(1)
	v_sub_f32_e32 v97, v137, v97
	s_waitcnt vmcnt(0)
	v_sub_f32_e32 v96, v138, v96
	buffer_store_dword v97, off, s[0:3], 0 offset:288
	buffer_store_dword v96, off, s[0:3], 0 offset:292
	s_and_saveexec_b64 s[4:5], vcc
	s_cbranch_execz .LBB46_225
; %bb.224:
	buffer_load_dword v96, off, s[0:3], 0 offset:280
	buffer_load_dword v97, off, s[0:3], 0 offset:284
	v_mov_b32_e32 v98, 0
	buffer_store_dword v98, off, s[0:3], 0 offset:280
	buffer_store_dword v98, off, s[0:3], 0 offset:284
	s_waitcnt vmcnt(2)
	ds_write_b64 v95, v[96:97]
.LBB46_225:
	s_or_b64 exec, exec, s[4:5]
	s_waitcnt lgkmcnt(0)
	; wave barrier
	buffer_load_dword v119, off, s[0:3], 0 offset:292
	buffer_load_dword v120, off, s[0:3], 0 offset:300
	buffer_load_dword v121, off, s[0:3], 0 offset:308
	buffer_load_dword v122, off, s[0:3], 0 offset:316
	buffer_load_dword v123, off, s[0:3], 0 offset:324
	buffer_load_dword v124, off, s[0:3], 0 offset:332
	buffer_load_dword v125, off, s[0:3], 0 offset:340
	buffer_load_dword v126, off, s[0:3], 0 offset:348
	buffer_load_dword v127, off, s[0:3], 0 offset:356
	buffer_load_dword v128, off, s[0:3], 0 offset:364
	buffer_load_dword v129, off, s[0:3], 0 offset:372
	buffer_load_dword v130, off, s[0:3], 0 offset:288
	buffer_load_dword v131, off, s[0:3], 0 offset:296
	buffer_load_dword v132, off, s[0:3], 0 offset:304
	buffer_load_dword v133, off, s[0:3], 0 offset:312
	buffer_load_dword v134, off, s[0:3], 0 offset:320
	buffer_load_dword v135, off, s[0:3], 0 offset:328
	buffer_load_dword v136, off, s[0:3], 0 offset:336
	buffer_load_dword v137, off, s[0:3], 0 offset:344
	buffer_load_dword v138, off, s[0:3], 0 offset:352
	buffer_load_dword v139, off, s[0:3], 0 offset:360
	buffer_load_dword v140, off, s[0:3], 0 offset:368
	buffer_load_dword v141, off, s[0:3], 0 offset:280
	buffer_load_dword v142, off, s[0:3], 0 offset:284
	v_mov_b32_e32 v96, 0
	ds_read_b128 v[97:100], v96 offset:672
	ds_read_b128 v[101:104], v96 offset:688
	;; [unrolled: 1-line block ×5, first 2 shown]
	ds_read_b64 v[117:118], v96 offset:752
	v_cmp_lt_u32_e32 vcc, 34, v0
	s_waitcnt vmcnt(23) lgkmcnt(5)
	v_mul_f32_e32 v143, v97, v119
	v_mul_f32_e32 v119, v98, v119
	s_waitcnt vmcnt(22)
	v_mul_f32_e32 v144, v99, v120
	v_mul_f32_e32 v120, v100, v120
	s_waitcnt vmcnt(21) lgkmcnt(4)
	v_mul_f32_e32 v145, v101, v121
	v_mul_f32_e32 v121, v102, v121
	s_waitcnt vmcnt(20)
	v_mul_f32_e32 v146, v103, v122
	s_waitcnt vmcnt(19) lgkmcnt(3)
	v_mul_f32_e32 v147, v105, v123
	v_mul_f32_e32 v122, v104, v122
	;; [unrolled: 1-line block ×3, first 2 shown]
	s_waitcnt vmcnt(18)
	v_mul_f32_e32 v148, v107, v124
	s_waitcnt vmcnt(12)
	v_fma_f32 v97, v97, v130, -v119
	v_fmac_f32_e32 v143, v98, v130
	s_waitcnt vmcnt(11)
	v_fma_f32 v98, v99, v131, -v120
	v_add_f32_e32 v97, 0, v97
	s_waitcnt vmcnt(10)
	v_fma_f32 v99, v101, v132, -v121
	v_add_f32_e32 v97, v97, v98
	v_fmac_f32_e32 v144, v100, v131
	s_waitcnt vmcnt(8)
	v_fmac_f32_e32 v147, v106, v134
	v_fma_f32 v100, v103, v133, -v122
	v_add_f32_e32 v106, 0, v143
	v_add_f32_e32 v97, v97, v99
	v_mul_f32_e32 v124, v108, v124
	v_fmac_f32_e32 v145, v102, v132
	v_fma_f32 v101, v105, v134, -v123
	v_add_f32_e32 v106, v106, v144
	v_add_f32_e32 v97, v97, v100
	s_waitcnt lgkmcnt(2)
	v_mul_f32_e32 v149, v109, v125
	v_mul_f32_e32 v125, v110, v125
	v_fmac_f32_e32 v146, v104, v133
	s_waitcnt vmcnt(7)
	v_fma_f32 v102, v107, v135, -v124
	v_add_f32_e32 v98, v106, v145
	v_add_f32_e32 v97, v97, v101
	v_mul_f32_e32 v150, v111, v126
	v_mul_f32_e32 v126, v112, v126
	s_waitcnt vmcnt(6)
	v_fma_f32 v103, v109, v136, -v125
	v_add_f32_e32 v98, v98, v146
	v_add_f32_e32 v97, v97, v102
	s_waitcnt lgkmcnt(1)
	v_mul_f32_e32 v151, v113, v127
	v_mul_f32_e32 v127, v114, v127
	v_fmac_f32_e32 v148, v108, v135
	s_waitcnt vmcnt(5)
	v_fma_f32 v104, v111, v137, -v126
	v_add_f32_e32 v98, v98, v147
	v_add_f32_e32 v97, v97, v103
	v_fmac_f32_e32 v149, v110, v136
	s_waitcnt vmcnt(4)
	v_fma_f32 v105, v113, v138, -v127
	v_add_f32_e32 v98, v98, v148
	v_add_f32_e32 v97, v97, v104
	v_mul_f32_e32 v99, v116, v128
	v_fmac_f32_e32 v150, v112, v137
	v_add_f32_e32 v98, v98, v149
	v_add_f32_e32 v97, v97, v105
	s_waitcnt vmcnt(3)
	v_fma_f32 v99, v115, v139, -v99
	v_mul_f32_e32 v152, v115, v128
	v_fmac_f32_e32 v151, v114, v138
	v_add_f32_e32 v98, v98, v150
	v_add_f32_e32 v97, v97, v99
	s_waitcnt lgkmcnt(0)
	v_mul_f32_e32 v99, v118, v129
	v_mul_f32_e32 v153, v117, v129
	v_fmac_f32_e32 v152, v116, v139
	v_add_f32_e32 v98, v98, v151
	s_waitcnt vmcnt(2)
	v_fma_f32 v99, v117, v140, -v99
	v_fmac_f32_e32 v153, v118, v140
	v_add_f32_e32 v98, v98, v152
	v_add_f32_e32 v97, v97, v99
	;; [unrolled: 1-line block ×3, first 2 shown]
	s_waitcnt vmcnt(1)
	v_sub_f32_e32 v97, v141, v97
	s_waitcnt vmcnt(0)
	v_sub_f32_e32 v98, v142, v98
	buffer_store_dword v97, off, s[0:3], 0 offset:280
	buffer_store_dword v98, off, s[0:3], 0 offset:284
	s_and_saveexec_b64 s[4:5], vcc
	s_cbranch_execz .LBB46_227
; %bb.226:
	buffer_load_dword v97, off, s[0:3], 0 offset:272
	buffer_load_dword v98, off, s[0:3], 0 offset:276
	s_waitcnt vmcnt(0)
	ds_write_b64 v95, v[97:98]
	buffer_store_dword v96, off, s[0:3], 0 offset:272
	buffer_store_dword v96, off, s[0:3], 0 offset:276
.LBB46_227:
	s_or_b64 exec, exec, s[4:5]
	s_waitcnt lgkmcnt(0)
	; wave barrier
	buffer_load_dword v121, off, s[0:3], 0 offset:284
	buffer_load_dword v122, off, s[0:3], 0 offset:292
	;; [unrolled: 1-line block ×26, first 2 shown]
	ds_read2_b64 v[97:100], v96 offset0:83 offset1:84
	ds_read2_b64 v[101:104], v96 offset0:85 offset1:86
	;; [unrolled: 1-line block ×6, first 2 shown]
	v_cmp_lt_u32_e32 vcc, 33, v0
	s_waitcnt vmcnt(25) lgkmcnt(5)
	v_mul_f32_e32 v96, v97, v121
	v_mul_f32_e32 v121, v98, v121
	s_waitcnt vmcnt(24)
	v_mul_f32_e32 v147, v99, v122
	v_mul_f32_e32 v122, v100, v122
	s_waitcnt vmcnt(23) lgkmcnt(4)
	v_mul_f32_e32 v148, v101, v123
	v_mul_f32_e32 v123, v102, v123
	s_waitcnt vmcnt(22)
	v_mul_f32_e32 v149, v103, v124
	v_mul_f32_e32 v124, v104, v124
	;; [unrolled: 6-line block ×3, first 2 shown]
	s_waitcnt vmcnt(13)
	v_fma_f32 v97, v97, v133, -v121
	v_fmac_f32_e32 v96, v98, v133
	s_waitcnt vmcnt(12)
	v_fma_f32 v98, v99, v134, -v122
	v_add_f32_e32 v97, 0, v97
	s_waitcnt vmcnt(11)
	v_fma_f32 v99, v101, v135, -v123
	v_add_f32_e32 v97, v97, v98
	v_fmac_f32_e32 v147, v100, v134
	s_waitcnt vmcnt(10)
	v_fma_f32 v100, v103, v136, -v124
	v_add_f32_e32 v97, v97, v99
	s_waitcnt vmcnt(9)
	v_fma_f32 v101, v105, v137, -v125
	v_add_f32_e32 v97, v97, v100
	s_waitcnt lgkmcnt(2)
	v_mul_f32_e32 v152, v109, v127
	v_mul_f32_e32 v127, v110, v127
	v_fmac_f32_e32 v148, v102, v135
	s_waitcnt vmcnt(8)
	v_fma_f32 v102, v107, v138, -v126
	v_add_f32_e32 v96, 0, v96
	v_add_f32_e32 v97, v97, v101
	v_mul_f32_e32 v153, v111, v128
	v_mul_f32_e32 v128, v112, v128
	s_waitcnt vmcnt(7)
	v_fma_f32 v103, v109, v139, -v127
	v_add_f32_e32 v96, v96, v147
	v_add_f32_e32 v97, v97, v102
	v_fmac_f32_e32 v149, v104, v136
	s_waitcnt vmcnt(6)
	v_fma_f32 v104, v111, v140, -v128
	v_add_f32_e32 v96, v96, v148
	v_add_f32_e32 v97, v97, v103
	s_waitcnt lgkmcnt(1)
	v_mul_f32_e32 v98, v114, v129
	v_fmac_f32_e32 v150, v106, v137
	v_add_f32_e32 v96, v96, v149
	v_add_f32_e32 v97, v97, v104
	s_waitcnt vmcnt(5)
	v_fma_f32 v98, v113, v141, -v98
	v_fmac_f32_e32 v151, v108, v138
	v_add_f32_e32 v96, v96, v150
	v_add_f32_e32 v97, v97, v98
	v_mul_f32_e32 v98, v116, v130
	v_fmac_f32_e32 v152, v110, v139
	v_add_f32_e32 v96, v96, v151
	s_waitcnt vmcnt(4)
	v_fma_f32 v98, v115, v142, -v98
	v_mul_f32_e32 v154, v113, v129
	v_fmac_f32_e32 v153, v112, v140
	v_add_f32_e32 v96, v96, v152
	v_add_f32_e32 v97, v97, v98
	s_waitcnt lgkmcnt(0)
	v_mul_f32_e32 v98, v118, v131
	v_mul_f32_e32 v155, v115, v130
	v_fmac_f32_e32 v154, v114, v141
	v_add_f32_e32 v96, v96, v153
	s_waitcnt vmcnt(3)
	v_fma_f32 v98, v117, v143, -v98
	v_mul_f32_e32 v156, v117, v131
	v_fmac_f32_e32 v155, v116, v142
	v_add_f32_e32 v96, v96, v154
	v_add_f32_e32 v97, v97, v98
	v_mul_f32_e32 v98, v120, v132
	v_mul_f32_e32 v157, v119, v132
	v_fmac_f32_e32 v156, v118, v143
	v_add_f32_e32 v96, v96, v155
	s_waitcnt vmcnt(2)
	v_fma_f32 v98, v119, v144, -v98
	v_fmac_f32_e32 v157, v120, v144
	v_add_f32_e32 v96, v96, v156
	v_add_f32_e32 v97, v97, v98
	;; [unrolled: 1-line block ×3, first 2 shown]
	s_waitcnt vmcnt(1)
	v_sub_f32_e32 v97, v145, v97
	s_waitcnt vmcnt(0)
	v_sub_f32_e32 v96, v146, v96
	buffer_store_dword v97, off, s[0:3], 0 offset:272
	buffer_store_dword v96, off, s[0:3], 0 offset:276
	s_and_saveexec_b64 s[4:5], vcc
	s_cbranch_execz .LBB46_229
; %bb.228:
	buffer_load_dword v96, off, s[0:3], 0 offset:264
	buffer_load_dword v97, off, s[0:3], 0 offset:268
	v_mov_b32_e32 v98, 0
	buffer_store_dword v98, off, s[0:3], 0 offset:264
	buffer_store_dword v98, off, s[0:3], 0 offset:268
	s_waitcnt vmcnt(2)
	ds_write_b64 v95, v[96:97]
.LBB46_229:
	s_or_b64 exec, exec, s[4:5]
	s_waitcnt lgkmcnt(0)
	; wave barrier
	buffer_load_dword v123, off, s[0:3], 0 offset:276
	buffer_load_dword v124, off, s[0:3], 0 offset:284
	;; [unrolled: 1-line block ×28, first 2 shown]
	v_mov_b32_e32 v96, 0
	ds_read_b128 v[97:100], v96 offset:656
	ds_read_b128 v[101:104], v96 offset:672
	;; [unrolled: 1-line block ×6, first 2 shown]
	ds_read_b64 v[121:122], v96 offset:752
	v_cmp_lt_u32_e32 vcc, 32, v0
	s_waitcnt vmcnt(27) lgkmcnt(6)
	v_mul_f32_e32 v151, v97, v123
	v_mul_f32_e32 v123, v98, v123
	s_waitcnt vmcnt(26)
	v_mul_f32_e32 v152, v99, v124
	v_mul_f32_e32 v124, v100, v124
	s_waitcnt vmcnt(25) lgkmcnt(5)
	v_mul_f32_e32 v153, v101, v125
	v_mul_f32_e32 v125, v102, v125
	s_waitcnt vmcnt(24)
	v_mul_f32_e32 v154, v103, v126
	v_mul_f32_e32 v126, v104, v126
	;; [unrolled: 6-line block ×3, first 2 shown]
	s_waitcnt vmcnt(21) lgkmcnt(3)
	v_mul_f32_e32 v157, v109, v129
	s_waitcnt vmcnt(14)
	v_fma_f32 v97, v97, v136, -v123
	v_fmac_f32_e32 v151, v98, v136
	s_waitcnt vmcnt(13)
	v_fma_f32 v98, v99, v137, -v124
	v_add_f32_e32 v97, 0, v97
	s_waitcnt vmcnt(12)
	v_fma_f32 v99, v101, v138, -v125
	v_add_f32_e32 v97, v97, v98
	v_fmac_f32_e32 v152, v100, v137
	s_waitcnt vmcnt(11)
	v_fma_f32 v100, v103, v139, -v126
	v_add_f32_e32 v97, v97, v99
	s_waitcnt vmcnt(10)
	v_fma_f32 v101, v105, v140, -v127
	v_add_f32_e32 v97, v97, v100
	v_fmac_f32_e32 v153, v102, v138
	s_waitcnt vmcnt(9)
	v_fma_f32 v102, v107, v141, -v128
	v_add_f32_e32 v97, v97, v101
	v_mul_f32_e32 v99, v110, v129
	v_add_f32_e32 v97, v97, v102
	s_waitcnt vmcnt(8)
	v_fma_f32 v99, v109, v142, -v99
	v_add_f32_e32 v97, v97, v99
	v_mul_f32_e32 v99, v112, v130
	v_add_f32_e32 v103, 0, v151
	s_waitcnt vmcnt(7)
	v_fma_f32 v99, v111, v143, -v99
	v_add_f32_e32 v103, v103, v152
	v_add_f32_e32 v97, v97, v99
	s_waitcnt lgkmcnt(2)
	v_mul_f32_e32 v99, v114, v131
	v_fmac_f32_e32 v154, v104, v139
	v_add_f32_e32 v98, v103, v153
	s_waitcnt vmcnt(6)
	v_fma_f32 v99, v113, v144, -v99
	v_fmac_f32_e32 v155, v106, v140
	v_add_f32_e32 v98, v98, v154
	v_add_f32_e32 v97, v97, v99
	v_mul_f32_e32 v99, v116, v132
	v_fmac_f32_e32 v156, v108, v141
	v_add_f32_e32 v98, v98, v155
	s_waitcnt vmcnt(5)
	v_fma_f32 v99, v115, v145, -v99
	v_mul_f32_e32 v158, v111, v130
	v_fmac_f32_e32 v157, v110, v142
	v_add_f32_e32 v98, v98, v156
	v_add_f32_e32 v97, v97, v99
	s_waitcnt lgkmcnt(1)
	v_mul_f32_e32 v99, v118, v133
	v_mul_f32_e32 v159, v113, v131
	v_fmac_f32_e32 v158, v112, v143
	v_add_f32_e32 v98, v98, v157
	s_waitcnt vmcnt(4)
	v_fma_f32 v99, v117, v146, -v99
	v_mul_f32_e32 v160, v115, v132
	v_fmac_f32_e32 v159, v114, v144
	v_add_f32_e32 v98, v98, v158
	v_add_f32_e32 v97, v97, v99
	v_mul_f32_e32 v99, v120, v134
	v_mul_f32_e32 v161, v117, v133
	v_fmac_f32_e32 v160, v116, v145
	v_add_f32_e32 v98, v98, v159
	s_waitcnt vmcnt(3)
	v_fma_f32 v99, v119, v147, -v99
	v_mul_f32_e32 v162, v119, v134
	v_fmac_f32_e32 v161, v118, v146
	v_add_f32_e32 v98, v98, v160
	v_add_f32_e32 v97, v97, v99
	s_waitcnt lgkmcnt(0)
	v_mul_f32_e32 v99, v122, v135
	v_mul_f32_e32 v163, v121, v135
	v_fmac_f32_e32 v162, v120, v147
	v_add_f32_e32 v98, v98, v161
	s_waitcnt vmcnt(2)
	v_fma_f32 v99, v121, v148, -v99
	v_fmac_f32_e32 v163, v122, v148
	v_add_f32_e32 v98, v98, v162
	v_add_f32_e32 v97, v97, v99
	;; [unrolled: 1-line block ×3, first 2 shown]
	s_waitcnt vmcnt(1)
	v_sub_f32_e32 v97, v149, v97
	s_waitcnt vmcnt(0)
	v_sub_f32_e32 v98, v150, v98
	buffer_store_dword v97, off, s[0:3], 0 offset:264
	buffer_store_dword v98, off, s[0:3], 0 offset:268
	s_and_saveexec_b64 s[4:5], vcc
	s_cbranch_execz .LBB46_231
; %bb.230:
	buffer_load_dword v97, off, s[0:3], 0 offset:256
	buffer_load_dword v98, off, s[0:3], 0 offset:260
	s_waitcnt vmcnt(0)
	ds_write_b64 v95, v[97:98]
	buffer_store_dword v96, off, s[0:3], 0 offset:256
	buffer_store_dword v96, off, s[0:3], 0 offset:260
.LBB46_231:
	s_or_b64 exec, exec, s[4:5]
	s_waitcnt lgkmcnt(0)
	; wave barrier
	buffer_load_dword v125, off, s[0:3], 0 offset:268
	buffer_load_dword v126, off, s[0:3], 0 offset:276
	;; [unrolled: 1-line block ×30, first 2 shown]
	ds_read2_b64 v[97:100], v96 offset0:81 offset1:82
	ds_read2_b64 v[101:104], v96 offset0:83 offset1:84
	;; [unrolled: 1-line block ×7, first 2 shown]
	v_cmp_lt_u32_e32 vcc, 31, v0
	s_waitcnt vmcnt(29) lgkmcnt(6)
	v_mul_f32_e32 v96, v97, v125
	v_mul_f32_e32 v125, v98, v125
	s_waitcnt vmcnt(28)
	v_mul_f32_e32 v155, v99, v126
	v_mul_f32_e32 v126, v100, v126
	s_waitcnt vmcnt(27) lgkmcnt(5)
	v_mul_f32_e32 v156, v101, v127
	v_mul_f32_e32 v127, v102, v127
	s_waitcnt vmcnt(26)
	v_mul_f32_e32 v157, v103, v128
	v_mul_f32_e32 v128, v104, v128
	s_waitcnt vmcnt(25) lgkmcnt(4)
	v_mul_f32_e32 v158, v105, v129
	v_mul_f32_e32 v129, v106, v129
	s_waitcnt vmcnt(24)
	v_mul_f32_e32 v159, v107, v130
	s_waitcnt vmcnt(23) lgkmcnt(3)
	v_mul_f32_e32 v160, v109, v131
	s_waitcnt vmcnt(22)
	v_mul_f32_e32 v161, v111, v132
	s_waitcnt vmcnt(21) lgkmcnt(2)
	v_mul_f32_e32 v162, v113, v133
	s_waitcnt vmcnt(15)
	v_fma_f32 v97, v97, v139, -v125
	v_fmac_f32_e32 v96, v98, v139
	s_waitcnt vmcnt(14)
	v_fma_f32 v98, v99, v140, -v126
	v_add_f32_e32 v97, 0, v97
	s_waitcnt vmcnt(13)
	v_fma_f32 v99, v101, v141, -v127
	v_add_f32_e32 v97, v97, v98
	v_fmac_f32_e32 v155, v100, v140
	s_waitcnt vmcnt(12)
	v_fma_f32 v100, v103, v142, -v128
	v_add_f32_e32 v97, v97, v99
	s_waitcnt vmcnt(11)
	v_fma_f32 v101, v105, v143, -v129
	v_add_f32_e32 v97, v97, v100
	v_mul_f32_e32 v98, v108, v130
	v_add_f32_e32 v97, v97, v101
	s_waitcnt vmcnt(10)
	v_fma_f32 v98, v107, v144, -v98
	v_add_f32_e32 v97, v97, v98
	v_mul_f32_e32 v98, v110, v131
	s_waitcnt vmcnt(9)
	v_fma_f32 v98, v109, v145, -v98
	v_add_f32_e32 v97, v97, v98
	v_mul_f32_e32 v98, v112, v132
	s_waitcnt vmcnt(8)
	v_fma_f32 v98, v111, v146, -v98
	v_add_f32_e32 v96, 0, v96
	v_add_f32_e32 v97, v97, v98
	v_mul_f32_e32 v98, v114, v133
	v_fmac_f32_e32 v156, v102, v141
	v_add_f32_e32 v96, v96, v155
	s_waitcnt vmcnt(7)
	v_fma_f32 v98, v113, v147, -v98
	v_fmac_f32_e32 v157, v104, v142
	v_add_f32_e32 v96, v96, v156
	v_add_f32_e32 v97, v97, v98
	v_mul_f32_e32 v98, v116, v134
	v_fmac_f32_e32 v158, v106, v143
	v_add_f32_e32 v96, v96, v157
	s_waitcnt vmcnt(6)
	v_fma_f32 v98, v115, v148, -v98
	v_fmac_f32_e32 v159, v108, v144
	v_add_f32_e32 v96, v96, v158
	v_add_f32_e32 v97, v97, v98
	s_waitcnt lgkmcnt(1)
	v_mul_f32_e32 v98, v118, v135
	v_fmac_f32_e32 v160, v110, v145
	v_add_f32_e32 v96, v96, v159
	s_waitcnt vmcnt(5)
	v_fma_f32 v98, v117, v149, -v98
	v_fmac_f32_e32 v161, v112, v146
	v_add_f32_e32 v96, v96, v160
	v_add_f32_e32 v97, v97, v98
	v_mul_f32_e32 v98, v120, v136
	v_mul_f32_e32 v163, v115, v134
	v_fmac_f32_e32 v162, v114, v147
	v_add_f32_e32 v96, v96, v161
	s_waitcnt vmcnt(4)
	v_fma_f32 v98, v119, v150, -v98
	v_mul_f32_e32 v164, v117, v135
	v_fmac_f32_e32 v163, v116, v148
	v_add_f32_e32 v96, v96, v162
	v_add_f32_e32 v97, v97, v98
	s_waitcnt lgkmcnt(0)
	v_mul_f32_e32 v98, v122, v137
	v_mul_f32_e32 v165, v119, v136
	v_fmac_f32_e32 v164, v118, v149
	v_add_f32_e32 v96, v96, v163
	s_waitcnt vmcnt(3)
	v_fma_f32 v98, v121, v151, -v98
	v_mul_f32_e32 v166, v121, v137
	v_fmac_f32_e32 v165, v120, v150
	v_add_f32_e32 v96, v96, v164
	v_add_f32_e32 v97, v97, v98
	v_mul_f32_e32 v98, v124, v138
	v_mul_f32_e32 v167, v123, v138
	v_fmac_f32_e32 v166, v122, v151
	v_add_f32_e32 v96, v96, v165
	s_waitcnt vmcnt(2)
	v_fma_f32 v98, v123, v152, -v98
	v_fmac_f32_e32 v167, v124, v152
	v_add_f32_e32 v96, v96, v166
	v_add_f32_e32 v97, v97, v98
	;; [unrolled: 1-line block ×3, first 2 shown]
	s_waitcnt vmcnt(1)
	v_sub_f32_e32 v97, v153, v97
	s_waitcnt vmcnt(0)
	v_sub_f32_e32 v96, v154, v96
	buffer_store_dword v97, off, s[0:3], 0 offset:256
	buffer_store_dword v96, off, s[0:3], 0 offset:260
	s_and_saveexec_b64 s[4:5], vcc
	s_cbranch_execz .LBB46_233
; %bb.232:
	buffer_load_dword v96, off, s[0:3], 0 offset:248
	buffer_load_dword v97, off, s[0:3], 0 offset:252
	v_mov_b32_e32 v98, 0
	buffer_store_dword v98, off, s[0:3], 0 offset:248
	buffer_store_dword v98, off, s[0:3], 0 offset:252
	s_waitcnt vmcnt(2)
	ds_write_b64 v95, v[96:97]
.LBB46_233:
	s_or_b64 exec, exec, s[4:5]
	s_waitcnt lgkmcnt(0)
	; wave barrier
	buffer_load_dword v127, off, s[0:3], 0 offset:260
	buffer_load_dword v128, off, s[0:3], 0 offset:268
	;; [unrolled: 1-line block ×32, first 2 shown]
	v_mov_b32_e32 v96, 0
	ds_read_b128 v[97:100], v96 offset:640
	ds_read_b128 v[101:104], v96 offset:656
	;; [unrolled: 1-line block ×7, first 2 shown]
	ds_read_b64 v[125:126], v96 offset:752
	v_cmp_lt_u32_e32 vcc, 30, v0
	s_waitcnt vmcnt(31) lgkmcnt(7)
	v_mul_f32_e32 v159, v97, v127
	v_mul_f32_e32 v127, v98, v127
	s_waitcnt vmcnt(30)
	v_mul_f32_e32 v160, v99, v128
	v_mul_f32_e32 v128, v100, v128
	s_waitcnt vmcnt(29) lgkmcnt(6)
	v_mul_f32_e32 v161, v101, v129
	v_mul_f32_e32 v129, v102, v129
	s_waitcnt vmcnt(28)
	v_mul_f32_e32 v162, v103, v130
	s_waitcnt vmcnt(27) lgkmcnt(5)
	v_mul_f32_e32 v163, v105, v131
	s_waitcnt vmcnt(26)
	v_mul_f32_e32 v164, v107, v132
	s_waitcnt vmcnt(25) lgkmcnt(4)
	;; [unrolled: 4-line block ×4, first 2 shown]
	v_mul_f32_e32 v169, v117, v137
	s_waitcnt vmcnt(20)
	v_mul_f32_e32 v170, v119, v138
	s_waitcnt vmcnt(16)
	v_fma_f32 v97, v97, v142, -v127
	v_fmac_f32_e32 v159, v98, v142
	s_waitcnt vmcnt(15)
	v_fma_f32 v98, v99, v143, -v128
	v_add_f32_e32 v97, 0, v97
	s_waitcnt vmcnt(14)
	v_fma_f32 v99, v101, v144, -v129
	v_add_f32_e32 v97, v97, v98
	v_add_f32_e32 v97, v97, v99
	v_mul_f32_e32 v99, v104, v130
	s_waitcnt vmcnt(13)
	v_fma_f32 v99, v103, v145, -v99
	v_add_f32_e32 v97, v97, v99
	v_mul_f32_e32 v99, v106, v131
	s_waitcnt vmcnt(12)
	v_fma_f32 v99, v105, v146, -v99
	;; [unrolled: 4-line block ×5, first 2 shown]
	v_add_f32_e32 v97, v97, v99
	v_mul_f32_e32 v99, v114, v135
	v_fmac_f32_e32 v160, v100, v143
	v_add_f32_e32 v100, 0, v159
	s_waitcnt vmcnt(8)
	v_fma_f32 v99, v113, v150, -v99
	v_fmac_f32_e32 v161, v102, v144
	v_add_f32_e32 v100, v100, v160
	v_add_f32_e32 v97, v97, v99
	v_mul_f32_e32 v99, v116, v136
	v_fmac_f32_e32 v162, v104, v145
	v_add_f32_e32 v98, v100, v161
	s_waitcnt vmcnt(7)
	v_fma_f32 v99, v115, v151, -v99
	v_fmac_f32_e32 v163, v106, v146
	v_add_f32_e32 v98, v98, v162
	;; [unrolled: 8-line block ×4, first 2 shown]
	v_add_f32_e32 v97, v97, v99
	s_waitcnt lgkmcnt(1)
	v_mul_f32_e32 v99, v122, v139
	v_fmac_f32_e32 v168, v116, v151
	v_add_f32_e32 v98, v98, v167
	s_waitcnt vmcnt(4)
	v_fma_f32 v99, v121, v154, -v99
	v_fmac_f32_e32 v169, v118, v152
	v_add_f32_e32 v98, v98, v168
	v_add_f32_e32 v97, v97, v99
	v_mul_f32_e32 v99, v124, v140
	v_mul_f32_e32 v171, v121, v139
	v_fmac_f32_e32 v170, v120, v153
	v_add_f32_e32 v98, v98, v169
	s_waitcnt vmcnt(3)
	v_fma_f32 v99, v123, v155, -v99
	v_mul_f32_e32 v172, v123, v140
	v_fmac_f32_e32 v171, v122, v154
	v_add_f32_e32 v98, v98, v170
	v_add_f32_e32 v97, v97, v99
	s_waitcnt lgkmcnt(0)
	v_mul_f32_e32 v99, v126, v141
	v_mul_f32_e32 v173, v125, v141
	v_fmac_f32_e32 v172, v124, v155
	v_add_f32_e32 v98, v98, v171
	s_waitcnt vmcnt(2)
	v_fma_f32 v99, v125, v156, -v99
	v_fmac_f32_e32 v173, v126, v156
	v_add_f32_e32 v98, v98, v172
	v_add_f32_e32 v97, v97, v99
	;; [unrolled: 1-line block ×3, first 2 shown]
	s_waitcnt vmcnt(1)
	v_sub_f32_e32 v97, v157, v97
	s_waitcnt vmcnt(0)
	v_sub_f32_e32 v98, v158, v98
	buffer_store_dword v97, off, s[0:3], 0 offset:248
	buffer_store_dword v98, off, s[0:3], 0 offset:252
	s_and_saveexec_b64 s[4:5], vcc
	s_cbranch_execz .LBB46_235
; %bb.234:
	buffer_load_dword v97, off, s[0:3], 0 offset:240
	buffer_load_dword v98, off, s[0:3], 0 offset:244
	s_waitcnt vmcnt(0)
	ds_write_b64 v95, v[97:98]
	buffer_store_dword v96, off, s[0:3], 0 offset:240
	buffer_store_dword v96, off, s[0:3], 0 offset:244
.LBB46_235:
	s_or_b64 exec, exec, s[4:5]
	s_waitcnt lgkmcnt(0)
	; wave barrier
	buffer_load_dword v129, off, s[0:3], 0 offset:252
	buffer_load_dword v130, off, s[0:3], 0 offset:260
	;; [unrolled: 1-line block ×34, first 2 shown]
	ds_read2_b64 v[97:100], v96 offset0:79 offset1:80
	ds_read2_b64 v[101:104], v96 offset0:81 offset1:82
	;; [unrolled: 1-line block ×8, first 2 shown]
	v_cmp_lt_u32_e32 vcc, 29, v0
	s_waitcnt vmcnt(33) lgkmcnt(7)
	v_mul_f32_e32 v96, v97, v129
	v_mul_f32_e32 v129, v98, v129
	s_waitcnt vmcnt(32)
	v_mul_f32_e32 v163, v99, v130
	v_mul_f32_e32 v130, v100, v130
	s_waitcnt vmcnt(31) lgkmcnt(6)
	v_mul_f32_e32 v164, v101, v131
	s_waitcnt vmcnt(30)
	v_mul_f32_e32 v165, v103, v132
	s_waitcnt vmcnt(29) lgkmcnt(5)
	v_mul_f32_e32 v166, v105, v133
	s_waitcnt vmcnt(28)
	v_mul_f32_e32 v167, v107, v134
	s_waitcnt vmcnt(27) lgkmcnt(4)
	v_mul_f32_e32 v168, v109, v135
	s_waitcnt vmcnt(26)
	v_mul_f32_e32 v169, v111, v136
	s_waitcnt vmcnt(25) lgkmcnt(3)
	v_mul_f32_e32 v170, v113, v137
	s_waitcnt vmcnt(24)
	v_mul_f32_e32 v171, v115, v138
	s_waitcnt vmcnt(23) lgkmcnt(2)
	v_mul_f32_e32 v172, v117, v139
	s_waitcnt vmcnt(22)
	v_mul_f32_e32 v173, v119, v140
	s_waitcnt vmcnt(21) lgkmcnt(1)
	v_mul_f32_e32 v174, v121, v141
	s_waitcnt vmcnt(20)
	v_mul_f32_e32 v175, v123, v142
	s_waitcnt vmcnt(17)
	v_fma_f32 v97, v97, v145, -v129
	v_fmac_f32_e32 v96, v98, v145
	s_waitcnt vmcnt(16)
	v_fma_f32 v98, v99, v146, -v130
	v_add_f32_e32 v97, 0, v97
	v_add_f32_e32 v97, v97, v98
	v_mul_f32_e32 v98, v102, v131
	s_waitcnt vmcnt(15)
	v_fma_f32 v98, v101, v147, -v98
	v_add_f32_e32 v97, v97, v98
	v_mul_f32_e32 v98, v104, v132
	s_waitcnt vmcnt(14)
	v_fma_f32 v98, v103, v148, -v98
	;; [unrolled: 4-line block ×7, first 2 shown]
	v_fmac_f32_e32 v163, v100, v146
	v_add_f32_e32 v96, 0, v96
	v_add_f32_e32 v97, v97, v98
	v_mul_f32_e32 v98, v116, v138
	v_fmac_f32_e32 v164, v102, v147
	v_add_f32_e32 v96, v96, v163
	s_waitcnt vmcnt(8)
	v_fma_f32 v98, v115, v154, -v98
	v_fmac_f32_e32 v165, v104, v148
	v_add_f32_e32 v96, v96, v164
	v_add_f32_e32 v97, v97, v98
	v_mul_f32_e32 v98, v118, v139
	v_fmac_f32_e32 v166, v106, v149
	v_add_f32_e32 v96, v96, v165
	s_waitcnt vmcnt(7)
	v_fma_f32 v98, v117, v155, -v98
	;; [unrolled: 8-line block ×5, first 2 shown]
	v_fmac_f32_e32 v173, v120, v156
	v_add_f32_e32 v96, v96, v172
	v_add_f32_e32 v97, v97, v98
	s_waitcnt lgkmcnt(0)
	v_mul_f32_e32 v98, v126, v143
	v_fmac_f32_e32 v174, v122, v157
	v_add_f32_e32 v96, v96, v173
	s_waitcnt vmcnt(3)
	v_fma_f32 v98, v125, v159, -v98
	v_mul_f32_e32 v176, v125, v143
	v_fmac_f32_e32 v175, v124, v158
	v_add_f32_e32 v96, v96, v174
	v_add_f32_e32 v97, v97, v98
	v_mul_f32_e32 v98, v128, v144
	v_mul_f32_e32 v177, v127, v144
	v_fmac_f32_e32 v176, v126, v159
	v_add_f32_e32 v96, v96, v175
	s_waitcnt vmcnt(2)
	v_fma_f32 v98, v127, v160, -v98
	v_fmac_f32_e32 v177, v128, v160
	v_add_f32_e32 v96, v96, v176
	v_add_f32_e32 v97, v97, v98
	;; [unrolled: 1-line block ×3, first 2 shown]
	s_waitcnt vmcnt(1)
	v_sub_f32_e32 v97, v161, v97
	s_waitcnt vmcnt(0)
	v_sub_f32_e32 v96, v162, v96
	buffer_store_dword v97, off, s[0:3], 0 offset:240
	buffer_store_dword v96, off, s[0:3], 0 offset:244
	s_and_saveexec_b64 s[4:5], vcc
	s_cbranch_execz .LBB46_237
; %bb.236:
	buffer_load_dword v96, off, s[0:3], 0 offset:232
	buffer_load_dword v97, off, s[0:3], 0 offset:236
	v_mov_b32_e32 v98, 0
	buffer_store_dword v98, off, s[0:3], 0 offset:232
	buffer_store_dword v98, off, s[0:3], 0 offset:236
	s_waitcnt vmcnt(2)
	ds_write_b64 v95, v[96:97]
.LBB46_237:
	s_or_b64 exec, exec, s[4:5]
	s_waitcnt lgkmcnt(0)
	; wave barrier
	buffer_load_dword v131, off, s[0:3], 0 offset:244
	buffer_load_dword v132, off, s[0:3], 0 offset:252
	;; [unrolled: 1-line block ×36, first 2 shown]
	v_mov_b32_e32 v96, 0
	ds_read_b128 v[97:100], v96 offset:624
	ds_read_b128 v[101:104], v96 offset:640
	;; [unrolled: 1-line block ×8, first 2 shown]
	ds_read_b64 v[129:130], v96 offset:752
	v_cmp_lt_u32_e32 vcc, 28, v0
	s_waitcnt vmcnt(35) lgkmcnt(8)
	v_mul_f32_e32 v167, v97, v131
	s_waitcnt vmcnt(34)
	v_mul_f32_e32 v168, v99, v132
	s_waitcnt vmcnt(33) lgkmcnt(7)
	v_mul_f32_e32 v169, v101, v133
	s_waitcnt vmcnt(32)
	v_mul_f32_e32 v170, v103, v134
	;; [unrolled: 4-line block ×8, first 2 shown]
	s_waitcnt vmcnt(19) lgkmcnt(0)
	v_mul_f32_e32 v183, v129, v147
	s_waitcnt vmcnt(18)
	v_fmac_f32_e32 v167, v98, v148
	v_mul_f32_e32 v98, v98, v131
	v_fma_f32 v97, v97, v148, -v98
	v_mul_f32_e32 v98, v100, v132
	v_add_f32_e32 v97, 0, v97
	s_waitcnt vmcnt(17)
	v_fma_f32 v98, v99, v149, -v98
	v_add_f32_e32 v97, v97, v98
	v_mul_f32_e32 v98, v102, v133
	s_waitcnt vmcnt(16)
	v_fma_f32 v98, v101, v150, -v98
	v_add_f32_e32 v97, v97, v98
	v_mul_f32_e32 v98, v104, v134
	;; [unrolled: 4-line block ×8, first 2 shown]
	v_fmac_f32_e32 v168, v100, v149
	v_add_f32_e32 v167, 0, v167
	s_waitcnt vmcnt(9)
	v_fma_f32 v98, v115, v157, -v98
	v_fmac_f32_e32 v169, v102, v150
	v_add_f32_e32 v167, v167, v168
	v_add_f32_e32 v97, v97, v98
	v_mul_f32_e32 v98, v118, v141
	v_fmac_f32_e32 v170, v104, v151
	v_add_f32_e32 v167, v167, v169
	s_waitcnt vmcnt(8)
	v_fma_f32 v98, v117, v158, -v98
	v_fmac_f32_e32 v171, v106, v152
	v_add_f32_e32 v167, v167, v170
	v_add_f32_e32 v97, v97, v98
	v_mul_f32_e32 v98, v120, v142
	v_fmac_f32_e32 v172, v108, v153
	v_add_f32_e32 v167, v167, v171
	s_waitcnt vmcnt(7)
	v_fma_f32 v98, v119, v159, -v98
	v_fmac_f32_e32 v173, v110, v154
	v_add_f32_e32 v167, v167, v172
	v_add_f32_e32 v97, v97, v98
	v_mul_f32_e32 v98, v122, v143
	v_fmac_f32_e32 v174, v112, v155
	v_add_f32_e32 v167, v167, v173
	s_waitcnt vmcnt(6)
	v_fma_f32 v98, v121, v160, -v98
	v_fmac_f32_e32 v175, v114, v156
	v_add_f32_e32 v167, v167, v174
	v_add_f32_e32 v97, v97, v98
	v_mul_f32_e32 v98, v124, v144
	v_fmac_f32_e32 v176, v116, v157
	v_add_f32_e32 v167, v167, v175
	s_waitcnt vmcnt(5)
	v_fma_f32 v98, v123, v161, -v98
	v_fmac_f32_e32 v177, v118, v158
	v_add_f32_e32 v167, v167, v176
	v_add_f32_e32 v97, v97, v98
	v_mul_f32_e32 v98, v126, v145
	v_fmac_f32_e32 v178, v120, v159
	v_add_f32_e32 v167, v167, v177
	s_waitcnt vmcnt(4)
	v_fma_f32 v98, v125, v162, -v98
	v_fmac_f32_e32 v179, v122, v160
	v_add_f32_e32 v167, v167, v178
	v_add_f32_e32 v97, v97, v98
	v_mul_f32_e32 v98, v128, v146
	v_fmac_f32_e32 v180, v124, v161
	v_add_f32_e32 v167, v167, v179
	s_waitcnt vmcnt(3)
	v_fma_f32 v98, v127, v163, -v98
	v_fmac_f32_e32 v181, v126, v162
	v_add_f32_e32 v167, v167, v180
	v_add_f32_e32 v97, v97, v98
	v_mul_f32_e32 v98, v130, v147
	v_fmac_f32_e32 v182, v128, v163
	v_add_f32_e32 v167, v167, v181
	s_waitcnt vmcnt(2)
	v_fma_f32 v98, v129, v164, -v98
	v_fmac_f32_e32 v183, v130, v164
	v_add_f32_e32 v167, v167, v182
	v_add_f32_e32 v97, v97, v98
	v_add_f32_e32 v167, v167, v183
	s_waitcnt vmcnt(1)
	v_sub_f32_e32 v97, v165, v97
	s_waitcnt vmcnt(0)
	v_sub_f32_e32 v98, v166, v167
	buffer_store_dword v97, off, s[0:3], 0 offset:232
	buffer_store_dword v98, off, s[0:3], 0 offset:236
	s_and_saveexec_b64 s[4:5], vcc
	s_cbranch_execz .LBB46_239
; %bb.238:
	buffer_load_dword v97, off, s[0:3], 0 offset:224
	buffer_load_dword v98, off, s[0:3], 0 offset:228
	s_waitcnt vmcnt(0)
	ds_write_b64 v95, v[97:98]
	buffer_store_dword v96, off, s[0:3], 0 offset:224
	buffer_store_dword v96, off, s[0:3], 0 offset:228
.LBB46_239:
	s_or_b64 exec, exec, s[4:5]
	s_waitcnt lgkmcnt(0)
	; wave barrier
	buffer_load_dword v133, off, s[0:3], 0 offset:236
	buffer_load_dword v134, off, s[0:3], 0 offset:244
	;; [unrolled: 1-line block ×38, first 2 shown]
	ds_read2_b64 v[97:100], v96 offset0:77 offset1:78
	ds_read2_b64 v[101:104], v96 offset0:79 offset1:80
	;; [unrolled: 1-line block ×9, first 2 shown]
	v_cmp_lt_u32_e32 vcc, 27, v0
	s_waitcnt vmcnt(37) lgkmcnt(8)
	v_mul_f32_e32 v96, v97, v133
	s_waitcnt vmcnt(36)
	v_mul_f32_e32 v171, v99, v134
	s_waitcnt vmcnt(35) lgkmcnt(7)
	v_mul_f32_e32 v172, v101, v135
	s_waitcnt vmcnt(34)
	v_mul_f32_e32 v173, v103, v136
	;; [unrolled: 4-line block ×8, first 2 shown]
	s_waitcnt vmcnt(21) lgkmcnt(0)
	v_mul_f32_e32 v186, v129, v149
	s_waitcnt vmcnt(20)
	v_fmac_f32_e32 v96, v98, v150
	v_mul_f32_e32 v98, v98, v133
	v_fma_f32 v97, v97, v150, -v98
	v_mul_f32_e32 v98, v100, v134
	v_add_f32_e32 v97, 0, v97
	s_waitcnt vmcnt(19)
	v_fma_f32 v98, v99, v151, -v98
	v_add_f32_e32 v97, v97, v98
	v_mul_f32_e32 v98, v102, v135
	s_waitcnt vmcnt(18)
	v_fma_f32 v98, v101, v152, -v98
	v_add_f32_e32 v97, v97, v98
	v_mul_f32_e32 v98, v104, v136
	;; [unrolled: 4-line block ×8, first 2 shown]
	s_waitcnt vmcnt(11)
	v_fma_f32 v98, v115, v159, -v98
	v_fmac_f32_e32 v171, v100, v151
	v_add_f32_e32 v96, 0, v96
	v_add_f32_e32 v97, v97, v98
	v_mul_f32_e32 v98, v118, v143
	v_fmac_f32_e32 v172, v102, v152
	v_add_f32_e32 v96, v96, v171
	s_waitcnt vmcnt(10)
	v_fma_f32 v98, v117, v160, -v98
	v_fmac_f32_e32 v173, v104, v153
	v_add_f32_e32 v96, v96, v172
	v_add_f32_e32 v97, v97, v98
	v_mul_f32_e32 v98, v120, v144
	v_fmac_f32_e32 v174, v106, v154
	v_add_f32_e32 v96, v96, v173
	;; [unrolled: 8-line block ×7, first 2 shown]
	s_waitcnt vmcnt(4)
	v_fma_f32 v98, v129, v166, -v98
	v_fmac_f32_e32 v185, v128, v165
	v_add_f32_e32 v96, v96, v184
	v_add_f32_e32 v97, v97, v98
	s_waitcnt vmcnt(3)
	v_mul_f32_e32 v98, v132, v167
	v_add_f32_e32 v96, v96, v185
	v_fmac_f32_e32 v186, v130, v166
	v_mul_f32_e32 v171, v131, v167
	s_waitcnt vmcnt(2)
	v_fma_f32 v98, v131, v168, -v98
	v_add_f32_e32 v96, v96, v186
	v_fmac_f32_e32 v171, v132, v168
	v_add_f32_e32 v97, v97, v98
	v_add_f32_e32 v96, v96, v171
	s_waitcnt vmcnt(1)
	v_sub_f32_e32 v97, v169, v97
	s_waitcnt vmcnt(0)
	v_sub_f32_e32 v96, v170, v96
	buffer_store_dword v97, off, s[0:3], 0 offset:224
	buffer_store_dword v96, off, s[0:3], 0 offset:228
	s_and_saveexec_b64 s[4:5], vcc
	s_cbranch_execz .LBB46_241
; %bb.240:
	buffer_load_dword v96, off, s[0:3], 0 offset:216
	buffer_load_dword v97, off, s[0:3], 0 offset:220
	v_mov_b32_e32 v98, 0
	buffer_store_dword v98, off, s[0:3], 0 offset:216
	buffer_store_dword v98, off, s[0:3], 0 offset:220
	s_waitcnt vmcnt(2)
	ds_write_b64 v95, v[96:97]
.LBB46_241:
	s_or_b64 exec, exec, s[4:5]
	s_waitcnt lgkmcnt(0)
	; wave barrier
	buffer_load_dword v135, off, s[0:3], 0 offset:228
	buffer_load_dword v136, off, s[0:3], 0 offset:236
	;; [unrolled: 1-line block ×40, first 2 shown]
	v_mov_b32_e32 v96, 0
	ds_read_b128 v[97:100], v96 offset:608
	ds_read_b128 v[101:104], v96 offset:624
	ds_read_b128 v[105:108], v96 offset:640
	ds_read_b128 v[109:112], v96 offset:656
	ds_read_b128 v[113:116], v96 offset:672
	ds_read_b128 v[117:120], v96 offset:688
	ds_read_b128 v[121:124], v96 offset:704
	ds_read_b128 v[125:128], v96 offset:720
	ds_read_b128 v[129:132], v96 offset:736
	v_cmp_lt_u32_e32 vcc, 26, v0
	s_waitcnt vmcnt(39) lgkmcnt(8)
	v_mul_f32_e32 v133, v97, v135
	s_waitcnt vmcnt(38)
	v_mul_f32_e32 v134, v99, v136
	s_waitcnt vmcnt(37) lgkmcnt(7)
	v_mul_f32_e32 v175, v101, v137
	s_waitcnt vmcnt(36)
	v_mul_f32_e32 v176, v103, v138
	;; [unrolled: 4-line block ×7, first 2 shown]
	s_waitcnt vmcnt(25) lgkmcnt(1)
	v_mul_f32_e32 v187, v125, v149
	s_waitcnt vmcnt(24)
	v_fmac_f32_e32 v133, v98, v150
	v_mul_f32_e32 v98, v98, v135
	v_fma_f32 v97, v97, v150, -v98
	v_mul_f32_e32 v98, v100, v136
	v_add_f32_e32 v97, 0, v97
	s_waitcnt vmcnt(23)
	v_fma_f32 v98, v99, v151, -v98
	v_add_f32_e32 v97, v97, v98
	v_mul_f32_e32 v98, v102, v137
	s_waitcnt vmcnt(22)
	v_fma_f32 v98, v101, v152, -v98
	v_add_f32_e32 v97, v97, v98
	v_mul_f32_e32 v98, v104, v138
	;; [unrolled: 4-line block ×6, first 2 shown]
	s_waitcnt vmcnt(17)
	v_fma_f32 v98, v111, v157, -v98
	v_fmac_f32_e32 v134, v100, v151
	v_add_f32_e32 v133, 0, v133
	v_add_f32_e32 v97, v97, v98
	v_mul_f32_e32 v98, v114, v143
	v_fmac_f32_e32 v175, v102, v152
	v_add_f32_e32 v133, v133, v134
	s_waitcnt vmcnt(16)
	v_fma_f32 v98, v113, v158, -v98
	v_fmac_f32_e32 v176, v104, v153
	v_add_f32_e32 v133, v133, v175
	v_add_f32_e32 v97, v97, v98
	v_mul_f32_e32 v98, v116, v144
	v_fmac_f32_e32 v177, v106, v154
	v_add_f32_e32 v133, v133, v176
	;; [unrolled: 8-line block ×6, first 2 shown]
	s_waitcnt vmcnt(11)
	v_fma_f32 v98, v123, v163, -v98
	v_fmac_f32_e32 v186, v124, v163
	v_add_f32_e32 v133, v133, v185
	v_add_f32_e32 v97, v97, v98
	v_mul_f32_e32 v98, v126, v149
	s_waitcnt vmcnt(10)
	v_fmac_f32_e32 v187, v126, v164
	v_add_f32_e32 v133, v133, v186
	s_waitcnt vmcnt(9)
	v_mul_f32_e32 v134, v127, v165
	v_fma_f32 v98, v125, v164, -v98
	v_add_f32_e32 v133, v133, v187
	s_waitcnt vmcnt(8)
	v_fmac_f32_e32 v134, v128, v166
	v_add_f32_e32 v97, v97, v98
	v_mul_f32_e32 v98, v128, v165
	v_add_f32_e32 v175, v133, v134
	ds_read_b64 v[133:134], v96 offset:752
	v_fma_f32 v98, v127, v166, -v98
	v_add_f32_e32 v97, v97, v98
	s_waitcnt vmcnt(7) lgkmcnt(1)
	v_mul_f32_e32 v98, v130, v167
	v_mul_f32_e32 v176, v129, v167
	s_waitcnt vmcnt(6)
	v_fma_f32 v98, v129, v168, -v98
	v_fmac_f32_e32 v176, v130, v168
	v_add_f32_e32 v97, v97, v98
	s_waitcnt vmcnt(5)
	v_mul_f32_e32 v98, v132, v169
	v_add_f32_e32 v175, v175, v176
	v_mul_f32_e32 v176, v131, v169
	s_waitcnt vmcnt(4)
	v_fma_f32 v98, v131, v170, -v98
	v_fmac_f32_e32 v176, v132, v170
	v_add_f32_e32 v97, v97, v98
	s_waitcnt vmcnt(3) lgkmcnt(0)
	v_mul_f32_e32 v98, v134, v171
	v_add_f32_e32 v175, v175, v176
	v_mul_f32_e32 v176, v133, v171
	s_waitcnt vmcnt(2)
	v_fma_f32 v98, v133, v172, -v98
	v_fmac_f32_e32 v176, v134, v172
	v_add_f32_e32 v97, v97, v98
	v_add_f32_e32 v175, v175, v176
	s_waitcnt vmcnt(1)
	v_sub_f32_e32 v97, v173, v97
	s_waitcnt vmcnt(0)
	v_sub_f32_e32 v98, v174, v175
	buffer_store_dword v97, off, s[0:3], 0 offset:216
	buffer_store_dword v98, off, s[0:3], 0 offset:220
	s_and_saveexec_b64 s[4:5], vcc
	s_cbranch_execz .LBB46_243
; %bb.242:
	buffer_load_dword v97, off, s[0:3], 0 offset:208
	buffer_load_dword v98, off, s[0:3], 0 offset:212
	s_waitcnt vmcnt(0)
	ds_write_b64 v95, v[97:98]
	buffer_store_dword v96, off, s[0:3], 0 offset:208
	buffer_store_dword v96, off, s[0:3], 0 offset:212
.LBB46_243:
	s_or_b64 exec, exec, s[4:5]
	s_waitcnt lgkmcnt(0)
	; wave barrier
	buffer_load_dword v137, off, s[0:3], 0 offset:220
	buffer_load_dword v138, off, s[0:3], 0 offset:228
	buffer_load_dword v139, off, s[0:3], 0 offset:236
	buffer_load_dword v140, off, s[0:3], 0 offset:244
	buffer_load_dword v141, off, s[0:3], 0 offset:252
	buffer_load_dword v142, off, s[0:3], 0 offset:260
	buffer_load_dword v143, off, s[0:3], 0 offset:268
	buffer_load_dword v144, off, s[0:3], 0 offset:276
	buffer_load_dword v145, off, s[0:3], 0 offset:284
	buffer_load_dword v146, off, s[0:3], 0 offset:292
	buffer_load_dword v147, off, s[0:3], 0 offset:300
	buffer_load_dword v148, off, s[0:3], 0 offset:308
	buffer_load_dword v149, off, s[0:3], 0 offset:316
	buffer_load_dword v150, off, s[0:3], 0 offset:324
	buffer_load_dword v151, off, s[0:3], 0 offset:332
	buffer_load_dword v152, off, s[0:3], 0 offset:216
	buffer_load_dword v153, off, s[0:3], 0 offset:224
	buffer_load_dword v154, off, s[0:3], 0 offset:232
	buffer_load_dword v155, off, s[0:3], 0 offset:240
	buffer_load_dword v156, off, s[0:3], 0 offset:248
	buffer_load_dword v157, off, s[0:3], 0 offset:256
	buffer_load_dword v158, off, s[0:3], 0 offset:264
	buffer_load_dword v159, off, s[0:3], 0 offset:272
	buffer_load_dword v160, off, s[0:3], 0 offset:280
	buffer_load_dword v161, off, s[0:3], 0 offset:288
	buffer_load_dword v162, off, s[0:3], 0 offset:296
	buffer_load_dword v163, off, s[0:3], 0 offset:304
	buffer_load_dword v164, off, s[0:3], 0 offset:312
	buffer_load_dword v165, off, s[0:3], 0 offset:320
	buffer_load_dword v166, off, s[0:3], 0 offset:328
	buffer_load_dword v167, off, s[0:3], 0 offset:340
	buffer_load_dword v168, off, s[0:3], 0 offset:336
	buffer_load_dword v169, off, s[0:3], 0 offset:348
	buffer_load_dword v170, off, s[0:3], 0 offset:344
	buffer_load_dword v171, off, s[0:3], 0 offset:356
	buffer_load_dword v172, off, s[0:3], 0 offset:352
	buffer_load_dword v173, off, s[0:3], 0 offset:364
	buffer_load_dword v174, off, s[0:3], 0 offset:360
	buffer_load_dword v175, off, s[0:3], 0 offset:372
	buffer_load_dword v176, off, s[0:3], 0 offset:368
	buffer_load_dword v177, off, s[0:3], 0 offset:208
	buffer_load_dword v178, off, s[0:3], 0 offset:212
	ds_read2_b64 v[97:100], v96 offset0:75 offset1:76
	ds_read2_b64 v[101:104], v96 offset0:77 offset1:78
	;; [unrolled: 1-line block ×8, first 2 shown]
	v_cmp_lt_u32_e32 vcc, 25, v0
	s_waitcnt vmcnt(41) lgkmcnt(7)
	v_mul_f32_e32 v129, v97, v137
	s_waitcnt vmcnt(40)
	v_mul_f32_e32 v130, v99, v138
	s_waitcnt vmcnt(39) lgkmcnt(6)
	v_mul_f32_e32 v131, v101, v139
	s_waitcnt vmcnt(38)
	v_mul_f32_e32 v132, v103, v140
	;; [unrolled: 4-line block ×7, first 2 shown]
	s_waitcnt vmcnt(27) lgkmcnt(0)
	v_mul_f32_e32 v185, v125, v151
	s_waitcnt vmcnt(26)
	v_fmac_f32_e32 v129, v98, v152
	v_mul_f32_e32 v98, v98, v137
	v_fma_f32 v97, v97, v152, -v98
	v_mul_f32_e32 v98, v100, v138
	v_add_f32_e32 v97, 0, v97
	s_waitcnt vmcnt(25)
	v_fma_f32 v98, v99, v153, -v98
	v_add_f32_e32 v97, v97, v98
	v_mul_f32_e32 v98, v102, v139
	s_waitcnt vmcnt(24)
	v_fma_f32 v98, v101, v154, -v98
	v_add_f32_e32 v97, v97, v98
	v_mul_f32_e32 v98, v104, v140
	;; [unrolled: 4-line block ×5, first 2 shown]
	v_fmac_f32_e32 v130, v100, v153
	v_add_f32_e32 v129, 0, v129
	s_waitcnt vmcnt(20)
	v_fma_f32 v98, v109, v158, -v98
	v_fmac_f32_e32 v131, v102, v154
	v_add_f32_e32 v129, v129, v130
	v_add_f32_e32 v97, v97, v98
	v_mul_f32_e32 v98, v112, v144
	v_fmac_f32_e32 v132, v104, v155
	v_add_f32_e32 v129, v129, v131
	s_waitcnt vmcnt(19)
	v_fma_f32 v98, v111, v159, -v98
	v_fmac_f32_e32 v133, v106, v156
	v_add_f32_e32 v129, v129, v132
	v_add_f32_e32 v97, v97, v98
	v_mul_f32_e32 v98, v114, v145
	;; [unrolled: 8-line block ×5, first 2 shown]
	s_waitcnt vmcnt(15)
	v_fmac_f32_e32 v182, v120, v163
	v_add_f32_e32 v129, v129, v181
	v_fma_f32 v98, v119, v163, -v98
	s_waitcnt vmcnt(14)
	v_fmac_f32_e32 v183, v122, v164
	v_add_f32_e32 v129, v129, v182
	v_add_f32_e32 v97, v97, v98
	v_mul_f32_e32 v98, v122, v149
	s_waitcnt vmcnt(13)
	v_fmac_f32_e32 v184, v124, v165
	v_add_f32_e32 v129, v129, v183
	v_fma_f32 v98, v121, v164, -v98
	s_waitcnt vmcnt(12)
	v_fmac_f32_e32 v185, v126, v166
	v_add_f32_e32 v129, v129, v184
	v_add_f32_e32 v97, v97, v98
	v_mul_f32_e32 v98, v124, v150
	v_add_f32_e32 v133, v129, v185
	ds_read2_b64 v[129:132], v96 offset0:91 offset1:92
	v_fma_f32 v98, v123, v165, -v98
	v_add_f32_e32 v97, v97, v98
	v_mul_f32_e32 v98, v126, v151
	s_waitcnt vmcnt(11)
	v_mul_f32_e32 v134, v127, v167
	v_fma_f32 v98, v125, v166, -v98
	s_waitcnt vmcnt(10)
	v_fmac_f32_e32 v134, v128, v168
	v_add_f32_e32 v97, v97, v98
	v_mul_f32_e32 v98, v128, v167
	v_add_f32_e32 v179, v133, v134
	ds_read2_b64 v[133:136], v96 offset0:93 offset1:94
	v_fma_f32 v98, v127, v168, -v98
	v_add_f32_e32 v97, v97, v98
	s_waitcnt vmcnt(9) lgkmcnt(1)
	v_mul_f32_e32 v98, v130, v169
	v_mul_f32_e32 v96, v129, v169
	s_waitcnt vmcnt(8)
	v_fma_f32 v98, v129, v170, -v98
	v_fmac_f32_e32 v96, v130, v170
	v_add_f32_e32 v97, v97, v98
	s_waitcnt vmcnt(7)
	v_mul_f32_e32 v98, v132, v171
	v_add_f32_e32 v96, v179, v96
	v_mul_f32_e32 v179, v131, v171
	s_waitcnt vmcnt(6)
	v_fma_f32 v98, v131, v172, -v98
	v_fmac_f32_e32 v179, v132, v172
	v_add_f32_e32 v97, v97, v98
	s_waitcnt vmcnt(5) lgkmcnt(0)
	v_mul_f32_e32 v98, v134, v173
	v_add_f32_e32 v96, v96, v179
	v_mul_f32_e32 v179, v133, v173
	s_waitcnt vmcnt(4)
	v_fma_f32 v98, v133, v174, -v98
	v_fmac_f32_e32 v179, v134, v174
	v_add_f32_e32 v97, v97, v98
	s_waitcnt vmcnt(3)
	v_mul_f32_e32 v98, v136, v175
	v_add_f32_e32 v96, v96, v179
	v_mul_f32_e32 v179, v135, v175
	s_waitcnt vmcnt(2)
	v_fma_f32 v98, v135, v176, -v98
	v_fmac_f32_e32 v179, v136, v176
	v_add_f32_e32 v97, v97, v98
	v_add_f32_e32 v96, v96, v179
	s_waitcnt vmcnt(1)
	v_sub_f32_e32 v97, v177, v97
	s_waitcnt vmcnt(0)
	v_sub_f32_e32 v96, v178, v96
	buffer_store_dword v97, off, s[0:3], 0 offset:208
	buffer_store_dword v96, off, s[0:3], 0 offset:212
	s_and_saveexec_b64 s[4:5], vcc
	s_cbranch_execz .LBB46_245
; %bb.244:
	buffer_load_dword v96, off, s[0:3], 0 offset:200
	buffer_load_dword v97, off, s[0:3], 0 offset:204
	v_mov_b32_e32 v98, 0
	buffer_store_dword v98, off, s[0:3], 0 offset:200
	buffer_store_dword v98, off, s[0:3], 0 offset:204
	s_waitcnt vmcnt(2)
	ds_write_b64 v95, v[96:97]
.LBB46_245:
	s_or_b64 exec, exec, s[4:5]
	s_waitcnt lgkmcnt(0)
	; wave barrier
	buffer_load_dword v139, off, s[0:3], 0 offset:212
	buffer_load_dword v140, off, s[0:3], 0 offset:220
	;; [unrolled: 1-line block ×44, first 2 shown]
	v_mov_b32_e32 v96, 0
	ds_read_b128 v[97:100], v96 offset:592
	ds_read_b128 v[101:104], v96 offset:608
	;; [unrolled: 1-line block ×8, first 2 shown]
	v_cmp_lt_u32_e32 vcc, 24, v0
	s_waitcnt vmcnt(43) lgkmcnt(7)
	v_mul_f32_e32 v129, v97, v139
	s_waitcnt vmcnt(42)
	v_mul_f32_e32 v130, v99, v140
	s_waitcnt vmcnt(41) lgkmcnt(6)
	v_mul_f32_e32 v131, v101, v141
	s_waitcnt vmcnt(40)
	v_mul_f32_e32 v132, v103, v142
	;; [unrolled: 4-line block ×7, first 2 shown]
	s_waitcnt vmcnt(29)
	v_fmac_f32_e32 v129, v98, v153
	v_mul_f32_e32 v98, v98, v139
	v_fma_f32 v97, v97, v153, -v98
	v_mul_f32_e32 v98, v100, v140
	v_add_f32_e32 v97, 0, v97
	s_waitcnt vmcnt(28)
	v_fma_f32 v98, v99, v154, -v98
	v_add_f32_e32 v97, v97, v98
	v_mul_f32_e32 v98, v102, v141
	s_waitcnt vmcnt(27)
	v_fma_f32 v98, v101, v155, -v98
	v_add_f32_e32 v97, v97, v98
	v_mul_f32_e32 v98, v104, v142
	;; [unrolled: 4-line block ×4, first 2 shown]
	s_waitcnt vmcnt(24)
	v_fma_f32 v98, v107, v158, -v98
	v_fmac_f32_e32 v130, v100, v154
	v_add_f32_e32 v129, 0, v129
	v_add_f32_e32 v97, v97, v98
	v_mul_f32_e32 v98, v110, v145
	v_fmac_f32_e32 v131, v102, v155
	v_add_f32_e32 v129, v129, v130
	s_waitcnt vmcnt(23)
	v_fma_f32 v98, v109, v159, -v98
	v_fmac_f32_e32 v132, v104, v156
	v_add_f32_e32 v129, v129, v131
	v_add_f32_e32 v97, v97, v98
	v_mul_f32_e32 v98, v112, v146
	v_fmac_f32_e32 v133, v106, v157
	v_add_f32_e32 v129, v129, v132
	s_waitcnt vmcnt(22)
	v_fma_f32 v98, v111, v160, -v98
	v_fmac_f32_e32 v134, v108, v158
	v_add_f32_e32 v129, v129, v133
	v_add_f32_e32 v97, v97, v98
	v_mul_f32_e32 v98, v114, v147
	v_fmac_f32_e32 v135, v110, v159
	v_add_f32_e32 v129, v129, v134
	s_waitcnt vmcnt(21)
	v_fma_f32 v98, v113, v161, -v98
	v_fmac_f32_e32 v136, v112, v160
	v_add_f32_e32 v129, v129, v135
	v_add_f32_e32 v97, v97, v98
	v_mul_f32_e32 v98, v116, v148
	v_fmac_f32_e32 v137, v114, v161
	v_add_f32_e32 v129, v129, v136
	s_waitcnt vmcnt(20)
	v_fma_f32 v98, v115, v162, -v98
	v_fmac_f32_e32 v138, v116, v162
	v_add_f32_e32 v129, v129, v137
	v_add_f32_e32 v97, v97, v98
	v_mul_f32_e32 v98, v118, v149
	s_waitcnt vmcnt(19)
	v_fmac_f32_e32 v183, v118, v163
	v_add_f32_e32 v129, v129, v138
	v_fma_f32 v98, v117, v163, -v98
	s_waitcnt vmcnt(18)
	v_fmac_f32_e32 v184, v120, v164
	v_add_f32_e32 v129, v129, v183
	v_add_f32_e32 v97, v97, v98
	v_mul_f32_e32 v98, v120, v150
	s_waitcnt vmcnt(17)
	v_fmac_f32_e32 v185, v122, v165
	v_add_f32_e32 v129, v129, v184
	v_fma_f32 v98, v119, v164, -v98
	v_add_f32_e32 v129, v129, v185
	s_waitcnt vmcnt(16)
	v_fmac_f32_e32 v186, v124, v166
	s_waitcnt vmcnt(15) lgkmcnt(0)
	v_mul_f32_e32 v130, v125, v167
	v_add_f32_e32 v97, v97, v98
	v_mul_f32_e32 v98, v122, v151
	v_add_f32_e32 v129, v129, v186
	s_waitcnt vmcnt(14)
	v_fmac_f32_e32 v130, v126, v168
	v_fma_f32 v98, v121, v165, -v98
	v_add_f32_e32 v133, v129, v130
	ds_read_b128 v[129:132], v96 offset:720
	v_add_f32_e32 v97, v97, v98
	v_mul_f32_e32 v98, v124, v152
	v_fma_f32 v98, v123, v166, -v98
	v_add_f32_e32 v97, v97, v98
	v_mul_f32_e32 v98, v126, v167
	s_waitcnt vmcnt(13)
	v_mul_f32_e32 v134, v127, v169
	v_fma_f32 v98, v125, v168, -v98
	s_waitcnt vmcnt(12)
	v_fmac_f32_e32 v134, v128, v170
	v_add_f32_e32 v97, v97, v98
	v_mul_f32_e32 v98, v128, v169
	v_add_f32_e32 v137, v133, v134
	ds_read_b128 v[133:136], v96 offset:736
	s_waitcnt vmcnt(11) lgkmcnt(1)
	v_mul_f32_e32 v138, v129, v171
	v_fma_f32 v98, v127, v170, -v98
	s_waitcnt vmcnt(10)
	v_fmac_f32_e32 v138, v130, v172
	v_add_f32_e32 v97, v97, v98
	v_mul_f32_e32 v98, v130, v171
	v_add_f32_e32 v137, v137, v138
	s_waitcnt vmcnt(9)
	v_mul_f32_e32 v138, v131, v173
	v_fma_f32 v98, v129, v172, -v98
	s_waitcnt vmcnt(8)
	v_fmac_f32_e32 v138, v132, v174
	v_add_f32_e32 v97, v97, v98
	v_mul_f32_e32 v98, v132, v173
	v_add_f32_e32 v183, v137, v138
	ds_read_b64 v[137:138], v96 offset:752
	v_fma_f32 v98, v131, v174, -v98
	v_add_f32_e32 v97, v97, v98
	s_waitcnt vmcnt(7) lgkmcnt(1)
	v_mul_f32_e32 v98, v134, v175
	v_mul_f32_e32 v184, v133, v175
	s_waitcnt vmcnt(6)
	v_fma_f32 v98, v133, v176, -v98
	v_fmac_f32_e32 v184, v134, v176
	v_add_f32_e32 v97, v97, v98
	s_waitcnt vmcnt(5)
	v_mul_f32_e32 v98, v136, v177
	v_add_f32_e32 v183, v183, v184
	v_mul_f32_e32 v184, v135, v177
	s_waitcnt vmcnt(4)
	v_fma_f32 v98, v135, v178, -v98
	v_fmac_f32_e32 v184, v136, v178
	v_add_f32_e32 v97, v97, v98
	s_waitcnt vmcnt(3) lgkmcnt(0)
	v_mul_f32_e32 v98, v138, v179
	v_add_f32_e32 v183, v183, v184
	v_mul_f32_e32 v184, v137, v179
	s_waitcnt vmcnt(2)
	v_fma_f32 v98, v137, v180, -v98
	v_fmac_f32_e32 v184, v138, v180
	v_add_f32_e32 v97, v97, v98
	v_add_f32_e32 v183, v183, v184
	s_waitcnt vmcnt(1)
	v_sub_f32_e32 v97, v181, v97
	s_waitcnt vmcnt(0)
	v_sub_f32_e32 v98, v182, v183
	buffer_store_dword v97, off, s[0:3], 0 offset:200
	buffer_store_dword v98, off, s[0:3], 0 offset:204
	s_and_saveexec_b64 s[4:5], vcc
	s_cbranch_execz .LBB46_247
; %bb.246:
	buffer_load_dword v97, off, s[0:3], 0 offset:192
	buffer_load_dword v98, off, s[0:3], 0 offset:196
	s_waitcnt vmcnt(0)
	ds_write_b64 v95, v[97:98]
	buffer_store_dword v96, off, s[0:3], 0 offset:192
	buffer_store_dword v96, off, s[0:3], 0 offset:196
.LBB46_247:
	s_or_b64 exec, exec, s[4:5]
	s_waitcnt lgkmcnt(0)
	; wave barrier
	buffer_load_dword v141, off, s[0:3], 0 offset:204
	buffer_load_dword v142, off, s[0:3], 0 offset:212
	;; [unrolled: 1-line block ×46, first 2 shown]
	ds_read2_b64 v[97:100], v96 offset0:73 offset1:74
	ds_read2_b64 v[101:104], v96 offset0:75 offset1:76
	;; [unrolled: 1-line block ×8, first 2 shown]
	v_cmp_lt_u32_e32 vcc, 23, v0
	s_waitcnt vmcnt(45) lgkmcnt(7)
	v_mul_f32_e32 v129, v97, v141
	s_waitcnt vmcnt(44)
	v_mul_f32_e32 v130, v99, v142
	s_waitcnt vmcnt(43) lgkmcnt(6)
	v_mul_f32_e32 v131, v101, v143
	s_waitcnt vmcnt(42)
	v_mul_f32_e32 v132, v103, v144
	;; [unrolled: 4-line block ×6, first 2 shown]
	s_waitcnt vmcnt(33) lgkmcnt(1)
	v_mul_f32_e32 v187, v121, v153
	s_waitcnt vmcnt(32)
	v_fmac_f32_e32 v129, v98, v154
	v_mul_f32_e32 v98, v98, v141
	v_fma_f32 v97, v97, v154, -v98
	v_mul_f32_e32 v98, v100, v142
	v_add_f32_e32 v97, 0, v97
	s_waitcnt vmcnt(31)
	v_fma_f32 v98, v99, v155, -v98
	v_add_f32_e32 v97, v97, v98
	v_mul_f32_e32 v98, v102, v143
	s_waitcnt vmcnt(30)
	v_fma_f32 v98, v101, v156, -v98
	v_add_f32_e32 v97, v97, v98
	v_mul_f32_e32 v98, v104, v144
	;; [unrolled: 4-line block ×4, first 2 shown]
	v_fmac_f32_e32 v130, v100, v155
	v_add_f32_e32 v129, 0, v129
	s_waitcnt vmcnt(27)
	v_fma_f32 v98, v107, v159, -v98
	v_fmac_f32_e32 v131, v102, v156
	v_add_f32_e32 v129, v129, v130
	v_add_f32_e32 v97, v97, v98
	v_mul_f32_e32 v98, v110, v147
	v_fmac_f32_e32 v132, v104, v157
	v_add_f32_e32 v129, v129, v131
	s_waitcnt vmcnt(26)
	v_fma_f32 v98, v109, v160, -v98
	v_fmac_f32_e32 v133, v106, v158
	v_add_f32_e32 v129, v129, v132
	v_add_f32_e32 v97, v97, v98
	v_mul_f32_e32 v98, v112, v148
	;; [unrolled: 8-line block ×4, first 2 shown]
	s_waitcnt vmcnt(23)
	v_fmac_f32_e32 v138, v116, v163
	v_add_f32_e32 v129, v129, v137
	v_fma_f32 v98, v115, v163, -v98
	s_waitcnt vmcnt(22)
	v_fmac_f32_e32 v139, v118, v164
	v_add_f32_e32 v129, v129, v138
	v_add_f32_e32 v97, v97, v98
	v_mul_f32_e32 v98, v118, v151
	s_waitcnt vmcnt(21)
	v_fmac_f32_e32 v140, v120, v165
	v_add_f32_e32 v129, v129, v139
	v_fma_f32 v98, v117, v164, -v98
	s_waitcnt vmcnt(20)
	v_fmac_f32_e32 v187, v122, v166
	v_add_f32_e32 v129, v129, v140
	s_waitcnt vmcnt(19)
	v_mul_f32_e32 v130, v123, v167
	v_add_f32_e32 v97, v97, v98
	v_mul_f32_e32 v98, v120, v152
	v_add_f32_e32 v129, v129, v187
	s_waitcnt vmcnt(18)
	v_fmac_f32_e32 v130, v124, v168
	v_fma_f32 v98, v119, v165, -v98
	v_add_f32_e32 v129, v129, v130
	s_waitcnt vmcnt(17) lgkmcnt(0)
	v_mul_f32_e32 v130, v125, v169
	v_add_f32_e32 v97, v97, v98
	v_mul_f32_e32 v98, v122, v153
	s_waitcnt vmcnt(16)
	v_fmac_f32_e32 v130, v126, v170
	v_fma_f32 v98, v121, v166, -v98
	v_add_f32_e32 v133, v129, v130
	ds_read2_b64 v[129:132], v96 offset0:89 offset1:90
	v_add_f32_e32 v97, v97, v98
	v_mul_f32_e32 v98, v124, v167
	v_fma_f32 v98, v123, v168, -v98
	v_add_f32_e32 v97, v97, v98
	v_mul_f32_e32 v98, v126, v169
	s_waitcnt vmcnt(15)
	v_mul_f32_e32 v134, v127, v171
	v_fma_f32 v98, v125, v170, -v98
	s_waitcnt vmcnt(14)
	v_fmac_f32_e32 v134, v128, v172
	v_add_f32_e32 v97, v97, v98
	v_mul_f32_e32 v98, v128, v171
	v_add_f32_e32 v137, v133, v134
	ds_read2_b64 v[133:136], v96 offset0:91 offset1:92
	s_waitcnt vmcnt(13) lgkmcnt(1)
	v_mul_f32_e32 v138, v129, v173
	v_fma_f32 v98, v127, v172, -v98
	s_waitcnt vmcnt(12)
	v_fmac_f32_e32 v138, v130, v174
	v_add_f32_e32 v97, v97, v98
	v_mul_f32_e32 v98, v130, v173
	v_add_f32_e32 v137, v137, v138
	s_waitcnt vmcnt(11)
	v_mul_f32_e32 v138, v131, v175
	v_fma_f32 v98, v129, v174, -v98
	s_waitcnt vmcnt(10)
	v_fmac_f32_e32 v138, v132, v176
	v_add_f32_e32 v97, v97, v98
	v_mul_f32_e32 v98, v132, v175
	v_add_f32_e32 v187, v137, v138
	ds_read2_b64 v[137:140], v96 offset0:93 offset1:94
	v_fma_f32 v98, v131, v176, -v98
	v_add_f32_e32 v97, v97, v98
	s_waitcnt vmcnt(9) lgkmcnt(1)
	v_mul_f32_e32 v98, v134, v177
	v_mul_f32_e32 v188, v133, v177
	s_waitcnt vmcnt(8)
	v_fma_f32 v98, v133, v178, -v98
	v_fmac_f32_e32 v188, v134, v178
	v_add_f32_e32 v97, v97, v98
	s_waitcnt vmcnt(7)
	v_mul_f32_e32 v98, v136, v179
	v_add_f32_e32 v96, v187, v188
	v_mul_f32_e32 v187, v135, v179
	s_waitcnt vmcnt(6)
	v_fma_f32 v98, v135, v180, -v98
	v_fmac_f32_e32 v187, v136, v180
	v_add_f32_e32 v97, v97, v98
	s_waitcnt vmcnt(5) lgkmcnt(0)
	v_mul_f32_e32 v98, v138, v181
	v_add_f32_e32 v96, v96, v187
	v_mul_f32_e32 v187, v137, v181
	s_waitcnt vmcnt(4)
	v_fma_f32 v98, v137, v182, -v98
	v_fmac_f32_e32 v187, v138, v182
	v_add_f32_e32 v97, v97, v98
	s_waitcnt vmcnt(3)
	v_mul_f32_e32 v98, v140, v183
	v_add_f32_e32 v96, v96, v187
	v_mul_f32_e32 v187, v139, v183
	s_waitcnt vmcnt(2)
	v_fma_f32 v98, v139, v184, -v98
	v_fmac_f32_e32 v187, v140, v184
	v_add_f32_e32 v97, v97, v98
	v_add_f32_e32 v96, v96, v187
	s_waitcnt vmcnt(1)
	v_sub_f32_e32 v97, v185, v97
	s_waitcnt vmcnt(0)
	v_sub_f32_e32 v96, v186, v96
	buffer_store_dword v97, off, s[0:3], 0 offset:192
	buffer_store_dword v96, off, s[0:3], 0 offset:196
	s_and_saveexec_b64 s[4:5], vcc
	s_cbranch_execz .LBB46_249
; %bb.248:
	buffer_load_dword v96, off, s[0:3], 0 offset:184
	buffer_load_dword v97, off, s[0:3], 0 offset:188
	v_mov_b32_e32 v98, 0
	buffer_store_dword v98, off, s[0:3], 0 offset:184
	buffer_store_dword v98, off, s[0:3], 0 offset:188
	s_waitcnt vmcnt(2)
	ds_write_b64 v95, v[96:97]
.LBB46_249:
	s_or_b64 exec, exec, s[4:5]
	s_waitcnt lgkmcnt(0)
	; wave barrier
	buffer_load_dword v143, off, s[0:3], 0 offset:196
	buffer_load_dword v144, off, s[0:3], 0 offset:204
	buffer_load_dword v145, off, s[0:3], 0 offset:212
	buffer_load_dword v146, off, s[0:3], 0 offset:220
	buffer_load_dword v147, off, s[0:3], 0 offset:228
	buffer_load_dword v148, off, s[0:3], 0 offset:236
	buffer_load_dword v149, off, s[0:3], 0 offset:244
	buffer_load_dword v150, off, s[0:3], 0 offset:252
	buffer_load_dword v151, off, s[0:3], 0 offset:260
	buffer_load_dword v152, off, s[0:3], 0 offset:268
	buffer_load_dword v153, off, s[0:3], 0 offset:276
	buffer_load_dword v154, off, s[0:3], 0 offset:284
	buffer_load_dword v155, off, s[0:3], 0 offset:192
	buffer_load_dword v156, off, s[0:3], 0 offset:200
	buffer_load_dword v157, off, s[0:3], 0 offset:208
	buffer_load_dword v158, off, s[0:3], 0 offset:216
	buffer_load_dword v159, off, s[0:3], 0 offset:224
	buffer_load_dword v160, off, s[0:3], 0 offset:232
	buffer_load_dword v161, off, s[0:3], 0 offset:240
	buffer_load_dword v162, off, s[0:3], 0 offset:248
	buffer_load_dword v163, off, s[0:3], 0 offset:256
	buffer_load_dword v164, off, s[0:3], 0 offset:264
	buffer_load_dword v165, off, s[0:3], 0 offset:272
	buffer_load_dword v166, off, s[0:3], 0 offset:280
	buffer_load_dword v167, off, s[0:3], 0 offset:292
	buffer_load_dword v168, off, s[0:3], 0 offset:288
	buffer_load_dword v169, off, s[0:3], 0 offset:300
	buffer_load_dword v170, off, s[0:3], 0 offset:296
	buffer_load_dword v171, off, s[0:3], 0 offset:308
	buffer_load_dword v172, off, s[0:3], 0 offset:304
	buffer_load_dword v173, off, s[0:3], 0 offset:316
	buffer_load_dword v174, off, s[0:3], 0 offset:312
	buffer_load_dword v175, off, s[0:3], 0 offset:324
	buffer_load_dword v176, off, s[0:3], 0 offset:320
	buffer_load_dword v177, off, s[0:3], 0 offset:332
	buffer_load_dword v178, off, s[0:3], 0 offset:328
	buffer_load_dword v179, off, s[0:3], 0 offset:340
	buffer_load_dword v180, off, s[0:3], 0 offset:336
	buffer_load_dword v181, off, s[0:3], 0 offset:348
	buffer_load_dword v182, off, s[0:3], 0 offset:344
	buffer_load_dword v183, off, s[0:3], 0 offset:352
	buffer_load_dword v184, off, s[0:3], 0 offset:356
	buffer_load_dword v185, off, s[0:3], 0 offset:184
	buffer_load_dword v186, off, s[0:3], 0 offset:188
	buffer_load_dword v187, off, s[0:3], 0 offset:364
	buffer_load_dword v188, off, s[0:3], 0 offset:360
	buffer_load_dword v189, off, s[0:3], 0 offset:368
	buffer_load_dword v190, off, s[0:3], 0 offset:372
	v_mov_b32_e32 v96, 0
	ds_read_b128 v[97:100], v96 offset:576
	ds_read_b128 v[101:104], v96 offset:592
	;; [unrolled: 1-line block ×7, first 2 shown]
	v_cmp_lt_u32_e32 vcc, 22, v0
	s_waitcnt vmcnt(47) lgkmcnt(6)
	v_mul_f32_e32 v125, v97, v143
	s_waitcnt vmcnt(46)
	v_mul_f32_e32 v126, v99, v144
	s_waitcnt vmcnt(45) lgkmcnt(5)
	v_mul_f32_e32 v127, v101, v145
	s_waitcnt vmcnt(44)
	v_mul_f32_e32 v128, v103, v146
	;; [unrolled: 4-line block ×6, first 2 shown]
	s_waitcnt vmcnt(35)
	v_fmac_f32_e32 v125, v98, v155
	v_mul_f32_e32 v98, v98, v143
	v_fma_f32 v97, v97, v155, -v98
	v_mul_f32_e32 v98, v100, v144
	v_add_f32_e32 v97, 0, v97
	s_waitcnt vmcnt(34)
	v_fma_f32 v98, v99, v156, -v98
	v_add_f32_e32 v97, v97, v98
	v_mul_f32_e32 v98, v102, v145
	s_waitcnt vmcnt(33)
	v_fma_f32 v98, v101, v157, -v98
	v_fmac_f32_e32 v126, v100, v156
	v_add_f32_e32 v125, 0, v125
	v_add_f32_e32 v97, v97, v98
	v_mul_f32_e32 v98, v104, v146
	v_fmac_f32_e32 v127, v102, v157
	v_add_f32_e32 v125, v125, v126
	s_waitcnt vmcnt(32)
	v_fma_f32 v98, v103, v158, -v98
	v_fmac_f32_e32 v128, v104, v158
	v_add_f32_e32 v125, v125, v127
	v_add_f32_e32 v97, v97, v98
	v_mul_f32_e32 v98, v106, v147
	s_waitcnt vmcnt(31)
	v_fmac_f32_e32 v129, v106, v159
	v_add_f32_e32 v125, v125, v128
	v_fma_f32 v98, v105, v159, -v98
	s_waitcnt vmcnt(30)
	v_fmac_f32_e32 v130, v108, v160
	v_add_f32_e32 v125, v125, v129
	v_add_f32_e32 v97, v97, v98
	v_mul_f32_e32 v98, v108, v148
	s_waitcnt vmcnt(29)
	v_fmac_f32_e32 v131, v110, v161
	v_add_f32_e32 v125, v125, v130
	v_fma_f32 v98, v107, v160, -v98
	s_waitcnt vmcnt(28)
	;; [unrolled: 9-line block ×4, first 2 shown]
	v_fmac_f32_e32 v136, v120, v166
	v_add_f32_e32 v125, v125, v135
	v_add_f32_e32 v97, v97, v98
	v_mul_f32_e32 v98, v114, v151
	v_add_f32_e32 v129, v125, v136
	ds_read_b128 v[125:128], v96 offset:688
	v_fma_f32 v98, v113, v163, -v98
	s_waitcnt vmcnt(23) lgkmcnt(1)
	v_mul_f32_e32 v130, v121, v167
	v_add_f32_e32 v97, v97, v98
	v_mul_f32_e32 v98, v116, v152
	s_waitcnt vmcnt(22)
	v_fmac_f32_e32 v130, v122, v168
	v_fma_f32 v98, v115, v164, -v98
	v_add_f32_e32 v129, v129, v130
	s_waitcnt vmcnt(21)
	v_mul_f32_e32 v130, v123, v169
	v_add_f32_e32 v97, v97, v98
	v_mul_f32_e32 v98, v118, v153
	s_waitcnt vmcnt(20)
	v_fmac_f32_e32 v130, v124, v170
	v_fma_f32 v98, v117, v165, -v98
	v_add_f32_e32 v129, v129, v130
	s_waitcnt vmcnt(19) lgkmcnt(0)
	v_mul_f32_e32 v130, v125, v171
	v_add_f32_e32 v97, v97, v98
	v_mul_f32_e32 v98, v120, v154
	s_waitcnt vmcnt(18)
	v_fmac_f32_e32 v130, v126, v172
	v_fma_f32 v98, v119, v166, -v98
	v_add_f32_e32 v133, v129, v130
	ds_read_b128 v[129:132], v96 offset:704
	v_add_f32_e32 v97, v97, v98
	v_mul_f32_e32 v98, v122, v167
	v_fma_f32 v98, v121, v168, -v98
	s_waitcnt vmcnt(17)
	v_mul_f32_e32 v134, v127, v173
	v_add_f32_e32 v97, v97, v98
	v_mul_f32_e32 v98, v124, v169
	s_waitcnt vmcnt(16)
	v_fmac_f32_e32 v134, v128, v174
	v_fma_f32 v98, v123, v170, -v98
	v_add_f32_e32 v137, v133, v134
	ds_read_b128 v[133:136], v96 offset:720
	v_add_f32_e32 v97, v97, v98
	v_mul_f32_e32 v98, v126, v171
	s_waitcnt vmcnt(15) lgkmcnt(1)
	v_mul_f32_e32 v138, v129, v175
	v_fma_f32 v98, v125, v172, -v98
	s_waitcnt vmcnt(14)
	v_fmac_f32_e32 v138, v130, v176
	v_add_f32_e32 v97, v97, v98
	v_mul_f32_e32 v98, v128, v173
	v_add_f32_e32 v137, v137, v138
	s_waitcnt vmcnt(13)
	v_mul_f32_e32 v138, v131, v177
	v_fma_f32 v98, v127, v174, -v98
	s_waitcnt vmcnt(12)
	v_fmac_f32_e32 v138, v132, v178
	v_add_f32_e32 v97, v97, v98
	v_mul_f32_e32 v98, v130, v175
	v_add_f32_e32 v137, v137, v138
	s_waitcnt vmcnt(11) lgkmcnt(0)
	v_mul_f32_e32 v138, v133, v179
	v_fma_f32 v98, v129, v176, -v98
	s_waitcnt vmcnt(10)
	v_fmac_f32_e32 v138, v134, v180
	v_add_f32_e32 v97, v97, v98
	v_mul_f32_e32 v98, v132, v177
	v_add_f32_e32 v141, v137, v138
	ds_read_b128 v[137:140], v96 offset:736
	v_fma_f32 v98, v131, v178, -v98
	v_add_f32_e32 v97, v97, v98
	v_mul_f32_e32 v98, v134, v179
	s_waitcnt vmcnt(9)
	v_mul_f32_e32 v142, v135, v181
	v_fma_f32 v98, v133, v180, -v98
	s_waitcnt vmcnt(8)
	v_fmac_f32_e32 v142, v136, v182
	v_add_f32_e32 v97, v97, v98
	v_mul_f32_e32 v98, v136, v181
	v_add_f32_e32 v191, v141, v142
	ds_read_b64 v[141:142], v96 offset:752
	v_fma_f32 v98, v135, v182, -v98
	v_add_f32_e32 v97, v97, v98
	s_waitcnt vmcnt(6) lgkmcnt(1)
	v_mul_f32_e32 v98, v138, v184
	v_mul_f32_e32 v192, v137, v184
	v_fma_f32 v98, v137, v183, -v98
	v_fmac_f32_e32 v192, v138, v183
	v_add_f32_e32 v97, v97, v98
	s_waitcnt vmcnt(3)
	v_mul_f32_e32 v98, v140, v187
	v_add_f32_e32 v191, v191, v192
	v_mul_f32_e32 v192, v139, v187
	s_waitcnt vmcnt(2)
	v_fma_f32 v98, v139, v188, -v98
	v_fmac_f32_e32 v192, v140, v188
	v_add_f32_e32 v97, v97, v98
	s_waitcnt vmcnt(0) lgkmcnt(0)
	v_mul_f32_e32 v98, v142, v190
	v_add_f32_e32 v191, v191, v192
	v_mul_f32_e32 v192, v141, v190
	v_fma_f32 v98, v141, v189, -v98
	v_fmac_f32_e32 v192, v142, v189
	v_add_f32_e32 v97, v97, v98
	v_add_f32_e32 v191, v191, v192
	v_sub_f32_e32 v97, v185, v97
	v_sub_f32_e32 v98, v186, v191
	buffer_store_dword v97, off, s[0:3], 0 offset:184
	buffer_store_dword v98, off, s[0:3], 0 offset:188
	s_and_saveexec_b64 s[4:5], vcc
	s_cbranch_execz .LBB46_251
; %bb.250:
	buffer_load_dword v97, off, s[0:3], 0 offset:176
	buffer_load_dword v98, off, s[0:3], 0 offset:180
	s_waitcnt vmcnt(0)
	ds_write_b64 v95, v[97:98]
	buffer_store_dword v96, off, s[0:3], 0 offset:176
	buffer_store_dword v96, off, s[0:3], 0 offset:180
.LBB46_251:
	s_or_b64 exec, exec, s[4:5]
	s_waitcnt lgkmcnt(0)
	; wave barrier
	buffer_load_dword v145, off, s[0:3], 0 offset:188
	buffer_load_dword v146, off, s[0:3], 0 offset:196
	;; [unrolled: 1-line block ×48, first 2 shown]
	ds_read2_b64 v[97:100], v96 offset0:71 offset1:72
	ds_read2_b64 v[101:104], v96 offset0:73 offset1:74
	buffer_load_dword v193, off, s[0:3], 0 offset:368
	buffer_load_dword v194, off, s[0:3], 0 offset:372
	ds_read2_b64 v[105:108], v96 offset0:75 offset1:76
	ds_read2_b64 v[109:112], v96 offset0:77 offset1:78
	;; [unrolled: 1-line block ×5, first 2 shown]
	v_cmp_lt_u32_e32 vcc, 21, v0
	s_waitcnt vmcnt(49) lgkmcnt(6)
	v_mul_f32_e32 v125, v97, v145
	s_waitcnt vmcnt(48)
	v_mul_f32_e32 v126, v99, v146
	s_waitcnt vmcnt(47) lgkmcnt(5)
	v_mul_f32_e32 v127, v101, v147
	s_waitcnt vmcnt(46)
	v_mul_f32_e32 v128, v103, v148
	;; [unrolled: 4-line block ×6, first 2 shown]
	s_waitcnt vmcnt(37)
	v_fmac_f32_e32 v125, v98, v157
	v_mul_f32_e32 v98, v98, v145
	v_fma_f32 v97, v97, v157, -v98
	v_mul_f32_e32 v98, v100, v146
	v_add_f32_e32 v97, 0, v97
	s_waitcnt vmcnt(36)
	v_fma_f32 v98, v99, v158, -v98
	v_add_f32_e32 v97, v97, v98
	v_mul_f32_e32 v98, v102, v147
	s_waitcnt vmcnt(35)
	v_fma_f32 v98, v101, v159, -v98
	v_fmac_f32_e32 v126, v100, v158
	v_add_f32_e32 v125, 0, v125
	v_add_f32_e32 v97, v97, v98
	v_mul_f32_e32 v98, v104, v148
	v_fmac_f32_e32 v127, v102, v159
	v_add_f32_e32 v125, v125, v126
	s_waitcnt vmcnt(34)
	v_fma_f32 v98, v103, v160, -v98
	v_fmac_f32_e32 v128, v104, v160
	v_add_f32_e32 v125, v125, v127
	v_add_f32_e32 v97, v97, v98
	v_mul_f32_e32 v98, v106, v149
	s_waitcnt vmcnt(33)
	v_fmac_f32_e32 v129, v106, v161
	v_add_f32_e32 v125, v125, v128
	v_fma_f32 v98, v105, v161, -v98
	s_waitcnt vmcnt(32)
	v_fmac_f32_e32 v130, v108, v162
	v_add_f32_e32 v125, v125, v129
	v_add_f32_e32 v97, v97, v98
	v_mul_f32_e32 v98, v108, v150
	s_waitcnt vmcnt(31)
	v_fmac_f32_e32 v131, v110, v163
	v_add_f32_e32 v125, v125, v130
	v_fma_f32 v98, v107, v162, -v98
	s_waitcnt vmcnt(30)
	;; [unrolled: 9-line block ×3, first 2 shown]
	v_fmac_f32_e32 v134, v116, v166
	v_add_f32_e32 v125, v125, v133
	v_add_f32_e32 v97, v97, v98
	v_mul_f32_e32 v98, v112, v152
	s_waitcnt vmcnt(27)
	v_fmac_f32_e32 v135, v118, v167
	v_add_f32_e32 v125, v125, v134
	v_fma_f32 v98, v111, v164, -v98
	v_add_f32_e32 v125, v125, v135
	s_waitcnt vmcnt(26)
	v_fmac_f32_e32 v136, v120, v168
	v_add_f32_e32 v97, v97, v98
	v_mul_f32_e32 v98, v114, v153
	v_add_f32_e32 v129, v125, v136
	ds_read2_b64 v[125:128], v96 offset0:85 offset1:86
	v_fma_f32 v98, v113, v165, -v98
	s_waitcnt vmcnt(25) lgkmcnt(1)
	v_mul_f32_e32 v130, v121, v169
	v_add_f32_e32 v97, v97, v98
	v_mul_f32_e32 v98, v116, v154
	s_waitcnt vmcnt(24)
	v_fmac_f32_e32 v130, v122, v170
	v_fma_f32 v98, v115, v166, -v98
	v_add_f32_e32 v129, v129, v130
	s_waitcnt vmcnt(23)
	v_mul_f32_e32 v130, v123, v171
	v_add_f32_e32 v97, v97, v98
	v_mul_f32_e32 v98, v118, v155
	s_waitcnt vmcnt(22)
	v_fmac_f32_e32 v130, v124, v172
	v_fma_f32 v98, v117, v167, -v98
	v_add_f32_e32 v129, v129, v130
	s_waitcnt vmcnt(21) lgkmcnt(0)
	v_mul_f32_e32 v130, v125, v173
	v_add_f32_e32 v97, v97, v98
	v_mul_f32_e32 v98, v120, v156
	s_waitcnt vmcnt(20)
	v_fmac_f32_e32 v130, v126, v174
	v_fma_f32 v98, v119, v168, -v98
	v_add_f32_e32 v133, v129, v130
	ds_read2_b64 v[129:132], v96 offset0:87 offset1:88
	v_add_f32_e32 v97, v97, v98
	v_mul_f32_e32 v98, v122, v169
	v_fma_f32 v98, v121, v170, -v98
	s_waitcnt vmcnt(19)
	v_mul_f32_e32 v134, v127, v175
	v_add_f32_e32 v97, v97, v98
	v_mul_f32_e32 v98, v124, v171
	s_waitcnt vmcnt(18)
	v_fmac_f32_e32 v134, v128, v176
	v_fma_f32 v98, v123, v172, -v98
	v_add_f32_e32 v137, v133, v134
	ds_read2_b64 v[133:136], v96 offset0:89 offset1:90
	v_add_f32_e32 v97, v97, v98
	v_mul_f32_e32 v98, v126, v173
	s_waitcnt vmcnt(17) lgkmcnt(1)
	v_mul_f32_e32 v138, v129, v177
	v_fma_f32 v98, v125, v174, -v98
	s_waitcnt vmcnt(16)
	v_fmac_f32_e32 v138, v130, v178
	v_add_f32_e32 v97, v97, v98
	v_mul_f32_e32 v98, v128, v175
	v_add_f32_e32 v137, v137, v138
	s_waitcnt vmcnt(15)
	v_mul_f32_e32 v138, v131, v179
	v_fma_f32 v98, v127, v176, -v98
	s_waitcnt vmcnt(14)
	v_fmac_f32_e32 v138, v132, v180
	v_add_f32_e32 v97, v97, v98
	v_mul_f32_e32 v98, v130, v177
	v_add_f32_e32 v137, v137, v138
	s_waitcnt vmcnt(13) lgkmcnt(0)
	v_mul_f32_e32 v138, v133, v181
	v_fma_f32 v98, v129, v178, -v98
	s_waitcnt vmcnt(12)
	v_fmac_f32_e32 v138, v134, v182
	v_add_f32_e32 v97, v97, v98
	v_mul_f32_e32 v98, v132, v179
	v_add_f32_e32 v141, v137, v138
	ds_read2_b64 v[137:140], v96 offset0:91 offset1:92
	v_fma_f32 v98, v131, v180, -v98
	v_add_f32_e32 v97, v97, v98
	v_mul_f32_e32 v98, v134, v181
	s_waitcnt vmcnt(11)
	v_mul_f32_e32 v142, v135, v183
	v_fma_f32 v98, v133, v182, -v98
	s_waitcnt vmcnt(10)
	v_fmac_f32_e32 v142, v136, v184
	v_add_f32_e32 v97, v97, v98
	v_mul_f32_e32 v98, v136, v183
	v_add_f32_e32 v195, v141, v142
	ds_read2_b64 v[141:144], v96 offset0:93 offset1:94
	v_fma_f32 v98, v135, v184, -v98
	v_add_f32_e32 v97, v97, v98
	s_waitcnt vmcnt(7) lgkmcnt(1)
	v_mul_f32_e32 v98, v138, v187
	v_mul_f32_e32 v96, v137, v187
	s_waitcnt vmcnt(6)
	v_fma_f32 v98, v137, v188, -v98
	v_fmac_f32_e32 v96, v138, v188
	v_add_f32_e32 v97, v97, v98
	s_waitcnt vmcnt(4)
	v_mul_f32_e32 v98, v140, v190
	v_add_f32_e32 v96, v195, v96
	v_mul_f32_e32 v195, v139, v190
	v_fma_f32 v98, v139, v189, -v98
	v_fmac_f32_e32 v195, v140, v189
	v_add_f32_e32 v97, v97, v98
	s_waitcnt vmcnt(2) lgkmcnt(0)
	v_mul_f32_e32 v98, v142, v192
	v_add_f32_e32 v96, v96, v195
	v_mul_f32_e32 v195, v141, v192
	v_fma_f32 v98, v141, v191, -v98
	v_fmac_f32_e32 v195, v142, v191
	v_add_f32_e32 v97, v97, v98
	s_waitcnt vmcnt(0)
	v_mul_f32_e32 v98, v144, v194
	v_add_f32_e32 v96, v96, v195
	v_mul_f32_e32 v195, v143, v194
	v_fma_f32 v98, v143, v193, -v98
	v_fmac_f32_e32 v195, v144, v193
	v_add_f32_e32 v97, v97, v98
	v_add_f32_e32 v96, v96, v195
	v_sub_f32_e32 v97, v185, v97
	v_sub_f32_e32 v96, v186, v96
	buffer_store_dword v97, off, s[0:3], 0 offset:176
	buffer_store_dword v96, off, s[0:3], 0 offset:180
	s_and_saveexec_b64 s[4:5], vcc
	s_cbranch_execz .LBB46_253
; %bb.252:
	buffer_load_dword v96, off, s[0:3], 0 offset:168
	buffer_load_dword v97, off, s[0:3], 0 offset:172
	v_mov_b32_e32 v98, 0
	buffer_store_dword v98, off, s[0:3], 0 offset:168
	buffer_store_dword v98, off, s[0:3], 0 offset:172
	s_waitcnt vmcnt(2)
	ds_write_b64 v95, v[96:97]
.LBB46_253:
	s_or_b64 exec, exec, s[4:5]
	s_waitcnt lgkmcnt(0)
	; wave barrier
	buffer_load_dword v147, off, s[0:3], 0 offset:180
	buffer_load_dword v148, off, s[0:3], 0 offset:188
	;; [unrolled: 1-line block ×52, first 2 shown]
	v_mov_b32_e32 v96, 0
	ds_read_b128 v[97:100], v96 offset:560
	ds_read_b128 v[101:104], v96 offset:576
	;; [unrolled: 1-line block ×6, first 2 shown]
	v_cmp_lt_u32_e32 vcc, 20, v0
	s_waitcnt vmcnt(51) lgkmcnt(5)
	v_mul_f32_e32 v121, v97, v147
	s_waitcnt vmcnt(50)
	v_mul_f32_e32 v122, v99, v148
	s_waitcnt vmcnt(49) lgkmcnt(4)
	v_mul_f32_e32 v123, v101, v149
	s_waitcnt vmcnt(48)
	v_mul_f32_e32 v124, v103, v150
	;; [unrolled: 4-line block ×5, first 2 shown]
	s_waitcnt vmcnt(41) lgkmcnt(0)
	v_mul_f32_e32 v131, v117, v157
	s_waitcnt vmcnt(40)
	v_fmac_f32_e32 v121, v98, v158
	v_mul_f32_e32 v98, v98, v147
	s_waitcnt vmcnt(39)
	v_fmac_f32_e32 v122, v100, v159
	v_add_f32_e32 v121, 0, v121
	v_fma_f32 v97, v97, v158, -v98
	v_mul_f32_e32 v98, v100, v148
	s_waitcnt vmcnt(38)
	v_fmac_f32_e32 v123, v102, v160
	v_add_f32_e32 v121, v121, v122
	v_add_f32_e32 v97, 0, v97
	v_fma_f32 v98, v99, v159, -v98
	s_waitcnt vmcnt(37)
	v_fmac_f32_e32 v124, v104, v161
	v_add_f32_e32 v121, v121, v123
	v_add_f32_e32 v97, v97, v98
	v_mul_f32_e32 v98, v102, v149
	s_waitcnt vmcnt(36)
	v_fmac_f32_e32 v125, v106, v162
	v_add_f32_e32 v121, v121, v124
	v_fma_f32 v98, v101, v160, -v98
	s_waitcnt vmcnt(35)
	v_fmac_f32_e32 v126, v108, v163
	v_add_f32_e32 v121, v121, v125
	v_add_f32_e32 v97, v97, v98
	v_mul_f32_e32 v98, v104, v150
	s_waitcnt vmcnt(34)
	v_fmac_f32_e32 v127, v110, v164
	;; [unrolled: 9-line block ×3, first 2 shown]
	v_add_f32_e32 v121, v121, v128
	v_fma_f32 v98, v105, v162, -v98
	s_waitcnt vmcnt(31)
	v_fmac_f32_e32 v130, v116, v167
	v_add_f32_e32 v121, v121, v129
	v_add_f32_e32 v97, v97, v98
	v_mul_f32_e32 v98, v108, v152
	v_add_f32_e32 v121, v121, v130
	s_waitcnt vmcnt(30)
	v_fmac_f32_e32 v131, v118, v168
	v_fma_f32 v98, v107, v163, -v98
	v_add_f32_e32 v125, v121, v131
	ds_read_b128 v[121:124], v96 offset:656
	v_add_f32_e32 v97, v97, v98
	v_mul_f32_e32 v98, v110, v153
	v_fma_f32 v98, v109, v164, -v98
	s_waitcnt vmcnt(29)
	v_mul_f32_e32 v126, v119, v169
	v_add_f32_e32 v97, v97, v98
	v_mul_f32_e32 v98, v112, v154
	s_waitcnt vmcnt(28)
	v_fmac_f32_e32 v126, v120, v170
	v_fma_f32 v98, v111, v165, -v98
	v_add_f32_e32 v129, v125, v126
	ds_read_b128 v[125:128], v96 offset:672
	v_add_f32_e32 v97, v97, v98
	v_mul_f32_e32 v98, v114, v155
	s_waitcnt vmcnt(27) lgkmcnt(1)
	v_mul_f32_e32 v130, v121, v171
	v_fma_f32 v98, v113, v166, -v98
	s_waitcnt vmcnt(26)
	v_fmac_f32_e32 v130, v122, v172
	v_add_f32_e32 v97, v97, v98
	v_mul_f32_e32 v98, v116, v156
	v_add_f32_e32 v129, v129, v130
	s_waitcnt vmcnt(25)
	v_mul_f32_e32 v130, v123, v173
	v_fma_f32 v98, v115, v167, -v98
	s_waitcnt vmcnt(24)
	v_fmac_f32_e32 v130, v124, v174
	v_add_f32_e32 v97, v97, v98
	v_mul_f32_e32 v98, v118, v157
	v_add_f32_e32 v129, v129, v130
	s_waitcnt vmcnt(23) lgkmcnt(0)
	v_mul_f32_e32 v130, v125, v175
	v_fma_f32 v98, v117, v168, -v98
	s_waitcnt vmcnt(22)
	v_fmac_f32_e32 v130, v126, v176
	v_add_f32_e32 v97, v97, v98
	v_mul_f32_e32 v98, v120, v169
	v_add_f32_e32 v133, v129, v130
	ds_read_b128 v[129:132], v96 offset:688
	v_fma_f32 v98, v119, v170, -v98
	v_add_f32_e32 v97, v97, v98
	v_mul_f32_e32 v98, v122, v171
	s_waitcnt vmcnt(21)
	v_mul_f32_e32 v134, v127, v177
	v_fma_f32 v98, v121, v172, -v98
	s_waitcnt vmcnt(20)
	v_fmac_f32_e32 v134, v128, v178
	v_add_f32_e32 v97, v97, v98
	v_mul_f32_e32 v98, v124, v173
	v_add_f32_e32 v137, v133, v134
	ds_read_b128 v[133:136], v96 offset:704
	v_fma_f32 v98, v123, v174, -v98
	s_waitcnt vmcnt(19) lgkmcnt(1)
	v_mul_f32_e32 v138, v129, v179
	v_add_f32_e32 v97, v97, v98
	v_mul_f32_e32 v98, v126, v175
	s_waitcnt vmcnt(18)
	v_fmac_f32_e32 v138, v130, v180
	v_fma_f32 v98, v125, v176, -v98
	v_add_f32_e32 v137, v137, v138
	s_waitcnt vmcnt(17)
	v_mul_f32_e32 v138, v131, v181
	v_add_f32_e32 v97, v97, v98
	v_mul_f32_e32 v98, v128, v177
	s_waitcnt vmcnt(16)
	v_fmac_f32_e32 v138, v132, v182
	v_fma_f32 v98, v127, v178, -v98
	v_add_f32_e32 v137, v137, v138
	s_waitcnt vmcnt(14) lgkmcnt(0)
	v_mul_f32_e32 v138, v133, v184
	v_add_f32_e32 v97, v97, v98
	v_mul_f32_e32 v98, v130, v179
	v_fmac_f32_e32 v138, v134, v183
	v_fma_f32 v98, v129, v180, -v98
	v_add_f32_e32 v141, v137, v138
	ds_read_b128 v[137:140], v96 offset:720
	v_add_f32_e32 v97, v97, v98
	v_mul_f32_e32 v98, v132, v181
	v_fma_f32 v98, v131, v182, -v98
	v_add_f32_e32 v97, v97, v98
	v_mul_f32_e32 v98, v134, v184
	s_waitcnt vmcnt(11)
	v_mul_f32_e32 v142, v135, v187
	v_fma_f32 v98, v133, v183, -v98
	s_waitcnt vmcnt(10)
	v_fmac_f32_e32 v142, v136, v188
	v_add_f32_e32 v97, v97, v98
	v_mul_f32_e32 v98, v136, v187
	v_add_f32_e32 v145, v141, v142
	ds_read_b128 v[141:144], v96 offset:736
	s_waitcnt vmcnt(8) lgkmcnt(1)
	v_mul_f32_e32 v146, v137, v190
	v_fma_f32 v98, v135, v188, -v98
	v_fmac_f32_e32 v146, v138, v189
	v_add_f32_e32 v97, v97, v98
	v_mul_f32_e32 v98, v138, v190
	v_add_f32_e32 v145, v145, v146
	s_waitcnt vmcnt(6)
	v_mul_f32_e32 v146, v139, v192
	v_fma_f32 v98, v137, v189, -v98
	v_fmac_f32_e32 v146, v140, v191
	v_add_f32_e32 v97, v97, v98
	v_mul_f32_e32 v98, v140, v192
	v_add_f32_e32 v199, v145, v146
	ds_read_b64 v[145:146], v96 offset:752
	v_fma_f32 v98, v139, v191, -v98
	v_add_f32_e32 v97, v97, v98
	s_waitcnt vmcnt(4) lgkmcnt(1)
	v_mul_f32_e32 v98, v142, v194
	v_mul_f32_e32 v200, v141, v194
	v_fma_f32 v98, v141, v193, -v98
	v_fmac_f32_e32 v200, v142, v193
	v_add_f32_e32 v97, v97, v98
	s_waitcnt vmcnt(2)
	v_mul_f32_e32 v98, v144, v196
	v_add_f32_e32 v199, v199, v200
	v_mul_f32_e32 v200, v143, v196
	v_fma_f32 v98, v143, v195, -v98
	v_fmac_f32_e32 v200, v144, v195
	v_add_f32_e32 v97, v97, v98
	s_waitcnt vmcnt(0) lgkmcnt(0)
	v_mul_f32_e32 v98, v146, v198
	v_add_f32_e32 v199, v199, v200
	v_mul_f32_e32 v200, v145, v198
	v_fma_f32 v98, v145, v197, -v98
	v_fmac_f32_e32 v200, v146, v197
	v_add_f32_e32 v97, v97, v98
	v_add_f32_e32 v199, v199, v200
	v_sub_f32_e32 v97, v185, v97
	v_sub_f32_e32 v98, v186, v199
	buffer_store_dword v97, off, s[0:3], 0 offset:168
	buffer_store_dword v98, off, s[0:3], 0 offset:172
	s_and_saveexec_b64 s[4:5], vcc
	s_cbranch_execz .LBB46_255
; %bb.254:
	buffer_load_dword v97, off, s[0:3], 0 offset:160
	buffer_load_dword v98, off, s[0:3], 0 offset:164
	s_waitcnt vmcnt(0)
	ds_write_b64 v95, v[97:98]
	buffer_store_dword v96, off, s[0:3], 0 offset:160
	buffer_store_dword v96, off, s[0:3], 0 offset:164
.LBB46_255:
	s_or_b64 exec, exec, s[4:5]
	s_waitcnt lgkmcnt(0)
	; wave barrier
	buffer_load_dword v149, off, s[0:3], 0 offset:172
	buffer_load_dword v150, off, s[0:3], 0 offset:180
	;; [unrolled: 1-line block ×42, first 2 shown]
	ds_read2_b64 v[97:100], v96 offset0:69 offset1:70
	ds_read2_b64 v[101:104], v96 offset0:71 offset1:72
	;; [unrolled: 1-line block ×4, first 2 shown]
	buffer_load_dword v191, off, s[0:3], 0 offset:332
	buffer_load_dword v192, off, s[0:3], 0 offset:328
	;; [unrolled: 1-line block ×6, first 2 shown]
	ds_read2_b64 v[113:116], v96 offset0:77 offset1:78
	ds_read2_b64 v[117:120], v96 offset0:79 offset1:80
	buffer_load_dword v197, off, s[0:3], 0 offset:352
	buffer_load_dword v198, off, s[0:3], 0 offset:356
	;; [unrolled: 1-line block ×6, first 2 shown]
	v_cmp_lt_u32_e32 vcc, 19, v0
	s_waitcnt vmcnt(53) lgkmcnt(5)
	v_mul_f32_e32 v121, v97, v149
	s_waitcnt vmcnt(52)
	v_mul_f32_e32 v122, v99, v150
	s_waitcnt vmcnt(51) lgkmcnt(4)
	v_mul_f32_e32 v123, v101, v151
	s_waitcnt vmcnt(50)
	v_mul_f32_e32 v124, v103, v152
	;; [unrolled: 4-line block ×5, first 2 shown]
	s_waitcnt vmcnt(43)
	v_fmac_f32_e32 v121, v98, v159
	v_mul_f32_e32 v98, v98, v149
	s_waitcnt vmcnt(42)
	v_fmac_f32_e32 v122, v100, v160
	v_add_f32_e32 v121, 0, v121
	v_fma_f32 v97, v97, v159, -v98
	v_mul_f32_e32 v98, v100, v150
	s_waitcnt vmcnt(41)
	v_fmac_f32_e32 v123, v102, v161
	v_add_f32_e32 v121, v121, v122
	v_add_f32_e32 v97, 0, v97
	v_fma_f32 v98, v99, v160, -v98
	s_waitcnt vmcnt(40)
	v_fmac_f32_e32 v124, v104, v162
	v_add_f32_e32 v121, v121, v123
	v_add_f32_e32 v97, v97, v98
	v_mul_f32_e32 v98, v102, v151
	s_waitcnt vmcnt(39)
	v_fmac_f32_e32 v125, v106, v163
	v_add_f32_e32 v121, v121, v124
	v_fma_f32 v98, v101, v161, -v98
	s_waitcnt vmcnt(38)
	v_fmac_f32_e32 v126, v108, v164
	v_add_f32_e32 v121, v121, v125
	v_add_f32_e32 v97, v97, v98
	v_mul_f32_e32 v98, v104, v152
	s_waitcnt vmcnt(37)
	v_fmac_f32_e32 v127, v110, v165
	;; [unrolled: 9-line block ×3, first 2 shown]
	v_add_f32_e32 v121, v121, v128
	v_fma_f32 v98, v105, v163, -v98
	s_waitcnt vmcnt(34)
	v_fmac_f32_e32 v130, v116, v168
	v_add_f32_e32 v121, v121, v129
	s_waitcnt vmcnt(33) lgkmcnt(0)
	v_mul_f32_e32 v122, v117, v169
	v_add_f32_e32 v97, v97, v98
	v_mul_f32_e32 v98, v108, v154
	v_add_f32_e32 v121, v121, v130
	s_waitcnt vmcnt(32)
	v_fmac_f32_e32 v122, v118, v170
	v_fma_f32 v98, v107, v164, -v98
	v_add_f32_e32 v125, v121, v122
	ds_read2_b64 v[121:124], v96 offset0:81 offset1:82
	v_add_f32_e32 v97, v97, v98
	v_mul_f32_e32 v98, v110, v155
	v_fma_f32 v98, v109, v165, -v98
	s_waitcnt vmcnt(31)
	v_mul_f32_e32 v126, v119, v171
	v_add_f32_e32 v97, v97, v98
	v_mul_f32_e32 v98, v112, v156
	s_waitcnt vmcnt(30)
	v_fmac_f32_e32 v126, v120, v172
	v_fma_f32 v98, v111, v166, -v98
	v_add_f32_e32 v129, v125, v126
	ds_read2_b64 v[125:128], v96 offset0:83 offset1:84
	v_add_f32_e32 v97, v97, v98
	v_mul_f32_e32 v98, v114, v157
	s_waitcnt vmcnt(29) lgkmcnt(1)
	v_mul_f32_e32 v130, v121, v173
	v_fma_f32 v98, v113, v167, -v98
	s_waitcnt vmcnt(28)
	v_fmac_f32_e32 v130, v122, v174
	v_add_f32_e32 v97, v97, v98
	v_mul_f32_e32 v98, v116, v158
	v_add_f32_e32 v129, v129, v130
	s_waitcnt vmcnt(27)
	v_mul_f32_e32 v130, v123, v175
	v_fma_f32 v98, v115, v168, -v98
	s_waitcnt vmcnt(26)
	v_fmac_f32_e32 v130, v124, v176
	v_add_f32_e32 v97, v97, v98
	v_mul_f32_e32 v98, v118, v169
	v_add_f32_e32 v129, v129, v130
	s_waitcnt vmcnt(25) lgkmcnt(0)
	v_mul_f32_e32 v130, v125, v177
	v_fma_f32 v98, v117, v170, -v98
	s_waitcnt vmcnt(24)
	v_fmac_f32_e32 v130, v126, v178
	v_add_f32_e32 v97, v97, v98
	v_mul_f32_e32 v98, v120, v171
	v_add_f32_e32 v133, v129, v130
	ds_read2_b64 v[129:132], v96 offset0:85 offset1:86
	v_fma_f32 v98, v119, v172, -v98
	v_add_f32_e32 v97, v97, v98
	v_mul_f32_e32 v98, v122, v173
	s_waitcnt vmcnt(23)
	v_mul_f32_e32 v134, v127, v179
	v_fma_f32 v98, v121, v174, -v98
	s_waitcnt vmcnt(22)
	v_fmac_f32_e32 v134, v128, v180
	v_add_f32_e32 v97, v97, v98
	v_mul_f32_e32 v98, v124, v175
	v_add_f32_e32 v137, v133, v134
	ds_read2_b64 v[133:136], v96 offset0:87 offset1:88
	v_fma_f32 v98, v123, v176, -v98
	s_waitcnt vmcnt(21) lgkmcnt(1)
	v_mul_f32_e32 v138, v129, v181
	v_add_f32_e32 v97, v97, v98
	v_mul_f32_e32 v98, v126, v177
	s_waitcnt vmcnt(20)
	v_fmac_f32_e32 v138, v130, v182
	v_fma_f32 v98, v125, v178, -v98
	v_add_f32_e32 v137, v137, v138
	s_waitcnt vmcnt(18)
	v_mul_f32_e32 v138, v131, v184
	v_add_f32_e32 v97, v97, v98
	v_mul_f32_e32 v98, v128, v179
	v_fmac_f32_e32 v138, v132, v183
	v_fma_f32 v98, v127, v180, -v98
	v_add_f32_e32 v137, v137, v138
	s_waitcnt vmcnt(15) lgkmcnt(0)
	v_mul_f32_e32 v138, v133, v187
	v_add_f32_e32 v97, v97, v98
	v_mul_f32_e32 v98, v130, v181
	s_waitcnt vmcnt(14)
	v_fmac_f32_e32 v138, v134, v188
	v_fma_f32 v98, v129, v182, -v98
	v_add_f32_e32 v141, v137, v138
	ds_read2_b64 v[137:140], v96 offset0:89 offset1:90
	v_add_f32_e32 v97, v97, v98
	v_mul_f32_e32 v98, v132, v184
	v_fma_f32 v98, v131, v183, -v98
	v_add_f32_e32 v97, v97, v98
	v_mul_f32_e32 v98, v134, v187
	s_waitcnt vmcnt(12)
	v_mul_f32_e32 v142, v135, v190
	v_fma_f32 v98, v133, v188, -v98
	v_fmac_f32_e32 v142, v136, v189
	v_add_f32_e32 v97, v97, v98
	v_mul_f32_e32 v98, v136, v190
	v_add_f32_e32 v145, v141, v142
	ds_read2_b64 v[141:144], v96 offset0:91 offset1:92
	s_waitcnt vmcnt(11) lgkmcnt(1)
	v_mul_f32_e32 v146, v137, v191
	v_fma_f32 v98, v135, v189, -v98
	s_waitcnt vmcnt(10)
	v_fmac_f32_e32 v146, v138, v192
	v_add_f32_e32 v97, v97, v98
	v_mul_f32_e32 v98, v138, v191
	v_add_f32_e32 v145, v145, v146
	s_waitcnt vmcnt(8)
	v_mul_f32_e32 v146, v139, v194
	v_fma_f32 v98, v137, v192, -v98
	v_fmac_f32_e32 v146, v140, v193
	v_add_f32_e32 v97, v97, v98
	v_mul_f32_e32 v98, v140, v194
	v_add_f32_e32 v203, v145, v146
	ds_read2_b64 v[145:148], v96 offset0:93 offset1:94
	v_fma_f32 v98, v139, v193, -v98
	v_add_f32_e32 v97, v97, v98
	s_waitcnt vmcnt(6) lgkmcnt(1)
	v_mul_f32_e32 v98, v142, v196
	v_mul_f32_e32 v204, v141, v196
	v_fma_f32 v98, v141, v195, -v98
	v_fmac_f32_e32 v204, v142, v195
	v_add_f32_e32 v97, v97, v98
	s_waitcnt vmcnt(4)
	v_mul_f32_e32 v98, v144, v198
	v_add_f32_e32 v96, v203, v204
	v_mul_f32_e32 v203, v143, v198
	v_fma_f32 v98, v143, v197, -v98
	v_fmac_f32_e32 v203, v144, v197
	v_add_f32_e32 v97, v97, v98
	s_waitcnt vmcnt(2) lgkmcnt(0)
	v_mul_f32_e32 v98, v146, v200
	v_add_f32_e32 v96, v96, v203
	v_mul_f32_e32 v203, v145, v200
	v_fma_f32 v98, v145, v199, -v98
	v_fmac_f32_e32 v203, v146, v199
	v_add_f32_e32 v97, v97, v98
	s_waitcnt vmcnt(0)
	v_mul_f32_e32 v98, v148, v202
	v_add_f32_e32 v96, v96, v203
	v_mul_f32_e32 v203, v147, v202
	v_fma_f32 v98, v147, v201, -v98
	v_fmac_f32_e32 v203, v148, v201
	v_add_f32_e32 v97, v97, v98
	v_add_f32_e32 v96, v96, v203
	v_sub_f32_e32 v97, v185, v97
	v_sub_f32_e32 v96, v186, v96
	buffer_store_dword v97, off, s[0:3], 0 offset:160
	buffer_store_dword v96, off, s[0:3], 0 offset:164
	s_and_saveexec_b64 s[4:5], vcc
	s_cbranch_execz .LBB46_257
; %bb.256:
	buffer_load_dword v96, off, s[0:3], 0 offset:152
	buffer_load_dword v97, off, s[0:3], 0 offset:156
	v_mov_b32_e32 v98, 0
	buffer_store_dword v98, off, s[0:3], 0 offset:152
	buffer_store_dword v98, off, s[0:3], 0 offset:156
	s_waitcnt vmcnt(2)
	ds_write_b64 v95, v[96:97]
.LBB46_257:
	s_or_b64 exec, exec, s[4:5]
	s_waitcnt lgkmcnt(0)
	; wave barrier
	buffer_load_dword v151, off, s[0:3], 0 offset:164
	buffer_load_dword v152, off, s[0:3], 0 offset:172
	;; [unrolled: 1-line block ×56, first 2 shown]
	v_mov_b32_e32 v96, 0
	ds_read_b128 v[97:100], v96 offset:544
	ds_read_b128 v[101:104], v96 offset:560
	;; [unrolled: 1-line block ×6, first 2 shown]
	v_cmp_lt_u32_e32 vcc, 18, v0
	s_waitcnt vmcnt(55) lgkmcnt(5)
	v_mul_f32_e32 v121, v97, v151
	s_waitcnt vmcnt(54)
	v_mul_f32_e32 v122, v99, v152
	s_waitcnt vmcnt(53) lgkmcnt(4)
	v_mul_f32_e32 v123, v101, v153
	s_waitcnt vmcnt(52)
	v_mul_f32_e32 v124, v103, v154
	;; [unrolled: 4-line block ×4, first 2 shown]
	s_waitcnt vmcnt(47) lgkmcnt(1)
	v_mul_f32_e32 v129, v113, v159
	s_waitcnt vmcnt(46)
	v_fmac_f32_e32 v121, v98, v160
	s_waitcnt vmcnt(45)
	v_fmac_f32_e32 v122, v100, v161
	v_add_f32_e32 v121, 0, v121
	s_waitcnt vmcnt(44)
	v_fmac_f32_e32 v123, v102, v162
	v_add_f32_e32 v121, v121, v122
	;; [unrolled: 3-line block ×3, first 2 shown]
	v_mul_f32_e32 v98, v98, v151
	s_waitcnt vmcnt(42)
	v_fmac_f32_e32 v125, v106, v164
	v_add_f32_e32 v121, v121, v124
	v_fma_f32 v97, v97, v160, -v98
	v_mul_f32_e32 v98, v100, v152
	s_waitcnt vmcnt(41)
	v_fmac_f32_e32 v126, v108, v165
	v_add_f32_e32 v121, v121, v125
	v_add_f32_e32 v97, 0, v97
	v_fma_f32 v98, v99, v161, -v98
	s_waitcnt vmcnt(40)
	v_fmac_f32_e32 v127, v110, v166
	v_add_f32_e32 v121, v121, v126
	v_add_f32_e32 v97, v97, v98
	v_mul_f32_e32 v98, v102, v153
	s_waitcnt vmcnt(39)
	v_fmac_f32_e32 v128, v112, v167
	v_add_f32_e32 v121, v121, v127
	v_fma_f32 v98, v101, v162, -v98
	v_add_f32_e32 v121, v121, v128
	s_waitcnt vmcnt(38)
	v_fmac_f32_e32 v129, v114, v168
	s_waitcnt vmcnt(37)
	v_mul_f32_e32 v122, v115, v169
	v_add_f32_e32 v97, v97, v98
	v_mul_f32_e32 v98, v104, v154
	v_add_f32_e32 v121, v121, v129
	s_waitcnt vmcnt(36)
	v_fmac_f32_e32 v122, v116, v170
	v_fma_f32 v98, v103, v163, -v98
	v_add_f32_e32 v121, v121, v122
	s_waitcnt vmcnt(35) lgkmcnt(0)
	v_mul_f32_e32 v122, v117, v171
	v_add_f32_e32 v97, v97, v98
	v_mul_f32_e32 v98, v106, v155
	s_waitcnt vmcnt(34)
	v_fmac_f32_e32 v122, v118, v172
	v_fma_f32 v98, v105, v164, -v98
	v_add_f32_e32 v125, v121, v122
	ds_read_b128 v[121:124], v96 offset:640
	v_add_f32_e32 v97, v97, v98
	v_mul_f32_e32 v98, v108, v156
	v_fma_f32 v98, v107, v165, -v98
	s_waitcnt vmcnt(33)
	v_mul_f32_e32 v126, v119, v173
	v_add_f32_e32 v97, v97, v98
	v_mul_f32_e32 v98, v110, v157
	s_waitcnt vmcnt(32)
	v_fmac_f32_e32 v126, v120, v174
	v_fma_f32 v98, v109, v166, -v98
	v_add_f32_e32 v129, v125, v126
	ds_read_b128 v[125:128], v96 offset:656
	v_add_f32_e32 v97, v97, v98
	v_mul_f32_e32 v98, v112, v158
	s_waitcnt vmcnt(31) lgkmcnt(1)
	v_mul_f32_e32 v130, v121, v175
	v_fma_f32 v98, v111, v167, -v98
	s_waitcnt vmcnt(30)
	v_fmac_f32_e32 v130, v122, v176
	v_add_f32_e32 v97, v97, v98
	v_mul_f32_e32 v98, v114, v159
	v_add_f32_e32 v129, v129, v130
	s_waitcnt vmcnt(29)
	v_mul_f32_e32 v130, v123, v177
	v_fma_f32 v98, v113, v168, -v98
	s_waitcnt vmcnt(28)
	v_fmac_f32_e32 v130, v124, v178
	v_add_f32_e32 v97, v97, v98
	v_mul_f32_e32 v98, v116, v169
	v_add_f32_e32 v129, v129, v130
	s_waitcnt vmcnt(27) lgkmcnt(0)
	v_mul_f32_e32 v130, v125, v179
	v_fma_f32 v98, v115, v170, -v98
	s_waitcnt vmcnt(26)
	v_fmac_f32_e32 v130, v126, v180
	v_add_f32_e32 v97, v97, v98
	v_mul_f32_e32 v98, v118, v171
	v_add_f32_e32 v133, v129, v130
	ds_read_b128 v[129:132], v96 offset:672
	v_fma_f32 v98, v117, v172, -v98
	v_add_f32_e32 v97, v97, v98
	v_mul_f32_e32 v98, v120, v173
	s_waitcnt vmcnt(24)
	v_mul_f32_e32 v134, v127, v182
	v_fma_f32 v98, v119, v174, -v98
	v_fmac_f32_e32 v134, v128, v181
	v_add_f32_e32 v97, v97, v98
	v_mul_f32_e32 v98, v122, v175
	v_add_f32_e32 v137, v133, v134
	ds_read_b128 v[133:136], v96 offset:688
	v_fma_f32 v98, v121, v176, -v98
	s_waitcnt vmcnt(21) lgkmcnt(1)
	v_mul_f32_e32 v138, v129, v185
	v_add_f32_e32 v97, v97, v98
	v_mul_f32_e32 v98, v124, v177
	s_waitcnt vmcnt(20)
	v_fmac_f32_e32 v138, v130, v186
	v_fma_f32 v98, v123, v178, -v98
	v_add_f32_e32 v137, v137, v138
	s_waitcnt vmcnt(18)
	v_mul_f32_e32 v138, v131, v188
	v_add_f32_e32 v97, v97, v98
	v_mul_f32_e32 v98, v126, v179
	v_fmac_f32_e32 v138, v132, v187
	v_fma_f32 v98, v125, v180, -v98
	v_add_f32_e32 v137, v137, v138
	s_waitcnt vmcnt(16) lgkmcnt(0)
	v_mul_f32_e32 v138, v133, v190
	v_add_f32_e32 v97, v97, v98
	v_mul_f32_e32 v98, v128, v182
	v_fmac_f32_e32 v138, v134, v189
	v_fma_f32 v98, v127, v181, -v98
	v_add_f32_e32 v141, v137, v138
	ds_read_b128 v[137:140], v96 offset:704
	v_add_f32_e32 v97, v97, v98
	v_mul_f32_e32 v98, v130, v185
	v_fma_f32 v98, v129, v186, -v98
	s_waitcnt vmcnt(14)
	v_mul_f32_e32 v142, v135, v192
	v_add_f32_e32 v97, v97, v98
	v_mul_f32_e32 v98, v132, v188
	v_fmac_f32_e32 v142, v136, v191
	v_fma_f32 v98, v131, v187, -v98
	v_add_f32_e32 v145, v141, v142
	ds_read_b128 v[141:144], v96 offset:720
	v_add_f32_e32 v97, v97, v98
	v_mul_f32_e32 v98, v134, v190
	s_waitcnt vmcnt(12) lgkmcnt(1)
	v_mul_f32_e32 v146, v137, v194
	v_fma_f32 v98, v133, v189, -v98
	v_fmac_f32_e32 v146, v138, v193
	v_add_f32_e32 v97, v97, v98
	v_mul_f32_e32 v98, v136, v192
	v_add_f32_e32 v145, v145, v146
	s_waitcnt vmcnt(10)
	v_mul_f32_e32 v146, v139, v196
	v_fma_f32 v98, v135, v191, -v98
	v_fmac_f32_e32 v146, v140, v195
	v_add_f32_e32 v97, v97, v98
	v_mul_f32_e32 v98, v138, v194
	v_add_f32_e32 v145, v145, v146
	s_waitcnt vmcnt(8) lgkmcnt(0)
	v_mul_f32_e32 v146, v141, v198
	v_fma_f32 v98, v137, v193, -v98
	v_fmac_f32_e32 v146, v142, v197
	v_add_f32_e32 v97, v97, v98
	v_mul_f32_e32 v98, v140, v196
	v_add_f32_e32 v149, v145, v146
	ds_read_b128 v[145:148], v96 offset:736
	v_fma_f32 v98, v139, v195, -v98
	v_add_f32_e32 v97, v97, v98
	v_mul_f32_e32 v98, v142, v198
	s_waitcnt vmcnt(6)
	v_mul_f32_e32 v150, v143, v200
	v_fma_f32 v98, v141, v197, -v98
	v_fmac_f32_e32 v150, v144, v199
	v_add_f32_e32 v97, v97, v98
	v_mul_f32_e32 v98, v144, v200
	v_add_f32_e32 v207, v149, v150
	ds_read_b64 v[149:150], v96 offset:752
	v_fma_f32 v98, v143, v199, -v98
	v_add_f32_e32 v97, v97, v98
	s_waitcnt vmcnt(4) lgkmcnt(1)
	v_mul_f32_e32 v98, v146, v202
	v_mul_f32_e32 v208, v145, v202
	v_fma_f32 v98, v145, v201, -v98
	v_fmac_f32_e32 v208, v146, v201
	v_add_f32_e32 v97, v97, v98
	s_waitcnt vmcnt(2)
	v_mul_f32_e32 v98, v148, v204
	v_add_f32_e32 v207, v207, v208
	v_mul_f32_e32 v208, v147, v204
	v_fma_f32 v98, v147, v203, -v98
	v_fmac_f32_e32 v208, v148, v203
	v_add_f32_e32 v97, v97, v98
	s_waitcnt vmcnt(0) lgkmcnt(0)
	v_mul_f32_e32 v98, v150, v206
	v_add_f32_e32 v207, v207, v208
	v_mul_f32_e32 v208, v149, v206
	v_fma_f32 v98, v149, v205, -v98
	v_fmac_f32_e32 v208, v150, v205
	v_add_f32_e32 v97, v97, v98
	v_add_f32_e32 v207, v207, v208
	v_sub_f32_e32 v97, v183, v97
	v_sub_f32_e32 v98, v184, v207
	buffer_store_dword v97, off, s[0:3], 0 offset:152
	buffer_store_dword v98, off, s[0:3], 0 offset:156
	s_and_saveexec_b64 s[4:5], vcc
	s_cbranch_execz .LBB46_259
; %bb.258:
	buffer_load_dword v97, off, s[0:3], 0 offset:144
	buffer_load_dword v98, off, s[0:3], 0 offset:148
	s_waitcnt vmcnt(0)
	ds_write_b64 v95, v[97:98]
	buffer_store_dword v96, off, s[0:3], 0 offset:144
	buffer_store_dword v96, off, s[0:3], 0 offset:148
.LBB46_259:
	s_or_b64 exec, exec, s[4:5]
	s_waitcnt lgkmcnt(0)
	; wave barrier
	buffer_load_dword v153, off, s[0:3], 0 offset:156
	buffer_load_dword v154, off, s[0:3], 0 offset:164
	;; [unrolled: 1-line block ×34, first 2 shown]
	ds_read2_b64 v[97:100], v96 offset0:67 offset1:68
	ds_read2_b64 v[101:104], v96 offset0:69 offset1:70
	buffer_load_dword v187, off, s[0:3], 0 offset:284
	buffer_load_dword v188, off, s[0:3], 0 offset:280
	;; [unrolled: 1-line block ×6, first 2 shown]
	ds_read2_b64 v[105:108], v96 offset0:71 offset1:72
	ds_read2_b64 v[109:112], v96 offset0:73 offset1:74
	;; [unrolled: 1-line block ×4, first 2 shown]
	buffer_load_dword v193, off, s[0:3], 0 offset:308
	buffer_load_dword v194, off, s[0:3], 0 offset:304
	;; [unrolled: 1-line block ×18, first 2 shown]
	v_cmp_lt_u32_e32 vcc, 17, v0
	s_waitcnt vmcnt(57) lgkmcnt(5)
	v_mul_f32_e32 v121, v97, v153
	s_waitcnt vmcnt(56)
	v_mul_f32_e32 v122, v99, v154
	s_waitcnt vmcnt(55) lgkmcnt(4)
	v_mul_f32_e32 v123, v101, v155
	s_waitcnt vmcnt(54)
	v_mul_f32_e32 v124, v103, v156
	;; [unrolled: 4-line block ×4, first 2 shown]
	s_waitcnt vmcnt(49)
	v_fmac_f32_e32 v121, v98, v161
	s_waitcnt vmcnt(48)
	v_fmac_f32_e32 v122, v100, v162
	v_add_f32_e32 v121, 0, v121
	s_waitcnt vmcnt(47)
	v_fmac_f32_e32 v123, v102, v163
	v_add_f32_e32 v121, v121, v122
	;; [unrolled: 3-line block ×4, first 2 shown]
	v_mul_f32_e32 v98, v98, v153
	s_waitcnt vmcnt(44)
	v_fmac_f32_e32 v126, v108, v166
	v_add_f32_e32 v121, v121, v125
	v_fma_f32 v97, v97, v161, -v98
	v_mul_f32_e32 v98, v100, v154
	s_waitcnt vmcnt(43)
	v_fmac_f32_e32 v127, v110, v167
	v_add_f32_e32 v121, v121, v126
	v_add_f32_e32 v97, 0, v97
	v_fma_f32 v98, v99, v162, -v98
	s_waitcnt vmcnt(42)
	v_fmac_f32_e32 v128, v112, v168
	v_add_f32_e32 v121, v121, v127
	s_waitcnt vmcnt(41) lgkmcnt(1)
	v_mul_f32_e32 v122, v113, v169
	v_add_f32_e32 v97, v97, v98
	v_mul_f32_e32 v98, v102, v155
	v_add_f32_e32 v121, v121, v128
	s_waitcnt vmcnt(40)
	v_fmac_f32_e32 v122, v114, v170
	v_fma_f32 v98, v101, v163, -v98
	v_add_f32_e32 v121, v121, v122
	s_waitcnt vmcnt(39)
	v_mul_f32_e32 v122, v115, v171
	v_add_f32_e32 v97, v97, v98
	v_mul_f32_e32 v98, v104, v156
	s_waitcnt vmcnt(38)
	v_fmac_f32_e32 v122, v116, v172
	v_fma_f32 v98, v103, v164, -v98
	v_add_f32_e32 v121, v121, v122
	s_waitcnt vmcnt(37) lgkmcnt(0)
	v_mul_f32_e32 v122, v117, v173
	v_add_f32_e32 v97, v97, v98
	v_mul_f32_e32 v98, v106, v157
	s_waitcnt vmcnt(36)
	v_fmac_f32_e32 v122, v118, v174
	v_fma_f32 v98, v105, v165, -v98
	v_add_f32_e32 v125, v121, v122
	ds_read2_b64 v[121:124], v96 offset0:79 offset1:80
	v_add_f32_e32 v97, v97, v98
	v_mul_f32_e32 v98, v108, v158
	v_fma_f32 v98, v107, v166, -v98
	s_waitcnt vmcnt(35)
	v_mul_f32_e32 v126, v119, v175
	v_add_f32_e32 v97, v97, v98
	v_mul_f32_e32 v98, v110, v159
	s_waitcnt vmcnt(34)
	v_fmac_f32_e32 v126, v120, v176
	v_fma_f32 v98, v109, v167, -v98
	v_add_f32_e32 v129, v125, v126
	ds_read2_b64 v[125:128], v96 offset0:81 offset1:82
	v_add_f32_e32 v97, v97, v98
	v_mul_f32_e32 v98, v112, v160
	s_waitcnt vmcnt(33) lgkmcnt(1)
	v_mul_f32_e32 v130, v121, v177
	v_fma_f32 v98, v111, v168, -v98
	s_waitcnt vmcnt(32)
	v_fmac_f32_e32 v130, v122, v178
	v_add_f32_e32 v97, v97, v98
	v_mul_f32_e32 v98, v114, v169
	v_add_f32_e32 v129, v129, v130
	s_waitcnt vmcnt(31)
	v_mul_f32_e32 v130, v123, v179
	v_fma_f32 v98, v113, v170, -v98
	s_waitcnt vmcnt(30)
	v_fmac_f32_e32 v130, v124, v180
	v_add_f32_e32 v97, v97, v98
	v_mul_f32_e32 v98, v116, v171
	v_add_f32_e32 v129, v129, v130
	s_waitcnt vmcnt(29) lgkmcnt(0)
	v_mul_f32_e32 v130, v125, v181
	v_fma_f32 v98, v115, v172, -v98
	s_waitcnt vmcnt(28)
	v_fmac_f32_e32 v130, v126, v182
	v_add_f32_e32 v97, v97, v98
	v_mul_f32_e32 v98, v118, v173
	v_add_f32_e32 v133, v129, v130
	ds_read2_b64 v[129:132], v96 offset0:83 offset1:84
	v_fma_f32 v98, v117, v174, -v98
	v_add_f32_e32 v97, v97, v98
	v_mul_f32_e32 v98, v120, v175
	s_waitcnt vmcnt(25)
	v_mul_f32_e32 v134, v127, v185
	v_fma_f32 v98, v119, v176, -v98
	s_waitcnt vmcnt(24)
	v_fmac_f32_e32 v134, v128, v186
	v_add_f32_e32 v97, v97, v98
	v_mul_f32_e32 v98, v122, v177
	v_add_f32_e32 v137, v133, v134
	ds_read2_b64 v[133:136], v96 offset0:85 offset1:86
	v_fma_f32 v98, v121, v178, -v98
	s_waitcnt vmcnt(23) lgkmcnt(1)
	v_mul_f32_e32 v138, v129, v187
	v_add_f32_e32 v97, v97, v98
	v_mul_f32_e32 v98, v124, v179
	s_waitcnt vmcnt(22)
	v_fmac_f32_e32 v138, v130, v188
	v_fma_f32 v98, v123, v180, -v98
	v_add_f32_e32 v137, v137, v138
	s_waitcnt vmcnt(20)
	v_mul_f32_e32 v138, v131, v190
	v_add_f32_e32 v97, v97, v98
	v_mul_f32_e32 v98, v126, v181
	v_fmac_f32_e32 v138, v132, v189
	v_fma_f32 v98, v125, v182, -v98
	v_add_f32_e32 v137, v137, v138
	s_waitcnt vmcnt(18) lgkmcnt(0)
	v_mul_f32_e32 v138, v133, v192
	v_add_f32_e32 v97, v97, v98
	v_mul_f32_e32 v98, v128, v185
	v_fmac_f32_e32 v138, v134, v191
	v_fma_f32 v98, v127, v186, -v98
	v_add_f32_e32 v141, v137, v138
	ds_read2_b64 v[137:140], v96 offset0:87 offset1:88
	v_add_f32_e32 v97, v97, v98
	v_mul_f32_e32 v98, v130, v187
	v_fma_f32 v98, v129, v188, -v98
	s_waitcnt vmcnt(17)
	v_mul_f32_e32 v142, v135, v193
	v_add_f32_e32 v97, v97, v98
	v_mul_f32_e32 v98, v132, v190
	s_waitcnt vmcnt(16)
	v_fmac_f32_e32 v142, v136, v194
	v_fma_f32 v98, v131, v189, -v98
	v_add_f32_e32 v145, v141, v142
	ds_read2_b64 v[141:144], v96 offset0:89 offset1:90
	v_add_f32_e32 v97, v97, v98
	v_mul_f32_e32 v98, v134, v192
	s_waitcnt vmcnt(14) lgkmcnt(1)
	v_mul_f32_e32 v146, v137, v196
	v_fma_f32 v98, v133, v191, -v98
	v_fmac_f32_e32 v146, v138, v195
	v_add_f32_e32 v97, v97, v98
	v_mul_f32_e32 v98, v136, v193
	v_add_f32_e32 v145, v145, v146
	s_waitcnt vmcnt(12)
	v_mul_f32_e32 v146, v139, v198
	v_fma_f32 v98, v135, v194, -v98
	v_fmac_f32_e32 v146, v140, v197
	v_add_f32_e32 v97, v97, v98
	v_mul_f32_e32 v98, v138, v196
	v_add_f32_e32 v145, v145, v146
	s_waitcnt vmcnt(10) lgkmcnt(0)
	v_mul_f32_e32 v146, v141, v200
	v_fma_f32 v98, v137, v195, -v98
	v_fmac_f32_e32 v146, v142, v199
	v_add_f32_e32 v97, v97, v98
	v_mul_f32_e32 v98, v140, v198
	v_add_f32_e32 v149, v145, v146
	ds_read2_b64 v[145:148], v96 offset0:91 offset1:92
	v_fma_f32 v98, v139, v197, -v98
	v_add_f32_e32 v97, v97, v98
	v_mul_f32_e32 v98, v142, v200
	s_waitcnt vmcnt(8)
	v_mul_f32_e32 v150, v143, v202
	v_fma_f32 v98, v141, v199, -v98
	v_fmac_f32_e32 v150, v144, v201
	v_add_f32_e32 v97, v97, v98
	v_mul_f32_e32 v98, v144, v202
	v_add_f32_e32 v211, v149, v150
	ds_read2_b64 v[149:152], v96 offset0:93 offset1:94
	v_fma_f32 v98, v143, v201, -v98
	v_add_f32_e32 v97, v97, v98
	s_waitcnt vmcnt(6) lgkmcnt(1)
	v_mul_f32_e32 v98, v146, v204
	v_mul_f32_e32 v96, v145, v204
	v_fma_f32 v98, v145, v203, -v98
	v_fmac_f32_e32 v96, v146, v203
	v_add_f32_e32 v97, v97, v98
	s_waitcnt vmcnt(4)
	v_mul_f32_e32 v98, v148, v206
	v_add_f32_e32 v96, v211, v96
	v_mul_f32_e32 v211, v147, v206
	v_fma_f32 v98, v147, v205, -v98
	v_fmac_f32_e32 v211, v148, v205
	v_add_f32_e32 v97, v97, v98
	s_waitcnt vmcnt(2) lgkmcnt(0)
	v_mul_f32_e32 v98, v150, v208
	v_add_f32_e32 v96, v96, v211
	v_mul_f32_e32 v211, v149, v208
	v_fma_f32 v98, v149, v207, -v98
	v_fmac_f32_e32 v211, v150, v207
	v_add_f32_e32 v97, v97, v98
	s_waitcnt vmcnt(0)
	v_mul_f32_e32 v98, v152, v210
	v_add_f32_e32 v96, v96, v211
	v_mul_f32_e32 v211, v151, v210
	v_fma_f32 v98, v151, v209, -v98
	v_fmac_f32_e32 v211, v152, v209
	v_add_f32_e32 v97, v97, v98
	v_add_f32_e32 v96, v96, v211
	v_sub_f32_e32 v97, v183, v97
	v_sub_f32_e32 v96, v184, v96
	buffer_store_dword v97, off, s[0:3], 0 offset:144
	buffer_store_dword v96, off, s[0:3], 0 offset:148
	s_and_saveexec_b64 s[4:5], vcc
	s_cbranch_execz .LBB46_261
; %bb.260:
	buffer_load_dword v96, off, s[0:3], 0 offset:136
	buffer_load_dword v97, off, s[0:3], 0 offset:140
	v_mov_b32_e32 v98, 0
	buffer_store_dword v98, off, s[0:3], 0 offset:136
	buffer_store_dword v98, off, s[0:3], 0 offset:140
	s_waitcnt vmcnt(2)
	ds_write_b64 v95, v[96:97]
.LBB46_261:
	s_or_b64 exec, exec, s[4:5]
	s_waitcnt lgkmcnt(0)
	; wave barrier
	buffer_load_dword v155, off, s[0:3], 0 offset:148
	buffer_load_dword v156, off, s[0:3], 0 offset:156
	buffer_load_dword v157, off, s[0:3], 0 offset:164
	buffer_load_dword v158, off, s[0:3], 0 offset:172
	buffer_load_dword v159, off, s[0:3], 0 offset:180
	buffer_load_dword v160, off, s[0:3], 0 offset:188
	buffer_load_dword v161, off, s[0:3], 0 offset:196
	buffer_load_dword v162, off, s[0:3], 0 offset:144
	buffer_load_dword v163, off, s[0:3], 0 offset:152
	buffer_load_dword v164, off, s[0:3], 0 offset:160
	buffer_load_dword v165, off, s[0:3], 0 offset:168
	buffer_load_dword v166, off, s[0:3], 0 offset:176
	buffer_load_dword v167, off, s[0:3], 0 offset:184
	buffer_load_dword v168, off, s[0:3], 0 offset:192
	buffer_load_dword v169, off, s[0:3], 0 offset:204
	buffer_load_dword v170, off, s[0:3], 0 offset:200
	buffer_load_dword v171, off, s[0:3], 0 offset:212
	buffer_load_dword v172, off, s[0:3], 0 offset:208
	buffer_load_dword v173, off, s[0:3], 0 offset:220
	buffer_load_dword v174, off, s[0:3], 0 offset:216
	buffer_load_dword v175, off, s[0:3], 0 offset:228
	buffer_load_dword v176, off, s[0:3], 0 offset:224
	buffer_load_dword v177, off, s[0:3], 0 offset:236
	buffer_load_dword v178, off, s[0:3], 0 offset:232
	buffer_load_dword v179, off, s[0:3], 0 offset:240
	buffer_load_dword v180, off, s[0:3], 0 offset:244
	buffer_load_dword v181, off, s[0:3], 0 offset:136
	buffer_load_dword v182, off, s[0:3], 0 offset:140
	buffer_load_dword v183, off, s[0:3], 0 offset:252
	buffer_load_dword v184, off, s[0:3], 0 offset:248
	buffer_load_dword v185, off, s[0:3], 0 offset:256
	buffer_load_dword v186, off, s[0:3], 0 offset:260
	buffer_load_dword v187, off, s[0:3], 0 offset:264
	buffer_load_dword v188, off, s[0:3], 0 offset:268
	buffer_load_dword v189, off, s[0:3], 0 offset:272
	buffer_load_dword v190, off, s[0:3], 0 offset:276
	buffer_load_dword v191, off, s[0:3], 0 offset:280
	buffer_load_dword v192, off, s[0:3], 0 offset:284
	buffer_load_dword v193, off, s[0:3], 0 offset:288
	buffer_load_dword v194, off, s[0:3], 0 offset:292
	buffer_load_dword v195, off, s[0:3], 0 offset:296
	buffer_load_dword v196, off, s[0:3], 0 offset:300
	buffer_load_dword v197, off, s[0:3], 0 offset:304
	buffer_load_dword v198, off, s[0:3], 0 offset:308
	buffer_load_dword v199, off, s[0:3], 0 offset:312
	buffer_load_dword v200, off, s[0:3], 0 offset:316
	buffer_load_dword v201, off, s[0:3], 0 offset:320
	buffer_load_dword v202, off, s[0:3], 0 offset:324
	buffer_load_dword v203, off, s[0:3], 0 offset:328
	buffer_load_dword v204, off, s[0:3], 0 offset:332
	buffer_load_dword v205, off, s[0:3], 0 offset:336
	buffer_load_dword v206, off, s[0:3], 0 offset:340
	buffer_load_dword v207, off, s[0:3], 0 offset:344
	buffer_load_dword v208, off, s[0:3], 0 offset:348
	buffer_load_dword v209, off, s[0:3], 0 offset:352
	buffer_load_dword v210, off, s[0:3], 0 offset:356
	buffer_load_dword v211, off, s[0:3], 0 offset:360
	buffer_load_dword v212, off, s[0:3], 0 offset:364
	buffer_load_dword v213, off, s[0:3], 0 offset:368
	buffer_load_dword v214, off, s[0:3], 0 offset:372
	v_mov_b32_e32 v96, 0
	ds_read_b128 v[97:100], v96 offset:528
	ds_read_b128 v[101:104], v96 offset:544
	;; [unrolled: 1-line block ×5, first 2 shown]
	v_cmp_lt_u32_e32 vcc, 16, v0
	s_waitcnt vmcnt(59) lgkmcnt(4)
	v_mul_f32_e32 v117, v97, v155
	s_waitcnt vmcnt(58)
	v_mul_f32_e32 v118, v99, v156
	s_waitcnt vmcnt(57) lgkmcnt(3)
	v_mul_f32_e32 v119, v101, v157
	s_waitcnt vmcnt(56)
	v_mul_f32_e32 v120, v103, v158
	;; [unrolled: 4-line block ×3, first 2 shown]
	s_waitcnt vmcnt(53) lgkmcnt(1)
	v_mul_f32_e32 v123, v109, v161
	s_waitcnt vmcnt(52)
	v_fmac_f32_e32 v117, v98, v162
	s_waitcnt vmcnt(51)
	v_fmac_f32_e32 v118, v100, v163
	v_add_f32_e32 v117, 0, v117
	s_waitcnt vmcnt(50)
	v_fmac_f32_e32 v119, v102, v164
	v_add_f32_e32 v117, v117, v118
	s_waitcnt vmcnt(49)
	v_fmac_f32_e32 v120, v104, v165
	v_add_f32_e32 v117, v117, v119
	s_waitcnt vmcnt(48)
	v_fmac_f32_e32 v121, v106, v166
	v_add_f32_e32 v117, v117, v120
	s_waitcnt vmcnt(47)
	v_fmac_f32_e32 v122, v108, v167
	v_add_f32_e32 v117, v117, v121
	s_waitcnt vmcnt(46)
	v_fmac_f32_e32 v123, v110, v168
	v_add_f32_e32 v117, v117, v122
	s_waitcnt vmcnt(45)
	v_mul_f32_e32 v118, v111, v169
	v_add_f32_e32 v117, v117, v123
	s_waitcnt vmcnt(44)
	v_fmac_f32_e32 v118, v112, v170
	v_mul_f32_e32 v98, v98, v155
	v_add_f32_e32 v121, v117, v118
	ds_read_b128 v[117:120], v96 offset:608
	v_fma_f32 v97, v97, v162, -v98
	v_mul_f32_e32 v98, v100, v156
	s_waitcnt vmcnt(43) lgkmcnt(1)
	v_mul_f32_e32 v122, v113, v171
	v_add_f32_e32 v97, 0, v97
	v_fma_f32 v98, v99, v163, -v98
	s_waitcnt vmcnt(42)
	v_fmac_f32_e32 v122, v114, v172
	v_add_f32_e32 v97, v97, v98
	v_mul_f32_e32 v98, v102, v157
	v_add_f32_e32 v121, v121, v122
	s_waitcnt vmcnt(41)
	v_mul_f32_e32 v122, v115, v173
	v_fma_f32 v98, v101, v164, -v98
	s_waitcnt vmcnt(40)
	v_fmac_f32_e32 v122, v116, v174
	v_add_f32_e32 v97, v97, v98
	v_mul_f32_e32 v98, v104, v158
	v_add_f32_e32 v121, v121, v122
	s_waitcnt vmcnt(39) lgkmcnt(0)
	v_mul_f32_e32 v122, v117, v175
	v_fma_f32 v98, v103, v165, -v98
	s_waitcnt vmcnt(38)
	v_fmac_f32_e32 v122, v118, v176
	v_add_f32_e32 v97, v97, v98
	v_mul_f32_e32 v98, v106, v159
	v_add_f32_e32 v125, v121, v122
	ds_read_b128 v[121:124], v96 offset:624
	v_fma_f32 v98, v105, v166, -v98
	v_add_f32_e32 v97, v97, v98
	v_mul_f32_e32 v98, v108, v160
	s_waitcnt vmcnt(37)
	v_mul_f32_e32 v126, v119, v177
	v_fma_f32 v98, v107, v167, -v98
	s_waitcnt vmcnt(36)
	v_fmac_f32_e32 v126, v120, v178
	v_add_f32_e32 v97, v97, v98
	v_mul_f32_e32 v98, v110, v161
	v_add_f32_e32 v129, v125, v126
	ds_read_b128 v[125:128], v96 offset:640
	v_fma_f32 v98, v109, v168, -v98
	s_waitcnt vmcnt(34) lgkmcnt(1)
	v_mul_f32_e32 v130, v121, v180
	v_add_f32_e32 v97, v97, v98
	v_mul_f32_e32 v98, v112, v169
	v_fmac_f32_e32 v130, v122, v179
	v_fma_f32 v98, v111, v170, -v98
	v_add_f32_e32 v129, v129, v130
	s_waitcnt vmcnt(31)
	v_mul_f32_e32 v130, v123, v183
	v_add_f32_e32 v97, v97, v98
	v_mul_f32_e32 v98, v114, v171
	s_waitcnt vmcnt(30)
	v_fmac_f32_e32 v130, v124, v184
	v_fma_f32 v98, v113, v172, -v98
	v_add_f32_e32 v129, v129, v130
	s_waitcnt vmcnt(28) lgkmcnt(0)
	v_mul_f32_e32 v130, v125, v186
	v_add_f32_e32 v97, v97, v98
	v_mul_f32_e32 v98, v116, v173
	v_fmac_f32_e32 v130, v126, v185
	v_fma_f32 v98, v115, v174, -v98
	v_add_f32_e32 v133, v129, v130
	ds_read_b128 v[129:132], v96 offset:656
	v_add_f32_e32 v97, v97, v98
	v_mul_f32_e32 v98, v118, v175
	v_fma_f32 v98, v117, v176, -v98
	s_waitcnt vmcnt(26)
	v_mul_f32_e32 v134, v127, v188
	v_add_f32_e32 v97, v97, v98
	v_mul_f32_e32 v98, v120, v177
	v_fmac_f32_e32 v134, v128, v187
	v_fma_f32 v98, v119, v178, -v98
	v_add_f32_e32 v137, v133, v134
	ds_read_b128 v[133:136], v96 offset:672
	v_add_f32_e32 v97, v97, v98
	v_mul_f32_e32 v98, v122, v180
	s_waitcnt vmcnt(24) lgkmcnt(1)
	v_mul_f32_e32 v138, v129, v190
	v_fma_f32 v98, v121, v179, -v98
	v_fmac_f32_e32 v138, v130, v189
	v_add_f32_e32 v97, v97, v98
	v_mul_f32_e32 v98, v124, v183
	v_add_f32_e32 v137, v137, v138
	s_waitcnt vmcnt(22)
	v_mul_f32_e32 v138, v131, v192
	v_fma_f32 v98, v123, v184, -v98
	v_fmac_f32_e32 v138, v132, v191
	v_add_f32_e32 v97, v97, v98
	v_mul_f32_e32 v98, v126, v186
	v_add_f32_e32 v137, v137, v138
	s_waitcnt vmcnt(20) lgkmcnt(0)
	v_mul_f32_e32 v138, v133, v194
	v_fma_f32 v98, v125, v185, -v98
	v_fmac_f32_e32 v138, v134, v193
	v_add_f32_e32 v97, v97, v98
	v_mul_f32_e32 v98, v128, v188
	v_add_f32_e32 v141, v137, v138
	ds_read_b128 v[137:140], v96 offset:688
	v_fma_f32 v98, v127, v187, -v98
	v_add_f32_e32 v97, v97, v98
	v_mul_f32_e32 v98, v130, v190
	s_waitcnt vmcnt(18)
	v_mul_f32_e32 v142, v135, v196
	v_fma_f32 v98, v129, v189, -v98
	v_fmac_f32_e32 v142, v136, v195
	v_add_f32_e32 v97, v97, v98
	v_mul_f32_e32 v98, v132, v192
	v_add_f32_e32 v145, v141, v142
	ds_read_b128 v[141:144], v96 offset:704
	v_fma_f32 v98, v131, v191, -v98
	s_waitcnt vmcnt(16) lgkmcnt(1)
	v_mul_f32_e32 v146, v137, v198
	v_add_f32_e32 v97, v97, v98
	v_mul_f32_e32 v98, v134, v194
	v_fmac_f32_e32 v146, v138, v197
	v_fma_f32 v98, v133, v193, -v98
	v_add_f32_e32 v145, v145, v146
	s_waitcnt vmcnt(14)
	v_mul_f32_e32 v146, v139, v200
	v_add_f32_e32 v97, v97, v98
	v_mul_f32_e32 v98, v136, v196
	v_fmac_f32_e32 v146, v140, v199
	v_fma_f32 v98, v135, v195, -v98
	v_add_f32_e32 v145, v145, v146
	s_waitcnt vmcnt(12) lgkmcnt(0)
	v_mul_f32_e32 v146, v141, v202
	v_add_f32_e32 v97, v97, v98
	v_mul_f32_e32 v98, v138, v198
	v_fmac_f32_e32 v146, v142, v201
	v_fma_f32 v98, v137, v197, -v98
	v_add_f32_e32 v149, v145, v146
	ds_read_b128 v[145:148], v96 offset:720
	v_add_f32_e32 v97, v97, v98
	v_mul_f32_e32 v98, v140, v200
	v_fma_f32 v98, v139, v199, -v98
	v_add_f32_e32 v97, v97, v98
	v_mul_f32_e32 v98, v142, v202
	s_waitcnt vmcnt(10)
	v_mul_f32_e32 v150, v143, v204
	v_fma_f32 v98, v141, v201, -v98
	v_fmac_f32_e32 v150, v144, v203
	v_add_f32_e32 v97, v97, v98
	v_mul_f32_e32 v98, v144, v204
	v_add_f32_e32 v153, v149, v150
	ds_read_b128 v[149:152], v96 offset:736
	s_waitcnt vmcnt(8) lgkmcnt(1)
	v_mul_f32_e32 v154, v145, v206
	v_fma_f32 v98, v143, v203, -v98
	v_fmac_f32_e32 v154, v146, v205
	v_add_f32_e32 v97, v97, v98
	v_mul_f32_e32 v98, v146, v206
	v_add_f32_e32 v153, v153, v154
	s_waitcnt vmcnt(6)
	v_mul_f32_e32 v154, v147, v208
	v_fma_f32 v98, v145, v205, -v98
	v_fmac_f32_e32 v154, v148, v207
	v_add_f32_e32 v97, v97, v98
	v_mul_f32_e32 v98, v148, v208
	v_add_f32_e32 v215, v153, v154
	ds_read_b64 v[153:154], v96 offset:752
	v_fma_f32 v98, v147, v207, -v98
	v_add_f32_e32 v97, v97, v98
	s_waitcnt vmcnt(4) lgkmcnt(1)
	v_mul_f32_e32 v98, v150, v210
	v_mul_f32_e32 v216, v149, v210
	v_fma_f32 v98, v149, v209, -v98
	v_fmac_f32_e32 v216, v150, v209
	v_add_f32_e32 v97, v97, v98
	s_waitcnt vmcnt(2)
	v_mul_f32_e32 v98, v152, v212
	v_add_f32_e32 v215, v215, v216
	v_mul_f32_e32 v216, v151, v212
	v_fma_f32 v98, v151, v211, -v98
	v_fmac_f32_e32 v216, v152, v211
	v_add_f32_e32 v97, v97, v98
	s_waitcnt vmcnt(0) lgkmcnt(0)
	v_mul_f32_e32 v98, v154, v214
	v_add_f32_e32 v215, v215, v216
	v_mul_f32_e32 v216, v153, v214
	v_fma_f32 v98, v153, v213, -v98
	v_fmac_f32_e32 v216, v154, v213
	v_add_f32_e32 v97, v97, v98
	v_add_f32_e32 v215, v215, v216
	v_sub_f32_e32 v97, v181, v97
	v_sub_f32_e32 v98, v182, v215
	buffer_store_dword v97, off, s[0:3], 0 offset:136
	buffer_store_dword v98, off, s[0:3], 0 offset:140
	s_and_saveexec_b64 s[4:5], vcc
	s_cbranch_execz .LBB46_263
; %bb.262:
	buffer_load_dword v97, off, s[0:3], 0 offset:128
	buffer_load_dword v98, off, s[0:3], 0 offset:132
	s_waitcnt vmcnt(0)
	ds_write_b64 v95, v[97:98]
	buffer_store_dword v96, off, s[0:3], 0 offset:128
	buffer_store_dword v96, off, s[0:3], 0 offset:132
.LBB46_263:
	s_or_b64 exec, exec, s[4:5]
	s_waitcnt lgkmcnt(0)
	; wave barrier
	buffer_load_dword v157, off, s[0:3], 0 offset:140
	buffer_load_dword v158, off, s[0:3], 0 offset:148
	;; [unrolled: 1-line block ×32, first 2 shown]
	ds_read2_b64 v[97:100], v96 offset0:65 offset1:66
	ds_read2_b64 v[101:104], v96 offset0:67 offset1:68
	;; [unrolled: 1-line block ×4, first 2 shown]
	buffer_load_dword v189, off, s[0:3], 0 offset:260
	buffer_load_dword v190, off, s[0:3], 0 offset:256
	;; [unrolled: 1-line block ×30, first 2 shown]
	v_cmp_lt_u32_e32 vcc, 15, v0
	s_waitcnt vmcnt(61) lgkmcnt(3)
	v_mul_f32_e32 v113, v97, v157
	s_waitcnt vmcnt(60)
	v_mul_f32_e32 v114, v99, v158
	s_waitcnt vmcnt(59) lgkmcnt(2)
	v_mul_f32_e32 v115, v101, v159
	s_waitcnt vmcnt(58)
	v_mul_f32_e32 v116, v103, v160
	;; [unrolled: 4-line block ×3, first 2 shown]
	s_waitcnt vmcnt(55) lgkmcnt(0)
	v_mul_f32_e32 v119, v109, v163
	s_waitcnt vmcnt(54)
	v_fmac_f32_e32 v113, v98, v164
	s_waitcnt vmcnt(53)
	v_fmac_f32_e32 v114, v100, v165
	v_add_f32_e32 v113, 0, v113
	s_waitcnt vmcnt(52)
	v_fmac_f32_e32 v115, v102, v166
	v_add_f32_e32 v113, v113, v114
	;; [unrolled: 3-line block ×6, first 2 shown]
	v_add_f32_e32 v117, v113, v119
	ds_read2_b64 v[113:116], v96 offset0:73 offset1:74
	s_waitcnt vmcnt(47)
	v_mul_f32_e32 v118, v111, v171
	s_waitcnt vmcnt(46)
	v_fmac_f32_e32 v118, v112, v172
	v_mul_f32_e32 v98, v98, v157
	v_add_f32_e32 v121, v117, v118
	ds_read2_b64 v[117:120], v96 offset0:75 offset1:76
	v_fma_f32 v97, v97, v164, -v98
	v_mul_f32_e32 v98, v100, v158
	s_waitcnt vmcnt(45) lgkmcnt(1)
	v_mul_f32_e32 v122, v113, v173
	v_add_f32_e32 v97, 0, v97
	v_fma_f32 v98, v99, v165, -v98
	s_waitcnt vmcnt(44)
	v_fmac_f32_e32 v122, v114, v174
	v_add_f32_e32 v97, v97, v98
	v_mul_f32_e32 v98, v102, v159
	v_add_f32_e32 v121, v121, v122
	s_waitcnt vmcnt(43)
	v_mul_f32_e32 v122, v115, v175
	v_fma_f32 v98, v101, v166, -v98
	s_waitcnt vmcnt(42)
	v_fmac_f32_e32 v122, v116, v176
	v_add_f32_e32 v97, v97, v98
	v_mul_f32_e32 v98, v104, v160
	v_add_f32_e32 v121, v121, v122
	s_waitcnt vmcnt(41) lgkmcnt(0)
	v_mul_f32_e32 v122, v117, v177
	v_fma_f32 v98, v103, v167, -v98
	s_waitcnt vmcnt(40)
	v_fmac_f32_e32 v122, v118, v178
	v_add_f32_e32 v97, v97, v98
	v_mul_f32_e32 v98, v106, v161
	v_add_f32_e32 v125, v121, v122
	ds_read2_b64 v[121:124], v96 offset0:77 offset1:78
	v_fma_f32 v98, v105, v168, -v98
	v_add_f32_e32 v97, v97, v98
	v_mul_f32_e32 v98, v108, v162
	s_waitcnt vmcnt(39)
	v_mul_f32_e32 v126, v119, v179
	v_fma_f32 v98, v107, v169, -v98
	s_waitcnt vmcnt(38)
	v_fmac_f32_e32 v126, v120, v180
	v_add_f32_e32 v97, v97, v98
	v_mul_f32_e32 v98, v110, v163
	v_add_f32_e32 v129, v125, v126
	ds_read2_b64 v[125:128], v96 offset0:79 offset1:80
	v_fma_f32 v98, v109, v170, -v98
	s_waitcnt vmcnt(35) lgkmcnt(1)
	v_mul_f32_e32 v130, v121, v183
	v_add_f32_e32 v97, v97, v98
	v_mul_f32_e32 v98, v112, v171
	s_waitcnt vmcnt(34)
	v_fmac_f32_e32 v130, v122, v184
	v_fma_f32 v98, v111, v172, -v98
	v_add_f32_e32 v129, v129, v130
	s_waitcnt vmcnt(32)
	v_mul_f32_e32 v130, v123, v186
	v_add_f32_e32 v97, v97, v98
	v_mul_f32_e32 v98, v114, v173
	v_fmac_f32_e32 v130, v124, v185
	v_fma_f32 v98, v113, v174, -v98
	v_add_f32_e32 v129, v129, v130
	s_waitcnt vmcnt(30) lgkmcnt(0)
	v_mul_f32_e32 v130, v125, v188
	v_add_f32_e32 v97, v97, v98
	v_mul_f32_e32 v98, v116, v175
	v_fmac_f32_e32 v130, v126, v187
	v_fma_f32 v98, v115, v176, -v98
	v_add_f32_e32 v133, v129, v130
	ds_read2_b64 v[129:132], v96 offset0:81 offset1:82
	v_add_f32_e32 v97, v97, v98
	v_mul_f32_e32 v98, v118, v177
	v_fma_f32 v98, v117, v178, -v98
	s_waitcnt vmcnt(29)
	v_mul_f32_e32 v134, v127, v189
	v_add_f32_e32 v97, v97, v98
	v_mul_f32_e32 v98, v120, v179
	s_waitcnt vmcnt(28)
	v_fmac_f32_e32 v134, v128, v190
	v_fma_f32 v98, v119, v180, -v98
	v_add_f32_e32 v137, v133, v134
	ds_read2_b64 v[133:136], v96 offset0:83 offset1:84
	v_add_f32_e32 v97, v97, v98
	v_mul_f32_e32 v98, v122, v183
	s_waitcnt vmcnt(26) lgkmcnt(1)
	v_mul_f32_e32 v138, v129, v192
	v_fma_f32 v98, v121, v184, -v98
	v_fmac_f32_e32 v138, v130, v191
	v_add_f32_e32 v97, v97, v98
	v_mul_f32_e32 v98, v124, v186
	v_add_f32_e32 v137, v137, v138
	s_waitcnt vmcnt(24)
	v_mul_f32_e32 v138, v131, v194
	v_fma_f32 v98, v123, v185, -v98
	v_fmac_f32_e32 v138, v132, v193
	v_add_f32_e32 v97, v97, v98
	v_mul_f32_e32 v98, v126, v188
	v_add_f32_e32 v137, v137, v138
	s_waitcnt vmcnt(22) lgkmcnt(0)
	v_mul_f32_e32 v138, v133, v196
	v_fma_f32 v98, v125, v187, -v98
	v_fmac_f32_e32 v138, v134, v195
	v_add_f32_e32 v97, v97, v98
	v_mul_f32_e32 v98, v128, v189
	v_add_f32_e32 v141, v137, v138
	ds_read2_b64 v[137:140], v96 offset0:85 offset1:86
	v_fma_f32 v98, v127, v190, -v98
	v_add_f32_e32 v97, v97, v98
	v_mul_f32_e32 v98, v130, v192
	s_waitcnt vmcnt(20)
	v_mul_f32_e32 v142, v135, v198
	v_fma_f32 v98, v129, v191, -v98
	v_fmac_f32_e32 v142, v136, v197
	v_add_f32_e32 v97, v97, v98
	v_mul_f32_e32 v98, v132, v194
	v_add_f32_e32 v145, v141, v142
	ds_read2_b64 v[141:144], v96 offset0:87 offset1:88
	v_fma_f32 v98, v131, v193, -v98
	s_waitcnt vmcnt(18) lgkmcnt(1)
	v_mul_f32_e32 v146, v137, v200
	v_add_f32_e32 v97, v97, v98
	v_mul_f32_e32 v98, v134, v196
	v_fmac_f32_e32 v146, v138, v199
	v_fma_f32 v98, v133, v195, -v98
	v_add_f32_e32 v145, v145, v146
	s_waitcnt vmcnt(16)
	v_mul_f32_e32 v146, v139, v202
	v_add_f32_e32 v97, v97, v98
	v_mul_f32_e32 v98, v136, v198
	v_fmac_f32_e32 v146, v140, v201
	v_fma_f32 v98, v135, v197, -v98
	v_add_f32_e32 v145, v145, v146
	s_waitcnt vmcnt(14) lgkmcnt(0)
	v_mul_f32_e32 v146, v141, v204
	v_add_f32_e32 v97, v97, v98
	v_mul_f32_e32 v98, v138, v200
	v_fmac_f32_e32 v146, v142, v203
	v_fma_f32 v98, v137, v199, -v98
	v_add_f32_e32 v149, v145, v146
	ds_read2_b64 v[145:148], v96 offset0:89 offset1:90
	v_add_f32_e32 v97, v97, v98
	v_mul_f32_e32 v98, v140, v202
	v_fma_f32 v98, v139, v201, -v98
	v_add_f32_e32 v97, v97, v98
	v_mul_f32_e32 v98, v142, v204
	s_waitcnt vmcnt(12)
	v_mul_f32_e32 v150, v143, v206
	v_fma_f32 v98, v141, v203, -v98
	v_fmac_f32_e32 v150, v144, v205
	v_add_f32_e32 v97, v97, v98
	v_mul_f32_e32 v98, v144, v206
	v_add_f32_e32 v153, v149, v150
	ds_read2_b64 v[149:152], v96 offset0:91 offset1:92
	s_waitcnt vmcnt(10) lgkmcnt(1)
	v_mul_f32_e32 v154, v145, v208
	v_fma_f32 v98, v143, v205, -v98
	v_fmac_f32_e32 v154, v146, v207
	v_add_f32_e32 v97, v97, v98
	v_mul_f32_e32 v98, v146, v208
	v_add_f32_e32 v153, v153, v154
	s_waitcnt vmcnt(8)
	v_mul_f32_e32 v154, v147, v210
	v_fma_f32 v98, v145, v207, -v98
	v_fmac_f32_e32 v154, v148, v209
	v_add_f32_e32 v97, v97, v98
	v_mul_f32_e32 v98, v148, v210
	v_add_f32_e32 v219, v153, v154
	ds_read2_b64 v[153:156], v96 offset0:93 offset1:94
	v_fma_f32 v98, v147, v209, -v98
	v_add_f32_e32 v97, v97, v98
	s_waitcnt vmcnt(6) lgkmcnt(1)
	v_mul_f32_e32 v98, v150, v212
	v_mul_f32_e32 v220, v149, v212
	v_fma_f32 v98, v149, v211, -v98
	v_fmac_f32_e32 v220, v150, v211
	v_add_f32_e32 v97, v97, v98
	s_waitcnt vmcnt(4)
	v_mul_f32_e32 v98, v152, v214
	v_add_f32_e32 v96, v219, v220
	v_mul_f32_e32 v219, v151, v214
	v_fma_f32 v98, v151, v213, -v98
	v_fmac_f32_e32 v219, v152, v213
	v_add_f32_e32 v97, v97, v98
	s_waitcnt vmcnt(2) lgkmcnt(0)
	v_mul_f32_e32 v98, v154, v216
	v_add_f32_e32 v96, v96, v219
	v_mul_f32_e32 v219, v153, v216
	v_fma_f32 v98, v153, v215, -v98
	v_fmac_f32_e32 v219, v154, v215
	v_add_f32_e32 v97, v97, v98
	s_waitcnt vmcnt(0)
	v_mul_f32_e32 v98, v156, v218
	v_add_f32_e32 v96, v96, v219
	v_mul_f32_e32 v219, v155, v218
	v_fma_f32 v98, v155, v217, -v98
	v_fmac_f32_e32 v219, v156, v217
	v_add_f32_e32 v97, v97, v98
	v_add_f32_e32 v96, v96, v219
	v_sub_f32_e32 v97, v181, v97
	v_sub_f32_e32 v96, v182, v96
	buffer_store_dword v97, off, s[0:3], 0 offset:128
	buffer_store_dword v96, off, s[0:3], 0 offset:132
	s_and_saveexec_b64 s[4:5], vcc
	s_cbranch_execz .LBB46_265
; %bb.264:
	buffer_load_dword v96, off, s[0:3], 0 offset:120
	buffer_load_dword v97, off, s[0:3], 0 offset:124
	v_mov_b32_e32 v98, 0
	buffer_store_dword v98, off, s[0:3], 0 offset:120
	buffer_store_dword v98, off, s[0:3], 0 offset:124
	s_waitcnt vmcnt(2)
	ds_write_b64 v95, v[96:97]
.LBB46_265:
	s_or_b64 exec, exec, s[4:5]
	s_waitcnt lgkmcnt(0)
	; wave barrier
	buffer_load_dword v159, off, s[0:3], 0 offset:132
	buffer_load_dword v160, off, s[0:3], 0 offset:140
	;; [unrolled: 1-line block ×56, first 2 shown]
	v_mov_b32_e32 v96, 0
	ds_read_b128 v[97:100], v96 offset:512
	buffer_load_dword v215, off, s[0:3], 0 offset:344
	buffer_load_dword v216, off, s[0:3], 0 offset:348
	;; [unrolled: 1-line block ×4, first 2 shown]
	ds_read_b128 v[101:104], v96 offset:528
	ds_read_b128 v[105:108], v96 offset:544
	;; [unrolled: 1-line block ×3, first 2 shown]
	v_cmp_lt_u32_e32 vcc, 14, v0
	s_waitcnt vmcnt(59) lgkmcnt(3)
	v_mul_f32_e32 v113, v97, v159
	s_waitcnt vmcnt(58)
	v_mul_f32_e32 v114, v99, v160
	s_waitcnt vmcnt(57) lgkmcnt(2)
	v_mul_f32_e32 v115, v101, v161
	s_waitcnt vmcnt(56)
	v_mul_f32_e32 v116, v103, v162
	;; [unrolled: 4-line block ×4, first 2 shown]
	s_waitcnt vmcnt(51)
	v_fmac_f32_e32 v113, v98, v167
	s_waitcnt vmcnt(50)
	v_fmac_f32_e32 v114, v100, v168
	v_add_f32_e32 v113, 0, v113
	s_waitcnt vmcnt(49)
	v_fmac_f32_e32 v115, v102, v169
	v_add_f32_e32 v113, v113, v114
	;; [unrolled: 3-line block ×6, first 2 shown]
	v_add_f32_e32 v117, v113, v119
	ds_read_b128 v[113:116], v96 offset:576
	buffer_load_dword v219, off, s[0:3], 0 offset:364
	buffer_load_dword v220, off, s[0:3], 0 offset:360
	buffer_load_dword v221, off, s[0:3], 0 offset:368
	buffer_load_dword v222, off, s[0:3], 0 offset:372
	s_waitcnt vmcnt(48)
	v_fmac_f32_e32 v120, v112, v174
	v_add_f32_e32 v121, v117, v120
	ds_read_b128 v[117:120], v96 offset:592
	s_waitcnt vmcnt(47) lgkmcnt(1)
	v_mul_f32_e32 v122, v113, v175
	v_mul_f32_e32 v98, v98, v159
	s_waitcnt vmcnt(46)
	v_fmac_f32_e32 v122, v114, v176
	v_fma_f32 v97, v97, v167, -v98
	v_mul_f32_e32 v98, v100, v160
	v_add_f32_e32 v121, v121, v122
	s_waitcnt vmcnt(45)
	v_mul_f32_e32 v122, v115, v177
	v_add_f32_e32 v97, 0, v97
	v_fma_f32 v98, v99, v168, -v98
	s_waitcnt vmcnt(44)
	v_fmac_f32_e32 v122, v116, v178
	v_add_f32_e32 v97, v97, v98
	v_mul_f32_e32 v98, v102, v161
	v_add_f32_e32 v121, v121, v122
	s_waitcnt vmcnt(42) lgkmcnt(0)
	v_mul_f32_e32 v122, v117, v180
	v_fma_f32 v98, v101, v169, -v98
	v_fmac_f32_e32 v122, v118, v179
	v_add_f32_e32 v97, v97, v98
	v_mul_f32_e32 v98, v104, v162
	v_add_f32_e32 v125, v121, v122
	ds_read_b128 v[121:124], v96 offset:608
	v_fma_f32 v98, v103, v170, -v98
	v_add_f32_e32 v97, v97, v98
	v_mul_f32_e32 v98, v106, v163
	s_waitcnt vmcnt(39)
	v_mul_f32_e32 v126, v119, v183
	v_fma_f32 v98, v105, v171, -v98
	s_waitcnt vmcnt(38)
	v_fmac_f32_e32 v126, v120, v184
	v_add_f32_e32 v97, v97, v98
	v_mul_f32_e32 v98, v108, v164
	v_add_f32_e32 v129, v125, v126
	ds_read_b128 v[125:128], v96 offset:624
	v_fma_f32 v98, v107, v172, -v98
	s_waitcnt vmcnt(36) lgkmcnt(1)
	v_mul_f32_e32 v130, v121, v186
	v_add_f32_e32 v97, v97, v98
	v_mul_f32_e32 v98, v110, v165
	v_fmac_f32_e32 v130, v122, v185
	v_fma_f32 v98, v109, v173, -v98
	v_add_f32_e32 v129, v129, v130
	s_waitcnt vmcnt(34)
	v_mul_f32_e32 v130, v123, v188
	v_add_f32_e32 v97, v97, v98
	v_mul_f32_e32 v98, v112, v166
	v_fmac_f32_e32 v130, v124, v187
	v_fma_f32 v98, v111, v174, -v98
	v_add_f32_e32 v129, v129, v130
	s_waitcnt vmcnt(32) lgkmcnt(0)
	v_mul_f32_e32 v130, v125, v190
	v_add_f32_e32 v97, v97, v98
	v_mul_f32_e32 v98, v114, v175
	v_fmac_f32_e32 v130, v126, v189
	v_fma_f32 v98, v113, v176, -v98
	v_add_f32_e32 v133, v129, v130
	ds_read_b128 v[129:132], v96 offset:640
	v_add_f32_e32 v97, v97, v98
	v_mul_f32_e32 v98, v116, v177
	v_fma_f32 v98, v115, v178, -v98
	s_waitcnt vmcnt(30)
	v_mul_f32_e32 v134, v127, v192
	v_add_f32_e32 v97, v97, v98
	v_mul_f32_e32 v98, v118, v180
	v_fmac_f32_e32 v134, v128, v191
	v_fma_f32 v98, v117, v179, -v98
	v_add_f32_e32 v137, v133, v134
	ds_read_b128 v[133:136], v96 offset:656
	v_add_f32_e32 v97, v97, v98
	v_mul_f32_e32 v98, v120, v183
	s_waitcnt vmcnt(28) lgkmcnt(1)
	v_mul_f32_e32 v138, v129, v194
	v_fma_f32 v98, v119, v184, -v98
	v_fmac_f32_e32 v138, v130, v193
	v_add_f32_e32 v97, v97, v98
	v_mul_f32_e32 v98, v122, v186
	v_add_f32_e32 v137, v137, v138
	s_waitcnt vmcnt(26)
	v_mul_f32_e32 v138, v131, v196
	v_fma_f32 v98, v121, v185, -v98
	v_fmac_f32_e32 v138, v132, v195
	v_add_f32_e32 v97, v97, v98
	v_mul_f32_e32 v98, v124, v188
	v_add_f32_e32 v137, v137, v138
	s_waitcnt vmcnt(24) lgkmcnt(0)
	v_mul_f32_e32 v138, v133, v198
	v_fma_f32 v98, v123, v187, -v98
	v_fmac_f32_e32 v138, v134, v197
	v_add_f32_e32 v97, v97, v98
	v_mul_f32_e32 v98, v126, v190
	v_add_f32_e32 v141, v137, v138
	ds_read_b128 v[137:140], v96 offset:672
	v_fma_f32 v98, v125, v189, -v98
	v_add_f32_e32 v97, v97, v98
	v_mul_f32_e32 v98, v128, v192
	s_waitcnt vmcnt(22)
	v_mul_f32_e32 v142, v135, v200
	v_fma_f32 v98, v127, v191, -v98
	v_fmac_f32_e32 v142, v136, v199
	v_add_f32_e32 v97, v97, v98
	v_mul_f32_e32 v98, v130, v194
	v_add_f32_e32 v145, v141, v142
	ds_read_b128 v[141:144], v96 offset:688
	v_fma_f32 v98, v129, v193, -v98
	s_waitcnt vmcnt(20) lgkmcnt(1)
	v_mul_f32_e32 v146, v137, v202
	v_add_f32_e32 v97, v97, v98
	v_mul_f32_e32 v98, v132, v196
	v_fmac_f32_e32 v146, v138, v201
	v_fma_f32 v98, v131, v195, -v98
	v_add_f32_e32 v145, v145, v146
	s_waitcnt vmcnt(18)
	v_mul_f32_e32 v146, v139, v204
	v_add_f32_e32 v97, v97, v98
	v_mul_f32_e32 v98, v134, v198
	v_fmac_f32_e32 v146, v140, v203
	v_fma_f32 v98, v133, v197, -v98
	v_add_f32_e32 v145, v145, v146
	s_waitcnt vmcnt(16) lgkmcnt(0)
	v_mul_f32_e32 v146, v141, v206
	v_add_f32_e32 v97, v97, v98
	v_mul_f32_e32 v98, v136, v200
	v_fmac_f32_e32 v146, v142, v205
	v_fma_f32 v98, v135, v199, -v98
	v_add_f32_e32 v149, v145, v146
	ds_read_b128 v[145:148], v96 offset:704
	v_add_f32_e32 v97, v97, v98
	v_mul_f32_e32 v98, v138, v202
	v_fma_f32 v98, v137, v201, -v98
	s_waitcnt vmcnt(14)
	v_mul_f32_e32 v150, v143, v208
	v_add_f32_e32 v97, v97, v98
	v_mul_f32_e32 v98, v140, v204
	v_fmac_f32_e32 v150, v144, v207
	v_fma_f32 v98, v139, v203, -v98
	v_add_f32_e32 v153, v149, v150
	ds_read_b128 v[149:152], v96 offset:720
	v_add_f32_e32 v97, v97, v98
	v_mul_f32_e32 v98, v142, v206
	s_waitcnt vmcnt(12) lgkmcnt(1)
	v_mul_f32_e32 v154, v145, v210
	v_fma_f32 v98, v141, v205, -v98
	v_fmac_f32_e32 v154, v146, v209
	v_add_f32_e32 v97, v97, v98
	v_mul_f32_e32 v98, v144, v208
	v_add_f32_e32 v153, v153, v154
	s_waitcnt vmcnt(10)
	v_mul_f32_e32 v154, v147, v212
	v_fma_f32 v98, v143, v207, -v98
	v_fmac_f32_e32 v154, v148, v211
	v_add_f32_e32 v97, v97, v98
	v_mul_f32_e32 v98, v146, v210
	v_add_f32_e32 v153, v153, v154
	s_waitcnt vmcnt(8) lgkmcnt(0)
	v_mul_f32_e32 v154, v149, v214
	v_fma_f32 v98, v145, v209, -v98
	v_fmac_f32_e32 v154, v150, v213
	v_add_f32_e32 v97, v97, v98
	v_mul_f32_e32 v98, v148, v212
	v_add_f32_e32 v157, v153, v154
	ds_read_b128 v[153:156], v96 offset:736
	v_fma_f32 v98, v147, v211, -v98
	v_add_f32_e32 v97, v97, v98
	v_mul_f32_e32 v98, v150, v214
	s_waitcnt vmcnt(6)
	v_mul_f32_e32 v158, v151, v216
	v_fma_f32 v98, v149, v213, -v98
	v_fmac_f32_e32 v158, v152, v215
	v_add_f32_e32 v97, v97, v98
	v_mul_f32_e32 v98, v152, v216
	v_add_f32_e32 v223, v157, v158
	ds_read_b64 v[157:158], v96 offset:752
	v_fma_f32 v98, v151, v215, -v98
	v_add_f32_e32 v97, v97, v98
	s_waitcnt vmcnt(4) lgkmcnt(1)
	v_mul_f32_e32 v98, v154, v218
	v_mul_f32_e32 v224, v153, v218
	v_fma_f32 v98, v153, v217, -v98
	v_fmac_f32_e32 v224, v154, v217
	v_add_f32_e32 v97, v97, v98
	s_waitcnt vmcnt(3)
	v_mul_f32_e32 v98, v156, v219
	v_add_f32_e32 v223, v223, v224
	v_mul_f32_e32 v224, v155, v219
	s_waitcnt vmcnt(2)
	v_fma_f32 v98, v155, v220, -v98
	v_fmac_f32_e32 v224, v156, v220
	v_add_f32_e32 v97, v97, v98
	s_waitcnt vmcnt(0) lgkmcnt(0)
	v_mul_f32_e32 v98, v158, v222
	v_add_f32_e32 v223, v223, v224
	v_mul_f32_e32 v224, v157, v222
	v_fma_f32 v98, v157, v221, -v98
	v_fmac_f32_e32 v224, v158, v221
	v_add_f32_e32 v97, v97, v98
	v_add_f32_e32 v223, v223, v224
	v_sub_f32_e32 v97, v181, v97
	v_sub_f32_e32 v98, v182, v223
	buffer_store_dword v97, off, s[0:3], 0 offset:120
	buffer_store_dword v98, off, s[0:3], 0 offset:124
	s_and_saveexec_b64 s[4:5], vcc
	s_cbranch_execz .LBB46_267
; %bb.266:
	buffer_load_dword v97, off, s[0:3], 0 offset:112
	buffer_load_dword v98, off, s[0:3], 0 offset:116
	s_waitcnt vmcnt(0)
	ds_write_b64 v95, v[97:98]
	buffer_store_dword v96, off, s[0:3], 0 offset:112
	buffer_store_dword v96, off, s[0:3], 0 offset:116
.LBB46_267:
	s_or_b64 exec, exec, s[4:5]
	s_waitcnt lgkmcnt(0)
	; wave barrier
	buffer_load_dword v161, off, s[0:3], 0 offset:124
	buffer_load_dword v162, off, s[0:3], 0 offset:132
	;; [unrolled: 1-line block ×26, first 2 shown]
	ds_read2_b64 v[97:100], v96 offset0:63 offset1:64
	ds_read2_b64 v[101:104], v96 offset0:65 offset1:66
	;; [unrolled: 1-line block ×4, first 2 shown]
	buffer_load_dword v187, off, s[0:3], 0 offset:220
	buffer_load_dword v188, off, s[0:3], 0 offset:216
	;; [unrolled: 1-line block ×34, first 2 shown]
	v_cmp_lt_u32_e32 vcc, 13, v0
	s_waitcnt vmcnt(59) lgkmcnt(3)
	v_mul_f32_e32 v113, v97, v161
	s_waitcnt vmcnt(58)
	v_mul_f32_e32 v114, v99, v162
	s_waitcnt vmcnt(57) lgkmcnt(2)
	v_mul_f32_e32 v115, v101, v163
	s_waitcnt vmcnt(56)
	v_mul_f32_e32 v116, v103, v164
	;; [unrolled: 4-line block ×4, first 2 shown]
	s_waitcnt vmcnt(51)
	v_fmac_f32_e32 v113, v98, v169
	s_waitcnt vmcnt(50)
	v_fmac_f32_e32 v114, v100, v170
	v_add_f32_e32 v113, 0, v113
	s_waitcnt vmcnt(49)
	v_fmac_f32_e32 v115, v102, v171
	v_add_f32_e32 v113, v113, v114
	;; [unrolled: 3-line block ×7, first 2 shown]
	v_add_f32_e32 v121, v113, v120
	ds_read2_b64 v[113:116], v96 offset0:71 offset1:72
	buffer_load_dword v221, off, s[0:3], 0 offset:356
	buffer_load_dword v222, off, s[0:3], 0 offset:352
	;; [unrolled: 1-line block ×4, first 2 shown]
	ds_read2_b64 v[117:120], v96 offset0:73 offset1:74
	buffer_load_dword v225, off, s[0:3], 0 offset:368
	buffer_load_dword v226, off, s[0:3], 0 offset:372
	v_mul_f32_e32 v98, v98, v161
	s_waitcnt vmcnt(49) lgkmcnt(1)
	v_mul_f32_e32 v122, v113, v177
	s_waitcnt vmcnt(48)
	v_fmac_f32_e32 v122, v114, v178
	v_fma_f32 v97, v97, v169, -v98
	v_mul_f32_e32 v98, v100, v162
	v_add_f32_e32 v121, v121, v122
	s_waitcnt vmcnt(46)
	v_mul_f32_e32 v122, v115, v180
	v_add_f32_e32 v97, 0, v97
	v_fma_f32 v98, v99, v170, -v98
	v_fmac_f32_e32 v122, v116, v179
	v_add_f32_e32 v97, v97, v98
	v_mul_f32_e32 v98, v102, v163
	v_add_f32_e32 v121, v121, v122
	s_waitcnt vmcnt(43) lgkmcnt(0)
	v_mul_f32_e32 v122, v117, v183
	v_fma_f32 v98, v101, v171, -v98
	s_waitcnt vmcnt(42)
	v_fmac_f32_e32 v122, v118, v184
	v_add_f32_e32 v97, v97, v98
	v_mul_f32_e32 v98, v104, v164
	v_add_f32_e32 v125, v121, v122
	ds_read2_b64 v[121:124], v96 offset0:75 offset1:76
	v_fma_f32 v98, v103, v172, -v98
	v_add_f32_e32 v97, v97, v98
	v_mul_f32_e32 v98, v106, v165
	s_waitcnt vmcnt(40)
	v_mul_f32_e32 v126, v119, v186
	v_fma_f32 v98, v105, v173, -v98
	v_fmac_f32_e32 v126, v120, v185
	v_add_f32_e32 v97, v97, v98
	v_mul_f32_e32 v98, v108, v166
	v_add_f32_e32 v129, v125, v126
	ds_read2_b64 v[125:128], v96 offset0:77 offset1:78
	v_fma_f32 v98, v107, v174, -v98
	s_waitcnt vmcnt(39) lgkmcnt(1)
	v_mul_f32_e32 v130, v121, v187
	v_add_f32_e32 v97, v97, v98
	v_mul_f32_e32 v98, v110, v167
	s_waitcnt vmcnt(38)
	v_fmac_f32_e32 v130, v122, v188
	v_fma_f32 v98, v109, v175, -v98
	v_add_f32_e32 v129, v129, v130
	s_waitcnt vmcnt(36)
	v_mul_f32_e32 v130, v123, v190
	v_add_f32_e32 v97, v97, v98
	v_mul_f32_e32 v98, v112, v168
	v_fmac_f32_e32 v130, v124, v189
	v_fma_f32 v98, v111, v176, -v98
	v_add_f32_e32 v129, v129, v130
	s_waitcnt vmcnt(34) lgkmcnt(0)
	v_mul_f32_e32 v130, v125, v192
	v_add_f32_e32 v97, v97, v98
	v_mul_f32_e32 v98, v114, v177
	v_fmac_f32_e32 v130, v126, v191
	v_fma_f32 v98, v113, v178, -v98
	v_add_f32_e32 v133, v129, v130
	ds_read2_b64 v[129:132], v96 offset0:79 offset1:80
	v_add_f32_e32 v97, v97, v98
	v_mul_f32_e32 v98, v116, v180
	v_fma_f32 v98, v115, v179, -v98
	s_waitcnt vmcnt(32)
	v_mul_f32_e32 v134, v127, v194
	v_add_f32_e32 v97, v97, v98
	v_mul_f32_e32 v98, v118, v183
	v_fmac_f32_e32 v134, v128, v193
	v_fma_f32 v98, v117, v184, -v98
	v_add_f32_e32 v137, v133, v134
	ds_read2_b64 v[133:136], v96 offset0:81 offset1:82
	v_add_f32_e32 v97, v97, v98
	v_mul_f32_e32 v98, v120, v186
	s_waitcnt vmcnt(30) lgkmcnt(1)
	v_mul_f32_e32 v138, v129, v196
	v_fma_f32 v98, v119, v185, -v98
	v_fmac_f32_e32 v138, v130, v195
	v_add_f32_e32 v97, v97, v98
	v_mul_f32_e32 v98, v122, v187
	v_add_f32_e32 v137, v137, v138
	s_waitcnt vmcnt(28)
	v_mul_f32_e32 v138, v131, v198
	v_fma_f32 v98, v121, v188, -v98
	v_fmac_f32_e32 v138, v132, v197
	v_add_f32_e32 v97, v97, v98
	v_mul_f32_e32 v98, v124, v190
	v_add_f32_e32 v137, v137, v138
	s_waitcnt vmcnt(26) lgkmcnt(0)
	v_mul_f32_e32 v138, v133, v200
	v_fma_f32 v98, v123, v189, -v98
	v_fmac_f32_e32 v138, v134, v199
	v_add_f32_e32 v97, v97, v98
	v_mul_f32_e32 v98, v126, v192
	v_add_f32_e32 v141, v137, v138
	ds_read2_b64 v[137:140], v96 offset0:83 offset1:84
	v_fma_f32 v98, v125, v191, -v98
	v_add_f32_e32 v97, v97, v98
	v_mul_f32_e32 v98, v128, v194
	s_waitcnt vmcnt(24)
	v_mul_f32_e32 v142, v135, v202
	v_fma_f32 v98, v127, v193, -v98
	v_fmac_f32_e32 v142, v136, v201
	v_add_f32_e32 v97, v97, v98
	v_mul_f32_e32 v98, v130, v196
	v_add_f32_e32 v145, v141, v142
	ds_read2_b64 v[141:144], v96 offset0:85 offset1:86
	v_fma_f32 v98, v129, v195, -v98
	s_waitcnt vmcnt(22) lgkmcnt(1)
	v_mul_f32_e32 v146, v137, v204
	v_add_f32_e32 v97, v97, v98
	v_mul_f32_e32 v98, v132, v198
	v_fmac_f32_e32 v146, v138, v203
	v_fma_f32 v98, v131, v197, -v98
	v_add_f32_e32 v145, v145, v146
	s_waitcnt vmcnt(20)
	v_mul_f32_e32 v146, v139, v206
	v_add_f32_e32 v97, v97, v98
	v_mul_f32_e32 v98, v134, v200
	v_fmac_f32_e32 v146, v140, v205
	v_fma_f32 v98, v133, v199, -v98
	v_add_f32_e32 v145, v145, v146
	s_waitcnt vmcnt(18) lgkmcnt(0)
	v_mul_f32_e32 v146, v141, v208
	v_add_f32_e32 v97, v97, v98
	v_mul_f32_e32 v98, v136, v202
	v_fmac_f32_e32 v146, v142, v207
	v_fma_f32 v98, v135, v201, -v98
	v_add_f32_e32 v149, v145, v146
	ds_read2_b64 v[145:148], v96 offset0:87 offset1:88
	v_add_f32_e32 v97, v97, v98
	v_mul_f32_e32 v98, v138, v204
	v_fma_f32 v98, v137, v203, -v98
	s_waitcnt vmcnt(16)
	v_mul_f32_e32 v150, v143, v210
	v_add_f32_e32 v97, v97, v98
	v_mul_f32_e32 v98, v140, v206
	v_fmac_f32_e32 v150, v144, v209
	v_fma_f32 v98, v139, v205, -v98
	v_add_f32_e32 v153, v149, v150
	ds_read2_b64 v[149:152], v96 offset0:89 offset1:90
	v_add_f32_e32 v97, v97, v98
	v_mul_f32_e32 v98, v142, v208
	s_waitcnt vmcnt(14) lgkmcnt(1)
	v_mul_f32_e32 v154, v145, v212
	v_fma_f32 v98, v141, v207, -v98
	v_fmac_f32_e32 v154, v146, v211
	v_add_f32_e32 v97, v97, v98
	v_mul_f32_e32 v98, v144, v210
	v_add_f32_e32 v153, v153, v154
	s_waitcnt vmcnt(12)
	v_mul_f32_e32 v154, v147, v214
	v_fma_f32 v98, v143, v209, -v98
	v_fmac_f32_e32 v154, v148, v213
	v_add_f32_e32 v97, v97, v98
	v_mul_f32_e32 v98, v146, v212
	v_add_f32_e32 v153, v153, v154
	s_waitcnt vmcnt(10) lgkmcnt(0)
	v_mul_f32_e32 v154, v149, v216
	v_fma_f32 v98, v145, v211, -v98
	v_fmac_f32_e32 v154, v150, v215
	v_add_f32_e32 v97, v97, v98
	v_mul_f32_e32 v98, v148, v214
	v_add_f32_e32 v157, v153, v154
	ds_read2_b64 v[153:156], v96 offset0:91 offset1:92
	v_fma_f32 v98, v147, v213, -v98
	v_add_f32_e32 v97, v97, v98
	v_mul_f32_e32 v98, v150, v216
	s_waitcnt vmcnt(8)
	v_mul_f32_e32 v158, v151, v218
	v_fma_f32 v98, v149, v215, -v98
	v_fmac_f32_e32 v158, v152, v217
	v_add_f32_e32 v97, v97, v98
	v_mul_f32_e32 v98, v152, v218
	v_add_f32_e32 v227, v157, v158
	ds_read2_b64 v[157:160], v96 offset0:93 offset1:94
	v_fma_f32 v98, v151, v217, -v98
	v_add_f32_e32 v97, v97, v98
	s_waitcnt vmcnt(6) lgkmcnt(1)
	v_mul_f32_e32 v98, v154, v220
	v_mul_f32_e32 v96, v153, v220
	v_fma_f32 v98, v153, v219, -v98
	v_fmac_f32_e32 v96, v154, v219
	v_add_f32_e32 v97, v97, v98
	s_waitcnt vmcnt(5)
	v_mul_f32_e32 v98, v156, v221
	v_add_f32_e32 v96, v227, v96
	v_mul_f32_e32 v227, v155, v221
	s_waitcnt vmcnt(4)
	v_fma_f32 v98, v155, v222, -v98
	v_fmac_f32_e32 v227, v156, v222
	v_add_f32_e32 v97, v97, v98
	s_waitcnt vmcnt(2) lgkmcnt(0)
	v_mul_f32_e32 v98, v158, v224
	v_add_f32_e32 v96, v96, v227
	v_mul_f32_e32 v227, v157, v224
	v_fma_f32 v98, v157, v223, -v98
	v_fmac_f32_e32 v227, v158, v223
	v_add_f32_e32 v97, v97, v98
	s_waitcnt vmcnt(0)
	v_mul_f32_e32 v98, v160, v226
	v_add_f32_e32 v96, v96, v227
	v_mul_f32_e32 v227, v159, v226
	v_fma_f32 v98, v159, v225, -v98
	v_fmac_f32_e32 v227, v160, v225
	v_add_f32_e32 v97, v97, v98
	v_add_f32_e32 v96, v96, v227
	v_sub_f32_e32 v97, v181, v97
	v_sub_f32_e32 v96, v182, v96
	buffer_store_dword v97, off, s[0:3], 0 offset:112
	buffer_store_dword v96, off, s[0:3], 0 offset:116
	s_and_saveexec_b64 s[4:5], vcc
	s_cbranch_execz .LBB46_269
; %bb.268:
	buffer_load_dword v96, off, s[0:3], 0 offset:104
	buffer_load_dword v97, off, s[0:3], 0 offset:108
	v_mov_b32_e32 v98, 0
	buffer_store_dword v98, off, s[0:3], 0 offset:104
	buffer_store_dword v98, off, s[0:3], 0 offset:108
	s_waitcnt vmcnt(2)
	ds_write_b64 v95, v[96:97]
.LBB46_269:
	s_or_b64 exec, exec, s[4:5]
	s_waitcnt lgkmcnt(0)
	; wave barrier
	buffer_load_dword v163, off, s[0:3], 0 offset:116
	buffer_load_dword v164, off, s[0:3], 0 offset:124
	;; [unrolled: 1-line block ×58, first 2 shown]
	v_mov_b32_e32 v96, 0
	ds_read_b128 v[97:100], v96 offset:496
	ds_read_b128 v[101:104], v96 offset:512
	;; [unrolled: 1-line block ×5, first 2 shown]
	buffer_load_dword v221, off, s[0:3], 0 offset:336
	buffer_load_dword v222, off, s[0:3], 0 offset:340
	v_cmp_lt_u32_e32 vcc, 12, v0
	s_waitcnt vmcnt(59) lgkmcnt(4)
	v_mul_f32_e32 v117, v97, v163
	s_waitcnt vmcnt(58)
	v_mul_f32_e32 v118, v99, v164
	s_waitcnt vmcnt(57) lgkmcnt(3)
	v_mul_f32_e32 v119, v101, v165
	s_waitcnt vmcnt(56)
	v_mul_f32_e32 v120, v103, v166
	;; [unrolled: 4-line block ×4, first 2 shown]
	s_waitcnt vmcnt(51)
	v_fmac_f32_e32 v117, v98, v171
	s_waitcnt vmcnt(50)
	v_fmac_f32_e32 v118, v100, v172
	v_add_f32_e32 v117, 0, v117
	s_waitcnt vmcnt(49)
	v_fmac_f32_e32 v119, v102, v173
	v_add_f32_e32 v117, v117, v118
	;; [unrolled: 3-line block ×7, first 2 shown]
	v_add_f32_e32 v121, v117, v124
	ds_read_b128 v[117:120], v96 offset:576
	buffer_load_dword v223, off, s[0:3], 0 offset:348
	buffer_load_dword v224, off, s[0:3], 0 offset:344
	;; [unrolled: 1-line block ×8, first 2 shown]
	s_waitcnt vmcnt(51) lgkmcnt(1)
	v_mul_f32_e32 v122, v113, v179
	s_waitcnt vmcnt(50)
	v_fmac_f32_e32 v122, v114, v180
	v_mul_f32_e32 v98, v98, v163
	v_add_f32_e32 v121, v121, v122
	s_waitcnt vmcnt(49)
	v_mul_f32_e32 v122, v115, v181
	v_fma_f32 v97, v97, v171, -v98
	v_mul_f32_e32 v98, v100, v164
	s_waitcnt vmcnt(46)
	v_fmac_f32_e32 v122, v116, v184
	v_add_f32_e32 v97, 0, v97
	v_fma_f32 v98, v99, v172, -v98
	v_add_f32_e32 v121, v121, v122
	s_waitcnt vmcnt(44) lgkmcnt(0)
	v_mul_f32_e32 v122, v117, v186
	v_add_f32_e32 v97, v97, v98
	v_mul_f32_e32 v98, v102, v165
	v_fmac_f32_e32 v122, v118, v185
	v_fma_f32 v98, v101, v173, -v98
	v_add_f32_e32 v125, v121, v122
	ds_read_b128 v[121:124], v96 offset:592
	v_add_f32_e32 v97, v97, v98
	v_mul_f32_e32 v98, v104, v166
	v_fma_f32 v98, v103, v174, -v98
	s_waitcnt vmcnt(42)
	v_mul_f32_e32 v126, v119, v188
	v_add_f32_e32 v97, v97, v98
	v_mul_f32_e32 v98, v106, v167
	v_fmac_f32_e32 v126, v120, v187
	v_fma_f32 v98, v105, v175, -v98
	v_add_f32_e32 v129, v125, v126
	ds_read_b128 v[125:128], v96 offset:608
	v_add_f32_e32 v97, v97, v98
	v_mul_f32_e32 v98, v108, v168
	s_waitcnt vmcnt(40) lgkmcnt(1)
	v_mul_f32_e32 v130, v121, v190
	v_fma_f32 v98, v107, v176, -v98
	v_fmac_f32_e32 v130, v122, v189
	v_add_f32_e32 v97, v97, v98
	v_mul_f32_e32 v98, v110, v169
	v_add_f32_e32 v129, v129, v130
	s_waitcnt vmcnt(38)
	v_mul_f32_e32 v130, v123, v192
	v_fma_f32 v98, v109, v177, -v98
	v_fmac_f32_e32 v130, v124, v191
	v_add_f32_e32 v97, v97, v98
	v_mul_f32_e32 v98, v112, v170
	v_add_f32_e32 v129, v129, v130
	s_waitcnt vmcnt(36) lgkmcnt(0)
	v_mul_f32_e32 v130, v125, v194
	v_fma_f32 v98, v111, v178, -v98
	v_fmac_f32_e32 v130, v126, v193
	v_add_f32_e32 v97, v97, v98
	v_mul_f32_e32 v98, v114, v179
	v_add_f32_e32 v133, v129, v130
	ds_read_b128 v[129:132], v96 offset:624
	v_fma_f32 v98, v113, v180, -v98
	v_add_f32_e32 v97, v97, v98
	v_mul_f32_e32 v98, v116, v181
	s_waitcnt vmcnt(34)
	v_mul_f32_e32 v134, v127, v196
	v_fma_f32 v98, v115, v184, -v98
	v_fmac_f32_e32 v134, v128, v195
	v_add_f32_e32 v97, v97, v98
	v_mul_f32_e32 v98, v118, v186
	v_add_f32_e32 v137, v133, v134
	ds_read_b128 v[133:136], v96 offset:640
	v_fma_f32 v98, v117, v185, -v98
	s_waitcnt vmcnt(32) lgkmcnt(1)
	v_mul_f32_e32 v138, v129, v198
	v_add_f32_e32 v97, v97, v98
	v_mul_f32_e32 v98, v120, v188
	v_fmac_f32_e32 v138, v130, v197
	v_fma_f32 v98, v119, v187, -v98
	v_add_f32_e32 v137, v137, v138
	s_waitcnt vmcnt(30)
	v_mul_f32_e32 v138, v131, v200
	v_add_f32_e32 v97, v97, v98
	v_mul_f32_e32 v98, v122, v190
	v_fmac_f32_e32 v138, v132, v199
	v_fma_f32 v98, v121, v189, -v98
	v_add_f32_e32 v137, v137, v138
	s_waitcnt vmcnt(28) lgkmcnt(0)
	v_mul_f32_e32 v138, v133, v202
	v_add_f32_e32 v97, v97, v98
	v_mul_f32_e32 v98, v124, v192
	v_fmac_f32_e32 v138, v134, v201
	v_fma_f32 v98, v123, v191, -v98
	v_add_f32_e32 v141, v137, v138
	ds_read_b128 v[137:140], v96 offset:656
	v_add_f32_e32 v97, v97, v98
	v_mul_f32_e32 v98, v126, v194
	v_fma_f32 v98, v125, v193, -v98
	s_waitcnt vmcnt(26)
	v_mul_f32_e32 v142, v135, v204
	v_add_f32_e32 v97, v97, v98
	v_mul_f32_e32 v98, v128, v196
	v_fmac_f32_e32 v142, v136, v203
	v_fma_f32 v98, v127, v195, -v98
	v_add_f32_e32 v145, v141, v142
	ds_read_b128 v[141:144], v96 offset:672
	v_add_f32_e32 v97, v97, v98
	v_mul_f32_e32 v98, v130, v198
	s_waitcnt vmcnt(24) lgkmcnt(1)
	v_mul_f32_e32 v146, v137, v206
	v_fma_f32 v98, v129, v197, -v98
	v_fmac_f32_e32 v146, v138, v205
	v_add_f32_e32 v97, v97, v98
	v_mul_f32_e32 v98, v132, v200
	v_add_f32_e32 v145, v145, v146
	s_waitcnt vmcnt(22)
	v_mul_f32_e32 v146, v139, v208
	v_fma_f32 v98, v131, v199, -v98
	v_fmac_f32_e32 v146, v140, v207
	v_add_f32_e32 v97, v97, v98
	v_mul_f32_e32 v98, v134, v202
	v_add_f32_e32 v145, v145, v146
	s_waitcnt vmcnt(20) lgkmcnt(0)
	v_mul_f32_e32 v146, v141, v210
	v_fma_f32 v98, v133, v201, -v98
	v_fmac_f32_e32 v146, v142, v209
	v_add_f32_e32 v97, v97, v98
	v_mul_f32_e32 v98, v136, v204
	v_add_f32_e32 v149, v145, v146
	ds_read_b128 v[145:148], v96 offset:688
	v_fma_f32 v98, v135, v203, -v98
	v_add_f32_e32 v97, v97, v98
	v_mul_f32_e32 v98, v138, v206
	s_waitcnt vmcnt(18)
	v_mul_f32_e32 v150, v143, v212
	v_fma_f32 v98, v137, v205, -v98
	v_fmac_f32_e32 v150, v144, v211
	v_add_f32_e32 v97, v97, v98
	v_mul_f32_e32 v98, v140, v208
	v_add_f32_e32 v153, v149, v150
	ds_read_b128 v[149:152], v96 offset:704
	v_fma_f32 v98, v139, v207, -v98
	s_waitcnt vmcnt(16) lgkmcnt(1)
	v_mul_f32_e32 v154, v145, v214
	v_add_f32_e32 v97, v97, v98
	v_mul_f32_e32 v98, v142, v210
	v_fmac_f32_e32 v154, v146, v213
	v_fma_f32 v98, v141, v209, -v98
	v_add_f32_e32 v153, v153, v154
	s_waitcnt vmcnt(14)
	v_mul_f32_e32 v154, v147, v216
	v_add_f32_e32 v97, v97, v98
	v_mul_f32_e32 v98, v144, v212
	v_fmac_f32_e32 v154, v148, v215
	v_fma_f32 v98, v143, v211, -v98
	v_add_f32_e32 v153, v153, v154
	s_waitcnt vmcnt(12) lgkmcnt(0)
	v_mul_f32_e32 v154, v149, v218
	v_add_f32_e32 v97, v97, v98
	v_mul_f32_e32 v98, v146, v214
	v_fmac_f32_e32 v154, v150, v217
	v_fma_f32 v98, v145, v213, -v98
	v_add_f32_e32 v157, v153, v154
	ds_read_b128 v[153:156], v96 offset:720
	v_add_f32_e32 v97, v97, v98
	v_mul_f32_e32 v98, v148, v216
	v_fma_f32 v98, v147, v215, -v98
	v_add_f32_e32 v97, v97, v98
	v_mul_f32_e32 v98, v150, v218
	s_waitcnt vmcnt(10)
	v_mul_f32_e32 v158, v151, v220
	v_fma_f32 v98, v149, v217, -v98
	v_fmac_f32_e32 v158, v152, v219
	v_add_f32_e32 v97, v97, v98
	v_mul_f32_e32 v98, v152, v220
	v_add_f32_e32 v161, v157, v158
	ds_read_b128 v[157:160], v96 offset:736
	s_waitcnt vmcnt(8) lgkmcnt(1)
	v_mul_f32_e32 v162, v153, v222
	v_fma_f32 v98, v151, v219, -v98
	v_fmac_f32_e32 v162, v154, v221
	v_add_f32_e32 v97, v97, v98
	v_mul_f32_e32 v98, v154, v222
	v_add_f32_e32 v161, v161, v162
	s_waitcnt vmcnt(7)
	v_mul_f32_e32 v162, v155, v223
	v_fma_f32 v98, v153, v221, -v98
	s_waitcnt vmcnt(6)
	v_fmac_f32_e32 v162, v156, v224
	v_add_f32_e32 v97, v97, v98
	v_mul_f32_e32 v98, v156, v223
	v_add_f32_e32 v231, v161, v162
	ds_read_b64 v[161:162], v96 offset:752
	v_fma_f32 v98, v155, v224, -v98
	v_add_f32_e32 v97, v97, v98
	s_waitcnt vmcnt(4) lgkmcnt(1)
	v_mul_f32_e32 v98, v158, v226
	v_mul_f32_e32 v232, v157, v226
	v_fma_f32 v98, v157, v225, -v98
	v_fmac_f32_e32 v232, v158, v225
	v_add_f32_e32 v97, v97, v98
	s_waitcnt vmcnt(3)
	v_mul_f32_e32 v98, v160, v227
	v_add_f32_e32 v231, v231, v232
	v_mul_f32_e32 v232, v159, v227
	s_waitcnt vmcnt(2)
	v_fma_f32 v98, v159, v228, -v98
	v_fmac_f32_e32 v232, v160, v228
	v_add_f32_e32 v97, v97, v98
	s_waitcnt vmcnt(0) lgkmcnt(0)
	v_mul_f32_e32 v98, v162, v230
	v_add_f32_e32 v231, v231, v232
	v_mul_f32_e32 v232, v161, v230
	v_fma_f32 v98, v161, v229, -v98
	v_fmac_f32_e32 v232, v162, v229
	v_add_f32_e32 v97, v97, v98
	v_add_f32_e32 v231, v231, v232
	v_sub_f32_e32 v97, v182, v97
	v_sub_f32_e32 v98, v183, v231
	buffer_store_dword v97, off, s[0:3], 0 offset:104
	buffer_store_dword v98, off, s[0:3], 0 offset:108
	s_and_saveexec_b64 s[4:5], vcc
	s_cbranch_execz .LBB46_271
; %bb.270:
	buffer_load_dword v97, off, s[0:3], 0 offset:96
	buffer_load_dword v98, off, s[0:3], 0 offset:100
	s_waitcnt vmcnt(0)
	ds_write_b64 v95, v[97:98]
	buffer_store_dword v96, off, s[0:3], 0 offset:96
	buffer_store_dword v96, off, s[0:3], 0 offset:100
.LBB46_271:
	s_or_b64 exec, exec, s[4:5]
	s_waitcnt lgkmcnt(0)
	; wave barrier
	buffer_load_dword v165, off, s[0:3], 0 offset:108
	buffer_load_dword v166, off, s[0:3], 0 offset:116
	;; [unrolled: 1-line block ×24, first 2 shown]
	ds_read2_b64 v[97:100], v96 offset0:61 offset1:62
	ds_read2_b64 v[101:104], v96 offset0:63 offset1:64
	ds_read2_b64 v[105:108], v96 offset0:65 offset1:66
	ds_read2_b64 v[109:112], v96 offset0:67 offset1:68
	ds_read2_b64 v[113:116], v96 offset0:69 offset1:70
	ds_read2_b64 v[117:120], v96 offset0:71 offset1:72
	buffer_load_dword v189, off, s[0:3], 0 offset:196
	buffer_load_dword v190, off, s[0:3], 0 offset:192
	;; [unrolled: 1-line block ×46, first 2 shown]
	v_cmp_lt_u32_e32 vcc, 11, v0
	s_waitcnt vmcnt(62) lgkmcnt(5)
	v_mul_f32_e32 v121, v97, v165
	v_mul_f32_e32 v122, v99, v166
	s_waitcnt lgkmcnt(4)
	v_mul_f32_e32 v123, v101, v167
	v_mul_f32_e32 v124, v103, v168
	s_waitcnt lgkmcnt(3)
	;; [unrolled: 3-line block ×3, first 2 shown]
	v_mul_f32_e32 v127, v109, v171
	v_mul_f32_e32 v128, v111, v172
	s_waitcnt vmcnt(61)
	v_fmac_f32_e32 v121, v98, v173
	s_waitcnt vmcnt(60)
	v_fmac_f32_e32 v122, v100, v174
	v_add_f32_e32 v121, 0, v121
	s_waitcnt vmcnt(59)
	v_fmac_f32_e32 v123, v102, v175
	v_add_f32_e32 v121, v121, v122
	;; [unrolled: 3-line block ×7, first 2 shown]
	s_waitcnt vmcnt(53) lgkmcnt(1)
	v_mul_f32_e32 v122, v113, v181
	v_add_f32_e32 v121, v121, v128
	s_waitcnt vmcnt(52)
	v_fmac_f32_e32 v122, v114, v182
	v_mul_f32_e32 v98, v98, v165
	v_add_f32_e32 v121, v121, v122
	s_waitcnt vmcnt(51)
	v_mul_f32_e32 v122, v115, v183
	v_fma_f32 v97, v97, v173, -v98
	v_mul_f32_e32 v98, v100, v166
	s_waitcnt vmcnt(50)
	v_fmac_f32_e32 v122, v116, v184
	v_add_f32_e32 v97, 0, v97
	v_fma_f32 v98, v99, v174, -v98
	v_add_f32_e32 v121, v121, v122
	s_waitcnt vmcnt(47) lgkmcnt(0)
	v_mul_f32_e32 v122, v117, v187
	v_add_f32_e32 v97, v97, v98
	v_mul_f32_e32 v98, v102, v167
	s_waitcnt vmcnt(46)
	v_fmac_f32_e32 v122, v118, v188
	v_fma_f32 v98, v101, v175, -v98
	v_add_f32_e32 v125, v121, v122
	ds_read2_b64 v[121:124], v96 offset0:73 offset1:74
	v_add_f32_e32 v97, v97, v98
	v_mul_f32_e32 v98, v104, v168
	v_fma_f32 v98, v103, v176, -v98
	s_waitcnt vmcnt(45)
	v_mul_f32_e32 v126, v119, v189
	v_add_f32_e32 v97, v97, v98
	v_mul_f32_e32 v98, v106, v169
	s_waitcnt vmcnt(44)
	v_fmac_f32_e32 v126, v120, v190
	v_fma_f32 v98, v105, v177, -v98
	v_add_f32_e32 v129, v125, v126
	ds_read2_b64 v[125:128], v96 offset0:75 offset1:76
	v_add_f32_e32 v97, v97, v98
	v_mul_f32_e32 v98, v108, v170
	s_waitcnt vmcnt(42) lgkmcnt(1)
	v_mul_f32_e32 v130, v121, v192
	v_fma_f32 v98, v107, v178, -v98
	v_fmac_f32_e32 v130, v122, v191
	v_add_f32_e32 v97, v97, v98
	v_mul_f32_e32 v98, v110, v171
	v_add_f32_e32 v129, v129, v130
	s_waitcnt vmcnt(40)
	v_mul_f32_e32 v130, v123, v194
	v_fma_f32 v98, v109, v179, -v98
	v_fmac_f32_e32 v130, v124, v193
	v_add_f32_e32 v97, v97, v98
	v_mul_f32_e32 v98, v112, v172
	v_add_f32_e32 v129, v129, v130
	s_waitcnt vmcnt(38) lgkmcnt(0)
	v_mul_f32_e32 v130, v125, v196
	v_fma_f32 v98, v111, v180, -v98
	v_fmac_f32_e32 v130, v126, v195
	v_add_f32_e32 v97, v97, v98
	v_mul_f32_e32 v98, v114, v181
	v_add_f32_e32 v133, v129, v130
	ds_read2_b64 v[129:132], v96 offset0:77 offset1:78
	v_fma_f32 v98, v113, v182, -v98
	v_add_f32_e32 v97, v97, v98
	v_mul_f32_e32 v98, v116, v183
	s_waitcnt vmcnt(36)
	v_mul_f32_e32 v134, v127, v198
	v_fma_f32 v98, v115, v184, -v98
	v_fmac_f32_e32 v134, v128, v197
	v_add_f32_e32 v97, v97, v98
	v_mul_f32_e32 v98, v118, v187
	v_add_f32_e32 v137, v133, v134
	ds_read2_b64 v[133:136], v96 offset0:79 offset1:80
	v_fma_f32 v98, v117, v188, -v98
	s_waitcnt vmcnt(34) lgkmcnt(1)
	v_mul_f32_e32 v138, v129, v200
	v_add_f32_e32 v97, v97, v98
	v_mul_f32_e32 v98, v120, v189
	v_fmac_f32_e32 v138, v130, v199
	v_fma_f32 v98, v119, v190, -v98
	v_add_f32_e32 v137, v137, v138
	s_waitcnt vmcnt(32)
	v_mul_f32_e32 v138, v131, v202
	v_add_f32_e32 v97, v97, v98
	v_mul_f32_e32 v98, v122, v192
	v_fmac_f32_e32 v138, v132, v201
	v_fma_f32 v98, v121, v191, -v98
	v_add_f32_e32 v137, v137, v138
	s_waitcnt vmcnt(30) lgkmcnt(0)
	v_mul_f32_e32 v138, v133, v204
	v_add_f32_e32 v97, v97, v98
	v_mul_f32_e32 v98, v124, v194
	v_fmac_f32_e32 v138, v134, v203
	v_fma_f32 v98, v123, v193, -v98
	v_add_f32_e32 v141, v137, v138
	ds_read2_b64 v[137:140], v96 offset0:81 offset1:82
	v_add_f32_e32 v97, v97, v98
	v_mul_f32_e32 v98, v126, v196
	v_fma_f32 v98, v125, v195, -v98
	s_waitcnt vmcnt(28)
	v_mul_f32_e32 v142, v135, v206
	v_add_f32_e32 v97, v97, v98
	v_mul_f32_e32 v98, v128, v198
	v_fmac_f32_e32 v142, v136, v205
	v_fma_f32 v98, v127, v197, -v98
	v_add_f32_e32 v145, v141, v142
	ds_read2_b64 v[141:144], v96 offset0:83 offset1:84
	v_add_f32_e32 v97, v97, v98
	v_mul_f32_e32 v98, v130, v200
	s_waitcnt vmcnt(26) lgkmcnt(1)
	v_mul_f32_e32 v146, v137, v208
	v_fma_f32 v98, v129, v199, -v98
	v_fmac_f32_e32 v146, v138, v207
	v_add_f32_e32 v97, v97, v98
	v_mul_f32_e32 v98, v132, v202
	v_add_f32_e32 v145, v145, v146
	s_waitcnt vmcnt(24)
	v_mul_f32_e32 v146, v139, v210
	v_fma_f32 v98, v131, v201, -v98
	v_fmac_f32_e32 v146, v140, v209
	v_add_f32_e32 v97, v97, v98
	v_mul_f32_e32 v98, v134, v204
	v_add_f32_e32 v145, v145, v146
	s_waitcnt vmcnt(22) lgkmcnt(0)
	v_mul_f32_e32 v146, v141, v212
	v_fma_f32 v98, v133, v203, -v98
	v_fmac_f32_e32 v146, v142, v211
	v_add_f32_e32 v97, v97, v98
	v_mul_f32_e32 v98, v136, v206
	v_add_f32_e32 v149, v145, v146
	ds_read2_b64 v[145:148], v96 offset0:85 offset1:86
	v_fma_f32 v98, v135, v205, -v98
	v_add_f32_e32 v97, v97, v98
	v_mul_f32_e32 v98, v138, v208
	s_waitcnt vmcnt(20)
	v_mul_f32_e32 v150, v143, v214
	v_fma_f32 v98, v137, v207, -v98
	v_fmac_f32_e32 v150, v144, v213
	v_add_f32_e32 v97, v97, v98
	v_mul_f32_e32 v98, v140, v210
	v_add_f32_e32 v153, v149, v150
	ds_read2_b64 v[149:152], v96 offset0:87 offset1:88
	v_fma_f32 v98, v139, v209, -v98
	s_waitcnt vmcnt(18) lgkmcnt(1)
	v_mul_f32_e32 v154, v145, v216
	v_add_f32_e32 v97, v97, v98
	v_mul_f32_e32 v98, v142, v212
	v_fmac_f32_e32 v154, v146, v215
	v_fma_f32 v98, v141, v211, -v98
	v_add_f32_e32 v153, v153, v154
	s_waitcnt vmcnt(16)
	v_mul_f32_e32 v154, v147, v218
	v_add_f32_e32 v97, v97, v98
	v_mul_f32_e32 v98, v144, v214
	v_fmac_f32_e32 v154, v148, v217
	v_fma_f32 v98, v143, v213, -v98
	v_add_f32_e32 v153, v153, v154
	s_waitcnt vmcnt(14) lgkmcnt(0)
	v_mul_f32_e32 v154, v149, v220
	v_add_f32_e32 v97, v97, v98
	v_mul_f32_e32 v98, v146, v216
	v_fmac_f32_e32 v154, v150, v219
	v_fma_f32 v98, v145, v215, -v98
	v_add_f32_e32 v157, v153, v154
	ds_read2_b64 v[153:156], v96 offset0:89 offset1:90
	v_add_f32_e32 v97, v97, v98
	v_mul_f32_e32 v98, v148, v218
	v_fma_f32 v98, v147, v217, -v98
	v_add_f32_e32 v97, v97, v98
	v_mul_f32_e32 v98, v150, v220
	s_waitcnt vmcnt(12)
	v_mul_f32_e32 v158, v151, v222
	v_fma_f32 v98, v149, v219, -v98
	v_fmac_f32_e32 v158, v152, v221
	v_add_f32_e32 v97, v97, v98
	v_mul_f32_e32 v98, v152, v222
	v_add_f32_e32 v161, v157, v158
	ds_read2_b64 v[157:160], v96 offset0:91 offset1:92
	s_waitcnt vmcnt(10) lgkmcnt(1)
	v_mul_f32_e32 v162, v153, v224
	v_fma_f32 v98, v151, v221, -v98
	v_fmac_f32_e32 v162, v154, v223
	v_add_f32_e32 v97, v97, v98
	v_mul_f32_e32 v98, v154, v224
	v_add_f32_e32 v161, v161, v162
	s_waitcnt vmcnt(9)
	v_mul_f32_e32 v162, v155, v225
	v_fma_f32 v98, v153, v223, -v98
	s_waitcnt vmcnt(8)
	v_fmac_f32_e32 v162, v156, v226
	v_add_f32_e32 v97, v97, v98
	v_mul_f32_e32 v98, v156, v225
	v_add_f32_e32 v235, v161, v162
	ds_read2_b64 v[161:164], v96 offset0:93 offset1:94
	v_fma_f32 v98, v155, v226, -v98
	v_add_f32_e32 v97, v97, v98
	s_waitcnt vmcnt(6) lgkmcnt(1)
	v_mul_f32_e32 v98, v158, v228
	v_mul_f32_e32 v236, v157, v228
	v_fma_f32 v98, v157, v227, -v98
	v_fmac_f32_e32 v236, v158, v227
	v_add_f32_e32 v97, v97, v98
	s_waitcnt vmcnt(4)
	v_mul_f32_e32 v98, v160, v230
	v_add_f32_e32 v96, v235, v236
	v_mul_f32_e32 v235, v159, v230
	v_fma_f32 v98, v159, v229, -v98
	v_fmac_f32_e32 v235, v160, v229
	v_add_f32_e32 v97, v97, v98
	s_waitcnt vmcnt(3) lgkmcnt(0)
	v_mul_f32_e32 v98, v162, v231
	v_add_f32_e32 v96, v96, v235
	v_mul_f32_e32 v235, v161, v231
	s_waitcnt vmcnt(2)
	v_fma_f32 v98, v161, v232, -v98
	v_fmac_f32_e32 v235, v162, v232
	v_add_f32_e32 v97, v97, v98
	s_waitcnt vmcnt(0)
	v_mul_f32_e32 v98, v164, v234
	v_add_f32_e32 v96, v96, v235
	v_mul_f32_e32 v235, v163, v234
	v_fma_f32 v98, v163, v233, -v98
	v_fmac_f32_e32 v235, v164, v233
	v_add_f32_e32 v97, v97, v98
	v_add_f32_e32 v96, v96, v235
	v_sub_f32_e32 v97, v185, v97
	v_sub_f32_e32 v96, v186, v96
	buffer_store_dword v97, off, s[0:3], 0 offset:96
	buffer_store_dword v96, off, s[0:3], 0 offset:100
	s_and_saveexec_b64 s[4:5], vcc
	s_cbranch_execz .LBB46_273
; %bb.272:
	buffer_load_dword v96, off, s[0:3], 0 offset:88
	buffer_load_dword v97, off, s[0:3], 0 offset:92
	v_mov_b32_e32 v98, 0
	buffer_store_dword v98, off, s[0:3], 0 offset:88
	buffer_store_dword v98, off, s[0:3], 0 offset:92
	s_waitcnt vmcnt(2)
	ds_write_b64 v95, v[96:97]
.LBB46_273:
	s_or_b64 exec, exec, s[4:5]
	s_waitcnt lgkmcnt(0)
	; wave barrier
	buffer_load_dword v167, off, s[0:3], 0 offset:100
	buffer_load_dword v168, off, s[0:3], 0 offset:108
	;; [unrolled: 1-line block ×56, first 2 shown]
	v_mov_b32_e32 v96, 0
	ds_read_b128 v[97:100], v96 offset:480
	ds_read_b128 v[101:104], v96 offset:496
	;; [unrolled: 1-line block ×6, first 2 shown]
	buffer_load_dword v223, off, s[0:3], 0 offset:312
	buffer_load_dword v224, off, s[0:3], 0 offset:316
	buffer_load_dword v225, off, s[0:3], 0 offset:320
	buffer_load_dword v226, off, s[0:3], 0 offset:324
	buffer_load_dword v227, off, s[0:3], 0 offset:332
	buffer_load_dword v228, off, s[0:3], 0 offset:328
	buffer_load_dword v229, off, s[0:3], 0 offset:336
	buffer_load_dword v230, off, s[0:3], 0 offset:340
	buffer_load_dword v231, off, s[0:3], 0 offset:344
	buffer_load_dword v232, off, s[0:3], 0 offset:348
	buffer_load_dword v233, off, s[0:3], 0 offset:352
	buffer_load_dword v234, off, s[0:3], 0 offset:356
	v_cmp_lt_u32_e32 vcc, 10, v0
	s_waitcnt vmcnt(62) lgkmcnt(5)
	v_mul_f32_e32 v121, v97, v167
	v_mul_f32_e32 v122, v99, v168
	s_waitcnt lgkmcnt(4)
	v_mul_f32_e32 v123, v101, v169
	v_mul_f32_e32 v124, v103, v170
	s_waitcnt lgkmcnt(3)
	v_mul_f32_e32 v125, v105, v171
	v_mul_f32_e32 v126, v107, v172
	s_waitcnt vmcnt(61) lgkmcnt(2)
	v_mul_f32_e32 v127, v109, v173
	s_waitcnt vmcnt(60)
	v_mul_f32_e32 v128, v111, v174
	s_waitcnt vmcnt(59) lgkmcnt(1)
	v_mul_f32_e32 v129, v113, v175
	s_waitcnt vmcnt(58)
	v_fmac_f32_e32 v121, v98, v176
	s_waitcnt vmcnt(57)
	v_fmac_f32_e32 v122, v100, v177
	v_add_f32_e32 v121, 0, v121
	s_waitcnt vmcnt(56)
	v_fmac_f32_e32 v123, v102, v178
	v_add_f32_e32 v121, v121, v122
	;; [unrolled: 3-line block ×7, first 2 shown]
	v_add_f32_e32 v121, v121, v128
	s_waitcnt vmcnt(50)
	v_fmac_f32_e32 v129, v114, v184
	s_waitcnt vmcnt(49)
	v_mul_f32_e32 v122, v115, v185
	v_add_f32_e32 v121, v121, v129
	s_waitcnt vmcnt(48)
	v_fmac_f32_e32 v122, v116, v186
	v_add_f32_e32 v121, v121, v122
	s_waitcnt vmcnt(47) lgkmcnt(0)
	v_mul_f32_e32 v122, v117, v187
	s_waitcnt vmcnt(44)
	v_fmac_f32_e32 v122, v118, v190
	v_add_f32_e32 v125, v121, v122
	ds_read_b128 v[121:124], v96 offset:576
	buffer_load_dword v235, off, s[0:3], 0 offset:364
	buffer_load_dword v236, off, s[0:3], 0 offset:360
	;; [unrolled: 1-line block ×4, first 2 shown]
	v_mul_f32_e32 v98, v98, v167
	v_fma_f32 v97, v97, v176, -v98
	v_mul_f32_e32 v98, v100, v168
	v_add_f32_e32 v97, 0, v97
	v_fma_f32 v98, v99, v177, -v98
	v_add_f32_e32 v97, v97, v98
	v_mul_f32_e32 v98, v102, v169
	v_fma_f32 v98, v101, v178, -v98
	s_waitcnt vmcnt(46)
	v_mul_f32_e32 v126, v119, v192
	v_add_f32_e32 v97, v97, v98
	v_mul_f32_e32 v98, v104, v170
	v_fmac_f32_e32 v126, v120, v191
	v_fma_f32 v98, v103, v179, -v98
	v_add_f32_e32 v129, v125, v126
	ds_read_b128 v[125:128], v96 offset:592
	v_add_f32_e32 v97, v97, v98
	v_mul_f32_e32 v98, v106, v171
	s_waitcnt vmcnt(44) lgkmcnt(1)
	v_mul_f32_e32 v130, v121, v194
	v_fma_f32 v98, v105, v180, -v98
	v_fmac_f32_e32 v130, v122, v193
	v_add_f32_e32 v97, v97, v98
	v_mul_f32_e32 v98, v108, v172
	v_add_f32_e32 v129, v129, v130
	s_waitcnt vmcnt(42)
	v_mul_f32_e32 v130, v123, v196
	v_fma_f32 v98, v107, v181, -v98
	v_fmac_f32_e32 v130, v124, v195
	v_add_f32_e32 v97, v97, v98
	v_mul_f32_e32 v98, v110, v173
	v_add_f32_e32 v129, v129, v130
	s_waitcnt vmcnt(40) lgkmcnt(0)
	v_mul_f32_e32 v130, v125, v198
	v_fma_f32 v98, v109, v182, -v98
	v_fmac_f32_e32 v130, v126, v197
	v_add_f32_e32 v97, v97, v98
	v_mul_f32_e32 v98, v112, v174
	v_add_f32_e32 v133, v129, v130
	ds_read_b128 v[129:132], v96 offset:608
	v_fma_f32 v98, v111, v183, -v98
	v_add_f32_e32 v97, v97, v98
	v_mul_f32_e32 v98, v114, v175
	s_waitcnt vmcnt(38)
	v_mul_f32_e32 v134, v127, v200
	v_fma_f32 v98, v113, v184, -v98
	v_fmac_f32_e32 v134, v128, v199
	v_add_f32_e32 v97, v97, v98
	v_mul_f32_e32 v98, v116, v185
	v_add_f32_e32 v137, v133, v134
	ds_read_b128 v[133:136], v96 offset:624
	v_fma_f32 v98, v115, v186, -v98
	s_waitcnt vmcnt(36) lgkmcnt(1)
	v_mul_f32_e32 v138, v129, v202
	v_add_f32_e32 v97, v97, v98
	v_mul_f32_e32 v98, v118, v187
	v_fmac_f32_e32 v138, v130, v201
	v_fma_f32 v98, v117, v190, -v98
	v_add_f32_e32 v137, v137, v138
	s_waitcnt vmcnt(34)
	v_mul_f32_e32 v138, v131, v204
	v_add_f32_e32 v97, v97, v98
	v_mul_f32_e32 v98, v120, v192
	v_fmac_f32_e32 v138, v132, v203
	v_fma_f32 v98, v119, v191, -v98
	v_add_f32_e32 v137, v137, v138
	s_waitcnt vmcnt(32) lgkmcnt(0)
	v_mul_f32_e32 v138, v133, v206
	v_add_f32_e32 v97, v97, v98
	v_mul_f32_e32 v98, v122, v194
	v_fmac_f32_e32 v138, v134, v205
	v_fma_f32 v98, v121, v193, -v98
	v_add_f32_e32 v141, v137, v138
	ds_read_b128 v[137:140], v96 offset:640
	v_add_f32_e32 v97, v97, v98
	v_mul_f32_e32 v98, v124, v196
	v_fma_f32 v98, v123, v195, -v98
	s_waitcnt vmcnt(30)
	v_mul_f32_e32 v142, v135, v208
	v_add_f32_e32 v97, v97, v98
	v_mul_f32_e32 v98, v126, v198
	v_fmac_f32_e32 v142, v136, v207
	v_fma_f32 v98, v125, v197, -v98
	v_add_f32_e32 v145, v141, v142
	ds_read_b128 v[141:144], v96 offset:656
	v_add_f32_e32 v97, v97, v98
	v_mul_f32_e32 v98, v128, v200
	s_waitcnt vmcnt(28) lgkmcnt(1)
	v_mul_f32_e32 v146, v137, v210
	v_fma_f32 v98, v127, v199, -v98
	v_fmac_f32_e32 v146, v138, v209
	v_add_f32_e32 v97, v97, v98
	v_mul_f32_e32 v98, v130, v202
	v_add_f32_e32 v145, v145, v146
	s_waitcnt vmcnt(26)
	v_mul_f32_e32 v146, v139, v212
	v_fma_f32 v98, v129, v201, -v98
	v_fmac_f32_e32 v146, v140, v211
	v_add_f32_e32 v97, v97, v98
	v_mul_f32_e32 v98, v132, v204
	v_add_f32_e32 v145, v145, v146
	s_waitcnt vmcnt(24) lgkmcnt(0)
	v_mul_f32_e32 v146, v141, v214
	v_fma_f32 v98, v131, v203, -v98
	v_fmac_f32_e32 v146, v142, v213
	v_add_f32_e32 v97, v97, v98
	v_mul_f32_e32 v98, v134, v206
	v_add_f32_e32 v149, v145, v146
	ds_read_b128 v[145:148], v96 offset:672
	v_fma_f32 v98, v133, v205, -v98
	v_add_f32_e32 v97, v97, v98
	v_mul_f32_e32 v98, v136, v208
	s_waitcnt vmcnt(22)
	v_mul_f32_e32 v150, v143, v216
	v_fma_f32 v98, v135, v207, -v98
	v_fmac_f32_e32 v150, v144, v215
	v_add_f32_e32 v97, v97, v98
	v_mul_f32_e32 v98, v138, v210
	v_add_f32_e32 v153, v149, v150
	ds_read_b128 v[149:152], v96 offset:688
	v_fma_f32 v98, v137, v209, -v98
	s_waitcnt vmcnt(20) lgkmcnt(1)
	v_mul_f32_e32 v154, v145, v218
	v_add_f32_e32 v97, v97, v98
	v_mul_f32_e32 v98, v140, v212
	v_fmac_f32_e32 v154, v146, v217
	v_fma_f32 v98, v139, v211, -v98
	v_add_f32_e32 v153, v153, v154
	s_waitcnt vmcnt(18)
	v_mul_f32_e32 v154, v147, v220
	v_add_f32_e32 v97, v97, v98
	v_mul_f32_e32 v98, v142, v214
	v_fmac_f32_e32 v154, v148, v219
	v_fma_f32 v98, v141, v213, -v98
	v_add_f32_e32 v153, v153, v154
	s_waitcnt vmcnt(16) lgkmcnt(0)
	v_mul_f32_e32 v154, v149, v222
	v_add_f32_e32 v97, v97, v98
	v_mul_f32_e32 v98, v144, v216
	v_fmac_f32_e32 v154, v150, v221
	v_fma_f32 v98, v143, v215, -v98
	v_add_f32_e32 v157, v153, v154
	ds_read_b128 v[153:156], v96 offset:704
	v_add_f32_e32 v97, v97, v98
	v_mul_f32_e32 v98, v146, v218
	v_fma_f32 v98, v145, v217, -v98
	s_waitcnt vmcnt(14)
	v_mul_f32_e32 v158, v151, v224
	v_add_f32_e32 v97, v97, v98
	v_mul_f32_e32 v98, v148, v220
	v_fmac_f32_e32 v158, v152, v223
	v_fma_f32 v98, v147, v219, -v98
	v_add_f32_e32 v161, v157, v158
	ds_read_b128 v[157:160], v96 offset:720
	v_add_f32_e32 v97, v97, v98
	v_mul_f32_e32 v98, v150, v222
	s_waitcnt vmcnt(12) lgkmcnt(1)
	v_mul_f32_e32 v162, v153, v226
	v_fma_f32 v98, v149, v221, -v98
	v_fmac_f32_e32 v162, v154, v225
	v_add_f32_e32 v97, v97, v98
	v_mul_f32_e32 v98, v152, v224
	v_add_f32_e32 v161, v161, v162
	s_waitcnt vmcnt(11)
	v_mul_f32_e32 v162, v155, v227
	v_fma_f32 v98, v151, v223, -v98
	s_waitcnt vmcnt(10)
	v_fmac_f32_e32 v162, v156, v228
	v_add_f32_e32 v97, v97, v98
	v_mul_f32_e32 v98, v154, v226
	v_add_f32_e32 v161, v161, v162
	s_waitcnt vmcnt(8) lgkmcnt(0)
	v_mul_f32_e32 v162, v157, v230
	v_fma_f32 v98, v153, v225, -v98
	v_fmac_f32_e32 v162, v158, v229
	v_add_f32_e32 v97, v97, v98
	v_mul_f32_e32 v98, v156, v227
	v_add_f32_e32 v165, v161, v162
	ds_read_b128 v[161:164], v96 offset:736
	v_fma_f32 v98, v155, v228, -v98
	v_add_f32_e32 v97, v97, v98
	v_mul_f32_e32 v98, v158, v230
	s_waitcnt vmcnt(6)
	v_mul_f32_e32 v166, v159, v232
	v_fma_f32 v98, v157, v229, -v98
	v_fmac_f32_e32 v166, v160, v231
	v_add_f32_e32 v97, v97, v98
	v_mul_f32_e32 v98, v160, v232
	v_add_f32_e32 v239, v165, v166
	ds_read_b64 v[165:166], v96 offset:752
	v_fma_f32 v98, v159, v231, -v98
	v_add_f32_e32 v97, v97, v98
	s_waitcnt vmcnt(4) lgkmcnt(1)
	v_mul_f32_e32 v98, v162, v234
	v_mul_f32_e32 v240, v161, v234
	v_fma_f32 v98, v161, v233, -v98
	v_fmac_f32_e32 v240, v162, v233
	v_add_f32_e32 v97, v97, v98
	s_waitcnt vmcnt(3)
	v_mul_f32_e32 v98, v164, v235
	v_add_f32_e32 v239, v239, v240
	v_mul_f32_e32 v240, v163, v235
	s_waitcnt vmcnt(2)
	v_fma_f32 v98, v163, v236, -v98
	v_fmac_f32_e32 v240, v164, v236
	v_add_f32_e32 v97, v97, v98
	s_waitcnt vmcnt(0) lgkmcnt(0)
	v_mul_f32_e32 v98, v166, v238
	v_add_f32_e32 v239, v239, v240
	v_mul_f32_e32 v240, v165, v238
	v_fma_f32 v98, v165, v237, -v98
	v_fmac_f32_e32 v240, v166, v237
	v_add_f32_e32 v97, v97, v98
	v_add_f32_e32 v239, v239, v240
	v_sub_f32_e32 v97, v188, v97
	v_sub_f32_e32 v98, v189, v239
	buffer_store_dword v97, off, s[0:3], 0 offset:88
	buffer_store_dword v98, off, s[0:3], 0 offset:92
	s_and_saveexec_b64 s[4:5], vcc
	s_cbranch_execz .LBB46_275
; %bb.274:
	buffer_load_dword v97, off, s[0:3], 0 offset:80
	buffer_load_dword v98, off, s[0:3], 0 offset:84
	s_waitcnt vmcnt(0)
	ds_write_b64 v95, v[97:98]
	buffer_store_dword v96, off, s[0:3], 0 offset:80
	buffer_store_dword v96, off, s[0:3], 0 offset:84
.LBB46_275:
	s_or_b64 exec, exec, s[4:5]
	s_waitcnt lgkmcnt(0)
	; wave barrier
	buffer_load_dword v169, off, s[0:3], 0 offset:92
	buffer_load_dword v170, off, s[0:3], 0 offset:100
	;; [unrolled: 1-line block ×26, first 2 shown]
	ds_read2_b64 v[97:100], v96 offset0:59 offset1:60
	ds_read2_b64 v[101:104], v96 offset0:61 offset1:62
	ds_read2_b64 v[105:108], v96 offset0:63 offset1:64
	ds_read2_b64 v[109:112], v96 offset0:65 offset1:66
	ds_read2_b64 v[113:116], v96 offset0:67 offset1:68
	ds_read2_b64 v[117:120], v96 offset0:69 offset1:70
	buffer_load_dword v195, off, s[0:3], 0 offset:184
	buffer_load_dword v196, off, s[0:3], 0 offset:188
	;; [unrolled: 1-line block ×42, first 2 shown]
	v_cmp_lt_u32_e32 vcc, 9, v0
	s_waitcnt vmcnt(62) lgkmcnt(5)
	v_mul_f32_e32 v121, v97, v169
	v_mul_f32_e32 v122, v99, v170
	s_waitcnt lgkmcnt(4)
	v_mul_f32_e32 v123, v101, v171
	v_mul_f32_e32 v124, v103, v172
	s_waitcnt lgkmcnt(3)
	v_mul_f32_e32 v125, v105, v173
	v_mul_f32_e32 v126, v107, v174
	s_waitcnt vmcnt(61) lgkmcnt(2)
	v_mul_f32_e32 v127, v109, v175
	s_waitcnt vmcnt(60)
	v_mul_f32_e32 v128, v111, v176
	s_waitcnt vmcnt(59) lgkmcnt(1)
	v_mul_f32_e32 v129, v113, v177
	s_waitcnt vmcnt(58)
	v_fmac_f32_e32 v121, v98, v178
	s_waitcnt vmcnt(57)
	v_fmac_f32_e32 v122, v100, v179
	v_add_f32_e32 v121, 0, v121
	s_waitcnt vmcnt(56)
	v_fmac_f32_e32 v123, v102, v180
	v_add_f32_e32 v121, v121, v122
	;; [unrolled: 3-line block ×8, first 2 shown]
	s_waitcnt vmcnt(49)
	v_mul_f32_e32 v122, v115, v187
	v_add_f32_e32 v121, v121, v129
	s_waitcnt vmcnt(48)
	v_fmac_f32_e32 v122, v116, v188
	v_add_f32_e32 v121, v121, v122
	s_waitcnt vmcnt(47) lgkmcnt(0)
	v_mul_f32_e32 v122, v117, v189
	s_waitcnt vmcnt(46)
	v_fmac_f32_e32 v122, v118, v190
	v_add_f32_e32 v121, v121, v122
	s_waitcnt vmcnt(42)
	v_mul_f32_e32 v122, v119, v194
	v_fmac_f32_e32 v122, v120, v193
	v_add_f32_e32 v129, v121, v122
	ds_read2_b64 v[121:124], v96 offset0:71 offset1:72
	buffer_load_dword v237, off, s[0:3], 0 offset:356
	buffer_load_dword v238, off, s[0:3], 0 offset:352
	;; [unrolled: 1-line block ×4, first 2 shown]
	ds_read2_b64 v[125:128], v96 offset0:73 offset1:74
	buffer_load_dword v241, off, s[0:3], 0 offset:368
	buffer_load_dword v242, off, s[0:3], 0 offset:372
	v_mul_f32_e32 v98, v98, v169
	v_fma_f32 v97, v97, v178, -v98
	v_mul_f32_e32 v98, v100, v170
	v_add_f32_e32 v97, 0, v97
	v_fma_f32 v98, v99, v179, -v98
	v_add_f32_e32 v97, v97, v98
	v_mul_f32_e32 v98, v102, v171
	v_fma_f32 v98, v101, v180, -v98
	v_add_f32_e32 v97, v97, v98
	v_mul_f32_e32 v98, v104, v172
	;; [unrolled: 3-line block ×3, first 2 shown]
	s_waitcnt vmcnt(46) lgkmcnt(1)
	v_mul_f32_e32 v130, v121, v196
	v_fma_f32 v98, v105, v182, -v98
	v_fmac_f32_e32 v130, v122, v195
	v_add_f32_e32 v97, v97, v98
	v_mul_f32_e32 v98, v108, v174
	v_add_f32_e32 v129, v129, v130
	s_waitcnt vmcnt(44)
	v_mul_f32_e32 v130, v123, v198
	v_fma_f32 v98, v107, v183, -v98
	v_fmac_f32_e32 v130, v124, v197
	v_add_f32_e32 v97, v97, v98
	v_mul_f32_e32 v98, v110, v175
	v_add_f32_e32 v129, v129, v130
	s_waitcnt vmcnt(42) lgkmcnt(0)
	v_mul_f32_e32 v130, v125, v200
	v_fma_f32 v98, v109, v184, -v98
	v_fmac_f32_e32 v130, v126, v199
	v_add_f32_e32 v97, v97, v98
	v_mul_f32_e32 v98, v112, v176
	v_add_f32_e32 v133, v129, v130
	ds_read2_b64 v[129:132], v96 offset0:75 offset1:76
	v_fma_f32 v98, v111, v185, -v98
	v_add_f32_e32 v97, v97, v98
	v_mul_f32_e32 v98, v114, v177
	s_waitcnt vmcnt(40)
	v_mul_f32_e32 v134, v127, v202
	v_fma_f32 v98, v113, v186, -v98
	v_fmac_f32_e32 v134, v128, v201
	v_add_f32_e32 v97, v97, v98
	v_mul_f32_e32 v98, v116, v187
	v_add_f32_e32 v137, v133, v134
	ds_read2_b64 v[133:136], v96 offset0:77 offset1:78
	v_fma_f32 v98, v115, v188, -v98
	s_waitcnt vmcnt(38) lgkmcnt(1)
	v_mul_f32_e32 v138, v129, v204
	v_add_f32_e32 v97, v97, v98
	v_mul_f32_e32 v98, v118, v189
	v_fmac_f32_e32 v138, v130, v203
	v_fma_f32 v98, v117, v190, -v98
	v_add_f32_e32 v137, v137, v138
	s_waitcnt vmcnt(36)
	v_mul_f32_e32 v138, v131, v206
	v_add_f32_e32 v97, v97, v98
	v_mul_f32_e32 v98, v120, v194
	v_fmac_f32_e32 v138, v132, v205
	v_fma_f32 v98, v119, v193, -v98
	v_add_f32_e32 v137, v137, v138
	s_waitcnt vmcnt(34) lgkmcnt(0)
	v_mul_f32_e32 v138, v133, v208
	v_add_f32_e32 v97, v97, v98
	v_mul_f32_e32 v98, v122, v196
	v_fmac_f32_e32 v138, v134, v207
	v_fma_f32 v98, v121, v195, -v98
	v_add_f32_e32 v141, v137, v138
	ds_read2_b64 v[137:140], v96 offset0:79 offset1:80
	v_add_f32_e32 v97, v97, v98
	v_mul_f32_e32 v98, v124, v198
	v_fma_f32 v98, v123, v197, -v98
	s_waitcnt vmcnt(32)
	v_mul_f32_e32 v142, v135, v210
	v_add_f32_e32 v97, v97, v98
	v_mul_f32_e32 v98, v126, v200
	v_fmac_f32_e32 v142, v136, v209
	v_fma_f32 v98, v125, v199, -v98
	v_add_f32_e32 v145, v141, v142
	ds_read2_b64 v[141:144], v96 offset0:81 offset1:82
	v_add_f32_e32 v97, v97, v98
	v_mul_f32_e32 v98, v128, v202
	s_waitcnt vmcnt(30) lgkmcnt(1)
	v_mul_f32_e32 v146, v137, v212
	v_fma_f32 v98, v127, v201, -v98
	v_fmac_f32_e32 v146, v138, v211
	v_add_f32_e32 v97, v97, v98
	v_mul_f32_e32 v98, v130, v204
	v_add_f32_e32 v145, v145, v146
	s_waitcnt vmcnt(28)
	v_mul_f32_e32 v146, v139, v214
	v_fma_f32 v98, v129, v203, -v98
	v_fmac_f32_e32 v146, v140, v213
	v_add_f32_e32 v97, v97, v98
	v_mul_f32_e32 v98, v132, v206
	v_add_f32_e32 v145, v145, v146
	s_waitcnt vmcnt(26) lgkmcnt(0)
	v_mul_f32_e32 v146, v141, v216
	v_fma_f32 v98, v131, v205, -v98
	v_fmac_f32_e32 v146, v142, v215
	v_add_f32_e32 v97, v97, v98
	v_mul_f32_e32 v98, v134, v208
	v_add_f32_e32 v149, v145, v146
	ds_read2_b64 v[145:148], v96 offset0:83 offset1:84
	v_fma_f32 v98, v133, v207, -v98
	v_add_f32_e32 v97, v97, v98
	v_mul_f32_e32 v98, v136, v210
	s_waitcnt vmcnt(24)
	v_mul_f32_e32 v150, v143, v218
	v_fma_f32 v98, v135, v209, -v98
	v_fmac_f32_e32 v150, v144, v217
	v_add_f32_e32 v97, v97, v98
	v_mul_f32_e32 v98, v138, v212
	v_add_f32_e32 v153, v149, v150
	ds_read2_b64 v[149:152], v96 offset0:85 offset1:86
	v_fma_f32 v98, v137, v211, -v98
	s_waitcnt vmcnt(22) lgkmcnt(1)
	v_mul_f32_e32 v154, v145, v220
	v_add_f32_e32 v97, v97, v98
	v_mul_f32_e32 v98, v140, v214
	v_fmac_f32_e32 v154, v146, v219
	v_fma_f32 v98, v139, v213, -v98
	v_add_f32_e32 v153, v153, v154
	s_waitcnt vmcnt(20)
	v_mul_f32_e32 v154, v147, v222
	v_add_f32_e32 v97, v97, v98
	v_mul_f32_e32 v98, v142, v216
	v_fmac_f32_e32 v154, v148, v221
	v_fma_f32 v98, v141, v215, -v98
	v_add_f32_e32 v153, v153, v154
	s_waitcnt vmcnt(18) lgkmcnt(0)
	v_mul_f32_e32 v154, v149, v224
	v_add_f32_e32 v97, v97, v98
	v_mul_f32_e32 v98, v144, v218
	v_fmac_f32_e32 v154, v150, v223
	v_fma_f32 v98, v143, v217, -v98
	v_add_f32_e32 v157, v153, v154
	ds_read2_b64 v[153:156], v96 offset0:87 offset1:88
	v_add_f32_e32 v97, v97, v98
	v_mul_f32_e32 v98, v146, v220
	v_fma_f32 v98, v145, v219, -v98
	s_waitcnt vmcnt(16)
	v_mul_f32_e32 v158, v151, v226
	v_add_f32_e32 v97, v97, v98
	v_mul_f32_e32 v98, v148, v222
	v_fmac_f32_e32 v158, v152, v225
	v_fma_f32 v98, v147, v221, -v98
	v_add_f32_e32 v161, v157, v158
	ds_read2_b64 v[157:160], v96 offset0:89 offset1:90
	v_add_f32_e32 v97, v97, v98
	v_mul_f32_e32 v98, v150, v224
	s_waitcnt vmcnt(14) lgkmcnt(1)
	v_mul_f32_e32 v162, v153, v228
	v_fma_f32 v98, v149, v223, -v98
	v_fmac_f32_e32 v162, v154, v227
	v_add_f32_e32 v97, v97, v98
	v_mul_f32_e32 v98, v152, v226
	v_add_f32_e32 v161, v161, v162
	s_waitcnt vmcnt(13)
	v_mul_f32_e32 v162, v155, v229
	v_fma_f32 v98, v151, v225, -v98
	s_waitcnt vmcnt(12)
	v_fmac_f32_e32 v162, v156, v230
	v_add_f32_e32 v97, v97, v98
	v_mul_f32_e32 v98, v154, v228
	v_add_f32_e32 v161, v161, v162
	s_waitcnt vmcnt(10) lgkmcnt(0)
	v_mul_f32_e32 v162, v157, v232
	v_fma_f32 v98, v153, v227, -v98
	v_fmac_f32_e32 v162, v158, v231
	v_add_f32_e32 v97, v97, v98
	v_mul_f32_e32 v98, v156, v229
	v_add_f32_e32 v165, v161, v162
	ds_read2_b64 v[161:164], v96 offset0:91 offset1:92
	v_fma_f32 v98, v155, v230, -v98
	v_add_f32_e32 v97, v97, v98
	v_mul_f32_e32 v98, v158, v232
	s_waitcnt vmcnt(8)
	v_mul_f32_e32 v166, v159, v234
	v_fma_f32 v98, v157, v231, -v98
	v_fmac_f32_e32 v166, v160, v233
	v_add_f32_e32 v97, v97, v98
	v_mul_f32_e32 v98, v160, v234
	v_add_f32_e32 v243, v165, v166
	ds_read2_b64 v[165:168], v96 offset0:93 offset1:94
	v_fma_f32 v98, v159, v233, -v98
	v_add_f32_e32 v97, v97, v98
	s_waitcnt vmcnt(6) lgkmcnt(1)
	v_mul_f32_e32 v98, v162, v236
	v_mul_f32_e32 v96, v161, v236
	v_fma_f32 v98, v161, v235, -v98
	v_fmac_f32_e32 v96, v162, v235
	v_add_f32_e32 v97, v97, v98
	s_waitcnt vmcnt(5)
	v_mul_f32_e32 v98, v164, v237
	v_add_f32_e32 v96, v243, v96
	v_mul_f32_e32 v243, v163, v237
	s_waitcnt vmcnt(4)
	v_fma_f32 v98, v163, v238, -v98
	v_fmac_f32_e32 v243, v164, v238
	v_add_f32_e32 v97, v97, v98
	s_waitcnt vmcnt(2) lgkmcnt(0)
	v_mul_f32_e32 v98, v166, v240
	v_add_f32_e32 v96, v96, v243
	v_mul_f32_e32 v243, v165, v240
	v_fma_f32 v98, v165, v239, -v98
	v_fmac_f32_e32 v243, v166, v239
	v_add_f32_e32 v97, v97, v98
	s_waitcnt vmcnt(0)
	v_mul_f32_e32 v98, v168, v242
	v_add_f32_e32 v96, v96, v243
	v_mul_f32_e32 v243, v167, v242
	v_fma_f32 v98, v167, v241, -v98
	v_fmac_f32_e32 v243, v168, v241
	v_add_f32_e32 v97, v97, v98
	v_add_f32_e32 v96, v96, v243
	v_sub_f32_e32 v97, v191, v97
	v_sub_f32_e32 v96, v192, v96
	buffer_store_dword v97, off, s[0:3], 0 offset:80
	buffer_store_dword v96, off, s[0:3], 0 offset:84
	s_and_saveexec_b64 s[4:5], vcc
	s_cbranch_execz .LBB46_277
; %bb.276:
	buffer_load_dword v96, off, s[0:3], 0 offset:72
	buffer_load_dword v97, off, s[0:3], 0 offset:76
	v_mov_b32_e32 v98, 0
	buffer_store_dword v98, off, s[0:3], 0 offset:72
	buffer_store_dword v98, off, s[0:3], 0 offset:76
	s_waitcnt vmcnt(2)
	ds_write_b64 v95, v[96:97]
.LBB46_277:
	s_or_b64 exec, exec, s[4:5]
	s_waitcnt lgkmcnt(0)
	; wave barrier
	buffer_load_dword v171, off, s[0:3], 0 offset:84
	buffer_load_dword v172, off, s[0:3], 0 offset:92
	;; [unrolled: 1-line block ×52, first 2 shown]
	v_mov_b32_e32 v96, 0
	ds_read_b128 v[97:100], v96 offset:464
	ds_read_b128 v[101:104], v96 offset:480
	;; [unrolled: 1-line block ×6, first 2 shown]
	buffer_load_dword v223, off, s[0:3], 0 offset:284
	buffer_load_dword v224, off, s[0:3], 0 offset:280
	;; [unrolled: 1-line block ×14, first 2 shown]
	v_cmp_lt_u32_e32 vcc, 8, v0
	s_waitcnt vmcnt(62) lgkmcnt(5)
	v_mul_f32_e32 v121, v97, v171
	v_mul_f32_e32 v122, v99, v172
	s_waitcnt lgkmcnt(4)
	v_mul_f32_e32 v123, v101, v173
	v_mul_f32_e32 v124, v103, v174
	s_waitcnt vmcnt(61) lgkmcnt(3)
	v_mul_f32_e32 v125, v105, v175
	s_waitcnt vmcnt(60)
	v_mul_f32_e32 v126, v107, v176
	s_waitcnt vmcnt(59) lgkmcnt(2)
	v_mul_f32_e32 v127, v109, v177
	s_waitcnt vmcnt(58)
	;; [unrolled: 4-line block ×3, first 2 shown]
	v_fmac_f32_e32 v121, v98, v180
	s_waitcnt vmcnt(55)
	v_fmac_f32_e32 v122, v100, v181
	v_add_f32_e32 v121, 0, v121
	s_waitcnt vmcnt(54)
	v_fmac_f32_e32 v123, v102, v182
	v_add_f32_e32 v121, v121, v122
	;; [unrolled: 3-line block ×8, first 2 shown]
	s_waitcnt vmcnt(47)
	v_mul_f32_e32 v122, v115, v189
	v_add_f32_e32 v121, v121, v129
	s_waitcnt vmcnt(46)
	v_fmac_f32_e32 v122, v116, v190
	v_add_f32_e32 v121, v121, v122
	s_waitcnt vmcnt(45) lgkmcnt(0)
	v_mul_f32_e32 v122, v117, v191
	s_waitcnt vmcnt(44)
	v_fmac_f32_e32 v122, v118, v192
	v_add_f32_e32 v125, v121, v122
	ds_read_b128 v[121:124], v96 offset:560
	buffer_load_dword v237, off, s[0:3], 0 offset:336
	buffer_load_dword v238, off, s[0:3], 0 offset:340
	s_waitcnt vmcnt(43)
	v_mul_f32_e32 v126, v119, v195
	s_waitcnt vmcnt(42)
	v_fmac_f32_e32 v126, v120, v196
	v_add_f32_e32 v129, v125, v126
	ds_read_b128 v[125:128], v96 offset:576
	buffer_load_dword v239, off, s[0:3], 0 offset:348
	buffer_load_dword v240, off, s[0:3], 0 offset:344
	;; [unrolled: 1-line block ×8, first 2 shown]
	v_mul_f32_e32 v98, v98, v171
	v_fma_f32 v97, v97, v180, -v98
	v_mul_f32_e32 v98, v100, v172
	v_add_f32_e32 v97, 0, v97
	v_fma_f32 v98, v99, v181, -v98
	v_add_f32_e32 v97, v97, v98
	v_mul_f32_e32 v98, v102, v173
	v_fma_f32 v98, v101, v182, -v98
	v_add_f32_e32 v97, v97, v98
	v_mul_f32_e32 v98, v104, v174
	v_fma_f32 v98, v103, v183, -v98
	s_waitcnt vmcnt(48) lgkmcnt(1)
	v_mul_f32_e32 v130, v121, v198
	v_add_f32_e32 v97, v97, v98
	v_mul_f32_e32 v98, v106, v175
	v_fmac_f32_e32 v130, v122, v197
	v_fma_f32 v98, v105, v184, -v98
	v_add_f32_e32 v129, v129, v130
	s_waitcnt vmcnt(46)
	v_mul_f32_e32 v130, v123, v200
	v_add_f32_e32 v97, v97, v98
	v_mul_f32_e32 v98, v108, v176
	v_fmac_f32_e32 v130, v124, v199
	v_fma_f32 v98, v107, v185, -v98
	v_add_f32_e32 v129, v129, v130
	s_waitcnt vmcnt(44) lgkmcnt(0)
	v_mul_f32_e32 v130, v125, v202
	v_add_f32_e32 v97, v97, v98
	v_mul_f32_e32 v98, v110, v177
	v_fmac_f32_e32 v130, v126, v201
	v_fma_f32 v98, v109, v186, -v98
	v_add_f32_e32 v133, v129, v130
	ds_read_b128 v[129:132], v96 offset:592
	v_add_f32_e32 v97, v97, v98
	v_mul_f32_e32 v98, v112, v178
	v_fma_f32 v98, v111, v187, -v98
	s_waitcnt vmcnt(42)
	v_mul_f32_e32 v134, v127, v204
	v_add_f32_e32 v97, v97, v98
	v_mul_f32_e32 v98, v114, v179
	v_fmac_f32_e32 v134, v128, v203
	v_fma_f32 v98, v113, v188, -v98
	v_add_f32_e32 v137, v133, v134
	ds_read_b128 v[133:136], v96 offset:608
	v_add_f32_e32 v97, v97, v98
	v_mul_f32_e32 v98, v116, v189
	s_waitcnt vmcnt(40) lgkmcnt(1)
	v_mul_f32_e32 v138, v129, v206
	v_fma_f32 v98, v115, v190, -v98
	v_fmac_f32_e32 v138, v130, v205
	v_add_f32_e32 v97, v97, v98
	v_mul_f32_e32 v98, v118, v191
	v_add_f32_e32 v137, v137, v138
	s_waitcnt vmcnt(38)
	v_mul_f32_e32 v138, v131, v208
	v_fma_f32 v98, v117, v192, -v98
	v_fmac_f32_e32 v138, v132, v207
	v_add_f32_e32 v97, v97, v98
	v_mul_f32_e32 v98, v120, v195
	v_add_f32_e32 v137, v137, v138
	s_waitcnt vmcnt(36) lgkmcnt(0)
	v_mul_f32_e32 v138, v133, v210
	v_fma_f32 v98, v119, v196, -v98
	v_fmac_f32_e32 v138, v134, v209
	v_add_f32_e32 v97, v97, v98
	v_mul_f32_e32 v98, v122, v198
	v_add_f32_e32 v141, v137, v138
	ds_read_b128 v[137:140], v96 offset:624
	v_fma_f32 v98, v121, v197, -v98
	v_add_f32_e32 v97, v97, v98
	v_mul_f32_e32 v98, v124, v200
	s_waitcnt vmcnt(34)
	v_mul_f32_e32 v142, v135, v212
	v_fma_f32 v98, v123, v199, -v98
	v_fmac_f32_e32 v142, v136, v211
	v_add_f32_e32 v97, v97, v98
	v_mul_f32_e32 v98, v126, v202
	v_add_f32_e32 v145, v141, v142
	ds_read_b128 v[141:144], v96 offset:640
	v_fma_f32 v98, v125, v201, -v98
	s_waitcnt vmcnt(32) lgkmcnt(1)
	v_mul_f32_e32 v146, v137, v214
	v_add_f32_e32 v97, v97, v98
	v_mul_f32_e32 v98, v128, v204
	v_fmac_f32_e32 v146, v138, v213
	v_fma_f32 v98, v127, v203, -v98
	v_add_f32_e32 v145, v145, v146
	s_waitcnt vmcnt(30)
	v_mul_f32_e32 v146, v139, v216
	v_add_f32_e32 v97, v97, v98
	v_mul_f32_e32 v98, v130, v206
	v_fmac_f32_e32 v146, v140, v215
	v_fma_f32 v98, v129, v205, -v98
	v_add_f32_e32 v145, v145, v146
	s_waitcnt vmcnt(28) lgkmcnt(0)
	v_mul_f32_e32 v146, v141, v218
	v_add_f32_e32 v97, v97, v98
	v_mul_f32_e32 v98, v132, v208
	v_fmac_f32_e32 v146, v142, v217
	v_fma_f32 v98, v131, v207, -v98
	v_add_f32_e32 v149, v145, v146
	ds_read_b128 v[145:148], v96 offset:656
	v_add_f32_e32 v97, v97, v98
	v_mul_f32_e32 v98, v134, v210
	v_fma_f32 v98, v133, v209, -v98
	s_waitcnt vmcnt(26)
	v_mul_f32_e32 v150, v143, v220
	v_add_f32_e32 v97, v97, v98
	v_mul_f32_e32 v98, v136, v212
	v_fmac_f32_e32 v150, v144, v219
	v_fma_f32 v98, v135, v211, -v98
	v_add_f32_e32 v153, v149, v150
	ds_read_b128 v[149:152], v96 offset:672
	v_add_f32_e32 v97, v97, v98
	v_mul_f32_e32 v98, v138, v214
	s_waitcnt vmcnt(24) lgkmcnt(1)
	v_mul_f32_e32 v154, v145, v222
	v_fma_f32 v98, v137, v213, -v98
	v_fmac_f32_e32 v154, v146, v221
	v_add_f32_e32 v97, v97, v98
	v_mul_f32_e32 v98, v140, v216
	v_add_f32_e32 v153, v153, v154
	s_waitcnt vmcnt(23)
	v_mul_f32_e32 v154, v147, v223
	v_fma_f32 v98, v139, v215, -v98
	s_waitcnt vmcnt(22)
	v_fmac_f32_e32 v154, v148, v224
	v_add_f32_e32 v97, v97, v98
	v_mul_f32_e32 v98, v142, v218
	v_add_f32_e32 v153, v153, v154
	s_waitcnt vmcnt(20) lgkmcnt(0)
	v_mul_f32_e32 v154, v149, v226
	v_fma_f32 v98, v141, v217, -v98
	v_fmac_f32_e32 v154, v150, v225
	v_add_f32_e32 v97, v97, v98
	v_mul_f32_e32 v98, v144, v220
	v_add_f32_e32 v157, v153, v154
	ds_read_b128 v[153:156], v96 offset:688
	v_fma_f32 v98, v143, v219, -v98
	v_add_f32_e32 v97, v97, v98
	v_mul_f32_e32 v98, v146, v222
	s_waitcnt vmcnt(18)
	v_mul_f32_e32 v158, v151, v228
	v_fma_f32 v98, v145, v221, -v98
	v_fmac_f32_e32 v158, v152, v227
	v_add_f32_e32 v97, v97, v98
	v_mul_f32_e32 v98, v148, v223
	v_add_f32_e32 v161, v157, v158
	ds_read_b128 v[157:160], v96 offset:704
	v_fma_f32 v98, v147, v224, -v98
	s_waitcnt vmcnt(16) lgkmcnt(1)
	v_mul_f32_e32 v162, v153, v230
	v_add_f32_e32 v97, v97, v98
	v_mul_f32_e32 v98, v150, v226
	v_fmac_f32_e32 v162, v154, v229
	v_fma_f32 v98, v149, v225, -v98
	v_add_f32_e32 v161, v161, v162
	s_waitcnt vmcnt(15)
	v_mul_f32_e32 v162, v155, v231
	v_add_f32_e32 v97, v97, v98
	v_mul_f32_e32 v98, v152, v228
	s_waitcnt vmcnt(14)
	v_fmac_f32_e32 v162, v156, v232
	v_fma_f32 v98, v151, v227, -v98
	v_add_f32_e32 v161, v161, v162
	s_waitcnt vmcnt(12) lgkmcnt(0)
	v_mul_f32_e32 v162, v157, v234
	v_add_f32_e32 v97, v97, v98
	v_mul_f32_e32 v98, v154, v230
	v_fmac_f32_e32 v162, v158, v233
	v_fma_f32 v98, v153, v229, -v98
	v_add_f32_e32 v165, v161, v162
	ds_read_b128 v[161:164], v96 offset:720
	v_add_f32_e32 v97, v97, v98
	v_mul_f32_e32 v98, v156, v231
	v_fma_f32 v98, v155, v232, -v98
	v_add_f32_e32 v97, v97, v98
	v_mul_f32_e32 v98, v158, v234
	s_waitcnt vmcnt(10)
	v_mul_f32_e32 v166, v159, v236
	v_fma_f32 v98, v157, v233, -v98
	v_fmac_f32_e32 v166, v160, v235
	v_add_f32_e32 v97, v97, v98
	v_mul_f32_e32 v98, v160, v236
	v_add_f32_e32 v169, v165, v166
	ds_read_b128 v[165:168], v96 offset:736
	s_waitcnt vmcnt(8) lgkmcnt(1)
	v_mul_f32_e32 v170, v161, v238
	v_fma_f32 v98, v159, v235, -v98
	v_fmac_f32_e32 v170, v162, v237
	v_add_f32_e32 v97, v97, v98
	v_mul_f32_e32 v98, v162, v238
	v_add_f32_e32 v169, v169, v170
	s_waitcnt vmcnt(7)
	v_mul_f32_e32 v170, v163, v239
	v_fma_f32 v98, v161, v237, -v98
	s_waitcnt vmcnt(6)
	v_fmac_f32_e32 v170, v164, v240
	v_add_f32_e32 v97, v97, v98
	v_mul_f32_e32 v98, v164, v239
	v_add_f32_e32 v247, v169, v170
	ds_read_b64 v[169:170], v96 offset:752
	v_fma_f32 v98, v163, v240, -v98
	v_add_f32_e32 v97, v97, v98
	s_waitcnt vmcnt(4) lgkmcnt(1)
	v_mul_f32_e32 v98, v166, v242
	v_mul_f32_e32 v248, v165, v242
	v_fma_f32 v98, v165, v241, -v98
	v_fmac_f32_e32 v248, v166, v241
	v_add_f32_e32 v97, v97, v98
	s_waitcnt vmcnt(3)
	v_mul_f32_e32 v98, v168, v243
	v_add_f32_e32 v247, v247, v248
	v_mul_f32_e32 v248, v167, v243
	s_waitcnt vmcnt(2)
	v_fma_f32 v98, v167, v244, -v98
	v_fmac_f32_e32 v248, v168, v244
	v_add_f32_e32 v97, v97, v98
	s_waitcnt vmcnt(0) lgkmcnt(0)
	v_mul_f32_e32 v98, v170, v246
	v_add_f32_e32 v247, v247, v248
	v_mul_f32_e32 v248, v169, v246
	v_fma_f32 v98, v169, v245, -v98
	v_fmac_f32_e32 v248, v170, v245
	v_add_f32_e32 v97, v97, v98
	v_add_f32_e32 v247, v247, v248
	v_sub_f32_e32 v97, v193, v97
	v_sub_f32_e32 v98, v194, v247
	buffer_store_dword v97, off, s[0:3], 0 offset:72
	buffer_store_dword v98, off, s[0:3], 0 offset:76
	s_and_saveexec_b64 s[4:5], vcc
	s_cbranch_execz .LBB46_279
; %bb.278:
	buffer_load_dword v97, off, s[0:3], 0 offset:64
	buffer_load_dword v98, off, s[0:3], 0 offset:68
	s_waitcnt vmcnt(0)
	ds_write_b64 v95, v[97:98]
	buffer_store_dword v96, off, s[0:3], 0 offset:64
	buffer_store_dword v96, off, s[0:3], 0 offset:68
.LBB46_279:
	s_or_b64 exec, exec, s[4:5]
	s_waitcnt lgkmcnt(0)
	; wave barrier
	buffer_load_dword v173, off, s[0:3], 0 offset:76
	buffer_load_dword v174, off, s[0:3], 0 offset:84
	;; [unrolled: 1-line block ×26, first 2 shown]
	ds_read2_b64 v[97:100], v96 offset0:57 offset1:58
	ds_read2_b64 v[101:104], v96 offset0:59 offset1:60
	;; [unrolled: 1-line block ×4, first 2 shown]
	buffer_load_dword v199, off, s[0:3], 0 offset:172
	ds_read2_b64 v[113:116], v96 offset0:65 offset1:66
	ds_read2_b64 v[117:120], v96 offset0:67 offset1:68
	buffer_load_dword v200, off, s[0:3], 0 offset:168
	buffer_load_dword v201, off, s[0:3], 0 offset:176
	buffer_load_dword v202, off, s[0:3], 0 offset:180
	buffer_load_dword v203, off, s[0:3], 0 offset:184
	buffer_load_dword v204, off, s[0:3], 0 offset:188
	buffer_load_dword v205, off, s[0:3], 0 offset:192
	buffer_load_dword v206, off, s[0:3], 0 offset:196
	buffer_load_dword v207, off, s[0:3], 0 offset:200
	buffer_load_dword v208, off, s[0:3], 0 offset:204
	buffer_load_dword v209, off, s[0:3], 0 offset:208
	buffer_load_dword v210, off, s[0:3], 0 offset:212
	buffer_load_dword v211, off, s[0:3], 0 offset:216
	buffer_load_dword v212, off, s[0:3], 0 offset:220
	buffer_load_dword v213, off, s[0:3], 0 offset:224
	buffer_load_dword v214, off, s[0:3], 0 offset:228
	buffer_load_dword v215, off, s[0:3], 0 offset:232
	buffer_load_dword v216, off, s[0:3], 0 offset:236
	buffer_load_dword v217, off, s[0:3], 0 offset:240
	buffer_load_dword v218, off, s[0:3], 0 offset:244
	buffer_load_dword v219, off, s[0:3], 0 offset:248
	buffer_load_dword v220, off, s[0:3], 0 offset:252
	buffer_load_dword v221, off, s[0:3], 0 offset:256
	buffer_load_dword v222, off, s[0:3], 0 offset:260
	buffer_load_dword v223, off, s[0:3], 0 offset:264
	buffer_load_dword v224, off, s[0:3], 0 offset:268
	buffer_load_dword v225, off, s[0:3], 0 offset:276
	buffer_load_dword v226, off, s[0:3], 0 offset:272
	buffer_load_dword v227, off, s[0:3], 0 offset:280
	buffer_load_dword v228, off, s[0:3], 0 offset:284
	buffer_load_dword v229, off, s[0:3], 0 offset:288
	buffer_load_dword v230, off, s[0:3], 0 offset:292
	buffer_load_dword v231, off, s[0:3], 0 offset:296
	buffer_load_dword v232, off, s[0:3], 0 offset:300
	buffer_load_dword v233, off, s[0:3], 0 offset:308
	buffer_load_dword v234, off, s[0:3], 0 offset:304
	buffer_load_dword v235, off, s[0:3], 0 offset:312
	buffer_load_dword v236, off, s[0:3], 0 offset:316
	v_cmp_lt_u32_e32 vcc, 7, v0
	s_waitcnt vmcnt(62) lgkmcnt(5)
	v_mul_f32_e32 v121, v97, v173
	v_mul_f32_e32 v122, v99, v174
	s_waitcnt vmcnt(61) lgkmcnt(4)
	v_mul_f32_e32 v123, v101, v175
	s_waitcnt vmcnt(60)
	v_mul_f32_e32 v124, v103, v176
	s_waitcnt vmcnt(59) lgkmcnt(3)
	v_mul_f32_e32 v125, v105, v177
	s_waitcnt vmcnt(58)
	;; [unrolled: 4-line block ×4, first 2 shown]
	v_mul_f32_e32 v130, v115, v182
	s_waitcnt vmcnt(53)
	v_fmac_f32_e32 v121, v98, v183
	s_waitcnt vmcnt(52)
	v_fmac_f32_e32 v122, v100, v184
	v_add_f32_e32 v121, 0, v121
	s_waitcnt vmcnt(51)
	v_fmac_f32_e32 v123, v102, v185
	v_add_f32_e32 v121, v121, v122
	;; [unrolled: 3-line block ×9, first 2 shown]
	s_waitcnt vmcnt(43) lgkmcnt(0)
	v_mul_f32_e32 v122, v117, v193
	v_add_f32_e32 v121, v121, v130
	s_waitcnt vmcnt(42)
	v_fmac_f32_e32 v122, v118, v194
	v_add_f32_e32 v125, v121, v122
	s_waitcnt vmcnt(41)
	v_mul_f32_e32 v126, v119, v195
	ds_read2_b64 v[121:124], v96 offset0:69 offset1:70
	buffer_load_dword v237, off, s[0:3], 0 offset:320
	buffer_load_dword v238, off, s[0:3], 0 offset:324
	s_waitcnt vmcnt(42)
	v_fmac_f32_e32 v126, v120, v196
	v_add_f32_e32 v129, v125, v126
	ds_read2_b64 v[125:128], v96 offset0:71 offset1:72
	buffer_load_dword v239, off, s[0:3], 0 offset:328
	buffer_load_dword v240, off, s[0:3], 0 offset:332
	buffer_load_dword v241, off, s[0:3], 0 offset:340
	buffer_load_dword v242, off, s[0:3], 0 offset:336
	buffer_load_dword v243, off, s[0:3], 0 offset:344
	buffer_load_dword v244, off, s[0:3], 0 offset:348
	buffer_load_dword v245, off, s[0:3], 0 offset:352
	buffer_load_dword v246, off, s[0:3], 0 offset:356
	buffer_load_dword v247, off, s[0:3], 0 offset:364
	buffer_load_dword v248, off, s[0:3], 0 offset:360
	buffer_load_dword v249, off, s[0:3], 0 offset:368
	buffer_load_dword v250, off, s[0:3], 0 offset:372
	v_mul_f32_e32 v98, v98, v173
	v_fma_f32 v97, v97, v183, -v98
	v_mul_f32_e32 v98, v100, v174
	v_add_f32_e32 v97, 0, v97
	v_fma_f32 v98, v99, v184, -v98
	v_add_f32_e32 v97, v97, v98
	v_mul_f32_e32 v98, v102, v175
	v_fma_f32 v98, v101, v185, -v98
	v_add_f32_e32 v97, v97, v98
	v_mul_f32_e32 v98, v104, v176
	v_fma_f32 v98, v103, v186, -v98
	s_waitcnt vmcnt(51) lgkmcnt(1)
	v_mul_f32_e32 v130, v121, v199
	v_add_f32_e32 v97, v97, v98
	v_mul_f32_e32 v98, v106, v177
	s_waitcnt vmcnt(50)
	v_fmac_f32_e32 v130, v122, v200
	v_fma_f32 v98, v105, v187, -v98
	v_add_f32_e32 v129, v129, v130
	s_waitcnt vmcnt(48)
	v_mul_f32_e32 v130, v123, v202
	v_add_f32_e32 v97, v97, v98
	v_mul_f32_e32 v98, v108, v178
	v_fmac_f32_e32 v130, v124, v201
	v_fma_f32 v98, v107, v188, -v98
	v_add_f32_e32 v129, v129, v130
	s_waitcnt vmcnt(46) lgkmcnt(0)
	v_mul_f32_e32 v130, v125, v204
	v_add_f32_e32 v97, v97, v98
	v_mul_f32_e32 v98, v110, v179
	v_fmac_f32_e32 v130, v126, v203
	v_fma_f32 v98, v109, v189, -v98
	v_add_f32_e32 v133, v129, v130
	ds_read2_b64 v[129:132], v96 offset0:73 offset1:74
	v_add_f32_e32 v97, v97, v98
	v_mul_f32_e32 v98, v112, v180
	v_fma_f32 v98, v111, v190, -v98
	s_waitcnt vmcnt(44)
	v_mul_f32_e32 v134, v127, v206
	v_add_f32_e32 v97, v97, v98
	v_mul_f32_e32 v98, v114, v181
	v_fmac_f32_e32 v134, v128, v205
	v_fma_f32 v98, v113, v191, -v98
	v_add_f32_e32 v137, v133, v134
	ds_read2_b64 v[133:136], v96 offset0:75 offset1:76
	v_add_f32_e32 v97, v97, v98
	v_mul_f32_e32 v98, v116, v182
	s_waitcnt vmcnt(42) lgkmcnt(1)
	v_mul_f32_e32 v138, v129, v208
	v_fma_f32 v98, v115, v192, -v98
	v_fmac_f32_e32 v138, v130, v207
	v_add_f32_e32 v97, v97, v98
	v_mul_f32_e32 v98, v118, v193
	v_add_f32_e32 v137, v137, v138
	s_waitcnt vmcnt(40)
	v_mul_f32_e32 v138, v131, v210
	v_fma_f32 v98, v117, v194, -v98
	v_fmac_f32_e32 v138, v132, v209
	v_add_f32_e32 v97, v97, v98
	v_mul_f32_e32 v98, v120, v195
	v_add_f32_e32 v137, v137, v138
	s_waitcnt vmcnt(38) lgkmcnt(0)
	v_mul_f32_e32 v138, v133, v212
	v_fma_f32 v98, v119, v196, -v98
	v_fmac_f32_e32 v138, v134, v211
	v_add_f32_e32 v97, v97, v98
	v_mul_f32_e32 v98, v122, v199
	v_add_f32_e32 v141, v137, v138
	ds_read2_b64 v[137:140], v96 offset0:77 offset1:78
	v_fma_f32 v98, v121, v200, -v98
	v_add_f32_e32 v97, v97, v98
	v_mul_f32_e32 v98, v124, v202
	s_waitcnt vmcnt(36)
	v_mul_f32_e32 v142, v135, v214
	v_fma_f32 v98, v123, v201, -v98
	v_fmac_f32_e32 v142, v136, v213
	v_add_f32_e32 v97, v97, v98
	v_mul_f32_e32 v98, v126, v204
	v_add_f32_e32 v145, v141, v142
	ds_read2_b64 v[141:144], v96 offset0:79 offset1:80
	v_fma_f32 v98, v125, v203, -v98
	s_waitcnt vmcnt(34) lgkmcnt(1)
	v_mul_f32_e32 v146, v137, v216
	v_add_f32_e32 v97, v97, v98
	v_mul_f32_e32 v98, v128, v206
	v_fmac_f32_e32 v146, v138, v215
	v_fma_f32 v98, v127, v205, -v98
	v_add_f32_e32 v145, v145, v146
	s_waitcnt vmcnt(32)
	v_mul_f32_e32 v146, v139, v218
	v_add_f32_e32 v97, v97, v98
	v_mul_f32_e32 v98, v130, v208
	v_fmac_f32_e32 v146, v140, v217
	v_fma_f32 v98, v129, v207, -v98
	v_add_f32_e32 v145, v145, v146
	s_waitcnt vmcnt(30) lgkmcnt(0)
	v_mul_f32_e32 v146, v141, v220
	v_add_f32_e32 v97, v97, v98
	v_mul_f32_e32 v98, v132, v210
	v_fmac_f32_e32 v146, v142, v219
	v_fma_f32 v98, v131, v209, -v98
	v_add_f32_e32 v149, v145, v146
	ds_read2_b64 v[145:148], v96 offset0:81 offset1:82
	v_add_f32_e32 v97, v97, v98
	v_mul_f32_e32 v98, v134, v212
	v_fma_f32 v98, v133, v211, -v98
	s_waitcnt vmcnt(28)
	v_mul_f32_e32 v150, v143, v222
	v_add_f32_e32 v97, v97, v98
	v_mul_f32_e32 v98, v136, v214
	v_fmac_f32_e32 v150, v144, v221
	v_fma_f32 v98, v135, v213, -v98
	v_add_f32_e32 v153, v149, v150
	ds_read2_b64 v[149:152], v96 offset0:83 offset1:84
	v_add_f32_e32 v97, v97, v98
	v_mul_f32_e32 v98, v138, v216
	s_waitcnt vmcnt(26) lgkmcnt(1)
	v_mul_f32_e32 v154, v145, v224
	v_fma_f32 v98, v137, v215, -v98
	v_fmac_f32_e32 v154, v146, v223
	v_add_f32_e32 v97, v97, v98
	v_mul_f32_e32 v98, v140, v218
	v_add_f32_e32 v153, v153, v154
	s_waitcnt vmcnt(25)
	v_mul_f32_e32 v154, v147, v225
	v_fma_f32 v98, v139, v217, -v98
	s_waitcnt vmcnt(24)
	v_fmac_f32_e32 v154, v148, v226
	v_add_f32_e32 v97, v97, v98
	v_mul_f32_e32 v98, v142, v220
	v_add_f32_e32 v153, v153, v154
	s_waitcnt vmcnt(22) lgkmcnt(0)
	v_mul_f32_e32 v154, v149, v228
	v_fma_f32 v98, v141, v219, -v98
	v_fmac_f32_e32 v154, v150, v227
	v_add_f32_e32 v97, v97, v98
	v_mul_f32_e32 v98, v144, v222
	v_add_f32_e32 v157, v153, v154
	ds_read2_b64 v[153:156], v96 offset0:85 offset1:86
	v_fma_f32 v98, v143, v221, -v98
	v_add_f32_e32 v97, v97, v98
	v_mul_f32_e32 v98, v146, v224
	s_waitcnt vmcnt(20)
	v_mul_f32_e32 v158, v151, v230
	v_fma_f32 v98, v145, v223, -v98
	v_fmac_f32_e32 v158, v152, v229
	v_add_f32_e32 v97, v97, v98
	v_mul_f32_e32 v98, v148, v225
	v_add_f32_e32 v161, v157, v158
	ds_read2_b64 v[157:160], v96 offset0:87 offset1:88
	v_fma_f32 v98, v147, v226, -v98
	s_waitcnt vmcnt(18) lgkmcnt(1)
	v_mul_f32_e32 v162, v153, v232
	v_add_f32_e32 v97, v97, v98
	v_mul_f32_e32 v98, v150, v228
	v_fmac_f32_e32 v162, v154, v231
	v_fma_f32 v98, v149, v227, -v98
	v_add_f32_e32 v161, v161, v162
	s_waitcnt vmcnt(17)
	v_mul_f32_e32 v162, v155, v233
	v_add_f32_e32 v97, v97, v98
	v_mul_f32_e32 v98, v152, v230
	s_waitcnt vmcnt(16)
	v_fmac_f32_e32 v162, v156, v234
	v_fma_f32 v98, v151, v229, -v98
	v_add_f32_e32 v161, v161, v162
	s_waitcnt vmcnt(14) lgkmcnt(0)
	v_mul_f32_e32 v162, v157, v236
	v_add_f32_e32 v97, v97, v98
	v_mul_f32_e32 v98, v154, v232
	v_fmac_f32_e32 v162, v158, v235
	v_fma_f32 v98, v153, v231, -v98
	v_add_f32_e32 v165, v161, v162
	ds_read2_b64 v[161:164], v96 offset0:89 offset1:90
	v_add_f32_e32 v97, v97, v98
	v_mul_f32_e32 v98, v156, v233
	v_fma_f32 v98, v155, v234, -v98
	v_add_f32_e32 v97, v97, v98
	v_mul_f32_e32 v98, v158, v236
	s_waitcnt vmcnt(12)
	v_mul_f32_e32 v166, v159, v238
	v_fma_f32 v98, v157, v235, -v98
	v_fmac_f32_e32 v166, v160, v237
	v_add_f32_e32 v97, v97, v98
	v_mul_f32_e32 v98, v160, v238
	v_add_f32_e32 v169, v165, v166
	ds_read2_b64 v[165:168], v96 offset0:91 offset1:92
	s_waitcnt vmcnt(10) lgkmcnt(1)
	v_mul_f32_e32 v170, v161, v240
	v_fma_f32 v98, v159, v237, -v98
	v_fmac_f32_e32 v170, v162, v239
	v_add_f32_e32 v97, v97, v98
	v_mul_f32_e32 v98, v162, v240
	v_add_f32_e32 v169, v169, v170
	s_waitcnt vmcnt(9)
	v_mul_f32_e32 v170, v163, v241
	v_fma_f32 v98, v161, v239, -v98
	s_waitcnt vmcnt(8)
	v_fmac_f32_e32 v170, v164, v242
	v_add_f32_e32 v97, v97, v98
	v_mul_f32_e32 v98, v164, v241
	v_add_f32_e32 v251, v169, v170
	ds_read2_b64 v[169:172], v96 offset0:93 offset1:94
	v_fma_f32 v98, v163, v242, -v98
	v_add_f32_e32 v97, v97, v98
	s_waitcnt vmcnt(6) lgkmcnt(1)
	v_mul_f32_e32 v98, v166, v244
	v_mul_f32_e32 v252, v165, v244
	v_fma_f32 v98, v165, v243, -v98
	v_fmac_f32_e32 v252, v166, v243
	v_add_f32_e32 v97, v97, v98
	s_waitcnt vmcnt(4)
	v_mul_f32_e32 v98, v168, v246
	v_add_f32_e32 v96, v251, v252
	v_mul_f32_e32 v251, v167, v246
	v_fma_f32 v98, v167, v245, -v98
	v_fmac_f32_e32 v251, v168, v245
	v_add_f32_e32 v97, v97, v98
	s_waitcnt vmcnt(3) lgkmcnt(0)
	v_mul_f32_e32 v98, v170, v247
	v_add_f32_e32 v96, v96, v251
	v_mul_f32_e32 v251, v169, v247
	s_waitcnt vmcnt(2)
	v_fma_f32 v98, v169, v248, -v98
	v_fmac_f32_e32 v251, v170, v248
	v_add_f32_e32 v97, v97, v98
	s_waitcnt vmcnt(0)
	v_mul_f32_e32 v98, v172, v250
	v_add_f32_e32 v96, v96, v251
	v_mul_f32_e32 v251, v171, v250
	v_fma_f32 v98, v171, v249, -v98
	v_fmac_f32_e32 v251, v172, v249
	v_add_f32_e32 v97, v97, v98
	v_add_f32_e32 v96, v96, v251
	v_sub_f32_e32 v97, v197, v97
	v_sub_f32_e32 v96, v198, v96
	buffer_store_dword v97, off, s[0:3], 0 offset:64
	buffer_store_dword v96, off, s[0:3], 0 offset:68
	s_and_saveexec_b64 s[4:5], vcc
	s_cbranch_execz .LBB46_281
; %bb.280:
	buffer_load_dword v96, off, s[0:3], 0 offset:56
	buffer_load_dword v97, off, s[0:3], 0 offset:60
	v_mov_b32_e32 v98, 0
	buffer_store_dword v98, off, s[0:3], 0 offset:56
	buffer_store_dword v98, off, s[0:3], 0 offset:60
	s_waitcnt vmcnt(2)
	ds_write_b64 v95, v[96:97]
.LBB46_281:
	s_or_b64 exec, exec, s[4:5]
	s_waitcnt lgkmcnt(0)
	; wave barrier
	buffer_load_dword v175, off, s[0:3], 0 offset:68
	buffer_load_dword v176, off, s[0:3], 0 offset:76
	;; [unrolled: 1-line block ×50, first 2 shown]
	v_mov_b32_e32 v96, 0
	ds_read_b128 v[97:100], v96 offset:448
	ds_read_b128 v[101:104], v96 offset:464
	;; [unrolled: 1-line block ×6, first 2 shown]
	buffer_load_dword v225, off, s[0:3], 0 offset:256
	buffer_load_dword v226, off, s[0:3], 0 offset:260
	;; [unrolled: 1-line block ×8, first 2 shown]
	v_cmp_lt_u32_e32 vcc, 6, v0
	s_waitcnt vmcnt(57) lgkmcnt(5)
	v_mul_f32_e32 v121, v97, v175
	s_waitcnt vmcnt(56)
	v_mul_f32_e32 v122, v99, v176
	s_waitcnt vmcnt(55) lgkmcnt(4)
	v_mul_f32_e32 v123, v101, v177
	s_waitcnt vmcnt(54)
	v_mul_f32_e32 v124, v103, v178
	s_waitcnt vmcnt(53) lgkmcnt(3)
	v_mul_f32_e32 v125, v105, v179
	s_waitcnt vmcnt(52)
	v_mul_f32_e32 v126, v107, v180
	s_waitcnt vmcnt(51) lgkmcnt(2)
	v_mul_f32_e32 v127, v109, v181
	s_waitcnt vmcnt(50)
	v_mul_f32_e32 v128, v111, v182
	s_waitcnt vmcnt(49) lgkmcnt(1)
	v_mul_f32_e32 v129, v113, v183
	s_waitcnt vmcnt(48)
	v_mul_f32_e32 v130, v115, v184
	s_waitcnt vmcnt(47) lgkmcnt(0)
	v_mul_f32_e32 v131, v117, v185
	s_waitcnt vmcnt(46)
	v_fmac_f32_e32 v123, v102, v186
	s_waitcnt vmcnt(45)
	v_fmac_f32_e32 v122, v100, v187
	s_waitcnt vmcnt(44)
	v_fmac_f32_e32 v121, v98, v188
	v_add_f32_e32 v121, 0, v121
	v_add_f32_e32 v121, v121, v122
	;; [unrolled: 1-line block ×3, first 2 shown]
	s_waitcnt vmcnt(40)
	v_fmac_f32_e32 v124, v104, v192
	v_fmac_f32_e32 v125, v106, v191
	v_add_f32_e32 v121, v121, v124
	v_fmac_f32_e32 v126, v108, v190
	v_add_f32_e32 v121, v121, v125
	;; [unrolled: 2-line block ×3, first 2 shown]
	s_waitcnt vmcnt(36)
	v_fmac_f32_e32 v128, v112, v196
	v_add_f32_e32 v121, v121, v127
	v_fmac_f32_e32 v129, v114, v195
	v_add_f32_e32 v121, v121, v128
	;; [unrolled: 2-line block ×3, first 2 shown]
	v_add_f32_e32 v121, v121, v130
	v_fmac_f32_e32 v131, v118, v193
	v_add_f32_e32 v125, v121, v131
	ds_read_b128 v[121:124], v96 offset:544
	buffer_load_dword v233, off, s[0:3], 0 offset:288
	buffer_load_dword v234, off, s[0:3], 0 offset:292
	;; [unrolled: 1-line block ×6, first 2 shown]
	s_waitcnt vmcnt(41)
	v_mul_f32_e32 v126, v119, v197
	s_waitcnt vmcnt(34)
	v_fmac_f32_e32 v126, v120, v204
	v_add_f32_e32 v129, v125, v126
	ds_read_b128 v[125:128], v96 offset:560
	buffer_load_dword v239, off, s[0:3], 0 offset:312
	buffer_load_dword v240, off, s[0:3], 0 offset:316
	;; [unrolled: 1-line block ×16, first 2 shown]
	s_waitcnt lgkmcnt(1)
	v_mul_f32_e32 v130, v121, v199
	v_fmac_f32_e32 v130, v122, v198
	v_add_f32_e32 v129, v129, v130
	v_mul_f32_e32 v130, v123, v201
	v_fmac_f32_e32 v130, v124, v200
	v_add_f32_e32 v129, v129, v130
	s_waitcnt lgkmcnt(0)
	v_mul_f32_e32 v130, v125, v203
	v_fmac_f32_e32 v130, v126, v202
	v_add_f32_e32 v133, v129, v130
	ds_read_b128 v[129:132], v96 offset:576
	s_waitcnt vmcnt(46)
	v_mul_f32_e32 v134, v127, v208
	v_fmac_f32_e32 v134, v128, v207
	v_add_f32_e32 v137, v133, v134
	ds_read_b128 v[133:136], v96 offset:592
	s_waitcnt vmcnt(44) lgkmcnt(1)
	v_mul_f32_e32 v138, v129, v210
	v_fmac_f32_e32 v138, v130, v209
	v_add_f32_e32 v137, v137, v138
	s_waitcnt vmcnt(42)
	v_mul_f32_e32 v138, v131, v212
	v_fmac_f32_e32 v138, v132, v211
	v_add_f32_e32 v137, v137, v138
	s_waitcnt vmcnt(40) lgkmcnt(0)
	v_mul_f32_e32 v138, v133, v214
	v_fmac_f32_e32 v138, v134, v213
	v_add_f32_e32 v141, v137, v138
	ds_read_b128 v[137:140], v96 offset:608
	s_waitcnt vmcnt(38)
	v_mul_f32_e32 v142, v135, v216
	v_fmac_f32_e32 v142, v136, v215
	v_add_f32_e32 v145, v141, v142
	ds_read_b128 v[141:144], v96 offset:624
	s_waitcnt vmcnt(36) lgkmcnt(1)
	v_mul_f32_e32 v146, v137, v218
	v_fmac_f32_e32 v146, v138, v217
	v_add_f32_e32 v145, v145, v146
	s_waitcnt vmcnt(34)
	v_mul_f32_e32 v146, v139, v220
	v_fmac_f32_e32 v146, v140, v219
	v_add_f32_e32 v145, v145, v146
	s_waitcnt vmcnt(32) lgkmcnt(0)
	v_mul_f32_e32 v146, v141, v222
	v_fmac_f32_e32 v146, v142, v221
	v_add_f32_e32 v149, v145, v146
	ds_read_b128 v[145:148], v96 offset:640
	s_waitcnt vmcnt(30)
	v_mul_f32_e32 v150, v143, v224
	v_fmac_f32_e32 v150, v144, v223
	v_add_f32_e32 v153, v149, v150
	ds_read_b128 v[149:152], v96 offset:656
	s_waitcnt vmcnt(28) lgkmcnt(1)
	v_mul_f32_e32 v154, v145, v226
	v_fmac_f32_e32 v154, v146, v225
	v_add_f32_e32 v153, v153, v154
	s_waitcnt vmcnt(27)
	v_mul_f32_e32 v154, v147, v227
	s_waitcnt vmcnt(24)
	v_fmac_f32_e32 v154, v148, v230
	v_add_f32_e32 v153, v153, v154
	s_waitcnt lgkmcnt(0)
	v_mul_f32_e32 v154, v149, v229
	v_fmac_f32_e32 v154, v150, v228
	v_add_f32_e32 v157, v153, v154
	ds_read_b128 v[153:156], v96 offset:672
	s_waitcnt vmcnt(22)
	v_mul_f32_e32 v158, v151, v232
	v_fmac_f32_e32 v158, v152, v231
	v_add_f32_e32 v161, v157, v158
	ds_read_b128 v[157:160], v96 offset:688
	s_waitcnt vmcnt(20) lgkmcnt(1)
	v_mul_f32_e32 v162, v153, v234
	v_fmac_f32_e32 v162, v154, v233
	v_add_f32_e32 v161, v161, v162
	s_waitcnt vmcnt(19)
	v_mul_f32_e32 v162, v155, v235
	s_waitcnt vmcnt(16)
	v_fmac_f32_e32 v162, v156, v238
	v_add_f32_e32 v161, v161, v162
	s_waitcnt lgkmcnt(0)
	;; [unrolled: 19-line block ×3, first 2 shown]
	v_mul_f32_e32 v170, v165, v245
	v_fmac_f32_e32 v170, v166, v244
	v_add_f32_e32 v173, v169, v170
	ds_read_b128 v[169:172], v96 offset:736
	s_waitcnt vmcnt(6)
	v_mul_f32_e32 v174, v167, v248
	v_fmac_f32_e32 v174, v168, v247
	v_add_f32_e32 v255, v173, v174
	ds_read_b64 v[173:174], v96 offset:752
	s_waitcnt vmcnt(4) lgkmcnt(1)
	v_mul_f32_e32 v1, v169, v250
	v_fmac_f32_e32 v1, v170, v249
	s_waitcnt vmcnt(3)
	v_mul_f32_e32 v2, v171, v251
	v_add_f32_e32 v1, v255, v1
	s_waitcnt vmcnt(0)
	v_fmac_f32_e32 v2, v172, v254
	v_add_f32_e32 v1, v1, v2
	s_waitcnt lgkmcnt(0)
	v_mul_f32_e32 v2, v173, v253
	v_fmac_f32_e32 v2, v174, v252
	v_add_f32_e32 v1, v1, v2
	v_mul_f32_e32 v2, v98, v175
	v_fma_f32 v2, v97, v188, -v2
	v_mul_f32_e32 v97, v100, v176
	v_add_f32_e32 v2, 0, v2
	v_fma_f32 v97, v99, v187, -v97
	v_add_f32_e32 v2, v2, v97
	v_mul_f32_e32 v97, v102, v177
	v_fma_f32 v97, v101, v186, -v97
	v_add_f32_e32 v2, v2, v97
	v_mul_f32_e32 v97, v104, v178
	;; [unrolled: 3-line block ×37, first 2 shown]
	v_fma_f32 v97, v173, v252, -v97
	v_add_f32_e32 v2, v2, v97
	v_sub_f32_e32 v2, v205, v2
	v_sub_f32_e32 v1, v206, v1
	buffer_store_dword v2, off, s[0:3], 0 offset:56
	buffer_store_dword v1, off, s[0:3], 0 offset:60
	s_and_saveexec_b64 s[4:5], vcc
	s_cbranch_execz .LBB46_283
; %bb.282:
	buffer_load_dword v97, off, s[0:3], 0 offset:48
	buffer_load_dword v98, off, s[0:3], 0 offset:52
	s_waitcnt vmcnt(0)
	ds_write_b64 v95, v[97:98]
	buffer_store_dword v96, off, s[0:3], 0 offset:48
	buffer_store_dword v96, off, s[0:3], 0 offset:52
.LBB46_283:
	s_or_b64 exec, exec, s[4:5]
	s_waitcnt lgkmcnt(0)
	; wave barrier
	buffer_load_dword v1, off, s[0:3], 0 offset:60
	buffer_load_dword v2, off, s[0:3], 0 offset:68
	;; [unrolled: 1-line block ×32, first 2 shown]
	ds_read2_b64 v[97:100], v96 offset0:55 offset1:56
	ds_read2_b64 v[101:104], v96 offset0:57 offset1:58
	;; [unrolled: 1-line block ×6, first 2 shown]
	buffer_load_dword v207, off, s[0:3], 0 offset:176
	buffer_load_dword v208, off, s[0:3], 0 offset:180
	;; [unrolled: 1-line block ×26, first 2 shown]
	v_cmp_lt_u32_e32 vcc, 5, v0
	s_waitcnt vmcnt(57) lgkmcnt(5)
	v_mul_f32_e32 v121, v97, v1
	s_waitcnt vmcnt(56)
	v_mul_f32_e32 v122, v99, v2
	s_waitcnt vmcnt(55) lgkmcnt(4)
	v_mul_f32_e32 v123, v101, v177
	s_waitcnt vmcnt(54)
	v_mul_f32_e32 v124, v103, v178
	;; [unrolled: 4-line block ×5, first 2 shown]
	s_waitcnt vmcnt(47) lgkmcnt(0)
	v_mul_f32_e32 v131, v117, v185
	s_waitcnt vmcnt(46)
	v_fmac_f32_e32 v123, v102, v186
	s_waitcnt vmcnt(45)
	v_fmac_f32_e32 v122, v100, v187
	;; [unrolled: 2-line block ×3, first 2 shown]
	v_add_f32_e32 v121, 0, v121
	v_add_f32_e32 v121, v121, v122
	;; [unrolled: 1-line block ×3, first 2 shown]
	s_waitcnt vmcnt(40)
	v_fmac_f32_e32 v124, v104, v192
	v_fmac_f32_e32 v125, v106, v191
	v_add_f32_e32 v121, v121, v124
	v_fmac_f32_e32 v126, v108, v190
	v_add_f32_e32 v121, v121, v125
	;; [unrolled: 2-line block ×3, first 2 shown]
	s_waitcnt vmcnt(36)
	v_fmac_f32_e32 v128, v112, v196
	v_add_f32_e32 v121, v121, v127
	v_fmac_f32_e32 v129, v114, v195
	v_add_f32_e32 v121, v121, v128
	;; [unrolled: 2-line block ×4, first 2 shown]
	v_add_f32_e32 v125, v121, v131
	ds_read2_b64 v[121:124], v96 offset0:67 offset1:68
	buffer_load_dword v233, off, s[0:3], 0 offset:280
	buffer_load_dword v234, off, s[0:3], 0 offset:284
	;; [unrolled: 1-line block ×6, first 2 shown]
	s_waitcnt vmcnt(41)
	v_mul_f32_e32 v126, v119, v197
	s_waitcnt vmcnt(35)
	v_fmac_f32_e32 v126, v120, v203
	v_add_f32_e32 v129, v125, v126
	ds_read2_b64 v[125:128], v96 offset0:69 offset1:70
	buffer_load_dword v239, off, s[0:3], 0 offset:304
	buffer_load_dword v240, off, s[0:3], 0 offset:308
	;; [unrolled: 1-line block ×10, first 2 shown]
	s_waitcnt vmcnt(44) lgkmcnt(1)
	v_mul_f32_e32 v130, v121, v204
	v_fmac_f32_e32 v130, v122, v202
	v_add_f32_e32 v129, v129, v130
	v_mul_f32_e32 v130, v123, v199
	v_fmac_f32_e32 v130, v124, v198
	v_add_f32_e32 v129, v129, v130
	s_waitcnt lgkmcnt(0)
	v_mul_f32_e32 v130, v125, v201
	buffer_load_dword v249, off, s[0:3], 0 offset:344
	buffer_load_dword v250, off, s[0:3], 0 offset:348
	;; [unrolled: 1-line block ×6, first 2 shown]
	v_fmac_f32_e32 v130, v126, v200
	s_waitcnt vmcnt(46)
	v_mul_f32_e32 v134, v127, v208
	v_add_f32_e32 v133, v129, v130
	v_fmac_f32_e32 v134, v128, v207
	ds_read2_b64 v[129:132], v96 offset0:71 offset1:72
	v_add_f32_e32 v137, v133, v134
	ds_read2_b64 v[133:136], v96 offset0:73 offset1:74
	buffer_load_dword v255, off, s[0:3], 0 offset:368
	buffer_load_dword v3, off, s[0:3], 0 offset:372
	v_mul_f32_e32 v1, v98, v1
	v_fma_f32 v1, v97, v188, -v1
	v_mul_f32_e32 v2, v100, v2
	v_add_f32_e32 v1, 0, v1
	v_fma_f32 v2, v99, v187, -v2
	v_add_f32_e32 v1, v1, v2
	v_mul_f32_e32 v2, v102, v177
	v_fma_f32 v2, v101, v186, -v2
	v_add_f32_e32 v1, v1, v2
	v_mul_f32_e32 v2, v104, v178
	;; [unrolled: 3-line block ×7, first 2 shown]
	s_waitcnt vmcnt(46) lgkmcnt(1)
	v_mul_f32_e32 v4, v129, v210
	v_fma_f32 v2, v113, v195, -v2
	v_fmac_f32_e32 v4, v130, v209
	v_add_f32_e32 v1, v1, v2
	v_mul_f32_e32 v2, v116, v184
	v_add_f32_e32 v4, v137, v4
	s_waitcnt vmcnt(44)
	v_mul_f32_e32 v137, v131, v212
	v_fma_f32 v2, v115, v194, -v2
	v_fmac_f32_e32 v137, v132, v211
	v_add_f32_e32 v1, v1, v2
	v_mul_f32_e32 v2, v118, v185
	v_add_f32_e32 v4, v4, v137
	s_waitcnt vmcnt(42) lgkmcnt(0)
	v_mul_f32_e32 v137, v133, v214
	v_fma_f32 v2, v117, v193, -v2
	v_fmac_f32_e32 v137, v134, v213
	v_add_f32_e32 v1, v1, v2
	v_mul_f32_e32 v2, v120, v197
	v_add_f32_e32 v4, v4, v137
	ds_read2_b64 v[137:140], v96 offset0:75 offset1:76
	v_fma_f32 v2, v119, v203, -v2
	v_add_f32_e32 v1, v1, v2
	v_mul_f32_e32 v2, v122, v204
	s_waitcnt vmcnt(40)
	v_mul_f32_e32 v141, v135, v216
	v_fma_f32 v2, v121, v202, -v2
	v_fmac_f32_e32 v141, v136, v215
	v_add_f32_e32 v1, v1, v2
	v_mul_f32_e32 v2, v124, v199
	v_add_f32_e32 v4, v4, v141
	ds_read2_b64 v[141:144], v96 offset0:77 offset1:78
	v_fma_f32 v2, v123, v198, -v2
	s_waitcnt vmcnt(38) lgkmcnt(1)
	v_mul_f32_e32 v145, v137, v218
	v_add_f32_e32 v1, v1, v2
	v_mul_f32_e32 v2, v126, v201
	v_fmac_f32_e32 v145, v138, v217
	v_fma_f32 v2, v125, v200, -v2
	v_add_f32_e32 v4, v4, v145
	s_waitcnt vmcnt(36)
	v_mul_f32_e32 v145, v139, v220
	v_add_f32_e32 v1, v1, v2
	v_mul_f32_e32 v2, v128, v208
	v_fmac_f32_e32 v145, v140, v219
	v_fma_f32 v2, v127, v207, -v2
	v_add_f32_e32 v4, v4, v145
	s_waitcnt vmcnt(34) lgkmcnt(0)
	v_mul_f32_e32 v145, v141, v222
	v_add_f32_e32 v1, v1, v2
	v_mul_f32_e32 v2, v130, v210
	v_fmac_f32_e32 v145, v142, v221
	v_fma_f32 v2, v129, v209, -v2
	v_add_f32_e32 v4, v4, v145
	ds_read2_b64 v[145:148], v96 offset0:79 offset1:80
	v_add_f32_e32 v1, v1, v2
	v_mul_f32_e32 v2, v132, v212
	v_fma_f32 v2, v131, v211, -v2
	s_waitcnt vmcnt(32)
	v_mul_f32_e32 v149, v143, v224
	v_add_f32_e32 v1, v1, v2
	v_mul_f32_e32 v2, v134, v214
	v_fmac_f32_e32 v149, v144, v223
	v_fma_f32 v2, v133, v213, -v2
	v_add_f32_e32 v4, v4, v149
	ds_read2_b64 v[149:152], v96 offset0:81 offset1:82
	v_add_f32_e32 v1, v1, v2
	v_mul_f32_e32 v2, v136, v216
	s_waitcnt vmcnt(30) lgkmcnt(1)
	v_mul_f32_e32 v153, v145, v226
	v_fma_f32 v2, v135, v215, -v2
	v_fmac_f32_e32 v153, v146, v225
	v_add_f32_e32 v1, v1, v2
	v_mul_f32_e32 v2, v138, v218
	v_add_f32_e32 v4, v4, v153
	s_waitcnt vmcnt(29)
	v_mul_f32_e32 v153, v147, v227
	v_fma_f32 v2, v137, v217, -v2
	s_waitcnt vmcnt(26)
	v_fmac_f32_e32 v153, v148, v230
	v_add_f32_e32 v1, v1, v2
	v_mul_f32_e32 v2, v140, v220
	v_add_f32_e32 v4, v4, v153
	s_waitcnt lgkmcnt(0)
	v_mul_f32_e32 v153, v149, v229
	v_fma_f32 v2, v139, v219, -v2
	v_fmac_f32_e32 v153, v150, v228
	v_add_f32_e32 v1, v1, v2
	v_mul_f32_e32 v2, v142, v222
	v_add_f32_e32 v4, v4, v153
	ds_read2_b64 v[153:156], v96 offset0:83 offset1:84
	v_fma_f32 v2, v141, v221, -v2
	v_add_f32_e32 v1, v1, v2
	v_mul_f32_e32 v2, v144, v224
	s_waitcnt vmcnt(24)
	v_mul_f32_e32 v157, v151, v232
	v_fma_f32 v2, v143, v223, -v2
	v_fmac_f32_e32 v157, v152, v231
	v_add_f32_e32 v1, v1, v2
	v_mul_f32_e32 v2, v146, v226
	v_add_f32_e32 v4, v4, v157
	ds_read2_b64 v[157:160], v96 offset0:85 offset1:86
	v_fma_f32 v2, v145, v225, -v2
	s_waitcnt vmcnt(22) lgkmcnt(1)
	v_mul_f32_e32 v161, v153, v234
	v_add_f32_e32 v1, v1, v2
	v_mul_f32_e32 v2, v148, v227
	v_fmac_f32_e32 v161, v154, v233
	v_fma_f32 v2, v147, v230, -v2
	v_add_f32_e32 v4, v4, v161
	s_waitcnt vmcnt(21)
	v_mul_f32_e32 v161, v155, v235
	v_add_f32_e32 v1, v1, v2
	v_mul_f32_e32 v2, v150, v229
	s_waitcnt vmcnt(18)
	v_fmac_f32_e32 v161, v156, v238
	v_fma_f32 v2, v149, v228, -v2
	v_add_f32_e32 v4, v4, v161
	s_waitcnt lgkmcnt(0)
	v_mul_f32_e32 v161, v157, v237
	v_add_f32_e32 v1, v1, v2
	v_mul_f32_e32 v2, v152, v232
	v_fmac_f32_e32 v161, v158, v236
	v_fma_f32 v2, v151, v231, -v2
	v_add_f32_e32 v4, v4, v161
	ds_read2_b64 v[161:164], v96 offset0:87 offset1:88
	v_add_f32_e32 v1, v1, v2
	v_mul_f32_e32 v2, v154, v234
	v_fma_f32 v2, v153, v233, -v2
	s_waitcnt vmcnt(16)
	v_mul_f32_e32 v165, v159, v240
	v_add_f32_e32 v1, v1, v2
	v_mul_f32_e32 v2, v156, v235
	v_fmac_f32_e32 v165, v160, v239
	v_fma_f32 v2, v155, v238, -v2
	v_add_f32_e32 v4, v4, v165
	ds_read2_b64 v[165:168], v96 offset0:89 offset1:90
	v_add_f32_e32 v1, v1, v2
	v_mul_f32_e32 v2, v158, v237
	s_waitcnt vmcnt(14) lgkmcnt(1)
	v_mul_f32_e32 v169, v161, v242
	v_fma_f32 v2, v157, v236, -v2
	v_fmac_f32_e32 v169, v162, v241
	v_add_f32_e32 v1, v1, v2
	v_mul_f32_e32 v2, v160, v240
	v_add_f32_e32 v4, v4, v169
	s_waitcnt vmcnt(13)
	v_mul_f32_e32 v169, v163, v243
	v_fma_f32 v2, v159, v239, -v2
	s_waitcnt vmcnt(10)
	v_fmac_f32_e32 v169, v164, v246
	v_add_f32_e32 v1, v1, v2
	v_mul_f32_e32 v2, v162, v242
	v_add_f32_e32 v4, v4, v169
	s_waitcnt lgkmcnt(0)
	v_mul_f32_e32 v169, v165, v245
	v_fma_f32 v2, v161, v241, -v2
	v_fmac_f32_e32 v169, v166, v244
	v_add_f32_e32 v1, v1, v2
	v_mul_f32_e32 v2, v164, v243
	v_add_f32_e32 v4, v4, v169
	ds_read2_b64 v[169:172], v96 offset0:91 offset1:92
	v_fma_f32 v2, v163, v246, -v2
	v_add_f32_e32 v1, v1, v2
	v_mul_f32_e32 v2, v166, v245
	s_waitcnt vmcnt(8)
	v_mul_f32_e32 v173, v167, v248
	v_fma_f32 v2, v165, v244, -v2
	v_fmac_f32_e32 v173, v168, v247
	v_add_f32_e32 v1, v1, v2
	v_mul_f32_e32 v2, v168, v248
	v_add_f32_e32 v4, v4, v173
	ds_read2_b64 v[173:176], v96 offset0:93 offset1:94
	v_fma_f32 v2, v167, v247, -v2
	v_add_f32_e32 v1, v1, v2
	s_waitcnt vmcnt(6) lgkmcnt(1)
	v_mul_f32_e32 v2, v170, v250
	v_mul_f32_e32 v96, v169, v250
	v_fma_f32 v2, v169, v249, -v2
	v_fmac_f32_e32 v96, v170, v249
	v_add_f32_e32 v1, v1, v2
	s_waitcnt vmcnt(5)
	v_mul_f32_e32 v2, v172, v251
	v_add_f32_e32 v4, v4, v96
	v_mul_f32_e32 v96, v171, v251
	s_waitcnt vmcnt(2)
	v_fma_f32 v2, v171, v254, -v2
	v_fmac_f32_e32 v96, v172, v254
	v_add_f32_e32 v1, v1, v2
	s_waitcnt lgkmcnt(0)
	v_mul_f32_e32 v2, v174, v253
	v_add_f32_e32 v4, v4, v96
	v_mul_f32_e32 v96, v173, v253
	v_fma_f32 v2, v173, v252, -v2
	v_fmac_f32_e32 v96, v174, v252
	v_add_f32_e32 v1, v1, v2
	s_waitcnt vmcnt(0)
	v_mul_f32_e32 v2, v176, v3
	v_add_f32_e32 v4, v4, v96
	v_mul_f32_e32 v96, v175, v3
	v_fma_f32 v2, v175, v255, -v2
	v_fmac_f32_e32 v96, v176, v255
	v_add_f32_e32 v1, v1, v2
	v_add_f32_e32 v4, v4, v96
	v_sub_f32_e32 v1, v205, v1
	v_sub_f32_e32 v2, v206, v4
	buffer_store_dword v1, off, s[0:3], 0 offset:48
	buffer_store_dword v2, off, s[0:3], 0 offset:52
	s_and_saveexec_b64 s[4:5], vcc
	s_cbranch_execz .LBB46_285
; %bb.284:
	buffer_load_dword v96, off, s[0:3], 0 offset:40
	buffer_load_dword v97, off, s[0:3], 0 offset:44
	v_mov_b32_e32 v1, 0
	buffer_store_dword v1, off, s[0:3], 0 offset:40
	buffer_store_dword v1, off, s[0:3], 0 offset:44
	s_waitcnt vmcnt(2)
	ds_write_b64 v95, v[96:97]
.LBB46_285:
	s_or_b64 exec, exec, s[4:5]
	s_waitcnt lgkmcnt(0)
	; wave barrier
	buffer_load_dword v105, off, s[0:3], 0 offset:52
	buffer_load_dword v104, off, s[0:3], 0 offset:60
	;; [unrolled: 1-line block ×50, first 2 shown]
	v_mov_b32_e32 v96, 0
	ds_read_b128 v[106:109], v96 offset:432
	ds_read_b128 v[110:113], v96 offset:448
	;; [unrolled: 1-line block ×6, first 2 shown]
	buffer_load_dword v225, off, s[0:3], 0 offset:240
	buffer_load_dword v226, off, s[0:3], 0 offset:244
	;; [unrolled: 1-line block ×6, first 2 shown]
	v_cmp_lt_u32_e32 vcc, 4, v0
	s_waitcnt vmcnt(55) lgkmcnt(5)
	v_mul_f32_e32 v130, v106, v105
	s_waitcnt vmcnt(54)
	v_mul_f32_e32 v131, v108, v104
	s_waitcnt vmcnt(53) lgkmcnt(4)
	v_mul_f32_e32 v132, v110, v103
	s_waitcnt vmcnt(52)
	v_mul_f32_e32 v133, v112, v102
	;; [unrolled: 4-line block ×5, first 2 shown]
	s_waitcnt vmcnt(45) lgkmcnt(0)
	v_mul_f32_e32 v140, v126, v4
	s_waitcnt vmcnt(44)
	v_fmac_f32_e32 v132, v111, v188
	s_waitcnt vmcnt(43)
	v_fmac_f32_e32 v131, v109, v189
	;; [unrolled: 2-line block ×3, first 2 shown]
	v_add_f32_e32 v130, 0, v130
	v_add_f32_e32 v130, v130, v131
	;; [unrolled: 1-line block ×3, first 2 shown]
	s_waitcnt vmcnt(38)
	v_fmac_f32_e32 v133, v113, v194
	v_fmac_f32_e32 v134, v115, v193
	v_add_f32_e32 v130, v130, v133
	v_fmac_f32_e32 v135, v117, v192
	v_add_f32_e32 v130, v130, v134
	;; [unrolled: 2-line block ×3, first 2 shown]
	s_waitcnt vmcnt(34)
	v_fmac_f32_e32 v137, v121, v198
	v_add_f32_e32 v130, v130, v136
	v_fmac_f32_e32 v138, v123, v197
	v_add_f32_e32 v130, v130, v137
	;; [unrolled: 2-line block ×4, first 2 shown]
	v_add_f32_e32 v134, v130, v140
	ds_read_b128 v[130:133], v96 offset:528
	buffer_load_dword v231, off, s[0:3], 0 offset:264
	buffer_load_dword v232, off, s[0:3], 0 offset:268
	s_waitcnt vmcnt(35)
	v_mul_f32_e32 v135, v128, v199
	s_waitcnt vmcnt(29)
	v_fmac_f32_e32 v135, v129, v205
	v_add_f32_e32 v138, v134, v135
	ds_read_b128 v[134:137], v96 offset:544
	buffer_load_dword v233, off, s[0:3], 0 offset:272
	buffer_load_dword v234, off, s[0:3], 0 offset:276
	;; [unrolled: 1-line block ×14, first 2 shown]
	s_waitcnt vmcnt(42) lgkmcnt(1)
	v_mul_f32_e32 v139, v130, v206
	v_fmac_f32_e32 v139, v131, v204
	buffer_load_dword v247, off, s[0:3], 0 offset:328
	buffer_load_dword v248, off, s[0:3], 0 offset:332
	v_add_f32_e32 v138, v138, v139
	v_mul_f32_e32 v139, v132, v201
	v_fmac_f32_e32 v139, v133, v200
	v_add_f32_e32 v138, v138, v139
	s_waitcnt lgkmcnt(0)
	v_mul_f32_e32 v139, v134, v203
	v_fmac_f32_e32 v139, v135, v202
	v_add_f32_e32 v142, v138, v139
	ds_read_b128 v[138:141], v96 offset:560
	buffer_load_dword v249, off, s[0:3], 0 offset:336
	buffer_load_dword v250, off, s[0:3], 0 offset:340
	buffer_load_dword v251, off, s[0:3], 0 offset:348
	buffer_load_dword v252, off, s[0:3], 0 offset:352
	buffer_load_dword v253, off, s[0:3], 0 offset:356
	buffer_load_dword v254, off, s[0:3], 0 offset:344
	s_waitcnt vmcnt(46)
	v_mul_f32_e32 v143, v136, v208
	v_fmac_f32_e32 v143, v137, v207
	v_add_f32_e32 v146, v142, v143
	ds_read_b128 v[142:145], v96 offset:576
	buffer_load_dword v255, off, s[0:3], 0 offset:364
	buffer_load_dword v5, off, s[0:3], 0 offset:368
	;; [unrolled: 1-line block ×4, first 2 shown]
	s_waitcnt vmcnt(48) lgkmcnt(1)
	v_mul_f32_e32 v147, v138, v210
	v_fmac_f32_e32 v147, v139, v209
	v_add_f32_e32 v8, v146, v147
	s_waitcnt vmcnt(46)
	v_mul_f32_e32 v146, v140, v212
	v_fmac_f32_e32 v146, v141, v211
	v_add_f32_e32 v8, v8, v146
	s_waitcnt vmcnt(44) lgkmcnt(0)
	v_mul_f32_e32 v146, v142, v214
	v_fmac_f32_e32 v146, v143, v213
	v_add_f32_e32 v8, v8, v146
	ds_read_b128 v[146:149], v96 offset:592
	s_waitcnt vmcnt(42)
	v_mul_f32_e32 v150, v144, v216
	v_fmac_f32_e32 v150, v145, v215
	v_add_f32_e32 v8, v8, v150
	ds_read_b128 v[150:153], v96 offset:608
	s_waitcnt vmcnt(40) lgkmcnt(1)
	v_mul_f32_e32 v154, v146, v218
	v_fmac_f32_e32 v154, v147, v217
	v_add_f32_e32 v8, v8, v154
	s_waitcnt vmcnt(38)
	v_mul_f32_e32 v154, v148, v220
	v_fmac_f32_e32 v154, v149, v219
	v_add_f32_e32 v8, v8, v154
	s_waitcnt vmcnt(36) lgkmcnt(0)
	v_mul_f32_e32 v154, v150, v222
	v_fmac_f32_e32 v154, v151, v221
	v_add_f32_e32 v8, v8, v154
	ds_read_b128 v[154:157], v96 offset:624
	s_waitcnt vmcnt(34)
	v_mul_f32_e32 v158, v152, v224
	v_fmac_f32_e32 v158, v153, v223
	v_add_f32_e32 v8, v8, v158
	ds_read_b128 v[158:161], v96 offset:640
	s_waitcnt vmcnt(32) lgkmcnt(1)
	v_mul_f32_e32 v162, v154, v226
	v_fmac_f32_e32 v162, v155, v225
	v_add_f32_e32 v8, v8, v162
	s_waitcnt vmcnt(31)
	v_mul_f32_e32 v162, v156, v227
	s_waitcnt vmcnt(28)
	v_fmac_f32_e32 v162, v157, v230
	v_add_f32_e32 v8, v8, v162
	s_waitcnt lgkmcnt(0)
	v_mul_f32_e32 v162, v158, v229
	v_fmac_f32_e32 v162, v159, v228
	v_add_f32_e32 v8, v8, v162
	ds_read_b128 v[162:165], v96 offset:656
	v_mul_f32_e32 v10, v109, v104
	v_fma_f32 v10, v108, v189, -v10
	v_mul_f32_e32 v1, v121, v1
	v_fma_f32 v1, v120, v198, -v1
	;; [unrolled: 2-line block ×3, first 2 shown]
	s_waitcnt vmcnt(26)
	v_mul_f32_e32 v166, v160, v232
	v_fmac_f32_e32 v166, v161, v231
	v_add_f32_e32 v8, v8, v166
	ds_read_b128 v[166:169], v96 offset:672
	s_waitcnt vmcnt(24) lgkmcnt(1)
	v_mul_f32_e32 v170, v162, v234
	v_fmac_f32_e32 v170, v163, v233
	v_add_f32_e32 v8, v8, v170
	s_waitcnt vmcnt(23)
	v_mul_f32_e32 v170, v164, v235
	s_waitcnt vmcnt(20)
	v_fmac_f32_e32 v170, v165, v238
	v_add_f32_e32 v8, v8, v170
	s_waitcnt lgkmcnt(0)
	v_mul_f32_e32 v170, v166, v237
	v_fmac_f32_e32 v170, v167, v236
	v_add_f32_e32 v8, v8, v170
	ds_read_b128 v[170:173], v96 offset:688
	s_waitcnt vmcnt(18)
	v_mul_f32_e32 v174, v168, v240
	v_fmac_f32_e32 v174, v169, v239
	v_add_f32_e32 v8, v8, v174
	ds_read_b128 v[174:177], v96 offset:704
	s_waitcnt vmcnt(16) lgkmcnt(1)
	v_mul_f32_e32 v178, v170, v242
	v_fmac_f32_e32 v178, v171, v241
	v_add_f32_e32 v8, v8, v178
	s_waitcnt vmcnt(15)
	v_mul_f32_e32 v178, v172, v243
	s_waitcnt vmcnt(12)
	v_fmac_f32_e32 v178, v173, v246
	v_add_f32_e32 v8, v8, v178
	s_waitcnt lgkmcnt(0)
	v_mul_f32_e32 v178, v174, v245
	v_fmac_f32_e32 v178, v175, v244
	v_add_f32_e32 v8, v8, v178
	ds_read_b128 v[178:181], v96 offset:720
	s_waitcnt vmcnt(10)
	v_mul_f32_e32 v182, v176, v248
	v_fmac_f32_e32 v182, v177, v247
	v_add_f32_e32 v8, v8, v182
	ds_read_b128 v[182:185], v96 offset:736
	s_waitcnt vmcnt(8) lgkmcnt(1)
	v_mul_f32_e32 v186, v178, v250
	v_fmac_f32_e32 v186, v179, v249
	v_add_f32_e32 v8, v8, v186
	s_waitcnt vmcnt(7)
	v_mul_f32_e32 v186, v180, v251
	s_waitcnt vmcnt(4)
	v_fmac_f32_e32 v186, v181, v254
	v_add_f32_e32 v8, v8, v186
	ds_read_b64 v[186:187], v96 offset:752
	s_waitcnt lgkmcnt(1)
	v_mul_f32_e32 v9, v182, v253
	v_fmac_f32_e32 v9, v183, v252
	v_add_f32_e32 v8, v8, v9
	s_waitcnt vmcnt(3)
	v_mul_f32_e32 v9, v184, v255
	s_waitcnt vmcnt(0)
	v_fmac_f32_e32 v9, v185, v7
	v_add_f32_e32 v8, v8, v9
	s_waitcnt lgkmcnt(0)
	v_mul_f32_e32 v9, v186, v6
	v_fmac_f32_e32 v9, v187, v5
	v_add_f32_e32 v8, v8, v9
	v_mul_f32_e32 v9, v107, v105
	v_fma_f32 v9, v106, v190, -v9
	v_add_f32_e32 v9, 0, v9
	v_add_f32_e32 v9, v9, v10
	v_mul_f32_e32 v10, v111, v103
	v_fma_f32 v10, v110, v188, -v10
	v_add_f32_e32 v9, v9, v10
	v_mul_f32_e32 v10, v113, v102
	v_fma_f32 v10, v112, v194, -v10
	;; [unrolled: 3-line block ×5, first 2 shown]
	v_add_f32_e32 v9, v9, v10
	v_add_f32_e32 v1, v9, v1
	;; [unrolled: 1-line block ×3, first 2 shown]
	v_mul_f32_e32 v2, v125, v3
	v_fma_f32 v2, v124, v196, -v2
	v_add_f32_e32 v1, v1, v2
	v_mul_f32_e32 v2, v127, v4
	v_fma_f32 v2, v126, v195, -v2
	v_add_f32_e32 v1, v1, v2
	;; [unrolled: 3-line block ×32, first 2 shown]
	v_sub_f32_e32 v1, v97, v1
	v_sub_f32_e32 v2, v98, v8
	buffer_store_dword v1, off, s[0:3], 0 offset:40
	buffer_store_dword v2, off, s[0:3], 0 offset:44
	s_and_saveexec_b64 s[4:5], vcc
	s_cbranch_execz .LBB46_287
; %bb.286:
	buffer_load_dword v97, off, s[0:3], 0 offset:32
	buffer_load_dword v98, off, s[0:3], 0 offset:36
	s_waitcnt vmcnt(0)
	ds_write_b64 v95, v[97:98]
	buffer_store_dword v96, off, s[0:3], 0 offset:32
	buffer_store_dword v96, off, s[0:3], 0 offset:36
.LBB46_287:
	s_or_b64 exec, exec, s[4:5]
	s_waitcnt lgkmcnt(0)
	; wave barrier
	buffer_load_dword v1, off, s[0:3], 0 offset:44
	buffer_load_dword v2, off, s[0:3], 0 offset:52
	;; [unrolled: 1-line block ×32, first 2 shown]
	ds_read2_b64 v[97:100], v96 offset0:53 offset1:54
	ds_read2_b64 v[101:104], v96 offset0:55 offset1:56
	;; [unrolled: 1-line block ×6, first 2 shown]
	buffer_load_dword v203, off, s[0:3], 0 offset:160
	buffer_load_dword v204, off, s[0:3], 0 offset:164
	buffer_load_dword v205, off, s[0:3], 0 offset:168
	buffer_load_dword v206, off, s[0:3], 0 offset:172
	buffer_load_dword v207, off, s[0:3], 0 offset:176
	buffer_load_dword v208, off, s[0:3], 0 offset:180
	buffer_load_dword v209, off, s[0:3], 0 offset:184
	buffer_load_dword v210, off, s[0:3], 0 offset:188
	buffer_load_dword v211, off, s[0:3], 0 offset:192
	buffer_load_dword v212, off, s[0:3], 0 offset:196
	buffer_load_dword v213, off, s[0:3], 0 offset:200
	buffer_load_dword v214, off, s[0:3], 0 offset:204
	buffer_load_dword v215, off, s[0:3], 0 offset:208
	buffer_load_dword v216, off, s[0:3], 0 offset:212
	buffer_load_dword v217, off, s[0:3], 0 offset:216
	buffer_load_dword v218, off, s[0:3], 0 offset:220
	buffer_load_dword v219, off, s[0:3], 0 offset:224
	buffer_load_dword v220, off, s[0:3], 0 offset:228
	v_cmp_lt_u32_e32 vcc, 3, v0
	s_waitcnt vmcnt(49) lgkmcnt(5)
	v_mul_f32_e32 v121, v97, v1
	s_waitcnt vmcnt(48)
	v_mul_f32_e32 v122, v99, v2
	s_waitcnt vmcnt(47) lgkmcnt(4)
	v_mul_f32_e32 v123, v101, v3
	s_waitcnt vmcnt(46)
	v_mul_f32_e32 v124, v103, v4
	;; [unrolled: 4-line block ×6, first 2 shown]
	s_waitcnt vmcnt(37)
	v_fmac_f32_e32 v123, v102, v183
	s_waitcnt vmcnt(36)
	v_fmac_f32_e32 v122, v100, v184
	;; [unrolled: 2-line block ×3, first 2 shown]
	v_add_f32_e32 v121, 0, v121
	v_add_f32_e32 v121, v121, v122
	;; [unrolled: 1-line block ×3, first 2 shown]
	s_waitcnt vmcnt(31)
	v_fmac_f32_e32 v124, v104, v189
	v_fmac_f32_e32 v125, v106, v188
	v_add_f32_e32 v121, v121, v124
	v_fmac_f32_e32 v126, v108, v187
	v_add_f32_e32 v121, v121, v125
	;; [unrolled: 2-line block ×3, first 2 shown]
	s_waitcnt vmcnt(27)
	v_fmac_f32_e32 v128, v112, v193
	v_add_f32_e32 v121, v121, v127
	v_fmac_f32_e32 v129, v114, v192
	v_add_f32_e32 v121, v121, v128
	;; [unrolled: 2-line block ×3, first 2 shown]
	v_add_f32_e32 v125, v121, v130
	ds_read2_b64 v[121:124], v96 offset0:65 offset1:66
	buffer_load_dword v221, off, s[0:3], 0 offset:232
	buffer_load_dword v222, off, s[0:3], 0 offset:236
	;; [unrolled: 1-line block ×6, first 2 shown]
	v_fmac_f32_e32 v131, v118, v190
	s_waitcnt vmcnt(27)
	v_fmac_f32_e32 v132, v120, v199
	v_add_f32_e32 v125, v125, v131
	v_add_f32_e32 v129, v125, v132
	ds_read2_b64 v[125:128], v96 offset0:67 offset1:68
	buffer_load_dword v227, off, s[0:3], 0 offset:256
	buffer_load_dword v228, off, s[0:3], 0 offset:260
	;; [unrolled: 1-line block ×10, first 2 shown]
	s_waitcnt vmcnt(36) lgkmcnt(1)
	v_mul_f32_e32 v130, v121, v200
	buffer_load_dword v237, off, s[0:3], 0 offset:296
	buffer_load_dword v238, off, s[0:3], 0 offset:300
	;; [unrolled: 1-line block ×6, first 2 shown]
	v_fmac_f32_e32 v130, v122, v198
	v_add_f32_e32 v129, v129, v130
	v_mul_f32_e32 v130, v123, v195
	v_fmac_f32_e32 v130, v124, v194
	v_add_f32_e32 v129, v129, v130
	s_waitcnt lgkmcnt(0)
	v_mul_f32_e32 v130, v125, v197
	v_fmac_f32_e32 v130, v126, v196
	v_add_f32_e32 v133, v129, v130
	ds_read2_b64 v[129:132], v96 offset0:69 offset1:70
	buffer_load_dword v243, off, s[0:3], 0 offset:320
	buffer_load_dword v244, off, s[0:3], 0 offset:324
	s_waitcnt vmcnt(40)
	v_mul_f32_e32 v134, v127, v204
	v_fmac_f32_e32 v134, v128, v203
	v_add_f32_e32 v137, v133, v134
	ds_read2_b64 v[133:136], v96 offset0:71 offset1:72
	buffer_load_dword v245, off, s[0:3], 0 offset:328
	buffer_load_dword v246, off, s[0:3], 0 offset:332
	;; [unrolled: 1-line block ×12, first 2 shown]
	v_mul_f32_e32 v1, v98, v1
	v_fma_f32 v1, v97, v185, -v1
	v_mul_f32_e32 v2, v100, v2
	v_add_f32_e32 v1, 0, v1
	v_fma_f32 v2, v99, v184, -v2
	v_add_f32_e32 v1, v1, v2
	v_mul_f32_e32 v2, v102, v3
	v_fma_f32 v2, v101, v183, -v2
	v_add_f32_e32 v1, v1, v2
	v_mul_f32_e32 v2, v104, v4
	;; [unrolled: 3-line block ×6, first 2 shown]
	v_fma_f32 v2, v111, v193, -v2
	s_waitcnt vmcnt(50) lgkmcnt(1)
	v_mul_f32_e32 v138, v129, v206
	v_add_f32_e32 v1, v1, v2
	v_mul_f32_e32 v2, v114, v9
	v_fmac_f32_e32 v138, v130, v205
	v_fma_f32 v2, v113, v192, -v2
	v_add_f32_e32 v137, v137, v138
	s_waitcnt vmcnt(48)
	v_mul_f32_e32 v138, v131, v208
	v_add_f32_e32 v1, v1, v2
	v_mul_f32_e32 v2, v116, v10
	v_fmac_f32_e32 v138, v132, v207
	v_fma_f32 v2, v115, v191, -v2
	v_add_f32_e32 v12, v137, v138
	s_waitcnt vmcnt(46) lgkmcnt(0)
	v_mul_f32_e32 v137, v133, v210
	v_add_f32_e32 v1, v1, v2
	v_mul_f32_e32 v2, v118, v181
	v_fmac_f32_e32 v137, v134, v209
	v_fma_f32 v2, v117, v190, -v2
	v_add_f32_e32 v12, v12, v137
	ds_read2_b64 v[137:140], v96 offset0:73 offset1:74
	v_add_f32_e32 v1, v1, v2
	v_mul_f32_e32 v2, v120, v182
	v_fma_f32 v2, v119, v199, -v2
	s_waitcnt vmcnt(44)
	v_mul_f32_e32 v141, v135, v212
	v_add_f32_e32 v1, v1, v2
	v_mul_f32_e32 v2, v122, v200
	v_fmac_f32_e32 v141, v136, v211
	v_fma_f32 v2, v121, v198, -v2
	v_add_f32_e32 v12, v12, v141
	ds_read2_b64 v[141:144], v96 offset0:75 offset1:76
	v_add_f32_e32 v1, v1, v2
	v_mul_f32_e32 v2, v124, v195
	s_waitcnt vmcnt(42) lgkmcnt(1)
	v_mul_f32_e32 v145, v137, v214
	v_fma_f32 v2, v123, v194, -v2
	v_fmac_f32_e32 v145, v138, v213
	v_add_f32_e32 v1, v1, v2
	v_mul_f32_e32 v2, v126, v197
	v_add_f32_e32 v12, v12, v145
	s_waitcnt vmcnt(40)
	v_mul_f32_e32 v145, v139, v216
	v_fma_f32 v2, v125, v196, -v2
	v_fmac_f32_e32 v145, v140, v215
	v_add_f32_e32 v1, v1, v2
	v_mul_f32_e32 v2, v128, v204
	v_add_f32_e32 v12, v12, v145
	s_waitcnt vmcnt(38) lgkmcnt(0)
	v_mul_f32_e32 v145, v141, v218
	v_fma_f32 v2, v127, v203, -v2
	v_fmac_f32_e32 v145, v142, v217
	v_add_f32_e32 v1, v1, v2
	v_mul_f32_e32 v2, v130, v206
	v_add_f32_e32 v12, v12, v145
	ds_read2_b64 v[145:148], v96 offset0:77 offset1:78
	v_fma_f32 v2, v129, v205, -v2
	v_add_f32_e32 v1, v1, v2
	v_mul_f32_e32 v2, v132, v208
	s_waitcnt vmcnt(36)
	v_mul_f32_e32 v149, v143, v220
	v_fma_f32 v2, v131, v207, -v2
	v_fmac_f32_e32 v149, v144, v219
	v_add_f32_e32 v1, v1, v2
	v_mul_f32_e32 v2, v134, v210
	v_add_f32_e32 v12, v12, v149
	ds_read2_b64 v[149:152], v96 offset0:79 offset1:80
	v_fma_f32 v2, v133, v209, -v2
	s_waitcnt vmcnt(34) lgkmcnt(1)
	v_mul_f32_e32 v153, v145, v222
	v_add_f32_e32 v1, v1, v2
	v_mul_f32_e32 v2, v136, v212
	v_fmac_f32_e32 v153, v146, v221
	v_fma_f32 v2, v135, v211, -v2
	v_add_f32_e32 v12, v12, v153
	s_waitcnt vmcnt(33)
	v_mul_f32_e32 v153, v147, v223
	v_add_f32_e32 v1, v1, v2
	v_mul_f32_e32 v2, v138, v214
	s_waitcnt vmcnt(30)
	v_fmac_f32_e32 v153, v148, v226
	v_fma_f32 v2, v137, v213, -v2
	v_add_f32_e32 v12, v12, v153
	s_waitcnt lgkmcnt(0)
	v_mul_f32_e32 v153, v149, v225
	v_add_f32_e32 v1, v1, v2
	v_mul_f32_e32 v2, v140, v216
	v_fmac_f32_e32 v153, v150, v224
	v_fma_f32 v2, v139, v215, -v2
	v_add_f32_e32 v12, v12, v153
	ds_read2_b64 v[153:156], v96 offset0:81 offset1:82
	v_add_f32_e32 v1, v1, v2
	v_mul_f32_e32 v2, v142, v218
	v_fma_f32 v2, v141, v217, -v2
	s_waitcnt vmcnt(28)
	v_mul_f32_e32 v157, v151, v228
	v_add_f32_e32 v1, v1, v2
	v_mul_f32_e32 v2, v144, v220
	v_fmac_f32_e32 v157, v152, v227
	v_fma_f32 v2, v143, v219, -v2
	v_add_f32_e32 v12, v12, v157
	ds_read2_b64 v[157:160], v96 offset0:83 offset1:84
	v_add_f32_e32 v1, v1, v2
	v_mul_f32_e32 v2, v146, v222
	s_waitcnt vmcnt(26) lgkmcnt(1)
	v_mul_f32_e32 v161, v153, v230
	v_fma_f32 v2, v145, v221, -v2
	v_fmac_f32_e32 v161, v154, v229
	v_add_f32_e32 v1, v1, v2
	v_mul_f32_e32 v2, v148, v223
	v_add_f32_e32 v12, v12, v161
	s_waitcnt vmcnt(25)
	v_mul_f32_e32 v161, v155, v231
	v_fma_f32 v2, v147, v226, -v2
	s_waitcnt vmcnt(22)
	v_fmac_f32_e32 v161, v156, v234
	v_add_f32_e32 v1, v1, v2
	v_mul_f32_e32 v2, v150, v225
	v_add_f32_e32 v12, v12, v161
	s_waitcnt lgkmcnt(0)
	v_mul_f32_e32 v161, v157, v233
	v_fma_f32 v2, v149, v224, -v2
	v_fmac_f32_e32 v161, v158, v232
	v_add_f32_e32 v1, v1, v2
	v_mul_f32_e32 v2, v152, v228
	v_add_f32_e32 v12, v12, v161
	ds_read2_b64 v[161:164], v96 offset0:85 offset1:86
	v_fma_f32 v2, v151, v227, -v2
	v_add_f32_e32 v1, v1, v2
	v_mul_f32_e32 v2, v154, v230
	s_waitcnt vmcnt(20)
	v_mul_f32_e32 v165, v159, v236
	v_fma_f32 v2, v153, v229, -v2
	v_fmac_f32_e32 v165, v160, v235
	v_add_f32_e32 v1, v1, v2
	v_mul_f32_e32 v2, v156, v231
	v_add_f32_e32 v12, v12, v165
	ds_read2_b64 v[165:168], v96 offset0:87 offset1:88
	v_fma_f32 v2, v155, v234, -v2
	s_waitcnt vmcnt(18) lgkmcnt(1)
	v_mul_f32_e32 v169, v161, v238
	v_add_f32_e32 v1, v1, v2
	v_mul_f32_e32 v2, v158, v233
	v_fmac_f32_e32 v169, v162, v237
	v_fma_f32 v2, v157, v232, -v2
	v_add_f32_e32 v12, v12, v169
	s_waitcnt vmcnt(17)
	v_mul_f32_e32 v169, v163, v239
	v_add_f32_e32 v1, v1, v2
	v_mul_f32_e32 v2, v160, v236
	s_waitcnt vmcnt(14)
	v_fmac_f32_e32 v169, v164, v242
	v_fma_f32 v2, v159, v235, -v2
	v_add_f32_e32 v12, v12, v169
	s_waitcnt lgkmcnt(0)
	v_mul_f32_e32 v169, v165, v241
	v_add_f32_e32 v1, v1, v2
	v_mul_f32_e32 v2, v162, v238
	v_fmac_f32_e32 v169, v166, v240
	v_fma_f32 v2, v161, v237, -v2
	v_add_f32_e32 v12, v12, v169
	ds_read2_b64 v[169:172], v96 offset0:89 offset1:90
	v_add_f32_e32 v1, v1, v2
	v_mul_f32_e32 v2, v164, v239
	v_fma_f32 v2, v163, v242, -v2
	v_add_f32_e32 v1, v1, v2
	v_mul_f32_e32 v2, v166, v241
	s_waitcnt vmcnt(12)
	v_mul_f32_e32 v173, v167, v244
	v_fma_f32 v2, v165, v240, -v2
	v_fmac_f32_e32 v173, v168, v243
	v_add_f32_e32 v1, v1, v2
	v_mul_f32_e32 v2, v168, v244
	v_add_f32_e32 v12, v12, v173
	ds_read2_b64 v[173:176], v96 offset0:91 offset1:92
	s_waitcnt vmcnt(10) lgkmcnt(1)
	v_mul_f32_e32 v177, v169, v246
	v_fma_f32 v2, v167, v243, -v2
	v_fmac_f32_e32 v177, v170, v245
	v_add_f32_e32 v1, v1, v2
	v_mul_f32_e32 v2, v170, v246
	v_add_f32_e32 v12, v12, v177
	s_waitcnt vmcnt(9)
	v_mul_f32_e32 v177, v171, v247
	v_fma_f32 v2, v169, v245, -v2
	s_waitcnt vmcnt(6)
	v_fmac_f32_e32 v177, v172, v250
	v_add_f32_e32 v1, v1, v2
	v_mul_f32_e32 v2, v172, v247
	v_add_f32_e32 v12, v12, v177
	ds_read2_b64 v[177:180], v96 offset0:93 offset1:94
	v_fma_f32 v2, v171, v250, -v2
	v_add_f32_e32 v1, v1, v2
	s_waitcnt lgkmcnt(1)
	v_mul_f32_e32 v2, v174, v249
	v_mul_f32_e32 v13, v173, v249
	v_fma_f32 v2, v173, v248, -v2
	v_fmac_f32_e32 v13, v174, v248
	v_add_f32_e32 v1, v1, v2
	s_waitcnt vmcnt(4)
	v_mul_f32_e32 v2, v176, v252
	v_add_f32_e32 v12, v12, v13
	v_mul_f32_e32 v13, v175, v252
	v_fma_f32 v2, v175, v251, -v2
	v_fmac_f32_e32 v13, v176, v251
	v_add_f32_e32 v1, v1, v2
	s_waitcnt vmcnt(3) lgkmcnt(0)
	v_mul_f32_e32 v2, v178, v253
	v_add_f32_e32 v12, v12, v13
	v_mul_f32_e32 v13, v177, v253
	s_waitcnt vmcnt(0)
	v_fma_f32 v2, v177, v11, -v2
	v_fmac_f32_e32 v13, v178, v11
	v_add_f32_e32 v1, v1, v2
	v_mul_f32_e32 v2, v180, v255
	v_add_f32_e32 v12, v12, v13
	v_mul_f32_e32 v13, v179, v255
	v_fma_f32 v2, v179, v254, -v2
	v_fmac_f32_e32 v13, v180, v254
	v_add_f32_e32 v1, v1, v2
	v_add_f32_e32 v12, v12, v13
	v_sub_f32_e32 v1, v201, v1
	v_sub_f32_e32 v2, v202, v12
	buffer_store_dword v1, off, s[0:3], 0 offset:32
	buffer_store_dword v2, off, s[0:3], 0 offset:36
	s_and_saveexec_b64 s[4:5], vcc
	s_cbranch_execz .LBB46_289
; %bb.288:
	buffer_load_dword v96, off, s[0:3], 0 offset:24
	buffer_load_dword v97, off, s[0:3], 0 offset:28
	v_mov_b32_e32 v1, 0
	buffer_store_dword v1, off, s[0:3], 0 offset:24
	buffer_store_dword v1, off, s[0:3], 0 offset:28
	s_waitcnt vmcnt(2)
	ds_write_b64 v95, v[96:97]
.LBB46_289:
	s_or_b64 exec, exec, s[4:5]
	s_waitcnt lgkmcnt(0)
	; wave barrier
	buffer_load_dword v105, off, s[0:3], 0 offset:36
	buffer_load_dword v104, off, s[0:3], 0 offset:44
	;; [unrolled: 1-line block ×48, first 2 shown]
	v_mov_b32_e32 v96, 0
	ds_read_b128 v[111:114], v96 offset:416
	ds_read_b128 v[115:118], v96 offset:432
	;; [unrolled: 1-line block ×6, first 2 shown]
	buffer_load_dword v217, off, s[0:3], 0 offset:216
	buffer_load_dword v218, off, s[0:3], 0 offset:220
	v_cmp_lt_u32_e32 vcc, 2, v0
	s_waitcnt vmcnt(49) lgkmcnt(5)
	v_mul_f32_e32 v135, v111, v105
	s_waitcnt vmcnt(48)
	v_mul_f32_e32 v136, v113, v104
	s_waitcnt vmcnt(47) lgkmcnt(4)
	v_mul_f32_e32 v137, v115, v103
	s_waitcnt vmcnt(46)
	v_mul_f32_e32 v138, v117, v102
	;; [unrolled: 4-line block ×6, first 2 shown]
	s_waitcnt vmcnt(37)
	v_fmac_f32_e32 v137, v116, v1
	s_waitcnt vmcnt(36)
	v_fmac_f32_e32 v136, v114, v2
	;; [unrolled: 2-line block ×3, first 2 shown]
	v_add_f32_e32 v135, 0, v135
	v_add_f32_e32 v135, v135, v136
	;; [unrolled: 1-line block ×3, first 2 shown]
	s_waitcnt vmcnt(31)
	v_fmac_f32_e32 v138, v118, v7
	v_fmac_f32_e32 v139, v120, v6
	v_add_f32_e32 v135, v135, v138
	v_fmac_f32_e32 v140, v122, v5
	v_add_f32_e32 v135, v135, v139
	;; [unrolled: 2-line block ×3, first 2 shown]
	s_waitcnt vmcnt(27)
	v_fmac_f32_e32 v142, v126, v11
	v_add_f32_e32 v135, v135, v141
	v_fmac_f32_e32 v143, v128, v10
	v_add_f32_e32 v135, v135, v142
	;; [unrolled: 2-line block ×4, first 2 shown]
	v_add_f32_e32 v139, v135, v145
	ds_read_b128 v[135:138], v96 offset:512
	buffer_load_dword v219, off, s[0:3], 0 offset:224
	buffer_load_dword v220, off, s[0:3], 0 offset:228
	;; [unrolled: 1-line block ×6, first 2 shown]
	s_waitcnt vmcnt(28)
	v_fmac_f32_e32 v146, v134, v198
	v_add_f32_e32 v143, v139, v146
	ds_read_b128 v[139:142], v96 offset:528
	buffer_load_dword v225, off, s[0:3], 0 offset:248
	buffer_load_dword v226, off, s[0:3], 0 offset:252
	;; [unrolled: 1-line block ×8, first 2 shown]
	s_waitcnt vmcnt(35) lgkmcnt(1)
	v_mul_f32_e32 v144, v135, v199
	buffer_load_dword v233, off, s[0:3], 0 offset:280
	buffer_load_dword v234, off, s[0:3], 0 offset:284
	v_fmac_f32_e32 v144, v136, v197
	v_add_f32_e32 v143, v143, v144
	s_waitcnt vmcnt(36)
	v_mul_f32_e32 v144, v137, v200
	v_fmac_f32_e32 v144, v138, v14
	v_add_f32_e32 v143, v143, v144
	s_waitcnt lgkmcnt(0)
	v_mul_f32_e32 v144, v139, v13
	v_fmac_f32_e32 v144, v140, v12
	v_add_f32_e32 v147, v143, v144
	ds_read_b128 v[143:146], v96 offset:544
	buffer_load_dword v235, off, s[0:3], 0 offset:288
	buffer_load_dword v236, off, s[0:3], 0 offset:292
	;; [unrolled: 1-line block ×6, first 2 shown]
	s_waitcnt vmcnt(38)
	v_mul_f32_e32 v148, v141, v202
	v_fmac_f32_e32 v148, v142, v201
	v_add_f32_e32 v151, v147, v148
	ds_read_b128 v[147:150], v96 offset:560
	buffer_load_dword v241, off, s[0:3], 0 offset:312
	buffer_load_dword v242, off, s[0:3], 0 offset:316
	;; [unrolled: 1-line block ×16, first 2 shown]
	s_waitcnt vmcnt(52) lgkmcnt(1)
	v_mul_f32_e32 v152, v143, v204
	v_fmac_f32_e32 v152, v144, v203
	v_add_f32_e32 v151, v151, v152
	s_waitcnt vmcnt(50)
	v_mul_f32_e32 v152, v145, v206
	v_fmac_f32_e32 v152, v146, v205
	v_add_f32_e32 v151, v151, v152
	s_waitcnt vmcnt(48) lgkmcnt(0)
	v_mul_f32_e32 v152, v147, v208
	v_fmac_f32_e32 v152, v148, v207
	v_add_f32_e32 v155, v151, v152
	ds_read_b128 v[151:154], v96 offset:576
	s_waitcnt vmcnt(46)
	v_mul_f32_e32 v16, v149, v210
	v_fmac_f32_e32 v16, v150, v209
	v_add_f32_e32 v16, v155, v16
	ds_read_b128 v[155:158], v96 offset:592
	s_waitcnt vmcnt(44) lgkmcnt(1)
	v_mul_f32_e32 v159, v151, v212
	v_fmac_f32_e32 v159, v152, v211
	v_add_f32_e32 v16, v16, v159
	s_waitcnt vmcnt(42)
	v_mul_f32_e32 v159, v153, v214
	v_fmac_f32_e32 v159, v154, v213
	v_add_f32_e32 v16, v16, v159
	s_waitcnt vmcnt(40) lgkmcnt(0)
	v_mul_f32_e32 v159, v155, v216
	v_fmac_f32_e32 v159, v156, v215
	v_add_f32_e32 v16, v16, v159
	ds_read_b128 v[159:162], v96 offset:608
	s_waitcnt vmcnt(38)
	v_mul_f32_e32 v163, v157, v218
	v_fmac_f32_e32 v163, v158, v217
	v_add_f32_e32 v16, v16, v163
	ds_read_b128 v[163:166], v96 offset:624
	s_waitcnt vmcnt(36) lgkmcnt(1)
	v_mul_f32_e32 v167, v159, v220
	v_fmac_f32_e32 v167, v160, v219
	v_add_f32_e32 v16, v16, v167
	s_waitcnt vmcnt(35)
	v_mul_f32_e32 v167, v161, v221
	s_waitcnt vmcnt(32)
	v_fmac_f32_e32 v167, v162, v224
	v_add_f32_e32 v16, v16, v167
	s_waitcnt lgkmcnt(0)
	v_mul_f32_e32 v167, v163, v223
	v_fmac_f32_e32 v167, v164, v222
	v_add_f32_e32 v16, v16, v167
	ds_read_b128 v[167:170], v96 offset:640
	s_waitcnt vmcnt(30)
	v_mul_f32_e32 v171, v165, v226
	v_fmac_f32_e32 v171, v166, v225
	v_add_f32_e32 v16, v16, v171
	ds_read_b128 v[171:174], v96 offset:656
	s_waitcnt vmcnt(28) lgkmcnt(1)
	v_mul_f32_e32 v175, v167, v228
	v_fmac_f32_e32 v175, v168, v227
	v_add_f32_e32 v16, v16, v175
	s_waitcnt vmcnt(27)
	v_mul_f32_e32 v175, v169, v229
	s_waitcnt vmcnt(24)
	v_fmac_f32_e32 v175, v170, v232
	v_add_f32_e32 v16, v16, v175
	s_waitcnt lgkmcnt(0)
	;; [unrolled: 19-line block ×4, first 2 shown]
	v_mul_f32_e32 v191, v187, v247
	v_fmac_f32_e32 v191, v188, v246
	v_add_f32_e32 v16, v16, v191
	ds_read_b128 v[191:194], v96 offset:736
	s_waitcnt vmcnt(6)
	v_mul_f32_e32 v195, v189, v250
	v_fmac_f32_e32 v195, v190, v249
	v_add_f32_e32 v16, v16, v195
	ds_read_b64 v[195:196], v96 offset:752
	s_waitcnt vmcnt(4) lgkmcnt(1)
	v_mul_f32_e32 v17, v191, v252
	v_fmac_f32_e32 v17, v192, v251
	v_add_f32_e32 v16, v16, v17
	s_waitcnt vmcnt(3)
	v_mul_f32_e32 v17, v193, v253
	s_waitcnt vmcnt(0)
	v_fmac_f32_e32 v17, v194, v15
	v_add_f32_e32 v16, v16, v17
	s_waitcnt lgkmcnt(0)
	v_mul_f32_e32 v17, v195, v255
	v_fmac_f32_e32 v17, v196, v254
	v_add_f32_e32 v16, v16, v17
	v_mul_f32_e32 v17, v112, v105
	v_fma_f32 v3, v111, v3, -v17
	v_mul_f32_e32 v17, v114, v104
	v_add_f32_e32 v3, 0, v3
	v_fma_f32 v2, v113, v2, -v17
	v_add_f32_e32 v2, v3, v2
	v_mul_f32_e32 v3, v116, v103
	v_fma_f32 v1, v115, v1, -v3
	v_add_f32_e32 v1, v2, v1
	v_mul_f32_e32 v2, v118, v102
	;; [unrolled: 3-line block ×41, first 2 shown]
	v_fma_f32 v2, v195, v254, -v2
	v_add_f32_e32 v1, v1, v2
	v_sub_f32_e32 v1, v97, v1
	v_sub_f32_e32 v2, v98, v16
	buffer_store_dword v1, off, s[0:3], 0 offset:24
	buffer_store_dword v2, off, s[0:3], 0 offset:28
	s_and_saveexec_b64 s[4:5], vcc
	s_cbranch_execz .LBB46_291
; %bb.290:
	buffer_load_dword v97, off, s[0:3], 0 offset:16
	buffer_load_dword v98, off, s[0:3], 0 offset:20
	s_waitcnt vmcnt(0)
	ds_write_b64 v95, v[97:98]
	buffer_store_dword v96, off, s[0:3], 0 offset:16
	buffer_store_dword v96, off, s[0:3], 0 offset:20
.LBB46_291:
	s_or_b64 exec, exec, s[4:5]
	s_waitcnt lgkmcnt(0)
	; wave barrier
	buffer_load_dword v105, off, s[0:3], 0 offset:28
	buffer_load_dword v104, off, s[0:3], 0 offset:36
	;; [unrolled: 1-line block ×32, first 2 shown]
	ds_read2_b64 v[111:114], v96 offset0:51 offset1:52
	ds_read2_b64 v[115:118], v96 offset0:53 offset1:54
	;; [unrolled: 1-line block ×4, first 2 shown]
	buffer_load_dword v199, off, s[0:3], 0 offset:144
	buffer_load_dword v200, off, s[0:3], 0 offset:148
	ds_read2_b64 v[127:130], v96 offset0:59 offset1:60
	ds_read2_b64 v[131:134], v96 offset0:61 offset1:62
	;; [unrolled: 1-line block ×3, first 2 shown]
	buffer_load_dword v201, off, s[0:3], 0 offset:152
	buffer_load_dword v202, off, s[0:3], 0 offset:156
	;; [unrolled: 1-line block ×16, first 2 shown]
	v_cmp_lt_u32_e32 vcc, 1, v0
	s_waitcnt vmcnt(49) lgkmcnt(6)
	v_mul_f32_e32 v139, v111, v105
	s_waitcnt vmcnt(48)
	v_mul_f32_e32 v140, v113, v104
	s_waitcnt vmcnt(47) lgkmcnt(5)
	v_mul_f32_e32 v141, v115, v103
	s_waitcnt vmcnt(46)
	v_mul_f32_e32 v142, v117, v102
	;; [unrolled: 4-line block ×6, first 2 shown]
	s_waitcnt vmcnt(37)
	v_fmac_f32_e32 v141, v116, v1
	s_waitcnt vmcnt(36)
	v_fmac_f32_e32 v140, v114, v2
	;; [unrolled: 2-line block ×3, first 2 shown]
	v_add_f32_e32 v139, 0, v139
	v_add_f32_e32 v139, v139, v140
	;; [unrolled: 1-line block ×3, first 2 shown]
	s_waitcnt vmcnt(31)
	v_fmac_f32_e32 v142, v118, v7
	v_fmac_f32_e32 v143, v120, v6
	v_add_f32_e32 v139, v139, v142
	v_fmac_f32_e32 v144, v122, v5
	v_add_f32_e32 v139, v139, v143
	;; [unrolled: 2-line block ×3, first 2 shown]
	s_waitcnt vmcnt(27)
	v_fmac_f32_e32 v146, v126, v11
	v_add_f32_e32 v139, v139, v145
	v_fmac_f32_e32 v147, v128, v10
	v_add_f32_e32 v139, v139, v146
	;; [unrolled: 2-line block ×4, first 2 shown]
	s_waitcnt vmcnt(23)
	v_fmac_f32_e32 v150, v134, v15
	v_add_f32_e32 v139, v139, v149
	v_add_f32_e32 v143, v139, v150
	ds_read2_b64 v[139:142], v96 offset0:65 offset1:66
	buffer_load_dword v217, off, s[0:3], 0 offset:216
	buffer_load_dword v218, off, s[0:3], 0 offset:220
	;; [unrolled: 1-line block ×14, first 2 shown]
	s_waitcnt vmcnt(36) lgkmcnt(1)
	v_mul_f32_e32 v144, v135, v16
	buffer_load_dword v231, off, s[0:3], 0 offset:272
	buffer_load_dword v232, off, s[0:3], 0 offset:276
	v_fmac_f32_e32 v144, v136, v14
	v_add_f32_e32 v143, v143, v144
	s_waitcnt vmcnt(37)
	v_mul_f32_e32 v144, v137, v17
	v_fmac_f32_e32 v144, v138, v13
	v_add_f32_e32 v143, v143, v144
	s_waitcnt vmcnt(36) lgkmcnt(0)
	v_mul_f32_e32 v144, v139, v18
	v_fmac_f32_e32 v144, v140, v12
	v_add_f32_e32 v147, v143, v144
	ds_read2_b64 v[143:146], v96 offset0:67 offset1:68
	buffer_load_dword v233, off, s[0:3], 0 offset:280
	buffer_load_dword v234, off, s[0:3], 0 offset:284
	;; [unrolled: 1-line block ×6, first 2 shown]
	s_waitcnt vmcnt(38)
	v_mul_f32_e32 v148, v141, v200
	v_fmac_f32_e32 v148, v142, v199
	v_add_f32_e32 v151, v147, v148
	ds_read2_b64 v[147:150], v96 offset0:69 offset1:70
	buffer_load_dword v239, off, s[0:3], 0 offset:304
	buffer_load_dword v240, off, s[0:3], 0 offset:308
	;; [unrolled: 1-line block ×10, first 2 shown]
	s_waitcnt vmcnt(46) lgkmcnt(1)
	v_mul_f32_e32 v152, v143, v202
	v_fmac_f32_e32 v152, v144, v201
	v_add_f32_e32 v151, v151, v152
	s_waitcnt vmcnt(44)
	v_mul_f32_e32 v152, v145, v204
	v_fmac_f32_e32 v152, v146, v203
	v_add_f32_e32 v151, v151, v152
	s_waitcnt vmcnt(42) lgkmcnt(0)
	v_mul_f32_e32 v152, v147, v206
	buffer_load_dword v249, off, s[0:3], 0 offset:344
	buffer_load_dword v250, off, s[0:3], 0 offset:348
	;; [unrolled: 1-line block ×6, first 2 shown]
	v_fmac_f32_e32 v152, v148, v205
	s_waitcnt vmcnt(46)
	v_mul_f32_e32 v156, v149, v208
	v_add_f32_e32 v155, v151, v152
	v_fmac_f32_e32 v156, v150, v207
	ds_read2_b64 v[151:154], v96 offset0:71 offset1:72
	v_add_f32_e32 v159, v155, v156
	ds_read2_b64 v[155:158], v96 offset0:73 offset1:74
	buffer_load_dword v255, off, s[0:3], 0 offset:368
	buffer_load_dword v19, off, s[0:3], 0 offset:372
	s_waitcnt vmcnt(46) lgkmcnt(1)
	v_mul_f32_e32 v20, v151, v210
	v_fmac_f32_e32 v20, v152, v209
	v_add_f32_e32 v20, v159, v20
	s_waitcnt vmcnt(44)
	v_mul_f32_e32 v159, v153, v212
	v_fmac_f32_e32 v159, v154, v211
	v_add_f32_e32 v20, v20, v159
	s_waitcnt vmcnt(42) lgkmcnt(0)
	v_mul_f32_e32 v159, v155, v214
	v_fmac_f32_e32 v159, v156, v213
	v_add_f32_e32 v20, v20, v159
	ds_read2_b64 v[159:162], v96 offset0:75 offset1:76
	s_waitcnt vmcnt(40)
	v_mul_f32_e32 v163, v157, v216
	v_fmac_f32_e32 v163, v158, v215
	v_add_f32_e32 v20, v20, v163
	ds_read2_b64 v[163:166], v96 offset0:77 offset1:78
	s_waitcnt vmcnt(38) lgkmcnt(1)
	v_mul_f32_e32 v167, v159, v218
	v_fmac_f32_e32 v167, v160, v217
	v_add_f32_e32 v20, v20, v167
	s_waitcnt vmcnt(37)
	v_mul_f32_e32 v167, v161, v219
	s_waitcnt vmcnt(34)
	v_fmac_f32_e32 v167, v162, v222
	v_add_f32_e32 v20, v20, v167
	s_waitcnt lgkmcnt(0)
	v_mul_f32_e32 v167, v163, v221
	v_fmac_f32_e32 v167, v164, v220
	v_add_f32_e32 v20, v20, v167
	ds_read2_b64 v[167:170], v96 offset0:79 offset1:80
	s_waitcnt vmcnt(32)
	v_mul_f32_e32 v171, v165, v224
	v_fmac_f32_e32 v171, v166, v223
	v_add_f32_e32 v20, v20, v171
	ds_read2_b64 v[171:174], v96 offset0:81 offset1:82
	s_waitcnt vmcnt(30) lgkmcnt(1)
	v_mul_f32_e32 v175, v167, v226
	v_fmac_f32_e32 v175, v168, v225
	v_add_f32_e32 v20, v20, v175
	s_waitcnt vmcnt(29)
	v_mul_f32_e32 v175, v169, v227
	s_waitcnt vmcnt(26)
	v_fmac_f32_e32 v175, v170, v230
	v_add_f32_e32 v20, v20, v175
	s_waitcnt lgkmcnt(0)
	;; [unrolled: 19-line block ×5, first 2 shown]
	v_mul_f32_e32 v96, v195, v253
	v_fmac_f32_e32 v96, v196, v252
	v_add_f32_e32 v20, v20, v96
	s_waitcnt vmcnt(0)
	v_mul_f32_e32 v96, v197, v19
	v_fmac_f32_e32 v96, v198, v255
	v_add_f32_e32 v20, v20, v96
	v_mul_f32_e32 v96, v112, v105
	v_fma_f32 v3, v111, v3, -v96
	v_mul_f32_e32 v96, v114, v104
	v_add_f32_e32 v3, 0, v3
	v_fma_f32 v2, v113, v2, -v96
	v_add_f32_e32 v2, v3, v2
	v_mul_f32_e32 v3, v116, v103
	v_fma_f32 v1, v115, v1, -v3
	v_add_f32_e32 v1, v2, v1
	v_mul_f32_e32 v2, v118, v102
	;; [unrolled: 3-line block ×42, first 2 shown]
	v_fma_f32 v2, v197, v255, -v2
	v_add_f32_e32 v1, v1, v2
	v_sub_f32_e32 v1, v97, v1
	v_sub_f32_e32 v2, v98, v20
	buffer_store_dword v1, off, s[0:3], 0 offset:16
	buffer_store_dword v2, off, s[0:3], 0 offset:20
	s_and_saveexec_b64 s[4:5], vcc
	s_cbranch_execz .LBB46_293
; %bb.292:
	buffer_load_dword v96, off, s[0:3], 0 offset:8
	buffer_load_dword v97, off, s[0:3], 0 offset:12
	v_mov_b32_e32 v1, 0
	buffer_store_dword v1, off, s[0:3], 0 offset:8
	buffer_store_dword v1, off, s[0:3], 0 offset:12
	s_waitcnt vmcnt(2)
	ds_write_b64 v95, v[96:97]
.LBB46_293:
	s_or_b64 exec, exec, s[4:5]
	s_waitcnt lgkmcnt(0)
	; wave barrier
	buffer_load_dword v1, off, s[0:3], 0 offset:20
	buffer_load_dword v2, off, s[0:3], 0 offset:28
	;; [unrolled: 1-line block ×48, first 2 shown]
	v_mov_b32_e32 v96, 0
	ds_read_b128 v[99:102], v96 offset:400
	ds_read_b128 v[103:106], v96 offset:416
	;; [unrolled: 1-line block ×7, first 2 shown]
	v_cmp_ne_u32_e32 vcc, 0, v0
	s_waitcnt vmcnt(47) lgkmcnt(6)
	v_mul_f32_e32 v127, v99, v1
	s_waitcnt vmcnt(46)
	v_mul_f32_e32 v128, v101, v2
	s_waitcnt vmcnt(45) lgkmcnt(5)
	v_mul_f32_e32 v129, v103, v3
	s_waitcnt vmcnt(44)
	v_mul_f32_e32 v130, v105, v4
	;; [unrolled: 4-line block ×6, first 2 shown]
	s_waitcnt vmcnt(35)
	v_fmac_f32_e32 v129, v104, v13
	s_waitcnt vmcnt(34)
	v_fmac_f32_e32 v128, v102, v14
	;; [unrolled: 2-line block ×3, first 2 shown]
	v_add_f32_e32 v127, 0, v127
	v_add_f32_e32 v127, v127, v128
	;; [unrolled: 1-line block ×3, first 2 shown]
	s_waitcnt vmcnt(29)
	v_fmac_f32_e32 v130, v106, v19
	v_fmac_f32_e32 v131, v108, v18
	v_add_f32_e32 v127, v127, v130
	v_fmac_f32_e32 v132, v110, v17
	v_add_f32_e32 v127, v127, v131
	;; [unrolled: 2-line block ×3, first 2 shown]
	s_waitcnt vmcnt(25)
	v_fmac_f32_e32 v134, v114, v191
	v_add_f32_e32 v127, v127, v133
	v_fmac_f32_e32 v135, v116, v190
	v_add_f32_e32 v127, v127, v134
	;; [unrolled: 2-line block ×4, first 2 shown]
	s_waitcnt vmcnt(21)
	v_fmac_f32_e32 v138, v122, v195
	v_add_f32_e32 v127, v127, v137
	v_add_f32_e32 v131, v127, v138
	ds_read_b128 v[127:130], v96 offset:512
	buffer_load_dword v215, off, s[0:3], 0 offset:200
	buffer_load_dword v216, off, s[0:3], 0 offset:204
	buffer_load_dword v217, off, s[0:3], 0 offset:208
	buffer_load_dword v218, off, s[0:3], 0 offset:212
	buffer_load_dword v219, off, s[0:3], 0 offset:220
	buffer_load_dword v220, off, s[0:3], 0 offset:224
	buffer_load_dword v221, off, s[0:3], 0 offset:228
	buffer_load_dword v222, off, s[0:3], 0 offset:216
	buffer_load_dword v223, off, s[0:3], 0 offset:232
	buffer_load_dword v224, off, s[0:3], 0 offset:236
	s_waitcnt vmcnt(30) lgkmcnt(1)
	v_mul_f32_e32 v132, v123, v196
	v_fmac_f32_e32 v132, v124, v194
	buffer_load_dword v225, off, s[0:3], 0 offset:240
	buffer_load_dword v226, off, s[0:3], 0 offset:244
	;; [unrolled: 1-line block ×6, first 2 shown]
	v_add_f32_e32 v131, v131, v132
	s_waitcnt vmcnt(35)
	v_mul_f32_e32 v132, v125, v197
	v_fmac_f32_e32 v132, v126, v193
	v_add_f32_e32 v131, v131, v132
	s_waitcnt vmcnt(34) lgkmcnt(0)
	v_mul_f32_e32 v132, v127, v198
	v_fmac_f32_e32 v132, v128, v192
	v_add_f32_e32 v135, v131, v132
	ds_read_b128 v[131:134], v96 offset:528
	buffer_load_dword v231, off, s[0:3], 0 offset:264
	buffer_load_dword v232, off, s[0:3], 0 offset:268
	s_waitcnt vmcnt(32)
	v_mul_f32_e32 v136, v129, v200
	v_fmac_f32_e32 v136, v130, v199
	v_add_f32_e32 v139, v135, v136
	ds_read_b128 v[135:138], v96 offset:544
	buffer_load_dword v233, off, s[0:3], 0 offset:272
	buffer_load_dword v234, off, s[0:3], 0 offset:276
	;; [unrolled: 1-line block ×14, first 2 shown]
	s_waitcnt vmcnt(44) lgkmcnt(1)
	v_mul_f32_e32 v140, v131, v202
	v_fmac_f32_e32 v140, v132, v201
	buffer_load_dword v247, off, s[0:3], 0 offset:328
	buffer_load_dword v248, off, s[0:3], 0 offset:332
	v_add_f32_e32 v139, v139, v140
	s_waitcnt vmcnt(44)
	v_mul_f32_e32 v140, v133, v204
	v_fmac_f32_e32 v140, v134, v203
	v_add_f32_e32 v139, v139, v140
	s_waitcnt vmcnt(42) lgkmcnt(0)
	v_mul_f32_e32 v140, v135, v206
	v_fmac_f32_e32 v140, v136, v205
	v_mul_f32_e32 v1, v100, v1
	v_add_f32_e32 v143, v139, v140
	ds_read_b128 v[139:142], v96 offset:560
	buffer_load_dword v249, off, s[0:3], 0 offset:336
	buffer_load_dword v250, off, s[0:3], 0 offset:340
	;; [unrolled: 1-line block ×6, first 2 shown]
	v_fma_f32 v1, v99, v15, -v1
	v_mul_f32_e32 v2, v102, v2
	v_add_f32_e32 v1, 0, v1
	v_fma_f32 v2, v101, v14, -v2
	v_add_f32_e32 v1, v1, v2
	v_mul_f32_e32 v2, v104, v3
	s_waitcnt vmcnt(46)
	v_mul_f32_e32 v144, v137, v208
	v_fma_f32 v2, v103, v13, -v2
	v_fmac_f32_e32 v144, v138, v207
	v_add_f32_e32 v1, v1, v2
	v_mul_f32_e32 v2, v106, v4
	v_add_f32_e32 v147, v143, v144
	ds_read_b128 v[143:146], v96 offset:576
	buffer_load_dword v255, off, s[0:3], 0 offset:364
	buffer_load_dword v21, off, s[0:3], 0 offset:368
	buffer_load_dword v22, off, s[0:3], 0 offset:372
	buffer_load_dword v23, off, s[0:3], 0 offset:360
	v_fma_f32 v2, v105, v19, -v2
	v_add_f32_e32 v1, v1, v2
	v_mul_f32_e32 v2, v108, v5
	v_fma_f32 v2, v107, v18, -v2
	v_add_f32_e32 v1, v1, v2
	v_mul_f32_e32 v2, v110, v6
	;; [unrolled: 3-line block ×8, first 2 shown]
	v_fma_f32 v2, v121, v195, -v2
	s_waitcnt vmcnt(48) lgkmcnt(1)
	v_mul_f32_e32 v148, v139, v210
	v_add_f32_e32 v1, v1, v2
	v_mul_f32_e32 v2, v124, v196
	v_fmac_f32_e32 v148, v140, v209
	v_fma_f32 v2, v123, v194, -v2
	v_add_f32_e32 v24, v147, v148
	s_waitcnt vmcnt(46)
	v_mul_f32_e32 v147, v141, v212
	v_add_f32_e32 v1, v1, v2
	v_mul_f32_e32 v2, v126, v197
	v_fmac_f32_e32 v147, v142, v211
	v_fma_f32 v2, v125, v193, -v2
	v_add_f32_e32 v24, v24, v147
	s_waitcnt vmcnt(44) lgkmcnt(0)
	v_mul_f32_e32 v147, v143, v214
	v_add_f32_e32 v1, v1, v2
	v_mul_f32_e32 v2, v128, v198
	v_fmac_f32_e32 v147, v144, v213
	v_fma_f32 v2, v127, v192, -v2
	v_add_f32_e32 v24, v24, v147
	ds_read_b128 v[147:150], v96 offset:592
	v_add_f32_e32 v1, v1, v2
	v_mul_f32_e32 v2, v130, v200
	v_fma_f32 v2, v129, v199, -v2
	s_waitcnt vmcnt(42)
	v_mul_f32_e32 v151, v145, v216
	v_add_f32_e32 v1, v1, v2
	v_mul_f32_e32 v2, v132, v202
	v_fmac_f32_e32 v151, v146, v215
	v_fma_f32 v2, v131, v201, -v2
	v_add_f32_e32 v24, v24, v151
	ds_read_b128 v[151:154], v96 offset:608
	v_add_f32_e32 v1, v1, v2
	v_mul_f32_e32 v2, v134, v204
	s_waitcnt vmcnt(40) lgkmcnt(1)
	v_mul_f32_e32 v155, v147, v218
	v_fma_f32 v2, v133, v203, -v2
	v_fmac_f32_e32 v155, v148, v217
	v_add_f32_e32 v1, v1, v2
	v_mul_f32_e32 v2, v136, v206
	v_add_f32_e32 v24, v24, v155
	s_waitcnt vmcnt(39)
	v_mul_f32_e32 v155, v149, v219
	v_fma_f32 v2, v135, v205, -v2
	s_waitcnt vmcnt(36)
	v_fmac_f32_e32 v155, v150, v222
	v_add_f32_e32 v1, v1, v2
	v_mul_f32_e32 v2, v138, v208
	v_add_f32_e32 v24, v24, v155
	s_waitcnt lgkmcnt(0)
	v_mul_f32_e32 v155, v151, v221
	v_fma_f32 v2, v137, v207, -v2
	v_fmac_f32_e32 v155, v152, v220
	v_add_f32_e32 v1, v1, v2
	v_mul_f32_e32 v2, v140, v210
	v_add_f32_e32 v24, v24, v155
	ds_read_b128 v[155:158], v96 offset:624
	v_fma_f32 v2, v139, v209, -v2
	v_add_f32_e32 v1, v1, v2
	v_mul_f32_e32 v2, v142, v212
	s_waitcnt vmcnt(34)
	v_mul_f32_e32 v159, v153, v224
	v_fma_f32 v2, v141, v211, -v2
	v_fmac_f32_e32 v159, v154, v223
	v_add_f32_e32 v1, v1, v2
	v_mul_f32_e32 v2, v144, v214
	v_add_f32_e32 v24, v24, v159
	ds_read_b128 v[159:162], v96 offset:640
	v_fma_f32 v2, v143, v213, -v2
	s_waitcnt vmcnt(32) lgkmcnt(1)
	v_mul_f32_e32 v163, v155, v226
	v_add_f32_e32 v1, v1, v2
	v_mul_f32_e32 v2, v146, v216
	v_fmac_f32_e32 v163, v156, v225
	v_fma_f32 v2, v145, v215, -v2
	v_add_f32_e32 v24, v24, v163
	s_waitcnt vmcnt(31)
	v_mul_f32_e32 v163, v157, v227
	v_add_f32_e32 v1, v1, v2
	v_mul_f32_e32 v2, v148, v218
	s_waitcnt vmcnt(28)
	v_fmac_f32_e32 v163, v158, v230
	v_fma_f32 v2, v147, v217, -v2
	v_add_f32_e32 v24, v24, v163
	s_waitcnt lgkmcnt(0)
	v_mul_f32_e32 v163, v159, v229
	v_add_f32_e32 v1, v1, v2
	v_mul_f32_e32 v2, v150, v219
	v_fmac_f32_e32 v163, v160, v228
	v_fma_f32 v2, v149, v222, -v2
	v_add_f32_e32 v24, v24, v163
	ds_read_b128 v[163:166], v96 offset:656
	v_add_f32_e32 v1, v1, v2
	v_mul_f32_e32 v2, v152, v221
	v_fma_f32 v2, v151, v220, -v2
	s_waitcnt vmcnt(26)
	v_mul_f32_e32 v167, v161, v232
	v_add_f32_e32 v1, v1, v2
	v_mul_f32_e32 v2, v154, v224
	v_fmac_f32_e32 v167, v162, v231
	v_fma_f32 v2, v153, v223, -v2
	v_add_f32_e32 v24, v24, v167
	ds_read_b128 v[167:170], v96 offset:672
	v_add_f32_e32 v1, v1, v2
	v_mul_f32_e32 v2, v156, v226
	s_waitcnt vmcnt(24) lgkmcnt(1)
	v_mul_f32_e32 v171, v163, v234
	v_fma_f32 v2, v155, v225, -v2
	v_fmac_f32_e32 v171, v164, v233
	v_add_f32_e32 v1, v1, v2
	v_mul_f32_e32 v2, v158, v227
	v_add_f32_e32 v24, v24, v171
	s_waitcnt vmcnt(23)
	v_mul_f32_e32 v171, v165, v235
	v_fma_f32 v2, v157, v230, -v2
	s_waitcnt vmcnt(20)
	v_fmac_f32_e32 v171, v166, v238
	v_add_f32_e32 v1, v1, v2
	v_mul_f32_e32 v2, v160, v229
	v_add_f32_e32 v24, v24, v171
	s_waitcnt lgkmcnt(0)
	v_mul_f32_e32 v171, v167, v237
	v_fma_f32 v2, v159, v228, -v2
	v_fmac_f32_e32 v171, v168, v236
	v_add_f32_e32 v1, v1, v2
	v_mul_f32_e32 v2, v162, v232
	v_add_f32_e32 v24, v24, v171
	ds_read_b128 v[171:174], v96 offset:688
	v_fma_f32 v2, v161, v231, -v2
	v_add_f32_e32 v1, v1, v2
	v_mul_f32_e32 v2, v164, v234
	s_waitcnt vmcnt(18)
	v_mul_f32_e32 v175, v169, v240
	v_fma_f32 v2, v163, v233, -v2
	v_fmac_f32_e32 v175, v170, v239
	v_add_f32_e32 v1, v1, v2
	v_mul_f32_e32 v2, v166, v235
	v_add_f32_e32 v24, v24, v175
	ds_read_b128 v[175:178], v96 offset:704
	v_fma_f32 v2, v165, v238, -v2
	s_waitcnt vmcnt(16) lgkmcnt(1)
	v_mul_f32_e32 v179, v171, v242
	v_add_f32_e32 v1, v1, v2
	v_mul_f32_e32 v2, v168, v237
	v_fmac_f32_e32 v179, v172, v241
	v_fma_f32 v2, v167, v236, -v2
	v_add_f32_e32 v24, v24, v179
	s_waitcnt vmcnt(15)
	v_mul_f32_e32 v179, v173, v243
	v_add_f32_e32 v1, v1, v2
	v_mul_f32_e32 v2, v170, v240
	s_waitcnt vmcnt(12)
	v_fmac_f32_e32 v179, v174, v246
	v_fma_f32 v2, v169, v239, -v2
	v_add_f32_e32 v24, v24, v179
	s_waitcnt lgkmcnt(0)
	v_mul_f32_e32 v179, v175, v245
	v_add_f32_e32 v1, v1, v2
	v_mul_f32_e32 v2, v172, v242
	v_fmac_f32_e32 v179, v176, v244
	v_fma_f32 v2, v171, v241, -v2
	v_add_f32_e32 v24, v24, v179
	ds_read_b128 v[179:182], v96 offset:720
	v_add_f32_e32 v1, v1, v2
	v_mul_f32_e32 v2, v174, v243
	v_fma_f32 v2, v173, v246, -v2
	v_add_f32_e32 v1, v1, v2
	v_mul_f32_e32 v2, v176, v245
	s_waitcnt vmcnt(10)
	v_mul_f32_e32 v183, v177, v248
	v_fma_f32 v2, v175, v244, -v2
	v_fmac_f32_e32 v183, v178, v247
	v_add_f32_e32 v1, v1, v2
	v_mul_f32_e32 v2, v178, v248
	v_add_f32_e32 v24, v24, v183
	ds_read_b128 v[183:186], v96 offset:736
	s_waitcnt vmcnt(8) lgkmcnt(1)
	v_mul_f32_e32 v187, v179, v250
	v_fma_f32 v2, v177, v247, -v2
	v_fmac_f32_e32 v187, v180, v249
	v_add_f32_e32 v1, v1, v2
	v_mul_f32_e32 v2, v180, v250
	v_add_f32_e32 v24, v24, v187
	s_waitcnt vmcnt(7)
	v_mul_f32_e32 v187, v181, v251
	v_fma_f32 v2, v179, v249, -v2
	s_waitcnt vmcnt(4)
	v_fmac_f32_e32 v187, v182, v254
	v_add_f32_e32 v1, v1, v2
	v_mul_f32_e32 v2, v182, v251
	v_add_f32_e32 v24, v24, v187
	ds_read_b64 v[187:188], v96 offset:752
	v_fma_f32 v2, v181, v254, -v2
	v_add_f32_e32 v1, v1, v2
	s_waitcnt lgkmcnt(1)
	v_mul_f32_e32 v2, v184, v253
	v_mul_f32_e32 v25, v183, v253
	v_fma_f32 v2, v183, v252, -v2
	v_fmac_f32_e32 v25, v184, v252
	v_add_f32_e32 v1, v1, v2
	s_waitcnt vmcnt(3)
	v_mul_f32_e32 v2, v186, v255
	v_add_f32_e32 v24, v24, v25
	v_mul_f32_e32 v25, v185, v255
	s_waitcnt vmcnt(0)
	v_fma_f32 v2, v185, v23, -v2
	v_fmac_f32_e32 v25, v186, v23
	v_add_f32_e32 v1, v1, v2
	s_waitcnt lgkmcnt(0)
	v_mul_f32_e32 v2, v188, v22
	v_add_f32_e32 v24, v24, v25
	v_mul_f32_e32 v25, v187, v22
	v_fma_f32 v2, v187, v21, -v2
	v_fmac_f32_e32 v25, v188, v21
	v_add_f32_e32 v1, v1, v2
	v_add_f32_e32 v24, v24, v25
	v_sub_f32_e32 v1, v97, v1
	v_sub_f32_e32 v2, v98, v24
	buffer_store_dword v1, off, s[0:3], 0 offset:8
	buffer_store_dword v2, off, s[0:3], 0 offset:12
	s_and_saveexec_b64 s[4:5], vcc
	s_cbranch_execz .LBB46_295
; %bb.294:
	buffer_load_dword v97, off, s[0:3], 0
	buffer_load_dword v98, off, s[0:3], 0 offset:4
	s_waitcnt vmcnt(0)
	ds_write_b64 v95, v[97:98]
	buffer_store_dword v96, off, s[0:3], 0
	buffer_store_dword v96, off, s[0:3], 0 offset:4
.LBB46_295:
	s_or_b64 exec, exec, s[4:5]
	s_waitcnt lgkmcnt(0)
	; wave barrier
	buffer_load_dword v103, off, s[0:3], 0 offset:12
	buffer_load_dword v102, off, s[0:3], 0 offset:20
	;; [unrolled: 1-line block ×31, first 2 shown]
	buffer_load_dword v0, off, s[0:3], 0
	buffer_load_dword v95, off, s[0:3], 0 offset:4
	ds_read2_b64 v[104:107], v96 offset0:49 offset1:50
	ds_read2_b64 v[108:111], v96 offset0:51 offset1:52
	;; [unrolled: 1-line block ×6, first 2 shown]
	buffer_load_dword v25, off, s[0:3], 0 offset:128
	buffer_load_dword v26, off, s[0:3], 0 offset:140
	;; [unrolled: 1-line block ×7, first 2 shown]
	ds_read2_b64 v[128:131], v96 offset0:61 offset1:62
	ds_read2_b64 v[132:135], v96 offset0:63 offset1:64
	buffer_load_dword v201, off, s[0:3], 0 offset:160
	buffer_load_dword v202, off, s[0:3], 0 offset:164
	buffer_load_dword v203, off, s[0:3], 0 offset:168
	buffer_load_dword v204, off, s[0:3], 0 offset:172
	buffer_load_dword v205, off, s[0:3], 0 offset:176
	buffer_load_dword v206, off, s[0:3], 0 offset:180
	buffer_load_dword v207, off, s[0:3], 0 offset:184
	buffer_load_dword v208, off, s[0:3], 0 offset:188
	buffer_load_dword v209, off, s[0:3], 0 offset:192
	buffer_load_dword v210, off, s[0:3], 0 offset:196
	buffer_load_dword v211, off, s[0:3], 0 offset:200
	buffer_load_dword v212, off, s[0:3], 0 offset:204
	buffer_load_dword v213, off, s[0:3], 0 offset:212
	buffer_load_dword v214, off, s[0:3], 0 offset:216
	buffer_load_dword v215, off, s[0:3], 0 offset:220
	buffer_load_dword v216, off, s[0:3], 0 offset:208
	buffer_load_dword v217, off, s[0:3], 0 offset:224
	buffer_load_dword v218, off, s[0:3], 0 offset:228
	s_and_b64 vcc, exec, s[22:23]
	s_waitcnt vmcnt(57) lgkmcnt(7)
	v_mul_f32_e32 v136, v104, v103
	s_waitcnt vmcnt(56)
	v_mul_f32_e32 v137, v106, v102
	s_waitcnt vmcnt(55) lgkmcnt(6)
	v_mul_f32_e32 v138, v108, v101
	s_waitcnt vmcnt(54)
	v_mul_f32_e32 v139, v110, v100
	;; [unrolled: 4-line block ×6, first 2 shown]
	s_waitcnt vmcnt(45)
	v_fmac_f32_e32 v138, v109, v6
	s_waitcnt vmcnt(44)
	v_fmac_f32_e32 v137, v107, v7
	;; [unrolled: 2-line block ×3, first 2 shown]
	v_add_f32_e32 v136, 0, v136
	v_add_f32_e32 v136, v136, v137
	;; [unrolled: 1-line block ×3, first 2 shown]
	s_waitcnt vmcnt(39)
	v_fmac_f32_e32 v139, v111, v12
	v_fmac_f32_e32 v140, v113, v11
	v_add_f32_e32 v136, v136, v139
	v_fmac_f32_e32 v141, v115, v10
	v_add_f32_e32 v136, v136, v140
	;; [unrolled: 2-line block ×3, first 2 shown]
	s_waitcnt vmcnt(35)
	v_fmac_f32_e32 v143, v119, v16
	v_add_f32_e32 v136, v136, v142
	v_fmac_f32_e32 v144, v121, v15
	v_add_f32_e32 v136, v136, v143
	;; [unrolled: 2-line block ×4, first 2 shown]
	s_waitcnt vmcnt(31)
	v_fmac_f32_e32 v147, v127, v20
	v_add_f32_e32 v136, v136, v146
	s_waitcnt vmcnt(30) lgkmcnt(1)
	v_mul_f32_e32 v137, v128, v21
	v_add_f32_e32 v136, v136, v147
	v_fmac_f32_e32 v137, v129, v19
	v_add_f32_e32 v136, v136, v137
	s_waitcnt vmcnt(29)
	v_mul_f32_e32 v137, v130, v22
	v_fmac_f32_e32 v137, v131, v18
	v_add_f32_e32 v136, v136, v137
	s_waitcnt vmcnt(28) lgkmcnt(0)
	v_mul_f32_e32 v137, v132, v23
	v_fmac_f32_e32 v137, v133, v17
	v_add_f32_e32 v140, v136, v137
	ds_read2_b64 v[136:139], v96 offset0:65 offset1:66
	buffer_load_dword v219, off, s[0:3], 0 offset:232
	buffer_load_dword v220, off, s[0:3], 0 offset:236
	;; [unrolled: 1-line block ×6, first 2 shown]
	s_waitcnt vmcnt(33)
	v_mul_f32_e32 v141, v134, v24
	s_waitcnt vmcnt(30)
	v_fmac_f32_e32 v141, v135, v25
	v_add_f32_e32 v144, v140, v141
	ds_read2_b64 v[140:143], v96 offset0:67 offset1:68
	buffer_load_dword v225, off, s[0:3], 0 offset:256
	buffer_load_dword v226, off, s[0:3], 0 offset:260
	;; [unrolled: 1-line block ×10, first 2 shown]
	s_waitcnt vmcnt(39) lgkmcnt(1)
	v_mul_f32_e32 v145, v136, v26
	buffer_load_dword v235, off, s[0:3], 0 offset:296
	buffer_load_dword v236, off, s[0:3], 0 offset:300
	;; [unrolled: 1-line block ×6, first 2 shown]
	s_waitcnt vmcnt(40)
	v_fmac_f32_e32 v145, v137, v200
	v_add_f32_e32 v144, v144, v145
	v_mul_f32_e32 v145, v138, v197
	v_fmac_f32_e32 v145, v139, v196
	v_add_f32_e32 v144, v144, v145
	s_waitcnt lgkmcnt(0)
	v_mul_f32_e32 v145, v140, v199
	v_fmac_f32_e32 v145, v141, v198
	v_add_f32_e32 v148, v144, v145
	ds_read2_b64 v[144:147], v96 offset0:69 offset1:70
	buffer_load_dword v241, off, s[0:3], 0 offset:320
	buffer_load_dword v242, off, s[0:3], 0 offset:324
	s_waitcnt vmcnt(40)
	v_mul_f32_e32 v149, v142, v202
	v_fmac_f32_e32 v149, v143, v201
	v_add_f32_e32 v152, v148, v149
	ds_read2_b64 v[148:151], v96 offset0:71 offset1:72
	buffer_load_dword v243, off, s[0:3], 0 offset:328
	buffer_load_dword v244, off, s[0:3], 0 offset:332
	;; [unrolled: 1-line block ×12, first 2 shown]
	s_waitcnt vmcnt(50) lgkmcnt(1)
	v_mul_f32_e32 v153, v144, v204
	v_fmac_f32_e32 v153, v145, v203
	v_add_f32_e32 v152, v152, v153
	s_waitcnt vmcnt(48)
	v_mul_f32_e32 v153, v146, v206
	v_fmac_f32_e32 v153, v147, v205
	v_add_f32_e32 v152, v152, v153
	s_waitcnt vmcnt(46) lgkmcnt(0)
	v_mul_f32_e32 v153, v148, v208
	v_fmac_f32_e32 v153, v149, v207
	v_add_f32_e32 v156, v152, v153
	ds_read2_b64 v[152:155], v96 offset0:73 offset1:74
	s_waitcnt vmcnt(44)
	v_mul_f32_e32 v157, v150, v210
	v_fmac_f32_e32 v157, v151, v209
	v_add_f32_e32 v160, v156, v157
	ds_read2_b64 v[156:159], v96 offset0:75 offset1:76
	s_waitcnt vmcnt(42) lgkmcnt(1)
	v_mul_f32_e32 v161, v152, v212
	v_fmac_f32_e32 v161, v153, v211
	v_add_f32_e32 v160, v160, v161
	s_waitcnt vmcnt(41)
	v_mul_f32_e32 v161, v154, v213
	s_waitcnt vmcnt(38)
	v_fmac_f32_e32 v161, v155, v216
	v_add_f32_e32 v160, v160, v161
	s_waitcnt lgkmcnt(0)
	v_mul_f32_e32 v161, v156, v215
	v_fmac_f32_e32 v161, v157, v214
	v_add_f32_e32 v164, v160, v161
	ds_read2_b64 v[160:163], v96 offset0:77 offset1:78
	s_waitcnt vmcnt(36)
	v_mul_f32_e32 v165, v158, v218
	v_fmac_f32_e32 v165, v159, v217
	v_add_f32_e32 v168, v164, v165
	ds_read2_b64 v[164:167], v96 offset0:79 offset1:80
	v_mul_f32_e32 v1, v119, v1
	v_fma_f32 v1, v118, v16, -v1
	v_mul_f32_e32 v2, v121, v2
	v_fma_f32 v2, v120, v15, -v2
	s_waitcnt vmcnt(34) lgkmcnt(1)
	v_mul_f32_e32 v169, v160, v220
	v_fmac_f32_e32 v169, v161, v219
	v_add_f32_e32 v168, v168, v169
	s_waitcnt vmcnt(33)
	v_mul_f32_e32 v169, v162, v221
	s_waitcnt vmcnt(30)
	v_fmac_f32_e32 v169, v163, v224
	v_add_f32_e32 v168, v168, v169
	s_waitcnt lgkmcnt(0)
	v_mul_f32_e32 v169, v164, v223
	v_fmac_f32_e32 v169, v165, v222
	v_add_f32_e32 v172, v168, v169
	ds_read2_b64 v[168:171], v96 offset0:81 offset1:82
	s_waitcnt vmcnt(28)
	v_mul_f32_e32 v173, v166, v226
	v_fmac_f32_e32 v173, v167, v225
	v_add_f32_e32 v176, v172, v173
	ds_read2_b64 v[172:175], v96 offset0:83 offset1:84
	s_waitcnt vmcnt(26) lgkmcnt(1)
	v_mul_f32_e32 v177, v168, v228
	v_fmac_f32_e32 v177, v169, v227
	v_add_f32_e32 v176, v176, v177
	s_waitcnt vmcnt(25)
	v_mul_f32_e32 v177, v170, v229
	s_waitcnt vmcnt(22)
	v_fmac_f32_e32 v177, v171, v232
	v_add_f32_e32 v176, v176, v177
	s_waitcnt lgkmcnt(0)
	v_mul_f32_e32 v177, v172, v231
	v_fmac_f32_e32 v177, v173, v230
	v_add_f32_e32 v180, v176, v177
	ds_read2_b64 v[176:179], v96 offset0:85 offset1:86
	s_waitcnt vmcnt(20)
	v_mul_f32_e32 v181, v174, v234
	v_fmac_f32_e32 v181, v175, v233
	v_add_f32_e32 v184, v180, v181
	ds_read2_b64 v[180:183], v96 offset0:87 offset1:88
	;; [unrolled: 19-line block ×3, first 2 shown]
	s_waitcnt vmcnt(10) lgkmcnt(1)
	v_mul_f32_e32 v193, v184, v244
	v_fmac_f32_e32 v193, v185, v243
	v_add_f32_e32 v192, v192, v193
	s_waitcnt vmcnt(9)
	v_mul_f32_e32 v193, v186, v245
	s_waitcnt vmcnt(6)
	v_fmac_f32_e32 v193, v187, v248
	v_add_f32_e32 v255, v192, v193
	ds_read2_b64 v[192:195], v96 offset0:93 offset1:94
	s_waitcnt lgkmcnt(1)
	v_mul_f32_e32 v27, v188, v247
	v_fmac_f32_e32 v27, v189, v246
	s_waitcnt vmcnt(4)
	v_mul_f32_e32 v28, v190, v250
	v_add_f32_e32 v27, v255, v27
	v_fmac_f32_e32 v28, v191, v249
	v_add_f32_e32 v27, v27, v28
	s_waitcnt vmcnt(3) lgkmcnt(0)
	v_mul_f32_e32 v28, v192, v251
	s_waitcnt vmcnt(0)
	v_fmac_f32_e32 v28, v193, v254
	v_add_f32_e32 v27, v27, v28
	v_mul_f32_e32 v28, v194, v253
	v_fmac_f32_e32 v28, v195, v252
	v_add_f32_e32 v27, v27, v28
	v_mul_f32_e32 v28, v105, v103
	v_fma_f32 v8, v104, v8, -v28
	v_mul_f32_e32 v28, v107, v102
	v_add_f32_e32 v8, 0, v8
	v_fma_f32 v7, v106, v7, -v28
	v_add_f32_e32 v7, v8, v7
	v_mul_f32_e32 v8, v109, v101
	v_fma_f32 v6, v108, v6, -v8
	v_add_f32_e32 v6, v7, v6
	v_mul_f32_e32 v7, v111, v100
	;; [unrolled: 3-line block ×5, first 2 shown]
	v_fma_f32 v7, v116, v9, -v7
	v_add_f32_e32 v6, v6, v7
	v_add_f32_e32 v1, v6, v1
	;; [unrolled: 1-line block ×3, first 2 shown]
	v_mul_f32_e32 v2, v123, v3
	v_fma_f32 v2, v122, v14, -v2
	v_add_f32_e32 v1, v1, v2
	v_mul_f32_e32 v2, v125, v4
	v_fma_f32 v2, v124, v13, -v2
	v_add_f32_e32 v1, v1, v2
	;; [unrolled: 3-line block ×37, first 2 shown]
	v_sub_f32_e32 v0, v0, v1
	v_sub_f32_e32 v1, v95, v27
	buffer_store_dword v0, off, s[0:3], 0
	buffer_store_dword v1, off, s[0:3], 0 offset:4
	s_cbranch_vccz .LBB46_388
; %bb.296:
	v_mov_b32_e32 v0, 0
	global_load_dword v95, v0, s[20:21] offset:180
	s_waitcnt vmcnt(0)
	v_add_u32_e32 v95, -1, v95
	v_cmp_ne_u32_e32 vcc, 45, v95
	s_cbranch_vccz .LBB46_298
; %bb.297:
	v_lshlrev_b32_e32 v1, 3, v95
	buffer_load_dword v2, v1, s[0:3], 0 offen
	buffer_load_dword v3, v1, s[0:3], 0 offen offset:4
	buffer_load_dword v4, off, s[0:3], 0 offset:360
	buffer_load_dword v5, off, s[0:3], 0 offset:364
	s_waitcnt vmcnt(3)
	buffer_store_dword v2, off, s[0:3], 0 offset:360
	s_waitcnt vmcnt(3)
	buffer_store_dword v3, off, s[0:3], 0 offset:364
	s_waitcnt vmcnt(3)
	buffer_store_dword v4, v1, s[0:3], 0 offen
	s_waitcnt vmcnt(3)
	buffer_store_dword v5, v1, s[0:3], 0 offen offset:4
.LBB46_298:
	global_load_dword v0, v0, s[20:21] offset:176
	s_waitcnt vmcnt(0)
	v_add_u32_e32 v0, -1, v0
	v_cmp_eq_u32_e32 vcc, 44, v0
	s_cbranch_vccnz .LBB46_300
; %bb.299:
	v_lshlrev_b32_e32 v0, 3, v0
	buffer_load_dword v1, v0, s[0:3], 0 offen
	buffer_load_dword v2, v0, s[0:3], 0 offen offset:4
	buffer_load_dword v3, off, s[0:3], 0 offset:356
	buffer_load_dword v4, off, s[0:3], 0 offset:352
	s_waitcnt vmcnt(3)
	buffer_store_dword v1, off, s[0:3], 0 offset:352
	s_waitcnt vmcnt(3)
	buffer_store_dword v2, off, s[0:3], 0 offset:356
	s_waitcnt vmcnt(3)
	buffer_store_dword v3, v0, s[0:3], 0 offen offset:4
	s_waitcnt vmcnt(3)
	buffer_store_dword v4, v0, s[0:3], 0 offen
.LBB46_300:
	v_mov_b32_e32 v0, 0
	global_load_dword v1, v0, s[20:21] offset:172
	s_waitcnt vmcnt(0)
	v_add_u32_e32 v95, -1, v1
	v_cmp_eq_u32_e32 vcc, 43, v95
	s_cbranch_vccnz .LBB46_302
; %bb.301:
	v_lshlrev_b32_e32 v1, 3, v95
	buffer_load_dword v2, v1, s[0:3], 0 offen
	buffer_load_dword v3, v1, s[0:3], 0 offen offset:4
	buffer_load_dword v4, off, s[0:3], 0 offset:344
	buffer_load_dword v5, off, s[0:3], 0 offset:348
	s_waitcnt vmcnt(3)
	buffer_store_dword v2, off, s[0:3], 0 offset:344
	s_waitcnt vmcnt(3)
	buffer_store_dword v3, off, s[0:3], 0 offset:348
	s_waitcnt vmcnt(3)
	buffer_store_dword v4, v1, s[0:3], 0 offen
	s_waitcnt vmcnt(3)
	buffer_store_dword v5, v1, s[0:3], 0 offen offset:4
.LBB46_302:
	global_load_dword v0, v0, s[20:21] offset:168
	s_waitcnt vmcnt(0)
	v_add_u32_e32 v0, -1, v0
	v_cmp_eq_u32_e32 vcc, 42, v0
	s_cbranch_vccnz .LBB46_304
; %bb.303:
	v_lshlrev_b32_e32 v0, 3, v0
	buffer_load_dword v1, v0, s[0:3], 0 offen
	buffer_load_dword v2, v0, s[0:3], 0 offen offset:4
	buffer_load_dword v3, off, s[0:3], 0 offset:340
	buffer_load_dword v4, off, s[0:3], 0 offset:336
	s_waitcnt vmcnt(3)
	buffer_store_dword v1, off, s[0:3], 0 offset:336
	s_waitcnt vmcnt(3)
	buffer_store_dword v2, off, s[0:3], 0 offset:340
	s_waitcnt vmcnt(3)
	buffer_store_dword v3, v0, s[0:3], 0 offen offset:4
	s_waitcnt vmcnt(3)
	buffer_store_dword v4, v0, s[0:3], 0 offen
.LBB46_304:
	v_mov_b32_e32 v0, 0
	global_load_dword v1, v0, s[20:21] offset:164
	s_waitcnt vmcnt(0)
	v_add_u32_e32 v95, -1, v1
	v_cmp_eq_u32_e32 vcc, 41, v95
	s_cbranch_vccnz .LBB46_306
; %bb.305:
	v_lshlrev_b32_e32 v1, 3, v95
	buffer_load_dword v2, v1, s[0:3], 0 offen
	buffer_load_dword v3, v1, s[0:3], 0 offen offset:4
	buffer_load_dword v4, off, s[0:3], 0 offset:328
	buffer_load_dword v5, off, s[0:3], 0 offset:332
	s_waitcnt vmcnt(3)
	buffer_store_dword v2, off, s[0:3], 0 offset:328
	s_waitcnt vmcnt(3)
	buffer_store_dword v3, off, s[0:3], 0 offset:332
	s_waitcnt vmcnt(3)
	buffer_store_dword v4, v1, s[0:3], 0 offen
	s_waitcnt vmcnt(3)
	buffer_store_dword v5, v1, s[0:3], 0 offen offset:4
.LBB46_306:
	;; [unrolled: 41-line block ×22, first 2 shown]
	global_load_dword v0, v0, s[20:21]
	s_waitcnt vmcnt(0)
	v_add_u32_e32 v0, -1, v0
	v_cmp_eq_u32_e32 vcc, 0, v0
	s_cbranch_vccnz .LBB46_388
; %bb.387:
	v_lshlrev_b32_e32 v0, 3, v0
	buffer_load_dword v1, v0, s[0:3], 0 offen
	buffer_load_dword v2, v0, s[0:3], 0 offen offset:4
	buffer_load_dword v3, off, s[0:3], 0 offset:4
	buffer_load_dword v4, off, s[0:3], 0
	s_waitcnt vmcnt(3)
	buffer_store_dword v1, off, s[0:3], 0
	s_waitcnt vmcnt(3)
	buffer_store_dword v2, off, s[0:3], 0 offset:4
	s_waitcnt vmcnt(3)
	buffer_store_dword v3, v0, s[0:3], 0 offen offset:4
	s_waitcnt vmcnt(3)
	buffer_store_dword v4, v0, s[0:3], 0 offen
.LBB46_388:
	buffer_load_dword v95, off, s[0:3], 0
	buffer_load_dword v96, off, s[0:3], 0 offset:4
	buffer_load_dword v97, off, s[0:3], 0 offset:8
	;; [unrolled: 1-line block ×93, first 2 shown]
	s_waitcnt vmcnt(62)
	global_store_dwordx2 v[85:86], v[95:96], off
	global_store_dwordx2 v[87:88], v[97:98], off
	buffer_load_dword v0, off, s[0:3], 0 offset:376 ; 4-byte Folded Reload
	buffer_load_dword v1, off, s[0:3], 0 offset:380 ; 4-byte Folded Reload
	s_waitcnt vmcnt(0)
	global_store_dwordx2 v[0:1], v[99:100], off
	buffer_load_dword v0, off, s[0:3], 0 offset:384 ; 4-byte Folded Reload
	s_nop 0
	buffer_load_dword v1, off, s[0:3], 0 offset:388 ; 4-byte Folded Reload
	s_waitcnt vmcnt(0)
	global_store_dwordx2 v[0:1], v[101:102], off
	buffer_load_dword v0, off, s[0:3], 0 offset:392 ; 4-byte Folded Reload
	s_nop 0
	;; [unrolled: 5-line block ×13, first 2 shown]
	buffer_load_dword v1, off, s[0:3], 0 offset:484 ; 4-byte Folded Reload
	s_waitcnt vmcnt(0)
	global_store_dwordx2 v[0:1], v[125:126], off
	global_store_dwordx2 v[29:30], v[127:128], off
	;; [unrolled: 1-line block ×32, first 2 shown]
	s_endpgm
	.section	.rodata,"a",@progbits
	.p2align	6, 0x0
	.amdhsa_kernel _ZN9rocsolver6v33100L18getri_kernel_smallILi47E19rocblas_complex_numIfEPS3_EEvT1_iilPiilS6_bb
		.amdhsa_group_segment_fixed_size 760
		.amdhsa_private_segment_fixed_size 496
		.amdhsa_kernarg_size 60
		.amdhsa_user_sgpr_count 6
		.amdhsa_user_sgpr_private_segment_buffer 1
		.amdhsa_user_sgpr_dispatch_ptr 0
		.amdhsa_user_sgpr_queue_ptr 0
		.amdhsa_user_sgpr_kernarg_segment_ptr 1
		.amdhsa_user_sgpr_dispatch_id 0
		.amdhsa_user_sgpr_flat_scratch_init 0
		.amdhsa_user_sgpr_private_segment_size 0
		.amdhsa_uses_dynamic_stack 0
		.amdhsa_system_sgpr_private_segment_wavefront_offset 1
		.amdhsa_system_sgpr_workgroup_id_x 1
		.amdhsa_system_sgpr_workgroup_id_y 0
		.amdhsa_system_sgpr_workgroup_id_z 0
		.amdhsa_system_sgpr_workgroup_info 0
		.amdhsa_system_vgpr_workitem_id 0
		.amdhsa_next_free_vgpr 256
		.amdhsa_next_free_sgpr 24
		.amdhsa_reserve_vcc 1
		.amdhsa_reserve_flat_scratch 0
		.amdhsa_float_round_mode_32 0
		.amdhsa_float_round_mode_16_64 0
		.amdhsa_float_denorm_mode_32 3
		.amdhsa_float_denorm_mode_16_64 3
		.amdhsa_dx10_clamp 1
		.amdhsa_ieee_mode 1
		.amdhsa_fp16_overflow 0
		.amdhsa_exception_fp_ieee_invalid_op 0
		.amdhsa_exception_fp_denorm_src 0
		.amdhsa_exception_fp_ieee_div_zero 0
		.amdhsa_exception_fp_ieee_overflow 0
		.amdhsa_exception_fp_ieee_underflow 0
		.amdhsa_exception_fp_ieee_inexact 0
		.amdhsa_exception_int_div_zero 0
	.end_amdhsa_kernel
	.section	.text._ZN9rocsolver6v33100L18getri_kernel_smallILi47E19rocblas_complex_numIfEPS3_EEvT1_iilPiilS6_bb,"axG",@progbits,_ZN9rocsolver6v33100L18getri_kernel_smallILi47E19rocblas_complex_numIfEPS3_EEvT1_iilPiilS6_bb,comdat
.Lfunc_end46:
	.size	_ZN9rocsolver6v33100L18getri_kernel_smallILi47E19rocblas_complex_numIfEPS3_EEvT1_iilPiilS6_bb, .Lfunc_end46-_ZN9rocsolver6v33100L18getri_kernel_smallILi47E19rocblas_complex_numIfEPS3_EEvT1_iilPiilS6_bb
                                        ; -- End function
	.set _ZN9rocsolver6v33100L18getri_kernel_smallILi47E19rocblas_complex_numIfEPS3_EEvT1_iilPiilS6_bb.num_vgpr, 256
	.set _ZN9rocsolver6v33100L18getri_kernel_smallILi47E19rocblas_complex_numIfEPS3_EEvT1_iilPiilS6_bb.num_agpr, 0
	.set _ZN9rocsolver6v33100L18getri_kernel_smallILi47E19rocblas_complex_numIfEPS3_EEvT1_iilPiilS6_bb.numbered_sgpr, 24
	.set _ZN9rocsolver6v33100L18getri_kernel_smallILi47E19rocblas_complex_numIfEPS3_EEvT1_iilPiilS6_bb.num_named_barrier, 0
	.set _ZN9rocsolver6v33100L18getri_kernel_smallILi47E19rocblas_complex_numIfEPS3_EEvT1_iilPiilS6_bb.private_seg_size, 496
	.set _ZN9rocsolver6v33100L18getri_kernel_smallILi47E19rocblas_complex_numIfEPS3_EEvT1_iilPiilS6_bb.uses_vcc, 1
	.set _ZN9rocsolver6v33100L18getri_kernel_smallILi47E19rocblas_complex_numIfEPS3_EEvT1_iilPiilS6_bb.uses_flat_scratch, 0
	.set _ZN9rocsolver6v33100L18getri_kernel_smallILi47E19rocblas_complex_numIfEPS3_EEvT1_iilPiilS6_bb.has_dyn_sized_stack, 0
	.set _ZN9rocsolver6v33100L18getri_kernel_smallILi47E19rocblas_complex_numIfEPS3_EEvT1_iilPiilS6_bb.has_recursion, 0
	.set _ZN9rocsolver6v33100L18getri_kernel_smallILi47E19rocblas_complex_numIfEPS3_EEvT1_iilPiilS6_bb.has_indirect_call, 0
	.section	.AMDGPU.csdata,"",@progbits
; Kernel info:
; codeLenInByte = 84016
; TotalNumSgprs: 28
; NumVgprs: 256
; ScratchSize: 496
; MemoryBound: 0
; FloatMode: 240
; IeeeMode: 1
; LDSByteSize: 760 bytes/workgroup (compile time only)
; SGPRBlocks: 3
; VGPRBlocks: 63
; NumSGPRsForWavesPerEU: 28
; NumVGPRsForWavesPerEU: 256
; Occupancy: 1
; WaveLimiterHint : 1
; COMPUTE_PGM_RSRC2:SCRATCH_EN: 1
; COMPUTE_PGM_RSRC2:USER_SGPR: 6
; COMPUTE_PGM_RSRC2:TRAP_HANDLER: 0
; COMPUTE_PGM_RSRC2:TGID_X_EN: 1
; COMPUTE_PGM_RSRC2:TGID_Y_EN: 0
; COMPUTE_PGM_RSRC2:TGID_Z_EN: 0
; COMPUTE_PGM_RSRC2:TIDIG_COMP_CNT: 0
	.section	.text._ZN9rocsolver6v33100L18getri_kernel_smallILi48E19rocblas_complex_numIfEPS3_EEvT1_iilPiilS6_bb,"axG",@progbits,_ZN9rocsolver6v33100L18getri_kernel_smallILi48E19rocblas_complex_numIfEPS3_EEvT1_iilPiilS6_bb,comdat
	.globl	_ZN9rocsolver6v33100L18getri_kernel_smallILi48E19rocblas_complex_numIfEPS3_EEvT1_iilPiilS6_bb ; -- Begin function _ZN9rocsolver6v33100L18getri_kernel_smallILi48E19rocblas_complex_numIfEPS3_EEvT1_iilPiilS6_bb
	.p2align	8
	.type	_ZN9rocsolver6v33100L18getri_kernel_smallILi48E19rocblas_complex_numIfEPS3_EEvT1_iilPiilS6_bb,@function
_ZN9rocsolver6v33100L18getri_kernel_smallILi48E19rocblas_complex_numIfEPS3_EEvT1_iilPiilS6_bb: ; @_ZN9rocsolver6v33100L18getri_kernel_smallILi48E19rocblas_complex_numIfEPS3_EEvT1_iilPiilS6_bb
; %bb.0:
	s_add_u32 s0, s0, s7
	s_addc_u32 s1, s1, 0
	v_cmp_gt_u32_e32 vcc, 48, v0
	s_and_saveexec_b64 s[8:9], vcc
	s_cbranch_execz .LBB47_206
; %bb.1:
	s_load_dword s12, s[4:5], 0x38
	s_load_dwordx4 s[16:19], s[4:5], 0x10
	s_load_dwordx4 s[8:11], s[4:5], 0x28
                                        ; implicit-def: $sgpr20_sgpr21
	s_waitcnt lgkmcnt(0)
	s_bitcmp1_b32 s12, 8
	s_cselect_b64 s[22:23], -1, 0
	s_ashr_i32 s7, s6, 31
	s_bfe_u32 s12, s12, 0x10008
	s_cmp_eq_u32 s12, 0
	s_cbranch_scc1 .LBB47_3
; %bb.2:
	s_load_dword s12, s[4:5], 0x20
	s_mul_i32 s13, s8, s7
	s_mul_hi_u32 s14, s8, s6
	s_mul_i32 s9, s9, s6
	s_add_i32 s14, s14, s13
	s_add_i32 s9, s14, s9
	s_mul_i32 s8, s8, s6
	s_waitcnt lgkmcnt(0)
	s_ashr_i32 s13, s12, 31
	s_lshl_b64 s[8:9], s[8:9], 2
	s_add_u32 s14, s18, s8
	s_addc_u32 s15, s19, s9
	s_lshl_b64 s[8:9], s[12:13], 2
	s_add_u32 s20, s14, s8
	s_addc_u32 s21, s15, s9
.LBB47_3:
	s_load_dwordx4 s[12:15], s[4:5], 0x0
	s_load_dword s8, s[4:5], 0x38
	s_mul_i32 s9, s16, s7
	s_mul_hi_u32 s18, s16, s6
	s_add_i32 s9, s18, s9
	s_waitcnt lgkmcnt(0)
	s_ashr_i32 s5, s14, 31
	s_mov_b32 s4, s14
	s_mul_i32 s14, s17, s6
	s_add_i32 s17, s9, s14
	s_mul_i32 s16, s16, s6
	s_lshl_b64 s[16:17], s[16:17], 3
	s_add_u32 s9, s12, s16
	s_addc_u32 s12, s13, s17
	s_lshl_b64 s[4:5], s[4:5], 3
	s_add_u32 s4, s9, s4
	s_addc_u32 s5, s12, s5
	s_add_i32 s9, s15, s15
	v_add_u32_e32 v3, s9, v0
	v_ashrrev_i32_e32 v4, 31, v3
	v_lshlrev_b64 v[1:2], 3, v[3:4]
	v_add_u32_e32 v5, s15, v3
	v_mov_b32_e32 v4, s5
	v_add_co_u32_e32 v1, vcc, s4, v1
	v_ashrrev_i32_e32 v6, 31, v5
	v_addc_co_u32_e32 v2, vcc, v4, v2, vcc
	v_lshlrev_b64 v[3:4], 3, v[5:6]
	v_add_u32_e32 v7, s15, v5
	v_mov_b32_e32 v6, s5
	v_add_co_u32_e32 v3, vcc, s4, v3
	v_ashrrev_i32_e32 v8, 31, v7
	v_addc_co_u32_e32 v4, vcc, v6, v4, vcc
	;; [unrolled: 6-line block ×8, first 2 shown]
	v_lshlrev_b64 v[17:18], 3, v[19:20]
	v_mov_b32_e32 v21, s5
	v_add_co_u32_e32 v17, vcc, s4, v17
	v_addc_co_u32_e32 v18, vcc, v21, v18, vcc
	v_add_u32_e32 v21, s15, v19
	v_ashrrev_i32_e32 v22, 31, v21
	v_lshlrev_b64 v[19:20], 3, v[21:22]
	v_mov_b32_e32 v23, s5
	v_add_co_u32_e32 v19, vcc, s4, v19
	v_addc_co_u32_e32 v20, vcc, v23, v20, vcc
	v_add_u32_e32 v23, s15, v21
	v_ashrrev_i32_e32 v24, 31, v23
	;; [unrolled: 6-line block ×32, first 2 shown]
	v_lshlrev_b32_e32 v99, 3, v0
	v_lshlrev_b64 v[81:82], 3, v[83:84]
	v_mov_b32_e32 v84, s5
	v_add_co_u32_e32 v87, vcc, s4, v99
	s_ashr_i32 s13, s15, 31
	s_mov_b32 s12, s15
	v_addc_co_u32_e32 v88, vcc, 0, v84, vcc
	s_lshl_b64 s[12:13], s[12:13], 3
	v_mov_b32_e32 v84, s13
	v_add_co_u32_e32 v89, vcc, s12, v87
	v_addc_co_u32_e32 v90, vcc, v88, v84, vcc
	global_load_dwordx2 v[97:98], v99, s[4:5]
	global_load_dwordx2 v[100:101], v[89:90], off
	s_nop 0
	buffer_store_dword v1, off, s[0:3], 0 offset:384 ; 4-byte Folded Spill
	s_nop 0
	buffer_store_dword v2, off, s[0:3], 0 offset:388 ; 4-byte Folded Spill
	v_mov_b32_e32 v85, s5
	v_add_co_u32_e32 v81, vcc, s4, v81
	v_addc_co_u32_e32 v82, vcc, v85, v82, vcc
	v_add_u32_e32 v85, s15, v83
	v_ashrrev_i32_e32 v86, 31, v85
	v_lshlrev_b64 v[83:84], 3, v[85:86]
	v_mov_b32_e32 v91, s5
	v_add_co_u32_e32 v83, vcc, s4, v83
	v_addc_co_u32_e32 v84, vcc, v91, v84, vcc
	v_add_u32_e32 v91, s15, v85
	v_ashrrev_i32_e32 v92, 31, v91
	v_lshlrev_b64 v[85:86], 3, v[91:92]
	;; [unrolled: 6-line block ×5, first 2 shown]
	v_mov_b32_e32 v162, s5
	v_add_co_u32_e32 v95, vcc, s4, v95
	v_addc_co_u32_e32 v96, vcc, v162, v96, vcc
	s_bitcmp0_b32 s8, 0
	s_mov_b64 s[8:9], -1
	global_load_dwordx2 v[102:103], v[1:2], off
	s_nop 0
	buffer_store_dword v3, off, s[0:3], 0 offset:392 ; 4-byte Folded Spill
	s_nop 0
	buffer_store_dword v4, off, s[0:3], 0 offset:396 ; 4-byte Folded Spill
	global_load_dwordx2 v[104:105], v[3:4], off
	s_nop 0
	buffer_store_dword v5, off, s[0:3], 0 offset:400 ; 4-byte Folded Spill
	s_nop 0
	buffer_store_dword v6, off, s[0:3], 0 offset:404 ; 4-byte Folded Spill
	;; [unrolled: 5-line block ×16, first 2 shown]
	global_load_dwordx2 v[136:137], v[35:36], off
	global_load_dwordx2 v[134:135], v[33:34], off
	global_load_dwordx2 v[138:139], v[37:38], off
	global_load_dwordx2 v[140:141], v[39:40], off
	global_load_dwordx2 v[142:143], v[41:42], off
	global_load_dwordx2 v[144:145], v[43:44], off
	global_load_dwordx2 v[146:147], v[45:46], off
	global_load_dwordx2 v[148:149], v[47:48], off
	global_load_dwordx2 v[150:151], v[49:50], off
	global_load_dwordx2 v[152:153], v[51:52], off
	global_load_dwordx2 v[154:155], v[53:54], off
	global_load_dwordx2 v[156:157], v[55:56], off
	global_load_dwordx2 v[158:159], v[57:58], off
	global_load_dwordx2 v[160:161], v[59:60], off
	global_load_dwordx2 v[162:163], v[61:62], off
	global_load_dwordx2 v[164:165], v[63:64], off
	global_load_dwordx2 v[166:167], v[67:68], off
	global_load_dwordx2 v[168:169], v[71:72], off
	global_load_dwordx2 v[170:171], v[75:76], off
	global_load_dwordx2 v[172:173], v[79:80], off
	global_load_dwordx2 v[174:175], v[83:84], off
	global_load_dwordx2 v[176:177], v[91:92], off
	global_load_dwordx2 v[178:179], v[95:96], off
	s_waitcnt vmcnt(62)
	buffer_store_dword v98, off, s[0:3], 0 offset:4
	buffer_store_dword v97, off, s[0:3], 0
	global_load_dwordx2 v[97:98], v[65:66], off
	s_nop 0
	buffer_store_dword v101, off, s[0:3], 0 offset:12
	buffer_store_dword v100, off, s[0:3], 0 offset:8
	global_load_dwordx2 v[100:101], v[69:70], off
	s_nop 0
	buffer_store_dword v103, off, s[0:3], 0 offset:20
	buffer_store_dword v102, off, s[0:3], 0 offset:16
	;; [unrolled: 4-line block ×4, first 2 shown]
	global_load_dwordx2 v[106:107], v[81:82], off
	s_waitcnt vmcnt(62)
	buffer_store_dword v109, off, s[0:3], 0 offset:44
	buffer_store_dword v108, off, s[0:3], 0 offset:40
	global_load_dwordx2 v[108:109], v[85:86], off
	s_nop 0
	buffer_store_dword v111, off, s[0:3], 0 offset:52
	buffer_store_dword v110, off, s[0:3], 0 offset:48
	global_load_dwordx2 v[110:111], v[93:94], off
	s_nop 0
	buffer_store_dword v113, off, s[0:3], 0 offset:60
	buffer_store_dword v112, off, s[0:3], 0 offset:56
	;; [unrolled: 1-line block ×6, first 2 shown]
	s_waitcnt vmcnt(62)
	buffer_store_dword v118, off, s[0:3], 0 offset:80
	buffer_store_dword v119, off, s[0:3], 0 offset:84
	;; [unrolled: 1-line block ×8, first 2 shown]
	s_waitcnt vmcnt(62)
	buffer_store_dword v127, off, s[0:3], 0 offset:116
	buffer_store_dword v126, off, s[0:3], 0 offset:112
	buffer_store_dword v128, off, s[0:3], 0 offset:120
	buffer_store_dword v129, off, s[0:3], 0 offset:124
	buffer_store_dword v130, off, s[0:3], 0 offset:128
	buffer_store_dword v131, off, s[0:3], 0 offset:132
	s_waitcnt vmcnt(62)
	buffer_store_dword v132, off, s[0:3], 0 offset:136
	buffer_store_dword v133, off, s[0:3], 0 offset:140
	buffer_store_dword v134, off, s[0:3], 0 offset:144
	buffer_store_dword v135, off, s[0:3], 0 offset:148
	buffer_store_dword v137, off, s[0:3], 0 offset:156
	buffer_store_dword v136, off, s[0:3], 0 offset:152
	;; [unrolled: 7-line block ×3, first 2 shown]
	buffer_store_dword v144, off, s[0:3], 0 offset:184
	buffer_store_dword v145, off, s[0:3], 0 offset:188
	buffer_store_dword v146, off, s[0:3], 0 offset:192
	buffer_store_dword v147, off, s[0:3], 0 offset:196
	buffer_store_dword v149, off, s[0:3], 0 offset:204
	buffer_store_dword v148, off, s[0:3], 0 offset:200
	s_waitcnt vmcnt(62)
	buffer_store_dword v151, off, s[0:3], 0 offset:212
	buffer_store_dword v150, off, s[0:3], 0 offset:208
	buffer_store_dword v152, off, s[0:3], 0 offset:216
	buffer_store_dword v153, off, s[0:3], 0 offset:220
	buffer_store_dword v154, off, s[0:3], 0 offset:224
	buffer_store_dword v155, off, s[0:3], 0 offset:228
	buffer_store_dword v156, off, s[0:3], 0 offset:232
	buffer_store_dword v157, off, s[0:3], 0 offset:236
	buffer_store_dword v158, off, s[0:3], 0 offset:240
	buffer_store_dword v159, off, s[0:3], 0 offset:244
	buffer_store_dword v161, off, s[0:3], 0 offset:252
	buffer_store_dword v160, off, s[0:3], 0 offset:248
	buffer_store_dword v163, off, s[0:3], 0 offset:260
	buffer_store_dword v162, off, s[0:3], 0 offset:256
	buffer_store_dword v164, off, s[0:3], 0 offset:264
	buffer_store_dword v165, off, s[0:3], 0 offset:268
	s_waitcnt vmcnt(62)
	buffer_store_dword v97, off, s[0:3], 0 offset:272
	buffer_store_dword v98, off, s[0:3], 0 offset:276
	buffer_store_dword v166, off, s[0:3], 0 offset:280
	buffer_store_dword v167, off, s[0:3], 0 offset:284
	buffer_store_dword v100, off, s[0:3], 0 offset:288
	buffer_store_dword v101, off, s[0:3], 0 offset:292
	buffer_store_dword v169, off, s[0:3], 0 offset:300
	buffer_store_dword v168, off, s[0:3], 0 offset:296
	buffer_store_dword v103, off, s[0:3], 0 offset:308
	buffer_store_dword v102, off, s[0:3], 0 offset:304
	;; [unrolled: 17-line block ×3, first 2 shown]
	buffer_store_dword v178, off, s[0:3], 0 offset:376
	buffer_store_dword v179, off, s[0:3], 0 offset:380
	s_cbranch_scc1 .LBB47_204
; %bb.4:
	v_cmp_eq_u32_e64 s[4:5], 0, v0
	s_and_saveexec_b64 s[8:9], s[4:5]
; %bb.5:
	v_mov_b32_e32 v97, 0
	ds_write_b32 v97, v97 offset:768
; %bb.6:
	s_or_b64 exec, exec, s[8:9]
	v_mov_b32_e32 v97, 0
	v_lshl_add_u32 v101, v0, 3, v97
	s_waitcnt lgkmcnt(0)
	; wave barrier
	buffer_load_dword v97, v101, s[0:3], 0 offen
	buffer_load_dword v98, v101, s[0:3], 0 offen offset:4
	s_waitcnt vmcnt(1)
	v_cmp_eq_f32_e32 vcc, 0, v97
	s_waitcnt vmcnt(0)
	v_cmp_eq_f32_e64 s[8:9], 0, v98
	s_and_b64 s[8:9], vcc, s[8:9]
	s_and_saveexec_b64 s[12:13], s[8:9]
	s_cbranch_execz .LBB47_10
; %bb.7:
	v_mov_b32_e32 v97, 0
	ds_read_b32 v100, v97 offset:768
	v_add_u32_e32 v98, 1, v0
	s_waitcnt lgkmcnt(0)
	v_readfirstlane_b32 s8, v100
	s_cmp_eq_u32 s8, 0
	s_cselect_b64 s[14:15], -1, 0
	v_cmp_gt_i32_e32 vcc, s8, v98
	s_or_b64 s[14:15], s[14:15], vcc
	s_and_b64 exec, exec, s[14:15]
	s_cbranch_execz .LBB47_10
; %bb.8:
	s_mov_b64 s[14:15], 0
	v_mov_b32_e32 v100, s8
.LBB47_9:                               ; =>This Inner Loop Header: Depth=1
	ds_cmpst_rtn_b32 v100, v97, v100, v98 offset:768
	s_waitcnt lgkmcnt(0)
	v_cmp_ne_u32_e32 vcc, 0, v100
	v_cmp_le_i32_e64 s[8:9], v100, v98
	s_and_b64 s[8:9], vcc, s[8:9]
	s_and_b64 s[8:9], exec, s[8:9]
	s_or_b64 s[14:15], s[8:9], s[14:15]
	s_andn2_b64 exec, exec, s[14:15]
	s_cbranch_execnz .LBB47_9
.LBB47_10:
	s_or_b64 exec, exec, s[12:13]
	v_mov_b32_e32 v98, 0
	; wave barrier
	ds_read_b32 v97, v98 offset:768
	s_and_saveexec_b64 s[8:9], s[4:5]
	s_cbranch_execz .LBB47_12
; %bb.11:
	s_lshl_b64 s[12:13], s[6:7], 2
	s_add_u32 s12, s10, s12
	s_addc_u32 s13, s11, s13
	s_waitcnt lgkmcnt(0)
	global_store_dword v98, v97, s[12:13]
.LBB47_12:
	s_or_b64 exec, exec, s[8:9]
	s_waitcnt lgkmcnt(0)
	v_cmp_ne_u32_e32 vcc, 0, v97
	s_mov_b64 s[8:9], 0
	s_cbranch_vccnz .LBB47_204
; %bb.13:
	buffer_load_dword v98, v101, s[0:3], 0 offen
	buffer_load_dword v100, v101, s[0:3], 0 offen offset:4
                                        ; implicit-def: $vgpr103
                                        ; implicit-def: $vgpr102
                                        ; implicit-def: $vgpr97
	s_waitcnt vmcnt(0)
	v_cmp_ngt_f32_e64 s[8:9], |v98|, |v100|
	s_and_saveexec_b64 s[12:13], s[8:9]
	s_xor_b64 s[8:9], exec, s[12:13]
	s_cbranch_execz .LBB47_15
; %bb.14:
	v_div_scale_f32 v97, s[12:13], v100, v100, v98
	v_div_scale_f32 v102, vcc, v98, v100, v98
	v_rcp_f32_e32 v103, v97
	v_fma_f32 v104, -v97, v103, 1.0
	v_fmac_f32_e32 v103, v104, v103
	v_mul_f32_e32 v104, v102, v103
	v_fma_f32 v105, -v97, v104, v102
	v_fmac_f32_e32 v104, v105, v103
	v_fma_f32 v97, -v97, v104, v102
	v_div_fmas_f32 v97, v97, v103, v104
	v_div_fixup_f32 v97, v97, v100, v98
	v_fmac_f32_e32 v100, v98, v97
	v_div_scale_f32 v98, s[12:13], v100, v100, 1.0
	v_div_scale_f32 v102, vcc, 1.0, v100, 1.0
	v_rcp_f32_e32 v103, v98
	v_fma_f32 v104, -v98, v103, 1.0
	v_fmac_f32_e32 v103, v104, v103
	v_mul_f32_e32 v104, v102, v103
	v_fma_f32 v105, -v98, v104, v102
	v_fmac_f32_e32 v104, v105, v103
	v_fma_f32 v98, -v98, v104, v102
	v_div_fmas_f32 v98, v98, v103, v104
	v_div_fixup_f32 v98, v98, v100, 1.0
	v_mul_f32_e32 v103, v97, v98
	v_xor_b32_e32 v102, 0x80000000, v98
	v_xor_b32_e32 v97, 0x80000000, v103
                                        ; implicit-def: $vgpr98
                                        ; implicit-def: $vgpr100
.LBB47_15:
	s_andn2_saveexec_b64 s[8:9], s[8:9]
	s_cbranch_execz .LBB47_17
; %bb.16:
	v_div_scale_f32 v97, s[12:13], v98, v98, v100
	v_div_scale_f32 v102, vcc, v100, v98, v100
	v_rcp_f32_e32 v103, v97
	v_fma_f32 v104, -v97, v103, 1.0
	v_fmac_f32_e32 v103, v104, v103
	v_mul_f32_e32 v104, v102, v103
	v_fma_f32 v105, -v97, v104, v102
	v_fmac_f32_e32 v104, v105, v103
	v_fma_f32 v97, -v97, v104, v102
	v_div_fmas_f32 v97, v97, v103, v104
	v_div_fixup_f32 v102, v97, v98, v100
	v_fmac_f32_e32 v98, v100, v102
	v_div_scale_f32 v97, s[12:13], v98, v98, 1.0
	v_div_scale_f32 v100, vcc, 1.0, v98, 1.0
	v_rcp_f32_e32 v103, v97
	v_fma_f32 v104, -v97, v103, 1.0
	v_fmac_f32_e32 v103, v104, v103
	v_mul_f32_e32 v104, v100, v103
	v_fma_f32 v105, -v97, v104, v100
	v_fmac_f32_e32 v104, v105, v103
	v_fma_f32 v97, -v97, v104, v100
	v_div_fmas_f32 v97, v97, v103, v104
	v_div_fixup_f32 v103, v97, v98, 1.0
	v_xor_b32_e32 v97, 0x80000000, v103
	v_mul_f32_e64 v102, v102, -v103
.LBB47_17:
	s_or_b64 exec, exec, s[8:9]
	buffer_store_dword v103, v101, s[0:3], 0 offen
	buffer_store_dword v102, v101, s[0:3], 0 offen offset:4
	buffer_load_dword v104, off, s[0:3], 0 offset:12
	s_nop 0
	buffer_load_dword v103, off, s[0:3], 0 offset:8
	v_xor_b32_e32 v98, 0x80000000, v102
	v_add_u32_e32 v100, 0x180, v99
	s_waitcnt vmcnt(0)
	ds_write2_b64 v99, v[97:98], v[103:104] offset1:48
	s_waitcnt lgkmcnt(0)
	; wave barrier
	s_and_saveexec_b64 s[8:9], s[4:5]
	s_cbranch_execz .LBB47_19
; %bb.18:
	buffer_load_dword v104, v101, s[0:3], 0 offen offset:4
	buffer_load_dword v105, v101, s[0:3], 0 offen
	ds_read_b64 v[97:98], v100
	v_mov_b32_e32 v102, 0
	ds_read_b64 v[102:103], v102 offset:8
	s_waitcnt vmcnt(1) lgkmcnt(1)
	v_mul_f32_e32 v106, v98, v104
	v_mul_f32_e32 v104, v97, v104
	s_waitcnt vmcnt(0)
	v_fmac_f32_e32 v104, v98, v105
	v_fma_f32 v97, v97, v105, -v106
	v_add_f32_e32 v98, 0, v104
	v_add_f32_e32 v97, 0, v97
	s_waitcnt lgkmcnt(0)
	v_mul_f32_e32 v104, v98, v103
	v_mul_f32_e32 v103, v97, v103
	v_fma_f32 v97, v97, v102, -v104
	v_fmac_f32_e32 v103, v98, v102
	buffer_store_dword v97, off, s[0:3], 0 offset:8
	buffer_store_dword v103, off, s[0:3], 0 offset:12
.LBB47_19:
	s_or_b64 exec, exec, s[8:9]
	; wave barrier
	buffer_load_dword v97, off, s[0:3], 0 offset:16
	buffer_load_dword v98, off, s[0:3], 0 offset:20
	v_cmp_gt_u32_e32 vcc, 2, v0
	s_waitcnt vmcnt(0)
	ds_write_b64 v100, v[97:98]
	s_waitcnt lgkmcnt(0)
	; wave barrier
	s_and_saveexec_b64 s[8:9], vcc
	s_cbranch_execz .LBB47_23
; %bb.20:
	buffer_load_dword v102, v101, s[0:3], 0 offen offset:4
	buffer_load_dword v103, v101, s[0:3], 0 offen
	ds_read_b64 v[97:98], v100
	s_waitcnt vmcnt(1) lgkmcnt(0)
	v_mul_f32_e32 v101, v98, v102
	v_mul_f32_e32 v102, v97, v102
	s_waitcnt vmcnt(0)
	v_fma_f32 v97, v97, v103, -v101
	v_fmac_f32_e32 v102, v98, v103
	v_add_f32_e32 v98, 0, v97
	v_add_f32_e32 v97, 0, v102
	s_and_saveexec_b64 s[12:13], s[4:5]
	s_cbranch_execz .LBB47_22
; %bb.21:
	buffer_load_dword v103, off, s[0:3], 0 offset:12
	buffer_load_dword v104, off, s[0:3], 0 offset:8
	v_mov_b32_e32 v101, 0
	ds_read_b64 v[101:102], v101 offset:392
	s_waitcnt vmcnt(1) lgkmcnt(0)
	v_mul_f32_e32 v105, v101, v103
	v_mul_f32_e32 v103, v102, v103
	s_waitcnt vmcnt(0)
	v_fmac_f32_e32 v105, v102, v104
	v_fma_f32 v101, v101, v104, -v103
	v_add_f32_e32 v97, v97, v105
	v_add_f32_e32 v98, v98, v101
.LBB47_22:
	s_or_b64 exec, exec, s[12:13]
	v_mov_b32_e32 v101, 0
	ds_read_b64 v[101:102], v101 offset:16
	s_waitcnt lgkmcnt(0)
	v_mul_f32_e32 v103, v97, v102
	v_mul_f32_e32 v102, v98, v102
	v_fma_f32 v98, v98, v101, -v103
	v_fmac_f32_e32 v102, v97, v101
	buffer_store_dword v98, off, s[0:3], 0 offset:16
	buffer_store_dword v102, off, s[0:3], 0 offset:20
.LBB47_23:
	s_or_b64 exec, exec, s[8:9]
	; wave barrier
	buffer_load_dword v97, off, s[0:3], 0 offset:24
	buffer_load_dword v98, off, s[0:3], 0 offset:28
	v_cmp_gt_u32_e32 vcc, 3, v0
	s_waitcnt vmcnt(0)
	ds_write_b64 v100, v[97:98]
	v_add_u32_e32 v97, -1, v0
	s_waitcnt lgkmcnt(0)
	; wave barrier
	s_and_saveexec_b64 s[4:5], vcc
	s_cbranch_execz .LBB47_27
; %bb.24:
	v_add_u32_e32 v101, -1, v0
	v_add_u32_e32 v102, 0x180, v99
	v_mov_b32_e32 v103, v99
	v_mov_b32_e32 v98, 0
	s_mov_b64 s[8:9], 0
	v_mov_b32_e32 v104, 0
.LBB47_25:                              ; =>This Inner Loop Header: Depth=1
	buffer_load_dword v107, v103, s[0:3], 0 offen offset:4
	buffer_load_dword v108, v103, s[0:3], 0 offen
	ds_read_b64 v[105:106], v102
	v_add_u32_e32 v101, 1, v101
	v_cmp_lt_u32_e32 vcc, 1, v101
	v_add_u32_e32 v102, 8, v102
	v_add_u32_e32 v103, 8, v103
	s_or_b64 s[8:9], vcc, s[8:9]
	s_waitcnt vmcnt(1) lgkmcnt(0)
	v_mul_f32_e32 v109, v106, v107
	v_mul_f32_e32 v107, v105, v107
	s_waitcnt vmcnt(0)
	v_fma_f32 v105, v105, v108, -v109
	v_fmac_f32_e32 v107, v106, v108
	v_add_f32_e32 v104, v104, v105
	v_add_f32_e32 v98, v98, v107
	s_andn2_b64 exec, exec, s[8:9]
	s_cbranch_execnz .LBB47_25
; %bb.26:
	s_or_b64 exec, exec, s[8:9]
	v_mov_b32_e32 v101, 0
	ds_read_b64 v[101:102], v101 offset:24
	s_waitcnt lgkmcnt(0)
	v_mul_f32_e32 v103, v98, v102
	v_mul_f32_e32 v102, v104, v102
	v_fma_f32 v103, v104, v101, -v103
	v_fmac_f32_e32 v102, v98, v101
	buffer_store_dword v103, off, s[0:3], 0 offset:24
	buffer_store_dword v102, off, s[0:3], 0 offset:28
.LBB47_27:
	s_or_b64 exec, exec, s[4:5]
	; wave barrier
	buffer_load_dword v101, off, s[0:3], 0 offset:32
	buffer_load_dword v102, off, s[0:3], 0 offset:36
	v_cmp_gt_u32_e32 vcc, 4, v0
	s_waitcnt vmcnt(0)
	ds_write_b64 v100, v[101:102]
	s_waitcnt lgkmcnt(0)
	; wave barrier
	s_and_saveexec_b64 s[4:5], vcc
	s_cbranch_execz .LBB47_31
; %bb.28:
	v_add_u32_e32 v101, -1, v0
	v_add_u32_e32 v102, 0x180, v99
	v_mov_b32_e32 v103, v99
	v_mov_b32_e32 v98, 0
	s_mov_b64 s[8:9], 0
	v_mov_b32_e32 v104, 0
.LBB47_29:                              ; =>This Inner Loop Header: Depth=1
	buffer_load_dword v107, v103, s[0:3], 0 offen offset:4
	buffer_load_dword v108, v103, s[0:3], 0 offen
	ds_read_b64 v[105:106], v102
	v_add_u32_e32 v101, 1, v101
	v_cmp_lt_u32_e32 vcc, 2, v101
	v_add_u32_e32 v102, 8, v102
	v_add_u32_e32 v103, 8, v103
	s_or_b64 s[8:9], vcc, s[8:9]
	s_waitcnt vmcnt(1) lgkmcnt(0)
	v_mul_f32_e32 v109, v106, v107
	v_mul_f32_e32 v107, v105, v107
	s_waitcnt vmcnt(0)
	v_fma_f32 v105, v105, v108, -v109
	v_fmac_f32_e32 v107, v106, v108
	v_add_f32_e32 v104, v104, v105
	v_add_f32_e32 v98, v98, v107
	s_andn2_b64 exec, exec, s[8:9]
	s_cbranch_execnz .LBB47_29
; %bb.30:
	s_or_b64 exec, exec, s[8:9]
	v_mov_b32_e32 v101, 0
	ds_read_b64 v[101:102], v101 offset:32
	s_waitcnt lgkmcnt(0)
	v_mul_f32_e32 v103, v98, v102
	v_mul_f32_e32 v102, v104, v102
	v_fma_f32 v103, v104, v101, -v103
	v_fmac_f32_e32 v102, v98, v101
	buffer_store_dword v103, off, s[0:3], 0 offset:32
	buffer_store_dword v102, off, s[0:3], 0 offset:36
.LBB47_31:
	s_or_b64 exec, exec, s[4:5]
	; wave barrier
	buffer_load_dword v101, off, s[0:3], 0 offset:40
	buffer_load_dword v102, off, s[0:3], 0 offset:44
	v_cmp_gt_u32_e32 vcc, 5, v0
	s_waitcnt vmcnt(0)
	ds_write_b64 v100, v[101:102]
	;; [unrolled: 49-line block ×19, first 2 shown]
	s_waitcnt lgkmcnt(0)
	; wave barrier
	s_and_saveexec_b64 s[4:5], vcc
	s_cbranch_execz .LBB47_103
; %bb.100:
	v_add_u32_e32 v101, -1, v0
	v_add_u32_e32 v102, 0x180, v99
	v_mov_b32_e32 v103, v99
	v_mov_b32_e32 v98, 0
	s_mov_b64 s[8:9], 0
	v_mov_b32_e32 v104, 0
.LBB47_101:                             ; =>This Inner Loop Header: Depth=1
	buffer_load_dword v107, v103, s[0:3], 0 offen offset:4
	buffer_load_dword v108, v103, s[0:3], 0 offen
	ds_read_b64 v[105:106], v102
	v_add_u32_e32 v101, 1, v101
	v_cmp_lt_u32_e32 vcc, 20, v101
	v_add_u32_e32 v102, 8, v102
	v_add_u32_e32 v103, 8, v103
	s_or_b64 s[8:9], vcc, s[8:9]
	s_waitcnt vmcnt(1) lgkmcnt(0)
	v_mul_f32_e32 v109, v106, v107
	v_mul_f32_e32 v107, v105, v107
	s_waitcnt vmcnt(0)
	v_fma_f32 v105, v105, v108, -v109
	v_fmac_f32_e32 v107, v106, v108
	v_add_f32_e32 v104, v104, v105
	v_add_f32_e32 v98, v98, v107
	s_andn2_b64 exec, exec, s[8:9]
	s_cbranch_execnz .LBB47_101
; %bb.102:
	s_or_b64 exec, exec, s[8:9]
	v_mov_b32_e32 v101, 0
	ds_read_b64 v[101:102], v101 offset:176
	s_waitcnt lgkmcnt(0)
	v_mul_f32_e32 v103, v98, v102
	v_mul_f32_e32 v102, v104, v102
	v_fma_f32 v103, v104, v101, -v103
	v_fmac_f32_e32 v102, v98, v101
	buffer_store_dword v103, off, s[0:3], 0 offset:176
	buffer_store_dword v102, off, s[0:3], 0 offset:180
.LBB47_103:
	s_or_b64 exec, exec, s[4:5]
	; wave barrier
	buffer_load_dword v101, off, s[0:3], 0 offset:184
	buffer_load_dword v102, off, s[0:3], 0 offset:188
	v_cmp_gt_u32_e32 vcc, 23, v0
	s_waitcnt vmcnt(0)
	ds_write_b64 v100, v[101:102]
	s_waitcnt lgkmcnt(0)
	; wave barrier
	s_and_saveexec_b64 s[4:5], vcc
	s_cbranch_execz .LBB47_107
; %bb.104:
	v_add_u32_e32 v101, -1, v0
	v_add_u32_e32 v102, 0x180, v99
	v_mov_b32_e32 v103, v99
	v_mov_b32_e32 v98, 0
	s_mov_b64 s[8:9], 0
	v_mov_b32_e32 v104, 0
.LBB47_105:                             ; =>This Inner Loop Header: Depth=1
	buffer_load_dword v107, v103, s[0:3], 0 offen offset:4
	buffer_load_dword v108, v103, s[0:3], 0 offen
	ds_read_b64 v[105:106], v102
	v_add_u32_e32 v101, 1, v101
	v_cmp_lt_u32_e32 vcc, 21, v101
	v_add_u32_e32 v102, 8, v102
	v_add_u32_e32 v103, 8, v103
	s_or_b64 s[8:9], vcc, s[8:9]
	s_waitcnt vmcnt(1) lgkmcnt(0)
	v_mul_f32_e32 v109, v106, v107
	v_mul_f32_e32 v107, v105, v107
	s_waitcnt vmcnt(0)
	v_fma_f32 v105, v105, v108, -v109
	v_fmac_f32_e32 v107, v106, v108
	v_add_f32_e32 v104, v104, v105
	v_add_f32_e32 v98, v98, v107
	s_andn2_b64 exec, exec, s[8:9]
	s_cbranch_execnz .LBB47_105
; %bb.106:
	s_or_b64 exec, exec, s[8:9]
	v_mov_b32_e32 v101, 0
	ds_read_b64 v[101:102], v101 offset:184
	s_waitcnt lgkmcnt(0)
	v_mul_f32_e32 v103, v98, v102
	v_mul_f32_e32 v102, v104, v102
	v_fma_f32 v103, v104, v101, -v103
	v_fmac_f32_e32 v102, v98, v101
	buffer_store_dword v103, off, s[0:3], 0 offset:184
	buffer_store_dword v102, off, s[0:3], 0 offset:188
.LBB47_107:
	s_or_b64 exec, exec, s[4:5]
	; wave barrier
	buffer_load_dword v101, off, s[0:3], 0 offset:192
	buffer_load_dword v102, off, s[0:3], 0 offset:196
	v_cmp_gt_u32_e32 vcc, 24, v0
	s_waitcnt vmcnt(0)
	ds_write_b64 v100, v[101:102]
	;; [unrolled: 49-line block ×24, first 2 shown]
	s_waitcnt lgkmcnt(0)
	; wave barrier
	s_and_saveexec_b64 s[4:5], vcc
	s_cbranch_execz .LBB47_199
; %bb.196:
	v_add_u32_e32 v101, -1, v0
	v_add_u32_e32 v102, 0x180, v99
	v_mov_b32_e32 v103, v99
	v_mov_b32_e32 v98, 0
	s_mov_b64 s[8:9], 0
	v_mov_b32_e32 v104, 0
.LBB47_197:                             ; =>This Inner Loop Header: Depth=1
	buffer_load_dword v107, v103, s[0:3], 0 offen offset:4
	buffer_load_dword v108, v103, s[0:3], 0 offen
	ds_read_b64 v[105:106], v102
	v_add_u32_e32 v101, 1, v101
	v_cmp_lt_u32_e32 vcc, 44, v101
	v_add_u32_e32 v102, 8, v102
	v_add_u32_e32 v103, 8, v103
	s_or_b64 s[8:9], vcc, s[8:9]
	s_waitcnt vmcnt(1) lgkmcnt(0)
	v_mul_f32_e32 v109, v106, v107
	v_mul_f32_e32 v107, v105, v107
	s_waitcnt vmcnt(0)
	v_fma_f32 v105, v105, v108, -v109
	v_fmac_f32_e32 v107, v106, v108
	v_add_f32_e32 v104, v104, v105
	v_add_f32_e32 v98, v98, v107
	s_andn2_b64 exec, exec, s[8:9]
	s_cbranch_execnz .LBB47_197
; %bb.198:
	s_or_b64 exec, exec, s[8:9]
	v_mov_b32_e32 v101, 0
	ds_read_b64 v[101:102], v101 offset:368
	s_waitcnt lgkmcnt(0)
	v_mul_f32_e32 v103, v98, v102
	v_mul_f32_e32 v102, v104, v102
	v_fma_f32 v103, v104, v101, -v103
	v_fmac_f32_e32 v102, v98, v101
	buffer_store_dword v103, off, s[0:3], 0 offset:368
	buffer_store_dword v102, off, s[0:3], 0 offset:372
.LBB47_199:
	s_or_b64 exec, exec, s[4:5]
	; wave barrier
	buffer_load_dword v101, off, s[0:3], 0 offset:376
	buffer_load_dword v102, off, s[0:3], 0 offset:380
	v_cmp_ne_u32_e32 vcc, 47, v0
	s_waitcnt vmcnt(0)
	ds_write_b64 v100, v[101:102]
	s_waitcnt lgkmcnt(0)
	; wave barrier
	s_and_saveexec_b64 s[4:5], vcc
	s_cbranch_execz .LBB47_203
; %bb.200:
	v_add_u32_e32 v100, 0x180, v99
	v_mov_b32_e32 v98, 0
	s_mov_b64 s[8:9], 0
	v_mov_b32_e32 v101, 0
.LBB47_201:                             ; =>This Inner Loop Header: Depth=1
	buffer_load_dword v104, v99, s[0:3], 0 offen offset:4
	buffer_load_dword v105, v99, s[0:3], 0 offen
	ds_read_b64 v[102:103], v100
	v_add_u32_e32 v97, 1, v97
	v_cmp_lt_u32_e32 vcc, 45, v97
	v_add_u32_e32 v100, 8, v100
	v_add_u32_e32 v99, 8, v99
	s_or_b64 s[8:9], vcc, s[8:9]
	s_waitcnt vmcnt(1) lgkmcnt(0)
	v_mul_f32_e32 v106, v103, v104
	v_mul_f32_e32 v104, v102, v104
	s_waitcnt vmcnt(0)
	v_fma_f32 v102, v102, v105, -v106
	v_fmac_f32_e32 v104, v103, v105
	v_add_f32_e32 v101, v101, v102
	v_add_f32_e32 v98, v98, v104
	s_andn2_b64 exec, exec, s[8:9]
	s_cbranch_execnz .LBB47_201
; %bb.202:
	s_or_b64 exec, exec, s[8:9]
	v_mov_b32_e32 v97, 0
	ds_read_b64 v[99:100], v97 offset:376
	s_waitcnt lgkmcnt(0)
	v_mul_f32_e32 v97, v98, v100
	v_mul_f32_e32 v100, v101, v100
	v_fma_f32 v97, v101, v99, -v97
	v_fmac_f32_e32 v100, v98, v99
	buffer_store_dword v97, off, s[0:3], 0 offset:376
	buffer_store_dword v100, off, s[0:3], 0 offset:380
.LBB47_203:
	s_or_b64 exec, exec, s[4:5]
	s_mov_b64 s[8:9], -1
	; wave barrier
.LBB47_204:
	s_and_b64 vcc, exec, s[8:9]
	s_cbranch_vccz .LBB47_206
; %bb.205:
	s_lshl_b64 s[4:5], s[6:7], 2
	s_add_u32 s4, s10, s4
	s_addc_u32 s5, s11, s5
	v_mov_b32_e32 v97, 0
	global_load_dword v97, v97, s[4:5]
	s_waitcnt vmcnt(0)
	v_cmp_ne_u32_e32 vcc, 0, v97
	s_cbranch_vccz .LBB47_207
.LBB47_206:
	s_endpgm
.LBB47_207:
	v_mov_b32_e32 v97, 0x180
	v_lshl_add_u32 v97, v0, 3, v97
	v_cmp_eq_u32_e32 vcc, 47, v0
	s_and_saveexec_b64 s[4:5], vcc
	s_cbranch_execz .LBB47_209
; %bb.208:
	buffer_load_dword v98, off, s[0:3], 0 offset:368
	buffer_load_dword v99, off, s[0:3], 0 offset:372
	v_mov_b32_e32 v100, 0
	buffer_store_dword v100, off, s[0:3], 0 offset:368
	buffer_store_dword v100, off, s[0:3], 0 offset:372
	s_waitcnt vmcnt(2)
	ds_write_b64 v97, v[98:99]
.LBB47_209:
	s_or_b64 exec, exec, s[4:5]
	s_waitcnt lgkmcnt(0)
	; wave barrier
	buffer_load_dword v101, off, s[0:3], 0 offset:380
	buffer_load_dword v102, off, s[0:3], 0 offset:376
	;; [unrolled: 1-line block ×4, first 2 shown]
	v_mov_b32_e32 v98, 0
	ds_read_b64 v[99:100], v98 offset:760
	v_cmp_lt_u32_e32 vcc, 45, v0
	s_waitcnt vmcnt(3) lgkmcnt(0)
	v_mul_f32_e32 v105, v99, v101
	v_mul_f32_e32 v101, v100, v101
	s_waitcnt vmcnt(2)
	v_fma_f32 v99, v99, v102, -v101
	v_fmac_f32_e32 v105, v100, v102
	v_add_f32_e32 v99, 0, v99
	v_add_f32_e32 v100, 0, v105
	s_waitcnt vmcnt(1)
	v_sub_f32_e32 v99, v103, v99
	s_waitcnt vmcnt(0)
	v_sub_f32_e32 v100, v104, v100
	buffer_store_dword v99, off, s[0:3], 0 offset:368
	buffer_store_dword v100, off, s[0:3], 0 offset:372
	s_and_saveexec_b64 s[4:5], vcc
	s_cbranch_execz .LBB47_211
; %bb.210:
	buffer_load_dword v99, off, s[0:3], 0 offset:360
	buffer_load_dword v100, off, s[0:3], 0 offset:364
	s_waitcnt vmcnt(0)
	ds_write_b64 v97, v[99:100]
	buffer_store_dword v98, off, s[0:3], 0 offset:360
	buffer_store_dword v98, off, s[0:3], 0 offset:364
.LBB47_211:
	s_or_b64 exec, exec, s[4:5]
	s_waitcnt lgkmcnt(0)
	; wave barrier
	buffer_load_dword v102, off, s[0:3], 0 offset:372
	buffer_load_dword v103, off, s[0:3], 0 offset:380
	;; [unrolled: 1-line block ×6, first 2 shown]
	ds_read_b128 v[98:101], v98 offset:752
	v_cmp_lt_u32_e32 vcc, 44, v0
	s_waitcnt vmcnt(5) lgkmcnt(0)
	v_mul_f32_e32 v108, v98, v102
	v_mul_f32_e32 v102, v99, v102
	s_waitcnt vmcnt(4)
	v_mul_f32_e32 v109, v100, v103
	v_mul_f32_e32 v103, v101, v103
	s_waitcnt vmcnt(3)
	v_fma_f32 v98, v98, v104, -v102
	v_fmac_f32_e32 v108, v99, v104
	s_waitcnt vmcnt(2)
	v_fma_f32 v99, v100, v105, -v103
	v_add_f32_e32 v98, 0, v98
	v_fmac_f32_e32 v109, v101, v105
	v_add_f32_e32 v100, 0, v108
	v_add_f32_e32 v98, v98, v99
	;; [unrolled: 1-line block ×3, first 2 shown]
	s_waitcnt vmcnt(1)
	v_sub_f32_e32 v98, v106, v98
	s_waitcnt vmcnt(0)
	v_sub_f32_e32 v99, v107, v100
	buffer_store_dword v98, off, s[0:3], 0 offset:360
	buffer_store_dword v99, off, s[0:3], 0 offset:364
	s_and_saveexec_b64 s[4:5], vcc
	s_cbranch_execz .LBB47_213
; %bb.212:
	buffer_load_dword v98, off, s[0:3], 0 offset:352
	buffer_load_dword v99, off, s[0:3], 0 offset:356
	v_mov_b32_e32 v100, 0
	buffer_store_dword v100, off, s[0:3], 0 offset:352
	buffer_store_dword v100, off, s[0:3], 0 offset:356
	s_waitcnt vmcnt(2)
	ds_write_b64 v97, v[98:99]
.LBB47_213:
	s_or_b64 exec, exec, s[4:5]
	s_waitcnt lgkmcnt(0)
	; wave barrier
	buffer_load_dword v105, off, s[0:3], 0 offset:364
	buffer_load_dword v106, off, s[0:3], 0 offset:372
	buffer_load_dword v107, off, s[0:3], 0 offset:380
	buffer_load_dword v108, off, s[0:3], 0 offset:360
	buffer_load_dword v109, off, s[0:3], 0 offset:368
	buffer_load_dword v110, off, s[0:3], 0 offset:376
	buffer_load_dword v111, off, s[0:3], 0 offset:352
	buffer_load_dword v112, off, s[0:3], 0 offset:356
	v_mov_b32_e32 v98, 0
	ds_read2_b64 v[99:102], v98 offset0:93 offset1:94
	ds_read_b64 v[103:104], v98 offset:760
	v_cmp_lt_u32_e32 vcc, 43, v0
	s_waitcnt vmcnt(7) lgkmcnt(1)
	v_mul_f32_e32 v113, v99, v105
	v_mul_f32_e32 v105, v100, v105
	s_waitcnt vmcnt(6)
	v_mul_f32_e32 v114, v101, v106
	v_mul_f32_e32 v106, v102, v106
	s_waitcnt vmcnt(4)
	v_fma_f32 v99, v99, v108, -v105
	s_waitcnt lgkmcnt(0)
	v_mul_f32_e32 v115, v103, v107
	v_mul_f32_e32 v107, v104, v107
	v_fmac_f32_e32 v113, v100, v108
	s_waitcnt vmcnt(3)
	v_fma_f32 v100, v101, v109, -v106
	v_add_f32_e32 v99, 0, v99
	v_fmac_f32_e32 v114, v102, v109
	s_waitcnt vmcnt(2)
	v_fma_f32 v101, v103, v110, -v107
	v_add_f32_e32 v102, 0, v113
	v_add_f32_e32 v99, v99, v100
	v_fmac_f32_e32 v115, v104, v110
	v_add_f32_e32 v102, v102, v114
	v_add_f32_e32 v99, v99, v101
	;; [unrolled: 1-line block ×3, first 2 shown]
	s_waitcnt vmcnt(1)
	v_sub_f32_e32 v99, v111, v99
	s_waitcnt vmcnt(0)
	v_sub_f32_e32 v100, v112, v100
	buffer_store_dword v99, off, s[0:3], 0 offset:352
	buffer_store_dword v100, off, s[0:3], 0 offset:356
	s_and_saveexec_b64 s[4:5], vcc
	s_cbranch_execz .LBB47_215
; %bb.214:
	buffer_load_dword v99, off, s[0:3], 0 offset:344
	buffer_load_dword v100, off, s[0:3], 0 offset:348
	s_waitcnt vmcnt(0)
	ds_write_b64 v97, v[99:100]
	buffer_store_dword v98, off, s[0:3], 0 offset:344
	buffer_store_dword v98, off, s[0:3], 0 offset:348
.LBB47_215:
	s_or_b64 exec, exec, s[4:5]
	s_waitcnt lgkmcnt(0)
	; wave barrier
	buffer_load_dword v107, off, s[0:3], 0 offset:356
	buffer_load_dword v108, off, s[0:3], 0 offset:364
	;; [unrolled: 1-line block ×10, first 2 shown]
	ds_read_b128 v[99:102], v98 offset:736
	ds_read_b128 v[103:106], v98 offset:752
	v_cmp_lt_u32_e32 vcc, 42, v0
	s_waitcnt vmcnt(9) lgkmcnt(1)
	v_mul_f32_e32 v98, v99, v107
	v_mul_f32_e32 v107, v100, v107
	s_waitcnt vmcnt(8)
	v_mul_f32_e32 v117, v101, v108
	v_mul_f32_e32 v108, v102, v108
	s_waitcnt vmcnt(5)
	v_fma_f32 v99, v99, v111, -v107
	s_waitcnt lgkmcnt(0)
	v_mul_f32_e32 v118, v103, v109
	v_mul_f32_e32 v109, v104, v109
	v_fmac_f32_e32 v98, v100, v111
	s_waitcnt vmcnt(4)
	v_fma_f32 v100, v101, v112, -v108
	v_add_f32_e32 v99, 0, v99
	v_mul_f32_e32 v119, v105, v110
	v_mul_f32_e32 v110, v106, v110
	v_fmac_f32_e32 v117, v102, v112
	s_waitcnt vmcnt(3)
	v_fma_f32 v101, v103, v113, -v109
	v_add_f32_e32 v98, 0, v98
	v_add_f32_e32 v99, v99, v100
	v_fmac_f32_e32 v118, v104, v113
	s_waitcnt vmcnt(2)
	v_fma_f32 v102, v105, v114, -v110
	v_add_f32_e32 v98, v98, v117
	v_add_f32_e32 v99, v99, v101
	v_fmac_f32_e32 v119, v106, v114
	v_add_f32_e32 v98, v98, v118
	v_add_f32_e32 v99, v99, v102
	;; [unrolled: 1-line block ×3, first 2 shown]
	s_waitcnt vmcnt(1)
	v_sub_f32_e32 v99, v115, v99
	s_waitcnt vmcnt(0)
	v_sub_f32_e32 v98, v116, v98
	buffer_store_dword v99, off, s[0:3], 0 offset:344
	buffer_store_dword v98, off, s[0:3], 0 offset:348
	s_and_saveexec_b64 s[4:5], vcc
	s_cbranch_execz .LBB47_217
; %bb.216:
	buffer_load_dword v98, off, s[0:3], 0 offset:336
	buffer_load_dword v99, off, s[0:3], 0 offset:340
	v_mov_b32_e32 v100, 0
	buffer_store_dword v100, off, s[0:3], 0 offset:336
	buffer_store_dword v100, off, s[0:3], 0 offset:340
	s_waitcnt vmcnt(2)
	ds_write_b64 v97, v[98:99]
.LBB47_217:
	s_or_b64 exec, exec, s[4:5]
	s_waitcnt lgkmcnt(0)
	; wave barrier
	buffer_load_dword v109, off, s[0:3], 0 offset:348
	buffer_load_dword v110, off, s[0:3], 0 offset:356
	;; [unrolled: 1-line block ×12, first 2 shown]
	v_mov_b32_e32 v98, 0
	ds_read2_b64 v[99:102], v98 offset0:91 offset1:92
	ds_read2_b64 v[103:106], v98 offset0:93 offset1:94
	ds_read_b64 v[107:108], v98 offset:760
	v_cmp_lt_u32_e32 vcc, 41, v0
	s_waitcnt vmcnt(11) lgkmcnt(2)
	v_mul_f32_e32 v121, v99, v109
	v_mul_f32_e32 v109, v100, v109
	s_waitcnt vmcnt(10)
	v_mul_f32_e32 v122, v101, v110
	v_mul_f32_e32 v110, v102, v110
	s_waitcnt vmcnt(9) lgkmcnt(1)
	v_mul_f32_e32 v123, v103, v111
	s_waitcnt vmcnt(6)
	v_fma_f32 v99, v99, v114, -v109
	v_mul_f32_e32 v111, v104, v111
	v_fmac_f32_e32 v121, v100, v114
	s_waitcnt vmcnt(5)
	v_fma_f32 v100, v101, v115, -v110
	v_add_f32_e32 v99, 0, v99
	v_mul_f32_e32 v124, v105, v112
	v_mul_f32_e32 v112, v106, v112
	v_fmac_f32_e32 v122, v102, v115
	s_waitcnt vmcnt(4)
	v_fmac_f32_e32 v123, v104, v116
	v_fma_f32 v101, v103, v116, -v111
	v_add_f32_e32 v104, 0, v121
	v_add_f32_e32 v99, v99, v100
	s_waitcnt lgkmcnt(0)
	v_mul_f32_e32 v125, v107, v113
	v_mul_f32_e32 v113, v108, v113
	s_waitcnt vmcnt(3)
	v_fma_f32 v102, v105, v117, -v112
	v_add_f32_e32 v104, v104, v122
	v_add_f32_e32 v99, v99, v101
	v_fmac_f32_e32 v124, v106, v117
	s_waitcnt vmcnt(2)
	v_fma_f32 v103, v107, v118, -v113
	v_add_f32_e32 v100, v104, v123
	v_add_f32_e32 v99, v99, v102
	v_fmac_f32_e32 v125, v108, v118
	v_add_f32_e32 v100, v100, v124
	v_add_f32_e32 v99, v99, v103
	;; [unrolled: 1-line block ×3, first 2 shown]
	s_waitcnt vmcnt(1)
	v_sub_f32_e32 v99, v119, v99
	s_waitcnt vmcnt(0)
	v_sub_f32_e32 v100, v120, v100
	buffer_store_dword v99, off, s[0:3], 0 offset:336
	buffer_store_dword v100, off, s[0:3], 0 offset:340
	s_and_saveexec_b64 s[4:5], vcc
	s_cbranch_execz .LBB47_219
; %bb.218:
	buffer_load_dword v99, off, s[0:3], 0 offset:328
	buffer_load_dword v100, off, s[0:3], 0 offset:332
	s_waitcnt vmcnt(0)
	ds_write_b64 v97, v[99:100]
	buffer_store_dword v98, off, s[0:3], 0 offset:328
	buffer_store_dword v98, off, s[0:3], 0 offset:332
.LBB47_219:
	s_or_b64 exec, exec, s[4:5]
	s_waitcnt lgkmcnt(0)
	; wave barrier
	ds_read_b128 v[99:102], v98 offset:720
	ds_read_b128 v[103:106], v98 offset:736
	;; [unrolled: 1-line block ×3, first 2 shown]
	buffer_load_dword v98, off, s[0:3], 0 offset:328
	buffer_load_dword v111, off, s[0:3], 0 offset:332
	;; [unrolled: 1-line block ×14, first 2 shown]
	v_cmp_lt_u32_e32 vcc, 40, v0
	s_waitcnt vmcnt(10) lgkmcnt(2)
	v_mul_f32_e32 v124, v99, v113
	v_fmac_f32_e32 v124, v100, v112
	v_mul_f32_e32 v100, v100, v113
	v_fma_f32 v99, v99, v112, -v100
	s_waitcnt vmcnt(8)
	v_mul_f32_e32 v100, v102, v115
	v_mul_f32_e32 v125, v101, v115
	v_add_f32_e32 v99, 0, v99
	v_fma_f32 v100, v101, v114, -v100
	v_add_f32_e32 v124, 0, v124
	v_fmac_f32_e32 v125, v102, v114
	v_add_f32_e32 v99, v99, v100
	s_waitcnt vmcnt(6) lgkmcnt(1)
	v_mul_f32_e32 v100, v104, v117
	v_add_f32_e32 v124, v124, v125
	v_mul_f32_e32 v125, v103, v117
	v_fma_f32 v100, v103, v116, -v100
	v_fmac_f32_e32 v125, v104, v116
	v_add_f32_e32 v99, v99, v100
	s_waitcnt vmcnt(4)
	v_mul_f32_e32 v100, v106, v119
	v_add_f32_e32 v124, v124, v125
	v_mul_f32_e32 v125, v105, v119
	v_fma_f32 v100, v105, v118, -v100
	v_fmac_f32_e32 v125, v106, v118
	v_add_f32_e32 v99, v99, v100
	s_waitcnt vmcnt(2) lgkmcnt(0)
	v_mul_f32_e32 v100, v108, v121
	v_add_f32_e32 v124, v124, v125
	v_mul_f32_e32 v125, v107, v121
	v_fma_f32 v100, v107, v120, -v100
	v_fmac_f32_e32 v125, v108, v120
	v_add_f32_e32 v99, v99, v100
	s_waitcnt vmcnt(0)
	v_mul_f32_e32 v100, v110, v123
	v_add_f32_e32 v124, v124, v125
	v_mul_f32_e32 v125, v109, v123
	v_fma_f32 v100, v109, v122, -v100
	v_fmac_f32_e32 v125, v110, v122
	v_add_f32_e32 v99, v99, v100
	v_add_f32_e32 v124, v124, v125
	v_sub_f32_e32 v98, v98, v99
	v_sub_f32_e32 v99, v111, v124
	buffer_store_dword v98, off, s[0:3], 0 offset:328
	buffer_store_dword v99, off, s[0:3], 0 offset:332
	s_and_saveexec_b64 s[4:5], vcc
	s_cbranch_execz .LBB47_221
; %bb.220:
	buffer_load_dword v98, off, s[0:3], 0 offset:320
	buffer_load_dword v99, off, s[0:3], 0 offset:324
	v_mov_b32_e32 v100, 0
	buffer_store_dword v100, off, s[0:3], 0 offset:320
	buffer_store_dword v100, off, s[0:3], 0 offset:324
	s_waitcnt vmcnt(2)
	ds_write_b64 v97, v[98:99]
.LBB47_221:
	s_or_b64 exec, exec, s[4:5]
	s_waitcnt lgkmcnt(0)
	; wave barrier
	buffer_load_dword v113, off, s[0:3], 0 offset:332
	buffer_load_dword v114, off, s[0:3], 0 offset:340
	;; [unrolled: 1-line block ×16, first 2 shown]
	v_mov_b32_e32 v98, 0
	ds_read2_b64 v[99:102], v98 offset0:89 offset1:90
	ds_read2_b64 v[103:106], v98 offset0:91 offset1:92
	ds_read2_b64 v[107:110], v98 offset0:93 offset1:94
	ds_read_b64 v[111:112], v98 offset:760
	v_cmp_lt_u32_e32 vcc, 39, v0
	s_waitcnt vmcnt(15) lgkmcnt(3)
	v_mul_f32_e32 v129, v99, v113
	v_mul_f32_e32 v113, v100, v113
	s_waitcnt vmcnt(14)
	v_mul_f32_e32 v130, v101, v114
	v_mul_f32_e32 v114, v102, v114
	s_waitcnt vmcnt(13) lgkmcnt(2)
	v_mul_f32_e32 v131, v103, v115
	s_waitcnt vmcnt(12)
	v_mul_f32_e32 v132, v105, v116
	v_mul_f32_e32 v115, v104, v115
	s_waitcnt vmcnt(8)
	v_fma_f32 v99, v99, v120, -v113
	v_fmac_f32_e32 v129, v100, v120
	s_waitcnt vmcnt(7)
	v_fma_f32 v100, v101, v121, -v114
	v_add_f32_e32 v99, 0, v99
	v_mul_f32_e32 v116, v106, v116
	v_fmac_f32_e32 v130, v102, v121
	s_waitcnt vmcnt(5)
	v_fmac_f32_e32 v132, v106, v123
	v_fma_f32 v101, v103, v122, -v115
	v_add_f32_e32 v106, 0, v129
	v_add_f32_e32 v99, v99, v100
	s_waitcnt lgkmcnt(1)
	v_mul_f32_e32 v133, v107, v117
	v_mul_f32_e32 v117, v108, v117
	v_fmac_f32_e32 v131, v104, v122
	v_fma_f32 v102, v105, v123, -v116
	v_add_f32_e32 v106, v106, v130
	v_add_f32_e32 v99, v99, v101
	v_mul_f32_e32 v134, v109, v118
	v_mul_f32_e32 v118, v110, v118
	s_waitcnt vmcnt(4)
	v_fma_f32 v103, v107, v124, -v117
	v_add_f32_e32 v100, v106, v131
	v_add_f32_e32 v99, v99, v102
	s_waitcnt lgkmcnt(0)
	v_mul_f32_e32 v135, v111, v119
	v_mul_f32_e32 v119, v112, v119
	v_fmac_f32_e32 v133, v108, v124
	s_waitcnt vmcnt(3)
	v_fma_f32 v104, v109, v125, -v118
	v_add_f32_e32 v100, v100, v132
	v_add_f32_e32 v99, v99, v103
	v_fmac_f32_e32 v134, v110, v125
	s_waitcnt vmcnt(2)
	v_fma_f32 v105, v111, v126, -v119
	v_add_f32_e32 v100, v100, v133
	v_add_f32_e32 v99, v99, v104
	v_fmac_f32_e32 v135, v112, v126
	v_add_f32_e32 v100, v100, v134
	v_add_f32_e32 v99, v99, v105
	;; [unrolled: 1-line block ×3, first 2 shown]
	s_waitcnt vmcnt(1)
	v_sub_f32_e32 v99, v127, v99
	s_waitcnt vmcnt(0)
	v_sub_f32_e32 v100, v128, v100
	buffer_store_dword v99, off, s[0:3], 0 offset:320
	buffer_store_dword v100, off, s[0:3], 0 offset:324
	s_and_saveexec_b64 s[4:5], vcc
	s_cbranch_execz .LBB47_223
; %bb.222:
	buffer_load_dword v99, off, s[0:3], 0 offset:312
	buffer_load_dword v100, off, s[0:3], 0 offset:316
	s_waitcnt vmcnt(0)
	ds_write_b64 v97, v[99:100]
	buffer_store_dword v98, off, s[0:3], 0 offset:312
	buffer_store_dword v98, off, s[0:3], 0 offset:316
.LBB47_223:
	s_or_b64 exec, exec, s[4:5]
	s_waitcnt lgkmcnt(0)
	; wave barrier
	buffer_load_dword v115, off, s[0:3], 0 offset:324
	buffer_load_dword v116, off, s[0:3], 0 offset:332
	;; [unrolled: 1-line block ×18, first 2 shown]
	ds_read_b128 v[99:102], v98 offset:704
	ds_read_b128 v[103:106], v98 offset:720
	;; [unrolled: 1-line block ×4, first 2 shown]
	v_cmp_lt_u32_e32 vcc, 38, v0
	s_waitcnt vmcnt(17) lgkmcnt(3)
	v_mul_f32_e32 v98, v99, v115
	v_mul_f32_e32 v115, v100, v115
	s_waitcnt vmcnt(16)
	v_mul_f32_e32 v133, v101, v116
	v_mul_f32_e32 v116, v102, v116
	s_waitcnt vmcnt(15) lgkmcnt(2)
	v_mul_f32_e32 v134, v103, v117
	v_mul_f32_e32 v117, v104, v117
	s_waitcnt vmcnt(14)
	v_mul_f32_e32 v135, v105, v118
	v_mul_f32_e32 v118, v106, v118
	s_waitcnt vmcnt(9)
	v_fma_f32 v99, v99, v123, -v115
	v_fmac_f32_e32 v98, v100, v123
	s_waitcnt vmcnt(8)
	v_fma_f32 v100, v101, v124, -v116
	v_add_f32_e32 v99, 0, v99
	v_fmac_f32_e32 v133, v102, v124
	s_waitcnt vmcnt(7)
	v_fma_f32 v101, v103, v125, -v117
	v_add_f32_e32 v98, 0, v98
	v_add_f32_e32 v99, v99, v100
	s_waitcnt lgkmcnt(1)
	v_mul_f32_e32 v136, v107, v119
	v_mul_f32_e32 v119, v108, v119
	v_fmac_f32_e32 v134, v104, v125
	s_waitcnt vmcnt(6)
	v_fma_f32 v102, v105, v126, -v118
	v_add_f32_e32 v98, v98, v133
	v_add_f32_e32 v99, v99, v101
	v_mul_f32_e32 v137, v109, v120
	v_mul_f32_e32 v120, v110, v120
	v_fmac_f32_e32 v135, v106, v126
	s_waitcnt vmcnt(5)
	v_fma_f32 v103, v107, v127, -v119
	v_add_f32_e32 v98, v98, v134
	v_add_f32_e32 v99, v99, v102
	s_waitcnt lgkmcnt(0)
	v_mul_f32_e32 v138, v111, v121
	v_mul_f32_e32 v121, v112, v121
	v_fmac_f32_e32 v136, v108, v127
	s_waitcnt vmcnt(4)
	v_fma_f32 v104, v109, v128, -v120
	v_add_f32_e32 v98, v98, v135
	v_add_f32_e32 v99, v99, v103
	v_mul_f32_e32 v139, v113, v122
	v_mul_f32_e32 v122, v114, v122
	v_fmac_f32_e32 v137, v110, v128
	s_waitcnt vmcnt(3)
	v_fma_f32 v105, v111, v129, -v121
	v_add_f32_e32 v98, v98, v136
	v_add_f32_e32 v99, v99, v104
	v_fmac_f32_e32 v138, v112, v129
	s_waitcnt vmcnt(2)
	v_fma_f32 v106, v113, v130, -v122
	v_add_f32_e32 v98, v98, v137
	v_add_f32_e32 v99, v99, v105
	v_fmac_f32_e32 v139, v114, v130
	v_add_f32_e32 v98, v98, v138
	v_add_f32_e32 v99, v99, v106
	;; [unrolled: 1-line block ×3, first 2 shown]
	s_waitcnt vmcnt(1)
	v_sub_f32_e32 v99, v131, v99
	s_waitcnt vmcnt(0)
	v_sub_f32_e32 v98, v132, v98
	buffer_store_dword v99, off, s[0:3], 0 offset:312
	buffer_store_dword v98, off, s[0:3], 0 offset:316
	s_and_saveexec_b64 s[4:5], vcc
	s_cbranch_execz .LBB47_225
; %bb.224:
	buffer_load_dword v98, off, s[0:3], 0 offset:304
	buffer_load_dword v99, off, s[0:3], 0 offset:308
	v_mov_b32_e32 v100, 0
	buffer_store_dword v100, off, s[0:3], 0 offset:304
	buffer_store_dword v100, off, s[0:3], 0 offset:308
	s_waitcnt vmcnt(2)
	ds_write_b64 v97, v[98:99]
.LBB47_225:
	s_or_b64 exec, exec, s[4:5]
	s_waitcnt lgkmcnt(0)
	; wave barrier
	buffer_load_dword v117, off, s[0:3], 0 offset:316
	buffer_load_dword v118, off, s[0:3], 0 offset:324
	;; [unrolled: 1-line block ×20, first 2 shown]
	v_mov_b32_e32 v98, 0
	ds_read2_b64 v[99:102], v98 offset0:87 offset1:88
	ds_read2_b64 v[103:106], v98 offset0:89 offset1:90
	;; [unrolled: 1-line block ×4, first 2 shown]
	ds_read_b64 v[115:116], v98 offset:760
	v_cmp_lt_u32_e32 vcc, 37, v0
	s_waitcnt vmcnt(19) lgkmcnt(4)
	v_mul_f32_e32 v137, v99, v117
	v_mul_f32_e32 v117, v100, v117
	s_waitcnt vmcnt(18)
	v_mul_f32_e32 v138, v101, v118
	v_mul_f32_e32 v118, v102, v118
	s_waitcnt vmcnt(17) lgkmcnt(3)
	v_mul_f32_e32 v139, v103, v119
	s_waitcnt vmcnt(15) lgkmcnt(2)
	v_mul_f32_e32 v141, v107, v121
	v_mul_f32_e32 v119, v104, v119
	v_mul_f32_e32 v140, v105, v120
	v_mul_f32_e32 v120, v106, v120
	s_waitcnt vmcnt(10)
	v_fma_f32 v99, v99, v126, -v117
	v_fmac_f32_e32 v137, v100, v126
	s_waitcnt vmcnt(9)
	v_fma_f32 v100, v101, v127, -v118
	v_add_f32_e32 v99, 0, v99
	v_mul_f32_e32 v121, v108, v121
	v_fmac_f32_e32 v138, v102, v127
	s_waitcnt vmcnt(6)
	v_fmac_f32_e32 v141, v108, v130
	v_fma_f32 v101, v103, v128, -v119
	v_add_f32_e32 v108, 0, v137
	v_add_f32_e32 v99, v99, v100
	v_fmac_f32_e32 v139, v104, v128
	v_fma_f32 v102, v105, v129, -v120
	v_add_f32_e32 v108, v108, v138
	v_add_f32_e32 v99, v99, v101
	v_mul_f32_e32 v142, v109, v122
	v_mul_f32_e32 v122, v110, v122
	v_fmac_f32_e32 v140, v106, v129
	v_fma_f32 v103, v107, v130, -v121
	v_add_f32_e32 v100, v108, v139
	v_add_f32_e32 v99, v99, v102
	s_waitcnt lgkmcnt(1)
	v_mul_f32_e32 v143, v111, v123
	v_mul_f32_e32 v123, v112, v123
	s_waitcnt vmcnt(5)
	v_fma_f32 v104, v109, v131, -v122
	v_add_f32_e32 v100, v100, v140
	v_add_f32_e32 v99, v99, v103
	v_mul_f32_e32 v144, v113, v124
	v_mul_f32_e32 v124, v114, v124
	v_fmac_f32_e32 v142, v110, v131
	s_waitcnt vmcnt(4)
	v_fma_f32 v105, v111, v132, -v123
	v_add_f32_e32 v100, v100, v141
	v_add_f32_e32 v99, v99, v104
	s_waitcnt lgkmcnt(0)
	v_mul_f32_e32 v145, v115, v125
	v_mul_f32_e32 v125, v116, v125
	v_fmac_f32_e32 v143, v112, v132
	s_waitcnt vmcnt(3)
	v_fma_f32 v106, v113, v133, -v124
	v_add_f32_e32 v100, v100, v142
	v_add_f32_e32 v99, v99, v105
	v_fmac_f32_e32 v144, v114, v133
	s_waitcnt vmcnt(2)
	v_fma_f32 v107, v115, v134, -v125
	v_add_f32_e32 v100, v100, v143
	v_add_f32_e32 v99, v99, v106
	v_fmac_f32_e32 v145, v116, v134
	v_add_f32_e32 v100, v100, v144
	v_add_f32_e32 v99, v99, v107
	;; [unrolled: 1-line block ×3, first 2 shown]
	s_waitcnt vmcnt(1)
	v_sub_f32_e32 v99, v135, v99
	s_waitcnt vmcnt(0)
	v_sub_f32_e32 v100, v136, v100
	buffer_store_dword v99, off, s[0:3], 0 offset:304
	buffer_store_dword v100, off, s[0:3], 0 offset:308
	s_and_saveexec_b64 s[4:5], vcc
	s_cbranch_execz .LBB47_227
; %bb.226:
	buffer_load_dword v99, off, s[0:3], 0 offset:296
	buffer_load_dword v100, off, s[0:3], 0 offset:300
	s_waitcnt vmcnt(0)
	ds_write_b64 v97, v[99:100]
	buffer_store_dword v98, off, s[0:3], 0 offset:296
	buffer_store_dword v98, off, s[0:3], 0 offset:300
.LBB47_227:
	s_or_b64 exec, exec, s[4:5]
	s_waitcnt lgkmcnt(0)
	; wave barrier
	buffer_load_dword v119, off, s[0:3], 0 offset:308
	buffer_load_dword v120, off, s[0:3], 0 offset:316
	;; [unrolled: 1-line block ×22, first 2 shown]
	ds_read_b128 v[99:102], v98 offset:688
	ds_read_b128 v[103:106], v98 offset:704
	;; [unrolled: 1-line block ×5, first 2 shown]
	v_cmp_lt_u32_e32 vcc, 36, v0
	s_waitcnt vmcnt(21) lgkmcnt(4)
	v_mul_f32_e32 v98, v99, v119
	v_mul_f32_e32 v119, v100, v119
	s_waitcnt vmcnt(20)
	v_mul_f32_e32 v141, v101, v120
	v_mul_f32_e32 v120, v102, v120
	s_waitcnt vmcnt(19) lgkmcnt(3)
	v_mul_f32_e32 v142, v103, v121
	v_mul_f32_e32 v121, v104, v121
	s_waitcnt vmcnt(18)
	v_mul_f32_e32 v143, v105, v122
	v_mul_f32_e32 v122, v106, v122
	s_waitcnt vmcnt(17) lgkmcnt(2)
	v_mul_f32_e32 v144, v107, v123
	v_mul_f32_e32 v123, v108, v123
	s_waitcnt vmcnt(11)
	v_fma_f32 v99, v99, v129, -v119
	v_fmac_f32_e32 v98, v100, v129
	s_waitcnt vmcnt(10)
	v_fma_f32 v100, v101, v130, -v120
	v_add_f32_e32 v99, 0, v99
	v_fmac_f32_e32 v141, v102, v130
	s_waitcnt vmcnt(9)
	v_fma_f32 v101, v103, v131, -v121
	v_add_f32_e32 v98, 0, v98
	v_add_f32_e32 v99, v99, v100
	v_fmac_f32_e32 v142, v104, v131
	s_waitcnt vmcnt(8)
	v_fma_f32 v102, v105, v132, -v122
	v_add_f32_e32 v98, v98, v141
	v_add_f32_e32 v99, v99, v101
	v_mul_f32_e32 v145, v109, v124
	v_mul_f32_e32 v124, v110, v124
	v_fmac_f32_e32 v143, v106, v132
	s_waitcnt vmcnt(7)
	v_fma_f32 v103, v107, v133, -v123
	v_add_f32_e32 v98, v98, v142
	v_add_f32_e32 v99, v99, v102
	s_waitcnt lgkmcnt(1)
	v_mul_f32_e32 v146, v111, v125
	v_mul_f32_e32 v125, v112, v125
	v_fmac_f32_e32 v144, v108, v133
	s_waitcnt vmcnt(6)
	v_fma_f32 v104, v109, v134, -v124
	v_add_f32_e32 v98, v98, v143
	v_add_f32_e32 v99, v99, v103
	v_mul_f32_e32 v147, v113, v126
	v_mul_f32_e32 v126, v114, v126
	v_fmac_f32_e32 v145, v110, v134
	s_waitcnt vmcnt(5)
	v_fma_f32 v105, v111, v135, -v125
	v_add_f32_e32 v98, v98, v144
	v_add_f32_e32 v99, v99, v104
	s_waitcnt lgkmcnt(0)
	v_mul_f32_e32 v148, v115, v127
	v_mul_f32_e32 v127, v116, v127
	v_fmac_f32_e32 v146, v112, v135
	s_waitcnt vmcnt(4)
	v_fma_f32 v106, v113, v136, -v126
	v_add_f32_e32 v98, v98, v145
	v_add_f32_e32 v99, v99, v105
	v_mul_f32_e32 v149, v117, v128
	v_mul_f32_e32 v128, v118, v128
	v_fmac_f32_e32 v147, v114, v136
	s_waitcnt vmcnt(3)
	v_fma_f32 v107, v115, v137, -v127
	v_add_f32_e32 v98, v98, v146
	v_add_f32_e32 v99, v99, v106
	v_fmac_f32_e32 v148, v116, v137
	s_waitcnt vmcnt(2)
	v_fma_f32 v108, v117, v138, -v128
	v_add_f32_e32 v98, v98, v147
	v_add_f32_e32 v99, v99, v107
	v_fmac_f32_e32 v149, v118, v138
	v_add_f32_e32 v98, v98, v148
	v_add_f32_e32 v99, v99, v108
	;; [unrolled: 1-line block ×3, first 2 shown]
	s_waitcnt vmcnt(1)
	v_sub_f32_e32 v99, v139, v99
	s_waitcnt vmcnt(0)
	v_sub_f32_e32 v98, v140, v98
	buffer_store_dword v99, off, s[0:3], 0 offset:296
	buffer_store_dword v98, off, s[0:3], 0 offset:300
	s_and_saveexec_b64 s[4:5], vcc
	s_cbranch_execz .LBB47_229
; %bb.228:
	buffer_load_dword v98, off, s[0:3], 0 offset:288
	buffer_load_dword v99, off, s[0:3], 0 offset:292
	v_mov_b32_e32 v100, 0
	buffer_store_dword v100, off, s[0:3], 0 offset:288
	buffer_store_dword v100, off, s[0:3], 0 offset:292
	s_waitcnt vmcnt(2)
	ds_write_b64 v97, v[98:99]
.LBB47_229:
	s_or_b64 exec, exec, s[4:5]
	s_waitcnt lgkmcnt(0)
	; wave barrier
	buffer_load_dword v121, off, s[0:3], 0 offset:300
	buffer_load_dword v122, off, s[0:3], 0 offset:308
	buffer_load_dword v123, off, s[0:3], 0 offset:316
	buffer_load_dword v124, off, s[0:3], 0 offset:324
	buffer_load_dword v125, off, s[0:3], 0 offset:332
	buffer_load_dword v126, off, s[0:3], 0 offset:340
	buffer_load_dword v127, off, s[0:3], 0 offset:348
	buffer_load_dword v128, off, s[0:3], 0 offset:356
	buffer_load_dword v129, off, s[0:3], 0 offset:364
	buffer_load_dword v130, off, s[0:3], 0 offset:372
	buffer_load_dword v131, off, s[0:3], 0 offset:380
	buffer_load_dword v132, off, s[0:3], 0 offset:296
	buffer_load_dword v133, off, s[0:3], 0 offset:304
	buffer_load_dword v134, off, s[0:3], 0 offset:312
	buffer_load_dword v135, off, s[0:3], 0 offset:320
	buffer_load_dword v136, off, s[0:3], 0 offset:328
	buffer_load_dword v137, off, s[0:3], 0 offset:336
	buffer_load_dword v138, off, s[0:3], 0 offset:344
	buffer_load_dword v139, off, s[0:3], 0 offset:352
	buffer_load_dword v140, off, s[0:3], 0 offset:360
	buffer_load_dword v141, off, s[0:3], 0 offset:368
	buffer_load_dword v142, off, s[0:3], 0 offset:376
	buffer_load_dword v143, off, s[0:3], 0 offset:288
	buffer_load_dword v144, off, s[0:3], 0 offset:292
	v_mov_b32_e32 v98, 0
	ds_read2_b64 v[99:102], v98 offset0:85 offset1:86
	ds_read2_b64 v[103:106], v98 offset0:87 offset1:88
	;; [unrolled: 1-line block ×5, first 2 shown]
	ds_read_b64 v[119:120], v98 offset:760
	v_cmp_lt_u32_e32 vcc, 35, v0
	s_waitcnt vmcnt(23) lgkmcnt(5)
	v_mul_f32_e32 v145, v99, v121
	v_mul_f32_e32 v121, v100, v121
	s_waitcnt vmcnt(22)
	v_mul_f32_e32 v146, v101, v122
	v_mul_f32_e32 v122, v102, v122
	s_waitcnt vmcnt(21) lgkmcnt(4)
	v_mul_f32_e32 v147, v103, v123
	v_mul_f32_e32 v123, v104, v123
	s_waitcnt vmcnt(20)
	v_mul_f32_e32 v148, v105, v124
	s_waitcnt vmcnt(19) lgkmcnt(3)
	v_mul_f32_e32 v149, v107, v125
	v_mul_f32_e32 v124, v106, v124
	v_mul_f32_e32 v125, v108, v125
	s_waitcnt vmcnt(18)
	v_mul_f32_e32 v150, v109, v126
	s_waitcnt vmcnt(12)
	v_fma_f32 v99, v99, v132, -v121
	v_fmac_f32_e32 v145, v100, v132
	s_waitcnt vmcnt(11)
	v_fma_f32 v100, v101, v133, -v122
	v_add_f32_e32 v99, 0, v99
	s_waitcnt vmcnt(10)
	v_fma_f32 v101, v103, v134, -v123
	v_add_f32_e32 v99, v99, v100
	v_fmac_f32_e32 v146, v102, v133
	s_waitcnt vmcnt(8)
	v_fmac_f32_e32 v149, v108, v136
	v_fma_f32 v102, v105, v135, -v124
	v_add_f32_e32 v108, 0, v145
	v_add_f32_e32 v99, v99, v101
	v_mul_f32_e32 v126, v110, v126
	v_fmac_f32_e32 v147, v104, v134
	v_fma_f32 v103, v107, v136, -v125
	v_add_f32_e32 v108, v108, v146
	v_add_f32_e32 v99, v99, v102
	s_waitcnt lgkmcnt(2)
	v_mul_f32_e32 v151, v111, v127
	v_mul_f32_e32 v127, v112, v127
	v_fmac_f32_e32 v148, v106, v135
	s_waitcnt vmcnt(7)
	v_fma_f32 v104, v109, v137, -v126
	v_add_f32_e32 v100, v108, v147
	v_add_f32_e32 v99, v99, v103
	v_mul_f32_e32 v152, v113, v128
	v_mul_f32_e32 v128, v114, v128
	s_waitcnt vmcnt(6)
	v_fma_f32 v105, v111, v138, -v127
	v_add_f32_e32 v100, v100, v148
	v_add_f32_e32 v99, v99, v104
	s_waitcnt lgkmcnt(1)
	v_mul_f32_e32 v153, v115, v129
	v_mul_f32_e32 v129, v116, v129
	v_fmac_f32_e32 v150, v110, v137
	s_waitcnt vmcnt(5)
	v_fma_f32 v106, v113, v139, -v128
	v_add_f32_e32 v100, v100, v149
	v_add_f32_e32 v99, v99, v105
	v_fmac_f32_e32 v151, v112, v138
	s_waitcnt vmcnt(4)
	v_fma_f32 v107, v115, v140, -v129
	v_add_f32_e32 v100, v100, v150
	v_add_f32_e32 v99, v99, v106
	v_mul_f32_e32 v101, v118, v130
	v_fmac_f32_e32 v152, v114, v139
	v_add_f32_e32 v100, v100, v151
	v_add_f32_e32 v99, v99, v107
	s_waitcnt vmcnt(3)
	v_fma_f32 v101, v117, v141, -v101
	v_mul_f32_e32 v154, v117, v130
	v_fmac_f32_e32 v153, v116, v140
	v_add_f32_e32 v100, v100, v152
	v_add_f32_e32 v99, v99, v101
	s_waitcnt lgkmcnt(0)
	v_mul_f32_e32 v101, v120, v131
	v_mul_f32_e32 v155, v119, v131
	v_fmac_f32_e32 v154, v118, v141
	v_add_f32_e32 v100, v100, v153
	s_waitcnt vmcnt(2)
	v_fma_f32 v101, v119, v142, -v101
	v_fmac_f32_e32 v155, v120, v142
	v_add_f32_e32 v100, v100, v154
	v_add_f32_e32 v99, v99, v101
	;; [unrolled: 1-line block ×3, first 2 shown]
	s_waitcnt vmcnt(1)
	v_sub_f32_e32 v99, v143, v99
	s_waitcnt vmcnt(0)
	v_sub_f32_e32 v100, v144, v100
	buffer_store_dword v99, off, s[0:3], 0 offset:288
	buffer_store_dword v100, off, s[0:3], 0 offset:292
	s_and_saveexec_b64 s[4:5], vcc
	s_cbranch_execz .LBB47_231
; %bb.230:
	buffer_load_dword v99, off, s[0:3], 0 offset:280
	buffer_load_dword v100, off, s[0:3], 0 offset:284
	s_waitcnt vmcnt(0)
	ds_write_b64 v97, v[99:100]
	buffer_store_dword v98, off, s[0:3], 0 offset:280
	buffer_store_dword v98, off, s[0:3], 0 offset:284
.LBB47_231:
	s_or_b64 exec, exec, s[4:5]
	s_waitcnt lgkmcnt(0)
	; wave barrier
	buffer_load_dword v123, off, s[0:3], 0 offset:292
	buffer_load_dword v124, off, s[0:3], 0 offset:300
	buffer_load_dword v125, off, s[0:3], 0 offset:308
	buffer_load_dword v126, off, s[0:3], 0 offset:316
	buffer_load_dword v127, off, s[0:3], 0 offset:324
	buffer_load_dword v128, off, s[0:3], 0 offset:332
	buffer_load_dword v129, off, s[0:3], 0 offset:340
	buffer_load_dword v130, off, s[0:3], 0 offset:348
	buffer_load_dword v131, off, s[0:3], 0 offset:356
	buffer_load_dword v132, off, s[0:3], 0 offset:364
	buffer_load_dword v133, off, s[0:3], 0 offset:372
	buffer_load_dword v134, off, s[0:3], 0 offset:380
	buffer_load_dword v135, off, s[0:3], 0 offset:288
	buffer_load_dword v136, off, s[0:3], 0 offset:296
	buffer_load_dword v137, off, s[0:3], 0 offset:304
	buffer_load_dword v138, off, s[0:3], 0 offset:312
	buffer_load_dword v139, off, s[0:3], 0 offset:320
	buffer_load_dword v140, off, s[0:3], 0 offset:328
	buffer_load_dword v141, off, s[0:3], 0 offset:336
	buffer_load_dword v142, off, s[0:3], 0 offset:344
	buffer_load_dword v143, off, s[0:3], 0 offset:352
	buffer_load_dword v144, off, s[0:3], 0 offset:360
	buffer_load_dword v145, off, s[0:3], 0 offset:368
	buffer_load_dword v146, off, s[0:3], 0 offset:376
	buffer_load_dword v147, off, s[0:3], 0 offset:280
	buffer_load_dword v148, off, s[0:3], 0 offset:284
	ds_read_b128 v[99:102], v98 offset:672
	ds_read_b128 v[103:106], v98 offset:688
	;; [unrolled: 1-line block ×6, first 2 shown]
	v_cmp_lt_u32_e32 vcc, 34, v0
	s_waitcnt vmcnt(25) lgkmcnt(5)
	v_mul_f32_e32 v98, v99, v123
	v_mul_f32_e32 v123, v100, v123
	s_waitcnt vmcnt(24)
	v_mul_f32_e32 v149, v101, v124
	v_mul_f32_e32 v124, v102, v124
	s_waitcnt vmcnt(23) lgkmcnt(4)
	v_mul_f32_e32 v150, v103, v125
	v_mul_f32_e32 v125, v104, v125
	s_waitcnt vmcnt(22)
	v_mul_f32_e32 v151, v105, v126
	v_mul_f32_e32 v126, v106, v126
	;; [unrolled: 6-line block ×3, first 2 shown]
	s_waitcnt vmcnt(13)
	v_fma_f32 v99, v99, v135, -v123
	v_fmac_f32_e32 v98, v100, v135
	s_waitcnt vmcnt(12)
	v_fma_f32 v100, v101, v136, -v124
	v_add_f32_e32 v99, 0, v99
	s_waitcnt vmcnt(11)
	v_fma_f32 v101, v103, v137, -v125
	v_add_f32_e32 v99, v99, v100
	v_fmac_f32_e32 v149, v102, v136
	s_waitcnt vmcnt(10)
	v_fma_f32 v102, v105, v138, -v126
	v_add_f32_e32 v99, v99, v101
	s_waitcnt vmcnt(9)
	v_fma_f32 v103, v107, v139, -v127
	v_add_f32_e32 v99, v99, v102
	s_waitcnt lgkmcnt(2)
	v_mul_f32_e32 v154, v111, v129
	v_mul_f32_e32 v129, v112, v129
	v_fmac_f32_e32 v150, v104, v137
	s_waitcnt vmcnt(8)
	v_fma_f32 v104, v109, v140, -v128
	v_add_f32_e32 v98, 0, v98
	v_add_f32_e32 v99, v99, v103
	v_mul_f32_e32 v155, v113, v130
	v_mul_f32_e32 v130, v114, v130
	s_waitcnt vmcnt(7)
	v_fma_f32 v105, v111, v141, -v129
	v_add_f32_e32 v98, v98, v149
	v_add_f32_e32 v99, v99, v104
	v_fmac_f32_e32 v151, v106, v138
	s_waitcnt vmcnt(6)
	v_fma_f32 v106, v113, v142, -v130
	v_add_f32_e32 v98, v98, v150
	v_add_f32_e32 v99, v99, v105
	s_waitcnt lgkmcnt(1)
	v_mul_f32_e32 v100, v116, v131
	v_fmac_f32_e32 v152, v108, v139
	v_add_f32_e32 v98, v98, v151
	v_add_f32_e32 v99, v99, v106
	s_waitcnt vmcnt(5)
	v_fma_f32 v100, v115, v143, -v100
	v_fmac_f32_e32 v153, v110, v140
	v_add_f32_e32 v98, v98, v152
	v_add_f32_e32 v99, v99, v100
	v_mul_f32_e32 v100, v118, v132
	v_fmac_f32_e32 v154, v112, v141
	v_add_f32_e32 v98, v98, v153
	s_waitcnt vmcnt(4)
	v_fma_f32 v100, v117, v144, -v100
	v_mul_f32_e32 v156, v115, v131
	v_fmac_f32_e32 v155, v114, v142
	v_add_f32_e32 v98, v98, v154
	v_add_f32_e32 v99, v99, v100
	s_waitcnt lgkmcnt(0)
	v_mul_f32_e32 v100, v120, v133
	v_mul_f32_e32 v157, v117, v132
	v_fmac_f32_e32 v156, v116, v143
	v_add_f32_e32 v98, v98, v155
	s_waitcnt vmcnt(3)
	v_fma_f32 v100, v119, v145, -v100
	v_mul_f32_e32 v158, v119, v133
	v_fmac_f32_e32 v157, v118, v144
	v_add_f32_e32 v98, v98, v156
	v_add_f32_e32 v99, v99, v100
	v_mul_f32_e32 v100, v122, v134
	v_mul_f32_e32 v159, v121, v134
	v_fmac_f32_e32 v158, v120, v145
	v_add_f32_e32 v98, v98, v157
	s_waitcnt vmcnt(2)
	v_fma_f32 v100, v121, v146, -v100
	v_fmac_f32_e32 v159, v122, v146
	v_add_f32_e32 v98, v98, v158
	v_add_f32_e32 v99, v99, v100
	;; [unrolled: 1-line block ×3, first 2 shown]
	s_waitcnt vmcnt(1)
	v_sub_f32_e32 v99, v147, v99
	s_waitcnt vmcnt(0)
	v_sub_f32_e32 v98, v148, v98
	buffer_store_dword v99, off, s[0:3], 0 offset:280
	buffer_store_dword v98, off, s[0:3], 0 offset:284
	s_and_saveexec_b64 s[4:5], vcc
	s_cbranch_execz .LBB47_233
; %bb.232:
	buffer_load_dword v98, off, s[0:3], 0 offset:272
	buffer_load_dword v99, off, s[0:3], 0 offset:276
	v_mov_b32_e32 v100, 0
	buffer_store_dword v100, off, s[0:3], 0 offset:272
	buffer_store_dword v100, off, s[0:3], 0 offset:276
	s_waitcnt vmcnt(2)
	ds_write_b64 v97, v[98:99]
.LBB47_233:
	s_or_b64 exec, exec, s[4:5]
	s_waitcnt lgkmcnt(0)
	; wave barrier
	buffer_load_dword v125, off, s[0:3], 0 offset:284
	buffer_load_dword v126, off, s[0:3], 0 offset:292
	;; [unrolled: 1-line block ×28, first 2 shown]
	v_mov_b32_e32 v98, 0
	ds_read2_b64 v[99:102], v98 offset0:83 offset1:84
	ds_read2_b64 v[103:106], v98 offset0:85 offset1:86
	;; [unrolled: 1-line block ×6, first 2 shown]
	ds_read_b64 v[123:124], v98 offset:760
	v_cmp_lt_u32_e32 vcc, 33, v0
	s_waitcnt vmcnt(27) lgkmcnt(6)
	v_mul_f32_e32 v153, v99, v125
	v_mul_f32_e32 v125, v100, v125
	s_waitcnt vmcnt(26)
	v_mul_f32_e32 v154, v101, v126
	v_mul_f32_e32 v126, v102, v126
	s_waitcnt vmcnt(25) lgkmcnt(5)
	v_mul_f32_e32 v155, v103, v127
	v_mul_f32_e32 v127, v104, v127
	s_waitcnt vmcnt(24)
	v_mul_f32_e32 v156, v105, v128
	v_mul_f32_e32 v128, v106, v128
	;; [unrolled: 6-line block ×3, first 2 shown]
	s_waitcnt vmcnt(21) lgkmcnt(3)
	v_mul_f32_e32 v159, v111, v131
	s_waitcnt vmcnt(14)
	v_fma_f32 v99, v99, v138, -v125
	v_fmac_f32_e32 v153, v100, v138
	s_waitcnt vmcnt(13)
	v_fma_f32 v100, v101, v139, -v126
	v_add_f32_e32 v99, 0, v99
	s_waitcnt vmcnt(12)
	v_fma_f32 v101, v103, v140, -v127
	v_add_f32_e32 v99, v99, v100
	v_fmac_f32_e32 v154, v102, v139
	s_waitcnt vmcnt(11)
	v_fma_f32 v102, v105, v141, -v128
	v_add_f32_e32 v99, v99, v101
	s_waitcnt vmcnt(10)
	v_fma_f32 v103, v107, v142, -v129
	v_add_f32_e32 v99, v99, v102
	v_fmac_f32_e32 v155, v104, v140
	s_waitcnt vmcnt(9)
	v_fma_f32 v104, v109, v143, -v130
	v_add_f32_e32 v99, v99, v103
	v_mul_f32_e32 v101, v112, v131
	v_add_f32_e32 v99, v99, v104
	s_waitcnt vmcnt(8)
	v_fma_f32 v101, v111, v144, -v101
	v_add_f32_e32 v99, v99, v101
	v_mul_f32_e32 v101, v114, v132
	v_add_f32_e32 v105, 0, v153
	s_waitcnt vmcnt(7)
	v_fma_f32 v101, v113, v145, -v101
	v_add_f32_e32 v105, v105, v154
	v_add_f32_e32 v99, v99, v101
	s_waitcnt lgkmcnt(2)
	v_mul_f32_e32 v101, v116, v133
	v_fmac_f32_e32 v156, v106, v141
	v_add_f32_e32 v100, v105, v155
	s_waitcnt vmcnt(6)
	v_fma_f32 v101, v115, v146, -v101
	v_fmac_f32_e32 v157, v108, v142
	v_add_f32_e32 v100, v100, v156
	v_add_f32_e32 v99, v99, v101
	v_mul_f32_e32 v101, v118, v134
	v_fmac_f32_e32 v158, v110, v143
	v_add_f32_e32 v100, v100, v157
	s_waitcnt vmcnt(5)
	v_fma_f32 v101, v117, v147, -v101
	v_mul_f32_e32 v160, v113, v132
	v_fmac_f32_e32 v159, v112, v144
	v_add_f32_e32 v100, v100, v158
	v_add_f32_e32 v99, v99, v101
	s_waitcnt lgkmcnt(1)
	v_mul_f32_e32 v101, v120, v135
	v_mul_f32_e32 v161, v115, v133
	v_fmac_f32_e32 v160, v114, v145
	v_add_f32_e32 v100, v100, v159
	s_waitcnt vmcnt(4)
	v_fma_f32 v101, v119, v148, -v101
	v_mul_f32_e32 v162, v117, v134
	v_fmac_f32_e32 v161, v116, v146
	v_add_f32_e32 v100, v100, v160
	v_add_f32_e32 v99, v99, v101
	v_mul_f32_e32 v101, v122, v136
	v_mul_f32_e32 v163, v119, v135
	v_fmac_f32_e32 v162, v118, v147
	v_add_f32_e32 v100, v100, v161
	s_waitcnt vmcnt(3)
	v_fma_f32 v101, v121, v149, -v101
	v_mul_f32_e32 v164, v121, v136
	v_fmac_f32_e32 v163, v120, v148
	v_add_f32_e32 v100, v100, v162
	v_add_f32_e32 v99, v99, v101
	s_waitcnt lgkmcnt(0)
	v_mul_f32_e32 v101, v124, v137
	v_mul_f32_e32 v165, v123, v137
	v_fmac_f32_e32 v164, v122, v149
	v_add_f32_e32 v100, v100, v163
	s_waitcnt vmcnt(2)
	v_fma_f32 v101, v123, v150, -v101
	v_fmac_f32_e32 v165, v124, v150
	v_add_f32_e32 v100, v100, v164
	v_add_f32_e32 v99, v99, v101
	;; [unrolled: 1-line block ×3, first 2 shown]
	s_waitcnt vmcnt(1)
	v_sub_f32_e32 v99, v151, v99
	s_waitcnt vmcnt(0)
	v_sub_f32_e32 v100, v152, v100
	buffer_store_dword v99, off, s[0:3], 0 offset:272
	buffer_store_dword v100, off, s[0:3], 0 offset:276
	s_and_saveexec_b64 s[4:5], vcc
	s_cbranch_execz .LBB47_235
; %bb.234:
	buffer_load_dword v99, off, s[0:3], 0 offset:264
	buffer_load_dword v100, off, s[0:3], 0 offset:268
	s_waitcnt vmcnt(0)
	ds_write_b64 v97, v[99:100]
	buffer_store_dword v98, off, s[0:3], 0 offset:264
	buffer_store_dword v98, off, s[0:3], 0 offset:268
.LBB47_235:
	s_or_b64 exec, exec, s[4:5]
	s_waitcnt lgkmcnt(0)
	; wave barrier
	buffer_load_dword v127, off, s[0:3], 0 offset:276
	buffer_load_dword v128, off, s[0:3], 0 offset:284
	;; [unrolled: 1-line block ×30, first 2 shown]
	ds_read_b128 v[99:102], v98 offset:656
	ds_read_b128 v[103:106], v98 offset:672
	;; [unrolled: 1-line block ×7, first 2 shown]
	v_cmp_lt_u32_e32 vcc, 32, v0
	s_waitcnt vmcnt(29) lgkmcnt(6)
	v_mul_f32_e32 v98, v99, v127
	v_mul_f32_e32 v127, v100, v127
	s_waitcnt vmcnt(28)
	v_mul_f32_e32 v157, v101, v128
	v_mul_f32_e32 v128, v102, v128
	s_waitcnt vmcnt(27) lgkmcnt(5)
	v_mul_f32_e32 v158, v103, v129
	v_mul_f32_e32 v129, v104, v129
	s_waitcnt vmcnt(26)
	v_mul_f32_e32 v159, v105, v130
	v_mul_f32_e32 v130, v106, v130
	s_waitcnt vmcnt(25) lgkmcnt(4)
	v_mul_f32_e32 v160, v107, v131
	v_mul_f32_e32 v131, v108, v131
	s_waitcnt vmcnt(24)
	v_mul_f32_e32 v161, v109, v132
	s_waitcnt vmcnt(23) lgkmcnt(3)
	v_mul_f32_e32 v162, v111, v133
	s_waitcnt vmcnt(22)
	v_mul_f32_e32 v163, v113, v134
	s_waitcnt vmcnt(21) lgkmcnt(2)
	v_mul_f32_e32 v164, v115, v135
	s_waitcnt vmcnt(15)
	v_fma_f32 v99, v99, v141, -v127
	v_fmac_f32_e32 v98, v100, v141
	s_waitcnt vmcnt(14)
	v_fma_f32 v100, v101, v142, -v128
	v_add_f32_e32 v99, 0, v99
	s_waitcnt vmcnt(13)
	v_fma_f32 v101, v103, v143, -v129
	v_add_f32_e32 v99, v99, v100
	v_fmac_f32_e32 v157, v102, v142
	s_waitcnt vmcnt(12)
	v_fma_f32 v102, v105, v144, -v130
	v_add_f32_e32 v99, v99, v101
	s_waitcnt vmcnt(11)
	v_fma_f32 v103, v107, v145, -v131
	v_add_f32_e32 v99, v99, v102
	v_mul_f32_e32 v100, v110, v132
	v_add_f32_e32 v99, v99, v103
	s_waitcnt vmcnt(10)
	v_fma_f32 v100, v109, v146, -v100
	v_add_f32_e32 v99, v99, v100
	v_mul_f32_e32 v100, v112, v133
	s_waitcnt vmcnt(9)
	v_fma_f32 v100, v111, v147, -v100
	v_add_f32_e32 v99, v99, v100
	v_mul_f32_e32 v100, v114, v134
	s_waitcnt vmcnt(8)
	v_fma_f32 v100, v113, v148, -v100
	v_add_f32_e32 v98, 0, v98
	v_add_f32_e32 v99, v99, v100
	v_mul_f32_e32 v100, v116, v135
	v_fmac_f32_e32 v158, v104, v143
	v_add_f32_e32 v98, v98, v157
	s_waitcnt vmcnt(7)
	v_fma_f32 v100, v115, v149, -v100
	v_fmac_f32_e32 v159, v106, v144
	v_add_f32_e32 v98, v98, v158
	v_add_f32_e32 v99, v99, v100
	v_mul_f32_e32 v100, v118, v136
	v_fmac_f32_e32 v160, v108, v145
	v_add_f32_e32 v98, v98, v159
	s_waitcnt vmcnt(6)
	v_fma_f32 v100, v117, v150, -v100
	v_fmac_f32_e32 v161, v110, v146
	v_add_f32_e32 v98, v98, v160
	v_add_f32_e32 v99, v99, v100
	s_waitcnt lgkmcnt(1)
	v_mul_f32_e32 v100, v120, v137
	v_fmac_f32_e32 v162, v112, v147
	v_add_f32_e32 v98, v98, v161
	s_waitcnt vmcnt(5)
	v_fma_f32 v100, v119, v151, -v100
	v_fmac_f32_e32 v163, v114, v148
	v_add_f32_e32 v98, v98, v162
	v_add_f32_e32 v99, v99, v100
	v_mul_f32_e32 v100, v122, v138
	v_mul_f32_e32 v165, v117, v136
	v_fmac_f32_e32 v164, v116, v149
	v_add_f32_e32 v98, v98, v163
	s_waitcnt vmcnt(4)
	v_fma_f32 v100, v121, v152, -v100
	v_mul_f32_e32 v166, v119, v137
	v_fmac_f32_e32 v165, v118, v150
	v_add_f32_e32 v98, v98, v164
	v_add_f32_e32 v99, v99, v100
	s_waitcnt lgkmcnt(0)
	v_mul_f32_e32 v100, v124, v139
	v_mul_f32_e32 v167, v121, v138
	v_fmac_f32_e32 v166, v120, v151
	v_add_f32_e32 v98, v98, v165
	s_waitcnt vmcnt(3)
	v_fma_f32 v100, v123, v153, -v100
	v_mul_f32_e32 v168, v123, v139
	v_fmac_f32_e32 v167, v122, v152
	v_add_f32_e32 v98, v98, v166
	v_add_f32_e32 v99, v99, v100
	v_mul_f32_e32 v100, v126, v140
	v_mul_f32_e32 v169, v125, v140
	v_fmac_f32_e32 v168, v124, v153
	v_add_f32_e32 v98, v98, v167
	s_waitcnt vmcnt(2)
	v_fma_f32 v100, v125, v154, -v100
	v_fmac_f32_e32 v169, v126, v154
	v_add_f32_e32 v98, v98, v168
	v_add_f32_e32 v99, v99, v100
	;; [unrolled: 1-line block ×3, first 2 shown]
	s_waitcnt vmcnt(1)
	v_sub_f32_e32 v99, v155, v99
	s_waitcnt vmcnt(0)
	v_sub_f32_e32 v98, v156, v98
	buffer_store_dword v99, off, s[0:3], 0 offset:264
	buffer_store_dword v98, off, s[0:3], 0 offset:268
	s_and_saveexec_b64 s[4:5], vcc
	s_cbranch_execz .LBB47_237
; %bb.236:
	buffer_load_dword v98, off, s[0:3], 0 offset:256
	buffer_load_dword v99, off, s[0:3], 0 offset:260
	v_mov_b32_e32 v100, 0
	buffer_store_dword v100, off, s[0:3], 0 offset:256
	buffer_store_dword v100, off, s[0:3], 0 offset:260
	s_waitcnt vmcnt(2)
	ds_write_b64 v97, v[98:99]
.LBB47_237:
	s_or_b64 exec, exec, s[4:5]
	s_waitcnt lgkmcnt(0)
	; wave barrier
	buffer_load_dword v129, off, s[0:3], 0 offset:268
	buffer_load_dword v130, off, s[0:3], 0 offset:276
	buffer_load_dword v131, off, s[0:3], 0 offset:284
	buffer_load_dword v132, off, s[0:3], 0 offset:292
	buffer_load_dword v133, off, s[0:3], 0 offset:300
	buffer_load_dword v134, off, s[0:3], 0 offset:308
	buffer_load_dword v135, off, s[0:3], 0 offset:316
	buffer_load_dword v136, off, s[0:3], 0 offset:324
	buffer_load_dword v137, off, s[0:3], 0 offset:332
	buffer_load_dword v138, off, s[0:3], 0 offset:340
	buffer_load_dword v139, off, s[0:3], 0 offset:348
	buffer_load_dword v140, off, s[0:3], 0 offset:356
	buffer_load_dword v141, off, s[0:3], 0 offset:364
	buffer_load_dword v142, off, s[0:3], 0 offset:372
	buffer_load_dword v143, off, s[0:3], 0 offset:380
	buffer_load_dword v144, off, s[0:3], 0 offset:264
	buffer_load_dword v145, off, s[0:3], 0 offset:272
	buffer_load_dword v146, off, s[0:3], 0 offset:280
	buffer_load_dword v147, off, s[0:3], 0 offset:288
	buffer_load_dword v148, off, s[0:3], 0 offset:296
	buffer_load_dword v149, off, s[0:3], 0 offset:304
	buffer_load_dword v150, off, s[0:3], 0 offset:312
	buffer_load_dword v151, off, s[0:3], 0 offset:320
	buffer_load_dword v152, off, s[0:3], 0 offset:328
	buffer_load_dword v153, off, s[0:3], 0 offset:336
	buffer_load_dword v154, off, s[0:3], 0 offset:344
	buffer_load_dword v155, off, s[0:3], 0 offset:352
	buffer_load_dword v156, off, s[0:3], 0 offset:360
	buffer_load_dword v157, off, s[0:3], 0 offset:368
	buffer_load_dword v158, off, s[0:3], 0 offset:376
	buffer_load_dword v159, off, s[0:3], 0 offset:256
	buffer_load_dword v160, off, s[0:3], 0 offset:260
	v_mov_b32_e32 v98, 0
	ds_read2_b64 v[99:102], v98 offset0:81 offset1:82
	ds_read2_b64 v[103:106], v98 offset0:83 offset1:84
	;; [unrolled: 1-line block ×7, first 2 shown]
	ds_read_b64 v[127:128], v98 offset:760
	v_cmp_lt_u32_e32 vcc, 31, v0
	s_waitcnt vmcnt(31) lgkmcnt(7)
	v_mul_f32_e32 v161, v99, v129
	v_mul_f32_e32 v129, v100, v129
	s_waitcnt vmcnt(30)
	v_mul_f32_e32 v162, v101, v130
	v_mul_f32_e32 v130, v102, v130
	s_waitcnt vmcnt(29) lgkmcnt(6)
	v_mul_f32_e32 v163, v103, v131
	v_mul_f32_e32 v131, v104, v131
	s_waitcnt vmcnt(28)
	v_mul_f32_e32 v164, v105, v132
	s_waitcnt vmcnt(27) lgkmcnt(5)
	v_mul_f32_e32 v165, v107, v133
	s_waitcnt vmcnt(26)
	v_mul_f32_e32 v166, v109, v134
	s_waitcnt vmcnt(25) lgkmcnt(4)
	;; [unrolled: 4-line block ×4, first 2 shown]
	v_mul_f32_e32 v171, v119, v139
	s_waitcnt vmcnt(20)
	v_mul_f32_e32 v172, v121, v140
	s_waitcnt vmcnt(16)
	v_fma_f32 v99, v99, v144, -v129
	v_fmac_f32_e32 v161, v100, v144
	s_waitcnt vmcnt(15)
	v_fma_f32 v100, v101, v145, -v130
	v_add_f32_e32 v99, 0, v99
	s_waitcnt vmcnt(14)
	v_fma_f32 v101, v103, v146, -v131
	v_add_f32_e32 v99, v99, v100
	v_add_f32_e32 v99, v99, v101
	v_mul_f32_e32 v101, v106, v132
	s_waitcnt vmcnt(13)
	v_fma_f32 v101, v105, v147, -v101
	v_add_f32_e32 v99, v99, v101
	v_mul_f32_e32 v101, v108, v133
	s_waitcnt vmcnt(12)
	v_fma_f32 v101, v107, v148, -v101
	;; [unrolled: 4-line block ×5, first 2 shown]
	v_add_f32_e32 v99, v99, v101
	v_mul_f32_e32 v101, v116, v137
	v_fmac_f32_e32 v162, v102, v145
	v_add_f32_e32 v102, 0, v161
	s_waitcnt vmcnt(8)
	v_fma_f32 v101, v115, v152, -v101
	v_fmac_f32_e32 v163, v104, v146
	v_add_f32_e32 v102, v102, v162
	v_add_f32_e32 v99, v99, v101
	v_mul_f32_e32 v101, v118, v138
	v_fmac_f32_e32 v164, v106, v147
	v_add_f32_e32 v100, v102, v163
	s_waitcnt vmcnt(7)
	v_fma_f32 v101, v117, v153, -v101
	v_fmac_f32_e32 v165, v108, v148
	v_add_f32_e32 v100, v100, v164
	v_add_f32_e32 v99, v99, v101
	v_mul_f32_e32 v101, v120, v139
	v_fmac_f32_e32 v166, v110, v149
	v_add_f32_e32 v100, v100, v165
	s_waitcnt vmcnt(6)
	v_fma_f32 v101, v119, v154, -v101
	v_fmac_f32_e32 v167, v112, v150
	v_add_f32_e32 v100, v100, v166
	v_add_f32_e32 v99, v99, v101
	v_mul_f32_e32 v101, v122, v140
	v_fmac_f32_e32 v168, v114, v151
	v_add_f32_e32 v100, v100, v167
	s_waitcnt vmcnt(5)
	v_fma_f32 v101, v121, v155, -v101
	v_fmac_f32_e32 v169, v116, v152
	v_add_f32_e32 v100, v100, v168
	v_add_f32_e32 v99, v99, v101
	s_waitcnt lgkmcnt(1)
	v_mul_f32_e32 v101, v124, v141
	v_fmac_f32_e32 v170, v118, v153
	v_add_f32_e32 v100, v100, v169
	s_waitcnt vmcnt(4)
	v_fma_f32 v101, v123, v156, -v101
	v_fmac_f32_e32 v171, v120, v154
	v_add_f32_e32 v100, v100, v170
	v_add_f32_e32 v99, v99, v101
	v_mul_f32_e32 v101, v126, v142
	v_mul_f32_e32 v173, v123, v141
	v_fmac_f32_e32 v172, v122, v155
	v_add_f32_e32 v100, v100, v171
	s_waitcnt vmcnt(3)
	v_fma_f32 v101, v125, v157, -v101
	v_mul_f32_e32 v174, v125, v142
	v_fmac_f32_e32 v173, v124, v156
	v_add_f32_e32 v100, v100, v172
	v_add_f32_e32 v99, v99, v101
	s_waitcnt lgkmcnt(0)
	v_mul_f32_e32 v101, v128, v143
	v_mul_f32_e32 v175, v127, v143
	v_fmac_f32_e32 v174, v126, v157
	v_add_f32_e32 v100, v100, v173
	s_waitcnt vmcnt(2)
	v_fma_f32 v101, v127, v158, -v101
	v_fmac_f32_e32 v175, v128, v158
	v_add_f32_e32 v100, v100, v174
	v_add_f32_e32 v99, v99, v101
	;; [unrolled: 1-line block ×3, first 2 shown]
	s_waitcnt vmcnt(1)
	v_sub_f32_e32 v99, v159, v99
	s_waitcnt vmcnt(0)
	v_sub_f32_e32 v100, v160, v100
	buffer_store_dword v99, off, s[0:3], 0 offset:256
	buffer_store_dword v100, off, s[0:3], 0 offset:260
	s_and_saveexec_b64 s[4:5], vcc
	s_cbranch_execz .LBB47_239
; %bb.238:
	buffer_load_dword v99, off, s[0:3], 0 offset:248
	buffer_load_dword v100, off, s[0:3], 0 offset:252
	s_waitcnt vmcnt(0)
	ds_write_b64 v97, v[99:100]
	buffer_store_dword v98, off, s[0:3], 0 offset:248
	buffer_store_dword v98, off, s[0:3], 0 offset:252
.LBB47_239:
	s_or_b64 exec, exec, s[4:5]
	s_waitcnt lgkmcnt(0)
	; wave barrier
	buffer_load_dword v131, off, s[0:3], 0 offset:260
	buffer_load_dword v132, off, s[0:3], 0 offset:268
	;; [unrolled: 1-line block ×34, first 2 shown]
	ds_read_b128 v[99:102], v98 offset:640
	ds_read_b128 v[103:106], v98 offset:656
	;; [unrolled: 1-line block ×8, first 2 shown]
	v_cmp_lt_u32_e32 vcc, 30, v0
	s_waitcnt vmcnt(33) lgkmcnt(7)
	v_mul_f32_e32 v98, v99, v131
	v_mul_f32_e32 v131, v100, v131
	s_waitcnt vmcnt(32)
	v_mul_f32_e32 v165, v101, v132
	v_mul_f32_e32 v132, v102, v132
	s_waitcnt vmcnt(31) lgkmcnt(6)
	v_mul_f32_e32 v166, v103, v133
	s_waitcnt vmcnt(30)
	v_mul_f32_e32 v167, v105, v134
	s_waitcnt vmcnt(29) lgkmcnt(5)
	v_mul_f32_e32 v168, v107, v135
	s_waitcnt vmcnt(28)
	;; [unrolled: 4-line block ×6, first 2 shown]
	v_mul_f32_e32 v177, v125, v144
	s_waitcnt vmcnt(17)
	v_fma_f32 v99, v99, v147, -v131
	v_fmac_f32_e32 v98, v100, v147
	s_waitcnt vmcnt(16)
	v_fma_f32 v100, v101, v148, -v132
	v_add_f32_e32 v99, 0, v99
	v_add_f32_e32 v99, v99, v100
	v_mul_f32_e32 v100, v104, v133
	s_waitcnt vmcnt(15)
	v_fma_f32 v100, v103, v149, -v100
	v_add_f32_e32 v99, v99, v100
	v_mul_f32_e32 v100, v106, v134
	s_waitcnt vmcnt(14)
	v_fma_f32 v100, v105, v150, -v100
	;; [unrolled: 4-line block ×7, first 2 shown]
	v_fmac_f32_e32 v165, v102, v148
	v_add_f32_e32 v98, 0, v98
	v_add_f32_e32 v99, v99, v100
	v_mul_f32_e32 v100, v118, v140
	v_fmac_f32_e32 v166, v104, v149
	v_add_f32_e32 v98, v98, v165
	s_waitcnt vmcnt(8)
	v_fma_f32 v100, v117, v156, -v100
	v_fmac_f32_e32 v167, v106, v150
	v_add_f32_e32 v98, v98, v166
	v_add_f32_e32 v99, v99, v100
	v_mul_f32_e32 v100, v120, v141
	v_fmac_f32_e32 v168, v108, v151
	v_add_f32_e32 v98, v98, v167
	s_waitcnt vmcnt(7)
	v_fma_f32 v100, v119, v157, -v100
	;; [unrolled: 8-line block ×5, first 2 shown]
	v_fmac_f32_e32 v175, v122, v158
	v_add_f32_e32 v98, v98, v174
	v_add_f32_e32 v99, v99, v100
	s_waitcnt lgkmcnt(0)
	v_mul_f32_e32 v100, v128, v145
	v_fmac_f32_e32 v176, v124, v159
	v_add_f32_e32 v98, v98, v175
	s_waitcnt vmcnt(3)
	v_fma_f32 v100, v127, v161, -v100
	v_mul_f32_e32 v178, v127, v145
	v_fmac_f32_e32 v177, v126, v160
	v_add_f32_e32 v98, v98, v176
	v_add_f32_e32 v99, v99, v100
	v_mul_f32_e32 v100, v130, v146
	v_mul_f32_e32 v179, v129, v146
	v_fmac_f32_e32 v178, v128, v161
	v_add_f32_e32 v98, v98, v177
	s_waitcnt vmcnt(2)
	v_fma_f32 v100, v129, v162, -v100
	v_fmac_f32_e32 v179, v130, v162
	v_add_f32_e32 v98, v98, v178
	v_add_f32_e32 v99, v99, v100
	;; [unrolled: 1-line block ×3, first 2 shown]
	s_waitcnt vmcnt(1)
	v_sub_f32_e32 v99, v163, v99
	s_waitcnt vmcnt(0)
	v_sub_f32_e32 v98, v164, v98
	buffer_store_dword v99, off, s[0:3], 0 offset:248
	buffer_store_dword v98, off, s[0:3], 0 offset:252
	s_and_saveexec_b64 s[4:5], vcc
	s_cbranch_execz .LBB47_241
; %bb.240:
	buffer_load_dword v98, off, s[0:3], 0 offset:240
	buffer_load_dword v99, off, s[0:3], 0 offset:244
	v_mov_b32_e32 v100, 0
	buffer_store_dword v100, off, s[0:3], 0 offset:240
	buffer_store_dword v100, off, s[0:3], 0 offset:244
	s_waitcnt vmcnt(2)
	ds_write_b64 v97, v[98:99]
.LBB47_241:
	s_or_b64 exec, exec, s[4:5]
	s_waitcnt lgkmcnt(0)
	; wave barrier
	buffer_load_dword v133, off, s[0:3], 0 offset:252
	buffer_load_dword v134, off, s[0:3], 0 offset:260
	;; [unrolled: 1-line block ×36, first 2 shown]
	v_mov_b32_e32 v98, 0
	ds_read2_b64 v[99:102], v98 offset0:79 offset1:80
	ds_read2_b64 v[103:106], v98 offset0:81 offset1:82
	;; [unrolled: 1-line block ×8, first 2 shown]
	ds_read_b64 v[131:132], v98 offset:760
	v_cmp_lt_u32_e32 vcc, 29, v0
	s_waitcnt vmcnt(35) lgkmcnt(8)
	v_mul_f32_e32 v169, v99, v133
	s_waitcnt vmcnt(34)
	v_mul_f32_e32 v170, v101, v134
	s_waitcnt vmcnt(33) lgkmcnt(7)
	v_mul_f32_e32 v171, v103, v135
	s_waitcnt vmcnt(32)
	v_mul_f32_e32 v172, v105, v136
	;; [unrolled: 4-line block ×8, first 2 shown]
	s_waitcnt vmcnt(19) lgkmcnt(0)
	v_mul_f32_e32 v185, v131, v149
	s_waitcnt vmcnt(18)
	v_fmac_f32_e32 v169, v100, v150
	v_mul_f32_e32 v100, v100, v133
	v_fma_f32 v99, v99, v150, -v100
	v_mul_f32_e32 v100, v102, v134
	v_add_f32_e32 v99, 0, v99
	s_waitcnt vmcnt(17)
	v_fma_f32 v100, v101, v151, -v100
	v_add_f32_e32 v99, v99, v100
	v_mul_f32_e32 v100, v104, v135
	s_waitcnt vmcnt(16)
	v_fma_f32 v100, v103, v152, -v100
	v_add_f32_e32 v99, v99, v100
	v_mul_f32_e32 v100, v106, v136
	;; [unrolled: 4-line block ×8, first 2 shown]
	v_fmac_f32_e32 v170, v102, v151
	v_add_f32_e32 v169, 0, v169
	s_waitcnt vmcnt(9)
	v_fma_f32 v100, v117, v159, -v100
	v_fmac_f32_e32 v171, v104, v152
	v_add_f32_e32 v169, v169, v170
	v_add_f32_e32 v99, v99, v100
	v_mul_f32_e32 v100, v120, v143
	v_fmac_f32_e32 v172, v106, v153
	v_add_f32_e32 v169, v169, v171
	s_waitcnt vmcnt(8)
	v_fma_f32 v100, v119, v160, -v100
	v_fmac_f32_e32 v173, v108, v154
	v_add_f32_e32 v169, v169, v172
	v_add_f32_e32 v99, v99, v100
	v_mul_f32_e32 v100, v122, v144
	;; [unrolled: 8-line block ×7, first 2 shown]
	v_fmac_f32_e32 v184, v130, v165
	v_add_f32_e32 v169, v169, v183
	s_waitcnt vmcnt(2)
	v_fma_f32 v100, v131, v166, -v100
	v_fmac_f32_e32 v185, v132, v166
	v_add_f32_e32 v169, v169, v184
	v_add_f32_e32 v99, v99, v100
	v_add_f32_e32 v169, v169, v185
	s_waitcnt vmcnt(1)
	v_sub_f32_e32 v99, v167, v99
	s_waitcnt vmcnt(0)
	v_sub_f32_e32 v100, v168, v169
	buffer_store_dword v99, off, s[0:3], 0 offset:240
	buffer_store_dword v100, off, s[0:3], 0 offset:244
	s_and_saveexec_b64 s[4:5], vcc
	s_cbranch_execz .LBB47_243
; %bb.242:
	buffer_load_dword v99, off, s[0:3], 0 offset:232
	buffer_load_dword v100, off, s[0:3], 0 offset:236
	s_waitcnt vmcnt(0)
	ds_write_b64 v97, v[99:100]
	buffer_store_dword v98, off, s[0:3], 0 offset:232
	buffer_store_dword v98, off, s[0:3], 0 offset:236
.LBB47_243:
	s_or_b64 exec, exec, s[4:5]
	s_waitcnt lgkmcnt(0)
	; wave barrier
	buffer_load_dword v135, off, s[0:3], 0 offset:244
	buffer_load_dword v136, off, s[0:3], 0 offset:252
	;; [unrolled: 1-line block ×38, first 2 shown]
	ds_read_b128 v[99:102], v98 offset:624
	ds_read_b128 v[103:106], v98 offset:640
	ds_read_b128 v[107:110], v98 offset:656
	ds_read_b128 v[111:114], v98 offset:672
	ds_read_b128 v[115:118], v98 offset:688
	ds_read_b128 v[119:122], v98 offset:704
	ds_read_b128 v[123:126], v98 offset:720
	ds_read_b128 v[127:130], v98 offset:736
	ds_read_b128 v[131:134], v98 offset:752
	v_cmp_lt_u32_e32 vcc, 28, v0
	s_waitcnt vmcnt(37) lgkmcnt(8)
	v_mul_f32_e32 v98, v99, v135
	s_waitcnt vmcnt(36)
	v_mul_f32_e32 v173, v101, v136
	s_waitcnt vmcnt(35) lgkmcnt(7)
	v_mul_f32_e32 v174, v103, v137
	s_waitcnt vmcnt(34)
	v_mul_f32_e32 v175, v105, v138
	;; [unrolled: 4-line block ×8, first 2 shown]
	s_waitcnt vmcnt(21) lgkmcnt(0)
	v_mul_f32_e32 v188, v131, v151
	s_waitcnt vmcnt(20)
	v_fmac_f32_e32 v98, v100, v152
	v_mul_f32_e32 v100, v100, v135
	v_fma_f32 v99, v99, v152, -v100
	v_mul_f32_e32 v100, v102, v136
	v_add_f32_e32 v99, 0, v99
	s_waitcnt vmcnt(19)
	v_fma_f32 v100, v101, v153, -v100
	v_add_f32_e32 v99, v99, v100
	v_mul_f32_e32 v100, v104, v137
	s_waitcnt vmcnt(18)
	v_fma_f32 v100, v103, v154, -v100
	v_add_f32_e32 v99, v99, v100
	v_mul_f32_e32 v100, v106, v138
	;; [unrolled: 4-line block ×8, first 2 shown]
	s_waitcnt vmcnt(11)
	v_fma_f32 v100, v117, v161, -v100
	v_fmac_f32_e32 v173, v102, v153
	v_add_f32_e32 v98, 0, v98
	v_add_f32_e32 v99, v99, v100
	v_mul_f32_e32 v100, v120, v145
	v_fmac_f32_e32 v174, v104, v154
	v_add_f32_e32 v98, v98, v173
	s_waitcnt vmcnt(10)
	v_fma_f32 v100, v119, v162, -v100
	v_fmac_f32_e32 v175, v106, v155
	v_add_f32_e32 v98, v98, v174
	v_add_f32_e32 v99, v99, v100
	v_mul_f32_e32 v100, v122, v146
	v_fmac_f32_e32 v176, v108, v156
	v_add_f32_e32 v98, v98, v175
	;; [unrolled: 8-line block ×7, first 2 shown]
	s_waitcnt vmcnt(4)
	v_fma_f32 v100, v131, v168, -v100
	v_fmac_f32_e32 v187, v130, v167
	v_add_f32_e32 v98, v98, v186
	v_add_f32_e32 v99, v99, v100
	s_waitcnt vmcnt(3)
	v_mul_f32_e32 v100, v134, v169
	v_add_f32_e32 v98, v98, v187
	v_fmac_f32_e32 v188, v132, v168
	v_mul_f32_e32 v173, v133, v169
	s_waitcnt vmcnt(2)
	v_fma_f32 v100, v133, v170, -v100
	v_add_f32_e32 v98, v98, v188
	v_fmac_f32_e32 v173, v134, v170
	v_add_f32_e32 v99, v99, v100
	v_add_f32_e32 v98, v98, v173
	s_waitcnt vmcnt(1)
	v_sub_f32_e32 v99, v171, v99
	s_waitcnt vmcnt(0)
	v_sub_f32_e32 v98, v172, v98
	buffer_store_dword v99, off, s[0:3], 0 offset:232
	buffer_store_dword v98, off, s[0:3], 0 offset:236
	s_and_saveexec_b64 s[4:5], vcc
	s_cbranch_execz .LBB47_245
; %bb.244:
	buffer_load_dword v98, off, s[0:3], 0 offset:224
	buffer_load_dword v99, off, s[0:3], 0 offset:228
	v_mov_b32_e32 v100, 0
	buffer_store_dword v100, off, s[0:3], 0 offset:224
	buffer_store_dword v100, off, s[0:3], 0 offset:228
	s_waitcnt vmcnt(2)
	ds_write_b64 v97, v[98:99]
.LBB47_245:
	s_or_b64 exec, exec, s[4:5]
	s_waitcnt lgkmcnt(0)
	; wave barrier
	buffer_load_dword v137, off, s[0:3], 0 offset:236
	buffer_load_dword v138, off, s[0:3], 0 offset:244
	;; [unrolled: 1-line block ×40, first 2 shown]
	v_mov_b32_e32 v98, 0
	ds_read2_b64 v[99:102], v98 offset0:77 offset1:78
	ds_read2_b64 v[103:106], v98 offset0:79 offset1:80
	;; [unrolled: 1-line block ×9, first 2 shown]
	v_cmp_lt_u32_e32 vcc, 27, v0
	s_waitcnt vmcnt(39) lgkmcnt(8)
	v_mul_f32_e32 v135, v99, v137
	s_waitcnt vmcnt(38)
	v_mul_f32_e32 v136, v101, v138
	s_waitcnt vmcnt(37) lgkmcnt(7)
	v_mul_f32_e32 v177, v103, v139
	s_waitcnt vmcnt(36)
	v_mul_f32_e32 v178, v105, v140
	;; [unrolled: 4-line block ×7, first 2 shown]
	s_waitcnt vmcnt(25) lgkmcnt(1)
	v_mul_f32_e32 v189, v127, v151
	s_waitcnt vmcnt(24)
	v_fmac_f32_e32 v135, v100, v152
	v_mul_f32_e32 v100, v100, v137
	v_fma_f32 v99, v99, v152, -v100
	v_mul_f32_e32 v100, v102, v138
	v_add_f32_e32 v99, 0, v99
	s_waitcnt vmcnt(23)
	v_fma_f32 v100, v101, v153, -v100
	v_add_f32_e32 v99, v99, v100
	v_mul_f32_e32 v100, v104, v139
	s_waitcnt vmcnt(22)
	v_fma_f32 v100, v103, v154, -v100
	v_add_f32_e32 v99, v99, v100
	v_mul_f32_e32 v100, v106, v140
	;; [unrolled: 4-line block ×6, first 2 shown]
	s_waitcnt vmcnt(17)
	v_fma_f32 v100, v113, v159, -v100
	v_fmac_f32_e32 v136, v102, v153
	v_add_f32_e32 v135, 0, v135
	v_add_f32_e32 v99, v99, v100
	v_mul_f32_e32 v100, v116, v145
	v_fmac_f32_e32 v177, v104, v154
	v_add_f32_e32 v135, v135, v136
	s_waitcnt vmcnt(16)
	v_fma_f32 v100, v115, v160, -v100
	v_fmac_f32_e32 v178, v106, v155
	v_add_f32_e32 v135, v135, v177
	v_add_f32_e32 v99, v99, v100
	v_mul_f32_e32 v100, v118, v146
	v_fmac_f32_e32 v179, v108, v156
	v_add_f32_e32 v135, v135, v178
	;; [unrolled: 8-line block ×6, first 2 shown]
	s_waitcnt vmcnt(11)
	v_fma_f32 v100, v125, v165, -v100
	v_fmac_f32_e32 v188, v126, v165
	v_add_f32_e32 v135, v135, v187
	v_add_f32_e32 v99, v99, v100
	v_mul_f32_e32 v100, v128, v151
	s_waitcnt vmcnt(10)
	v_fmac_f32_e32 v189, v128, v166
	v_add_f32_e32 v135, v135, v188
	s_waitcnt vmcnt(9)
	v_mul_f32_e32 v136, v129, v167
	v_fma_f32 v100, v127, v166, -v100
	v_add_f32_e32 v135, v135, v189
	s_waitcnt vmcnt(8)
	v_fmac_f32_e32 v136, v130, v168
	v_add_f32_e32 v99, v99, v100
	v_mul_f32_e32 v100, v130, v167
	v_add_f32_e32 v177, v135, v136
	ds_read_b64 v[135:136], v98 offset:760
	v_fma_f32 v100, v129, v168, -v100
	v_add_f32_e32 v99, v99, v100
	s_waitcnt vmcnt(7) lgkmcnt(1)
	v_mul_f32_e32 v100, v132, v169
	v_mul_f32_e32 v178, v131, v169
	s_waitcnt vmcnt(6)
	v_fma_f32 v100, v131, v170, -v100
	v_fmac_f32_e32 v178, v132, v170
	v_add_f32_e32 v99, v99, v100
	s_waitcnt vmcnt(5)
	v_mul_f32_e32 v100, v134, v171
	v_add_f32_e32 v177, v177, v178
	v_mul_f32_e32 v178, v133, v171
	s_waitcnt vmcnt(4)
	v_fma_f32 v100, v133, v172, -v100
	v_fmac_f32_e32 v178, v134, v172
	v_add_f32_e32 v99, v99, v100
	s_waitcnt vmcnt(3) lgkmcnt(0)
	v_mul_f32_e32 v100, v136, v173
	v_add_f32_e32 v177, v177, v178
	v_mul_f32_e32 v178, v135, v173
	s_waitcnt vmcnt(2)
	v_fma_f32 v100, v135, v174, -v100
	v_fmac_f32_e32 v178, v136, v174
	v_add_f32_e32 v99, v99, v100
	v_add_f32_e32 v177, v177, v178
	s_waitcnt vmcnt(1)
	v_sub_f32_e32 v99, v175, v99
	s_waitcnt vmcnt(0)
	v_sub_f32_e32 v100, v176, v177
	buffer_store_dword v99, off, s[0:3], 0 offset:224
	buffer_store_dword v100, off, s[0:3], 0 offset:228
	s_and_saveexec_b64 s[4:5], vcc
	s_cbranch_execz .LBB47_247
; %bb.246:
	buffer_load_dword v99, off, s[0:3], 0 offset:216
	buffer_load_dword v100, off, s[0:3], 0 offset:220
	s_waitcnt vmcnt(0)
	ds_write_b64 v97, v[99:100]
	buffer_store_dword v98, off, s[0:3], 0 offset:216
	buffer_store_dword v98, off, s[0:3], 0 offset:220
.LBB47_247:
	s_or_b64 exec, exec, s[4:5]
	s_waitcnt lgkmcnt(0)
	; wave barrier
	buffer_load_dword v139, off, s[0:3], 0 offset:228
	buffer_load_dword v140, off, s[0:3], 0 offset:236
	;; [unrolled: 1-line block ×42, first 2 shown]
	ds_read_b128 v[99:102], v98 offset:608
	ds_read_b128 v[103:106], v98 offset:624
	;; [unrolled: 1-line block ×8, first 2 shown]
	v_cmp_lt_u32_e32 vcc, 26, v0
	s_waitcnt vmcnt(41) lgkmcnt(7)
	v_mul_f32_e32 v131, v99, v139
	s_waitcnt vmcnt(40)
	v_mul_f32_e32 v132, v101, v140
	s_waitcnt vmcnt(39) lgkmcnt(6)
	v_mul_f32_e32 v133, v103, v141
	s_waitcnt vmcnt(38)
	v_mul_f32_e32 v134, v105, v142
	;; [unrolled: 4-line block ×7, first 2 shown]
	s_waitcnt vmcnt(27) lgkmcnt(0)
	v_mul_f32_e32 v187, v127, v153
	s_waitcnt vmcnt(26)
	v_fmac_f32_e32 v131, v100, v154
	v_mul_f32_e32 v100, v100, v139
	v_fma_f32 v99, v99, v154, -v100
	v_mul_f32_e32 v100, v102, v140
	v_add_f32_e32 v99, 0, v99
	s_waitcnt vmcnt(25)
	v_fma_f32 v100, v101, v155, -v100
	v_add_f32_e32 v99, v99, v100
	v_mul_f32_e32 v100, v104, v141
	s_waitcnt vmcnt(24)
	v_fma_f32 v100, v103, v156, -v100
	v_add_f32_e32 v99, v99, v100
	v_mul_f32_e32 v100, v106, v142
	;; [unrolled: 4-line block ×5, first 2 shown]
	v_fmac_f32_e32 v132, v102, v155
	v_add_f32_e32 v131, 0, v131
	s_waitcnt vmcnt(20)
	v_fma_f32 v100, v111, v160, -v100
	v_fmac_f32_e32 v133, v104, v156
	v_add_f32_e32 v131, v131, v132
	v_add_f32_e32 v99, v99, v100
	v_mul_f32_e32 v100, v114, v146
	v_fmac_f32_e32 v134, v106, v157
	v_add_f32_e32 v131, v131, v133
	s_waitcnt vmcnt(19)
	v_fma_f32 v100, v113, v161, -v100
	v_fmac_f32_e32 v135, v108, v158
	v_add_f32_e32 v131, v131, v134
	v_add_f32_e32 v99, v99, v100
	v_mul_f32_e32 v100, v116, v147
	;; [unrolled: 8-line block ×5, first 2 shown]
	s_waitcnt vmcnt(15)
	v_fmac_f32_e32 v184, v122, v165
	v_add_f32_e32 v131, v131, v183
	v_fma_f32 v100, v121, v165, -v100
	s_waitcnt vmcnt(14)
	v_fmac_f32_e32 v185, v124, v166
	v_add_f32_e32 v131, v131, v184
	v_add_f32_e32 v99, v99, v100
	v_mul_f32_e32 v100, v124, v151
	s_waitcnt vmcnt(13)
	v_fmac_f32_e32 v186, v126, v167
	v_add_f32_e32 v131, v131, v185
	v_fma_f32 v100, v123, v166, -v100
	s_waitcnt vmcnt(12)
	v_fmac_f32_e32 v187, v128, v168
	v_add_f32_e32 v131, v131, v186
	v_add_f32_e32 v99, v99, v100
	v_mul_f32_e32 v100, v126, v152
	v_add_f32_e32 v135, v131, v187
	ds_read_b128 v[131:134], v98 offset:736
	v_fma_f32 v100, v125, v167, -v100
	v_add_f32_e32 v99, v99, v100
	v_mul_f32_e32 v100, v128, v153
	s_waitcnt vmcnt(11)
	v_mul_f32_e32 v136, v129, v169
	v_fma_f32 v100, v127, v168, -v100
	s_waitcnt vmcnt(10)
	v_fmac_f32_e32 v136, v130, v170
	v_add_f32_e32 v99, v99, v100
	v_mul_f32_e32 v100, v130, v169
	v_add_f32_e32 v181, v135, v136
	ds_read_b128 v[135:138], v98 offset:752
	v_fma_f32 v100, v129, v170, -v100
	v_add_f32_e32 v99, v99, v100
	s_waitcnt vmcnt(9) lgkmcnt(1)
	v_mul_f32_e32 v100, v132, v171
	v_mul_f32_e32 v98, v131, v171
	s_waitcnt vmcnt(8)
	v_fma_f32 v100, v131, v172, -v100
	v_fmac_f32_e32 v98, v132, v172
	v_add_f32_e32 v99, v99, v100
	s_waitcnt vmcnt(7)
	v_mul_f32_e32 v100, v134, v173
	v_add_f32_e32 v98, v181, v98
	v_mul_f32_e32 v181, v133, v173
	s_waitcnt vmcnt(6)
	v_fma_f32 v100, v133, v174, -v100
	v_fmac_f32_e32 v181, v134, v174
	v_add_f32_e32 v99, v99, v100
	s_waitcnt vmcnt(5) lgkmcnt(0)
	v_mul_f32_e32 v100, v136, v175
	v_add_f32_e32 v98, v98, v181
	v_mul_f32_e32 v181, v135, v175
	s_waitcnt vmcnt(4)
	v_fma_f32 v100, v135, v176, -v100
	v_fmac_f32_e32 v181, v136, v176
	v_add_f32_e32 v99, v99, v100
	s_waitcnt vmcnt(3)
	v_mul_f32_e32 v100, v138, v177
	v_add_f32_e32 v98, v98, v181
	v_mul_f32_e32 v181, v137, v177
	s_waitcnt vmcnt(2)
	v_fma_f32 v100, v137, v178, -v100
	v_fmac_f32_e32 v181, v138, v178
	v_add_f32_e32 v99, v99, v100
	v_add_f32_e32 v98, v98, v181
	s_waitcnt vmcnt(1)
	v_sub_f32_e32 v99, v179, v99
	s_waitcnt vmcnt(0)
	v_sub_f32_e32 v98, v180, v98
	buffer_store_dword v99, off, s[0:3], 0 offset:216
	buffer_store_dword v98, off, s[0:3], 0 offset:220
	s_and_saveexec_b64 s[4:5], vcc
	s_cbranch_execz .LBB47_249
; %bb.248:
	buffer_load_dword v98, off, s[0:3], 0 offset:208
	buffer_load_dword v99, off, s[0:3], 0 offset:212
	v_mov_b32_e32 v100, 0
	buffer_store_dword v100, off, s[0:3], 0 offset:208
	buffer_store_dword v100, off, s[0:3], 0 offset:212
	s_waitcnt vmcnt(2)
	ds_write_b64 v97, v[98:99]
.LBB47_249:
	s_or_b64 exec, exec, s[4:5]
	s_waitcnt lgkmcnt(0)
	; wave barrier
	buffer_load_dword v141, off, s[0:3], 0 offset:220
	buffer_load_dword v142, off, s[0:3], 0 offset:228
	;; [unrolled: 1-line block ×44, first 2 shown]
	v_mov_b32_e32 v98, 0
	ds_read2_b64 v[99:102], v98 offset0:75 offset1:76
	ds_read2_b64 v[103:106], v98 offset0:77 offset1:78
	ds_read2_b64 v[107:110], v98 offset0:79 offset1:80
	ds_read2_b64 v[111:114], v98 offset0:81 offset1:82
	ds_read2_b64 v[115:118], v98 offset0:83 offset1:84
	ds_read2_b64 v[119:122], v98 offset0:85 offset1:86
	ds_read2_b64 v[123:126], v98 offset0:87 offset1:88
	ds_read2_b64 v[127:130], v98 offset0:89 offset1:90
	v_cmp_lt_u32_e32 vcc, 25, v0
	s_waitcnt vmcnt(43) lgkmcnt(7)
	v_mul_f32_e32 v131, v99, v141
	s_waitcnt vmcnt(42)
	v_mul_f32_e32 v132, v101, v142
	s_waitcnt vmcnt(41) lgkmcnt(6)
	v_mul_f32_e32 v133, v103, v143
	s_waitcnt vmcnt(40)
	v_mul_f32_e32 v134, v105, v144
	;; [unrolled: 4-line block ×7, first 2 shown]
	s_waitcnt vmcnt(29)
	v_fmac_f32_e32 v131, v100, v155
	v_mul_f32_e32 v100, v100, v141
	v_fma_f32 v99, v99, v155, -v100
	v_mul_f32_e32 v100, v102, v142
	v_add_f32_e32 v99, 0, v99
	s_waitcnt vmcnt(28)
	v_fma_f32 v100, v101, v156, -v100
	v_add_f32_e32 v99, v99, v100
	v_mul_f32_e32 v100, v104, v143
	s_waitcnt vmcnt(27)
	v_fma_f32 v100, v103, v157, -v100
	v_add_f32_e32 v99, v99, v100
	v_mul_f32_e32 v100, v106, v144
	;; [unrolled: 4-line block ×4, first 2 shown]
	s_waitcnt vmcnt(24)
	v_fma_f32 v100, v109, v160, -v100
	v_fmac_f32_e32 v132, v102, v156
	v_add_f32_e32 v131, 0, v131
	v_add_f32_e32 v99, v99, v100
	v_mul_f32_e32 v100, v112, v147
	v_fmac_f32_e32 v133, v104, v157
	v_add_f32_e32 v131, v131, v132
	s_waitcnt vmcnt(23)
	v_fma_f32 v100, v111, v161, -v100
	v_fmac_f32_e32 v134, v106, v158
	v_add_f32_e32 v131, v131, v133
	v_add_f32_e32 v99, v99, v100
	v_mul_f32_e32 v100, v114, v148
	v_fmac_f32_e32 v135, v108, v159
	v_add_f32_e32 v131, v131, v134
	;; [unrolled: 8-line block ×4, first 2 shown]
	s_waitcnt vmcnt(20)
	v_fma_f32 v100, v117, v164, -v100
	v_fmac_f32_e32 v140, v118, v164
	v_add_f32_e32 v131, v131, v139
	v_add_f32_e32 v99, v99, v100
	v_mul_f32_e32 v100, v120, v151
	s_waitcnt vmcnt(19)
	v_fmac_f32_e32 v185, v120, v165
	v_add_f32_e32 v131, v131, v140
	v_fma_f32 v100, v119, v165, -v100
	s_waitcnt vmcnt(18)
	v_fmac_f32_e32 v186, v122, v166
	v_add_f32_e32 v131, v131, v185
	v_add_f32_e32 v99, v99, v100
	v_mul_f32_e32 v100, v122, v152
	s_waitcnt vmcnt(17)
	v_fmac_f32_e32 v187, v124, v167
	v_add_f32_e32 v131, v131, v186
	v_fma_f32 v100, v121, v166, -v100
	v_add_f32_e32 v131, v131, v187
	s_waitcnt vmcnt(16)
	v_fmac_f32_e32 v188, v126, v168
	s_waitcnt vmcnt(15) lgkmcnt(0)
	v_mul_f32_e32 v132, v127, v169
	v_add_f32_e32 v99, v99, v100
	v_mul_f32_e32 v100, v124, v153
	v_add_f32_e32 v131, v131, v188
	s_waitcnt vmcnt(14)
	v_fmac_f32_e32 v132, v128, v170
	v_fma_f32 v100, v123, v167, -v100
	v_add_f32_e32 v135, v131, v132
	ds_read2_b64 v[131:134], v98 offset0:91 offset1:92
	v_add_f32_e32 v99, v99, v100
	v_mul_f32_e32 v100, v126, v154
	v_fma_f32 v100, v125, v168, -v100
	v_add_f32_e32 v99, v99, v100
	v_mul_f32_e32 v100, v128, v169
	s_waitcnt vmcnt(13)
	v_mul_f32_e32 v136, v129, v171
	v_fma_f32 v100, v127, v170, -v100
	s_waitcnt vmcnt(12)
	v_fmac_f32_e32 v136, v130, v172
	v_add_f32_e32 v99, v99, v100
	v_mul_f32_e32 v100, v130, v171
	v_add_f32_e32 v139, v135, v136
	ds_read2_b64 v[135:138], v98 offset0:93 offset1:94
	s_waitcnt vmcnt(11) lgkmcnt(1)
	v_mul_f32_e32 v140, v131, v173
	v_fma_f32 v100, v129, v172, -v100
	s_waitcnt vmcnt(10)
	v_fmac_f32_e32 v140, v132, v174
	v_add_f32_e32 v99, v99, v100
	v_mul_f32_e32 v100, v132, v173
	v_add_f32_e32 v139, v139, v140
	s_waitcnt vmcnt(9)
	v_mul_f32_e32 v140, v133, v175
	v_fma_f32 v100, v131, v174, -v100
	s_waitcnt vmcnt(8)
	v_fmac_f32_e32 v140, v134, v176
	v_add_f32_e32 v99, v99, v100
	v_mul_f32_e32 v100, v134, v175
	v_add_f32_e32 v185, v139, v140
	ds_read_b64 v[139:140], v98 offset:760
	v_fma_f32 v100, v133, v176, -v100
	v_add_f32_e32 v99, v99, v100
	s_waitcnt vmcnt(7) lgkmcnt(1)
	v_mul_f32_e32 v100, v136, v177
	v_mul_f32_e32 v186, v135, v177
	s_waitcnt vmcnt(6)
	v_fma_f32 v100, v135, v178, -v100
	v_fmac_f32_e32 v186, v136, v178
	v_add_f32_e32 v99, v99, v100
	s_waitcnt vmcnt(5)
	v_mul_f32_e32 v100, v138, v179
	v_add_f32_e32 v185, v185, v186
	v_mul_f32_e32 v186, v137, v179
	s_waitcnt vmcnt(4)
	v_fma_f32 v100, v137, v180, -v100
	v_fmac_f32_e32 v186, v138, v180
	v_add_f32_e32 v99, v99, v100
	s_waitcnt vmcnt(3) lgkmcnt(0)
	v_mul_f32_e32 v100, v140, v181
	v_add_f32_e32 v185, v185, v186
	v_mul_f32_e32 v186, v139, v181
	s_waitcnt vmcnt(2)
	v_fma_f32 v100, v139, v182, -v100
	v_fmac_f32_e32 v186, v140, v182
	v_add_f32_e32 v99, v99, v100
	v_add_f32_e32 v185, v185, v186
	s_waitcnt vmcnt(1)
	v_sub_f32_e32 v99, v183, v99
	s_waitcnt vmcnt(0)
	v_sub_f32_e32 v100, v184, v185
	buffer_store_dword v99, off, s[0:3], 0 offset:208
	buffer_store_dword v100, off, s[0:3], 0 offset:212
	s_and_saveexec_b64 s[4:5], vcc
	s_cbranch_execz .LBB47_251
; %bb.250:
	buffer_load_dword v99, off, s[0:3], 0 offset:200
	buffer_load_dword v100, off, s[0:3], 0 offset:204
	s_waitcnt vmcnt(0)
	ds_write_b64 v97, v[99:100]
	buffer_store_dword v98, off, s[0:3], 0 offset:200
	buffer_store_dword v98, off, s[0:3], 0 offset:204
.LBB47_251:
	s_or_b64 exec, exec, s[4:5]
	s_waitcnt lgkmcnt(0)
	; wave barrier
	buffer_load_dword v143, off, s[0:3], 0 offset:212
	buffer_load_dword v144, off, s[0:3], 0 offset:220
	;; [unrolled: 1-line block ×46, first 2 shown]
	ds_read_b128 v[99:102], v98 offset:592
	ds_read_b128 v[103:106], v98 offset:608
	;; [unrolled: 1-line block ×8, first 2 shown]
	v_cmp_lt_u32_e32 vcc, 24, v0
	s_waitcnt vmcnt(45) lgkmcnt(7)
	v_mul_f32_e32 v131, v99, v143
	s_waitcnt vmcnt(44)
	v_mul_f32_e32 v132, v101, v144
	s_waitcnt vmcnt(43) lgkmcnt(6)
	v_mul_f32_e32 v133, v103, v145
	s_waitcnt vmcnt(42)
	v_mul_f32_e32 v134, v105, v146
	s_waitcnt vmcnt(41) lgkmcnt(5)
	v_mul_f32_e32 v135, v107, v147
	s_waitcnt vmcnt(40)
	v_mul_f32_e32 v136, v109, v148
	s_waitcnt vmcnt(39) lgkmcnt(4)
	v_mul_f32_e32 v137, v111, v149
	s_waitcnt vmcnt(38)
	v_mul_f32_e32 v138, v113, v150
	s_waitcnt vmcnt(37) lgkmcnt(3)
	v_mul_f32_e32 v139, v115, v151
	s_waitcnt vmcnt(36)
	v_mul_f32_e32 v140, v117, v152
	s_waitcnt vmcnt(35) lgkmcnt(2)
	v_mul_f32_e32 v141, v119, v153
	s_waitcnt vmcnt(34)
	v_mul_f32_e32 v142, v121, v154
	s_waitcnt vmcnt(33) lgkmcnt(1)
	v_mul_f32_e32 v189, v123, v155
	s_waitcnt vmcnt(32)
	v_fmac_f32_e32 v131, v100, v156
	v_mul_f32_e32 v100, v100, v143
	v_fma_f32 v99, v99, v156, -v100
	v_mul_f32_e32 v100, v102, v144
	v_add_f32_e32 v99, 0, v99
	s_waitcnt vmcnt(31)
	v_fma_f32 v100, v101, v157, -v100
	v_add_f32_e32 v99, v99, v100
	v_mul_f32_e32 v100, v104, v145
	s_waitcnt vmcnt(30)
	v_fma_f32 v100, v103, v158, -v100
	v_add_f32_e32 v99, v99, v100
	v_mul_f32_e32 v100, v106, v146
	s_waitcnt vmcnt(29)
	v_fma_f32 v100, v105, v159, -v100
	v_add_f32_e32 v99, v99, v100
	v_mul_f32_e32 v100, v108, v147
	s_waitcnt vmcnt(28)
	v_fma_f32 v100, v107, v160, -v100
	v_add_f32_e32 v99, v99, v100
	v_mul_f32_e32 v100, v110, v148
	v_fmac_f32_e32 v132, v102, v157
	v_add_f32_e32 v131, 0, v131
	s_waitcnt vmcnt(27)
	v_fma_f32 v100, v109, v161, -v100
	v_fmac_f32_e32 v133, v104, v158
	v_add_f32_e32 v131, v131, v132
	v_add_f32_e32 v99, v99, v100
	v_mul_f32_e32 v100, v112, v149
	v_fmac_f32_e32 v134, v106, v159
	v_add_f32_e32 v131, v131, v133
	s_waitcnt vmcnt(26)
	v_fma_f32 v100, v111, v162, -v100
	v_fmac_f32_e32 v135, v108, v160
	v_add_f32_e32 v131, v131, v134
	v_add_f32_e32 v99, v99, v100
	v_mul_f32_e32 v100, v114, v150
	;; [unrolled: 8-line block ×4, first 2 shown]
	s_waitcnt vmcnt(23)
	v_fmac_f32_e32 v140, v118, v165
	v_add_f32_e32 v131, v131, v139
	v_fma_f32 v100, v117, v165, -v100
	s_waitcnt vmcnt(22)
	v_fmac_f32_e32 v141, v120, v166
	v_add_f32_e32 v131, v131, v140
	v_add_f32_e32 v99, v99, v100
	v_mul_f32_e32 v100, v120, v153
	s_waitcnt vmcnt(21)
	v_fmac_f32_e32 v142, v122, v167
	v_add_f32_e32 v131, v131, v141
	v_fma_f32 v100, v119, v166, -v100
	s_waitcnt vmcnt(20)
	v_fmac_f32_e32 v189, v124, v168
	v_add_f32_e32 v131, v131, v142
	s_waitcnt vmcnt(19)
	v_mul_f32_e32 v132, v125, v169
	v_add_f32_e32 v99, v99, v100
	v_mul_f32_e32 v100, v122, v154
	v_add_f32_e32 v131, v131, v189
	s_waitcnt vmcnt(18)
	v_fmac_f32_e32 v132, v126, v170
	v_fma_f32 v100, v121, v167, -v100
	v_add_f32_e32 v131, v131, v132
	s_waitcnt vmcnt(17) lgkmcnt(0)
	v_mul_f32_e32 v132, v127, v171
	v_add_f32_e32 v99, v99, v100
	v_mul_f32_e32 v100, v124, v155
	s_waitcnt vmcnt(16)
	v_fmac_f32_e32 v132, v128, v172
	v_fma_f32 v100, v123, v168, -v100
	v_add_f32_e32 v135, v131, v132
	ds_read_b128 v[131:134], v98 offset:720
	v_add_f32_e32 v99, v99, v100
	v_mul_f32_e32 v100, v126, v169
	v_fma_f32 v100, v125, v170, -v100
	v_add_f32_e32 v99, v99, v100
	v_mul_f32_e32 v100, v128, v171
	s_waitcnt vmcnt(15)
	v_mul_f32_e32 v136, v129, v173
	v_fma_f32 v100, v127, v172, -v100
	s_waitcnt vmcnt(14)
	v_fmac_f32_e32 v136, v130, v174
	v_add_f32_e32 v99, v99, v100
	v_mul_f32_e32 v100, v130, v173
	v_add_f32_e32 v139, v135, v136
	ds_read_b128 v[135:138], v98 offset:736
	s_waitcnt vmcnt(13) lgkmcnt(1)
	v_mul_f32_e32 v140, v131, v175
	v_fma_f32 v100, v129, v174, -v100
	s_waitcnt vmcnt(12)
	v_fmac_f32_e32 v140, v132, v176
	v_add_f32_e32 v99, v99, v100
	v_mul_f32_e32 v100, v132, v175
	v_add_f32_e32 v139, v139, v140
	s_waitcnt vmcnt(11)
	v_mul_f32_e32 v140, v133, v177
	v_fma_f32 v100, v131, v176, -v100
	s_waitcnt vmcnt(10)
	v_fmac_f32_e32 v140, v134, v178
	v_add_f32_e32 v99, v99, v100
	v_mul_f32_e32 v100, v134, v177
	v_add_f32_e32 v189, v139, v140
	ds_read_b128 v[139:142], v98 offset:752
	v_fma_f32 v100, v133, v178, -v100
	v_add_f32_e32 v99, v99, v100
	s_waitcnt vmcnt(9) lgkmcnt(1)
	v_mul_f32_e32 v100, v136, v179
	v_mul_f32_e32 v190, v135, v179
	s_waitcnt vmcnt(8)
	v_fma_f32 v100, v135, v180, -v100
	v_fmac_f32_e32 v190, v136, v180
	v_add_f32_e32 v99, v99, v100
	s_waitcnt vmcnt(7)
	v_mul_f32_e32 v100, v138, v181
	v_add_f32_e32 v98, v189, v190
	v_mul_f32_e32 v189, v137, v181
	s_waitcnt vmcnt(6)
	v_fma_f32 v100, v137, v182, -v100
	v_fmac_f32_e32 v189, v138, v182
	v_add_f32_e32 v99, v99, v100
	s_waitcnt vmcnt(5) lgkmcnt(0)
	v_mul_f32_e32 v100, v140, v183
	v_add_f32_e32 v98, v98, v189
	v_mul_f32_e32 v189, v139, v183
	s_waitcnt vmcnt(4)
	v_fma_f32 v100, v139, v184, -v100
	v_fmac_f32_e32 v189, v140, v184
	v_add_f32_e32 v99, v99, v100
	s_waitcnt vmcnt(3)
	v_mul_f32_e32 v100, v142, v185
	v_add_f32_e32 v98, v98, v189
	v_mul_f32_e32 v189, v141, v185
	s_waitcnt vmcnt(2)
	v_fma_f32 v100, v141, v186, -v100
	v_fmac_f32_e32 v189, v142, v186
	v_add_f32_e32 v99, v99, v100
	v_add_f32_e32 v98, v98, v189
	s_waitcnt vmcnt(1)
	v_sub_f32_e32 v99, v187, v99
	s_waitcnt vmcnt(0)
	v_sub_f32_e32 v98, v188, v98
	buffer_store_dword v99, off, s[0:3], 0 offset:200
	buffer_store_dword v98, off, s[0:3], 0 offset:204
	s_and_saveexec_b64 s[4:5], vcc
	s_cbranch_execz .LBB47_253
; %bb.252:
	buffer_load_dword v98, off, s[0:3], 0 offset:192
	buffer_load_dword v99, off, s[0:3], 0 offset:196
	v_mov_b32_e32 v100, 0
	buffer_store_dword v100, off, s[0:3], 0 offset:192
	buffer_store_dword v100, off, s[0:3], 0 offset:196
	s_waitcnt vmcnt(2)
	ds_write_b64 v97, v[98:99]
.LBB47_253:
	s_or_b64 exec, exec, s[4:5]
	s_waitcnt lgkmcnt(0)
	; wave barrier
	buffer_load_dword v145, off, s[0:3], 0 offset:204
	buffer_load_dword v146, off, s[0:3], 0 offset:212
	;; [unrolled: 1-line block ×48, first 2 shown]
	v_mov_b32_e32 v98, 0
	ds_read2_b64 v[99:102], v98 offset0:73 offset1:74
	ds_read2_b64 v[103:106], v98 offset0:75 offset1:76
	;; [unrolled: 1-line block ×7, first 2 shown]
	v_cmp_lt_u32_e32 vcc, 23, v0
	s_waitcnt vmcnt(47) lgkmcnt(6)
	v_mul_f32_e32 v127, v99, v145
	s_waitcnt vmcnt(46)
	v_mul_f32_e32 v128, v101, v146
	s_waitcnt vmcnt(45) lgkmcnt(5)
	v_mul_f32_e32 v129, v103, v147
	s_waitcnt vmcnt(44)
	v_mul_f32_e32 v130, v105, v148
	;; [unrolled: 4-line block ×6, first 2 shown]
	s_waitcnt vmcnt(35)
	v_fmac_f32_e32 v127, v100, v157
	v_mul_f32_e32 v100, v100, v145
	v_fma_f32 v99, v99, v157, -v100
	v_mul_f32_e32 v100, v102, v146
	v_add_f32_e32 v99, 0, v99
	s_waitcnt vmcnt(34)
	v_fma_f32 v100, v101, v158, -v100
	v_add_f32_e32 v99, v99, v100
	v_mul_f32_e32 v100, v104, v147
	s_waitcnt vmcnt(33)
	v_fma_f32 v100, v103, v159, -v100
	v_fmac_f32_e32 v128, v102, v158
	v_add_f32_e32 v127, 0, v127
	v_add_f32_e32 v99, v99, v100
	v_mul_f32_e32 v100, v106, v148
	v_fmac_f32_e32 v129, v104, v159
	v_add_f32_e32 v127, v127, v128
	s_waitcnt vmcnt(32)
	v_fma_f32 v100, v105, v160, -v100
	v_fmac_f32_e32 v130, v106, v160
	v_add_f32_e32 v127, v127, v129
	v_add_f32_e32 v99, v99, v100
	v_mul_f32_e32 v100, v108, v149
	s_waitcnt vmcnt(31)
	v_fmac_f32_e32 v131, v108, v161
	v_add_f32_e32 v127, v127, v130
	v_fma_f32 v100, v107, v161, -v100
	s_waitcnt vmcnt(30)
	v_fmac_f32_e32 v132, v110, v162
	v_add_f32_e32 v127, v127, v131
	v_add_f32_e32 v99, v99, v100
	v_mul_f32_e32 v100, v110, v150
	s_waitcnt vmcnt(29)
	v_fmac_f32_e32 v133, v112, v163
	v_add_f32_e32 v127, v127, v132
	v_fma_f32 v100, v109, v162, -v100
	s_waitcnt vmcnt(28)
	v_fmac_f32_e32 v134, v114, v164
	v_add_f32_e32 v127, v127, v133
	v_add_f32_e32 v99, v99, v100
	v_mul_f32_e32 v100, v112, v151
	s_waitcnt vmcnt(27)
	v_fmac_f32_e32 v135, v116, v165
	v_add_f32_e32 v127, v127, v134
	v_fma_f32 v100, v111, v163, -v100
	s_waitcnt vmcnt(26)
	v_fmac_f32_e32 v136, v118, v166
	v_add_f32_e32 v127, v127, v135
	v_add_f32_e32 v99, v99, v100
	v_mul_f32_e32 v100, v114, v152
	s_waitcnt vmcnt(25)
	v_fmac_f32_e32 v137, v120, v167
	v_add_f32_e32 v127, v127, v136
	v_fma_f32 v100, v113, v164, -v100
	s_waitcnt vmcnt(24)
	v_fmac_f32_e32 v138, v122, v168
	v_add_f32_e32 v127, v127, v137
	v_add_f32_e32 v99, v99, v100
	v_mul_f32_e32 v100, v116, v153
	v_add_f32_e32 v131, v127, v138
	ds_read2_b64 v[127:130], v98 offset0:87 offset1:88
	v_fma_f32 v100, v115, v165, -v100
	s_waitcnt vmcnt(23) lgkmcnt(1)
	v_mul_f32_e32 v132, v123, v169
	v_add_f32_e32 v99, v99, v100
	v_mul_f32_e32 v100, v118, v154
	s_waitcnt vmcnt(22)
	v_fmac_f32_e32 v132, v124, v170
	v_fma_f32 v100, v117, v166, -v100
	v_add_f32_e32 v131, v131, v132
	s_waitcnt vmcnt(21)
	v_mul_f32_e32 v132, v125, v171
	v_add_f32_e32 v99, v99, v100
	v_mul_f32_e32 v100, v120, v155
	s_waitcnt vmcnt(20)
	v_fmac_f32_e32 v132, v126, v172
	v_fma_f32 v100, v119, v167, -v100
	v_add_f32_e32 v131, v131, v132
	s_waitcnt vmcnt(19) lgkmcnt(0)
	v_mul_f32_e32 v132, v127, v173
	v_add_f32_e32 v99, v99, v100
	v_mul_f32_e32 v100, v122, v156
	s_waitcnt vmcnt(18)
	v_fmac_f32_e32 v132, v128, v174
	v_fma_f32 v100, v121, v168, -v100
	v_add_f32_e32 v135, v131, v132
	ds_read2_b64 v[131:134], v98 offset0:89 offset1:90
	v_add_f32_e32 v99, v99, v100
	v_mul_f32_e32 v100, v124, v169
	v_fma_f32 v100, v123, v170, -v100
	s_waitcnt vmcnt(17)
	v_mul_f32_e32 v136, v129, v175
	v_add_f32_e32 v99, v99, v100
	v_mul_f32_e32 v100, v126, v171
	s_waitcnt vmcnt(16)
	v_fmac_f32_e32 v136, v130, v176
	v_fma_f32 v100, v125, v172, -v100
	v_add_f32_e32 v139, v135, v136
	ds_read2_b64 v[135:138], v98 offset0:91 offset1:92
	v_add_f32_e32 v99, v99, v100
	v_mul_f32_e32 v100, v128, v173
	s_waitcnt vmcnt(15) lgkmcnt(1)
	v_mul_f32_e32 v140, v131, v177
	v_fma_f32 v100, v127, v174, -v100
	s_waitcnt vmcnt(14)
	v_fmac_f32_e32 v140, v132, v178
	v_add_f32_e32 v99, v99, v100
	v_mul_f32_e32 v100, v130, v175
	v_add_f32_e32 v139, v139, v140
	s_waitcnt vmcnt(13)
	v_mul_f32_e32 v140, v133, v179
	v_fma_f32 v100, v129, v176, -v100
	s_waitcnt vmcnt(12)
	v_fmac_f32_e32 v140, v134, v180
	v_add_f32_e32 v99, v99, v100
	v_mul_f32_e32 v100, v132, v177
	v_add_f32_e32 v139, v139, v140
	s_waitcnt vmcnt(11) lgkmcnt(0)
	v_mul_f32_e32 v140, v135, v181
	v_fma_f32 v100, v131, v178, -v100
	s_waitcnt vmcnt(10)
	v_fmac_f32_e32 v140, v136, v182
	v_add_f32_e32 v99, v99, v100
	v_mul_f32_e32 v100, v134, v179
	v_add_f32_e32 v143, v139, v140
	ds_read2_b64 v[139:142], v98 offset0:93 offset1:94
	v_fma_f32 v100, v133, v180, -v100
	v_add_f32_e32 v99, v99, v100
	v_mul_f32_e32 v100, v136, v181
	s_waitcnt vmcnt(9)
	v_mul_f32_e32 v144, v137, v183
	v_fma_f32 v100, v135, v182, -v100
	s_waitcnt vmcnt(8)
	v_fmac_f32_e32 v144, v138, v184
	v_add_f32_e32 v99, v99, v100
	v_mul_f32_e32 v100, v138, v183
	v_add_f32_e32 v193, v143, v144
	ds_read_b64 v[143:144], v98 offset:760
	v_fma_f32 v100, v137, v184, -v100
	v_add_f32_e32 v99, v99, v100
	s_waitcnt vmcnt(6) lgkmcnt(1)
	v_mul_f32_e32 v100, v140, v186
	v_mul_f32_e32 v194, v139, v186
	v_fma_f32 v100, v139, v185, -v100
	v_fmac_f32_e32 v194, v140, v185
	v_add_f32_e32 v99, v99, v100
	s_waitcnt vmcnt(3)
	v_mul_f32_e32 v100, v142, v189
	v_add_f32_e32 v193, v193, v194
	v_mul_f32_e32 v194, v141, v189
	s_waitcnt vmcnt(2)
	v_fma_f32 v100, v141, v190, -v100
	v_fmac_f32_e32 v194, v142, v190
	v_add_f32_e32 v99, v99, v100
	s_waitcnt vmcnt(0) lgkmcnt(0)
	v_mul_f32_e32 v100, v144, v192
	v_add_f32_e32 v193, v193, v194
	v_mul_f32_e32 v194, v143, v192
	v_fma_f32 v100, v143, v191, -v100
	v_fmac_f32_e32 v194, v144, v191
	v_add_f32_e32 v99, v99, v100
	v_add_f32_e32 v193, v193, v194
	v_sub_f32_e32 v99, v187, v99
	v_sub_f32_e32 v100, v188, v193
	buffer_store_dword v99, off, s[0:3], 0 offset:192
	buffer_store_dword v100, off, s[0:3], 0 offset:196
	s_and_saveexec_b64 s[4:5], vcc
	s_cbranch_execz .LBB47_255
; %bb.254:
	buffer_load_dword v99, off, s[0:3], 0 offset:184
	buffer_load_dword v100, off, s[0:3], 0 offset:188
	s_waitcnt vmcnt(0)
	ds_write_b64 v97, v[99:100]
	buffer_store_dword v98, off, s[0:3], 0 offset:184
	buffer_store_dword v98, off, s[0:3], 0 offset:188
.LBB47_255:
	s_or_b64 exec, exec, s[4:5]
	s_waitcnt lgkmcnt(0)
	; wave barrier
	buffer_load_dword v147, off, s[0:3], 0 offset:196
	buffer_load_dword v148, off, s[0:3], 0 offset:204
	;; [unrolled: 1-line block ×48, first 2 shown]
	ds_read_b128 v[99:102], v98 offset:576
	ds_read_b128 v[103:106], v98 offset:592
	buffer_load_dword v195, off, s[0:3], 0 offset:376
	buffer_load_dword v196, off, s[0:3], 0 offset:380
	ds_read_b128 v[107:110], v98 offset:608
	ds_read_b128 v[111:114], v98 offset:624
	;; [unrolled: 1-line block ×5, first 2 shown]
	v_cmp_lt_u32_e32 vcc, 22, v0
	s_waitcnt vmcnt(49) lgkmcnt(6)
	v_mul_f32_e32 v127, v99, v147
	s_waitcnt vmcnt(48)
	v_mul_f32_e32 v128, v101, v148
	s_waitcnt vmcnt(47) lgkmcnt(5)
	v_mul_f32_e32 v129, v103, v149
	s_waitcnt vmcnt(46)
	v_mul_f32_e32 v130, v105, v150
	;; [unrolled: 4-line block ×6, first 2 shown]
	s_waitcnt vmcnt(37)
	v_fmac_f32_e32 v127, v100, v159
	v_mul_f32_e32 v100, v100, v147
	v_fma_f32 v99, v99, v159, -v100
	v_mul_f32_e32 v100, v102, v148
	v_add_f32_e32 v99, 0, v99
	s_waitcnt vmcnt(36)
	v_fma_f32 v100, v101, v160, -v100
	v_add_f32_e32 v99, v99, v100
	v_mul_f32_e32 v100, v104, v149
	s_waitcnt vmcnt(35)
	v_fma_f32 v100, v103, v161, -v100
	v_fmac_f32_e32 v128, v102, v160
	v_add_f32_e32 v127, 0, v127
	v_add_f32_e32 v99, v99, v100
	v_mul_f32_e32 v100, v106, v150
	v_fmac_f32_e32 v129, v104, v161
	v_add_f32_e32 v127, v127, v128
	s_waitcnt vmcnt(34)
	v_fma_f32 v100, v105, v162, -v100
	v_fmac_f32_e32 v130, v106, v162
	v_add_f32_e32 v127, v127, v129
	v_add_f32_e32 v99, v99, v100
	v_mul_f32_e32 v100, v108, v151
	s_waitcnt vmcnt(33)
	v_fmac_f32_e32 v131, v108, v163
	v_add_f32_e32 v127, v127, v130
	v_fma_f32 v100, v107, v163, -v100
	s_waitcnt vmcnt(32)
	v_fmac_f32_e32 v132, v110, v164
	v_add_f32_e32 v127, v127, v131
	v_add_f32_e32 v99, v99, v100
	v_mul_f32_e32 v100, v110, v152
	s_waitcnt vmcnt(31)
	v_fmac_f32_e32 v133, v112, v165
	v_add_f32_e32 v127, v127, v132
	v_fma_f32 v100, v109, v164, -v100
	s_waitcnt vmcnt(30)
	;; [unrolled: 9-line block ×3, first 2 shown]
	v_fmac_f32_e32 v136, v118, v168
	v_add_f32_e32 v127, v127, v135
	v_add_f32_e32 v99, v99, v100
	v_mul_f32_e32 v100, v114, v154
	s_waitcnt vmcnt(27)
	v_fmac_f32_e32 v137, v120, v169
	v_add_f32_e32 v127, v127, v136
	v_fma_f32 v100, v113, v166, -v100
	v_add_f32_e32 v127, v127, v137
	s_waitcnt vmcnt(26)
	v_fmac_f32_e32 v138, v122, v170
	v_add_f32_e32 v99, v99, v100
	v_mul_f32_e32 v100, v116, v155
	v_add_f32_e32 v131, v127, v138
	ds_read_b128 v[127:130], v98 offset:688
	v_fma_f32 v100, v115, v167, -v100
	s_waitcnt vmcnt(25) lgkmcnt(1)
	v_mul_f32_e32 v132, v123, v171
	v_add_f32_e32 v99, v99, v100
	v_mul_f32_e32 v100, v118, v156
	s_waitcnt vmcnt(24)
	v_fmac_f32_e32 v132, v124, v172
	v_fma_f32 v100, v117, v168, -v100
	v_add_f32_e32 v131, v131, v132
	s_waitcnt vmcnt(23)
	v_mul_f32_e32 v132, v125, v173
	v_add_f32_e32 v99, v99, v100
	v_mul_f32_e32 v100, v120, v157
	s_waitcnt vmcnt(22)
	v_fmac_f32_e32 v132, v126, v174
	v_fma_f32 v100, v119, v169, -v100
	v_add_f32_e32 v131, v131, v132
	s_waitcnt vmcnt(21) lgkmcnt(0)
	v_mul_f32_e32 v132, v127, v175
	v_add_f32_e32 v99, v99, v100
	v_mul_f32_e32 v100, v122, v158
	s_waitcnt vmcnt(20)
	v_fmac_f32_e32 v132, v128, v176
	v_fma_f32 v100, v121, v170, -v100
	v_add_f32_e32 v135, v131, v132
	ds_read_b128 v[131:134], v98 offset:704
	v_add_f32_e32 v99, v99, v100
	v_mul_f32_e32 v100, v124, v171
	v_fma_f32 v100, v123, v172, -v100
	s_waitcnt vmcnt(19)
	v_mul_f32_e32 v136, v129, v177
	v_add_f32_e32 v99, v99, v100
	v_mul_f32_e32 v100, v126, v173
	s_waitcnt vmcnt(18)
	v_fmac_f32_e32 v136, v130, v178
	v_fma_f32 v100, v125, v174, -v100
	v_add_f32_e32 v139, v135, v136
	ds_read_b128 v[135:138], v98 offset:720
	v_add_f32_e32 v99, v99, v100
	v_mul_f32_e32 v100, v128, v175
	s_waitcnt vmcnt(17) lgkmcnt(1)
	v_mul_f32_e32 v140, v131, v179
	v_fma_f32 v100, v127, v176, -v100
	s_waitcnt vmcnt(16)
	v_fmac_f32_e32 v140, v132, v180
	v_add_f32_e32 v99, v99, v100
	v_mul_f32_e32 v100, v130, v177
	v_add_f32_e32 v139, v139, v140
	s_waitcnt vmcnt(15)
	v_mul_f32_e32 v140, v133, v181
	v_fma_f32 v100, v129, v178, -v100
	s_waitcnt vmcnt(14)
	v_fmac_f32_e32 v140, v134, v182
	v_add_f32_e32 v99, v99, v100
	v_mul_f32_e32 v100, v132, v179
	v_add_f32_e32 v139, v139, v140
	s_waitcnt vmcnt(13) lgkmcnt(0)
	v_mul_f32_e32 v140, v135, v183
	v_fma_f32 v100, v131, v180, -v100
	s_waitcnt vmcnt(12)
	v_fmac_f32_e32 v140, v136, v184
	v_add_f32_e32 v99, v99, v100
	v_mul_f32_e32 v100, v134, v181
	v_add_f32_e32 v143, v139, v140
	ds_read_b128 v[139:142], v98 offset:736
	v_fma_f32 v100, v133, v182, -v100
	v_add_f32_e32 v99, v99, v100
	v_mul_f32_e32 v100, v136, v183
	s_waitcnt vmcnt(11)
	v_mul_f32_e32 v144, v137, v185
	v_fma_f32 v100, v135, v184, -v100
	s_waitcnt vmcnt(10)
	v_fmac_f32_e32 v144, v138, v186
	v_add_f32_e32 v99, v99, v100
	v_mul_f32_e32 v100, v138, v185
	v_add_f32_e32 v197, v143, v144
	ds_read_b128 v[143:146], v98 offset:752
	v_fma_f32 v100, v137, v186, -v100
	v_add_f32_e32 v99, v99, v100
	s_waitcnt vmcnt(7) lgkmcnt(1)
	v_mul_f32_e32 v100, v140, v189
	v_mul_f32_e32 v98, v139, v189
	s_waitcnt vmcnt(6)
	v_fma_f32 v100, v139, v190, -v100
	v_fmac_f32_e32 v98, v140, v190
	v_add_f32_e32 v99, v99, v100
	s_waitcnt vmcnt(4)
	v_mul_f32_e32 v100, v142, v192
	v_add_f32_e32 v98, v197, v98
	v_mul_f32_e32 v197, v141, v192
	v_fma_f32 v100, v141, v191, -v100
	v_fmac_f32_e32 v197, v142, v191
	v_add_f32_e32 v99, v99, v100
	s_waitcnt vmcnt(2) lgkmcnt(0)
	v_mul_f32_e32 v100, v144, v194
	v_add_f32_e32 v98, v98, v197
	v_mul_f32_e32 v197, v143, v194
	v_fma_f32 v100, v143, v193, -v100
	v_fmac_f32_e32 v197, v144, v193
	v_add_f32_e32 v99, v99, v100
	s_waitcnt vmcnt(0)
	v_mul_f32_e32 v100, v146, v196
	v_add_f32_e32 v98, v98, v197
	v_mul_f32_e32 v197, v145, v196
	v_fma_f32 v100, v145, v195, -v100
	v_fmac_f32_e32 v197, v146, v195
	v_add_f32_e32 v99, v99, v100
	v_add_f32_e32 v98, v98, v197
	v_sub_f32_e32 v99, v187, v99
	v_sub_f32_e32 v98, v188, v98
	buffer_store_dword v99, off, s[0:3], 0 offset:184
	buffer_store_dword v98, off, s[0:3], 0 offset:188
	s_and_saveexec_b64 s[4:5], vcc
	s_cbranch_execz .LBB47_257
; %bb.256:
	buffer_load_dword v98, off, s[0:3], 0 offset:176
	buffer_load_dword v99, off, s[0:3], 0 offset:180
	v_mov_b32_e32 v100, 0
	buffer_store_dword v100, off, s[0:3], 0 offset:176
	buffer_store_dword v100, off, s[0:3], 0 offset:180
	s_waitcnt vmcnt(2)
	ds_write_b64 v97, v[98:99]
.LBB47_257:
	s_or_b64 exec, exec, s[4:5]
	s_waitcnt lgkmcnt(0)
	; wave barrier
	buffer_load_dword v149, off, s[0:3], 0 offset:188
	buffer_load_dword v150, off, s[0:3], 0 offset:196
	;; [unrolled: 1-line block ×52, first 2 shown]
	v_mov_b32_e32 v98, 0
	ds_read2_b64 v[99:102], v98 offset0:71 offset1:72
	ds_read2_b64 v[103:106], v98 offset0:73 offset1:74
	;; [unrolled: 1-line block ×6, first 2 shown]
	v_cmp_lt_u32_e32 vcc, 21, v0
	s_waitcnt vmcnt(51) lgkmcnt(5)
	v_mul_f32_e32 v123, v99, v149
	s_waitcnt vmcnt(50)
	v_mul_f32_e32 v124, v101, v150
	s_waitcnt vmcnt(49) lgkmcnt(4)
	v_mul_f32_e32 v125, v103, v151
	s_waitcnt vmcnt(48)
	v_mul_f32_e32 v126, v105, v152
	;; [unrolled: 4-line block ×5, first 2 shown]
	s_waitcnt vmcnt(41) lgkmcnt(0)
	v_mul_f32_e32 v133, v119, v159
	s_waitcnt vmcnt(40)
	v_fmac_f32_e32 v123, v100, v160
	v_mul_f32_e32 v100, v100, v149
	s_waitcnt vmcnt(39)
	v_fmac_f32_e32 v124, v102, v161
	v_add_f32_e32 v123, 0, v123
	v_fma_f32 v99, v99, v160, -v100
	v_mul_f32_e32 v100, v102, v150
	s_waitcnt vmcnt(38)
	v_fmac_f32_e32 v125, v104, v162
	v_add_f32_e32 v123, v123, v124
	v_add_f32_e32 v99, 0, v99
	v_fma_f32 v100, v101, v161, -v100
	s_waitcnt vmcnt(37)
	v_fmac_f32_e32 v126, v106, v163
	v_add_f32_e32 v123, v123, v125
	v_add_f32_e32 v99, v99, v100
	v_mul_f32_e32 v100, v104, v151
	s_waitcnt vmcnt(36)
	v_fmac_f32_e32 v127, v108, v164
	v_add_f32_e32 v123, v123, v126
	v_fma_f32 v100, v103, v162, -v100
	s_waitcnt vmcnt(35)
	v_fmac_f32_e32 v128, v110, v165
	v_add_f32_e32 v123, v123, v127
	v_add_f32_e32 v99, v99, v100
	v_mul_f32_e32 v100, v106, v152
	s_waitcnt vmcnt(34)
	v_fmac_f32_e32 v129, v112, v166
	;; [unrolled: 9-line block ×3, first 2 shown]
	v_add_f32_e32 v123, v123, v130
	v_fma_f32 v100, v107, v164, -v100
	s_waitcnt vmcnt(31)
	v_fmac_f32_e32 v132, v118, v169
	v_add_f32_e32 v123, v123, v131
	v_add_f32_e32 v99, v99, v100
	v_mul_f32_e32 v100, v110, v154
	v_add_f32_e32 v123, v123, v132
	s_waitcnt vmcnt(30)
	v_fmac_f32_e32 v133, v120, v170
	v_fma_f32 v100, v109, v165, -v100
	v_add_f32_e32 v127, v123, v133
	ds_read2_b64 v[123:126], v98 offset0:83 offset1:84
	v_add_f32_e32 v99, v99, v100
	v_mul_f32_e32 v100, v112, v155
	v_fma_f32 v100, v111, v166, -v100
	s_waitcnt vmcnt(29)
	v_mul_f32_e32 v128, v121, v171
	v_add_f32_e32 v99, v99, v100
	v_mul_f32_e32 v100, v114, v156
	s_waitcnt vmcnt(28)
	v_fmac_f32_e32 v128, v122, v172
	v_fma_f32 v100, v113, v167, -v100
	v_add_f32_e32 v131, v127, v128
	ds_read2_b64 v[127:130], v98 offset0:85 offset1:86
	v_add_f32_e32 v99, v99, v100
	v_mul_f32_e32 v100, v116, v157
	s_waitcnt vmcnt(27) lgkmcnt(1)
	v_mul_f32_e32 v132, v123, v173
	v_fma_f32 v100, v115, v168, -v100
	s_waitcnt vmcnt(26)
	v_fmac_f32_e32 v132, v124, v174
	v_add_f32_e32 v99, v99, v100
	v_mul_f32_e32 v100, v118, v158
	v_add_f32_e32 v131, v131, v132
	s_waitcnt vmcnt(25)
	v_mul_f32_e32 v132, v125, v175
	v_fma_f32 v100, v117, v169, -v100
	s_waitcnt vmcnt(24)
	v_fmac_f32_e32 v132, v126, v176
	v_add_f32_e32 v99, v99, v100
	v_mul_f32_e32 v100, v120, v159
	v_add_f32_e32 v131, v131, v132
	s_waitcnt vmcnt(23) lgkmcnt(0)
	v_mul_f32_e32 v132, v127, v177
	v_fma_f32 v100, v119, v170, -v100
	s_waitcnt vmcnt(22)
	v_fmac_f32_e32 v132, v128, v178
	v_add_f32_e32 v99, v99, v100
	v_mul_f32_e32 v100, v122, v171
	v_add_f32_e32 v135, v131, v132
	ds_read2_b64 v[131:134], v98 offset0:87 offset1:88
	v_fma_f32 v100, v121, v172, -v100
	v_add_f32_e32 v99, v99, v100
	v_mul_f32_e32 v100, v124, v173
	s_waitcnt vmcnt(21)
	v_mul_f32_e32 v136, v129, v179
	v_fma_f32 v100, v123, v174, -v100
	s_waitcnt vmcnt(20)
	v_fmac_f32_e32 v136, v130, v180
	v_add_f32_e32 v99, v99, v100
	v_mul_f32_e32 v100, v126, v175
	v_add_f32_e32 v139, v135, v136
	ds_read2_b64 v[135:138], v98 offset0:89 offset1:90
	v_fma_f32 v100, v125, v176, -v100
	s_waitcnt vmcnt(19) lgkmcnt(1)
	v_mul_f32_e32 v140, v131, v181
	v_add_f32_e32 v99, v99, v100
	v_mul_f32_e32 v100, v128, v177
	s_waitcnt vmcnt(18)
	v_fmac_f32_e32 v140, v132, v182
	v_fma_f32 v100, v127, v178, -v100
	v_add_f32_e32 v139, v139, v140
	s_waitcnt vmcnt(17)
	v_mul_f32_e32 v140, v133, v183
	v_add_f32_e32 v99, v99, v100
	v_mul_f32_e32 v100, v130, v179
	s_waitcnt vmcnt(16)
	v_fmac_f32_e32 v140, v134, v184
	v_fma_f32 v100, v129, v180, -v100
	v_add_f32_e32 v139, v139, v140
	s_waitcnt vmcnt(14) lgkmcnt(0)
	v_mul_f32_e32 v140, v135, v186
	v_add_f32_e32 v99, v99, v100
	v_mul_f32_e32 v100, v132, v181
	v_fmac_f32_e32 v140, v136, v185
	v_fma_f32 v100, v131, v182, -v100
	v_add_f32_e32 v143, v139, v140
	ds_read2_b64 v[139:142], v98 offset0:91 offset1:92
	v_add_f32_e32 v99, v99, v100
	v_mul_f32_e32 v100, v134, v183
	v_fma_f32 v100, v133, v184, -v100
	v_add_f32_e32 v99, v99, v100
	v_mul_f32_e32 v100, v136, v186
	s_waitcnt vmcnt(11)
	v_mul_f32_e32 v144, v137, v189
	v_fma_f32 v100, v135, v185, -v100
	s_waitcnt vmcnt(10)
	v_fmac_f32_e32 v144, v138, v190
	v_add_f32_e32 v99, v99, v100
	v_mul_f32_e32 v100, v138, v189
	v_add_f32_e32 v147, v143, v144
	ds_read2_b64 v[143:146], v98 offset0:93 offset1:94
	s_waitcnt vmcnt(8) lgkmcnt(1)
	v_mul_f32_e32 v148, v139, v192
	v_fma_f32 v100, v137, v190, -v100
	v_fmac_f32_e32 v148, v140, v191
	v_add_f32_e32 v99, v99, v100
	v_mul_f32_e32 v100, v140, v192
	v_add_f32_e32 v147, v147, v148
	s_waitcnt vmcnt(6)
	v_mul_f32_e32 v148, v141, v194
	v_fma_f32 v100, v139, v191, -v100
	v_fmac_f32_e32 v148, v142, v193
	v_add_f32_e32 v99, v99, v100
	v_mul_f32_e32 v100, v142, v194
	v_add_f32_e32 v201, v147, v148
	ds_read_b64 v[147:148], v98 offset:760
	v_fma_f32 v100, v141, v193, -v100
	v_add_f32_e32 v99, v99, v100
	s_waitcnt vmcnt(4) lgkmcnt(1)
	v_mul_f32_e32 v100, v144, v196
	v_mul_f32_e32 v202, v143, v196
	v_fma_f32 v100, v143, v195, -v100
	v_fmac_f32_e32 v202, v144, v195
	v_add_f32_e32 v99, v99, v100
	s_waitcnt vmcnt(2)
	v_mul_f32_e32 v100, v146, v198
	v_add_f32_e32 v201, v201, v202
	v_mul_f32_e32 v202, v145, v198
	v_fma_f32 v100, v145, v197, -v100
	v_fmac_f32_e32 v202, v146, v197
	v_add_f32_e32 v99, v99, v100
	s_waitcnt vmcnt(0) lgkmcnt(0)
	v_mul_f32_e32 v100, v148, v200
	v_add_f32_e32 v201, v201, v202
	v_mul_f32_e32 v202, v147, v200
	v_fma_f32 v100, v147, v199, -v100
	v_fmac_f32_e32 v202, v148, v199
	v_add_f32_e32 v99, v99, v100
	v_add_f32_e32 v201, v201, v202
	v_sub_f32_e32 v99, v187, v99
	v_sub_f32_e32 v100, v188, v201
	buffer_store_dword v99, off, s[0:3], 0 offset:176
	buffer_store_dword v100, off, s[0:3], 0 offset:180
	s_and_saveexec_b64 s[4:5], vcc
	s_cbranch_execz .LBB47_259
; %bb.258:
	buffer_load_dword v99, off, s[0:3], 0 offset:168
	buffer_load_dword v100, off, s[0:3], 0 offset:172
	s_waitcnt vmcnt(0)
	ds_write_b64 v97, v[99:100]
	buffer_store_dword v98, off, s[0:3], 0 offset:168
	buffer_store_dword v98, off, s[0:3], 0 offset:172
.LBB47_259:
	s_or_b64 exec, exec, s[4:5]
	s_waitcnt lgkmcnt(0)
	; wave barrier
	buffer_load_dword v151, off, s[0:3], 0 offset:180
	buffer_load_dword v152, off, s[0:3], 0 offset:188
	;; [unrolled: 1-line block ×42, first 2 shown]
	ds_read_b128 v[99:102], v98 offset:560
	ds_read_b128 v[103:106], v98 offset:576
	;; [unrolled: 1-line block ×4, first 2 shown]
	buffer_load_dword v193, off, s[0:3], 0 offset:340
	buffer_load_dword v194, off, s[0:3], 0 offset:336
	;; [unrolled: 1-line block ×6, first 2 shown]
	ds_read_b128 v[115:118], v98 offset:624
	ds_read_b128 v[119:122], v98 offset:640
	buffer_load_dword v199, off, s[0:3], 0 offset:360
	buffer_load_dword v200, off, s[0:3], 0 offset:364
	;; [unrolled: 1-line block ×6, first 2 shown]
	v_cmp_lt_u32_e32 vcc, 20, v0
	s_waitcnt vmcnt(53) lgkmcnt(5)
	v_mul_f32_e32 v123, v99, v151
	s_waitcnt vmcnt(52)
	v_mul_f32_e32 v124, v101, v152
	s_waitcnt vmcnt(51) lgkmcnt(4)
	v_mul_f32_e32 v125, v103, v153
	s_waitcnt vmcnt(50)
	v_mul_f32_e32 v126, v105, v154
	;; [unrolled: 4-line block ×5, first 2 shown]
	s_waitcnt vmcnt(43)
	v_fmac_f32_e32 v123, v100, v161
	v_mul_f32_e32 v100, v100, v151
	s_waitcnt vmcnt(42)
	v_fmac_f32_e32 v124, v102, v162
	v_add_f32_e32 v123, 0, v123
	v_fma_f32 v99, v99, v161, -v100
	v_mul_f32_e32 v100, v102, v152
	s_waitcnt vmcnt(41)
	v_fmac_f32_e32 v125, v104, v163
	v_add_f32_e32 v123, v123, v124
	v_add_f32_e32 v99, 0, v99
	v_fma_f32 v100, v101, v162, -v100
	s_waitcnt vmcnt(40)
	v_fmac_f32_e32 v126, v106, v164
	v_add_f32_e32 v123, v123, v125
	v_add_f32_e32 v99, v99, v100
	v_mul_f32_e32 v100, v104, v153
	s_waitcnt vmcnt(39)
	v_fmac_f32_e32 v127, v108, v165
	v_add_f32_e32 v123, v123, v126
	v_fma_f32 v100, v103, v163, -v100
	s_waitcnt vmcnt(38)
	v_fmac_f32_e32 v128, v110, v166
	v_add_f32_e32 v123, v123, v127
	v_add_f32_e32 v99, v99, v100
	v_mul_f32_e32 v100, v106, v154
	s_waitcnt vmcnt(37)
	v_fmac_f32_e32 v129, v112, v167
	;; [unrolled: 9-line block ×3, first 2 shown]
	v_add_f32_e32 v123, v123, v130
	v_fma_f32 v100, v107, v165, -v100
	s_waitcnt vmcnt(34)
	v_fmac_f32_e32 v132, v118, v170
	v_add_f32_e32 v123, v123, v131
	s_waitcnt vmcnt(33) lgkmcnt(0)
	v_mul_f32_e32 v124, v119, v171
	v_add_f32_e32 v99, v99, v100
	v_mul_f32_e32 v100, v110, v156
	v_add_f32_e32 v123, v123, v132
	s_waitcnt vmcnt(32)
	v_fmac_f32_e32 v124, v120, v172
	v_fma_f32 v100, v109, v166, -v100
	v_add_f32_e32 v127, v123, v124
	ds_read_b128 v[123:126], v98 offset:656
	v_add_f32_e32 v99, v99, v100
	v_mul_f32_e32 v100, v112, v157
	v_fma_f32 v100, v111, v167, -v100
	s_waitcnt vmcnt(31)
	v_mul_f32_e32 v128, v121, v173
	v_add_f32_e32 v99, v99, v100
	v_mul_f32_e32 v100, v114, v158
	s_waitcnt vmcnt(30)
	v_fmac_f32_e32 v128, v122, v174
	v_fma_f32 v100, v113, v168, -v100
	v_add_f32_e32 v131, v127, v128
	ds_read_b128 v[127:130], v98 offset:672
	v_add_f32_e32 v99, v99, v100
	v_mul_f32_e32 v100, v116, v159
	s_waitcnt vmcnt(29) lgkmcnt(1)
	v_mul_f32_e32 v132, v123, v175
	v_fma_f32 v100, v115, v169, -v100
	s_waitcnt vmcnt(28)
	v_fmac_f32_e32 v132, v124, v176
	v_add_f32_e32 v99, v99, v100
	v_mul_f32_e32 v100, v118, v160
	v_add_f32_e32 v131, v131, v132
	s_waitcnt vmcnt(27)
	v_mul_f32_e32 v132, v125, v177
	v_fma_f32 v100, v117, v170, -v100
	s_waitcnt vmcnt(26)
	v_fmac_f32_e32 v132, v126, v178
	v_add_f32_e32 v99, v99, v100
	v_mul_f32_e32 v100, v120, v171
	v_add_f32_e32 v131, v131, v132
	s_waitcnt vmcnt(25) lgkmcnt(0)
	v_mul_f32_e32 v132, v127, v179
	v_fma_f32 v100, v119, v172, -v100
	s_waitcnt vmcnt(24)
	v_fmac_f32_e32 v132, v128, v180
	v_add_f32_e32 v99, v99, v100
	v_mul_f32_e32 v100, v122, v173
	v_add_f32_e32 v135, v131, v132
	ds_read_b128 v[131:134], v98 offset:688
	v_fma_f32 v100, v121, v174, -v100
	v_add_f32_e32 v99, v99, v100
	v_mul_f32_e32 v100, v124, v175
	s_waitcnt vmcnt(23)
	v_mul_f32_e32 v136, v129, v181
	v_fma_f32 v100, v123, v176, -v100
	s_waitcnt vmcnt(22)
	v_fmac_f32_e32 v136, v130, v182
	v_add_f32_e32 v99, v99, v100
	v_mul_f32_e32 v100, v126, v177
	v_add_f32_e32 v139, v135, v136
	ds_read_b128 v[135:138], v98 offset:704
	v_fma_f32 v100, v125, v178, -v100
	s_waitcnt vmcnt(21) lgkmcnt(1)
	v_mul_f32_e32 v140, v131, v183
	v_add_f32_e32 v99, v99, v100
	v_mul_f32_e32 v100, v128, v179
	s_waitcnt vmcnt(20)
	v_fmac_f32_e32 v140, v132, v184
	v_fma_f32 v100, v127, v180, -v100
	v_add_f32_e32 v139, v139, v140
	s_waitcnt vmcnt(18)
	v_mul_f32_e32 v140, v133, v186
	v_add_f32_e32 v99, v99, v100
	v_mul_f32_e32 v100, v130, v181
	v_fmac_f32_e32 v140, v134, v185
	v_fma_f32 v100, v129, v182, -v100
	v_add_f32_e32 v139, v139, v140
	s_waitcnt vmcnt(15) lgkmcnt(0)
	v_mul_f32_e32 v140, v135, v189
	v_add_f32_e32 v99, v99, v100
	v_mul_f32_e32 v100, v132, v183
	s_waitcnt vmcnt(14)
	v_fmac_f32_e32 v140, v136, v190
	v_fma_f32 v100, v131, v184, -v100
	v_add_f32_e32 v143, v139, v140
	ds_read_b128 v[139:142], v98 offset:720
	v_add_f32_e32 v99, v99, v100
	v_mul_f32_e32 v100, v134, v186
	v_fma_f32 v100, v133, v185, -v100
	v_add_f32_e32 v99, v99, v100
	v_mul_f32_e32 v100, v136, v189
	s_waitcnt vmcnt(12)
	v_mul_f32_e32 v144, v137, v192
	v_fma_f32 v100, v135, v190, -v100
	v_fmac_f32_e32 v144, v138, v191
	v_add_f32_e32 v99, v99, v100
	v_mul_f32_e32 v100, v138, v192
	v_add_f32_e32 v147, v143, v144
	ds_read_b128 v[143:146], v98 offset:736
	s_waitcnt vmcnt(11) lgkmcnt(1)
	v_mul_f32_e32 v148, v139, v193
	v_fma_f32 v100, v137, v191, -v100
	s_waitcnt vmcnt(10)
	v_fmac_f32_e32 v148, v140, v194
	v_add_f32_e32 v99, v99, v100
	v_mul_f32_e32 v100, v140, v193
	v_add_f32_e32 v147, v147, v148
	s_waitcnt vmcnt(8)
	v_mul_f32_e32 v148, v141, v196
	v_fma_f32 v100, v139, v194, -v100
	v_fmac_f32_e32 v148, v142, v195
	v_add_f32_e32 v99, v99, v100
	v_mul_f32_e32 v100, v142, v196
	v_add_f32_e32 v205, v147, v148
	ds_read_b128 v[147:150], v98 offset:752
	v_fma_f32 v100, v141, v195, -v100
	v_add_f32_e32 v99, v99, v100
	s_waitcnt vmcnt(6) lgkmcnt(1)
	v_mul_f32_e32 v100, v144, v198
	v_mul_f32_e32 v206, v143, v198
	v_fma_f32 v100, v143, v197, -v100
	v_fmac_f32_e32 v206, v144, v197
	v_add_f32_e32 v99, v99, v100
	s_waitcnt vmcnt(4)
	v_mul_f32_e32 v100, v146, v200
	v_add_f32_e32 v98, v205, v206
	v_mul_f32_e32 v205, v145, v200
	v_fma_f32 v100, v145, v199, -v100
	v_fmac_f32_e32 v205, v146, v199
	v_add_f32_e32 v99, v99, v100
	s_waitcnt vmcnt(2) lgkmcnt(0)
	v_mul_f32_e32 v100, v148, v202
	v_add_f32_e32 v98, v98, v205
	v_mul_f32_e32 v205, v147, v202
	v_fma_f32 v100, v147, v201, -v100
	v_fmac_f32_e32 v205, v148, v201
	v_add_f32_e32 v99, v99, v100
	s_waitcnt vmcnt(0)
	v_mul_f32_e32 v100, v150, v204
	v_add_f32_e32 v98, v98, v205
	v_mul_f32_e32 v205, v149, v204
	v_fma_f32 v100, v149, v203, -v100
	v_fmac_f32_e32 v205, v150, v203
	v_add_f32_e32 v99, v99, v100
	v_add_f32_e32 v98, v98, v205
	v_sub_f32_e32 v99, v187, v99
	v_sub_f32_e32 v98, v188, v98
	buffer_store_dword v99, off, s[0:3], 0 offset:168
	buffer_store_dword v98, off, s[0:3], 0 offset:172
	s_and_saveexec_b64 s[4:5], vcc
	s_cbranch_execz .LBB47_261
; %bb.260:
	buffer_load_dword v98, off, s[0:3], 0 offset:160
	buffer_load_dword v99, off, s[0:3], 0 offset:164
	v_mov_b32_e32 v100, 0
	buffer_store_dword v100, off, s[0:3], 0 offset:160
	buffer_store_dword v100, off, s[0:3], 0 offset:164
	s_waitcnt vmcnt(2)
	ds_write_b64 v97, v[98:99]
.LBB47_261:
	s_or_b64 exec, exec, s[4:5]
	s_waitcnt lgkmcnt(0)
	; wave barrier
	buffer_load_dword v153, off, s[0:3], 0 offset:172
	buffer_load_dword v154, off, s[0:3], 0 offset:180
	;; [unrolled: 1-line block ×56, first 2 shown]
	v_mov_b32_e32 v98, 0
	ds_read2_b64 v[99:102], v98 offset0:69 offset1:70
	ds_read2_b64 v[103:106], v98 offset0:71 offset1:72
	;; [unrolled: 1-line block ×6, first 2 shown]
	v_cmp_lt_u32_e32 vcc, 19, v0
	s_waitcnt vmcnt(55) lgkmcnt(5)
	v_mul_f32_e32 v123, v99, v153
	s_waitcnt vmcnt(54)
	v_mul_f32_e32 v124, v101, v154
	s_waitcnt vmcnt(53) lgkmcnt(4)
	v_mul_f32_e32 v125, v103, v155
	s_waitcnt vmcnt(52)
	v_mul_f32_e32 v126, v105, v156
	;; [unrolled: 4-line block ×4, first 2 shown]
	s_waitcnt vmcnt(47) lgkmcnt(1)
	v_mul_f32_e32 v131, v115, v161
	s_waitcnt vmcnt(46)
	v_fmac_f32_e32 v123, v100, v162
	s_waitcnt vmcnt(45)
	v_fmac_f32_e32 v124, v102, v163
	v_add_f32_e32 v123, 0, v123
	s_waitcnt vmcnt(44)
	v_fmac_f32_e32 v125, v104, v164
	v_add_f32_e32 v123, v123, v124
	;; [unrolled: 3-line block ×3, first 2 shown]
	v_mul_f32_e32 v100, v100, v153
	s_waitcnt vmcnt(42)
	v_fmac_f32_e32 v127, v108, v166
	v_add_f32_e32 v123, v123, v126
	v_fma_f32 v99, v99, v162, -v100
	v_mul_f32_e32 v100, v102, v154
	s_waitcnt vmcnt(41)
	v_fmac_f32_e32 v128, v110, v167
	v_add_f32_e32 v123, v123, v127
	v_add_f32_e32 v99, 0, v99
	v_fma_f32 v100, v101, v163, -v100
	s_waitcnt vmcnt(40)
	v_fmac_f32_e32 v129, v112, v168
	v_add_f32_e32 v123, v123, v128
	v_add_f32_e32 v99, v99, v100
	v_mul_f32_e32 v100, v104, v155
	s_waitcnt vmcnt(39)
	v_fmac_f32_e32 v130, v114, v169
	v_add_f32_e32 v123, v123, v129
	v_fma_f32 v100, v103, v164, -v100
	v_add_f32_e32 v123, v123, v130
	s_waitcnt vmcnt(38)
	v_fmac_f32_e32 v131, v116, v170
	s_waitcnt vmcnt(37)
	v_mul_f32_e32 v124, v117, v171
	v_add_f32_e32 v99, v99, v100
	v_mul_f32_e32 v100, v106, v156
	v_add_f32_e32 v123, v123, v131
	s_waitcnt vmcnt(36)
	v_fmac_f32_e32 v124, v118, v172
	v_fma_f32 v100, v105, v165, -v100
	v_add_f32_e32 v123, v123, v124
	s_waitcnt vmcnt(35) lgkmcnt(0)
	v_mul_f32_e32 v124, v119, v173
	v_add_f32_e32 v99, v99, v100
	v_mul_f32_e32 v100, v108, v157
	s_waitcnt vmcnt(34)
	v_fmac_f32_e32 v124, v120, v174
	v_fma_f32 v100, v107, v166, -v100
	v_add_f32_e32 v127, v123, v124
	ds_read2_b64 v[123:126], v98 offset0:81 offset1:82
	v_add_f32_e32 v99, v99, v100
	v_mul_f32_e32 v100, v110, v158
	v_fma_f32 v100, v109, v167, -v100
	s_waitcnt vmcnt(33)
	v_mul_f32_e32 v128, v121, v175
	v_add_f32_e32 v99, v99, v100
	v_mul_f32_e32 v100, v112, v159
	s_waitcnt vmcnt(32)
	v_fmac_f32_e32 v128, v122, v176
	v_fma_f32 v100, v111, v168, -v100
	v_add_f32_e32 v131, v127, v128
	ds_read2_b64 v[127:130], v98 offset0:83 offset1:84
	v_add_f32_e32 v99, v99, v100
	v_mul_f32_e32 v100, v114, v160
	s_waitcnt vmcnt(31) lgkmcnt(1)
	v_mul_f32_e32 v132, v123, v177
	v_fma_f32 v100, v113, v169, -v100
	s_waitcnt vmcnt(30)
	v_fmac_f32_e32 v132, v124, v178
	v_add_f32_e32 v99, v99, v100
	v_mul_f32_e32 v100, v116, v161
	v_add_f32_e32 v131, v131, v132
	s_waitcnt vmcnt(29)
	v_mul_f32_e32 v132, v125, v179
	v_fma_f32 v100, v115, v170, -v100
	s_waitcnt vmcnt(28)
	v_fmac_f32_e32 v132, v126, v180
	v_add_f32_e32 v99, v99, v100
	v_mul_f32_e32 v100, v118, v171
	v_add_f32_e32 v131, v131, v132
	s_waitcnt vmcnt(27) lgkmcnt(0)
	v_mul_f32_e32 v132, v127, v181
	v_fma_f32 v100, v117, v172, -v100
	s_waitcnt vmcnt(26)
	v_fmac_f32_e32 v132, v128, v182
	v_add_f32_e32 v99, v99, v100
	v_mul_f32_e32 v100, v120, v173
	v_add_f32_e32 v135, v131, v132
	ds_read2_b64 v[131:134], v98 offset0:85 offset1:86
	v_fma_f32 v100, v119, v174, -v100
	v_add_f32_e32 v99, v99, v100
	v_mul_f32_e32 v100, v122, v175
	s_waitcnt vmcnt(24)
	v_mul_f32_e32 v136, v129, v184
	v_fma_f32 v100, v121, v176, -v100
	v_fmac_f32_e32 v136, v130, v183
	v_add_f32_e32 v99, v99, v100
	v_mul_f32_e32 v100, v124, v177
	v_add_f32_e32 v139, v135, v136
	ds_read2_b64 v[135:138], v98 offset0:87 offset1:88
	v_fma_f32 v100, v123, v178, -v100
	s_waitcnt vmcnt(21) lgkmcnt(1)
	v_mul_f32_e32 v140, v131, v187
	v_add_f32_e32 v99, v99, v100
	v_mul_f32_e32 v100, v126, v179
	s_waitcnt vmcnt(20)
	v_fmac_f32_e32 v140, v132, v188
	v_fma_f32 v100, v125, v180, -v100
	v_add_f32_e32 v139, v139, v140
	s_waitcnt vmcnt(18)
	v_mul_f32_e32 v140, v133, v190
	v_add_f32_e32 v99, v99, v100
	v_mul_f32_e32 v100, v128, v181
	v_fmac_f32_e32 v140, v134, v189
	v_fma_f32 v100, v127, v182, -v100
	v_add_f32_e32 v139, v139, v140
	s_waitcnt vmcnt(16) lgkmcnt(0)
	v_mul_f32_e32 v140, v135, v192
	v_add_f32_e32 v99, v99, v100
	v_mul_f32_e32 v100, v130, v184
	v_fmac_f32_e32 v140, v136, v191
	v_fma_f32 v100, v129, v183, -v100
	v_add_f32_e32 v143, v139, v140
	ds_read2_b64 v[139:142], v98 offset0:89 offset1:90
	v_add_f32_e32 v99, v99, v100
	v_mul_f32_e32 v100, v132, v187
	v_fma_f32 v100, v131, v188, -v100
	s_waitcnt vmcnt(14)
	v_mul_f32_e32 v144, v137, v194
	v_add_f32_e32 v99, v99, v100
	v_mul_f32_e32 v100, v134, v190
	v_fmac_f32_e32 v144, v138, v193
	v_fma_f32 v100, v133, v189, -v100
	v_add_f32_e32 v147, v143, v144
	ds_read2_b64 v[143:146], v98 offset0:91 offset1:92
	v_add_f32_e32 v99, v99, v100
	v_mul_f32_e32 v100, v136, v192
	s_waitcnt vmcnt(12) lgkmcnt(1)
	v_mul_f32_e32 v148, v139, v196
	v_fma_f32 v100, v135, v191, -v100
	v_fmac_f32_e32 v148, v140, v195
	v_add_f32_e32 v99, v99, v100
	v_mul_f32_e32 v100, v138, v194
	v_add_f32_e32 v147, v147, v148
	s_waitcnt vmcnt(10)
	v_mul_f32_e32 v148, v141, v198
	v_fma_f32 v100, v137, v193, -v100
	v_fmac_f32_e32 v148, v142, v197
	v_add_f32_e32 v99, v99, v100
	v_mul_f32_e32 v100, v140, v196
	v_add_f32_e32 v147, v147, v148
	s_waitcnt vmcnt(8) lgkmcnt(0)
	v_mul_f32_e32 v148, v143, v200
	v_fma_f32 v100, v139, v195, -v100
	v_fmac_f32_e32 v148, v144, v199
	v_add_f32_e32 v99, v99, v100
	v_mul_f32_e32 v100, v142, v198
	v_add_f32_e32 v151, v147, v148
	ds_read2_b64 v[147:150], v98 offset0:93 offset1:94
	v_fma_f32 v100, v141, v197, -v100
	v_add_f32_e32 v99, v99, v100
	v_mul_f32_e32 v100, v144, v200
	s_waitcnt vmcnt(6)
	v_mul_f32_e32 v152, v145, v202
	v_fma_f32 v100, v143, v199, -v100
	v_fmac_f32_e32 v152, v146, v201
	v_add_f32_e32 v99, v99, v100
	v_mul_f32_e32 v100, v146, v202
	v_add_f32_e32 v209, v151, v152
	ds_read_b64 v[151:152], v98 offset:760
	v_fma_f32 v100, v145, v201, -v100
	v_add_f32_e32 v99, v99, v100
	s_waitcnt vmcnt(4) lgkmcnt(1)
	v_mul_f32_e32 v100, v148, v204
	v_mul_f32_e32 v210, v147, v204
	v_fma_f32 v100, v147, v203, -v100
	v_fmac_f32_e32 v210, v148, v203
	v_add_f32_e32 v99, v99, v100
	s_waitcnt vmcnt(2)
	v_mul_f32_e32 v100, v150, v206
	v_add_f32_e32 v209, v209, v210
	v_mul_f32_e32 v210, v149, v206
	v_fma_f32 v100, v149, v205, -v100
	v_fmac_f32_e32 v210, v150, v205
	v_add_f32_e32 v99, v99, v100
	s_waitcnt vmcnt(0) lgkmcnt(0)
	v_mul_f32_e32 v100, v152, v208
	v_add_f32_e32 v209, v209, v210
	v_mul_f32_e32 v210, v151, v208
	v_fma_f32 v100, v151, v207, -v100
	v_fmac_f32_e32 v210, v152, v207
	v_add_f32_e32 v99, v99, v100
	v_add_f32_e32 v209, v209, v210
	v_sub_f32_e32 v99, v185, v99
	v_sub_f32_e32 v100, v186, v209
	buffer_store_dword v99, off, s[0:3], 0 offset:160
	buffer_store_dword v100, off, s[0:3], 0 offset:164
	s_and_saveexec_b64 s[4:5], vcc
	s_cbranch_execz .LBB47_263
; %bb.262:
	buffer_load_dword v99, off, s[0:3], 0 offset:152
	buffer_load_dword v100, off, s[0:3], 0 offset:156
	s_waitcnt vmcnt(0)
	ds_write_b64 v97, v[99:100]
	buffer_store_dword v98, off, s[0:3], 0 offset:152
	buffer_store_dword v98, off, s[0:3], 0 offset:156
.LBB47_263:
	s_or_b64 exec, exec, s[4:5]
	s_waitcnt lgkmcnt(0)
	; wave barrier
	buffer_load_dword v155, off, s[0:3], 0 offset:164
	buffer_load_dword v156, off, s[0:3], 0 offset:172
	;; [unrolled: 1-line block ×34, first 2 shown]
	ds_read_b128 v[99:102], v98 offset:544
	ds_read_b128 v[103:106], v98 offset:560
	buffer_load_dword v189, off, s[0:3], 0 offset:292
	buffer_load_dword v190, off, s[0:3], 0 offset:288
	;; [unrolled: 1-line block ×6, first 2 shown]
	ds_read_b128 v[107:110], v98 offset:576
	ds_read_b128 v[111:114], v98 offset:592
	ds_read_b128 v[115:118], v98 offset:608
	ds_read_b128 v[119:122], v98 offset:624
	buffer_load_dword v195, off, s[0:3], 0 offset:316
	buffer_load_dword v196, off, s[0:3], 0 offset:312
	;; [unrolled: 1-line block ×18, first 2 shown]
	v_cmp_lt_u32_e32 vcc, 18, v0
	s_waitcnt vmcnt(57) lgkmcnt(5)
	v_mul_f32_e32 v123, v99, v155
	s_waitcnt vmcnt(56)
	v_mul_f32_e32 v124, v101, v156
	s_waitcnt vmcnt(55) lgkmcnt(4)
	v_mul_f32_e32 v125, v103, v157
	s_waitcnt vmcnt(54)
	v_mul_f32_e32 v126, v105, v158
	;; [unrolled: 4-line block ×4, first 2 shown]
	s_waitcnt vmcnt(49)
	v_fmac_f32_e32 v123, v100, v163
	s_waitcnt vmcnt(48)
	v_fmac_f32_e32 v124, v102, v164
	v_add_f32_e32 v123, 0, v123
	s_waitcnt vmcnt(47)
	v_fmac_f32_e32 v125, v104, v165
	v_add_f32_e32 v123, v123, v124
	;; [unrolled: 3-line block ×4, first 2 shown]
	v_mul_f32_e32 v100, v100, v155
	s_waitcnt vmcnt(44)
	v_fmac_f32_e32 v128, v110, v168
	v_add_f32_e32 v123, v123, v127
	v_fma_f32 v99, v99, v163, -v100
	v_mul_f32_e32 v100, v102, v156
	s_waitcnt vmcnt(43)
	v_fmac_f32_e32 v129, v112, v169
	v_add_f32_e32 v123, v123, v128
	v_add_f32_e32 v99, 0, v99
	v_fma_f32 v100, v101, v164, -v100
	s_waitcnt vmcnt(42)
	v_fmac_f32_e32 v130, v114, v170
	v_add_f32_e32 v123, v123, v129
	s_waitcnt vmcnt(41) lgkmcnt(1)
	v_mul_f32_e32 v124, v115, v171
	v_add_f32_e32 v99, v99, v100
	v_mul_f32_e32 v100, v104, v157
	v_add_f32_e32 v123, v123, v130
	s_waitcnt vmcnt(40)
	v_fmac_f32_e32 v124, v116, v172
	v_fma_f32 v100, v103, v165, -v100
	v_add_f32_e32 v123, v123, v124
	s_waitcnt vmcnt(39)
	v_mul_f32_e32 v124, v117, v173
	v_add_f32_e32 v99, v99, v100
	v_mul_f32_e32 v100, v106, v158
	s_waitcnt vmcnt(38)
	v_fmac_f32_e32 v124, v118, v174
	v_fma_f32 v100, v105, v166, -v100
	v_add_f32_e32 v123, v123, v124
	s_waitcnt vmcnt(37) lgkmcnt(0)
	v_mul_f32_e32 v124, v119, v175
	v_add_f32_e32 v99, v99, v100
	v_mul_f32_e32 v100, v108, v159
	s_waitcnt vmcnt(36)
	v_fmac_f32_e32 v124, v120, v176
	v_fma_f32 v100, v107, v167, -v100
	v_add_f32_e32 v127, v123, v124
	ds_read_b128 v[123:126], v98 offset:640
	v_add_f32_e32 v99, v99, v100
	v_mul_f32_e32 v100, v110, v160
	v_fma_f32 v100, v109, v168, -v100
	s_waitcnt vmcnt(35)
	v_mul_f32_e32 v128, v121, v177
	v_add_f32_e32 v99, v99, v100
	v_mul_f32_e32 v100, v112, v161
	s_waitcnt vmcnt(34)
	v_fmac_f32_e32 v128, v122, v178
	v_fma_f32 v100, v111, v169, -v100
	v_add_f32_e32 v131, v127, v128
	ds_read_b128 v[127:130], v98 offset:656
	v_add_f32_e32 v99, v99, v100
	v_mul_f32_e32 v100, v114, v162
	s_waitcnt vmcnt(33) lgkmcnt(1)
	v_mul_f32_e32 v132, v123, v179
	v_fma_f32 v100, v113, v170, -v100
	s_waitcnt vmcnt(32)
	v_fmac_f32_e32 v132, v124, v180
	v_add_f32_e32 v99, v99, v100
	v_mul_f32_e32 v100, v116, v171
	v_add_f32_e32 v131, v131, v132
	s_waitcnt vmcnt(31)
	v_mul_f32_e32 v132, v125, v181
	v_fma_f32 v100, v115, v172, -v100
	s_waitcnt vmcnt(30)
	v_fmac_f32_e32 v132, v126, v182
	v_add_f32_e32 v99, v99, v100
	v_mul_f32_e32 v100, v118, v173
	v_add_f32_e32 v131, v131, v132
	s_waitcnt vmcnt(29) lgkmcnt(0)
	v_mul_f32_e32 v132, v127, v183
	v_fma_f32 v100, v117, v174, -v100
	s_waitcnt vmcnt(28)
	v_fmac_f32_e32 v132, v128, v184
	v_add_f32_e32 v99, v99, v100
	v_mul_f32_e32 v100, v120, v175
	v_add_f32_e32 v135, v131, v132
	ds_read_b128 v[131:134], v98 offset:672
	v_fma_f32 v100, v119, v176, -v100
	v_add_f32_e32 v99, v99, v100
	v_mul_f32_e32 v100, v122, v177
	s_waitcnt vmcnt(25)
	v_mul_f32_e32 v136, v129, v187
	v_fma_f32 v100, v121, v178, -v100
	s_waitcnt vmcnt(24)
	v_fmac_f32_e32 v136, v130, v188
	v_add_f32_e32 v99, v99, v100
	v_mul_f32_e32 v100, v124, v179
	v_add_f32_e32 v139, v135, v136
	ds_read_b128 v[135:138], v98 offset:688
	v_fma_f32 v100, v123, v180, -v100
	s_waitcnt vmcnt(23) lgkmcnt(1)
	v_mul_f32_e32 v140, v131, v189
	v_add_f32_e32 v99, v99, v100
	v_mul_f32_e32 v100, v126, v181
	s_waitcnt vmcnt(22)
	v_fmac_f32_e32 v140, v132, v190
	v_fma_f32 v100, v125, v182, -v100
	v_add_f32_e32 v139, v139, v140
	s_waitcnt vmcnt(20)
	v_mul_f32_e32 v140, v133, v192
	v_add_f32_e32 v99, v99, v100
	v_mul_f32_e32 v100, v128, v183
	v_fmac_f32_e32 v140, v134, v191
	v_fma_f32 v100, v127, v184, -v100
	v_add_f32_e32 v139, v139, v140
	s_waitcnt vmcnt(18) lgkmcnt(0)
	v_mul_f32_e32 v140, v135, v194
	v_add_f32_e32 v99, v99, v100
	v_mul_f32_e32 v100, v130, v187
	v_fmac_f32_e32 v140, v136, v193
	v_fma_f32 v100, v129, v188, -v100
	v_add_f32_e32 v143, v139, v140
	ds_read_b128 v[139:142], v98 offset:704
	v_add_f32_e32 v99, v99, v100
	v_mul_f32_e32 v100, v132, v189
	v_fma_f32 v100, v131, v190, -v100
	s_waitcnt vmcnt(17)
	v_mul_f32_e32 v144, v137, v195
	v_add_f32_e32 v99, v99, v100
	v_mul_f32_e32 v100, v134, v192
	s_waitcnt vmcnt(16)
	v_fmac_f32_e32 v144, v138, v196
	v_fma_f32 v100, v133, v191, -v100
	v_add_f32_e32 v147, v143, v144
	ds_read_b128 v[143:146], v98 offset:720
	v_add_f32_e32 v99, v99, v100
	v_mul_f32_e32 v100, v136, v194
	s_waitcnt vmcnt(14) lgkmcnt(1)
	v_mul_f32_e32 v148, v139, v198
	v_fma_f32 v100, v135, v193, -v100
	v_fmac_f32_e32 v148, v140, v197
	v_add_f32_e32 v99, v99, v100
	v_mul_f32_e32 v100, v138, v195
	v_add_f32_e32 v147, v147, v148
	s_waitcnt vmcnt(12)
	v_mul_f32_e32 v148, v141, v200
	v_fma_f32 v100, v137, v196, -v100
	v_fmac_f32_e32 v148, v142, v199
	v_add_f32_e32 v99, v99, v100
	v_mul_f32_e32 v100, v140, v198
	v_add_f32_e32 v147, v147, v148
	s_waitcnt vmcnt(10) lgkmcnt(0)
	v_mul_f32_e32 v148, v143, v202
	v_fma_f32 v100, v139, v197, -v100
	v_fmac_f32_e32 v148, v144, v201
	v_add_f32_e32 v99, v99, v100
	v_mul_f32_e32 v100, v142, v200
	v_add_f32_e32 v151, v147, v148
	ds_read_b128 v[147:150], v98 offset:736
	v_fma_f32 v100, v141, v199, -v100
	v_add_f32_e32 v99, v99, v100
	v_mul_f32_e32 v100, v144, v202
	s_waitcnt vmcnt(8)
	v_mul_f32_e32 v152, v145, v204
	v_fma_f32 v100, v143, v201, -v100
	v_fmac_f32_e32 v152, v146, v203
	v_add_f32_e32 v99, v99, v100
	v_mul_f32_e32 v100, v146, v204
	v_add_f32_e32 v213, v151, v152
	ds_read_b128 v[151:154], v98 offset:752
	v_fma_f32 v100, v145, v203, -v100
	v_add_f32_e32 v99, v99, v100
	s_waitcnt vmcnt(6) lgkmcnt(1)
	v_mul_f32_e32 v100, v148, v206
	v_mul_f32_e32 v98, v147, v206
	v_fma_f32 v100, v147, v205, -v100
	v_fmac_f32_e32 v98, v148, v205
	v_add_f32_e32 v99, v99, v100
	s_waitcnt vmcnt(4)
	v_mul_f32_e32 v100, v150, v208
	v_add_f32_e32 v98, v213, v98
	v_mul_f32_e32 v213, v149, v208
	v_fma_f32 v100, v149, v207, -v100
	v_fmac_f32_e32 v213, v150, v207
	v_add_f32_e32 v99, v99, v100
	s_waitcnt vmcnt(2) lgkmcnt(0)
	v_mul_f32_e32 v100, v152, v210
	v_add_f32_e32 v98, v98, v213
	v_mul_f32_e32 v213, v151, v210
	v_fma_f32 v100, v151, v209, -v100
	v_fmac_f32_e32 v213, v152, v209
	v_add_f32_e32 v99, v99, v100
	s_waitcnt vmcnt(0)
	v_mul_f32_e32 v100, v154, v212
	v_add_f32_e32 v98, v98, v213
	v_mul_f32_e32 v213, v153, v212
	v_fma_f32 v100, v153, v211, -v100
	v_fmac_f32_e32 v213, v154, v211
	v_add_f32_e32 v99, v99, v100
	v_add_f32_e32 v98, v98, v213
	v_sub_f32_e32 v99, v185, v99
	v_sub_f32_e32 v98, v186, v98
	buffer_store_dword v99, off, s[0:3], 0 offset:152
	buffer_store_dword v98, off, s[0:3], 0 offset:156
	s_and_saveexec_b64 s[4:5], vcc
	s_cbranch_execz .LBB47_265
; %bb.264:
	buffer_load_dword v98, off, s[0:3], 0 offset:144
	buffer_load_dword v99, off, s[0:3], 0 offset:148
	v_mov_b32_e32 v100, 0
	buffer_store_dword v100, off, s[0:3], 0 offset:144
	buffer_store_dword v100, off, s[0:3], 0 offset:148
	s_waitcnt vmcnt(2)
	ds_write_b64 v97, v[98:99]
.LBB47_265:
	s_or_b64 exec, exec, s[4:5]
	s_waitcnt lgkmcnt(0)
	; wave barrier
	buffer_load_dword v157, off, s[0:3], 0 offset:156
	buffer_load_dword v158, off, s[0:3], 0 offset:164
	;; [unrolled: 1-line block ×60, first 2 shown]
	v_mov_b32_e32 v98, 0
	ds_read2_b64 v[99:102], v98 offset0:67 offset1:68
	ds_read2_b64 v[103:106], v98 offset0:69 offset1:70
	;; [unrolled: 1-line block ×5, first 2 shown]
	v_cmp_lt_u32_e32 vcc, 17, v0
	s_waitcnt vmcnt(59) lgkmcnt(4)
	v_mul_f32_e32 v119, v99, v157
	s_waitcnt vmcnt(58)
	v_mul_f32_e32 v120, v101, v158
	s_waitcnt vmcnt(57) lgkmcnt(3)
	v_mul_f32_e32 v121, v103, v159
	s_waitcnt vmcnt(56)
	v_mul_f32_e32 v122, v105, v160
	s_waitcnt vmcnt(55) lgkmcnt(2)
	v_mul_f32_e32 v123, v107, v161
	s_waitcnt vmcnt(54)
	v_mul_f32_e32 v124, v109, v162
	s_waitcnt vmcnt(53) lgkmcnt(1)
	v_mul_f32_e32 v125, v111, v163
	s_waitcnt vmcnt(52)
	v_fmac_f32_e32 v119, v100, v164
	s_waitcnt vmcnt(51)
	v_fmac_f32_e32 v120, v102, v165
	v_add_f32_e32 v119, 0, v119
	s_waitcnt vmcnt(50)
	v_fmac_f32_e32 v121, v104, v166
	v_add_f32_e32 v119, v119, v120
	s_waitcnt vmcnt(49)
	v_fmac_f32_e32 v122, v106, v167
	v_add_f32_e32 v119, v119, v121
	s_waitcnt vmcnt(48)
	v_fmac_f32_e32 v123, v108, v168
	v_add_f32_e32 v119, v119, v122
	s_waitcnt vmcnt(47)
	v_fmac_f32_e32 v124, v110, v169
	v_add_f32_e32 v119, v119, v123
	s_waitcnt vmcnt(46)
	v_fmac_f32_e32 v125, v112, v170
	v_add_f32_e32 v119, v119, v124
	s_waitcnt vmcnt(45)
	v_mul_f32_e32 v120, v113, v171
	v_add_f32_e32 v119, v119, v125
	s_waitcnt vmcnt(44)
	v_fmac_f32_e32 v120, v114, v172
	v_mul_f32_e32 v100, v100, v157
	v_add_f32_e32 v123, v119, v120
	ds_read2_b64 v[119:122], v98 offset0:77 offset1:78
	v_fma_f32 v99, v99, v164, -v100
	v_mul_f32_e32 v100, v102, v158
	s_waitcnt vmcnt(43) lgkmcnt(1)
	v_mul_f32_e32 v124, v115, v173
	v_add_f32_e32 v99, 0, v99
	v_fma_f32 v100, v101, v165, -v100
	s_waitcnt vmcnt(42)
	v_fmac_f32_e32 v124, v116, v174
	v_add_f32_e32 v99, v99, v100
	v_mul_f32_e32 v100, v104, v159
	v_add_f32_e32 v123, v123, v124
	s_waitcnt vmcnt(41)
	v_mul_f32_e32 v124, v117, v175
	v_fma_f32 v100, v103, v166, -v100
	s_waitcnt vmcnt(40)
	v_fmac_f32_e32 v124, v118, v176
	v_add_f32_e32 v99, v99, v100
	v_mul_f32_e32 v100, v106, v160
	v_add_f32_e32 v123, v123, v124
	s_waitcnt vmcnt(39) lgkmcnt(0)
	v_mul_f32_e32 v124, v119, v177
	v_fma_f32 v100, v105, v167, -v100
	s_waitcnt vmcnt(38)
	v_fmac_f32_e32 v124, v120, v178
	v_add_f32_e32 v99, v99, v100
	v_mul_f32_e32 v100, v108, v161
	v_add_f32_e32 v127, v123, v124
	ds_read2_b64 v[123:126], v98 offset0:79 offset1:80
	v_fma_f32 v100, v107, v168, -v100
	v_add_f32_e32 v99, v99, v100
	v_mul_f32_e32 v100, v110, v162
	s_waitcnt vmcnt(37)
	v_mul_f32_e32 v128, v121, v179
	v_fma_f32 v100, v109, v169, -v100
	s_waitcnt vmcnt(36)
	v_fmac_f32_e32 v128, v122, v180
	v_add_f32_e32 v99, v99, v100
	v_mul_f32_e32 v100, v112, v163
	v_add_f32_e32 v131, v127, v128
	ds_read2_b64 v[127:130], v98 offset0:81 offset1:82
	v_fma_f32 v100, v111, v170, -v100
	s_waitcnt vmcnt(34) lgkmcnt(1)
	v_mul_f32_e32 v132, v123, v182
	v_add_f32_e32 v99, v99, v100
	v_mul_f32_e32 v100, v114, v171
	v_fmac_f32_e32 v132, v124, v181
	v_fma_f32 v100, v113, v172, -v100
	v_add_f32_e32 v131, v131, v132
	s_waitcnt vmcnt(31)
	v_mul_f32_e32 v132, v125, v185
	v_add_f32_e32 v99, v99, v100
	v_mul_f32_e32 v100, v116, v173
	s_waitcnt vmcnt(30)
	v_fmac_f32_e32 v132, v126, v186
	v_fma_f32 v100, v115, v174, -v100
	v_add_f32_e32 v131, v131, v132
	s_waitcnt vmcnt(28) lgkmcnt(0)
	v_mul_f32_e32 v132, v127, v188
	v_add_f32_e32 v99, v99, v100
	v_mul_f32_e32 v100, v118, v175
	v_fmac_f32_e32 v132, v128, v187
	v_fma_f32 v100, v117, v176, -v100
	v_add_f32_e32 v135, v131, v132
	ds_read2_b64 v[131:134], v98 offset0:83 offset1:84
	v_add_f32_e32 v99, v99, v100
	v_mul_f32_e32 v100, v120, v177
	v_fma_f32 v100, v119, v178, -v100
	s_waitcnt vmcnt(26)
	v_mul_f32_e32 v136, v129, v190
	v_add_f32_e32 v99, v99, v100
	v_mul_f32_e32 v100, v122, v179
	v_fmac_f32_e32 v136, v130, v189
	v_fma_f32 v100, v121, v180, -v100
	v_add_f32_e32 v139, v135, v136
	ds_read2_b64 v[135:138], v98 offset0:85 offset1:86
	v_add_f32_e32 v99, v99, v100
	v_mul_f32_e32 v100, v124, v182
	s_waitcnt vmcnt(24) lgkmcnt(1)
	v_mul_f32_e32 v140, v131, v192
	v_fma_f32 v100, v123, v181, -v100
	v_fmac_f32_e32 v140, v132, v191
	v_add_f32_e32 v99, v99, v100
	v_mul_f32_e32 v100, v126, v185
	v_add_f32_e32 v139, v139, v140
	s_waitcnt vmcnt(22)
	v_mul_f32_e32 v140, v133, v194
	v_fma_f32 v100, v125, v186, -v100
	v_fmac_f32_e32 v140, v134, v193
	v_add_f32_e32 v99, v99, v100
	v_mul_f32_e32 v100, v128, v188
	v_add_f32_e32 v139, v139, v140
	s_waitcnt vmcnt(20) lgkmcnt(0)
	v_mul_f32_e32 v140, v135, v196
	v_fma_f32 v100, v127, v187, -v100
	v_fmac_f32_e32 v140, v136, v195
	v_add_f32_e32 v99, v99, v100
	v_mul_f32_e32 v100, v130, v190
	v_add_f32_e32 v143, v139, v140
	ds_read2_b64 v[139:142], v98 offset0:87 offset1:88
	v_fma_f32 v100, v129, v189, -v100
	v_add_f32_e32 v99, v99, v100
	v_mul_f32_e32 v100, v132, v192
	s_waitcnt vmcnt(18)
	v_mul_f32_e32 v144, v137, v198
	v_fma_f32 v100, v131, v191, -v100
	v_fmac_f32_e32 v144, v138, v197
	v_add_f32_e32 v99, v99, v100
	v_mul_f32_e32 v100, v134, v194
	v_add_f32_e32 v147, v143, v144
	ds_read2_b64 v[143:146], v98 offset0:89 offset1:90
	v_fma_f32 v100, v133, v193, -v100
	s_waitcnt vmcnt(16) lgkmcnt(1)
	v_mul_f32_e32 v148, v139, v200
	v_add_f32_e32 v99, v99, v100
	v_mul_f32_e32 v100, v136, v196
	v_fmac_f32_e32 v148, v140, v199
	v_fma_f32 v100, v135, v195, -v100
	v_add_f32_e32 v147, v147, v148
	s_waitcnt vmcnt(14)
	v_mul_f32_e32 v148, v141, v202
	v_add_f32_e32 v99, v99, v100
	v_mul_f32_e32 v100, v138, v198
	v_fmac_f32_e32 v148, v142, v201
	v_fma_f32 v100, v137, v197, -v100
	v_add_f32_e32 v147, v147, v148
	s_waitcnt vmcnt(12) lgkmcnt(0)
	v_mul_f32_e32 v148, v143, v204
	v_add_f32_e32 v99, v99, v100
	v_mul_f32_e32 v100, v140, v200
	v_fmac_f32_e32 v148, v144, v203
	v_fma_f32 v100, v139, v199, -v100
	v_add_f32_e32 v151, v147, v148
	ds_read2_b64 v[147:150], v98 offset0:91 offset1:92
	v_add_f32_e32 v99, v99, v100
	v_mul_f32_e32 v100, v142, v202
	v_fma_f32 v100, v141, v201, -v100
	v_add_f32_e32 v99, v99, v100
	v_mul_f32_e32 v100, v144, v204
	s_waitcnt vmcnt(10)
	v_mul_f32_e32 v152, v145, v206
	v_fma_f32 v100, v143, v203, -v100
	v_fmac_f32_e32 v152, v146, v205
	v_add_f32_e32 v99, v99, v100
	v_mul_f32_e32 v100, v146, v206
	v_add_f32_e32 v155, v151, v152
	ds_read2_b64 v[151:154], v98 offset0:93 offset1:94
	s_waitcnt vmcnt(8) lgkmcnt(1)
	v_mul_f32_e32 v156, v147, v208
	v_fma_f32 v100, v145, v205, -v100
	v_fmac_f32_e32 v156, v148, v207
	v_add_f32_e32 v99, v99, v100
	v_mul_f32_e32 v100, v148, v208
	v_add_f32_e32 v155, v155, v156
	s_waitcnt vmcnt(6)
	v_mul_f32_e32 v156, v149, v210
	v_fma_f32 v100, v147, v207, -v100
	v_fmac_f32_e32 v156, v150, v209
	v_add_f32_e32 v99, v99, v100
	v_mul_f32_e32 v100, v150, v210
	v_add_f32_e32 v217, v155, v156
	ds_read_b64 v[155:156], v98 offset:760
	v_fma_f32 v100, v149, v209, -v100
	v_add_f32_e32 v99, v99, v100
	s_waitcnt vmcnt(4) lgkmcnt(1)
	v_mul_f32_e32 v100, v152, v212
	v_mul_f32_e32 v218, v151, v212
	v_fma_f32 v100, v151, v211, -v100
	v_fmac_f32_e32 v218, v152, v211
	v_add_f32_e32 v99, v99, v100
	s_waitcnt vmcnt(2)
	v_mul_f32_e32 v100, v154, v214
	v_add_f32_e32 v217, v217, v218
	v_mul_f32_e32 v218, v153, v214
	v_fma_f32 v100, v153, v213, -v100
	v_fmac_f32_e32 v218, v154, v213
	v_add_f32_e32 v99, v99, v100
	s_waitcnt vmcnt(0) lgkmcnt(0)
	v_mul_f32_e32 v100, v156, v216
	v_add_f32_e32 v217, v217, v218
	v_mul_f32_e32 v218, v155, v216
	v_fma_f32 v100, v155, v215, -v100
	v_fmac_f32_e32 v218, v156, v215
	v_add_f32_e32 v99, v99, v100
	v_add_f32_e32 v217, v217, v218
	v_sub_f32_e32 v99, v183, v99
	v_sub_f32_e32 v100, v184, v217
	buffer_store_dword v99, off, s[0:3], 0 offset:144
	buffer_store_dword v100, off, s[0:3], 0 offset:148
	s_and_saveexec_b64 s[4:5], vcc
	s_cbranch_execz .LBB47_267
; %bb.266:
	buffer_load_dword v99, off, s[0:3], 0 offset:136
	buffer_load_dword v100, off, s[0:3], 0 offset:140
	s_waitcnt vmcnt(0)
	ds_write_b64 v97, v[99:100]
	buffer_store_dword v98, off, s[0:3], 0 offset:136
	buffer_store_dword v98, off, s[0:3], 0 offset:140
.LBB47_267:
	s_or_b64 exec, exec, s[4:5]
	s_waitcnt lgkmcnt(0)
	; wave barrier
	buffer_load_dword v159, off, s[0:3], 0 offset:148
	buffer_load_dword v160, off, s[0:3], 0 offset:156
	;; [unrolled: 1-line block ×32, first 2 shown]
	ds_read_b128 v[99:102], v98 offset:528
	ds_read_b128 v[103:106], v98 offset:544
	;; [unrolled: 1-line block ×4, first 2 shown]
	buffer_load_dword v191, off, s[0:3], 0 offset:268
	buffer_load_dword v192, off, s[0:3], 0 offset:264
	buffer_load_dword v193, off, s[0:3], 0 offset:272
	buffer_load_dword v194, off, s[0:3], 0 offset:276
	buffer_load_dword v195, off, s[0:3], 0 offset:280
	buffer_load_dword v196, off, s[0:3], 0 offset:284
	buffer_load_dword v197, off, s[0:3], 0 offset:288
	buffer_load_dword v198, off, s[0:3], 0 offset:292
	buffer_load_dword v199, off, s[0:3], 0 offset:296
	buffer_load_dword v200, off, s[0:3], 0 offset:300
	buffer_load_dword v201, off, s[0:3], 0 offset:304
	buffer_load_dword v202, off, s[0:3], 0 offset:308
	buffer_load_dword v203, off, s[0:3], 0 offset:312
	buffer_load_dword v204, off, s[0:3], 0 offset:316
	buffer_load_dword v205, off, s[0:3], 0 offset:320
	buffer_load_dword v206, off, s[0:3], 0 offset:324
	buffer_load_dword v207, off, s[0:3], 0 offset:328
	buffer_load_dword v208, off, s[0:3], 0 offset:332
	buffer_load_dword v209, off, s[0:3], 0 offset:336
	buffer_load_dword v210, off, s[0:3], 0 offset:340
	buffer_load_dword v211, off, s[0:3], 0 offset:344
	buffer_load_dword v212, off, s[0:3], 0 offset:348
	buffer_load_dword v213, off, s[0:3], 0 offset:352
	buffer_load_dword v214, off, s[0:3], 0 offset:356
	buffer_load_dword v215, off, s[0:3], 0 offset:360
	buffer_load_dword v216, off, s[0:3], 0 offset:364
	buffer_load_dword v217, off, s[0:3], 0 offset:368
	buffer_load_dword v218, off, s[0:3], 0 offset:372
	buffer_load_dword v219, off, s[0:3], 0 offset:376
	buffer_load_dword v220, off, s[0:3], 0 offset:380
	v_cmp_lt_u32_e32 vcc, 16, v0
	s_waitcnt vmcnt(61) lgkmcnt(3)
	v_mul_f32_e32 v115, v99, v159
	s_waitcnt vmcnt(60)
	v_mul_f32_e32 v116, v101, v160
	s_waitcnt vmcnt(59) lgkmcnt(2)
	v_mul_f32_e32 v117, v103, v161
	s_waitcnt vmcnt(58)
	v_mul_f32_e32 v118, v105, v162
	;; [unrolled: 4-line block ×3, first 2 shown]
	s_waitcnt vmcnt(55) lgkmcnt(0)
	v_mul_f32_e32 v121, v111, v165
	s_waitcnt vmcnt(54)
	v_fmac_f32_e32 v115, v100, v166
	s_waitcnt vmcnt(53)
	v_fmac_f32_e32 v116, v102, v167
	v_add_f32_e32 v115, 0, v115
	s_waitcnt vmcnt(52)
	v_fmac_f32_e32 v117, v104, v168
	v_add_f32_e32 v115, v115, v116
	s_waitcnt vmcnt(51)
	v_fmac_f32_e32 v118, v106, v169
	v_add_f32_e32 v115, v115, v117
	s_waitcnt vmcnt(50)
	v_fmac_f32_e32 v119, v108, v170
	v_add_f32_e32 v115, v115, v118
	s_waitcnt vmcnt(49)
	v_fmac_f32_e32 v120, v110, v171
	v_add_f32_e32 v115, v115, v119
	s_waitcnt vmcnt(48)
	v_fmac_f32_e32 v121, v112, v172
	v_add_f32_e32 v115, v115, v120
	v_add_f32_e32 v119, v115, v121
	ds_read_b128 v[115:118], v98 offset:592
	s_waitcnt vmcnt(47)
	v_mul_f32_e32 v120, v113, v173
	s_waitcnt vmcnt(46)
	v_fmac_f32_e32 v120, v114, v174
	v_mul_f32_e32 v100, v100, v159
	v_add_f32_e32 v123, v119, v120
	ds_read_b128 v[119:122], v98 offset:608
	v_fma_f32 v99, v99, v166, -v100
	v_mul_f32_e32 v100, v102, v160
	s_waitcnt vmcnt(45) lgkmcnt(1)
	v_mul_f32_e32 v124, v115, v175
	v_add_f32_e32 v99, 0, v99
	v_fma_f32 v100, v101, v167, -v100
	s_waitcnt vmcnt(44)
	v_fmac_f32_e32 v124, v116, v176
	v_add_f32_e32 v99, v99, v100
	v_mul_f32_e32 v100, v104, v161
	v_add_f32_e32 v123, v123, v124
	s_waitcnt vmcnt(43)
	v_mul_f32_e32 v124, v117, v177
	v_fma_f32 v100, v103, v168, -v100
	s_waitcnt vmcnt(42)
	v_fmac_f32_e32 v124, v118, v178
	v_add_f32_e32 v99, v99, v100
	v_mul_f32_e32 v100, v106, v162
	v_add_f32_e32 v123, v123, v124
	s_waitcnt vmcnt(41) lgkmcnt(0)
	v_mul_f32_e32 v124, v119, v179
	v_fma_f32 v100, v105, v169, -v100
	s_waitcnt vmcnt(40)
	v_fmac_f32_e32 v124, v120, v180
	v_add_f32_e32 v99, v99, v100
	v_mul_f32_e32 v100, v108, v163
	v_add_f32_e32 v127, v123, v124
	ds_read_b128 v[123:126], v98 offset:624
	v_fma_f32 v100, v107, v170, -v100
	v_add_f32_e32 v99, v99, v100
	v_mul_f32_e32 v100, v110, v164
	s_waitcnt vmcnt(39)
	v_mul_f32_e32 v128, v121, v181
	v_fma_f32 v100, v109, v171, -v100
	s_waitcnt vmcnt(38)
	v_fmac_f32_e32 v128, v122, v182
	v_add_f32_e32 v99, v99, v100
	v_mul_f32_e32 v100, v112, v165
	v_add_f32_e32 v131, v127, v128
	ds_read_b128 v[127:130], v98 offset:640
	v_fma_f32 v100, v111, v172, -v100
	s_waitcnt vmcnt(35) lgkmcnt(1)
	v_mul_f32_e32 v132, v123, v185
	v_add_f32_e32 v99, v99, v100
	v_mul_f32_e32 v100, v114, v173
	s_waitcnt vmcnt(34)
	v_fmac_f32_e32 v132, v124, v186
	v_fma_f32 v100, v113, v174, -v100
	v_add_f32_e32 v131, v131, v132
	s_waitcnt vmcnt(32)
	v_mul_f32_e32 v132, v125, v188
	v_add_f32_e32 v99, v99, v100
	v_mul_f32_e32 v100, v116, v175
	v_fmac_f32_e32 v132, v126, v187
	v_fma_f32 v100, v115, v176, -v100
	v_add_f32_e32 v131, v131, v132
	s_waitcnt vmcnt(30) lgkmcnt(0)
	v_mul_f32_e32 v132, v127, v190
	v_add_f32_e32 v99, v99, v100
	v_mul_f32_e32 v100, v118, v177
	v_fmac_f32_e32 v132, v128, v189
	v_fma_f32 v100, v117, v178, -v100
	v_add_f32_e32 v135, v131, v132
	ds_read_b128 v[131:134], v98 offset:656
	v_add_f32_e32 v99, v99, v100
	v_mul_f32_e32 v100, v120, v179
	v_fma_f32 v100, v119, v180, -v100
	s_waitcnt vmcnt(29)
	v_mul_f32_e32 v136, v129, v191
	v_add_f32_e32 v99, v99, v100
	v_mul_f32_e32 v100, v122, v181
	s_waitcnt vmcnt(28)
	v_fmac_f32_e32 v136, v130, v192
	v_fma_f32 v100, v121, v182, -v100
	v_add_f32_e32 v139, v135, v136
	ds_read_b128 v[135:138], v98 offset:672
	v_add_f32_e32 v99, v99, v100
	v_mul_f32_e32 v100, v124, v185
	s_waitcnt vmcnt(26) lgkmcnt(1)
	v_mul_f32_e32 v140, v131, v194
	v_fma_f32 v100, v123, v186, -v100
	v_fmac_f32_e32 v140, v132, v193
	v_add_f32_e32 v99, v99, v100
	v_mul_f32_e32 v100, v126, v188
	v_add_f32_e32 v139, v139, v140
	s_waitcnt vmcnt(24)
	v_mul_f32_e32 v140, v133, v196
	v_fma_f32 v100, v125, v187, -v100
	v_fmac_f32_e32 v140, v134, v195
	v_add_f32_e32 v99, v99, v100
	v_mul_f32_e32 v100, v128, v190
	v_add_f32_e32 v139, v139, v140
	s_waitcnt vmcnt(22) lgkmcnt(0)
	v_mul_f32_e32 v140, v135, v198
	v_fma_f32 v100, v127, v189, -v100
	v_fmac_f32_e32 v140, v136, v197
	v_add_f32_e32 v99, v99, v100
	v_mul_f32_e32 v100, v130, v191
	v_add_f32_e32 v143, v139, v140
	ds_read_b128 v[139:142], v98 offset:688
	v_fma_f32 v100, v129, v192, -v100
	v_add_f32_e32 v99, v99, v100
	v_mul_f32_e32 v100, v132, v194
	s_waitcnt vmcnt(20)
	v_mul_f32_e32 v144, v137, v200
	v_fma_f32 v100, v131, v193, -v100
	v_fmac_f32_e32 v144, v138, v199
	v_add_f32_e32 v99, v99, v100
	v_mul_f32_e32 v100, v134, v196
	v_add_f32_e32 v147, v143, v144
	ds_read_b128 v[143:146], v98 offset:704
	v_fma_f32 v100, v133, v195, -v100
	s_waitcnt vmcnt(18) lgkmcnt(1)
	v_mul_f32_e32 v148, v139, v202
	v_add_f32_e32 v99, v99, v100
	v_mul_f32_e32 v100, v136, v198
	v_fmac_f32_e32 v148, v140, v201
	v_fma_f32 v100, v135, v197, -v100
	v_add_f32_e32 v147, v147, v148
	s_waitcnt vmcnt(16)
	v_mul_f32_e32 v148, v141, v204
	v_add_f32_e32 v99, v99, v100
	v_mul_f32_e32 v100, v138, v200
	v_fmac_f32_e32 v148, v142, v203
	v_fma_f32 v100, v137, v199, -v100
	v_add_f32_e32 v147, v147, v148
	s_waitcnt vmcnt(14) lgkmcnt(0)
	v_mul_f32_e32 v148, v143, v206
	v_add_f32_e32 v99, v99, v100
	v_mul_f32_e32 v100, v140, v202
	v_fmac_f32_e32 v148, v144, v205
	v_fma_f32 v100, v139, v201, -v100
	v_add_f32_e32 v151, v147, v148
	ds_read_b128 v[147:150], v98 offset:720
	v_add_f32_e32 v99, v99, v100
	v_mul_f32_e32 v100, v142, v204
	v_fma_f32 v100, v141, v203, -v100
	v_add_f32_e32 v99, v99, v100
	v_mul_f32_e32 v100, v144, v206
	s_waitcnt vmcnt(12)
	v_mul_f32_e32 v152, v145, v208
	v_fma_f32 v100, v143, v205, -v100
	v_fmac_f32_e32 v152, v146, v207
	v_add_f32_e32 v99, v99, v100
	v_mul_f32_e32 v100, v146, v208
	v_add_f32_e32 v155, v151, v152
	ds_read_b128 v[151:154], v98 offset:736
	s_waitcnt vmcnt(10) lgkmcnt(1)
	v_mul_f32_e32 v156, v147, v210
	v_fma_f32 v100, v145, v207, -v100
	v_fmac_f32_e32 v156, v148, v209
	v_add_f32_e32 v99, v99, v100
	v_mul_f32_e32 v100, v148, v210
	v_add_f32_e32 v155, v155, v156
	s_waitcnt vmcnt(8)
	v_mul_f32_e32 v156, v149, v212
	v_fma_f32 v100, v147, v209, -v100
	v_fmac_f32_e32 v156, v150, v211
	v_add_f32_e32 v99, v99, v100
	v_mul_f32_e32 v100, v150, v212
	v_add_f32_e32 v221, v155, v156
	ds_read_b128 v[155:158], v98 offset:752
	v_fma_f32 v100, v149, v211, -v100
	v_add_f32_e32 v99, v99, v100
	s_waitcnt vmcnt(6) lgkmcnt(1)
	v_mul_f32_e32 v100, v152, v214
	v_mul_f32_e32 v222, v151, v214
	v_fma_f32 v100, v151, v213, -v100
	v_fmac_f32_e32 v222, v152, v213
	v_add_f32_e32 v99, v99, v100
	s_waitcnt vmcnt(4)
	v_mul_f32_e32 v100, v154, v216
	v_add_f32_e32 v98, v221, v222
	v_mul_f32_e32 v221, v153, v216
	v_fma_f32 v100, v153, v215, -v100
	v_fmac_f32_e32 v221, v154, v215
	v_add_f32_e32 v99, v99, v100
	s_waitcnt vmcnt(2) lgkmcnt(0)
	v_mul_f32_e32 v100, v156, v218
	v_add_f32_e32 v98, v98, v221
	v_mul_f32_e32 v221, v155, v218
	v_fma_f32 v100, v155, v217, -v100
	v_fmac_f32_e32 v221, v156, v217
	v_add_f32_e32 v99, v99, v100
	s_waitcnt vmcnt(0)
	v_mul_f32_e32 v100, v158, v220
	v_add_f32_e32 v98, v98, v221
	v_mul_f32_e32 v221, v157, v220
	v_fma_f32 v100, v157, v219, -v100
	v_fmac_f32_e32 v221, v158, v219
	v_add_f32_e32 v99, v99, v100
	v_add_f32_e32 v98, v98, v221
	v_sub_f32_e32 v99, v183, v99
	v_sub_f32_e32 v98, v184, v98
	buffer_store_dword v99, off, s[0:3], 0 offset:136
	buffer_store_dword v98, off, s[0:3], 0 offset:140
	s_and_saveexec_b64 s[4:5], vcc
	s_cbranch_execz .LBB47_269
; %bb.268:
	buffer_load_dword v98, off, s[0:3], 0 offset:128
	buffer_load_dword v99, off, s[0:3], 0 offset:132
	v_mov_b32_e32 v100, 0
	buffer_store_dword v100, off, s[0:3], 0 offset:128
	buffer_store_dword v100, off, s[0:3], 0 offset:132
	s_waitcnt vmcnt(2)
	ds_write_b64 v97, v[98:99]
.LBB47_269:
	s_or_b64 exec, exec, s[4:5]
	s_waitcnt lgkmcnt(0)
	; wave barrier
	buffer_load_dword v161, off, s[0:3], 0 offset:140
	buffer_load_dword v162, off, s[0:3], 0 offset:148
	;; [unrolled: 1-line block ×56, first 2 shown]
	v_mov_b32_e32 v98, 0
	ds_read2_b64 v[99:102], v98 offset0:65 offset1:66
	buffer_load_dword v217, off, s[0:3], 0 offset:352
	buffer_load_dword v218, off, s[0:3], 0 offset:356
	;; [unrolled: 1-line block ×4, first 2 shown]
	ds_read2_b64 v[103:106], v98 offset0:67 offset1:68
	ds_read2_b64 v[107:110], v98 offset0:69 offset1:70
	;; [unrolled: 1-line block ×3, first 2 shown]
	v_cmp_lt_u32_e32 vcc, 15, v0
	s_waitcnt vmcnt(59) lgkmcnt(3)
	v_mul_f32_e32 v115, v99, v161
	s_waitcnt vmcnt(58)
	v_mul_f32_e32 v116, v101, v162
	s_waitcnt vmcnt(57) lgkmcnt(2)
	v_mul_f32_e32 v117, v103, v163
	s_waitcnt vmcnt(56)
	v_mul_f32_e32 v118, v105, v164
	;; [unrolled: 4-line block ×4, first 2 shown]
	s_waitcnt vmcnt(51)
	v_fmac_f32_e32 v115, v100, v169
	s_waitcnt vmcnt(50)
	v_fmac_f32_e32 v116, v102, v170
	v_add_f32_e32 v115, 0, v115
	s_waitcnt vmcnt(49)
	v_fmac_f32_e32 v117, v104, v171
	v_add_f32_e32 v115, v115, v116
	;; [unrolled: 3-line block ×6, first 2 shown]
	v_add_f32_e32 v119, v115, v121
	ds_read2_b64 v[115:118], v98 offset0:73 offset1:74
	buffer_load_dword v221, off, s[0:3], 0 offset:372
	buffer_load_dword v222, off, s[0:3], 0 offset:368
	;; [unrolled: 1-line block ×4, first 2 shown]
	s_waitcnt vmcnt(48)
	v_fmac_f32_e32 v122, v114, v176
	v_add_f32_e32 v123, v119, v122
	ds_read2_b64 v[119:122], v98 offset0:75 offset1:76
	s_waitcnt vmcnt(47) lgkmcnt(1)
	v_mul_f32_e32 v124, v115, v177
	v_mul_f32_e32 v100, v100, v161
	s_waitcnt vmcnt(46)
	v_fmac_f32_e32 v124, v116, v178
	v_fma_f32 v99, v99, v169, -v100
	v_mul_f32_e32 v100, v102, v162
	v_add_f32_e32 v123, v123, v124
	s_waitcnt vmcnt(45)
	v_mul_f32_e32 v124, v117, v179
	v_add_f32_e32 v99, 0, v99
	v_fma_f32 v100, v101, v170, -v100
	s_waitcnt vmcnt(44)
	v_fmac_f32_e32 v124, v118, v180
	v_add_f32_e32 v99, v99, v100
	v_mul_f32_e32 v100, v104, v163
	v_add_f32_e32 v123, v123, v124
	s_waitcnt vmcnt(42) lgkmcnt(0)
	v_mul_f32_e32 v124, v119, v182
	v_fma_f32 v100, v103, v171, -v100
	v_fmac_f32_e32 v124, v120, v181
	v_add_f32_e32 v99, v99, v100
	v_mul_f32_e32 v100, v106, v164
	v_add_f32_e32 v127, v123, v124
	ds_read2_b64 v[123:126], v98 offset0:77 offset1:78
	v_fma_f32 v100, v105, v172, -v100
	v_add_f32_e32 v99, v99, v100
	v_mul_f32_e32 v100, v108, v165
	s_waitcnt vmcnt(39)
	v_mul_f32_e32 v128, v121, v185
	v_fma_f32 v100, v107, v173, -v100
	s_waitcnt vmcnt(38)
	v_fmac_f32_e32 v128, v122, v186
	v_add_f32_e32 v99, v99, v100
	v_mul_f32_e32 v100, v110, v166
	v_add_f32_e32 v131, v127, v128
	ds_read2_b64 v[127:130], v98 offset0:79 offset1:80
	v_fma_f32 v100, v109, v174, -v100
	s_waitcnt vmcnt(36) lgkmcnt(1)
	v_mul_f32_e32 v132, v123, v188
	v_add_f32_e32 v99, v99, v100
	v_mul_f32_e32 v100, v112, v167
	v_fmac_f32_e32 v132, v124, v187
	v_fma_f32 v100, v111, v175, -v100
	v_add_f32_e32 v131, v131, v132
	s_waitcnt vmcnt(34)
	v_mul_f32_e32 v132, v125, v190
	v_add_f32_e32 v99, v99, v100
	v_mul_f32_e32 v100, v114, v168
	v_fmac_f32_e32 v132, v126, v189
	v_fma_f32 v100, v113, v176, -v100
	v_add_f32_e32 v131, v131, v132
	s_waitcnt vmcnt(32) lgkmcnt(0)
	v_mul_f32_e32 v132, v127, v192
	v_add_f32_e32 v99, v99, v100
	v_mul_f32_e32 v100, v116, v177
	v_fmac_f32_e32 v132, v128, v191
	v_fma_f32 v100, v115, v178, -v100
	v_add_f32_e32 v135, v131, v132
	ds_read2_b64 v[131:134], v98 offset0:81 offset1:82
	v_add_f32_e32 v99, v99, v100
	v_mul_f32_e32 v100, v118, v179
	v_fma_f32 v100, v117, v180, -v100
	s_waitcnt vmcnt(30)
	v_mul_f32_e32 v136, v129, v194
	v_add_f32_e32 v99, v99, v100
	v_mul_f32_e32 v100, v120, v182
	v_fmac_f32_e32 v136, v130, v193
	v_fma_f32 v100, v119, v181, -v100
	v_add_f32_e32 v139, v135, v136
	ds_read2_b64 v[135:138], v98 offset0:83 offset1:84
	v_add_f32_e32 v99, v99, v100
	v_mul_f32_e32 v100, v122, v185
	s_waitcnt vmcnt(28) lgkmcnt(1)
	v_mul_f32_e32 v140, v131, v196
	v_fma_f32 v100, v121, v186, -v100
	v_fmac_f32_e32 v140, v132, v195
	v_add_f32_e32 v99, v99, v100
	v_mul_f32_e32 v100, v124, v188
	v_add_f32_e32 v139, v139, v140
	s_waitcnt vmcnt(26)
	v_mul_f32_e32 v140, v133, v198
	v_fma_f32 v100, v123, v187, -v100
	v_fmac_f32_e32 v140, v134, v197
	v_add_f32_e32 v99, v99, v100
	v_mul_f32_e32 v100, v126, v190
	v_add_f32_e32 v139, v139, v140
	s_waitcnt vmcnt(24) lgkmcnt(0)
	v_mul_f32_e32 v140, v135, v200
	v_fma_f32 v100, v125, v189, -v100
	v_fmac_f32_e32 v140, v136, v199
	v_add_f32_e32 v99, v99, v100
	v_mul_f32_e32 v100, v128, v192
	v_add_f32_e32 v143, v139, v140
	ds_read2_b64 v[139:142], v98 offset0:85 offset1:86
	v_fma_f32 v100, v127, v191, -v100
	v_add_f32_e32 v99, v99, v100
	v_mul_f32_e32 v100, v130, v194
	s_waitcnt vmcnt(22)
	v_mul_f32_e32 v144, v137, v202
	v_fma_f32 v100, v129, v193, -v100
	v_fmac_f32_e32 v144, v138, v201
	v_add_f32_e32 v99, v99, v100
	v_mul_f32_e32 v100, v132, v196
	v_add_f32_e32 v147, v143, v144
	ds_read2_b64 v[143:146], v98 offset0:87 offset1:88
	v_fma_f32 v100, v131, v195, -v100
	s_waitcnt vmcnt(20) lgkmcnt(1)
	v_mul_f32_e32 v148, v139, v204
	v_add_f32_e32 v99, v99, v100
	v_mul_f32_e32 v100, v134, v198
	v_fmac_f32_e32 v148, v140, v203
	v_fma_f32 v100, v133, v197, -v100
	v_add_f32_e32 v147, v147, v148
	s_waitcnt vmcnt(18)
	v_mul_f32_e32 v148, v141, v206
	v_add_f32_e32 v99, v99, v100
	v_mul_f32_e32 v100, v136, v200
	v_fmac_f32_e32 v148, v142, v205
	v_fma_f32 v100, v135, v199, -v100
	v_add_f32_e32 v147, v147, v148
	s_waitcnt vmcnt(16) lgkmcnt(0)
	v_mul_f32_e32 v148, v143, v208
	v_add_f32_e32 v99, v99, v100
	v_mul_f32_e32 v100, v138, v202
	v_fmac_f32_e32 v148, v144, v207
	v_fma_f32 v100, v137, v201, -v100
	v_add_f32_e32 v151, v147, v148
	ds_read2_b64 v[147:150], v98 offset0:89 offset1:90
	v_add_f32_e32 v99, v99, v100
	v_mul_f32_e32 v100, v140, v204
	v_fma_f32 v100, v139, v203, -v100
	s_waitcnt vmcnt(14)
	v_mul_f32_e32 v152, v145, v210
	v_add_f32_e32 v99, v99, v100
	v_mul_f32_e32 v100, v142, v206
	v_fmac_f32_e32 v152, v146, v209
	v_fma_f32 v100, v141, v205, -v100
	v_add_f32_e32 v155, v151, v152
	ds_read2_b64 v[151:154], v98 offset0:91 offset1:92
	v_add_f32_e32 v99, v99, v100
	v_mul_f32_e32 v100, v144, v208
	s_waitcnt vmcnt(12) lgkmcnt(1)
	v_mul_f32_e32 v156, v147, v212
	v_fma_f32 v100, v143, v207, -v100
	v_fmac_f32_e32 v156, v148, v211
	v_add_f32_e32 v99, v99, v100
	v_mul_f32_e32 v100, v146, v210
	v_add_f32_e32 v155, v155, v156
	s_waitcnt vmcnt(10)
	v_mul_f32_e32 v156, v149, v214
	v_fma_f32 v100, v145, v209, -v100
	v_fmac_f32_e32 v156, v150, v213
	v_add_f32_e32 v99, v99, v100
	v_mul_f32_e32 v100, v148, v212
	v_add_f32_e32 v155, v155, v156
	s_waitcnt vmcnt(8) lgkmcnt(0)
	v_mul_f32_e32 v156, v151, v216
	v_fma_f32 v100, v147, v211, -v100
	v_fmac_f32_e32 v156, v152, v215
	v_add_f32_e32 v99, v99, v100
	v_mul_f32_e32 v100, v150, v214
	v_add_f32_e32 v159, v155, v156
	ds_read2_b64 v[155:158], v98 offset0:93 offset1:94
	v_fma_f32 v100, v149, v213, -v100
	v_add_f32_e32 v99, v99, v100
	v_mul_f32_e32 v100, v152, v216
	s_waitcnt vmcnt(6)
	v_mul_f32_e32 v160, v153, v218
	v_fma_f32 v100, v151, v215, -v100
	v_fmac_f32_e32 v160, v154, v217
	v_add_f32_e32 v99, v99, v100
	v_mul_f32_e32 v100, v154, v218
	v_add_f32_e32 v225, v159, v160
	ds_read_b64 v[159:160], v98 offset:760
	v_fma_f32 v100, v153, v217, -v100
	v_add_f32_e32 v99, v99, v100
	s_waitcnt vmcnt(4) lgkmcnt(1)
	v_mul_f32_e32 v100, v156, v220
	v_mul_f32_e32 v226, v155, v220
	v_fma_f32 v100, v155, v219, -v100
	v_fmac_f32_e32 v226, v156, v219
	v_add_f32_e32 v99, v99, v100
	s_waitcnt vmcnt(3)
	v_mul_f32_e32 v100, v158, v221
	v_add_f32_e32 v225, v225, v226
	v_mul_f32_e32 v226, v157, v221
	s_waitcnt vmcnt(2)
	v_fma_f32 v100, v157, v222, -v100
	v_fmac_f32_e32 v226, v158, v222
	v_add_f32_e32 v99, v99, v100
	s_waitcnt vmcnt(0) lgkmcnt(0)
	v_mul_f32_e32 v100, v160, v224
	v_add_f32_e32 v225, v225, v226
	v_mul_f32_e32 v226, v159, v224
	v_fma_f32 v100, v159, v223, -v100
	v_fmac_f32_e32 v226, v160, v223
	v_add_f32_e32 v99, v99, v100
	v_add_f32_e32 v225, v225, v226
	v_sub_f32_e32 v99, v183, v99
	v_sub_f32_e32 v100, v184, v225
	buffer_store_dword v99, off, s[0:3], 0 offset:128
	buffer_store_dword v100, off, s[0:3], 0 offset:132
	s_and_saveexec_b64 s[4:5], vcc
	s_cbranch_execz .LBB47_271
; %bb.270:
	buffer_load_dword v99, off, s[0:3], 0 offset:120
	buffer_load_dword v100, off, s[0:3], 0 offset:124
	s_waitcnt vmcnt(0)
	ds_write_b64 v97, v[99:100]
	buffer_store_dword v98, off, s[0:3], 0 offset:120
	buffer_store_dword v98, off, s[0:3], 0 offset:124
.LBB47_271:
	s_or_b64 exec, exec, s[4:5]
	s_waitcnt lgkmcnt(0)
	; wave barrier
	buffer_load_dword v163, off, s[0:3], 0 offset:132
	buffer_load_dword v164, off, s[0:3], 0 offset:140
	;; [unrolled: 1-line block ×26, first 2 shown]
	ds_read_b128 v[99:102], v98 offset:512
	ds_read_b128 v[103:106], v98 offset:528
	;; [unrolled: 1-line block ×4, first 2 shown]
	buffer_load_dword v189, off, s[0:3], 0 offset:228
	buffer_load_dword v190, off, s[0:3], 0 offset:224
	;; [unrolled: 1-line block ×34, first 2 shown]
	v_cmp_lt_u32_e32 vcc, 14, v0
	s_waitcnt vmcnt(59) lgkmcnt(3)
	v_mul_f32_e32 v115, v99, v163
	s_waitcnt vmcnt(58)
	v_mul_f32_e32 v116, v101, v164
	s_waitcnt vmcnt(57) lgkmcnt(2)
	v_mul_f32_e32 v117, v103, v165
	s_waitcnt vmcnt(56)
	v_mul_f32_e32 v118, v105, v166
	;; [unrolled: 4-line block ×4, first 2 shown]
	s_waitcnt vmcnt(51)
	v_fmac_f32_e32 v115, v100, v171
	s_waitcnt vmcnt(50)
	v_fmac_f32_e32 v116, v102, v172
	v_add_f32_e32 v115, 0, v115
	s_waitcnt vmcnt(49)
	v_fmac_f32_e32 v117, v104, v173
	v_add_f32_e32 v115, v115, v116
	;; [unrolled: 3-line block ×7, first 2 shown]
	v_add_f32_e32 v123, v115, v122
	ds_read_b128 v[115:118], v98 offset:576
	buffer_load_dword v223, off, s[0:3], 0 offset:364
	buffer_load_dword v224, off, s[0:3], 0 offset:360
	;; [unrolled: 1-line block ×4, first 2 shown]
	ds_read_b128 v[119:122], v98 offset:592
	buffer_load_dword v227, off, s[0:3], 0 offset:376
	buffer_load_dword v228, off, s[0:3], 0 offset:380
	v_mul_f32_e32 v100, v100, v163
	s_waitcnt vmcnt(49) lgkmcnt(1)
	v_mul_f32_e32 v124, v115, v179
	s_waitcnt vmcnt(48)
	v_fmac_f32_e32 v124, v116, v180
	v_fma_f32 v99, v99, v171, -v100
	v_mul_f32_e32 v100, v102, v164
	v_add_f32_e32 v123, v123, v124
	s_waitcnt vmcnt(46)
	v_mul_f32_e32 v124, v117, v182
	v_add_f32_e32 v99, 0, v99
	v_fma_f32 v100, v101, v172, -v100
	v_fmac_f32_e32 v124, v118, v181
	v_add_f32_e32 v99, v99, v100
	v_mul_f32_e32 v100, v104, v165
	v_add_f32_e32 v123, v123, v124
	s_waitcnt vmcnt(43) lgkmcnt(0)
	v_mul_f32_e32 v124, v119, v185
	v_fma_f32 v100, v103, v173, -v100
	s_waitcnt vmcnt(42)
	v_fmac_f32_e32 v124, v120, v186
	v_add_f32_e32 v99, v99, v100
	v_mul_f32_e32 v100, v106, v166
	v_add_f32_e32 v127, v123, v124
	ds_read_b128 v[123:126], v98 offset:608
	v_fma_f32 v100, v105, v174, -v100
	v_add_f32_e32 v99, v99, v100
	v_mul_f32_e32 v100, v108, v167
	s_waitcnt vmcnt(40)
	v_mul_f32_e32 v128, v121, v188
	v_fma_f32 v100, v107, v175, -v100
	v_fmac_f32_e32 v128, v122, v187
	v_add_f32_e32 v99, v99, v100
	v_mul_f32_e32 v100, v110, v168
	v_add_f32_e32 v131, v127, v128
	ds_read_b128 v[127:130], v98 offset:624
	v_fma_f32 v100, v109, v176, -v100
	s_waitcnt vmcnt(39) lgkmcnt(1)
	v_mul_f32_e32 v132, v123, v189
	v_add_f32_e32 v99, v99, v100
	v_mul_f32_e32 v100, v112, v169
	s_waitcnt vmcnt(38)
	v_fmac_f32_e32 v132, v124, v190
	v_fma_f32 v100, v111, v177, -v100
	v_add_f32_e32 v131, v131, v132
	s_waitcnt vmcnt(36)
	v_mul_f32_e32 v132, v125, v192
	v_add_f32_e32 v99, v99, v100
	v_mul_f32_e32 v100, v114, v170
	v_fmac_f32_e32 v132, v126, v191
	v_fma_f32 v100, v113, v178, -v100
	v_add_f32_e32 v131, v131, v132
	s_waitcnt vmcnt(34) lgkmcnt(0)
	v_mul_f32_e32 v132, v127, v194
	v_add_f32_e32 v99, v99, v100
	v_mul_f32_e32 v100, v116, v179
	v_fmac_f32_e32 v132, v128, v193
	v_fma_f32 v100, v115, v180, -v100
	v_add_f32_e32 v135, v131, v132
	ds_read_b128 v[131:134], v98 offset:640
	v_add_f32_e32 v99, v99, v100
	v_mul_f32_e32 v100, v118, v182
	v_fma_f32 v100, v117, v181, -v100
	s_waitcnt vmcnt(32)
	v_mul_f32_e32 v136, v129, v196
	v_add_f32_e32 v99, v99, v100
	v_mul_f32_e32 v100, v120, v185
	v_fmac_f32_e32 v136, v130, v195
	v_fma_f32 v100, v119, v186, -v100
	v_add_f32_e32 v139, v135, v136
	ds_read_b128 v[135:138], v98 offset:656
	v_add_f32_e32 v99, v99, v100
	v_mul_f32_e32 v100, v122, v188
	s_waitcnt vmcnt(30) lgkmcnt(1)
	v_mul_f32_e32 v140, v131, v198
	v_fma_f32 v100, v121, v187, -v100
	v_fmac_f32_e32 v140, v132, v197
	v_add_f32_e32 v99, v99, v100
	v_mul_f32_e32 v100, v124, v189
	v_add_f32_e32 v139, v139, v140
	s_waitcnt vmcnt(28)
	v_mul_f32_e32 v140, v133, v200
	v_fma_f32 v100, v123, v190, -v100
	v_fmac_f32_e32 v140, v134, v199
	v_add_f32_e32 v99, v99, v100
	v_mul_f32_e32 v100, v126, v192
	v_add_f32_e32 v139, v139, v140
	s_waitcnt vmcnt(26) lgkmcnt(0)
	v_mul_f32_e32 v140, v135, v202
	v_fma_f32 v100, v125, v191, -v100
	v_fmac_f32_e32 v140, v136, v201
	v_add_f32_e32 v99, v99, v100
	v_mul_f32_e32 v100, v128, v194
	v_add_f32_e32 v143, v139, v140
	ds_read_b128 v[139:142], v98 offset:672
	v_fma_f32 v100, v127, v193, -v100
	v_add_f32_e32 v99, v99, v100
	v_mul_f32_e32 v100, v130, v196
	s_waitcnt vmcnt(24)
	v_mul_f32_e32 v144, v137, v204
	v_fma_f32 v100, v129, v195, -v100
	v_fmac_f32_e32 v144, v138, v203
	v_add_f32_e32 v99, v99, v100
	v_mul_f32_e32 v100, v132, v198
	v_add_f32_e32 v147, v143, v144
	ds_read_b128 v[143:146], v98 offset:688
	v_fma_f32 v100, v131, v197, -v100
	s_waitcnt vmcnt(22) lgkmcnt(1)
	v_mul_f32_e32 v148, v139, v206
	v_add_f32_e32 v99, v99, v100
	v_mul_f32_e32 v100, v134, v200
	v_fmac_f32_e32 v148, v140, v205
	v_fma_f32 v100, v133, v199, -v100
	v_add_f32_e32 v147, v147, v148
	s_waitcnt vmcnt(20)
	v_mul_f32_e32 v148, v141, v208
	v_add_f32_e32 v99, v99, v100
	v_mul_f32_e32 v100, v136, v202
	v_fmac_f32_e32 v148, v142, v207
	v_fma_f32 v100, v135, v201, -v100
	v_add_f32_e32 v147, v147, v148
	s_waitcnt vmcnt(18) lgkmcnt(0)
	v_mul_f32_e32 v148, v143, v210
	v_add_f32_e32 v99, v99, v100
	v_mul_f32_e32 v100, v138, v204
	v_fmac_f32_e32 v148, v144, v209
	v_fma_f32 v100, v137, v203, -v100
	v_add_f32_e32 v151, v147, v148
	ds_read_b128 v[147:150], v98 offset:704
	v_add_f32_e32 v99, v99, v100
	v_mul_f32_e32 v100, v140, v206
	v_fma_f32 v100, v139, v205, -v100
	s_waitcnt vmcnt(16)
	v_mul_f32_e32 v152, v145, v212
	v_add_f32_e32 v99, v99, v100
	v_mul_f32_e32 v100, v142, v208
	v_fmac_f32_e32 v152, v146, v211
	v_fma_f32 v100, v141, v207, -v100
	v_add_f32_e32 v155, v151, v152
	ds_read_b128 v[151:154], v98 offset:720
	v_add_f32_e32 v99, v99, v100
	v_mul_f32_e32 v100, v144, v210
	s_waitcnt vmcnt(14) lgkmcnt(1)
	v_mul_f32_e32 v156, v147, v214
	v_fma_f32 v100, v143, v209, -v100
	v_fmac_f32_e32 v156, v148, v213
	v_add_f32_e32 v99, v99, v100
	v_mul_f32_e32 v100, v146, v212
	v_add_f32_e32 v155, v155, v156
	s_waitcnt vmcnt(12)
	v_mul_f32_e32 v156, v149, v216
	v_fma_f32 v100, v145, v211, -v100
	v_fmac_f32_e32 v156, v150, v215
	v_add_f32_e32 v99, v99, v100
	v_mul_f32_e32 v100, v148, v214
	v_add_f32_e32 v155, v155, v156
	s_waitcnt vmcnt(10) lgkmcnt(0)
	v_mul_f32_e32 v156, v151, v218
	v_fma_f32 v100, v147, v213, -v100
	v_fmac_f32_e32 v156, v152, v217
	v_add_f32_e32 v99, v99, v100
	v_mul_f32_e32 v100, v150, v216
	v_add_f32_e32 v159, v155, v156
	ds_read_b128 v[155:158], v98 offset:736
	v_fma_f32 v100, v149, v215, -v100
	v_add_f32_e32 v99, v99, v100
	v_mul_f32_e32 v100, v152, v218
	s_waitcnt vmcnt(8)
	v_mul_f32_e32 v160, v153, v220
	v_fma_f32 v100, v151, v217, -v100
	v_fmac_f32_e32 v160, v154, v219
	v_add_f32_e32 v99, v99, v100
	v_mul_f32_e32 v100, v154, v220
	v_add_f32_e32 v229, v159, v160
	ds_read_b128 v[159:162], v98 offset:752
	v_fma_f32 v100, v153, v219, -v100
	v_add_f32_e32 v99, v99, v100
	s_waitcnt vmcnt(6) lgkmcnt(1)
	v_mul_f32_e32 v100, v156, v222
	v_mul_f32_e32 v98, v155, v222
	v_fma_f32 v100, v155, v221, -v100
	v_fmac_f32_e32 v98, v156, v221
	v_add_f32_e32 v99, v99, v100
	s_waitcnt vmcnt(5)
	v_mul_f32_e32 v100, v158, v223
	v_add_f32_e32 v98, v229, v98
	v_mul_f32_e32 v229, v157, v223
	s_waitcnt vmcnt(4)
	v_fma_f32 v100, v157, v224, -v100
	v_fmac_f32_e32 v229, v158, v224
	v_add_f32_e32 v99, v99, v100
	s_waitcnt vmcnt(2) lgkmcnt(0)
	v_mul_f32_e32 v100, v160, v226
	v_add_f32_e32 v98, v98, v229
	v_mul_f32_e32 v229, v159, v226
	v_fma_f32 v100, v159, v225, -v100
	v_fmac_f32_e32 v229, v160, v225
	v_add_f32_e32 v99, v99, v100
	s_waitcnt vmcnt(0)
	v_mul_f32_e32 v100, v162, v228
	v_add_f32_e32 v98, v98, v229
	v_mul_f32_e32 v229, v161, v228
	v_fma_f32 v100, v161, v227, -v100
	v_fmac_f32_e32 v229, v162, v227
	v_add_f32_e32 v99, v99, v100
	v_add_f32_e32 v98, v98, v229
	v_sub_f32_e32 v99, v183, v99
	v_sub_f32_e32 v98, v184, v98
	buffer_store_dword v99, off, s[0:3], 0 offset:120
	buffer_store_dword v98, off, s[0:3], 0 offset:124
	s_and_saveexec_b64 s[4:5], vcc
	s_cbranch_execz .LBB47_273
; %bb.272:
	buffer_load_dword v98, off, s[0:3], 0 offset:112
	buffer_load_dword v99, off, s[0:3], 0 offset:116
	v_mov_b32_e32 v100, 0
	buffer_store_dword v100, off, s[0:3], 0 offset:112
	buffer_store_dword v100, off, s[0:3], 0 offset:116
	s_waitcnt vmcnt(2)
	ds_write_b64 v97, v[98:99]
.LBB47_273:
	s_or_b64 exec, exec, s[4:5]
	s_waitcnt lgkmcnt(0)
	; wave barrier
	buffer_load_dword v165, off, s[0:3], 0 offset:124
	buffer_load_dword v166, off, s[0:3], 0 offset:132
	;; [unrolled: 1-line block ×58, first 2 shown]
	v_mov_b32_e32 v98, 0
	ds_read2_b64 v[99:102], v98 offset0:63 offset1:64
	ds_read2_b64 v[103:106], v98 offset0:65 offset1:66
	;; [unrolled: 1-line block ×5, first 2 shown]
	buffer_load_dword v223, off, s[0:3], 0 offset:344
	buffer_load_dword v224, off, s[0:3], 0 offset:348
	v_cmp_lt_u32_e32 vcc, 13, v0
	s_waitcnt vmcnt(59) lgkmcnt(4)
	v_mul_f32_e32 v119, v99, v165
	s_waitcnt vmcnt(58)
	v_mul_f32_e32 v120, v101, v166
	s_waitcnt vmcnt(57) lgkmcnt(3)
	v_mul_f32_e32 v121, v103, v167
	s_waitcnt vmcnt(56)
	v_mul_f32_e32 v122, v105, v168
	;; [unrolled: 4-line block ×4, first 2 shown]
	s_waitcnt vmcnt(51)
	v_fmac_f32_e32 v119, v100, v173
	s_waitcnt vmcnt(50)
	v_fmac_f32_e32 v120, v102, v174
	v_add_f32_e32 v119, 0, v119
	s_waitcnt vmcnt(49)
	v_fmac_f32_e32 v121, v104, v175
	v_add_f32_e32 v119, v119, v120
	;; [unrolled: 3-line block ×7, first 2 shown]
	v_add_f32_e32 v123, v119, v126
	ds_read2_b64 v[119:122], v98 offset0:73 offset1:74
	buffer_load_dword v225, off, s[0:3], 0 offset:356
	buffer_load_dword v226, off, s[0:3], 0 offset:352
	;; [unrolled: 1-line block ×8, first 2 shown]
	s_waitcnt vmcnt(51) lgkmcnt(1)
	v_mul_f32_e32 v124, v115, v181
	s_waitcnt vmcnt(50)
	v_fmac_f32_e32 v124, v116, v182
	v_mul_f32_e32 v100, v100, v165
	v_add_f32_e32 v123, v123, v124
	s_waitcnt vmcnt(49)
	v_mul_f32_e32 v124, v117, v183
	v_fma_f32 v99, v99, v173, -v100
	v_mul_f32_e32 v100, v102, v166
	s_waitcnt vmcnt(46)
	v_fmac_f32_e32 v124, v118, v186
	v_add_f32_e32 v99, 0, v99
	v_fma_f32 v100, v101, v174, -v100
	v_add_f32_e32 v123, v123, v124
	s_waitcnt vmcnt(44) lgkmcnt(0)
	v_mul_f32_e32 v124, v119, v188
	v_add_f32_e32 v99, v99, v100
	v_mul_f32_e32 v100, v104, v167
	v_fmac_f32_e32 v124, v120, v187
	v_fma_f32 v100, v103, v175, -v100
	v_add_f32_e32 v127, v123, v124
	ds_read2_b64 v[123:126], v98 offset0:75 offset1:76
	v_add_f32_e32 v99, v99, v100
	v_mul_f32_e32 v100, v106, v168
	v_fma_f32 v100, v105, v176, -v100
	s_waitcnt vmcnt(42)
	v_mul_f32_e32 v128, v121, v190
	v_add_f32_e32 v99, v99, v100
	v_mul_f32_e32 v100, v108, v169
	v_fmac_f32_e32 v128, v122, v189
	v_fma_f32 v100, v107, v177, -v100
	v_add_f32_e32 v131, v127, v128
	ds_read2_b64 v[127:130], v98 offset0:77 offset1:78
	v_add_f32_e32 v99, v99, v100
	v_mul_f32_e32 v100, v110, v170
	s_waitcnt vmcnt(40) lgkmcnt(1)
	v_mul_f32_e32 v132, v123, v192
	v_fma_f32 v100, v109, v178, -v100
	v_fmac_f32_e32 v132, v124, v191
	v_add_f32_e32 v99, v99, v100
	v_mul_f32_e32 v100, v112, v171
	v_add_f32_e32 v131, v131, v132
	s_waitcnt vmcnt(38)
	v_mul_f32_e32 v132, v125, v194
	v_fma_f32 v100, v111, v179, -v100
	v_fmac_f32_e32 v132, v126, v193
	v_add_f32_e32 v99, v99, v100
	v_mul_f32_e32 v100, v114, v172
	v_add_f32_e32 v131, v131, v132
	s_waitcnt vmcnt(36) lgkmcnt(0)
	v_mul_f32_e32 v132, v127, v196
	v_fma_f32 v100, v113, v180, -v100
	v_fmac_f32_e32 v132, v128, v195
	v_add_f32_e32 v99, v99, v100
	v_mul_f32_e32 v100, v116, v181
	v_add_f32_e32 v135, v131, v132
	ds_read2_b64 v[131:134], v98 offset0:79 offset1:80
	v_fma_f32 v100, v115, v182, -v100
	v_add_f32_e32 v99, v99, v100
	v_mul_f32_e32 v100, v118, v183
	s_waitcnt vmcnt(34)
	v_mul_f32_e32 v136, v129, v198
	v_fma_f32 v100, v117, v186, -v100
	v_fmac_f32_e32 v136, v130, v197
	v_add_f32_e32 v99, v99, v100
	v_mul_f32_e32 v100, v120, v188
	v_add_f32_e32 v139, v135, v136
	ds_read2_b64 v[135:138], v98 offset0:81 offset1:82
	v_fma_f32 v100, v119, v187, -v100
	s_waitcnt vmcnt(32) lgkmcnt(1)
	v_mul_f32_e32 v140, v131, v200
	v_add_f32_e32 v99, v99, v100
	v_mul_f32_e32 v100, v122, v190
	v_fmac_f32_e32 v140, v132, v199
	v_fma_f32 v100, v121, v189, -v100
	v_add_f32_e32 v139, v139, v140
	s_waitcnt vmcnt(30)
	v_mul_f32_e32 v140, v133, v202
	v_add_f32_e32 v99, v99, v100
	v_mul_f32_e32 v100, v124, v192
	v_fmac_f32_e32 v140, v134, v201
	v_fma_f32 v100, v123, v191, -v100
	v_add_f32_e32 v139, v139, v140
	s_waitcnt vmcnt(28) lgkmcnt(0)
	v_mul_f32_e32 v140, v135, v204
	v_add_f32_e32 v99, v99, v100
	v_mul_f32_e32 v100, v126, v194
	v_fmac_f32_e32 v140, v136, v203
	v_fma_f32 v100, v125, v193, -v100
	v_add_f32_e32 v143, v139, v140
	ds_read2_b64 v[139:142], v98 offset0:83 offset1:84
	v_add_f32_e32 v99, v99, v100
	v_mul_f32_e32 v100, v128, v196
	v_fma_f32 v100, v127, v195, -v100
	s_waitcnt vmcnt(26)
	v_mul_f32_e32 v144, v137, v206
	v_add_f32_e32 v99, v99, v100
	v_mul_f32_e32 v100, v130, v198
	v_fmac_f32_e32 v144, v138, v205
	v_fma_f32 v100, v129, v197, -v100
	v_add_f32_e32 v147, v143, v144
	ds_read2_b64 v[143:146], v98 offset0:85 offset1:86
	v_add_f32_e32 v99, v99, v100
	v_mul_f32_e32 v100, v132, v200
	s_waitcnt vmcnt(24) lgkmcnt(1)
	v_mul_f32_e32 v148, v139, v208
	v_fma_f32 v100, v131, v199, -v100
	v_fmac_f32_e32 v148, v140, v207
	v_add_f32_e32 v99, v99, v100
	v_mul_f32_e32 v100, v134, v202
	v_add_f32_e32 v147, v147, v148
	s_waitcnt vmcnt(22)
	v_mul_f32_e32 v148, v141, v210
	v_fma_f32 v100, v133, v201, -v100
	v_fmac_f32_e32 v148, v142, v209
	v_add_f32_e32 v99, v99, v100
	v_mul_f32_e32 v100, v136, v204
	v_add_f32_e32 v147, v147, v148
	s_waitcnt vmcnt(20) lgkmcnt(0)
	v_mul_f32_e32 v148, v143, v212
	v_fma_f32 v100, v135, v203, -v100
	v_fmac_f32_e32 v148, v144, v211
	v_add_f32_e32 v99, v99, v100
	v_mul_f32_e32 v100, v138, v206
	v_add_f32_e32 v151, v147, v148
	ds_read2_b64 v[147:150], v98 offset0:87 offset1:88
	v_fma_f32 v100, v137, v205, -v100
	v_add_f32_e32 v99, v99, v100
	v_mul_f32_e32 v100, v140, v208
	s_waitcnt vmcnt(18)
	v_mul_f32_e32 v152, v145, v214
	v_fma_f32 v100, v139, v207, -v100
	v_fmac_f32_e32 v152, v146, v213
	v_add_f32_e32 v99, v99, v100
	v_mul_f32_e32 v100, v142, v210
	v_add_f32_e32 v155, v151, v152
	ds_read2_b64 v[151:154], v98 offset0:89 offset1:90
	v_fma_f32 v100, v141, v209, -v100
	s_waitcnt vmcnt(16) lgkmcnt(1)
	v_mul_f32_e32 v156, v147, v216
	v_add_f32_e32 v99, v99, v100
	v_mul_f32_e32 v100, v144, v212
	v_fmac_f32_e32 v156, v148, v215
	v_fma_f32 v100, v143, v211, -v100
	v_add_f32_e32 v155, v155, v156
	s_waitcnt vmcnt(14)
	v_mul_f32_e32 v156, v149, v218
	v_add_f32_e32 v99, v99, v100
	v_mul_f32_e32 v100, v146, v214
	v_fmac_f32_e32 v156, v150, v217
	v_fma_f32 v100, v145, v213, -v100
	v_add_f32_e32 v155, v155, v156
	s_waitcnt vmcnt(12) lgkmcnt(0)
	v_mul_f32_e32 v156, v151, v220
	v_add_f32_e32 v99, v99, v100
	v_mul_f32_e32 v100, v148, v216
	v_fmac_f32_e32 v156, v152, v219
	v_fma_f32 v100, v147, v215, -v100
	v_add_f32_e32 v159, v155, v156
	ds_read2_b64 v[155:158], v98 offset0:91 offset1:92
	v_add_f32_e32 v99, v99, v100
	v_mul_f32_e32 v100, v150, v218
	v_fma_f32 v100, v149, v217, -v100
	v_add_f32_e32 v99, v99, v100
	v_mul_f32_e32 v100, v152, v220
	s_waitcnt vmcnt(10)
	v_mul_f32_e32 v160, v153, v222
	v_fma_f32 v100, v151, v219, -v100
	v_fmac_f32_e32 v160, v154, v221
	v_add_f32_e32 v99, v99, v100
	v_mul_f32_e32 v100, v154, v222
	v_add_f32_e32 v163, v159, v160
	ds_read2_b64 v[159:162], v98 offset0:93 offset1:94
	s_waitcnt vmcnt(8) lgkmcnt(1)
	v_mul_f32_e32 v164, v155, v224
	v_fma_f32 v100, v153, v221, -v100
	v_fmac_f32_e32 v164, v156, v223
	v_add_f32_e32 v99, v99, v100
	v_mul_f32_e32 v100, v156, v224
	v_add_f32_e32 v163, v163, v164
	s_waitcnt vmcnt(7)
	v_mul_f32_e32 v164, v157, v225
	v_fma_f32 v100, v155, v223, -v100
	s_waitcnt vmcnt(6)
	v_fmac_f32_e32 v164, v158, v226
	v_add_f32_e32 v99, v99, v100
	v_mul_f32_e32 v100, v158, v225
	v_add_f32_e32 v233, v163, v164
	ds_read_b64 v[163:164], v98 offset:760
	v_fma_f32 v100, v157, v226, -v100
	v_add_f32_e32 v99, v99, v100
	s_waitcnt vmcnt(4) lgkmcnt(1)
	v_mul_f32_e32 v100, v160, v228
	v_mul_f32_e32 v234, v159, v228
	v_fma_f32 v100, v159, v227, -v100
	v_fmac_f32_e32 v234, v160, v227
	v_add_f32_e32 v99, v99, v100
	s_waitcnt vmcnt(3)
	v_mul_f32_e32 v100, v162, v229
	v_add_f32_e32 v233, v233, v234
	v_mul_f32_e32 v234, v161, v229
	s_waitcnt vmcnt(2)
	v_fma_f32 v100, v161, v230, -v100
	v_fmac_f32_e32 v234, v162, v230
	v_add_f32_e32 v99, v99, v100
	s_waitcnt vmcnt(0) lgkmcnt(0)
	v_mul_f32_e32 v100, v164, v232
	v_add_f32_e32 v233, v233, v234
	v_mul_f32_e32 v234, v163, v232
	v_fma_f32 v100, v163, v231, -v100
	v_fmac_f32_e32 v234, v164, v231
	v_add_f32_e32 v99, v99, v100
	v_add_f32_e32 v233, v233, v234
	v_sub_f32_e32 v99, v184, v99
	v_sub_f32_e32 v100, v185, v233
	buffer_store_dword v99, off, s[0:3], 0 offset:112
	buffer_store_dword v100, off, s[0:3], 0 offset:116
	s_and_saveexec_b64 s[4:5], vcc
	s_cbranch_execz .LBB47_275
; %bb.274:
	buffer_load_dword v99, off, s[0:3], 0 offset:104
	buffer_load_dword v100, off, s[0:3], 0 offset:108
	s_waitcnt vmcnt(0)
	ds_write_b64 v97, v[99:100]
	buffer_store_dword v98, off, s[0:3], 0 offset:104
	buffer_store_dword v98, off, s[0:3], 0 offset:108
.LBB47_275:
	s_or_b64 exec, exec, s[4:5]
	s_waitcnt lgkmcnt(0)
	; wave barrier
	buffer_load_dword v167, off, s[0:3], 0 offset:116
	buffer_load_dword v168, off, s[0:3], 0 offset:124
	;; [unrolled: 1-line block ×24, first 2 shown]
	ds_read_b128 v[99:102], v98 offset:496
	ds_read_b128 v[103:106], v98 offset:512
	;; [unrolled: 1-line block ×6, first 2 shown]
	buffer_load_dword v191, off, s[0:3], 0 offset:204
	buffer_load_dword v192, off, s[0:3], 0 offset:200
	;; [unrolled: 1-line block ×46, first 2 shown]
	v_cmp_lt_u32_e32 vcc, 12, v0
	s_waitcnt vmcnt(62) lgkmcnt(5)
	v_mul_f32_e32 v123, v99, v167
	v_mul_f32_e32 v124, v101, v168
	s_waitcnt lgkmcnt(4)
	v_mul_f32_e32 v125, v103, v169
	v_mul_f32_e32 v126, v105, v170
	s_waitcnt lgkmcnt(3)
	;; [unrolled: 3-line block ×3, first 2 shown]
	v_mul_f32_e32 v129, v111, v173
	v_mul_f32_e32 v130, v113, v174
	s_waitcnt vmcnt(61)
	v_fmac_f32_e32 v123, v100, v175
	s_waitcnt vmcnt(60)
	v_fmac_f32_e32 v124, v102, v176
	v_add_f32_e32 v123, 0, v123
	s_waitcnt vmcnt(59)
	v_fmac_f32_e32 v125, v104, v177
	v_add_f32_e32 v123, v123, v124
	;; [unrolled: 3-line block ×7, first 2 shown]
	s_waitcnt vmcnt(53) lgkmcnt(1)
	v_mul_f32_e32 v124, v115, v183
	v_add_f32_e32 v123, v123, v130
	s_waitcnt vmcnt(52)
	v_fmac_f32_e32 v124, v116, v184
	v_mul_f32_e32 v100, v100, v167
	v_add_f32_e32 v123, v123, v124
	s_waitcnt vmcnt(51)
	v_mul_f32_e32 v124, v117, v185
	v_fma_f32 v99, v99, v175, -v100
	v_mul_f32_e32 v100, v102, v168
	s_waitcnt vmcnt(50)
	v_fmac_f32_e32 v124, v118, v186
	v_add_f32_e32 v99, 0, v99
	v_fma_f32 v100, v101, v176, -v100
	v_add_f32_e32 v123, v123, v124
	s_waitcnt vmcnt(47) lgkmcnt(0)
	v_mul_f32_e32 v124, v119, v189
	v_add_f32_e32 v99, v99, v100
	v_mul_f32_e32 v100, v104, v169
	s_waitcnt vmcnt(46)
	v_fmac_f32_e32 v124, v120, v190
	v_fma_f32 v100, v103, v177, -v100
	v_add_f32_e32 v127, v123, v124
	ds_read_b128 v[123:126], v98 offset:592
	v_add_f32_e32 v99, v99, v100
	v_mul_f32_e32 v100, v106, v170
	v_fma_f32 v100, v105, v178, -v100
	s_waitcnt vmcnt(45)
	v_mul_f32_e32 v128, v121, v191
	v_add_f32_e32 v99, v99, v100
	v_mul_f32_e32 v100, v108, v171
	s_waitcnt vmcnt(44)
	v_fmac_f32_e32 v128, v122, v192
	v_fma_f32 v100, v107, v179, -v100
	v_add_f32_e32 v131, v127, v128
	ds_read_b128 v[127:130], v98 offset:608
	v_add_f32_e32 v99, v99, v100
	v_mul_f32_e32 v100, v110, v172
	s_waitcnt vmcnt(42) lgkmcnt(1)
	v_mul_f32_e32 v132, v123, v194
	v_fma_f32 v100, v109, v180, -v100
	v_fmac_f32_e32 v132, v124, v193
	v_add_f32_e32 v99, v99, v100
	v_mul_f32_e32 v100, v112, v173
	v_add_f32_e32 v131, v131, v132
	s_waitcnt vmcnt(40)
	v_mul_f32_e32 v132, v125, v196
	v_fma_f32 v100, v111, v181, -v100
	v_fmac_f32_e32 v132, v126, v195
	v_add_f32_e32 v99, v99, v100
	v_mul_f32_e32 v100, v114, v174
	v_add_f32_e32 v131, v131, v132
	s_waitcnt vmcnt(38) lgkmcnt(0)
	v_mul_f32_e32 v132, v127, v198
	v_fma_f32 v100, v113, v182, -v100
	v_fmac_f32_e32 v132, v128, v197
	v_add_f32_e32 v99, v99, v100
	v_mul_f32_e32 v100, v116, v183
	v_add_f32_e32 v135, v131, v132
	ds_read_b128 v[131:134], v98 offset:624
	v_fma_f32 v100, v115, v184, -v100
	v_add_f32_e32 v99, v99, v100
	v_mul_f32_e32 v100, v118, v185
	s_waitcnt vmcnt(36)
	v_mul_f32_e32 v136, v129, v200
	v_fma_f32 v100, v117, v186, -v100
	v_fmac_f32_e32 v136, v130, v199
	v_add_f32_e32 v99, v99, v100
	v_mul_f32_e32 v100, v120, v189
	v_add_f32_e32 v139, v135, v136
	ds_read_b128 v[135:138], v98 offset:640
	v_fma_f32 v100, v119, v190, -v100
	s_waitcnt vmcnt(34) lgkmcnt(1)
	v_mul_f32_e32 v140, v131, v202
	v_add_f32_e32 v99, v99, v100
	v_mul_f32_e32 v100, v122, v191
	v_fmac_f32_e32 v140, v132, v201
	v_fma_f32 v100, v121, v192, -v100
	v_add_f32_e32 v139, v139, v140
	s_waitcnt vmcnt(32)
	v_mul_f32_e32 v140, v133, v204
	v_add_f32_e32 v99, v99, v100
	v_mul_f32_e32 v100, v124, v194
	v_fmac_f32_e32 v140, v134, v203
	v_fma_f32 v100, v123, v193, -v100
	v_add_f32_e32 v139, v139, v140
	s_waitcnt vmcnt(30) lgkmcnt(0)
	v_mul_f32_e32 v140, v135, v206
	v_add_f32_e32 v99, v99, v100
	v_mul_f32_e32 v100, v126, v196
	v_fmac_f32_e32 v140, v136, v205
	v_fma_f32 v100, v125, v195, -v100
	v_add_f32_e32 v143, v139, v140
	ds_read_b128 v[139:142], v98 offset:656
	v_add_f32_e32 v99, v99, v100
	v_mul_f32_e32 v100, v128, v198
	v_fma_f32 v100, v127, v197, -v100
	s_waitcnt vmcnt(28)
	v_mul_f32_e32 v144, v137, v208
	v_add_f32_e32 v99, v99, v100
	v_mul_f32_e32 v100, v130, v200
	v_fmac_f32_e32 v144, v138, v207
	v_fma_f32 v100, v129, v199, -v100
	v_add_f32_e32 v147, v143, v144
	ds_read_b128 v[143:146], v98 offset:672
	v_add_f32_e32 v99, v99, v100
	v_mul_f32_e32 v100, v132, v202
	s_waitcnt vmcnt(26) lgkmcnt(1)
	v_mul_f32_e32 v148, v139, v210
	v_fma_f32 v100, v131, v201, -v100
	v_fmac_f32_e32 v148, v140, v209
	v_add_f32_e32 v99, v99, v100
	v_mul_f32_e32 v100, v134, v204
	v_add_f32_e32 v147, v147, v148
	s_waitcnt vmcnt(24)
	v_mul_f32_e32 v148, v141, v212
	v_fma_f32 v100, v133, v203, -v100
	v_fmac_f32_e32 v148, v142, v211
	v_add_f32_e32 v99, v99, v100
	v_mul_f32_e32 v100, v136, v206
	v_add_f32_e32 v147, v147, v148
	s_waitcnt vmcnt(22) lgkmcnt(0)
	v_mul_f32_e32 v148, v143, v214
	v_fma_f32 v100, v135, v205, -v100
	v_fmac_f32_e32 v148, v144, v213
	v_add_f32_e32 v99, v99, v100
	v_mul_f32_e32 v100, v138, v208
	v_add_f32_e32 v151, v147, v148
	ds_read_b128 v[147:150], v98 offset:688
	v_fma_f32 v100, v137, v207, -v100
	v_add_f32_e32 v99, v99, v100
	v_mul_f32_e32 v100, v140, v210
	s_waitcnt vmcnt(20)
	v_mul_f32_e32 v152, v145, v216
	v_fma_f32 v100, v139, v209, -v100
	v_fmac_f32_e32 v152, v146, v215
	v_add_f32_e32 v99, v99, v100
	v_mul_f32_e32 v100, v142, v212
	v_add_f32_e32 v155, v151, v152
	ds_read_b128 v[151:154], v98 offset:704
	v_fma_f32 v100, v141, v211, -v100
	s_waitcnt vmcnt(18) lgkmcnt(1)
	v_mul_f32_e32 v156, v147, v218
	v_add_f32_e32 v99, v99, v100
	v_mul_f32_e32 v100, v144, v214
	v_fmac_f32_e32 v156, v148, v217
	v_fma_f32 v100, v143, v213, -v100
	v_add_f32_e32 v155, v155, v156
	s_waitcnt vmcnt(16)
	v_mul_f32_e32 v156, v149, v220
	v_add_f32_e32 v99, v99, v100
	v_mul_f32_e32 v100, v146, v216
	v_fmac_f32_e32 v156, v150, v219
	v_fma_f32 v100, v145, v215, -v100
	v_add_f32_e32 v155, v155, v156
	s_waitcnt vmcnt(14) lgkmcnt(0)
	v_mul_f32_e32 v156, v151, v222
	v_add_f32_e32 v99, v99, v100
	v_mul_f32_e32 v100, v148, v218
	v_fmac_f32_e32 v156, v152, v221
	v_fma_f32 v100, v147, v217, -v100
	v_add_f32_e32 v159, v155, v156
	ds_read_b128 v[155:158], v98 offset:720
	v_add_f32_e32 v99, v99, v100
	v_mul_f32_e32 v100, v150, v220
	v_fma_f32 v100, v149, v219, -v100
	v_add_f32_e32 v99, v99, v100
	v_mul_f32_e32 v100, v152, v222
	s_waitcnt vmcnt(12)
	v_mul_f32_e32 v160, v153, v224
	v_fma_f32 v100, v151, v221, -v100
	v_fmac_f32_e32 v160, v154, v223
	v_add_f32_e32 v99, v99, v100
	v_mul_f32_e32 v100, v154, v224
	v_add_f32_e32 v163, v159, v160
	ds_read_b128 v[159:162], v98 offset:736
	s_waitcnt vmcnt(10) lgkmcnt(1)
	v_mul_f32_e32 v164, v155, v226
	v_fma_f32 v100, v153, v223, -v100
	v_fmac_f32_e32 v164, v156, v225
	v_add_f32_e32 v99, v99, v100
	v_mul_f32_e32 v100, v156, v226
	v_add_f32_e32 v163, v163, v164
	s_waitcnt vmcnt(9)
	v_mul_f32_e32 v164, v157, v227
	v_fma_f32 v100, v155, v225, -v100
	s_waitcnt vmcnt(8)
	v_fmac_f32_e32 v164, v158, v228
	v_add_f32_e32 v99, v99, v100
	v_mul_f32_e32 v100, v158, v227
	v_add_f32_e32 v237, v163, v164
	ds_read_b128 v[163:166], v98 offset:752
	v_fma_f32 v100, v157, v228, -v100
	v_add_f32_e32 v99, v99, v100
	s_waitcnt vmcnt(6) lgkmcnt(1)
	v_mul_f32_e32 v100, v160, v230
	v_mul_f32_e32 v238, v159, v230
	v_fma_f32 v100, v159, v229, -v100
	v_fmac_f32_e32 v238, v160, v229
	v_add_f32_e32 v99, v99, v100
	s_waitcnt vmcnt(4)
	v_mul_f32_e32 v100, v162, v232
	v_add_f32_e32 v98, v237, v238
	v_mul_f32_e32 v237, v161, v232
	v_fma_f32 v100, v161, v231, -v100
	v_fmac_f32_e32 v237, v162, v231
	v_add_f32_e32 v99, v99, v100
	s_waitcnt vmcnt(3) lgkmcnt(0)
	v_mul_f32_e32 v100, v164, v233
	v_add_f32_e32 v98, v98, v237
	v_mul_f32_e32 v237, v163, v233
	s_waitcnt vmcnt(2)
	v_fma_f32 v100, v163, v234, -v100
	v_fmac_f32_e32 v237, v164, v234
	v_add_f32_e32 v99, v99, v100
	s_waitcnt vmcnt(0)
	v_mul_f32_e32 v100, v166, v236
	v_add_f32_e32 v98, v98, v237
	v_mul_f32_e32 v237, v165, v236
	v_fma_f32 v100, v165, v235, -v100
	v_fmac_f32_e32 v237, v166, v235
	v_add_f32_e32 v99, v99, v100
	v_add_f32_e32 v98, v98, v237
	v_sub_f32_e32 v99, v187, v99
	v_sub_f32_e32 v98, v188, v98
	buffer_store_dword v99, off, s[0:3], 0 offset:104
	buffer_store_dword v98, off, s[0:3], 0 offset:108
	s_and_saveexec_b64 s[4:5], vcc
	s_cbranch_execz .LBB47_277
; %bb.276:
	buffer_load_dword v98, off, s[0:3], 0 offset:96
	buffer_load_dword v99, off, s[0:3], 0 offset:100
	v_mov_b32_e32 v100, 0
	buffer_store_dword v100, off, s[0:3], 0 offset:96
	buffer_store_dword v100, off, s[0:3], 0 offset:100
	s_waitcnt vmcnt(2)
	ds_write_b64 v97, v[98:99]
.LBB47_277:
	s_or_b64 exec, exec, s[4:5]
	s_waitcnt lgkmcnt(0)
	; wave barrier
	buffer_load_dword v169, off, s[0:3], 0 offset:108
	buffer_load_dword v170, off, s[0:3], 0 offset:116
	;; [unrolled: 1-line block ×56, first 2 shown]
	v_mov_b32_e32 v98, 0
	ds_read2_b64 v[99:102], v98 offset0:61 offset1:62
	ds_read2_b64 v[103:106], v98 offset0:63 offset1:64
	;; [unrolled: 1-line block ×6, first 2 shown]
	buffer_load_dword v225, off, s[0:3], 0 offset:320
	buffer_load_dword v226, off, s[0:3], 0 offset:324
	;; [unrolled: 1-line block ×12, first 2 shown]
	v_cmp_lt_u32_e32 vcc, 11, v0
	s_waitcnt vmcnt(62) lgkmcnt(5)
	v_mul_f32_e32 v123, v99, v169
	v_mul_f32_e32 v124, v101, v170
	s_waitcnt lgkmcnt(4)
	v_mul_f32_e32 v125, v103, v171
	v_mul_f32_e32 v126, v105, v172
	s_waitcnt lgkmcnt(3)
	v_mul_f32_e32 v127, v107, v173
	v_mul_f32_e32 v128, v109, v174
	s_waitcnt vmcnt(61) lgkmcnt(2)
	v_mul_f32_e32 v129, v111, v175
	s_waitcnt vmcnt(60)
	v_mul_f32_e32 v130, v113, v176
	s_waitcnt vmcnt(59) lgkmcnt(1)
	v_mul_f32_e32 v131, v115, v177
	s_waitcnt vmcnt(58)
	v_fmac_f32_e32 v123, v100, v178
	s_waitcnt vmcnt(57)
	v_fmac_f32_e32 v124, v102, v179
	v_add_f32_e32 v123, 0, v123
	s_waitcnt vmcnt(56)
	v_fmac_f32_e32 v125, v104, v180
	v_add_f32_e32 v123, v123, v124
	;; [unrolled: 3-line block ×7, first 2 shown]
	v_add_f32_e32 v123, v123, v130
	s_waitcnt vmcnt(50)
	v_fmac_f32_e32 v131, v116, v186
	s_waitcnt vmcnt(49)
	v_mul_f32_e32 v124, v117, v187
	v_add_f32_e32 v123, v123, v131
	s_waitcnt vmcnt(48)
	v_fmac_f32_e32 v124, v118, v188
	v_add_f32_e32 v123, v123, v124
	s_waitcnt vmcnt(47) lgkmcnt(0)
	v_mul_f32_e32 v124, v119, v189
	s_waitcnt vmcnt(44)
	v_fmac_f32_e32 v124, v120, v192
	v_add_f32_e32 v127, v123, v124
	ds_read2_b64 v[123:126], v98 offset0:73 offset1:74
	buffer_load_dword v237, off, s[0:3], 0 offset:372
	buffer_load_dword v238, off, s[0:3], 0 offset:368
	;; [unrolled: 1-line block ×4, first 2 shown]
	v_mul_f32_e32 v100, v100, v169
	v_fma_f32 v99, v99, v178, -v100
	v_mul_f32_e32 v100, v102, v170
	v_add_f32_e32 v99, 0, v99
	v_fma_f32 v100, v101, v179, -v100
	v_add_f32_e32 v99, v99, v100
	v_mul_f32_e32 v100, v104, v171
	v_fma_f32 v100, v103, v180, -v100
	s_waitcnt vmcnt(46)
	v_mul_f32_e32 v128, v121, v194
	v_add_f32_e32 v99, v99, v100
	v_mul_f32_e32 v100, v106, v172
	v_fmac_f32_e32 v128, v122, v193
	v_fma_f32 v100, v105, v181, -v100
	v_add_f32_e32 v131, v127, v128
	ds_read2_b64 v[127:130], v98 offset0:75 offset1:76
	v_add_f32_e32 v99, v99, v100
	v_mul_f32_e32 v100, v108, v173
	s_waitcnt vmcnt(44) lgkmcnt(1)
	v_mul_f32_e32 v132, v123, v196
	v_fma_f32 v100, v107, v182, -v100
	v_fmac_f32_e32 v132, v124, v195
	v_add_f32_e32 v99, v99, v100
	v_mul_f32_e32 v100, v110, v174
	v_add_f32_e32 v131, v131, v132
	s_waitcnt vmcnt(42)
	v_mul_f32_e32 v132, v125, v198
	v_fma_f32 v100, v109, v183, -v100
	v_fmac_f32_e32 v132, v126, v197
	v_add_f32_e32 v99, v99, v100
	v_mul_f32_e32 v100, v112, v175
	v_add_f32_e32 v131, v131, v132
	s_waitcnt vmcnt(40) lgkmcnt(0)
	v_mul_f32_e32 v132, v127, v200
	v_fma_f32 v100, v111, v184, -v100
	v_fmac_f32_e32 v132, v128, v199
	v_add_f32_e32 v99, v99, v100
	v_mul_f32_e32 v100, v114, v176
	v_add_f32_e32 v135, v131, v132
	ds_read2_b64 v[131:134], v98 offset0:77 offset1:78
	v_fma_f32 v100, v113, v185, -v100
	v_add_f32_e32 v99, v99, v100
	v_mul_f32_e32 v100, v116, v177
	s_waitcnt vmcnt(38)
	v_mul_f32_e32 v136, v129, v202
	v_fma_f32 v100, v115, v186, -v100
	v_fmac_f32_e32 v136, v130, v201
	v_add_f32_e32 v99, v99, v100
	v_mul_f32_e32 v100, v118, v187
	v_add_f32_e32 v139, v135, v136
	ds_read2_b64 v[135:138], v98 offset0:79 offset1:80
	v_fma_f32 v100, v117, v188, -v100
	s_waitcnt vmcnt(36) lgkmcnt(1)
	v_mul_f32_e32 v140, v131, v204
	v_add_f32_e32 v99, v99, v100
	v_mul_f32_e32 v100, v120, v189
	v_fmac_f32_e32 v140, v132, v203
	v_fma_f32 v100, v119, v192, -v100
	v_add_f32_e32 v139, v139, v140
	s_waitcnt vmcnt(34)
	v_mul_f32_e32 v140, v133, v206
	v_add_f32_e32 v99, v99, v100
	v_mul_f32_e32 v100, v122, v194
	v_fmac_f32_e32 v140, v134, v205
	v_fma_f32 v100, v121, v193, -v100
	v_add_f32_e32 v139, v139, v140
	s_waitcnt vmcnt(32) lgkmcnt(0)
	v_mul_f32_e32 v140, v135, v208
	v_add_f32_e32 v99, v99, v100
	v_mul_f32_e32 v100, v124, v196
	v_fmac_f32_e32 v140, v136, v207
	v_fma_f32 v100, v123, v195, -v100
	v_add_f32_e32 v143, v139, v140
	ds_read2_b64 v[139:142], v98 offset0:81 offset1:82
	v_add_f32_e32 v99, v99, v100
	v_mul_f32_e32 v100, v126, v198
	v_fma_f32 v100, v125, v197, -v100
	s_waitcnt vmcnt(30)
	v_mul_f32_e32 v144, v137, v210
	v_add_f32_e32 v99, v99, v100
	v_mul_f32_e32 v100, v128, v200
	v_fmac_f32_e32 v144, v138, v209
	v_fma_f32 v100, v127, v199, -v100
	v_add_f32_e32 v147, v143, v144
	ds_read2_b64 v[143:146], v98 offset0:83 offset1:84
	v_add_f32_e32 v99, v99, v100
	v_mul_f32_e32 v100, v130, v202
	s_waitcnt vmcnt(28) lgkmcnt(1)
	v_mul_f32_e32 v148, v139, v212
	v_fma_f32 v100, v129, v201, -v100
	v_fmac_f32_e32 v148, v140, v211
	v_add_f32_e32 v99, v99, v100
	v_mul_f32_e32 v100, v132, v204
	v_add_f32_e32 v147, v147, v148
	s_waitcnt vmcnt(26)
	v_mul_f32_e32 v148, v141, v214
	v_fma_f32 v100, v131, v203, -v100
	v_fmac_f32_e32 v148, v142, v213
	v_add_f32_e32 v99, v99, v100
	v_mul_f32_e32 v100, v134, v206
	v_add_f32_e32 v147, v147, v148
	s_waitcnt vmcnt(24) lgkmcnt(0)
	v_mul_f32_e32 v148, v143, v216
	v_fma_f32 v100, v133, v205, -v100
	v_fmac_f32_e32 v148, v144, v215
	v_add_f32_e32 v99, v99, v100
	v_mul_f32_e32 v100, v136, v208
	v_add_f32_e32 v151, v147, v148
	ds_read2_b64 v[147:150], v98 offset0:85 offset1:86
	v_fma_f32 v100, v135, v207, -v100
	v_add_f32_e32 v99, v99, v100
	v_mul_f32_e32 v100, v138, v210
	s_waitcnt vmcnt(22)
	v_mul_f32_e32 v152, v145, v218
	v_fma_f32 v100, v137, v209, -v100
	v_fmac_f32_e32 v152, v146, v217
	v_add_f32_e32 v99, v99, v100
	v_mul_f32_e32 v100, v140, v212
	v_add_f32_e32 v155, v151, v152
	ds_read2_b64 v[151:154], v98 offset0:87 offset1:88
	v_fma_f32 v100, v139, v211, -v100
	s_waitcnt vmcnt(20) lgkmcnt(1)
	v_mul_f32_e32 v156, v147, v220
	v_add_f32_e32 v99, v99, v100
	v_mul_f32_e32 v100, v142, v214
	v_fmac_f32_e32 v156, v148, v219
	v_fma_f32 v100, v141, v213, -v100
	v_add_f32_e32 v155, v155, v156
	s_waitcnt vmcnt(18)
	v_mul_f32_e32 v156, v149, v222
	v_add_f32_e32 v99, v99, v100
	v_mul_f32_e32 v100, v144, v216
	v_fmac_f32_e32 v156, v150, v221
	v_fma_f32 v100, v143, v215, -v100
	v_add_f32_e32 v155, v155, v156
	s_waitcnt vmcnt(16) lgkmcnt(0)
	v_mul_f32_e32 v156, v151, v224
	v_add_f32_e32 v99, v99, v100
	v_mul_f32_e32 v100, v146, v218
	v_fmac_f32_e32 v156, v152, v223
	v_fma_f32 v100, v145, v217, -v100
	v_add_f32_e32 v159, v155, v156
	ds_read2_b64 v[155:158], v98 offset0:89 offset1:90
	v_add_f32_e32 v99, v99, v100
	v_mul_f32_e32 v100, v148, v220
	v_fma_f32 v100, v147, v219, -v100
	s_waitcnt vmcnt(14)
	v_mul_f32_e32 v160, v153, v226
	v_add_f32_e32 v99, v99, v100
	v_mul_f32_e32 v100, v150, v222
	v_fmac_f32_e32 v160, v154, v225
	v_fma_f32 v100, v149, v221, -v100
	v_add_f32_e32 v163, v159, v160
	ds_read2_b64 v[159:162], v98 offset0:91 offset1:92
	v_add_f32_e32 v99, v99, v100
	v_mul_f32_e32 v100, v152, v224
	s_waitcnt vmcnt(12) lgkmcnt(1)
	v_mul_f32_e32 v164, v155, v228
	v_fma_f32 v100, v151, v223, -v100
	v_fmac_f32_e32 v164, v156, v227
	v_add_f32_e32 v99, v99, v100
	v_mul_f32_e32 v100, v154, v226
	v_add_f32_e32 v163, v163, v164
	s_waitcnt vmcnt(11)
	v_mul_f32_e32 v164, v157, v229
	v_fma_f32 v100, v153, v225, -v100
	s_waitcnt vmcnt(10)
	v_fmac_f32_e32 v164, v158, v230
	v_add_f32_e32 v99, v99, v100
	v_mul_f32_e32 v100, v156, v228
	v_add_f32_e32 v163, v163, v164
	s_waitcnt vmcnt(8) lgkmcnt(0)
	v_mul_f32_e32 v164, v159, v232
	v_fma_f32 v100, v155, v227, -v100
	v_fmac_f32_e32 v164, v160, v231
	v_add_f32_e32 v99, v99, v100
	v_mul_f32_e32 v100, v158, v229
	v_add_f32_e32 v167, v163, v164
	ds_read2_b64 v[163:166], v98 offset0:93 offset1:94
	v_fma_f32 v100, v157, v230, -v100
	v_add_f32_e32 v99, v99, v100
	v_mul_f32_e32 v100, v160, v232
	s_waitcnt vmcnt(6)
	v_mul_f32_e32 v168, v161, v234
	v_fma_f32 v100, v159, v231, -v100
	v_fmac_f32_e32 v168, v162, v233
	v_add_f32_e32 v99, v99, v100
	v_mul_f32_e32 v100, v162, v234
	v_add_f32_e32 v241, v167, v168
	ds_read_b64 v[167:168], v98 offset:760
	v_fma_f32 v100, v161, v233, -v100
	v_add_f32_e32 v99, v99, v100
	s_waitcnt vmcnt(4) lgkmcnt(1)
	v_mul_f32_e32 v100, v164, v236
	v_mul_f32_e32 v242, v163, v236
	v_fma_f32 v100, v163, v235, -v100
	v_fmac_f32_e32 v242, v164, v235
	v_add_f32_e32 v99, v99, v100
	s_waitcnt vmcnt(3)
	v_mul_f32_e32 v100, v166, v237
	v_add_f32_e32 v241, v241, v242
	v_mul_f32_e32 v242, v165, v237
	s_waitcnt vmcnt(2)
	v_fma_f32 v100, v165, v238, -v100
	v_fmac_f32_e32 v242, v166, v238
	v_add_f32_e32 v99, v99, v100
	s_waitcnt vmcnt(0) lgkmcnt(0)
	v_mul_f32_e32 v100, v168, v240
	v_add_f32_e32 v241, v241, v242
	v_mul_f32_e32 v242, v167, v240
	v_fma_f32 v100, v167, v239, -v100
	v_fmac_f32_e32 v242, v168, v239
	v_add_f32_e32 v99, v99, v100
	v_add_f32_e32 v241, v241, v242
	v_sub_f32_e32 v99, v190, v99
	v_sub_f32_e32 v100, v191, v241
	buffer_store_dword v99, off, s[0:3], 0 offset:96
	buffer_store_dword v100, off, s[0:3], 0 offset:100
	s_and_saveexec_b64 s[4:5], vcc
	s_cbranch_execz .LBB47_279
; %bb.278:
	buffer_load_dword v99, off, s[0:3], 0 offset:88
	buffer_load_dword v100, off, s[0:3], 0 offset:92
	s_waitcnt vmcnt(0)
	ds_write_b64 v97, v[99:100]
	buffer_store_dword v98, off, s[0:3], 0 offset:88
	buffer_store_dword v98, off, s[0:3], 0 offset:92
.LBB47_279:
	s_or_b64 exec, exec, s[4:5]
	s_waitcnt lgkmcnt(0)
	; wave barrier
	buffer_load_dword v171, off, s[0:3], 0 offset:100
	buffer_load_dword v172, off, s[0:3], 0 offset:108
	buffer_load_dword v173, off, s[0:3], 0 offset:116
	buffer_load_dword v174, off, s[0:3], 0 offset:124
	buffer_load_dword v175, off, s[0:3], 0 offset:132
	buffer_load_dword v176, off, s[0:3], 0 offset:140
	buffer_load_dword v177, off, s[0:3], 0 offset:148
	buffer_load_dword v178, off, s[0:3], 0 offset:156
	buffer_load_dword v179, off, s[0:3], 0 offset:164
	buffer_load_dword v180, off, s[0:3], 0 offset:96
	buffer_load_dword v181, off, s[0:3], 0 offset:104
	buffer_load_dword v182, off, s[0:3], 0 offset:112
	buffer_load_dword v183, off, s[0:3], 0 offset:120
	buffer_load_dword v184, off, s[0:3], 0 offset:128
	buffer_load_dword v185, off, s[0:3], 0 offset:136
	buffer_load_dword v186, off, s[0:3], 0 offset:144
	buffer_load_dword v187, off, s[0:3], 0 offset:152
	buffer_load_dword v188, off, s[0:3], 0 offset:160
	buffer_load_dword v189, off, s[0:3], 0 offset:172
	buffer_load_dword v190, off, s[0:3], 0 offset:168
	buffer_load_dword v191, off, s[0:3], 0 offset:180
	buffer_load_dword v192, off, s[0:3], 0 offset:176
	buffer_load_dword v193, off, s[0:3], 0 offset:88
	buffer_load_dword v194, off, s[0:3], 0 offset:92
	buffer_load_dword v195, off, s[0:3], 0 offset:184
	buffer_load_dword v196, off, s[0:3], 0 offset:188
	ds_read_b128 v[99:102], v98 offset:480
	ds_read_b128 v[103:106], v98 offset:496
	;; [unrolled: 1-line block ×6, first 2 shown]
	buffer_load_dword v197, off, s[0:3], 0 offset:192
	buffer_load_dword v198, off, s[0:3], 0 offset:196
	;; [unrolled: 1-line block ×42, first 2 shown]
	v_cmp_lt_u32_e32 vcc, 10, v0
	s_waitcnt vmcnt(62) lgkmcnt(5)
	v_mul_f32_e32 v123, v99, v171
	v_mul_f32_e32 v124, v101, v172
	s_waitcnt lgkmcnt(4)
	v_mul_f32_e32 v125, v103, v173
	v_mul_f32_e32 v126, v105, v174
	s_waitcnt lgkmcnt(3)
	v_mul_f32_e32 v127, v107, v175
	v_mul_f32_e32 v128, v109, v176
	s_waitcnt vmcnt(61) lgkmcnt(2)
	v_mul_f32_e32 v129, v111, v177
	s_waitcnt vmcnt(60)
	v_mul_f32_e32 v130, v113, v178
	s_waitcnt vmcnt(59) lgkmcnt(1)
	v_mul_f32_e32 v131, v115, v179
	s_waitcnt vmcnt(58)
	v_fmac_f32_e32 v123, v100, v180
	s_waitcnt vmcnt(57)
	v_fmac_f32_e32 v124, v102, v181
	v_add_f32_e32 v123, 0, v123
	s_waitcnt vmcnt(56)
	v_fmac_f32_e32 v125, v104, v182
	v_add_f32_e32 v123, v123, v124
	;; [unrolled: 3-line block ×8, first 2 shown]
	s_waitcnt vmcnt(49)
	v_mul_f32_e32 v124, v117, v189
	v_add_f32_e32 v123, v123, v131
	s_waitcnt vmcnt(48)
	v_fmac_f32_e32 v124, v118, v190
	v_add_f32_e32 v123, v123, v124
	s_waitcnt vmcnt(47) lgkmcnt(0)
	v_mul_f32_e32 v124, v119, v191
	s_waitcnt vmcnt(46)
	v_fmac_f32_e32 v124, v120, v192
	v_add_f32_e32 v123, v123, v124
	s_waitcnt vmcnt(42)
	v_mul_f32_e32 v124, v121, v196
	v_fmac_f32_e32 v124, v122, v195
	v_add_f32_e32 v131, v123, v124
	ds_read_b128 v[123:126], v98 offset:576
	buffer_load_dword v239, off, s[0:3], 0 offset:364
	buffer_load_dword v240, off, s[0:3], 0 offset:360
	;; [unrolled: 1-line block ×4, first 2 shown]
	ds_read_b128 v[127:130], v98 offset:592
	buffer_load_dword v243, off, s[0:3], 0 offset:376
	buffer_load_dword v244, off, s[0:3], 0 offset:380
	v_mul_f32_e32 v100, v100, v171
	v_fma_f32 v99, v99, v180, -v100
	v_mul_f32_e32 v100, v102, v172
	v_add_f32_e32 v99, 0, v99
	v_fma_f32 v100, v101, v181, -v100
	v_add_f32_e32 v99, v99, v100
	v_mul_f32_e32 v100, v104, v173
	v_fma_f32 v100, v103, v182, -v100
	v_add_f32_e32 v99, v99, v100
	v_mul_f32_e32 v100, v106, v174
	;; [unrolled: 3-line block ×3, first 2 shown]
	s_waitcnt vmcnt(46) lgkmcnt(1)
	v_mul_f32_e32 v132, v123, v198
	v_fma_f32 v100, v107, v184, -v100
	v_fmac_f32_e32 v132, v124, v197
	v_add_f32_e32 v99, v99, v100
	v_mul_f32_e32 v100, v110, v176
	v_add_f32_e32 v131, v131, v132
	s_waitcnt vmcnt(44)
	v_mul_f32_e32 v132, v125, v200
	v_fma_f32 v100, v109, v185, -v100
	v_fmac_f32_e32 v132, v126, v199
	v_add_f32_e32 v99, v99, v100
	v_mul_f32_e32 v100, v112, v177
	v_add_f32_e32 v131, v131, v132
	s_waitcnt vmcnt(42) lgkmcnt(0)
	v_mul_f32_e32 v132, v127, v202
	v_fma_f32 v100, v111, v186, -v100
	v_fmac_f32_e32 v132, v128, v201
	v_add_f32_e32 v99, v99, v100
	v_mul_f32_e32 v100, v114, v178
	v_add_f32_e32 v135, v131, v132
	ds_read_b128 v[131:134], v98 offset:608
	v_fma_f32 v100, v113, v187, -v100
	v_add_f32_e32 v99, v99, v100
	v_mul_f32_e32 v100, v116, v179
	s_waitcnt vmcnt(40)
	v_mul_f32_e32 v136, v129, v204
	v_fma_f32 v100, v115, v188, -v100
	v_fmac_f32_e32 v136, v130, v203
	v_add_f32_e32 v99, v99, v100
	v_mul_f32_e32 v100, v118, v189
	v_add_f32_e32 v139, v135, v136
	ds_read_b128 v[135:138], v98 offset:624
	v_fma_f32 v100, v117, v190, -v100
	s_waitcnt vmcnt(38) lgkmcnt(1)
	v_mul_f32_e32 v140, v131, v206
	v_add_f32_e32 v99, v99, v100
	v_mul_f32_e32 v100, v120, v191
	v_fmac_f32_e32 v140, v132, v205
	v_fma_f32 v100, v119, v192, -v100
	v_add_f32_e32 v139, v139, v140
	s_waitcnt vmcnt(36)
	v_mul_f32_e32 v140, v133, v208
	v_add_f32_e32 v99, v99, v100
	v_mul_f32_e32 v100, v122, v196
	v_fmac_f32_e32 v140, v134, v207
	v_fma_f32 v100, v121, v195, -v100
	v_add_f32_e32 v139, v139, v140
	s_waitcnt vmcnt(34) lgkmcnt(0)
	v_mul_f32_e32 v140, v135, v210
	v_add_f32_e32 v99, v99, v100
	v_mul_f32_e32 v100, v124, v198
	v_fmac_f32_e32 v140, v136, v209
	v_fma_f32 v100, v123, v197, -v100
	v_add_f32_e32 v143, v139, v140
	ds_read_b128 v[139:142], v98 offset:640
	v_add_f32_e32 v99, v99, v100
	v_mul_f32_e32 v100, v126, v200
	v_fma_f32 v100, v125, v199, -v100
	s_waitcnt vmcnt(32)
	v_mul_f32_e32 v144, v137, v212
	v_add_f32_e32 v99, v99, v100
	v_mul_f32_e32 v100, v128, v202
	v_fmac_f32_e32 v144, v138, v211
	v_fma_f32 v100, v127, v201, -v100
	v_add_f32_e32 v147, v143, v144
	ds_read_b128 v[143:146], v98 offset:656
	v_add_f32_e32 v99, v99, v100
	v_mul_f32_e32 v100, v130, v204
	s_waitcnt vmcnt(30) lgkmcnt(1)
	v_mul_f32_e32 v148, v139, v214
	v_fma_f32 v100, v129, v203, -v100
	v_fmac_f32_e32 v148, v140, v213
	v_add_f32_e32 v99, v99, v100
	v_mul_f32_e32 v100, v132, v206
	v_add_f32_e32 v147, v147, v148
	s_waitcnt vmcnt(28)
	v_mul_f32_e32 v148, v141, v216
	v_fma_f32 v100, v131, v205, -v100
	v_fmac_f32_e32 v148, v142, v215
	v_add_f32_e32 v99, v99, v100
	v_mul_f32_e32 v100, v134, v208
	v_add_f32_e32 v147, v147, v148
	s_waitcnt vmcnt(26) lgkmcnt(0)
	v_mul_f32_e32 v148, v143, v218
	v_fma_f32 v100, v133, v207, -v100
	v_fmac_f32_e32 v148, v144, v217
	v_add_f32_e32 v99, v99, v100
	v_mul_f32_e32 v100, v136, v210
	v_add_f32_e32 v151, v147, v148
	ds_read_b128 v[147:150], v98 offset:672
	v_fma_f32 v100, v135, v209, -v100
	v_add_f32_e32 v99, v99, v100
	v_mul_f32_e32 v100, v138, v212
	s_waitcnt vmcnt(24)
	v_mul_f32_e32 v152, v145, v220
	v_fma_f32 v100, v137, v211, -v100
	v_fmac_f32_e32 v152, v146, v219
	v_add_f32_e32 v99, v99, v100
	v_mul_f32_e32 v100, v140, v214
	v_add_f32_e32 v155, v151, v152
	ds_read_b128 v[151:154], v98 offset:688
	v_fma_f32 v100, v139, v213, -v100
	s_waitcnt vmcnt(22) lgkmcnt(1)
	v_mul_f32_e32 v156, v147, v222
	v_add_f32_e32 v99, v99, v100
	v_mul_f32_e32 v100, v142, v216
	v_fmac_f32_e32 v156, v148, v221
	v_fma_f32 v100, v141, v215, -v100
	v_add_f32_e32 v155, v155, v156
	s_waitcnt vmcnt(20)
	v_mul_f32_e32 v156, v149, v224
	v_add_f32_e32 v99, v99, v100
	v_mul_f32_e32 v100, v144, v218
	v_fmac_f32_e32 v156, v150, v223
	v_fma_f32 v100, v143, v217, -v100
	v_add_f32_e32 v155, v155, v156
	s_waitcnt vmcnt(18) lgkmcnt(0)
	v_mul_f32_e32 v156, v151, v226
	v_add_f32_e32 v99, v99, v100
	v_mul_f32_e32 v100, v146, v220
	v_fmac_f32_e32 v156, v152, v225
	v_fma_f32 v100, v145, v219, -v100
	v_add_f32_e32 v159, v155, v156
	ds_read_b128 v[155:158], v98 offset:704
	v_add_f32_e32 v99, v99, v100
	v_mul_f32_e32 v100, v148, v222
	v_fma_f32 v100, v147, v221, -v100
	s_waitcnt vmcnt(16)
	v_mul_f32_e32 v160, v153, v228
	v_add_f32_e32 v99, v99, v100
	v_mul_f32_e32 v100, v150, v224
	v_fmac_f32_e32 v160, v154, v227
	v_fma_f32 v100, v149, v223, -v100
	v_add_f32_e32 v163, v159, v160
	ds_read_b128 v[159:162], v98 offset:720
	v_add_f32_e32 v99, v99, v100
	v_mul_f32_e32 v100, v152, v226
	s_waitcnt vmcnt(14) lgkmcnt(1)
	v_mul_f32_e32 v164, v155, v230
	v_fma_f32 v100, v151, v225, -v100
	v_fmac_f32_e32 v164, v156, v229
	v_add_f32_e32 v99, v99, v100
	v_mul_f32_e32 v100, v154, v228
	v_add_f32_e32 v163, v163, v164
	s_waitcnt vmcnt(13)
	v_mul_f32_e32 v164, v157, v231
	v_fma_f32 v100, v153, v227, -v100
	s_waitcnt vmcnt(12)
	v_fmac_f32_e32 v164, v158, v232
	v_add_f32_e32 v99, v99, v100
	v_mul_f32_e32 v100, v156, v230
	v_add_f32_e32 v163, v163, v164
	s_waitcnt vmcnt(10) lgkmcnt(0)
	v_mul_f32_e32 v164, v159, v234
	v_fma_f32 v100, v155, v229, -v100
	v_fmac_f32_e32 v164, v160, v233
	v_add_f32_e32 v99, v99, v100
	v_mul_f32_e32 v100, v158, v231
	v_add_f32_e32 v167, v163, v164
	ds_read_b128 v[163:166], v98 offset:736
	v_fma_f32 v100, v157, v232, -v100
	v_add_f32_e32 v99, v99, v100
	v_mul_f32_e32 v100, v160, v234
	s_waitcnt vmcnt(8)
	v_mul_f32_e32 v168, v161, v236
	v_fma_f32 v100, v159, v233, -v100
	v_fmac_f32_e32 v168, v162, v235
	v_add_f32_e32 v99, v99, v100
	v_mul_f32_e32 v100, v162, v236
	v_add_f32_e32 v245, v167, v168
	ds_read_b128 v[167:170], v98 offset:752
	v_fma_f32 v100, v161, v235, -v100
	v_add_f32_e32 v99, v99, v100
	s_waitcnt vmcnt(6) lgkmcnt(1)
	v_mul_f32_e32 v100, v164, v238
	v_mul_f32_e32 v98, v163, v238
	v_fma_f32 v100, v163, v237, -v100
	v_fmac_f32_e32 v98, v164, v237
	v_add_f32_e32 v99, v99, v100
	s_waitcnt vmcnt(5)
	v_mul_f32_e32 v100, v166, v239
	v_add_f32_e32 v98, v245, v98
	v_mul_f32_e32 v245, v165, v239
	s_waitcnt vmcnt(4)
	v_fma_f32 v100, v165, v240, -v100
	v_fmac_f32_e32 v245, v166, v240
	v_add_f32_e32 v99, v99, v100
	s_waitcnt vmcnt(2) lgkmcnt(0)
	v_mul_f32_e32 v100, v168, v242
	v_add_f32_e32 v98, v98, v245
	v_mul_f32_e32 v245, v167, v242
	v_fma_f32 v100, v167, v241, -v100
	v_fmac_f32_e32 v245, v168, v241
	v_add_f32_e32 v99, v99, v100
	s_waitcnt vmcnt(0)
	v_mul_f32_e32 v100, v170, v244
	v_add_f32_e32 v98, v98, v245
	v_mul_f32_e32 v245, v169, v244
	v_fma_f32 v100, v169, v243, -v100
	v_fmac_f32_e32 v245, v170, v243
	v_add_f32_e32 v99, v99, v100
	v_add_f32_e32 v98, v98, v245
	v_sub_f32_e32 v99, v193, v99
	v_sub_f32_e32 v98, v194, v98
	buffer_store_dword v99, off, s[0:3], 0 offset:88
	buffer_store_dword v98, off, s[0:3], 0 offset:92
	s_and_saveexec_b64 s[4:5], vcc
	s_cbranch_execz .LBB47_281
; %bb.280:
	buffer_load_dword v98, off, s[0:3], 0 offset:80
	buffer_load_dword v99, off, s[0:3], 0 offset:84
	v_mov_b32_e32 v100, 0
	buffer_store_dword v100, off, s[0:3], 0 offset:80
	buffer_store_dword v100, off, s[0:3], 0 offset:84
	s_waitcnt vmcnt(2)
	ds_write_b64 v97, v[98:99]
.LBB47_281:
	s_or_b64 exec, exec, s[4:5]
	s_waitcnt lgkmcnt(0)
	; wave barrier
	buffer_load_dword v173, off, s[0:3], 0 offset:92
	buffer_load_dword v174, off, s[0:3], 0 offset:100
	;; [unrolled: 1-line block ×52, first 2 shown]
	v_mov_b32_e32 v98, 0
	ds_read2_b64 v[99:102], v98 offset0:59 offset1:60
	ds_read2_b64 v[103:106], v98 offset0:61 offset1:62
	;; [unrolled: 1-line block ×6, first 2 shown]
	buffer_load_dword v225, off, s[0:3], 0 offset:292
	buffer_load_dword v226, off, s[0:3], 0 offset:288
	;; [unrolled: 1-line block ×14, first 2 shown]
	v_cmp_lt_u32_e32 vcc, 9, v0
	s_waitcnt vmcnt(62) lgkmcnt(5)
	v_mul_f32_e32 v123, v99, v173
	v_mul_f32_e32 v124, v101, v174
	s_waitcnt lgkmcnt(4)
	v_mul_f32_e32 v125, v103, v175
	v_mul_f32_e32 v126, v105, v176
	s_waitcnt vmcnt(61) lgkmcnt(3)
	v_mul_f32_e32 v127, v107, v177
	s_waitcnt vmcnt(60)
	v_mul_f32_e32 v128, v109, v178
	s_waitcnt vmcnt(59) lgkmcnt(2)
	v_mul_f32_e32 v129, v111, v179
	s_waitcnt vmcnt(58)
	;; [unrolled: 4-line block ×3, first 2 shown]
	v_fmac_f32_e32 v123, v100, v182
	s_waitcnt vmcnt(55)
	v_fmac_f32_e32 v124, v102, v183
	v_add_f32_e32 v123, 0, v123
	s_waitcnt vmcnt(54)
	v_fmac_f32_e32 v125, v104, v184
	v_add_f32_e32 v123, v123, v124
	;; [unrolled: 3-line block ×8, first 2 shown]
	s_waitcnt vmcnt(47)
	v_mul_f32_e32 v124, v117, v191
	v_add_f32_e32 v123, v123, v131
	s_waitcnt vmcnt(46)
	v_fmac_f32_e32 v124, v118, v192
	v_add_f32_e32 v123, v123, v124
	s_waitcnt vmcnt(45) lgkmcnt(0)
	v_mul_f32_e32 v124, v119, v193
	s_waitcnt vmcnt(44)
	v_fmac_f32_e32 v124, v120, v194
	v_add_f32_e32 v127, v123, v124
	ds_read2_b64 v[123:126], v98 offset0:71 offset1:72
	buffer_load_dword v239, off, s[0:3], 0 offset:344
	buffer_load_dword v240, off, s[0:3], 0 offset:348
	s_waitcnt vmcnt(43)
	v_mul_f32_e32 v128, v121, v197
	s_waitcnt vmcnt(42)
	v_fmac_f32_e32 v128, v122, v198
	v_add_f32_e32 v131, v127, v128
	ds_read2_b64 v[127:130], v98 offset0:73 offset1:74
	buffer_load_dword v241, off, s[0:3], 0 offset:356
	buffer_load_dword v242, off, s[0:3], 0 offset:352
	buffer_load_dword v243, off, s[0:3], 0 offset:360
	buffer_load_dword v244, off, s[0:3], 0 offset:364
	buffer_load_dword v245, off, s[0:3], 0 offset:372
	buffer_load_dword v246, off, s[0:3], 0 offset:368
	buffer_load_dword v247, off, s[0:3], 0 offset:376
	buffer_load_dword v248, off, s[0:3], 0 offset:380
	v_mul_f32_e32 v100, v100, v173
	v_fma_f32 v99, v99, v182, -v100
	v_mul_f32_e32 v100, v102, v174
	v_add_f32_e32 v99, 0, v99
	v_fma_f32 v100, v101, v183, -v100
	v_add_f32_e32 v99, v99, v100
	v_mul_f32_e32 v100, v104, v175
	v_fma_f32 v100, v103, v184, -v100
	v_add_f32_e32 v99, v99, v100
	v_mul_f32_e32 v100, v106, v176
	v_fma_f32 v100, v105, v185, -v100
	s_waitcnt vmcnt(48) lgkmcnt(1)
	v_mul_f32_e32 v132, v123, v200
	v_add_f32_e32 v99, v99, v100
	v_mul_f32_e32 v100, v108, v177
	v_fmac_f32_e32 v132, v124, v199
	v_fma_f32 v100, v107, v186, -v100
	v_add_f32_e32 v131, v131, v132
	s_waitcnt vmcnt(46)
	v_mul_f32_e32 v132, v125, v202
	v_add_f32_e32 v99, v99, v100
	v_mul_f32_e32 v100, v110, v178
	v_fmac_f32_e32 v132, v126, v201
	v_fma_f32 v100, v109, v187, -v100
	v_add_f32_e32 v131, v131, v132
	s_waitcnt vmcnt(44) lgkmcnt(0)
	v_mul_f32_e32 v132, v127, v204
	v_add_f32_e32 v99, v99, v100
	v_mul_f32_e32 v100, v112, v179
	v_fmac_f32_e32 v132, v128, v203
	v_fma_f32 v100, v111, v188, -v100
	v_add_f32_e32 v135, v131, v132
	ds_read2_b64 v[131:134], v98 offset0:75 offset1:76
	v_add_f32_e32 v99, v99, v100
	v_mul_f32_e32 v100, v114, v180
	v_fma_f32 v100, v113, v189, -v100
	s_waitcnt vmcnt(42)
	v_mul_f32_e32 v136, v129, v206
	v_add_f32_e32 v99, v99, v100
	v_mul_f32_e32 v100, v116, v181
	v_fmac_f32_e32 v136, v130, v205
	v_fma_f32 v100, v115, v190, -v100
	v_add_f32_e32 v139, v135, v136
	ds_read2_b64 v[135:138], v98 offset0:77 offset1:78
	v_add_f32_e32 v99, v99, v100
	v_mul_f32_e32 v100, v118, v191
	s_waitcnt vmcnt(40) lgkmcnt(1)
	v_mul_f32_e32 v140, v131, v208
	v_fma_f32 v100, v117, v192, -v100
	v_fmac_f32_e32 v140, v132, v207
	v_add_f32_e32 v99, v99, v100
	v_mul_f32_e32 v100, v120, v193
	v_add_f32_e32 v139, v139, v140
	s_waitcnt vmcnt(38)
	v_mul_f32_e32 v140, v133, v210
	v_fma_f32 v100, v119, v194, -v100
	v_fmac_f32_e32 v140, v134, v209
	v_add_f32_e32 v99, v99, v100
	v_mul_f32_e32 v100, v122, v197
	v_add_f32_e32 v139, v139, v140
	s_waitcnt vmcnt(36) lgkmcnt(0)
	v_mul_f32_e32 v140, v135, v212
	v_fma_f32 v100, v121, v198, -v100
	v_fmac_f32_e32 v140, v136, v211
	v_add_f32_e32 v99, v99, v100
	v_mul_f32_e32 v100, v124, v200
	v_add_f32_e32 v143, v139, v140
	ds_read2_b64 v[139:142], v98 offset0:79 offset1:80
	v_fma_f32 v100, v123, v199, -v100
	v_add_f32_e32 v99, v99, v100
	v_mul_f32_e32 v100, v126, v202
	s_waitcnt vmcnt(34)
	v_mul_f32_e32 v144, v137, v214
	v_fma_f32 v100, v125, v201, -v100
	v_fmac_f32_e32 v144, v138, v213
	v_add_f32_e32 v99, v99, v100
	v_mul_f32_e32 v100, v128, v204
	v_add_f32_e32 v147, v143, v144
	ds_read2_b64 v[143:146], v98 offset0:81 offset1:82
	v_fma_f32 v100, v127, v203, -v100
	s_waitcnt vmcnt(32) lgkmcnt(1)
	v_mul_f32_e32 v148, v139, v216
	v_add_f32_e32 v99, v99, v100
	v_mul_f32_e32 v100, v130, v206
	v_fmac_f32_e32 v148, v140, v215
	v_fma_f32 v100, v129, v205, -v100
	v_add_f32_e32 v147, v147, v148
	s_waitcnt vmcnt(30)
	v_mul_f32_e32 v148, v141, v218
	v_add_f32_e32 v99, v99, v100
	v_mul_f32_e32 v100, v132, v208
	v_fmac_f32_e32 v148, v142, v217
	v_fma_f32 v100, v131, v207, -v100
	v_add_f32_e32 v147, v147, v148
	s_waitcnt vmcnt(28) lgkmcnt(0)
	v_mul_f32_e32 v148, v143, v220
	v_add_f32_e32 v99, v99, v100
	v_mul_f32_e32 v100, v134, v210
	v_fmac_f32_e32 v148, v144, v219
	v_fma_f32 v100, v133, v209, -v100
	v_add_f32_e32 v151, v147, v148
	ds_read2_b64 v[147:150], v98 offset0:83 offset1:84
	v_add_f32_e32 v99, v99, v100
	v_mul_f32_e32 v100, v136, v212
	v_fma_f32 v100, v135, v211, -v100
	s_waitcnt vmcnt(26)
	v_mul_f32_e32 v152, v145, v222
	v_add_f32_e32 v99, v99, v100
	v_mul_f32_e32 v100, v138, v214
	v_fmac_f32_e32 v152, v146, v221
	v_fma_f32 v100, v137, v213, -v100
	v_add_f32_e32 v155, v151, v152
	ds_read2_b64 v[151:154], v98 offset0:85 offset1:86
	v_add_f32_e32 v99, v99, v100
	v_mul_f32_e32 v100, v140, v216
	s_waitcnt vmcnt(24) lgkmcnt(1)
	v_mul_f32_e32 v156, v147, v224
	v_fma_f32 v100, v139, v215, -v100
	v_fmac_f32_e32 v156, v148, v223
	v_add_f32_e32 v99, v99, v100
	v_mul_f32_e32 v100, v142, v218
	v_add_f32_e32 v155, v155, v156
	s_waitcnt vmcnt(23)
	v_mul_f32_e32 v156, v149, v225
	v_fma_f32 v100, v141, v217, -v100
	s_waitcnt vmcnt(22)
	v_fmac_f32_e32 v156, v150, v226
	v_add_f32_e32 v99, v99, v100
	v_mul_f32_e32 v100, v144, v220
	v_add_f32_e32 v155, v155, v156
	s_waitcnt vmcnt(20) lgkmcnt(0)
	v_mul_f32_e32 v156, v151, v228
	v_fma_f32 v100, v143, v219, -v100
	v_fmac_f32_e32 v156, v152, v227
	v_add_f32_e32 v99, v99, v100
	v_mul_f32_e32 v100, v146, v222
	v_add_f32_e32 v159, v155, v156
	ds_read2_b64 v[155:158], v98 offset0:87 offset1:88
	v_fma_f32 v100, v145, v221, -v100
	v_add_f32_e32 v99, v99, v100
	v_mul_f32_e32 v100, v148, v224
	s_waitcnt vmcnt(18)
	v_mul_f32_e32 v160, v153, v230
	v_fma_f32 v100, v147, v223, -v100
	v_fmac_f32_e32 v160, v154, v229
	v_add_f32_e32 v99, v99, v100
	v_mul_f32_e32 v100, v150, v225
	v_add_f32_e32 v163, v159, v160
	ds_read2_b64 v[159:162], v98 offset0:89 offset1:90
	v_fma_f32 v100, v149, v226, -v100
	s_waitcnt vmcnt(16) lgkmcnt(1)
	v_mul_f32_e32 v164, v155, v232
	v_add_f32_e32 v99, v99, v100
	v_mul_f32_e32 v100, v152, v228
	v_fmac_f32_e32 v164, v156, v231
	v_fma_f32 v100, v151, v227, -v100
	v_add_f32_e32 v163, v163, v164
	s_waitcnt vmcnt(15)
	v_mul_f32_e32 v164, v157, v233
	v_add_f32_e32 v99, v99, v100
	v_mul_f32_e32 v100, v154, v230
	s_waitcnt vmcnt(14)
	v_fmac_f32_e32 v164, v158, v234
	v_fma_f32 v100, v153, v229, -v100
	v_add_f32_e32 v163, v163, v164
	s_waitcnt vmcnt(12) lgkmcnt(0)
	v_mul_f32_e32 v164, v159, v236
	v_add_f32_e32 v99, v99, v100
	v_mul_f32_e32 v100, v156, v232
	v_fmac_f32_e32 v164, v160, v235
	v_fma_f32 v100, v155, v231, -v100
	v_add_f32_e32 v167, v163, v164
	ds_read2_b64 v[163:166], v98 offset0:91 offset1:92
	v_add_f32_e32 v99, v99, v100
	v_mul_f32_e32 v100, v158, v233
	v_fma_f32 v100, v157, v234, -v100
	v_add_f32_e32 v99, v99, v100
	v_mul_f32_e32 v100, v160, v236
	s_waitcnt vmcnt(10)
	v_mul_f32_e32 v168, v161, v238
	v_fma_f32 v100, v159, v235, -v100
	v_fmac_f32_e32 v168, v162, v237
	v_add_f32_e32 v99, v99, v100
	v_mul_f32_e32 v100, v162, v238
	v_add_f32_e32 v171, v167, v168
	ds_read2_b64 v[167:170], v98 offset0:93 offset1:94
	s_waitcnt vmcnt(8) lgkmcnt(1)
	v_mul_f32_e32 v172, v163, v240
	v_fma_f32 v100, v161, v237, -v100
	v_fmac_f32_e32 v172, v164, v239
	v_add_f32_e32 v99, v99, v100
	v_mul_f32_e32 v100, v164, v240
	v_add_f32_e32 v171, v171, v172
	s_waitcnt vmcnt(7)
	v_mul_f32_e32 v172, v165, v241
	v_fma_f32 v100, v163, v239, -v100
	s_waitcnt vmcnt(6)
	v_fmac_f32_e32 v172, v166, v242
	v_add_f32_e32 v99, v99, v100
	v_mul_f32_e32 v100, v166, v241
	v_add_f32_e32 v249, v171, v172
	ds_read_b64 v[171:172], v98 offset:760
	v_fma_f32 v100, v165, v242, -v100
	v_add_f32_e32 v99, v99, v100
	s_waitcnt vmcnt(4) lgkmcnt(1)
	v_mul_f32_e32 v100, v168, v244
	v_mul_f32_e32 v250, v167, v244
	v_fma_f32 v100, v167, v243, -v100
	v_fmac_f32_e32 v250, v168, v243
	v_add_f32_e32 v99, v99, v100
	s_waitcnt vmcnt(3)
	v_mul_f32_e32 v100, v170, v245
	v_add_f32_e32 v249, v249, v250
	v_mul_f32_e32 v250, v169, v245
	s_waitcnt vmcnt(2)
	v_fma_f32 v100, v169, v246, -v100
	v_fmac_f32_e32 v250, v170, v246
	v_add_f32_e32 v99, v99, v100
	s_waitcnt vmcnt(0) lgkmcnt(0)
	v_mul_f32_e32 v100, v172, v248
	v_add_f32_e32 v249, v249, v250
	v_mul_f32_e32 v250, v171, v248
	v_fma_f32 v100, v171, v247, -v100
	v_fmac_f32_e32 v250, v172, v247
	v_add_f32_e32 v99, v99, v100
	v_add_f32_e32 v249, v249, v250
	v_sub_f32_e32 v99, v195, v99
	v_sub_f32_e32 v100, v196, v249
	buffer_store_dword v99, off, s[0:3], 0 offset:80
	buffer_store_dword v100, off, s[0:3], 0 offset:84
	s_and_saveexec_b64 s[4:5], vcc
	s_cbranch_execz .LBB47_283
; %bb.282:
	buffer_load_dword v99, off, s[0:3], 0 offset:72
	buffer_load_dword v100, off, s[0:3], 0 offset:76
	s_waitcnt vmcnt(0)
	ds_write_b64 v97, v[99:100]
	buffer_store_dword v98, off, s[0:3], 0 offset:72
	buffer_store_dword v98, off, s[0:3], 0 offset:76
.LBB47_283:
	s_or_b64 exec, exec, s[4:5]
	s_waitcnt lgkmcnt(0)
	; wave barrier
	buffer_load_dword v175, off, s[0:3], 0 offset:84
	buffer_load_dword v176, off, s[0:3], 0 offset:92
	;; [unrolled: 1-line block ×26, first 2 shown]
	ds_read_b128 v[99:102], v98 offset:464
	ds_read_b128 v[103:106], v98 offset:480
	;; [unrolled: 1-line block ×4, first 2 shown]
	buffer_load_dword v201, off, s[0:3], 0 offset:180
	ds_read_b128 v[115:118], v98 offset:528
	ds_read_b128 v[119:122], v98 offset:544
	buffer_load_dword v202, off, s[0:3], 0 offset:176
	buffer_load_dword v203, off, s[0:3], 0 offset:184
	buffer_load_dword v204, off, s[0:3], 0 offset:188
	buffer_load_dword v205, off, s[0:3], 0 offset:192
	buffer_load_dword v206, off, s[0:3], 0 offset:196
	buffer_load_dword v207, off, s[0:3], 0 offset:200
	buffer_load_dword v208, off, s[0:3], 0 offset:204
	buffer_load_dword v209, off, s[0:3], 0 offset:208
	buffer_load_dword v210, off, s[0:3], 0 offset:212
	buffer_load_dword v211, off, s[0:3], 0 offset:216
	buffer_load_dword v212, off, s[0:3], 0 offset:220
	buffer_load_dword v213, off, s[0:3], 0 offset:224
	buffer_load_dword v214, off, s[0:3], 0 offset:228
	buffer_load_dword v215, off, s[0:3], 0 offset:232
	buffer_load_dword v216, off, s[0:3], 0 offset:236
	buffer_load_dword v217, off, s[0:3], 0 offset:240
	buffer_load_dword v218, off, s[0:3], 0 offset:244
	buffer_load_dword v219, off, s[0:3], 0 offset:248
	buffer_load_dword v220, off, s[0:3], 0 offset:252
	buffer_load_dword v221, off, s[0:3], 0 offset:256
	buffer_load_dword v222, off, s[0:3], 0 offset:260
	buffer_load_dword v223, off, s[0:3], 0 offset:264
	buffer_load_dword v224, off, s[0:3], 0 offset:268
	buffer_load_dword v225, off, s[0:3], 0 offset:272
	buffer_load_dword v226, off, s[0:3], 0 offset:276
	buffer_load_dword v227, off, s[0:3], 0 offset:284
	buffer_load_dword v228, off, s[0:3], 0 offset:280
	buffer_load_dword v229, off, s[0:3], 0 offset:288
	buffer_load_dword v230, off, s[0:3], 0 offset:292
	buffer_load_dword v231, off, s[0:3], 0 offset:296
	buffer_load_dword v232, off, s[0:3], 0 offset:300
	buffer_load_dword v233, off, s[0:3], 0 offset:304
	buffer_load_dword v234, off, s[0:3], 0 offset:308
	buffer_load_dword v235, off, s[0:3], 0 offset:316
	buffer_load_dword v236, off, s[0:3], 0 offset:312
	buffer_load_dword v237, off, s[0:3], 0 offset:320
	buffer_load_dword v238, off, s[0:3], 0 offset:324
	v_cmp_lt_u32_e32 vcc, 8, v0
	s_waitcnt vmcnt(62) lgkmcnt(5)
	v_mul_f32_e32 v123, v99, v175
	v_mul_f32_e32 v124, v101, v176
	s_waitcnt vmcnt(61) lgkmcnt(4)
	v_mul_f32_e32 v125, v103, v177
	s_waitcnt vmcnt(60)
	v_mul_f32_e32 v126, v105, v178
	s_waitcnt vmcnt(59) lgkmcnt(3)
	v_mul_f32_e32 v127, v107, v179
	s_waitcnt vmcnt(58)
	;; [unrolled: 4-line block ×4, first 2 shown]
	v_mul_f32_e32 v132, v117, v184
	s_waitcnt vmcnt(53)
	v_fmac_f32_e32 v123, v100, v185
	s_waitcnt vmcnt(52)
	v_fmac_f32_e32 v124, v102, v186
	v_add_f32_e32 v123, 0, v123
	s_waitcnt vmcnt(51)
	v_fmac_f32_e32 v125, v104, v187
	v_add_f32_e32 v123, v123, v124
	;; [unrolled: 3-line block ×9, first 2 shown]
	s_waitcnt vmcnt(43) lgkmcnt(0)
	v_mul_f32_e32 v124, v119, v195
	v_add_f32_e32 v123, v123, v132
	s_waitcnt vmcnt(42)
	v_fmac_f32_e32 v124, v120, v196
	v_add_f32_e32 v127, v123, v124
	s_waitcnt vmcnt(41)
	v_mul_f32_e32 v128, v121, v197
	ds_read_b128 v[123:126], v98 offset:560
	buffer_load_dword v239, off, s[0:3], 0 offset:328
	buffer_load_dword v240, off, s[0:3], 0 offset:332
	s_waitcnt vmcnt(42)
	v_fmac_f32_e32 v128, v122, v198
	v_add_f32_e32 v131, v127, v128
	ds_read_b128 v[127:130], v98 offset:576
	buffer_load_dword v241, off, s[0:3], 0 offset:336
	buffer_load_dword v242, off, s[0:3], 0 offset:340
	;; [unrolled: 1-line block ×12, first 2 shown]
	v_mul_f32_e32 v100, v100, v175
	v_fma_f32 v99, v99, v185, -v100
	v_mul_f32_e32 v100, v102, v176
	v_add_f32_e32 v99, 0, v99
	v_fma_f32 v100, v101, v186, -v100
	v_add_f32_e32 v99, v99, v100
	v_mul_f32_e32 v100, v104, v177
	v_fma_f32 v100, v103, v187, -v100
	v_add_f32_e32 v99, v99, v100
	v_mul_f32_e32 v100, v106, v178
	v_fma_f32 v100, v105, v188, -v100
	s_waitcnt vmcnt(51) lgkmcnt(1)
	v_mul_f32_e32 v132, v123, v201
	v_add_f32_e32 v99, v99, v100
	v_mul_f32_e32 v100, v108, v179
	s_waitcnt vmcnt(50)
	v_fmac_f32_e32 v132, v124, v202
	v_fma_f32 v100, v107, v189, -v100
	v_add_f32_e32 v131, v131, v132
	s_waitcnt vmcnt(48)
	v_mul_f32_e32 v132, v125, v204
	v_add_f32_e32 v99, v99, v100
	v_mul_f32_e32 v100, v110, v180
	v_fmac_f32_e32 v132, v126, v203
	v_fma_f32 v100, v109, v190, -v100
	v_add_f32_e32 v131, v131, v132
	s_waitcnt vmcnt(46) lgkmcnt(0)
	v_mul_f32_e32 v132, v127, v206
	v_add_f32_e32 v99, v99, v100
	v_mul_f32_e32 v100, v112, v181
	v_fmac_f32_e32 v132, v128, v205
	v_fma_f32 v100, v111, v191, -v100
	v_add_f32_e32 v135, v131, v132
	ds_read_b128 v[131:134], v98 offset:592
	v_add_f32_e32 v99, v99, v100
	v_mul_f32_e32 v100, v114, v182
	v_fma_f32 v100, v113, v192, -v100
	s_waitcnt vmcnt(44)
	v_mul_f32_e32 v136, v129, v208
	v_add_f32_e32 v99, v99, v100
	v_mul_f32_e32 v100, v116, v183
	v_fmac_f32_e32 v136, v130, v207
	v_fma_f32 v100, v115, v193, -v100
	v_add_f32_e32 v139, v135, v136
	ds_read_b128 v[135:138], v98 offset:608
	v_add_f32_e32 v99, v99, v100
	v_mul_f32_e32 v100, v118, v184
	s_waitcnt vmcnt(42) lgkmcnt(1)
	v_mul_f32_e32 v140, v131, v210
	v_fma_f32 v100, v117, v194, -v100
	v_fmac_f32_e32 v140, v132, v209
	v_add_f32_e32 v99, v99, v100
	v_mul_f32_e32 v100, v120, v195
	v_add_f32_e32 v139, v139, v140
	s_waitcnt vmcnt(40)
	v_mul_f32_e32 v140, v133, v212
	v_fma_f32 v100, v119, v196, -v100
	v_fmac_f32_e32 v140, v134, v211
	v_add_f32_e32 v99, v99, v100
	v_mul_f32_e32 v100, v122, v197
	v_add_f32_e32 v139, v139, v140
	s_waitcnt vmcnt(38) lgkmcnt(0)
	v_mul_f32_e32 v140, v135, v214
	v_fma_f32 v100, v121, v198, -v100
	v_fmac_f32_e32 v140, v136, v213
	v_add_f32_e32 v99, v99, v100
	v_mul_f32_e32 v100, v124, v201
	v_add_f32_e32 v143, v139, v140
	ds_read_b128 v[139:142], v98 offset:624
	v_fma_f32 v100, v123, v202, -v100
	v_add_f32_e32 v99, v99, v100
	v_mul_f32_e32 v100, v126, v204
	s_waitcnt vmcnt(36)
	v_mul_f32_e32 v144, v137, v216
	v_fma_f32 v100, v125, v203, -v100
	v_fmac_f32_e32 v144, v138, v215
	v_add_f32_e32 v99, v99, v100
	v_mul_f32_e32 v100, v128, v206
	v_add_f32_e32 v147, v143, v144
	ds_read_b128 v[143:146], v98 offset:640
	v_fma_f32 v100, v127, v205, -v100
	s_waitcnt vmcnt(34) lgkmcnt(1)
	v_mul_f32_e32 v148, v139, v218
	v_add_f32_e32 v99, v99, v100
	v_mul_f32_e32 v100, v130, v208
	v_fmac_f32_e32 v148, v140, v217
	v_fma_f32 v100, v129, v207, -v100
	v_add_f32_e32 v147, v147, v148
	s_waitcnt vmcnt(32)
	v_mul_f32_e32 v148, v141, v220
	v_add_f32_e32 v99, v99, v100
	v_mul_f32_e32 v100, v132, v210
	v_fmac_f32_e32 v148, v142, v219
	v_fma_f32 v100, v131, v209, -v100
	v_add_f32_e32 v147, v147, v148
	s_waitcnt vmcnt(30) lgkmcnt(0)
	v_mul_f32_e32 v148, v143, v222
	v_add_f32_e32 v99, v99, v100
	v_mul_f32_e32 v100, v134, v212
	v_fmac_f32_e32 v148, v144, v221
	v_fma_f32 v100, v133, v211, -v100
	v_add_f32_e32 v151, v147, v148
	ds_read_b128 v[147:150], v98 offset:656
	v_add_f32_e32 v99, v99, v100
	v_mul_f32_e32 v100, v136, v214
	v_fma_f32 v100, v135, v213, -v100
	s_waitcnt vmcnt(28)
	v_mul_f32_e32 v152, v145, v224
	v_add_f32_e32 v99, v99, v100
	v_mul_f32_e32 v100, v138, v216
	v_fmac_f32_e32 v152, v146, v223
	v_fma_f32 v100, v137, v215, -v100
	v_add_f32_e32 v155, v151, v152
	ds_read_b128 v[151:154], v98 offset:672
	v_add_f32_e32 v99, v99, v100
	v_mul_f32_e32 v100, v140, v218
	s_waitcnt vmcnt(26) lgkmcnt(1)
	v_mul_f32_e32 v156, v147, v226
	v_fma_f32 v100, v139, v217, -v100
	v_fmac_f32_e32 v156, v148, v225
	v_add_f32_e32 v99, v99, v100
	v_mul_f32_e32 v100, v142, v220
	v_add_f32_e32 v155, v155, v156
	s_waitcnt vmcnt(25)
	v_mul_f32_e32 v156, v149, v227
	v_fma_f32 v100, v141, v219, -v100
	s_waitcnt vmcnt(24)
	v_fmac_f32_e32 v156, v150, v228
	v_add_f32_e32 v99, v99, v100
	v_mul_f32_e32 v100, v144, v222
	v_add_f32_e32 v155, v155, v156
	s_waitcnt vmcnt(22) lgkmcnt(0)
	v_mul_f32_e32 v156, v151, v230
	v_fma_f32 v100, v143, v221, -v100
	v_fmac_f32_e32 v156, v152, v229
	v_add_f32_e32 v99, v99, v100
	v_mul_f32_e32 v100, v146, v224
	v_add_f32_e32 v159, v155, v156
	ds_read_b128 v[155:158], v98 offset:688
	v_fma_f32 v100, v145, v223, -v100
	v_add_f32_e32 v99, v99, v100
	v_mul_f32_e32 v100, v148, v226
	s_waitcnt vmcnt(20)
	v_mul_f32_e32 v160, v153, v232
	v_fma_f32 v100, v147, v225, -v100
	v_fmac_f32_e32 v160, v154, v231
	v_add_f32_e32 v99, v99, v100
	v_mul_f32_e32 v100, v150, v227
	v_add_f32_e32 v163, v159, v160
	ds_read_b128 v[159:162], v98 offset:704
	v_fma_f32 v100, v149, v228, -v100
	s_waitcnt vmcnt(18) lgkmcnt(1)
	v_mul_f32_e32 v164, v155, v234
	v_add_f32_e32 v99, v99, v100
	v_mul_f32_e32 v100, v152, v230
	v_fmac_f32_e32 v164, v156, v233
	v_fma_f32 v100, v151, v229, -v100
	v_add_f32_e32 v163, v163, v164
	s_waitcnt vmcnt(17)
	v_mul_f32_e32 v164, v157, v235
	v_add_f32_e32 v99, v99, v100
	v_mul_f32_e32 v100, v154, v232
	s_waitcnt vmcnt(16)
	v_fmac_f32_e32 v164, v158, v236
	v_fma_f32 v100, v153, v231, -v100
	v_add_f32_e32 v163, v163, v164
	s_waitcnt vmcnt(14) lgkmcnt(0)
	v_mul_f32_e32 v164, v159, v238
	v_add_f32_e32 v99, v99, v100
	v_mul_f32_e32 v100, v156, v234
	v_fmac_f32_e32 v164, v160, v237
	v_fma_f32 v100, v155, v233, -v100
	v_add_f32_e32 v167, v163, v164
	ds_read_b128 v[163:166], v98 offset:720
	v_add_f32_e32 v99, v99, v100
	v_mul_f32_e32 v100, v158, v235
	v_fma_f32 v100, v157, v236, -v100
	v_add_f32_e32 v99, v99, v100
	v_mul_f32_e32 v100, v160, v238
	s_waitcnt vmcnt(12)
	v_mul_f32_e32 v168, v161, v240
	v_fma_f32 v100, v159, v237, -v100
	v_fmac_f32_e32 v168, v162, v239
	v_add_f32_e32 v99, v99, v100
	v_mul_f32_e32 v100, v162, v240
	v_add_f32_e32 v171, v167, v168
	ds_read_b128 v[167:170], v98 offset:736
	s_waitcnt vmcnt(10) lgkmcnt(1)
	v_mul_f32_e32 v172, v163, v242
	v_fma_f32 v100, v161, v239, -v100
	v_fmac_f32_e32 v172, v164, v241
	v_add_f32_e32 v99, v99, v100
	v_mul_f32_e32 v100, v164, v242
	v_add_f32_e32 v171, v171, v172
	s_waitcnt vmcnt(9)
	v_mul_f32_e32 v172, v165, v243
	v_fma_f32 v100, v163, v241, -v100
	s_waitcnt vmcnt(8)
	v_fmac_f32_e32 v172, v166, v244
	v_add_f32_e32 v99, v99, v100
	v_mul_f32_e32 v100, v166, v243
	v_add_f32_e32 v253, v171, v172
	ds_read_b128 v[171:174], v98 offset:752
	v_fma_f32 v100, v165, v244, -v100
	v_add_f32_e32 v99, v99, v100
	s_waitcnt vmcnt(6) lgkmcnt(1)
	v_mul_f32_e32 v100, v168, v246
	v_mul_f32_e32 v254, v167, v246
	v_fma_f32 v100, v167, v245, -v100
	v_fmac_f32_e32 v254, v168, v245
	v_add_f32_e32 v99, v99, v100
	s_waitcnt vmcnt(4)
	v_mul_f32_e32 v100, v170, v248
	v_add_f32_e32 v98, v253, v254
	v_mul_f32_e32 v253, v169, v248
	v_fma_f32 v100, v169, v247, -v100
	v_fmac_f32_e32 v253, v170, v247
	v_add_f32_e32 v99, v99, v100
	s_waitcnt vmcnt(3) lgkmcnt(0)
	v_mul_f32_e32 v100, v172, v249
	v_add_f32_e32 v98, v98, v253
	v_mul_f32_e32 v253, v171, v249
	s_waitcnt vmcnt(2)
	v_fma_f32 v100, v171, v250, -v100
	v_fmac_f32_e32 v253, v172, v250
	v_add_f32_e32 v99, v99, v100
	s_waitcnt vmcnt(0)
	v_mul_f32_e32 v100, v174, v252
	v_add_f32_e32 v98, v98, v253
	v_mul_f32_e32 v253, v173, v252
	v_fma_f32 v100, v173, v251, -v100
	v_fmac_f32_e32 v253, v174, v251
	v_add_f32_e32 v99, v99, v100
	v_add_f32_e32 v98, v98, v253
	v_sub_f32_e32 v99, v199, v99
	v_sub_f32_e32 v98, v200, v98
	buffer_store_dword v99, off, s[0:3], 0 offset:72
	buffer_store_dword v98, off, s[0:3], 0 offset:76
	s_and_saveexec_b64 s[4:5], vcc
	s_cbranch_execz .LBB47_285
; %bb.284:
	buffer_load_dword v98, off, s[0:3], 0 offset:64
	buffer_load_dword v99, off, s[0:3], 0 offset:68
	v_mov_b32_e32 v100, 0
	buffer_store_dword v100, off, s[0:3], 0 offset:64
	buffer_store_dword v100, off, s[0:3], 0 offset:68
	s_waitcnt vmcnt(2)
	ds_write_b64 v97, v[98:99]
.LBB47_285:
	s_or_b64 exec, exec, s[4:5]
	s_waitcnt lgkmcnt(0)
	; wave barrier
	buffer_load_dword v177, off, s[0:3], 0 offset:76
	buffer_load_dword v178, off, s[0:3], 0 offset:84
	;; [unrolled: 1-line block ×50, first 2 shown]
	v_mov_b32_e32 v98, 0
	ds_read2_b64 v[99:102], v98 offset0:57 offset1:58
	ds_read2_b64 v[103:106], v98 offset0:59 offset1:60
	;; [unrolled: 1-line block ×6, first 2 shown]
	buffer_load_dword v227, off, s[0:3], 0 offset:264
	buffer_load_dword v228, off, s[0:3], 0 offset:268
	;; [unrolled: 1-line block ×8, first 2 shown]
	v_cmp_lt_u32_e32 vcc, 7, v0
	s_waitcnt vmcnt(57) lgkmcnt(5)
	v_mul_f32_e32 v123, v99, v177
	s_waitcnt vmcnt(56)
	v_mul_f32_e32 v124, v101, v178
	s_waitcnt vmcnt(55) lgkmcnt(4)
	v_mul_f32_e32 v125, v103, v179
	s_waitcnt vmcnt(54)
	v_mul_f32_e32 v126, v105, v180
	;; [unrolled: 4-line block ×5, first 2 shown]
	s_waitcnt vmcnt(47) lgkmcnt(0)
	v_mul_f32_e32 v133, v119, v187
	s_waitcnt vmcnt(46)
	v_fmac_f32_e32 v125, v104, v188
	s_waitcnt vmcnt(45)
	v_fmac_f32_e32 v124, v102, v189
	;; [unrolled: 2-line block ×3, first 2 shown]
	v_add_f32_e32 v123, 0, v123
	v_add_f32_e32 v123, v123, v124
	;; [unrolled: 1-line block ×3, first 2 shown]
	s_waitcnt vmcnt(40)
	v_fmac_f32_e32 v126, v106, v194
	v_fmac_f32_e32 v127, v108, v193
	v_add_f32_e32 v123, v123, v126
	v_fmac_f32_e32 v128, v110, v192
	v_add_f32_e32 v123, v123, v127
	;; [unrolled: 2-line block ×3, first 2 shown]
	s_waitcnt vmcnt(36)
	v_fmac_f32_e32 v130, v114, v198
	v_add_f32_e32 v123, v123, v129
	v_fmac_f32_e32 v131, v116, v197
	v_add_f32_e32 v123, v123, v130
	;; [unrolled: 2-line block ×3, first 2 shown]
	v_add_f32_e32 v123, v123, v132
	v_fmac_f32_e32 v133, v120, v195
	v_add_f32_e32 v127, v123, v133
	ds_read2_b64 v[123:126], v98 offset0:69 offset1:70
	buffer_load_dword v235, off, s[0:3], 0 offset:296
	buffer_load_dword v236, off, s[0:3], 0 offset:300
	buffer_load_dword v237, off, s[0:3], 0 offset:308
	buffer_load_dword v238, off, s[0:3], 0 offset:312
	buffer_load_dword v239, off, s[0:3], 0 offset:316
	buffer_load_dword v240, off, s[0:3], 0 offset:304
	s_waitcnt vmcnt(41)
	v_mul_f32_e32 v128, v121, v199
	s_waitcnt vmcnt(34)
	v_fmac_f32_e32 v128, v122, v206
	v_add_f32_e32 v131, v127, v128
	ds_read2_b64 v[127:130], v98 offset0:71 offset1:72
	buffer_load_dword v241, off, s[0:3], 0 offset:320
	buffer_load_dword v242, off, s[0:3], 0 offset:324
	;; [unrolled: 1-line block ×16, first 2 shown]
	s_waitcnt lgkmcnt(1)
	v_mul_f32_e32 v132, v123, v201
	v_fmac_f32_e32 v132, v124, v200
	v_add_f32_e32 v131, v131, v132
	v_mul_f32_e32 v132, v125, v203
	v_fmac_f32_e32 v132, v126, v202
	v_add_f32_e32 v131, v131, v132
	s_waitcnt lgkmcnt(0)
	v_mul_f32_e32 v132, v127, v205
	v_fmac_f32_e32 v132, v128, v204
	v_add_f32_e32 v135, v131, v132
	ds_read2_b64 v[131:134], v98 offset0:73 offset1:74
	s_waitcnt vmcnt(46)
	v_mul_f32_e32 v2, v129, v210
	v_fmac_f32_e32 v2, v130, v209
	v_add_f32_e32 v2, v135, v2
	ds_read2_b64 v[135:138], v98 offset0:75 offset1:76
	s_waitcnt vmcnt(44) lgkmcnt(1)
	v_mul_f32_e32 v139, v131, v212
	v_fmac_f32_e32 v139, v132, v211
	v_add_f32_e32 v2, v2, v139
	s_waitcnt vmcnt(42)
	v_mul_f32_e32 v139, v133, v214
	v_fmac_f32_e32 v139, v134, v213
	v_add_f32_e32 v2, v2, v139
	s_waitcnt vmcnt(40) lgkmcnt(0)
	v_mul_f32_e32 v139, v135, v216
	v_fmac_f32_e32 v139, v136, v215
	v_add_f32_e32 v2, v2, v139
	ds_read2_b64 v[139:142], v98 offset0:77 offset1:78
	s_waitcnt vmcnt(38)
	v_mul_f32_e32 v143, v137, v218
	v_fmac_f32_e32 v143, v138, v217
	v_add_f32_e32 v2, v2, v143
	ds_read2_b64 v[143:146], v98 offset0:79 offset1:80
	s_waitcnt vmcnt(36) lgkmcnt(1)
	v_mul_f32_e32 v147, v139, v220
	v_fmac_f32_e32 v147, v140, v219
	v_add_f32_e32 v2, v2, v147
	s_waitcnt vmcnt(34)
	v_mul_f32_e32 v147, v141, v222
	v_fmac_f32_e32 v147, v142, v221
	v_add_f32_e32 v2, v2, v147
	s_waitcnt vmcnt(32) lgkmcnt(0)
	v_mul_f32_e32 v147, v143, v224
	v_fmac_f32_e32 v147, v144, v223
	v_add_f32_e32 v2, v2, v147
	ds_read2_b64 v[147:150], v98 offset0:81 offset1:82
	s_waitcnt vmcnt(30)
	v_mul_f32_e32 v151, v145, v226
	v_fmac_f32_e32 v151, v146, v225
	v_add_f32_e32 v2, v2, v151
	ds_read2_b64 v[151:154], v98 offset0:83 offset1:84
	s_waitcnt vmcnt(28) lgkmcnt(1)
	v_mul_f32_e32 v155, v147, v228
	v_fmac_f32_e32 v155, v148, v227
	v_add_f32_e32 v2, v2, v155
	s_waitcnt vmcnt(27)
	v_mul_f32_e32 v155, v149, v229
	s_waitcnt vmcnt(24)
	v_fmac_f32_e32 v155, v150, v232
	v_add_f32_e32 v2, v2, v155
	s_waitcnt lgkmcnt(0)
	v_mul_f32_e32 v155, v151, v231
	v_fmac_f32_e32 v155, v152, v230
	v_add_f32_e32 v2, v2, v155
	ds_read2_b64 v[155:158], v98 offset0:85 offset1:86
	s_waitcnt vmcnt(22)
	v_mul_f32_e32 v159, v153, v234
	v_fmac_f32_e32 v159, v154, v233
	v_add_f32_e32 v2, v2, v159
	ds_read2_b64 v[159:162], v98 offset0:87 offset1:88
	v_mul_f32_e32 v4, v102, v178
	v_fma_f32 v4, v101, v189, -v4
	s_waitcnt vmcnt(20) lgkmcnt(1)
	v_mul_f32_e32 v163, v155, v236
	v_fmac_f32_e32 v163, v156, v235
	v_add_f32_e32 v2, v2, v163
	s_waitcnt vmcnt(19)
	v_mul_f32_e32 v163, v157, v237
	s_waitcnt vmcnt(16)
	v_fmac_f32_e32 v163, v158, v240
	v_add_f32_e32 v2, v2, v163
	s_waitcnt lgkmcnt(0)
	v_mul_f32_e32 v163, v159, v239
	v_fmac_f32_e32 v163, v160, v238
	v_add_f32_e32 v2, v2, v163
	ds_read2_b64 v[163:166], v98 offset0:89 offset1:90
	s_waitcnt vmcnt(14)
	v_mul_f32_e32 v167, v161, v242
	v_fmac_f32_e32 v167, v162, v241
	v_add_f32_e32 v2, v2, v167
	ds_read2_b64 v[167:170], v98 offset0:91 offset1:92
	s_waitcnt vmcnt(12) lgkmcnt(1)
	v_mul_f32_e32 v171, v163, v244
	v_fmac_f32_e32 v171, v164, v243
	v_add_f32_e32 v2, v2, v171
	s_waitcnt vmcnt(11)
	v_mul_f32_e32 v171, v165, v245
	s_waitcnt vmcnt(8)
	v_fmac_f32_e32 v171, v166, v248
	v_add_f32_e32 v2, v2, v171
	s_waitcnt lgkmcnt(0)
	v_mul_f32_e32 v171, v167, v247
	v_fmac_f32_e32 v171, v168, v246
	v_add_f32_e32 v2, v2, v171
	ds_read2_b64 v[171:174], v98 offset0:93 offset1:94
	s_waitcnt vmcnt(6)
	v_mul_f32_e32 v175, v169, v250
	v_fmac_f32_e32 v175, v170, v249
	v_add_f32_e32 v2, v2, v175
	ds_read_b64 v[175:176], v98 offset:760
	s_waitcnt vmcnt(4) lgkmcnt(1)
	v_mul_f32_e32 v3, v171, v252
	v_fmac_f32_e32 v3, v172, v251
	v_add_f32_e32 v2, v2, v3
	s_waitcnt vmcnt(3)
	v_mul_f32_e32 v3, v173, v253
	s_waitcnt vmcnt(0)
	v_fmac_f32_e32 v3, v174, v1
	v_add_f32_e32 v2, v2, v3
	s_waitcnt lgkmcnt(0)
	v_mul_f32_e32 v3, v175, v255
	v_fmac_f32_e32 v3, v176, v254
	v_add_f32_e32 v2, v2, v3
	v_mul_f32_e32 v3, v100, v177
	v_fma_f32 v3, v99, v190, -v3
	v_add_f32_e32 v3, 0, v3
	v_add_f32_e32 v3, v3, v4
	v_mul_f32_e32 v4, v104, v179
	v_fma_f32 v4, v103, v188, -v4
	v_add_f32_e32 v3, v3, v4
	v_mul_f32_e32 v4, v106, v180
	v_fma_f32 v4, v105, v194, -v4
	;; [unrolled: 3-line block ×37, first 2 shown]
	v_add_f32_e32 v1, v1, v3
	v_sub_f32_e32 v1, v207, v1
	v_sub_f32_e32 v2, v208, v2
	buffer_store_dword v1, off, s[0:3], 0 offset:64
	buffer_store_dword v2, off, s[0:3], 0 offset:68
	s_and_saveexec_b64 s[4:5], vcc
	s_cbranch_execz .LBB47_287
; %bb.286:
	buffer_load_dword v99, off, s[0:3], 0 offset:56
	buffer_load_dword v100, off, s[0:3], 0 offset:60
	s_waitcnt vmcnt(0)
	ds_write_b64 v97, v[99:100]
	buffer_store_dword v98, off, s[0:3], 0 offset:56
	buffer_store_dword v98, off, s[0:3], 0 offset:60
.LBB47_287:
	s_or_b64 exec, exec, s[4:5]
	s_waitcnt lgkmcnt(0)
	; wave barrier
	buffer_load_dword v1, off, s[0:3], 0 offset:68
	buffer_load_dword v2, off, s[0:3], 0 offset:76
	;; [unrolled: 1-line block ×32, first 2 shown]
	ds_read_b128 v[99:102], v98 offset:448
	ds_read_b128 v[103:106], v98 offset:464
	;; [unrolled: 1-line block ×6, first 2 shown]
	buffer_load_dword v207, off, s[0:3], 0 offset:184
	buffer_load_dword v208, off, s[0:3], 0 offset:188
	;; [unrolled: 1-line block ×26, first 2 shown]
	v_cmp_lt_u32_e32 vcc, 6, v0
	s_waitcnt vmcnt(57) lgkmcnt(5)
	v_mul_f32_e32 v123, v99, v1
	s_waitcnt vmcnt(56)
	v_mul_f32_e32 v124, v101, v2
	s_waitcnt vmcnt(55) lgkmcnt(4)
	v_mul_f32_e32 v125, v103, v3
	s_waitcnt vmcnt(54)
	v_mul_f32_e32 v126, v105, v4
	;; [unrolled: 4-line block ×5, first 2 shown]
	s_waitcnt vmcnt(47) lgkmcnt(0)
	v_mul_f32_e32 v133, v119, v185
	s_waitcnt vmcnt(46)
	v_fmac_f32_e32 v125, v104, v186
	s_waitcnt vmcnt(45)
	v_fmac_f32_e32 v124, v102, v187
	s_waitcnt vmcnt(44)
	v_fmac_f32_e32 v123, v100, v188
	v_add_f32_e32 v123, 0, v123
	v_add_f32_e32 v123, v123, v124
	;; [unrolled: 1-line block ×3, first 2 shown]
	s_waitcnt vmcnt(40)
	v_fmac_f32_e32 v126, v106, v192
	v_fmac_f32_e32 v127, v108, v191
	v_add_f32_e32 v123, v123, v126
	v_fmac_f32_e32 v128, v110, v190
	v_add_f32_e32 v123, v123, v127
	;; [unrolled: 2-line block ×3, first 2 shown]
	s_waitcnt vmcnt(36)
	v_fmac_f32_e32 v130, v114, v196
	v_add_f32_e32 v123, v123, v129
	v_fmac_f32_e32 v131, v116, v195
	v_add_f32_e32 v123, v123, v130
	;; [unrolled: 2-line block ×4, first 2 shown]
	v_add_f32_e32 v127, v123, v133
	ds_read_b128 v[123:126], v98 offset:544
	buffer_load_dword v233, off, s[0:3], 0 offset:288
	buffer_load_dword v234, off, s[0:3], 0 offset:292
	;; [unrolled: 1-line block ×6, first 2 shown]
	s_waitcnt vmcnt(41)
	v_mul_f32_e32 v128, v121, v197
	s_waitcnt vmcnt(35)
	v_fmac_f32_e32 v128, v122, v203
	v_add_f32_e32 v131, v127, v128
	ds_read_b128 v[127:130], v98 offset:560
	buffer_load_dword v239, off, s[0:3], 0 offset:312
	buffer_load_dword v240, off, s[0:3], 0 offset:316
	;; [unrolled: 1-line block ×10, first 2 shown]
	s_waitcnt vmcnt(44) lgkmcnt(1)
	v_mul_f32_e32 v132, v123, v204
	v_fmac_f32_e32 v132, v124, v202
	v_add_f32_e32 v131, v131, v132
	v_mul_f32_e32 v132, v125, v199
	v_fmac_f32_e32 v132, v126, v198
	v_add_f32_e32 v131, v131, v132
	s_waitcnt lgkmcnt(0)
	v_mul_f32_e32 v132, v127, v201
	buffer_load_dword v249, off, s[0:3], 0 offset:352
	buffer_load_dword v250, off, s[0:3], 0 offset:356
	;; [unrolled: 1-line block ×6, first 2 shown]
	v_fmac_f32_e32 v132, v128, v200
	s_waitcnt vmcnt(46)
	v_mul_f32_e32 v136, v129, v208
	v_add_f32_e32 v135, v131, v132
	v_fmac_f32_e32 v136, v130, v207
	ds_read_b128 v[131:134], v98 offset:576
	v_add_f32_e32 v139, v135, v136
	ds_read_b128 v[135:138], v98 offset:592
	buffer_load_dword v255, off, s[0:3], 0 offset:376
	buffer_load_dword v5, off, s[0:3], 0 offset:380
	v_mul_f32_e32 v1, v100, v1
	v_fma_f32 v1, v99, v188, -v1
	v_mul_f32_e32 v2, v102, v2
	v_add_f32_e32 v1, 0, v1
	v_fma_f32 v2, v101, v187, -v2
	v_add_f32_e32 v1, v1, v2
	v_mul_f32_e32 v2, v104, v3
	v_fma_f32 v2, v103, v186, -v2
	v_add_f32_e32 v1, v1, v2
	v_mul_f32_e32 v2, v106, v4
	;; [unrolled: 3-line block ×7, first 2 shown]
	s_waitcnt vmcnt(46) lgkmcnt(1)
	v_mul_f32_e32 v6, v131, v210
	v_fma_f32 v2, v115, v195, -v2
	v_fmac_f32_e32 v6, v132, v209
	v_add_f32_e32 v1, v1, v2
	v_mul_f32_e32 v2, v118, v184
	v_add_f32_e32 v6, v139, v6
	s_waitcnt vmcnt(44)
	v_mul_f32_e32 v139, v133, v212
	v_fma_f32 v2, v117, v194, -v2
	v_fmac_f32_e32 v139, v134, v211
	v_add_f32_e32 v1, v1, v2
	v_mul_f32_e32 v2, v120, v185
	v_add_f32_e32 v6, v6, v139
	s_waitcnt vmcnt(42) lgkmcnt(0)
	v_mul_f32_e32 v139, v135, v214
	v_fma_f32 v2, v119, v193, -v2
	v_fmac_f32_e32 v139, v136, v213
	v_add_f32_e32 v1, v1, v2
	v_mul_f32_e32 v2, v122, v197
	v_add_f32_e32 v6, v6, v139
	ds_read_b128 v[139:142], v98 offset:608
	v_fma_f32 v2, v121, v203, -v2
	v_add_f32_e32 v1, v1, v2
	v_mul_f32_e32 v2, v124, v204
	s_waitcnt vmcnt(40)
	v_mul_f32_e32 v143, v137, v216
	v_fma_f32 v2, v123, v202, -v2
	v_fmac_f32_e32 v143, v138, v215
	v_add_f32_e32 v1, v1, v2
	v_mul_f32_e32 v2, v126, v199
	v_add_f32_e32 v6, v6, v143
	ds_read_b128 v[143:146], v98 offset:624
	v_fma_f32 v2, v125, v198, -v2
	s_waitcnt vmcnt(38) lgkmcnt(1)
	v_mul_f32_e32 v147, v139, v218
	v_add_f32_e32 v1, v1, v2
	v_mul_f32_e32 v2, v128, v201
	v_fmac_f32_e32 v147, v140, v217
	v_fma_f32 v2, v127, v200, -v2
	v_add_f32_e32 v6, v6, v147
	s_waitcnt vmcnt(36)
	v_mul_f32_e32 v147, v141, v220
	v_add_f32_e32 v1, v1, v2
	v_mul_f32_e32 v2, v130, v208
	v_fmac_f32_e32 v147, v142, v219
	v_fma_f32 v2, v129, v207, -v2
	v_add_f32_e32 v6, v6, v147
	s_waitcnt vmcnt(34) lgkmcnt(0)
	v_mul_f32_e32 v147, v143, v222
	v_add_f32_e32 v1, v1, v2
	v_mul_f32_e32 v2, v132, v210
	v_fmac_f32_e32 v147, v144, v221
	v_fma_f32 v2, v131, v209, -v2
	v_add_f32_e32 v6, v6, v147
	ds_read_b128 v[147:150], v98 offset:640
	v_add_f32_e32 v1, v1, v2
	v_mul_f32_e32 v2, v134, v212
	v_fma_f32 v2, v133, v211, -v2
	s_waitcnt vmcnt(32)
	v_mul_f32_e32 v151, v145, v224
	v_add_f32_e32 v1, v1, v2
	v_mul_f32_e32 v2, v136, v214
	v_fmac_f32_e32 v151, v146, v223
	v_fma_f32 v2, v135, v213, -v2
	v_add_f32_e32 v6, v6, v151
	ds_read_b128 v[151:154], v98 offset:656
	v_add_f32_e32 v1, v1, v2
	v_mul_f32_e32 v2, v138, v216
	s_waitcnt vmcnt(30) lgkmcnt(1)
	v_mul_f32_e32 v155, v147, v226
	v_fma_f32 v2, v137, v215, -v2
	v_fmac_f32_e32 v155, v148, v225
	v_add_f32_e32 v1, v1, v2
	v_mul_f32_e32 v2, v140, v218
	v_add_f32_e32 v6, v6, v155
	s_waitcnt vmcnt(29)
	v_mul_f32_e32 v155, v149, v227
	v_fma_f32 v2, v139, v217, -v2
	s_waitcnt vmcnt(26)
	v_fmac_f32_e32 v155, v150, v230
	v_add_f32_e32 v1, v1, v2
	v_mul_f32_e32 v2, v142, v220
	v_add_f32_e32 v6, v6, v155
	s_waitcnt lgkmcnt(0)
	v_mul_f32_e32 v155, v151, v229
	v_fma_f32 v2, v141, v219, -v2
	v_fmac_f32_e32 v155, v152, v228
	v_add_f32_e32 v1, v1, v2
	v_mul_f32_e32 v2, v144, v222
	v_add_f32_e32 v6, v6, v155
	ds_read_b128 v[155:158], v98 offset:672
	v_fma_f32 v2, v143, v221, -v2
	v_add_f32_e32 v1, v1, v2
	v_mul_f32_e32 v2, v146, v224
	s_waitcnt vmcnt(24)
	v_mul_f32_e32 v159, v153, v232
	v_fma_f32 v2, v145, v223, -v2
	v_fmac_f32_e32 v159, v154, v231
	v_add_f32_e32 v1, v1, v2
	v_mul_f32_e32 v2, v148, v226
	v_add_f32_e32 v6, v6, v159
	ds_read_b128 v[159:162], v98 offset:688
	v_fma_f32 v2, v147, v225, -v2
	s_waitcnt vmcnt(22) lgkmcnt(1)
	v_mul_f32_e32 v163, v155, v234
	v_add_f32_e32 v1, v1, v2
	v_mul_f32_e32 v2, v150, v227
	v_fmac_f32_e32 v163, v156, v233
	v_fma_f32 v2, v149, v230, -v2
	v_add_f32_e32 v6, v6, v163
	s_waitcnt vmcnt(21)
	v_mul_f32_e32 v163, v157, v235
	v_add_f32_e32 v1, v1, v2
	v_mul_f32_e32 v2, v152, v229
	s_waitcnt vmcnt(18)
	v_fmac_f32_e32 v163, v158, v238
	v_fma_f32 v2, v151, v228, -v2
	v_add_f32_e32 v6, v6, v163
	s_waitcnt lgkmcnt(0)
	v_mul_f32_e32 v163, v159, v237
	v_add_f32_e32 v1, v1, v2
	v_mul_f32_e32 v2, v154, v232
	v_fmac_f32_e32 v163, v160, v236
	v_fma_f32 v2, v153, v231, -v2
	v_add_f32_e32 v6, v6, v163
	ds_read_b128 v[163:166], v98 offset:704
	v_add_f32_e32 v1, v1, v2
	v_mul_f32_e32 v2, v156, v234
	v_fma_f32 v2, v155, v233, -v2
	s_waitcnt vmcnt(16)
	v_mul_f32_e32 v167, v161, v240
	v_add_f32_e32 v1, v1, v2
	v_mul_f32_e32 v2, v158, v235
	v_fmac_f32_e32 v167, v162, v239
	v_fma_f32 v2, v157, v238, -v2
	v_add_f32_e32 v6, v6, v167
	ds_read_b128 v[167:170], v98 offset:720
	v_add_f32_e32 v1, v1, v2
	v_mul_f32_e32 v2, v160, v237
	s_waitcnt vmcnt(14) lgkmcnt(1)
	v_mul_f32_e32 v171, v163, v242
	v_fma_f32 v2, v159, v236, -v2
	v_fmac_f32_e32 v171, v164, v241
	v_add_f32_e32 v1, v1, v2
	v_mul_f32_e32 v2, v162, v240
	v_add_f32_e32 v6, v6, v171
	s_waitcnt vmcnt(13)
	v_mul_f32_e32 v171, v165, v243
	v_fma_f32 v2, v161, v239, -v2
	s_waitcnt vmcnt(10)
	v_fmac_f32_e32 v171, v166, v246
	v_add_f32_e32 v1, v1, v2
	v_mul_f32_e32 v2, v164, v242
	v_add_f32_e32 v6, v6, v171
	s_waitcnt lgkmcnt(0)
	v_mul_f32_e32 v171, v167, v245
	v_fma_f32 v2, v163, v241, -v2
	v_fmac_f32_e32 v171, v168, v244
	v_add_f32_e32 v1, v1, v2
	v_mul_f32_e32 v2, v166, v243
	v_add_f32_e32 v6, v6, v171
	ds_read_b128 v[171:174], v98 offset:736
	v_fma_f32 v2, v165, v246, -v2
	v_add_f32_e32 v1, v1, v2
	v_mul_f32_e32 v2, v168, v245
	s_waitcnt vmcnt(8)
	v_mul_f32_e32 v175, v169, v248
	v_fma_f32 v2, v167, v244, -v2
	v_fmac_f32_e32 v175, v170, v247
	v_add_f32_e32 v1, v1, v2
	v_mul_f32_e32 v2, v170, v248
	v_add_f32_e32 v6, v6, v175
	ds_read_b128 v[175:178], v98 offset:752
	v_fma_f32 v2, v169, v247, -v2
	v_add_f32_e32 v1, v1, v2
	s_waitcnt vmcnt(6) lgkmcnt(1)
	v_mul_f32_e32 v2, v172, v250
	v_mul_f32_e32 v98, v171, v250
	v_fma_f32 v2, v171, v249, -v2
	v_fmac_f32_e32 v98, v172, v249
	v_add_f32_e32 v1, v1, v2
	s_waitcnt vmcnt(5)
	v_mul_f32_e32 v2, v174, v251
	v_add_f32_e32 v6, v6, v98
	v_mul_f32_e32 v98, v173, v251
	s_waitcnt vmcnt(2)
	v_fma_f32 v2, v173, v254, -v2
	v_fmac_f32_e32 v98, v174, v254
	v_add_f32_e32 v1, v1, v2
	s_waitcnt lgkmcnt(0)
	v_mul_f32_e32 v2, v176, v253
	v_add_f32_e32 v6, v6, v98
	v_mul_f32_e32 v98, v175, v253
	v_fma_f32 v2, v175, v252, -v2
	v_fmac_f32_e32 v98, v176, v252
	v_add_f32_e32 v1, v1, v2
	s_waitcnt vmcnt(0)
	v_mul_f32_e32 v2, v178, v5
	v_add_f32_e32 v6, v6, v98
	v_mul_f32_e32 v98, v177, v5
	v_fma_f32 v2, v177, v255, -v2
	v_fmac_f32_e32 v98, v178, v255
	v_add_f32_e32 v1, v1, v2
	v_add_f32_e32 v6, v6, v98
	v_sub_f32_e32 v1, v205, v1
	v_sub_f32_e32 v2, v206, v6
	buffer_store_dword v1, off, s[0:3], 0 offset:56
	buffer_store_dword v2, off, s[0:3], 0 offset:60
	s_and_saveexec_b64 s[4:5], vcc
	s_cbranch_execz .LBB47_289
; %bb.288:
	buffer_load_dword v98, off, s[0:3], 0 offset:48
	buffer_load_dword v99, off, s[0:3], 0 offset:52
	v_mov_b32_e32 v1, 0
	buffer_store_dword v1, off, s[0:3], 0 offset:48
	buffer_store_dword v1, off, s[0:3], 0 offset:52
	s_waitcnt vmcnt(2)
	ds_write_b64 v97, v[98:99]
.LBB47_289:
	s_or_b64 exec, exec, s[4:5]
	s_waitcnt lgkmcnt(0)
	; wave barrier
	buffer_load_dword v107, off, s[0:3], 0 offset:60
	buffer_load_dword v106, off, s[0:3], 0 offset:68
	;; [unrolled: 1-line block ×50, first 2 shown]
	v_mov_b32_e32 v98, 0
	ds_read2_b64 v[108:111], v98 offset0:55 offset1:56
	ds_read2_b64 v[112:115], v98 offset0:57 offset1:58
	;; [unrolled: 1-line block ×6, first 2 shown]
	buffer_load_dword v225, off, s[0:3], 0 offset:248
	buffer_load_dword v226, off, s[0:3], 0 offset:252
	;; [unrolled: 1-line block ×6, first 2 shown]
	v_cmp_lt_u32_e32 vcc, 5, v0
	s_waitcnt vmcnt(55) lgkmcnt(5)
	v_mul_f32_e32 v132, v108, v107
	s_waitcnt vmcnt(54)
	v_mul_f32_e32 v133, v110, v106
	s_waitcnt vmcnt(53) lgkmcnt(4)
	v_mul_f32_e32 v134, v112, v105
	s_waitcnt vmcnt(52)
	v_mul_f32_e32 v135, v114, v104
	s_waitcnt vmcnt(51) lgkmcnt(3)
	v_mul_f32_e32 v136, v116, v103
	s_waitcnt vmcnt(50)
	v_mul_f32_e32 v137, v118, v100
	s_waitcnt vmcnt(49) lgkmcnt(2)
	v_mul_f32_e32 v138, v120, v99
	s_waitcnt vmcnt(48)
	v_mul_f32_e32 v139, v122, v1
	s_waitcnt vmcnt(47) lgkmcnt(1)
	v_mul_f32_e32 v140, v124, v2
	s_waitcnt vmcnt(46)
	v_mul_f32_e32 v141, v126, v3
	s_waitcnt vmcnt(45) lgkmcnt(0)
	v_mul_f32_e32 v142, v128, v4
	s_waitcnt vmcnt(44)
	v_fmac_f32_e32 v134, v113, v5
	s_waitcnt vmcnt(43)
	v_fmac_f32_e32 v133, v111, v6
	;; [unrolled: 2-line block ×3, first 2 shown]
	v_add_f32_e32 v132, 0, v132
	v_add_f32_e32 v132, v132, v133
	;; [unrolled: 1-line block ×3, first 2 shown]
	s_waitcnt vmcnt(38)
	v_fmac_f32_e32 v135, v115, v194
	v_fmac_f32_e32 v136, v117, v193
	v_add_f32_e32 v132, v132, v135
	v_fmac_f32_e32 v137, v119, v192
	v_add_f32_e32 v132, v132, v136
	;; [unrolled: 2-line block ×3, first 2 shown]
	s_waitcnt vmcnt(34)
	v_fmac_f32_e32 v139, v123, v198
	v_add_f32_e32 v132, v132, v138
	v_fmac_f32_e32 v140, v125, v197
	v_add_f32_e32 v132, v132, v139
	;; [unrolled: 2-line block ×4, first 2 shown]
	v_add_f32_e32 v136, v132, v142
	ds_read2_b64 v[132:135], v98 offset0:67 offset1:68
	buffer_load_dword v231, off, s[0:3], 0 offset:272
	buffer_load_dword v232, off, s[0:3], 0 offset:276
	s_waitcnt vmcnt(35)
	v_mul_f32_e32 v137, v130, v199
	s_waitcnt vmcnt(29)
	v_fmac_f32_e32 v137, v131, v205
	v_add_f32_e32 v140, v136, v137
	ds_read2_b64 v[136:139], v98 offset0:69 offset1:70
	buffer_load_dword v233, off, s[0:3], 0 offset:280
	buffer_load_dword v234, off, s[0:3], 0 offset:284
	;; [unrolled: 1-line block ×14, first 2 shown]
	s_waitcnt vmcnt(42) lgkmcnt(1)
	v_mul_f32_e32 v141, v132, v206
	v_fmac_f32_e32 v141, v133, v204
	buffer_load_dword v247, off, s[0:3], 0 offset:336
	buffer_load_dword v248, off, s[0:3], 0 offset:340
	v_add_f32_e32 v140, v140, v141
	v_mul_f32_e32 v141, v134, v201
	v_fmac_f32_e32 v141, v135, v200
	v_add_f32_e32 v140, v140, v141
	s_waitcnt lgkmcnt(0)
	v_mul_f32_e32 v141, v136, v203
	v_fmac_f32_e32 v141, v137, v202
	v_add_f32_e32 v144, v140, v141
	ds_read2_b64 v[140:143], v98 offset0:71 offset1:72
	buffer_load_dword v249, off, s[0:3], 0 offset:344
	buffer_load_dword v250, off, s[0:3], 0 offset:348
	;; [unrolled: 1-line block ×6, first 2 shown]
	s_waitcnt vmcnt(46)
	v_mul_f32_e32 v145, v138, v208
	v_fmac_f32_e32 v145, v139, v207
	v_add_f32_e32 v148, v144, v145
	ds_read2_b64 v[144:147], v98 offset0:73 offset1:74
	buffer_load_dword v255, off, s[0:3], 0 offset:372
	buffer_load_dword v7, off, s[0:3], 0 offset:376
	buffer_load_dword v8, off, s[0:3], 0 offset:380
	buffer_load_dword v9, off, s[0:3], 0 offset:368
	s_waitcnt vmcnt(48) lgkmcnt(1)
	v_mul_f32_e32 v149, v140, v210
	v_fmac_f32_e32 v149, v141, v209
	v_add_f32_e32 v10, v148, v149
	s_waitcnt vmcnt(46)
	v_mul_f32_e32 v148, v142, v212
	v_fmac_f32_e32 v148, v143, v211
	v_add_f32_e32 v10, v10, v148
	s_waitcnt vmcnt(44) lgkmcnt(0)
	v_mul_f32_e32 v148, v144, v214
	v_fmac_f32_e32 v148, v145, v213
	v_add_f32_e32 v10, v10, v148
	ds_read2_b64 v[148:151], v98 offset0:75 offset1:76
	s_waitcnt vmcnt(42)
	v_mul_f32_e32 v152, v146, v216
	v_fmac_f32_e32 v152, v147, v215
	v_add_f32_e32 v10, v10, v152
	ds_read2_b64 v[152:155], v98 offset0:77 offset1:78
	s_waitcnt vmcnt(40) lgkmcnt(1)
	v_mul_f32_e32 v156, v148, v218
	v_fmac_f32_e32 v156, v149, v217
	v_add_f32_e32 v10, v10, v156
	s_waitcnt vmcnt(38)
	v_mul_f32_e32 v156, v150, v220
	v_fmac_f32_e32 v156, v151, v219
	v_add_f32_e32 v10, v10, v156
	s_waitcnt vmcnt(36) lgkmcnt(0)
	v_mul_f32_e32 v156, v152, v222
	v_fmac_f32_e32 v156, v153, v221
	v_add_f32_e32 v10, v10, v156
	ds_read2_b64 v[156:159], v98 offset0:79 offset1:80
	s_waitcnt vmcnt(34)
	v_mul_f32_e32 v160, v154, v224
	v_fmac_f32_e32 v160, v155, v223
	v_add_f32_e32 v10, v10, v160
	ds_read2_b64 v[160:163], v98 offset0:81 offset1:82
	s_waitcnt vmcnt(32) lgkmcnt(1)
	v_mul_f32_e32 v164, v156, v226
	v_fmac_f32_e32 v164, v157, v225
	v_add_f32_e32 v10, v10, v164
	s_waitcnt vmcnt(31)
	v_mul_f32_e32 v164, v158, v227
	s_waitcnt vmcnt(28)
	v_fmac_f32_e32 v164, v159, v230
	v_add_f32_e32 v10, v10, v164
	s_waitcnt lgkmcnt(0)
	v_mul_f32_e32 v164, v160, v229
	v_fmac_f32_e32 v164, v161, v228
	v_add_f32_e32 v10, v10, v164
	ds_read2_b64 v[164:167], v98 offset0:83 offset1:84
	v_mul_f32_e32 v12, v111, v106
	v_fma_f32 v6, v110, v6, -v12
	v_mul_f32_e32 v1, v123, v1
	v_fma_f32 v1, v122, v198, -v1
	;; [unrolled: 2-line block ×3, first 2 shown]
	s_waitcnt vmcnt(26)
	v_mul_f32_e32 v168, v162, v232
	v_fmac_f32_e32 v168, v163, v231
	v_add_f32_e32 v10, v10, v168
	ds_read2_b64 v[168:171], v98 offset0:85 offset1:86
	s_waitcnt vmcnt(24) lgkmcnt(1)
	v_mul_f32_e32 v172, v164, v234
	v_fmac_f32_e32 v172, v165, v233
	v_add_f32_e32 v10, v10, v172
	s_waitcnt vmcnt(23)
	v_mul_f32_e32 v172, v166, v235
	s_waitcnt vmcnt(20)
	v_fmac_f32_e32 v172, v167, v238
	v_add_f32_e32 v10, v10, v172
	s_waitcnt lgkmcnt(0)
	v_mul_f32_e32 v172, v168, v237
	v_fmac_f32_e32 v172, v169, v236
	v_add_f32_e32 v10, v10, v172
	ds_read2_b64 v[172:175], v98 offset0:87 offset1:88
	s_waitcnt vmcnt(18)
	v_mul_f32_e32 v176, v170, v240
	v_fmac_f32_e32 v176, v171, v239
	v_add_f32_e32 v10, v10, v176
	ds_read2_b64 v[176:179], v98 offset0:89 offset1:90
	s_waitcnt vmcnt(16) lgkmcnt(1)
	v_mul_f32_e32 v180, v172, v242
	v_fmac_f32_e32 v180, v173, v241
	v_add_f32_e32 v10, v10, v180
	s_waitcnt vmcnt(15)
	v_mul_f32_e32 v180, v174, v243
	s_waitcnt vmcnt(12)
	v_fmac_f32_e32 v180, v175, v246
	v_add_f32_e32 v10, v10, v180
	s_waitcnt lgkmcnt(0)
	v_mul_f32_e32 v180, v176, v245
	v_fmac_f32_e32 v180, v177, v244
	v_add_f32_e32 v10, v10, v180
	ds_read2_b64 v[180:183], v98 offset0:91 offset1:92
	s_waitcnt vmcnt(10)
	v_mul_f32_e32 v184, v178, v248
	v_fmac_f32_e32 v184, v179, v247
	v_add_f32_e32 v10, v10, v184
	ds_read2_b64 v[184:187], v98 offset0:93 offset1:94
	s_waitcnt vmcnt(8) lgkmcnt(1)
	v_mul_f32_e32 v188, v180, v250
	v_fmac_f32_e32 v188, v181, v249
	v_add_f32_e32 v10, v10, v188
	s_waitcnt vmcnt(7)
	v_mul_f32_e32 v188, v182, v251
	s_waitcnt vmcnt(4)
	v_fmac_f32_e32 v188, v183, v254
	v_add_f32_e32 v10, v10, v188
	ds_read_b64 v[188:189], v98 offset:760
	s_waitcnt lgkmcnt(1)
	v_mul_f32_e32 v11, v184, v253
	v_fmac_f32_e32 v11, v185, v252
	v_add_f32_e32 v10, v10, v11
	s_waitcnt vmcnt(3)
	v_mul_f32_e32 v11, v186, v255
	s_waitcnt vmcnt(0)
	v_fmac_f32_e32 v11, v187, v9
	v_add_f32_e32 v10, v10, v11
	s_waitcnt lgkmcnt(0)
	v_mul_f32_e32 v11, v188, v8
	v_fmac_f32_e32 v11, v189, v7
	v_add_f32_e32 v10, v10, v11
	v_mul_f32_e32 v11, v109, v107
	v_fma_f32 v11, v108, v190, -v11
	v_add_f32_e32 v11, 0, v11
	v_add_f32_e32 v6, v11, v6
	v_mul_f32_e32 v11, v113, v105
	v_fma_f32 v5, v112, v5, -v11
	v_add_f32_e32 v5, v6, v5
	v_mul_f32_e32 v6, v115, v104
	v_fma_f32 v6, v114, v194, -v6
	;; [unrolled: 3-line block ×5, first 2 shown]
	v_add_f32_e32 v5, v5, v6
	v_add_f32_e32 v1, v5, v1
	;; [unrolled: 1-line block ×3, first 2 shown]
	v_mul_f32_e32 v2, v127, v3
	v_fma_f32 v2, v126, v196, -v2
	v_add_f32_e32 v1, v1, v2
	v_mul_f32_e32 v2, v129, v4
	v_fma_f32 v2, v128, v195, -v2
	v_add_f32_e32 v1, v1, v2
	;; [unrolled: 3-line block ×32, first 2 shown]
	v_sub_f32_e32 v1, v101, v1
	v_sub_f32_e32 v2, v102, v10
	buffer_store_dword v1, off, s[0:3], 0 offset:48
	buffer_store_dword v2, off, s[0:3], 0 offset:52
	s_and_saveexec_b64 s[4:5], vcc
	s_cbranch_execz .LBB47_291
; %bb.290:
	buffer_load_dword v99, off, s[0:3], 0 offset:40
	buffer_load_dword v100, off, s[0:3], 0 offset:44
	s_waitcnt vmcnt(0)
	ds_write_b64 v97, v[99:100]
	buffer_store_dword v98, off, s[0:3], 0 offset:40
	buffer_store_dword v98, off, s[0:3], 0 offset:44
.LBB47_291:
	s_or_b64 exec, exec, s[4:5]
	s_waitcnt lgkmcnt(0)
	; wave barrier
	buffer_load_dword v1, off, s[0:3], 0 offset:52
	buffer_load_dword v2, off, s[0:3], 0 offset:60
	;; [unrolled: 1-line block ×32, first 2 shown]
	ds_read_b128 v[99:102], v98 offset:432
	ds_read_b128 v[103:106], v98 offset:448
	;; [unrolled: 1-line block ×6, first 2 shown]
	buffer_load_dword v203, off, s[0:3], 0 offset:168
	buffer_load_dword v204, off, s[0:3], 0 offset:172
	;; [unrolled: 1-line block ×18, first 2 shown]
	v_cmp_lt_u32_e32 vcc, 4, v0
	s_waitcnt vmcnt(49) lgkmcnt(5)
	v_mul_f32_e32 v123, v99, v1
	s_waitcnt vmcnt(48)
	v_mul_f32_e32 v124, v101, v2
	s_waitcnt vmcnt(47) lgkmcnt(4)
	v_mul_f32_e32 v125, v103, v3
	s_waitcnt vmcnt(46)
	v_mul_f32_e32 v126, v105, v4
	;; [unrolled: 4-line block ×6, first 2 shown]
	s_waitcnt vmcnt(37)
	v_fmac_f32_e32 v125, v104, v183
	s_waitcnt vmcnt(36)
	v_fmac_f32_e32 v124, v102, v184
	;; [unrolled: 2-line block ×3, first 2 shown]
	v_add_f32_e32 v123, 0, v123
	v_add_f32_e32 v123, v123, v124
	;; [unrolled: 1-line block ×3, first 2 shown]
	s_waitcnt vmcnt(31)
	v_fmac_f32_e32 v126, v106, v189
	v_fmac_f32_e32 v127, v108, v188
	v_add_f32_e32 v123, v123, v126
	v_fmac_f32_e32 v128, v110, v187
	v_add_f32_e32 v123, v123, v127
	v_fmac_f32_e32 v129, v112, v186
	v_add_f32_e32 v123, v123, v128
	s_waitcnt vmcnt(27)
	v_fmac_f32_e32 v130, v114, v193
	v_add_f32_e32 v123, v123, v129
	v_fmac_f32_e32 v131, v116, v192
	v_add_f32_e32 v123, v123, v130
	;; [unrolled: 2-line block ×3, first 2 shown]
	v_add_f32_e32 v127, v123, v132
	ds_read_b128 v[123:126], v98 offset:528
	buffer_load_dword v221, off, s[0:3], 0 offset:240
	buffer_load_dword v222, off, s[0:3], 0 offset:244
	buffer_load_dword v223, off, s[0:3], 0 offset:252
	buffer_load_dword v224, off, s[0:3], 0 offset:256
	buffer_load_dword v225, off, s[0:3], 0 offset:260
	buffer_load_dword v226, off, s[0:3], 0 offset:248
	v_fmac_f32_e32 v133, v120, v190
	s_waitcnt vmcnt(27)
	v_fmac_f32_e32 v134, v122, v199
	v_add_f32_e32 v127, v127, v133
	v_add_f32_e32 v131, v127, v134
	ds_read_b128 v[127:130], v98 offset:544
	buffer_load_dword v227, off, s[0:3], 0 offset:264
	buffer_load_dword v228, off, s[0:3], 0 offset:268
	;; [unrolled: 1-line block ×10, first 2 shown]
	s_waitcnt vmcnt(36) lgkmcnt(1)
	v_mul_f32_e32 v132, v123, v200
	buffer_load_dword v237, off, s[0:3], 0 offset:304
	buffer_load_dword v238, off, s[0:3], 0 offset:308
	;; [unrolled: 1-line block ×6, first 2 shown]
	v_fmac_f32_e32 v132, v124, v198
	v_add_f32_e32 v131, v131, v132
	v_mul_f32_e32 v132, v125, v195
	v_fmac_f32_e32 v132, v126, v194
	v_add_f32_e32 v131, v131, v132
	s_waitcnt lgkmcnt(0)
	v_mul_f32_e32 v132, v127, v197
	v_fmac_f32_e32 v132, v128, v196
	v_add_f32_e32 v135, v131, v132
	ds_read_b128 v[131:134], v98 offset:560
	buffer_load_dword v243, off, s[0:3], 0 offset:328
	buffer_load_dword v244, off, s[0:3], 0 offset:332
	s_waitcnt vmcnt(40)
	v_mul_f32_e32 v136, v129, v204
	v_fmac_f32_e32 v136, v130, v203
	v_add_f32_e32 v139, v135, v136
	ds_read_b128 v[135:138], v98 offset:576
	buffer_load_dword v245, off, s[0:3], 0 offset:336
	buffer_load_dword v246, off, s[0:3], 0 offset:340
	buffer_load_dword v247, off, s[0:3], 0 offset:348
	buffer_load_dword v248, off, s[0:3], 0 offset:352
	buffer_load_dword v249, off, s[0:3], 0 offset:356
	buffer_load_dword v250, off, s[0:3], 0 offset:344
	buffer_load_dword v251, off, s[0:3], 0 offset:360
	buffer_load_dword v252, off, s[0:3], 0 offset:364
	buffer_load_dword v253, off, s[0:3], 0 offset:372
	buffer_load_dword v254, off, s[0:3], 0 offset:376
	buffer_load_dword v255, off, s[0:3], 0 offset:380
	buffer_load_dword v13, off, s[0:3], 0 offset:368
	v_mul_f32_e32 v1, v100, v1
	v_fma_f32 v1, v99, v185, -v1
	v_mul_f32_e32 v2, v102, v2
	v_add_f32_e32 v1, 0, v1
	v_fma_f32 v2, v101, v184, -v2
	v_add_f32_e32 v1, v1, v2
	v_mul_f32_e32 v2, v104, v3
	v_fma_f32 v2, v103, v183, -v2
	v_add_f32_e32 v1, v1, v2
	v_mul_f32_e32 v2, v106, v4
	;; [unrolled: 3-line block ×6, first 2 shown]
	v_fma_f32 v2, v113, v193, -v2
	s_waitcnt vmcnt(50) lgkmcnt(1)
	v_mul_f32_e32 v140, v131, v206
	v_add_f32_e32 v1, v1, v2
	v_mul_f32_e32 v2, v116, v9
	v_fmac_f32_e32 v140, v132, v205
	v_fma_f32 v2, v115, v192, -v2
	v_add_f32_e32 v139, v139, v140
	s_waitcnt vmcnt(48)
	v_mul_f32_e32 v140, v133, v208
	v_add_f32_e32 v1, v1, v2
	v_mul_f32_e32 v2, v118, v10
	v_fmac_f32_e32 v140, v134, v207
	v_fma_f32 v2, v117, v191, -v2
	v_add_f32_e32 v14, v139, v140
	s_waitcnt vmcnt(46) lgkmcnt(0)
	v_mul_f32_e32 v139, v135, v210
	v_add_f32_e32 v1, v1, v2
	v_mul_f32_e32 v2, v120, v11
	v_fmac_f32_e32 v139, v136, v209
	v_fma_f32 v2, v119, v190, -v2
	v_add_f32_e32 v14, v14, v139
	ds_read_b128 v[139:142], v98 offset:592
	v_add_f32_e32 v1, v1, v2
	v_mul_f32_e32 v2, v122, v12
	v_fma_f32 v2, v121, v199, -v2
	s_waitcnt vmcnt(44)
	v_mul_f32_e32 v143, v137, v212
	v_add_f32_e32 v1, v1, v2
	v_mul_f32_e32 v2, v124, v200
	v_fmac_f32_e32 v143, v138, v211
	v_fma_f32 v2, v123, v198, -v2
	v_add_f32_e32 v14, v14, v143
	ds_read_b128 v[143:146], v98 offset:608
	v_add_f32_e32 v1, v1, v2
	v_mul_f32_e32 v2, v126, v195
	s_waitcnt vmcnt(42) lgkmcnt(1)
	v_mul_f32_e32 v147, v139, v214
	v_fma_f32 v2, v125, v194, -v2
	v_fmac_f32_e32 v147, v140, v213
	v_add_f32_e32 v1, v1, v2
	v_mul_f32_e32 v2, v128, v197
	v_add_f32_e32 v14, v14, v147
	s_waitcnt vmcnt(40)
	v_mul_f32_e32 v147, v141, v216
	v_fma_f32 v2, v127, v196, -v2
	v_fmac_f32_e32 v147, v142, v215
	v_add_f32_e32 v1, v1, v2
	v_mul_f32_e32 v2, v130, v204
	v_add_f32_e32 v14, v14, v147
	s_waitcnt vmcnt(38) lgkmcnt(0)
	v_mul_f32_e32 v147, v143, v218
	v_fma_f32 v2, v129, v203, -v2
	v_fmac_f32_e32 v147, v144, v217
	v_add_f32_e32 v1, v1, v2
	v_mul_f32_e32 v2, v132, v206
	v_add_f32_e32 v14, v14, v147
	ds_read_b128 v[147:150], v98 offset:624
	v_fma_f32 v2, v131, v205, -v2
	v_add_f32_e32 v1, v1, v2
	v_mul_f32_e32 v2, v134, v208
	s_waitcnt vmcnt(36)
	v_mul_f32_e32 v151, v145, v220
	v_fma_f32 v2, v133, v207, -v2
	v_fmac_f32_e32 v151, v146, v219
	v_add_f32_e32 v1, v1, v2
	v_mul_f32_e32 v2, v136, v210
	v_add_f32_e32 v14, v14, v151
	ds_read_b128 v[151:154], v98 offset:640
	v_fma_f32 v2, v135, v209, -v2
	s_waitcnt vmcnt(34) lgkmcnt(1)
	v_mul_f32_e32 v155, v147, v222
	v_add_f32_e32 v1, v1, v2
	v_mul_f32_e32 v2, v138, v212
	v_fmac_f32_e32 v155, v148, v221
	v_fma_f32 v2, v137, v211, -v2
	v_add_f32_e32 v14, v14, v155
	s_waitcnt vmcnt(33)
	v_mul_f32_e32 v155, v149, v223
	v_add_f32_e32 v1, v1, v2
	v_mul_f32_e32 v2, v140, v214
	s_waitcnt vmcnt(30)
	v_fmac_f32_e32 v155, v150, v226
	v_fma_f32 v2, v139, v213, -v2
	v_add_f32_e32 v14, v14, v155
	s_waitcnt lgkmcnt(0)
	v_mul_f32_e32 v155, v151, v225
	v_add_f32_e32 v1, v1, v2
	v_mul_f32_e32 v2, v142, v216
	v_fmac_f32_e32 v155, v152, v224
	v_fma_f32 v2, v141, v215, -v2
	v_add_f32_e32 v14, v14, v155
	ds_read_b128 v[155:158], v98 offset:656
	v_add_f32_e32 v1, v1, v2
	v_mul_f32_e32 v2, v144, v218
	v_fma_f32 v2, v143, v217, -v2
	s_waitcnt vmcnt(28)
	v_mul_f32_e32 v159, v153, v228
	v_add_f32_e32 v1, v1, v2
	v_mul_f32_e32 v2, v146, v220
	v_fmac_f32_e32 v159, v154, v227
	v_fma_f32 v2, v145, v219, -v2
	v_add_f32_e32 v14, v14, v159
	ds_read_b128 v[159:162], v98 offset:672
	v_add_f32_e32 v1, v1, v2
	v_mul_f32_e32 v2, v148, v222
	s_waitcnt vmcnt(26) lgkmcnt(1)
	v_mul_f32_e32 v163, v155, v230
	v_fma_f32 v2, v147, v221, -v2
	v_fmac_f32_e32 v163, v156, v229
	v_add_f32_e32 v1, v1, v2
	v_mul_f32_e32 v2, v150, v223
	v_add_f32_e32 v14, v14, v163
	s_waitcnt vmcnt(25)
	v_mul_f32_e32 v163, v157, v231
	v_fma_f32 v2, v149, v226, -v2
	s_waitcnt vmcnt(22)
	v_fmac_f32_e32 v163, v158, v234
	v_add_f32_e32 v1, v1, v2
	v_mul_f32_e32 v2, v152, v225
	v_add_f32_e32 v14, v14, v163
	s_waitcnt lgkmcnt(0)
	v_mul_f32_e32 v163, v159, v233
	v_fma_f32 v2, v151, v224, -v2
	v_fmac_f32_e32 v163, v160, v232
	v_add_f32_e32 v1, v1, v2
	v_mul_f32_e32 v2, v154, v228
	v_add_f32_e32 v14, v14, v163
	ds_read_b128 v[163:166], v98 offset:688
	v_fma_f32 v2, v153, v227, -v2
	v_add_f32_e32 v1, v1, v2
	v_mul_f32_e32 v2, v156, v230
	s_waitcnt vmcnt(20)
	v_mul_f32_e32 v167, v161, v236
	v_fma_f32 v2, v155, v229, -v2
	v_fmac_f32_e32 v167, v162, v235
	v_add_f32_e32 v1, v1, v2
	v_mul_f32_e32 v2, v158, v231
	v_add_f32_e32 v14, v14, v167
	ds_read_b128 v[167:170], v98 offset:704
	v_fma_f32 v2, v157, v234, -v2
	s_waitcnt vmcnt(18) lgkmcnt(1)
	v_mul_f32_e32 v171, v163, v238
	v_add_f32_e32 v1, v1, v2
	v_mul_f32_e32 v2, v160, v233
	v_fmac_f32_e32 v171, v164, v237
	v_fma_f32 v2, v159, v232, -v2
	v_add_f32_e32 v14, v14, v171
	s_waitcnt vmcnt(17)
	v_mul_f32_e32 v171, v165, v239
	v_add_f32_e32 v1, v1, v2
	v_mul_f32_e32 v2, v162, v236
	s_waitcnt vmcnt(14)
	v_fmac_f32_e32 v171, v166, v242
	v_fma_f32 v2, v161, v235, -v2
	v_add_f32_e32 v14, v14, v171
	s_waitcnt lgkmcnt(0)
	v_mul_f32_e32 v171, v167, v241
	v_add_f32_e32 v1, v1, v2
	v_mul_f32_e32 v2, v164, v238
	v_fmac_f32_e32 v171, v168, v240
	v_fma_f32 v2, v163, v237, -v2
	v_add_f32_e32 v14, v14, v171
	ds_read_b128 v[171:174], v98 offset:720
	v_add_f32_e32 v1, v1, v2
	v_mul_f32_e32 v2, v166, v239
	v_fma_f32 v2, v165, v242, -v2
	v_add_f32_e32 v1, v1, v2
	v_mul_f32_e32 v2, v168, v241
	s_waitcnt vmcnt(12)
	v_mul_f32_e32 v175, v169, v244
	v_fma_f32 v2, v167, v240, -v2
	v_fmac_f32_e32 v175, v170, v243
	v_add_f32_e32 v1, v1, v2
	v_mul_f32_e32 v2, v170, v244
	v_add_f32_e32 v14, v14, v175
	ds_read_b128 v[175:178], v98 offset:736
	s_waitcnt vmcnt(10) lgkmcnt(1)
	v_mul_f32_e32 v179, v171, v246
	v_fma_f32 v2, v169, v243, -v2
	v_fmac_f32_e32 v179, v172, v245
	v_add_f32_e32 v1, v1, v2
	v_mul_f32_e32 v2, v172, v246
	v_add_f32_e32 v14, v14, v179
	s_waitcnt vmcnt(9)
	v_mul_f32_e32 v179, v173, v247
	v_fma_f32 v2, v171, v245, -v2
	s_waitcnt vmcnt(6)
	v_fmac_f32_e32 v179, v174, v250
	v_add_f32_e32 v1, v1, v2
	v_mul_f32_e32 v2, v174, v247
	v_add_f32_e32 v14, v14, v179
	ds_read_b128 v[179:182], v98 offset:752
	v_fma_f32 v2, v173, v250, -v2
	v_add_f32_e32 v1, v1, v2
	s_waitcnt lgkmcnt(1)
	v_mul_f32_e32 v2, v176, v249
	v_mul_f32_e32 v15, v175, v249
	v_fma_f32 v2, v175, v248, -v2
	v_fmac_f32_e32 v15, v176, v248
	v_add_f32_e32 v1, v1, v2
	s_waitcnt vmcnt(4)
	v_mul_f32_e32 v2, v178, v252
	v_add_f32_e32 v14, v14, v15
	v_mul_f32_e32 v15, v177, v252
	v_fma_f32 v2, v177, v251, -v2
	v_fmac_f32_e32 v15, v178, v251
	v_add_f32_e32 v1, v1, v2
	s_waitcnt vmcnt(3) lgkmcnt(0)
	v_mul_f32_e32 v2, v180, v253
	v_add_f32_e32 v14, v14, v15
	v_mul_f32_e32 v15, v179, v253
	s_waitcnt vmcnt(0)
	v_fma_f32 v2, v179, v13, -v2
	v_fmac_f32_e32 v15, v180, v13
	v_add_f32_e32 v1, v1, v2
	v_mul_f32_e32 v2, v182, v255
	v_add_f32_e32 v14, v14, v15
	v_mul_f32_e32 v15, v181, v255
	v_fma_f32 v2, v181, v254, -v2
	v_fmac_f32_e32 v15, v182, v254
	v_add_f32_e32 v1, v1, v2
	v_add_f32_e32 v14, v14, v15
	v_sub_f32_e32 v1, v201, v1
	v_sub_f32_e32 v2, v202, v14
	buffer_store_dword v1, off, s[0:3], 0 offset:40
	buffer_store_dword v2, off, s[0:3], 0 offset:44
	s_and_saveexec_b64 s[4:5], vcc
	s_cbranch_execz .LBB47_293
; %bb.292:
	buffer_load_dword v98, off, s[0:3], 0 offset:32
	buffer_load_dword v99, off, s[0:3], 0 offset:36
	v_mov_b32_e32 v1, 0
	buffer_store_dword v1, off, s[0:3], 0 offset:32
	buffer_store_dword v1, off, s[0:3], 0 offset:36
	s_waitcnt vmcnt(2)
	ds_write_b64 v97, v[98:99]
.LBB47_293:
	s_or_b64 exec, exec, s[4:5]
	s_waitcnt lgkmcnt(0)
	; wave barrier
	buffer_load_dword v107, off, s[0:3], 0 offset:44
	buffer_load_dword v106, off, s[0:3], 0 offset:52
	;; [unrolled: 1-line block ×48, first 2 shown]
	v_mov_b32_e32 v98, 0
	ds_read2_b64 v[113:116], v98 offset0:53 offset1:54
	ds_read2_b64 v[117:120], v98 offset0:55 offset1:56
	;; [unrolled: 1-line block ×6, first 2 shown]
	buffer_load_dword v217, off, s[0:3], 0 offset:224
	buffer_load_dword v218, off, s[0:3], 0 offset:228
	v_cmp_lt_u32_e32 vcc, 3, v0
	s_waitcnt vmcnt(49) lgkmcnt(5)
	v_mul_f32_e32 v137, v113, v107
	s_waitcnt vmcnt(48)
	v_mul_f32_e32 v138, v115, v106
	s_waitcnt vmcnt(47) lgkmcnt(4)
	v_mul_f32_e32 v139, v117, v105
	s_waitcnt vmcnt(46)
	v_mul_f32_e32 v140, v119, v104
	s_waitcnt vmcnt(45) lgkmcnt(3)
	v_mul_f32_e32 v141, v121, v103
	s_waitcnt vmcnt(44)
	v_mul_f32_e32 v142, v123, v102
	s_waitcnt vmcnt(43) lgkmcnt(2)
	v_mul_f32_e32 v143, v125, v101
	s_waitcnt vmcnt(42)
	v_mul_f32_e32 v144, v127, v108
	s_waitcnt vmcnt(41) lgkmcnt(1)
	v_mul_f32_e32 v145, v129, v109
	s_waitcnt vmcnt(40)
	v_mul_f32_e32 v146, v131, v110
	s_waitcnt vmcnt(39) lgkmcnt(0)
	v_mul_f32_e32 v147, v133, v111
	s_waitcnt vmcnt(38)
	v_mul_f32_e32 v148, v135, v112
	s_waitcnt vmcnt(37)
	v_fmac_f32_e32 v139, v118, v1
	s_waitcnt vmcnt(36)
	v_fmac_f32_e32 v138, v116, v2
	;; [unrolled: 2-line block ×3, first 2 shown]
	v_add_f32_e32 v137, 0, v137
	v_add_f32_e32 v137, v137, v138
	;; [unrolled: 1-line block ×3, first 2 shown]
	s_waitcnt vmcnt(31)
	v_fmac_f32_e32 v140, v120, v7
	v_fmac_f32_e32 v141, v122, v6
	v_add_f32_e32 v137, v137, v140
	v_fmac_f32_e32 v142, v124, v5
	v_add_f32_e32 v137, v137, v141
	;; [unrolled: 2-line block ×3, first 2 shown]
	s_waitcnt vmcnt(27)
	v_fmac_f32_e32 v144, v128, v11
	v_add_f32_e32 v137, v137, v143
	v_fmac_f32_e32 v145, v130, v10
	v_add_f32_e32 v137, v137, v144
	;; [unrolled: 2-line block ×4, first 2 shown]
	v_add_f32_e32 v141, v137, v147
	ds_read2_b64 v[137:140], v98 offset0:65 offset1:66
	buffer_load_dword v219, off, s[0:3], 0 offset:232
	buffer_load_dword v220, off, s[0:3], 0 offset:236
	;; [unrolled: 1-line block ×6, first 2 shown]
	s_waitcnt vmcnt(28)
	v_fmac_f32_e32 v148, v136, v16
	v_add_f32_e32 v145, v141, v148
	ds_read2_b64 v[141:144], v98 offset0:67 offset1:68
	buffer_load_dword v225, off, s[0:3], 0 offset:256
	buffer_load_dword v226, off, s[0:3], 0 offset:260
	;; [unrolled: 1-line block ×8, first 2 shown]
	s_waitcnt vmcnt(35) lgkmcnt(1)
	v_mul_f32_e32 v146, v137, v199
	buffer_load_dword v233, off, s[0:3], 0 offset:288
	buffer_load_dword v234, off, s[0:3], 0 offset:292
	v_fmac_f32_e32 v146, v138, v15
	v_add_f32_e32 v145, v145, v146
	s_waitcnt vmcnt(36)
	v_mul_f32_e32 v146, v139, v200
	v_fmac_f32_e32 v146, v140, v14
	v_add_f32_e32 v145, v145, v146
	s_waitcnt lgkmcnt(0)
	v_mul_f32_e32 v146, v141, v13
	v_fmac_f32_e32 v146, v142, v12
	v_add_f32_e32 v149, v145, v146
	ds_read2_b64 v[145:148], v98 offset0:69 offset1:70
	buffer_load_dword v235, off, s[0:3], 0 offset:296
	buffer_load_dword v236, off, s[0:3], 0 offset:300
	buffer_load_dword v237, off, s[0:3], 0 offset:308
	buffer_load_dword v238, off, s[0:3], 0 offset:312
	buffer_load_dword v239, off, s[0:3], 0 offset:316
	buffer_load_dword v240, off, s[0:3], 0 offset:304
	s_waitcnt vmcnt(38)
	v_mul_f32_e32 v150, v143, v202
	v_fmac_f32_e32 v150, v144, v201
	v_add_f32_e32 v153, v149, v150
	ds_read2_b64 v[149:152], v98 offset0:71 offset1:72
	buffer_load_dword v241, off, s[0:3], 0 offset:320
	buffer_load_dword v242, off, s[0:3], 0 offset:324
	;; [unrolled: 1-line block ×16, first 2 shown]
	s_waitcnt vmcnt(52) lgkmcnt(1)
	v_mul_f32_e32 v154, v145, v204
	v_fmac_f32_e32 v154, v146, v203
	v_add_f32_e32 v153, v153, v154
	s_waitcnt vmcnt(50)
	v_mul_f32_e32 v154, v147, v206
	v_fmac_f32_e32 v154, v148, v205
	v_add_f32_e32 v153, v153, v154
	s_waitcnt vmcnt(48) lgkmcnt(0)
	v_mul_f32_e32 v154, v149, v208
	v_fmac_f32_e32 v154, v150, v207
	v_add_f32_e32 v157, v153, v154
	ds_read2_b64 v[153:156], v98 offset0:73 offset1:74
	s_waitcnt vmcnt(46)
	v_mul_f32_e32 v18, v151, v210
	v_fmac_f32_e32 v18, v152, v209
	v_add_f32_e32 v18, v157, v18
	ds_read2_b64 v[157:160], v98 offset0:75 offset1:76
	s_waitcnt vmcnt(44) lgkmcnt(1)
	v_mul_f32_e32 v161, v153, v212
	v_fmac_f32_e32 v161, v154, v211
	v_add_f32_e32 v18, v18, v161
	s_waitcnt vmcnt(42)
	v_mul_f32_e32 v161, v155, v214
	v_fmac_f32_e32 v161, v156, v213
	v_add_f32_e32 v18, v18, v161
	s_waitcnt vmcnt(40) lgkmcnt(0)
	v_mul_f32_e32 v161, v157, v216
	v_fmac_f32_e32 v161, v158, v215
	v_add_f32_e32 v18, v18, v161
	ds_read2_b64 v[161:164], v98 offset0:77 offset1:78
	s_waitcnt vmcnt(38)
	v_mul_f32_e32 v165, v159, v218
	v_fmac_f32_e32 v165, v160, v217
	v_add_f32_e32 v18, v18, v165
	ds_read2_b64 v[165:168], v98 offset0:79 offset1:80
	s_waitcnt vmcnt(36) lgkmcnt(1)
	v_mul_f32_e32 v169, v161, v220
	v_fmac_f32_e32 v169, v162, v219
	v_add_f32_e32 v18, v18, v169
	s_waitcnt vmcnt(35)
	v_mul_f32_e32 v169, v163, v221
	s_waitcnt vmcnt(32)
	v_fmac_f32_e32 v169, v164, v224
	v_add_f32_e32 v18, v18, v169
	s_waitcnt lgkmcnt(0)
	v_mul_f32_e32 v169, v165, v223
	v_fmac_f32_e32 v169, v166, v222
	v_add_f32_e32 v18, v18, v169
	ds_read2_b64 v[169:172], v98 offset0:81 offset1:82
	s_waitcnt vmcnt(30)
	v_mul_f32_e32 v173, v167, v226
	v_fmac_f32_e32 v173, v168, v225
	v_add_f32_e32 v18, v18, v173
	ds_read2_b64 v[173:176], v98 offset0:83 offset1:84
	s_waitcnt vmcnt(28) lgkmcnt(1)
	v_mul_f32_e32 v177, v169, v228
	v_fmac_f32_e32 v177, v170, v227
	v_add_f32_e32 v18, v18, v177
	s_waitcnt vmcnt(27)
	v_mul_f32_e32 v177, v171, v229
	s_waitcnt vmcnt(24)
	v_fmac_f32_e32 v177, v172, v232
	v_add_f32_e32 v18, v18, v177
	s_waitcnt lgkmcnt(0)
	v_mul_f32_e32 v177, v173, v231
	v_fmac_f32_e32 v177, v174, v230
	v_add_f32_e32 v18, v18, v177
	ds_read2_b64 v[177:180], v98 offset0:85 offset1:86
	s_waitcnt vmcnt(22)
	v_mul_f32_e32 v181, v175, v234
	v_fmac_f32_e32 v181, v176, v233
	v_add_f32_e32 v18, v18, v181
	ds_read2_b64 v[181:184], v98 offset0:87 offset1:88
	s_waitcnt vmcnt(20) lgkmcnt(1)
	v_mul_f32_e32 v185, v177, v236
	v_fmac_f32_e32 v185, v178, v235
	v_add_f32_e32 v18, v18, v185
	s_waitcnt vmcnt(19)
	v_mul_f32_e32 v185, v179, v237
	s_waitcnt vmcnt(16)
	v_fmac_f32_e32 v185, v180, v240
	v_add_f32_e32 v18, v18, v185
	s_waitcnt lgkmcnt(0)
	v_mul_f32_e32 v185, v181, v239
	v_fmac_f32_e32 v185, v182, v238
	v_add_f32_e32 v18, v18, v185
	ds_read2_b64 v[185:188], v98 offset0:89 offset1:90
	s_waitcnt vmcnt(14)
	v_mul_f32_e32 v189, v183, v242
	v_fmac_f32_e32 v189, v184, v241
	v_add_f32_e32 v18, v18, v189
	ds_read2_b64 v[189:192], v98 offset0:91 offset1:92
	s_waitcnt vmcnt(12) lgkmcnt(1)
	v_mul_f32_e32 v193, v185, v244
	v_fmac_f32_e32 v193, v186, v243
	v_add_f32_e32 v18, v18, v193
	s_waitcnt vmcnt(11)
	v_mul_f32_e32 v193, v187, v245
	s_waitcnt vmcnt(8)
	v_fmac_f32_e32 v193, v188, v248
	v_add_f32_e32 v18, v18, v193
	s_waitcnt lgkmcnt(0)
	v_mul_f32_e32 v193, v189, v247
	v_fmac_f32_e32 v193, v190, v246
	v_add_f32_e32 v18, v18, v193
	ds_read2_b64 v[193:196], v98 offset0:93 offset1:94
	s_waitcnt vmcnt(6)
	v_mul_f32_e32 v197, v191, v250
	v_fmac_f32_e32 v197, v192, v249
	v_add_f32_e32 v18, v18, v197
	ds_read_b64 v[197:198], v98 offset:760
	s_waitcnt vmcnt(4) lgkmcnt(1)
	v_mul_f32_e32 v19, v193, v252
	v_fmac_f32_e32 v19, v194, v251
	v_add_f32_e32 v18, v18, v19
	s_waitcnt vmcnt(3)
	v_mul_f32_e32 v19, v195, v253
	s_waitcnt vmcnt(0)
	v_fmac_f32_e32 v19, v196, v17
	v_add_f32_e32 v18, v18, v19
	s_waitcnt lgkmcnt(0)
	v_mul_f32_e32 v19, v197, v255
	v_fmac_f32_e32 v19, v198, v254
	v_add_f32_e32 v18, v18, v19
	v_mul_f32_e32 v19, v114, v107
	v_fma_f32 v3, v113, v3, -v19
	v_mul_f32_e32 v19, v116, v106
	v_add_f32_e32 v3, 0, v3
	v_fma_f32 v2, v115, v2, -v19
	v_add_f32_e32 v2, v3, v2
	v_mul_f32_e32 v3, v118, v105
	v_fma_f32 v1, v117, v1, -v3
	v_add_f32_e32 v1, v2, v1
	v_mul_f32_e32 v2, v120, v104
	;; [unrolled: 3-line block ×41, first 2 shown]
	v_fma_f32 v2, v197, v254, -v2
	v_add_f32_e32 v1, v1, v2
	v_sub_f32_e32 v1, v99, v1
	v_sub_f32_e32 v2, v100, v18
	buffer_store_dword v1, off, s[0:3], 0 offset:32
	buffer_store_dword v2, off, s[0:3], 0 offset:36
	s_and_saveexec_b64 s[4:5], vcc
	s_cbranch_execz .LBB47_295
; %bb.294:
	buffer_load_dword v99, off, s[0:3], 0 offset:24
	buffer_load_dword v100, off, s[0:3], 0 offset:28
	s_waitcnt vmcnt(0)
	ds_write_b64 v97, v[99:100]
	buffer_store_dword v98, off, s[0:3], 0 offset:24
	buffer_store_dword v98, off, s[0:3], 0 offset:28
.LBB47_295:
	s_or_b64 exec, exec, s[4:5]
	s_waitcnt lgkmcnt(0)
	; wave barrier
	buffer_load_dword v107, off, s[0:3], 0 offset:36
	buffer_load_dword v106, off, s[0:3], 0 offset:44
	;; [unrolled: 1-line block ×32, first 2 shown]
	ds_read_b128 v[113:116], v98 offset:416
	ds_read_b128 v[117:120], v98 offset:432
	;; [unrolled: 1-line block ×4, first 2 shown]
	buffer_load_dword v19, off, s[0:3], 0 offset:152
	buffer_load_dword v20, off, s[0:3], 0 offset:156
	ds_read_b128 v[129:132], v98 offset:480
	ds_read_b128 v[133:136], v98 offset:496
	;; [unrolled: 1-line block ×3, first 2 shown]
	buffer_load_dword v201, off, s[0:3], 0 offset:160
	buffer_load_dword v202, off, s[0:3], 0 offset:164
	;; [unrolled: 1-line block ×16, first 2 shown]
	v_cmp_lt_u32_e32 vcc, 2, v0
	s_waitcnt vmcnt(49) lgkmcnt(6)
	v_mul_f32_e32 v141, v113, v107
	s_waitcnt vmcnt(48)
	v_mul_f32_e32 v142, v115, v106
	s_waitcnt vmcnt(47) lgkmcnt(5)
	v_mul_f32_e32 v143, v117, v105
	s_waitcnt vmcnt(46)
	v_mul_f32_e32 v144, v119, v104
	;; [unrolled: 4-line block ×6, first 2 shown]
	s_waitcnt vmcnt(37)
	v_fmac_f32_e32 v143, v118, v1
	s_waitcnt vmcnt(36)
	v_fmac_f32_e32 v142, v116, v2
	;; [unrolled: 2-line block ×3, first 2 shown]
	v_add_f32_e32 v141, 0, v141
	v_add_f32_e32 v141, v141, v142
	;; [unrolled: 1-line block ×3, first 2 shown]
	s_waitcnt vmcnt(31)
	v_fmac_f32_e32 v144, v120, v7
	v_fmac_f32_e32 v145, v122, v6
	v_add_f32_e32 v141, v141, v144
	v_fmac_f32_e32 v146, v124, v5
	v_add_f32_e32 v141, v141, v145
	;; [unrolled: 2-line block ×3, first 2 shown]
	s_waitcnt vmcnt(27)
	v_fmac_f32_e32 v148, v128, v11
	v_add_f32_e32 v141, v141, v147
	v_fmac_f32_e32 v149, v130, v10
	v_add_f32_e32 v141, v141, v148
	v_fmac_f32_e32 v150, v132, v9
	v_add_f32_e32 v141, v141, v149
	v_fmac_f32_e32 v151, v134, v8
	v_add_f32_e32 v141, v141, v150
	s_waitcnt vmcnt(23)
	v_fmac_f32_e32 v152, v136, v15
	v_add_f32_e32 v141, v141, v151
	v_add_f32_e32 v145, v141, v152
	ds_read_b128 v[141:144], v98 offset:528
	buffer_load_dword v217, off, s[0:3], 0 offset:224
	buffer_load_dword v218, off, s[0:3], 0 offset:228
	;; [unrolled: 1-line block ×14, first 2 shown]
	s_waitcnt vmcnt(36) lgkmcnt(1)
	v_mul_f32_e32 v146, v137, v16
	buffer_load_dword v231, off, s[0:3], 0 offset:280
	buffer_load_dword v232, off, s[0:3], 0 offset:284
	v_fmac_f32_e32 v146, v138, v14
	v_add_f32_e32 v145, v145, v146
	s_waitcnt vmcnt(37)
	v_mul_f32_e32 v146, v139, v17
	v_fmac_f32_e32 v146, v140, v13
	v_add_f32_e32 v145, v145, v146
	s_waitcnt vmcnt(36) lgkmcnt(0)
	v_mul_f32_e32 v146, v141, v18
	v_fmac_f32_e32 v146, v142, v12
	v_add_f32_e32 v149, v145, v146
	ds_read_b128 v[145:148], v98 offset:544
	buffer_load_dword v233, off, s[0:3], 0 offset:288
	buffer_load_dword v234, off, s[0:3], 0 offset:292
	;; [unrolled: 1-line block ×6, first 2 shown]
	s_waitcnt vmcnt(38)
	v_mul_f32_e32 v150, v143, v20
	v_fmac_f32_e32 v150, v144, v19
	v_add_f32_e32 v153, v149, v150
	ds_read_b128 v[149:152], v98 offset:560
	buffer_load_dword v239, off, s[0:3], 0 offset:312
	buffer_load_dword v240, off, s[0:3], 0 offset:316
	;; [unrolled: 1-line block ×10, first 2 shown]
	s_waitcnt vmcnt(46) lgkmcnt(1)
	v_mul_f32_e32 v154, v145, v202
	v_fmac_f32_e32 v154, v146, v201
	v_add_f32_e32 v153, v153, v154
	s_waitcnt vmcnt(44)
	v_mul_f32_e32 v154, v147, v204
	v_fmac_f32_e32 v154, v148, v203
	v_add_f32_e32 v153, v153, v154
	s_waitcnt vmcnt(42) lgkmcnt(0)
	v_mul_f32_e32 v154, v149, v206
	buffer_load_dword v249, off, s[0:3], 0 offset:352
	buffer_load_dword v250, off, s[0:3], 0 offset:356
	;; [unrolled: 1-line block ×6, first 2 shown]
	v_fmac_f32_e32 v154, v150, v205
	s_waitcnt vmcnt(46)
	v_mul_f32_e32 v158, v151, v208
	v_add_f32_e32 v157, v153, v154
	v_fmac_f32_e32 v158, v152, v207
	ds_read_b128 v[153:156], v98 offset:576
	v_add_f32_e32 v161, v157, v158
	ds_read_b128 v[157:160], v98 offset:592
	buffer_load_dword v255, off, s[0:3], 0 offset:376
	buffer_load_dword v21, off, s[0:3], 0 offset:380
	s_waitcnt vmcnt(46) lgkmcnt(1)
	v_mul_f32_e32 v22, v153, v210
	v_fmac_f32_e32 v22, v154, v209
	v_add_f32_e32 v22, v161, v22
	s_waitcnt vmcnt(44)
	v_mul_f32_e32 v161, v155, v212
	v_fmac_f32_e32 v161, v156, v211
	v_add_f32_e32 v22, v22, v161
	s_waitcnt vmcnt(42) lgkmcnt(0)
	v_mul_f32_e32 v161, v157, v214
	v_fmac_f32_e32 v161, v158, v213
	v_add_f32_e32 v22, v22, v161
	ds_read_b128 v[161:164], v98 offset:608
	s_waitcnt vmcnt(40)
	v_mul_f32_e32 v165, v159, v216
	v_fmac_f32_e32 v165, v160, v215
	v_add_f32_e32 v22, v22, v165
	ds_read_b128 v[165:168], v98 offset:624
	s_waitcnt vmcnt(38) lgkmcnt(1)
	v_mul_f32_e32 v169, v161, v218
	v_fmac_f32_e32 v169, v162, v217
	v_add_f32_e32 v22, v22, v169
	s_waitcnt vmcnt(37)
	v_mul_f32_e32 v169, v163, v219
	s_waitcnt vmcnt(34)
	v_fmac_f32_e32 v169, v164, v222
	v_add_f32_e32 v22, v22, v169
	s_waitcnt lgkmcnt(0)
	v_mul_f32_e32 v169, v165, v221
	v_fmac_f32_e32 v169, v166, v220
	v_add_f32_e32 v22, v22, v169
	ds_read_b128 v[169:172], v98 offset:640
	s_waitcnt vmcnt(32)
	v_mul_f32_e32 v173, v167, v224
	v_fmac_f32_e32 v173, v168, v223
	v_add_f32_e32 v22, v22, v173
	ds_read_b128 v[173:176], v98 offset:656
	s_waitcnt vmcnt(30) lgkmcnt(1)
	v_mul_f32_e32 v177, v169, v226
	v_fmac_f32_e32 v177, v170, v225
	v_add_f32_e32 v22, v22, v177
	s_waitcnt vmcnt(29)
	v_mul_f32_e32 v177, v171, v227
	s_waitcnt vmcnt(26)
	v_fmac_f32_e32 v177, v172, v230
	v_add_f32_e32 v22, v22, v177
	s_waitcnt lgkmcnt(0)
	;; [unrolled: 19-line block ×5, first 2 shown]
	v_mul_f32_e32 v98, v197, v253
	v_fmac_f32_e32 v98, v198, v252
	v_add_f32_e32 v22, v22, v98
	s_waitcnt vmcnt(0)
	v_mul_f32_e32 v98, v199, v21
	v_fmac_f32_e32 v98, v200, v255
	v_add_f32_e32 v22, v22, v98
	v_mul_f32_e32 v98, v114, v107
	v_fma_f32 v3, v113, v3, -v98
	v_mul_f32_e32 v98, v116, v106
	v_add_f32_e32 v3, 0, v3
	v_fma_f32 v2, v115, v2, -v98
	v_add_f32_e32 v2, v3, v2
	v_mul_f32_e32 v3, v118, v105
	v_fma_f32 v1, v117, v1, -v3
	v_add_f32_e32 v1, v2, v1
	v_mul_f32_e32 v2, v120, v104
	;; [unrolled: 3-line block ×42, first 2 shown]
	v_fma_f32 v2, v199, v255, -v2
	v_add_f32_e32 v1, v1, v2
	v_sub_f32_e32 v1, v99, v1
	v_sub_f32_e32 v2, v100, v22
	buffer_store_dword v1, off, s[0:3], 0 offset:24
	buffer_store_dword v2, off, s[0:3], 0 offset:28
	s_and_saveexec_b64 s[4:5], vcc
	s_cbranch_execz .LBB47_297
; %bb.296:
	buffer_load_dword v98, off, s[0:3], 0 offset:16
	buffer_load_dword v99, off, s[0:3], 0 offset:20
	v_mov_b32_e32 v1, 0
	buffer_store_dword v1, off, s[0:3], 0 offset:16
	buffer_store_dword v1, off, s[0:3], 0 offset:20
	s_waitcnt vmcnt(2)
	ds_write_b64 v97, v[98:99]
.LBB47_297:
	s_or_b64 exec, exec, s[4:5]
	s_waitcnt lgkmcnt(0)
	; wave barrier
	buffer_load_dword v1, off, s[0:3], 0 offset:28
	buffer_load_dword v2, off, s[0:3], 0 offset:36
	buffer_load_dword v3, off, s[0:3], 0 offset:44
	buffer_load_dword v4, off, s[0:3], 0 offset:52
	buffer_load_dword v5, off, s[0:3], 0 offset:60
	buffer_load_dword v6, off, s[0:3], 0 offset:68
	buffer_load_dword v7, off, s[0:3], 0 offset:76
	buffer_load_dword v8, off, s[0:3], 0 offset:84
	buffer_load_dword v9, off, s[0:3], 0 offset:92
	buffer_load_dword v10, off, s[0:3], 0 offset:100
	buffer_load_dword v11, off, s[0:3], 0 offset:108
	buffer_load_dword v12, off, s[0:3], 0 offset:116
	buffer_load_dword v13, off, s[0:3], 0 offset:40
	buffer_load_dword v14, off, s[0:3], 0 offset:32
	buffer_load_dword v15, off, s[0:3], 0 offset:24
	buffer_load_dword v16, off, s[0:3], 0 offset:72
	buffer_load_dword v17, off, s[0:3], 0 offset:64
	buffer_load_dword v18, off, s[0:3], 0 offset:56
	buffer_load_dword v19, off, s[0:3], 0 offset:48
	buffer_load_dword v20, off, s[0:3], 0 offset:104
	buffer_load_dword v21, off, s[0:3], 0 offset:96
	buffer_load_dword v22, off, s[0:3], 0 offset:88
	buffer_load_dword v191, off, s[0:3], 0 offset:80
	buffer_load_dword v192, off, s[0:3], 0 offset:136
	buffer_load_dword v193, off, s[0:3], 0 offset:128
	buffer_load_dword v194, off, s[0:3], 0 offset:120
	buffer_load_dword v195, off, s[0:3], 0 offset:112
	buffer_load_dword v196, off, s[0:3], 0 offset:124
	buffer_load_dword v197, off, s[0:3], 0 offset:132
	buffer_load_dword v198, off, s[0:3], 0 offset:140
	buffer_load_dword v99, off, s[0:3], 0 offset:16
	buffer_load_dword v100, off, s[0:3], 0 offset:20
	buffer_load_dword v199, off, s[0:3], 0 offset:144
	buffer_load_dword v200, off, s[0:3], 0 offset:148
	buffer_load_dword v201, off, s[0:3], 0 offset:152
	buffer_load_dword v202, off, s[0:3], 0 offset:156
	buffer_load_dword v203, off, s[0:3], 0 offset:160
	buffer_load_dword v204, off, s[0:3], 0 offset:164
	buffer_load_dword v205, off, s[0:3], 0 offset:168
	buffer_load_dword v206, off, s[0:3], 0 offset:172
	buffer_load_dword v207, off, s[0:3], 0 offset:176
	buffer_load_dword v208, off, s[0:3], 0 offset:180
	buffer_load_dword v209, off, s[0:3], 0 offset:184
	buffer_load_dword v210, off, s[0:3], 0 offset:188
	buffer_load_dword v211, off, s[0:3], 0 offset:192
	buffer_load_dword v212, off, s[0:3], 0 offset:196
	buffer_load_dword v213, off, s[0:3], 0 offset:200
	buffer_load_dword v214, off, s[0:3], 0 offset:204
	v_mov_b32_e32 v98, 0
	ds_read2_b64 v[101:104], v98 offset0:51 offset1:52
	ds_read2_b64 v[105:108], v98 offset0:53 offset1:54
	;; [unrolled: 1-line block ×7, first 2 shown]
	v_cmp_lt_u32_e32 vcc, 1, v0
	s_waitcnt vmcnt(47) lgkmcnt(6)
	v_mul_f32_e32 v129, v101, v1
	s_waitcnt vmcnt(46)
	v_mul_f32_e32 v130, v103, v2
	s_waitcnt vmcnt(45) lgkmcnt(5)
	v_mul_f32_e32 v131, v105, v3
	s_waitcnt vmcnt(44)
	v_mul_f32_e32 v132, v107, v4
	;; [unrolled: 4-line block ×6, first 2 shown]
	s_waitcnt vmcnt(35)
	v_fmac_f32_e32 v131, v106, v13
	s_waitcnt vmcnt(34)
	v_fmac_f32_e32 v130, v104, v14
	;; [unrolled: 2-line block ×3, first 2 shown]
	v_add_f32_e32 v129, 0, v129
	v_add_f32_e32 v129, v129, v130
	;; [unrolled: 1-line block ×3, first 2 shown]
	s_waitcnt vmcnt(29)
	v_fmac_f32_e32 v132, v108, v19
	v_fmac_f32_e32 v133, v110, v18
	v_add_f32_e32 v129, v129, v132
	v_fmac_f32_e32 v134, v112, v17
	v_add_f32_e32 v129, v129, v133
	v_fmac_f32_e32 v135, v114, v16
	v_add_f32_e32 v129, v129, v134
	s_waitcnt vmcnt(25)
	v_fmac_f32_e32 v136, v116, v191
	v_add_f32_e32 v129, v129, v135
	v_fmac_f32_e32 v137, v118, v22
	v_add_f32_e32 v129, v129, v136
	;; [unrolled: 2-line block ×4, first 2 shown]
	s_waitcnt vmcnt(21)
	v_fmac_f32_e32 v140, v124, v195
	v_add_f32_e32 v129, v129, v139
	v_add_f32_e32 v133, v129, v140
	ds_read2_b64 v[129:132], v98 offset0:65 offset1:66
	buffer_load_dword v215, off, s[0:3], 0 offset:208
	buffer_load_dword v216, off, s[0:3], 0 offset:212
	;; [unrolled: 1-line block ×10, first 2 shown]
	s_waitcnt vmcnt(30) lgkmcnt(1)
	v_mul_f32_e32 v134, v125, v196
	v_fmac_f32_e32 v134, v126, v194
	buffer_load_dword v225, off, s[0:3], 0 offset:248
	buffer_load_dword v226, off, s[0:3], 0 offset:252
	;; [unrolled: 1-line block ×6, first 2 shown]
	v_add_f32_e32 v133, v133, v134
	s_waitcnt vmcnt(35)
	v_mul_f32_e32 v134, v127, v197
	v_fmac_f32_e32 v134, v128, v193
	v_add_f32_e32 v133, v133, v134
	s_waitcnt vmcnt(34) lgkmcnt(0)
	v_mul_f32_e32 v134, v129, v198
	v_fmac_f32_e32 v134, v130, v192
	v_add_f32_e32 v137, v133, v134
	ds_read2_b64 v[133:136], v98 offset0:67 offset1:68
	buffer_load_dword v231, off, s[0:3], 0 offset:272
	buffer_load_dword v232, off, s[0:3], 0 offset:276
	s_waitcnt vmcnt(32)
	v_mul_f32_e32 v138, v131, v200
	v_fmac_f32_e32 v138, v132, v199
	v_add_f32_e32 v141, v137, v138
	ds_read2_b64 v[137:140], v98 offset0:69 offset1:70
	buffer_load_dword v233, off, s[0:3], 0 offset:280
	buffer_load_dword v234, off, s[0:3], 0 offset:284
	;; [unrolled: 1-line block ×14, first 2 shown]
	s_waitcnt vmcnt(44) lgkmcnt(1)
	v_mul_f32_e32 v142, v133, v202
	v_fmac_f32_e32 v142, v134, v201
	buffer_load_dword v247, off, s[0:3], 0 offset:336
	buffer_load_dword v248, off, s[0:3], 0 offset:340
	v_add_f32_e32 v141, v141, v142
	s_waitcnt vmcnt(44)
	v_mul_f32_e32 v142, v135, v204
	v_fmac_f32_e32 v142, v136, v203
	v_add_f32_e32 v141, v141, v142
	s_waitcnt vmcnt(42) lgkmcnt(0)
	v_mul_f32_e32 v142, v137, v206
	v_fmac_f32_e32 v142, v138, v205
	v_mul_f32_e32 v1, v102, v1
	v_add_f32_e32 v145, v141, v142
	ds_read2_b64 v[141:144], v98 offset0:71 offset1:72
	buffer_load_dword v249, off, s[0:3], 0 offset:344
	buffer_load_dword v250, off, s[0:3], 0 offset:348
	;; [unrolled: 1-line block ×6, first 2 shown]
	v_fma_f32 v1, v101, v15, -v1
	v_mul_f32_e32 v2, v104, v2
	v_add_f32_e32 v1, 0, v1
	v_fma_f32 v2, v103, v14, -v2
	v_add_f32_e32 v1, v1, v2
	v_mul_f32_e32 v2, v106, v3
	s_waitcnt vmcnt(46)
	v_mul_f32_e32 v146, v139, v208
	v_fma_f32 v2, v105, v13, -v2
	v_fmac_f32_e32 v146, v140, v207
	v_add_f32_e32 v1, v1, v2
	v_mul_f32_e32 v2, v108, v4
	v_add_f32_e32 v149, v145, v146
	ds_read2_b64 v[145:148], v98 offset0:73 offset1:74
	buffer_load_dword v255, off, s[0:3], 0 offset:372
	buffer_load_dword v23, off, s[0:3], 0 offset:376
	;; [unrolled: 1-line block ×4, first 2 shown]
	v_fma_f32 v2, v107, v19, -v2
	v_add_f32_e32 v1, v1, v2
	v_mul_f32_e32 v2, v110, v5
	v_fma_f32 v2, v109, v18, -v2
	v_add_f32_e32 v1, v1, v2
	v_mul_f32_e32 v2, v112, v6
	;; [unrolled: 3-line block ×8, first 2 shown]
	v_fma_f32 v2, v123, v195, -v2
	s_waitcnt vmcnt(48) lgkmcnt(1)
	v_mul_f32_e32 v150, v141, v210
	v_add_f32_e32 v1, v1, v2
	v_mul_f32_e32 v2, v126, v196
	v_fmac_f32_e32 v150, v142, v209
	v_fma_f32 v2, v125, v194, -v2
	v_add_f32_e32 v26, v149, v150
	s_waitcnt vmcnt(46)
	v_mul_f32_e32 v149, v143, v212
	v_add_f32_e32 v1, v1, v2
	v_mul_f32_e32 v2, v128, v197
	v_fmac_f32_e32 v149, v144, v211
	v_fma_f32 v2, v127, v193, -v2
	v_add_f32_e32 v26, v26, v149
	s_waitcnt vmcnt(44) lgkmcnt(0)
	v_mul_f32_e32 v149, v145, v214
	v_add_f32_e32 v1, v1, v2
	v_mul_f32_e32 v2, v130, v198
	v_fmac_f32_e32 v149, v146, v213
	v_fma_f32 v2, v129, v192, -v2
	v_add_f32_e32 v26, v26, v149
	ds_read2_b64 v[149:152], v98 offset0:75 offset1:76
	v_add_f32_e32 v1, v1, v2
	v_mul_f32_e32 v2, v132, v200
	v_fma_f32 v2, v131, v199, -v2
	s_waitcnt vmcnt(42)
	v_mul_f32_e32 v153, v147, v216
	v_add_f32_e32 v1, v1, v2
	v_mul_f32_e32 v2, v134, v202
	v_fmac_f32_e32 v153, v148, v215
	v_fma_f32 v2, v133, v201, -v2
	v_add_f32_e32 v26, v26, v153
	ds_read2_b64 v[153:156], v98 offset0:77 offset1:78
	v_add_f32_e32 v1, v1, v2
	v_mul_f32_e32 v2, v136, v204
	s_waitcnt vmcnt(40) lgkmcnt(1)
	v_mul_f32_e32 v157, v149, v218
	v_fma_f32 v2, v135, v203, -v2
	v_fmac_f32_e32 v157, v150, v217
	v_add_f32_e32 v1, v1, v2
	v_mul_f32_e32 v2, v138, v206
	v_add_f32_e32 v26, v26, v157
	s_waitcnt vmcnt(39)
	v_mul_f32_e32 v157, v151, v219
	v_fma_f32 v2, v137, v205, -v2
	s_waitcnt vmcnt(36)
	v_fmac_f32_e32 v157, v152, v222
	v_add_f32_e32 v1, v1, v2
	v_mul_f32_e32 v2, v140, v208
	v_add_f32_e32 v26, v26, v157
	s_waitcnt lgkmcnt(0)
	v_mul_f32_e32 v157, v153, v221
	v_fma_f32 v2, v139, v207, -v2
	v_fmac_f32_e32 v157, v154, v220
	v_add_f32_e32 v1, v1, v2
	v_mul_f32_e32 v2, v142, v210
	v_add_f32_e32 v26, v26, v157
	ds_read2_b64 v[157:160], v98 offset0:79 offset1:80
	v_fma_f32 v2, v141, v209, -v2
	v_add_f32_e32 v1, v1, v2
	v_mul_f32_e32 v2, v144, v212
	s_waitcnt vmcnt(34)
	v_mul_f32_e32 v161, v155, v224
	v_fma_f32 v2, v143, v211, -v2
	v_fmac_f32_e32 v161, v156, v223
	v_add_f32_e32 v1, v1, v2
	v_mul_f32_e32 v2, v146, v214
	v_add_f32_e32 v26, v26, v161
	ds_read2_b64 v[161:164], v98 offset0:81 offset1:82
	v_fma_f32 v2, v145, v213, -v2
	s_waitcnt vmcnt(32) lgkmcnt(1)
	v_mul_f32_e32 v165, v157, v226
	v_add_f32_e32 v1, v1, v2
	v_mul_f32_e32 v2, v148, v216
	v_fmac_f32_e32 v165, v158, v225
	v_fma_f32 v2, v147, v215, -v2
	v_add_f32_e32 v26, v26, v165
	s_waitcnt vmcnt(31)
	v_mul_f32_e32 v165, v159, v227
	v_add_f32_e32 v1, v1, v2
	v_mul_f32_e32 v2, v150, v218
	s_waitcnt vmcnt(28)
	v_fmac_f32_e32 v165, v160, v230
	v_fma_f32 v2, v149, v217, -v2
	v_add_f32_e32 v26, v26, v165
	s_waitcnt lgkmcnt(0)
	v_mul_f32_e32 v165, v161, v229
	v_add_f32_e32 v1, v1, v2
	v_mul_f32_e32 v2, v152, v219
	v_fmac_f32_e32 v165, v162, v228
	v_fma_f32 v2, v151, v222, -v2
	v_add_f32_e32 v26, v26, v165
	ds_read2_b64 v[165:168], v98 offset0:83 offset1:84
	v_add_f32_e32 v1, v1, v2
	v_mul_f32_e32 v2, v154, v221
	v_fma_f32 v2, v153, v220, -v2
	s_waitcnt vmcnt(26)
	v_mul_f32_e32 v169, v163, v232
	v_add_f32_e32 v1, v1, v2
	v_mul_f32_e32 v2, v156, v224
	v_fmac_f32_e32 v169, v164, v231
	v_fma_f32 v2, v155, v223, -v2
	v_add_f32_e32 v26, v26, v169
	ds_read2_b64 v[169:172], v98 offset0:85 offset1:86
	v_add_f32_e32 v1, v1, v2
	v_mul_f32_e32 v2, v158, v226
	s_waitcnt vmcnt(24) lgkmcnt(1)
	v_mul_f32_e32 v173, v165, v234
	v_fma_f32 v2, v157, v225, -v2
	v_fmac_f32_e32 v173, v166, v233
	v_add_f32_e32 v1, v1, v2
	v_mul_f32_e32 v2, v160, v227
	v_add_f32_e32 v26, v26, v173
	s_waitcnt vmcnt(23)
	v_mul_f32_e32 v173, v167, v235
	v_fma_f32 v2, v159, v230, -v2
	s_waitcnt vmcnt(20)
	v_fmac_f32_e32 v173, v168, v238
	v_add_f32_e32 v1, v1, v2
	v_mul_f32_e32 v2, v162, v229
	v_add_f32_e32 v26, v26, v173
	s_waitcnt lgkmcnt(0)
	v_mul_f32_e32 v173, v169, v237
	v_fma_f32 v2, v161, v228, -v2
	v_fmac_f32_e32 v173, v170, v236
	v_add_f32_e32 v1, v1, v2
	v_mul_f32_e32 v2, v164, v232
	v_add_f32_e32 v26, v26, v173
	ds_read2_b64 v[173:176], v98 offset0:87 offset1:88
	v_fma_f32 v2, v163, v231, -v2
	v_add_f32_e32 v1, v1, v2
	v_mul_f32_e32 v2, v166, v234
	s_waitcnt vmcnt(18)
	v_mul_f32_e32 v177, v171, v240
	v_fma_f32 v2, v165, v233, -v2
	v_fmac_f32_e32 v177, v172, v239
	v_add_f32_e32 v1, v1, v2
	v_mul_f32_e32 v2, v168, v235
	v_add_f32_e32 v26, v26, v177
	ds_read2_b64 v[177:180], v98 offset0:89 offset1:90
	v_fma_f32 v2, v167, v238, -v2
	s_waitcnt vmcnt(16) lgkmcnt(1)
	v_mul_f32_e32 v181, v173, v242
	v_add_f32_e32 v1, v1, v2
	v_mul_f32_e32 v2, v170, v237
	v_fmac_f32_e32 v181, v174, v241
	v_fma_f32 v2, v169, v236, -v2
	v_add_f32_e32 v26, v26, v181
	s_waitcnt vmcnt(15)
	v_mul_f32_e32 v181, v175, v243
	v_add_f32_e32 v1, v1, v2
	v_mul_f32_e32 v2, v172, v240
	s_waitcnt vmcnt(12)
	v_fmac_f32_e32 v181, v176, v246
	v_fma_f32 v2, v171, v239, -v2
	v_add_f32_e32 v26, v26, v181
	s_waitcnt lgkmcnt(0)
	v_mul_f32_e32 v181, v177, v245
	v_add_f32_e32 v1, v1, v2
	v_mul_f32_e32 v2, v174, v242
	v_fmac_f32_e32 v181, v178, v244
	v_fma_f32 v2, v173, v241, -v2
	v_add_f32_e32 v26, v26, v181
	ds_read2_b64 v[181:184], v98 offset0:91 offset1:92
	v_add_f32_e32 v1, v1, v2
	v_mul_f32_e32 v2, v176, v243
	v_fma_f32 v2, v175, v246, -v2
	v_add_f32_e32 v1, v1, v2
	v_mul_f32_e32 v2, v178, v245
	s_waitcnt vmcnt(10)
	v_mul_f32_e32 v185, v179, v248
	v_fma_f32 v2, v177, v244, -v2
	v_fmac_f32_e32 v185, v180, v247
	v_add_f32_e32 v1, v1, v2
	v_mul_f32_e32 v2, v180, v248
	v_add_f32_e32 v26, v26, v185
	ds_read2_b64 v[185:188], v98 offset0:93 offset1:94
	s_waitcnt vmcnt(8) lgkmcnt(1)
	v_mul_f32_e32 v189, v181, v250
	v_fma_f32 v2, v179, v247, -v2
	v_fmac_f32_e32 v189, v182, v249
	v_add_f32_e32 v1, v1, v2
	v_mul_f32_e32 v2, v182, v250
	v_add_f32_e32 v26, v26, v189
	s_waitcnt vmcnt(7)
	v_mul_f32_e32 v189, v183, v251
	v_fma_f32 v2, v181, v249, -v2
	s_waitcnt vmcnt(4)
	v_fmac_f32_e32 v189, v184, v254
	v_add_f32_e32 v1, v1, v2
	v_mul_f32_e32 v2, v184, v251
	v_add_f32_e32 v26, v26, v189
	ds_read_b64 v[189:190], v98 offset:760
	v_fma_f32 v2, v183, v254, -v2
	v_add_f32_e32 v1, v1, v2
	s_waitcnt lgkmcnt(1)
	v_mul_f32_e32 v2, v186, v253
	v_mul_f32_e32 v27, v185, v253
	v_fma_f32 v2, v185, v252, -v2
	v_fmac_f32_e32 v27, v186, v252
	v_add_f32_e32 v1, v1, v2
	s_waitcnt vmcnt(3)
	v_mul_f32_e32 v2, v188, v255
	v_add_f32_e32 v26, v26, v27
	v_mul_f32_e32 v27, v187, v255
	s_waitcnt vmcnt(0)
	v_fma_f32 v2, v187, v25, -v2
	v_fmac_f32_e32 v27, v188, v25
	v_add_f32_e32 v1, v1, v2
	s_waitcnt lgkmcnt(0)
	v_mul_f32_e32 v2, v190, v24
	v_add_f32_e32 v26, v26, v27
	v_mul_f32_e32 v27, v189, v24
	v_fma_f32 v2, v189, v23, -v2
	v_fmac_f32_e32 v27, v190, v23
	v_add_f32_e32 v1, v1, v2
	v_add_f32_e32 v26, v26, v27
	v_sub_f32_e32 v1, v99, v1
	v_sub_f32_e32 v2, v100, v26
	buffer_store_dword v1, off, s[0:3], 0 offset:16
	buffer_store_dword v2, off, s[0:3], 0 offset:20
	s_and_saveexec_b64 s[4:5], vcc
	s_cbranch_execz .LBB47_299
; %bb.298:
	buffer_load_dword v99, off, s[0:3], 0 offset:8
	buffer_load_dword v100, off, s[0:3], 0 offset:12
	s_waitcnt vmcnt(0)
	ds_write_b64 v97, v[99:100]
	buffer_store_dword v98, off, s[0:3], 0 offset:8
	buffer_store_dword v98, off, s[0:3], 0 offset:12
.LBB47_299:
	s_or_b64 exec, exec, s[4:5]
	s_waitcnt lgkmcnt(0)
	; wave barrier
	buffer_load_dword v107, off, s[0:3], 0 offset:20
	buffer_load_dword v106, off, s[0:3], 0 offset:28
	;; [unrolled: 1-line block ×33, first 2 shown]
	ds_read_b128 v[108:111], v98 offset:400
	ds_read_b128 v[112:115], v98 offset:416
	;; [unrolled: 1-line block ×6, first 2 shown]
	buffer_load_dword v25, off, s[0:3], 0 offset:136
	buffer_load_dword v26, off, s[0:3], 0 offset:148
	;; [unrolled: 1-line block ×7, first 2 shown]
	ds_read_b128 v[132:135], v98 offset:496
	ds_read_b128 v[136:139], v98 offset:512
	buffer_load_dword v203, off, s[0:3], 0 offset:168
	buffer_load_dword v204, off, s[0:3], 0 offset:172
	;; [unrolled: 1-line block ×18, first 2 shown]
	v_cmp_ne_u32_e32 vcc, 0, v0
	s_waitcnt vmcnt(57) lgkmcnt(7)
	v_mul_f32_e32 v140, v108, v107
	s_waitcnt vmcnt(56)
	v_mul_f32_e32 v141, v110, v106
	s_waitcnt vmcnt(55) lgkmcnt(6)
	v_mul_f32_e32 v142, v112, v105
	s_waitcnt vmcnt(54)
	v_mul_f32_e32 v143, v114, v104
	;; [unrolled: 4-line block ×6, first 2 shown]
	s_waitcnt vmcnt(45)
	v_fmac_f32_e32 v142, v113, v6
	s_waitcnt vmcnt(44)
	v_fmac_f32_e32 v141, v111, v7
	;; [unrolled: 2-line block ×3, first 2 shown]
	v_add_f32_e32 v140, 0, v140
	v_add_f32_e32 v140, v140, v141
	;; [unrolled: 1-line block ×3, first 2 shown]
	s_waitcnt vmcnt(39)
	v_fmac_f32_e32 v143, v115, v12
	v_fmac_f32_e32 v144, v117, v11
	v_add_f32_e32 v140, v140, v143
	v_fmac_f32_e32 v145, v119, v10
	v_add_f32_e32 v140, v140, v144
	;; [unrolled: 2-line block ×3, first 2 shown]
	s_waitcnt vmcnt(35)
	v_fmac_f32_e32 v147, v123, v16
	v_add_f32_e32 v140, v140, v146
	v_fmac_f32_e32 v148, v125, v15
	v_add_f32_e32 v140, v140, v147
	;; [unrolled: 2-line block ×4, first 2 shown]
	s_waitcnt vmcnt(31)
	v_fmac_f32_e32 v151, v131, v20
	v_add_f32_e32 v140, v140, v150
	s_waitcnt vmcnt(30) lgkmcnt(1)
	v_mul_f32_e32 v141, v132, v21
	v_add_f32_e32 v140, v140, v151
	v_fmac_f32_e32 v141, v133, v19
	v_add_f32_e32 v140, v140, v141
	s_waitcnt vmcnt(29)
	v_mul_f32_e32 v141, v134, v22
	v_fmac_f32_e32 v141, v135, v18
	v_add_f32_e32 v140, v140, v141
	s_waitcnt vmcnt(28) lgkmcnt(0)
	v_mul_f32_e32 v141, v136, v23
	v_fmac_f32_e32 v141, v137, v17
	v_add_f32_e32 v144, v140, v141
	ds_read_b128 v[140:143], v98 offset:528
	buffer_load_dword v221, off, s[0:3], 0 offset:240
	buffer_load_dword v222, off, s[0:3], 0 offset:244
	;; [unrolled: 1-line block ×6, first 2 shown]
	s_waitcnt vmcnt(33)
	v_mul_f32_e32 v145, v138, v24
	s_waitcnt vmcnt(30)
	v_fmac_f32_e32 v145, v139, v25
	v_add_f32_e32 v148, v144, v145
	ds_read_b128 v[144:147], v98 offset:544
	buffer_load_dword v227, off, s[0:3], 0 offset:264
	buffer_load_dword v228, off, s[0:3], 0 offset:268
	;; [unrolled: 1-line block ×10, first 2 shown]
	s_waitcnt vmcnt(39) lgkmcnt(1)
	v_mul_f32_e32 v149, v140, v26
	buffer_load_dword v237, off, s[0:3], 0 offset:304
	buffer_load_dword v238, off, s[0:3], 0 offset:308
	;; [unrolled: 1-line block ×6, first 2 shown]
	s_waitcnt vmcnt(40)
	v_fmac_f32_e32 v149, v141, v202
	v_add_f32_e32 v148, v148, v149
	v_mul_f32_e32 v149, v142, v28
	v_fmac_f32_e32 v149, v143, v27
	v_add_f32_e32 v148, v148, v149
	s_waitcnt lgkmcnt(0)
	v_mul_f32_e32 v149, v144, v201
	v_fmac_f32_e32 v149, v145, v200
	v_add_f32_e32 v152, v148, v149
	ds_read_b128 v[148:151], v98 offset:560
	buffer_load_dword v243, off, s[0:3], 0 offset:328
	buffer_load_dword v244, off, s[0:3], 0 offset:332
	s_waitcnt vmcnt(40)
	v_mul_f32_e32 v153, v146, v204
	v_fmac_f32_e32 v153, v147, v203
	v_add_f32_e32 v156, v152, v153
	ds_read_b128 v[152:155], v98 offset:576
	buffer_load_dword v245, off, s[0:3], 0 offset:336
	buffer_load_dword v246, off, s[0:3], 0 offset:340
	;; [unrolled: 1-line block ×12, first 2 shown]
	s_waitcnt vmcnt(50) lgkmcnt(1)
	v_mul_f32_e32 v157, v148, v206
	v_fmac_f32_e32 v157, v149, v205
	v_add_f32_e32 v156, v156, v157
	s_waitcnt vmcnt(48)
	v_mul_f32_e32 v157, v150, v208
	v_fmac_f32_e32 v157, v151, v207
	v_add_f32_e32 v30, v156, v157
	s_waitcnt vmcnt(46) lgkmcnt(0)
	v_mul_f32_e32 v156, v152, v210
	v_fmac_f32_e32 v156, v153, v209
	v_add_f32_e32 v30, v30, v156
	ds_read_b128 v[156:159], v98 offset:592
	s_waitcnt vmcnt(44)
	v_mul_f32_e32 v160, v154, v212
	v_fmac_f32_e32 v160, v155, v211
	v_add_f32_e32 v30, v30, v160
	ds_read_b128 v[160:163], v98 offset:608
	s_waitcnt vmcnt(42) lgkmcnt(1)
	v_mul_f32_e32 v164, v156, v214
	v_fmac_f32_e32 v164, v157, v213
	v_add_f32_e32 v30, v30, v164
	s_waitcnt vmcnt(41)
	v_mul_f32_e32 v164, v158, v215
	s_waitcnt vmcnt(38)
	v_fmac_f32_e32 v164, v159, v218
	v_add_f32_e32 v30, v30, v164
	s_waitcnt lgkmcnt(0)
	v_mul_f32_e32 v164, v160, v217
	v_fmac_f32_e32 v164, v161, v216
	v_add_f32_e32 v30, v30, v164
	ds_read_b128 v[164:167], v98 offset:624
	s_waitcnt vmcnt(36)
	v_mul_f32_e32 v168, v162, v220
	v_fmac_f32_e32 v168, v163, v219
	v_add_f32_e32 v30, v30, v168
	ds_read_b128 v[168:171], v98 offset:640
	v_mul_f32_e32 v1, v123, v1
	v_fma_f32 v1, v122, v16, -v1
	v_mul_f32_e32 v2, v125, v2
	v_fma_f32 v2, v124, v15, -v2
	s_waitcnt vmcnt(34) lgkmcnt(1)
	v_mul_f32_e32 v172, v164, v222
	v_fmac_f32_e32 v172, v165, v221
	v_add_f32_e32 v30, v30, v172
	s_waitcnt vmcnt(33)
	v_mul_f32_e32 v172, v166, v223
	s_waitcnt vmcnt(30)
	v_fmac_f32_e32 v172, v167, v226
	v_add_f32_e32 v30, v30, v172
	s_waitcnt lgkmcnt(0)
	v_mul_f32_e32 v172, v168, v225
	v_fmac_f32_e32 v172, v169, v224
	v_add_f32_e32 v30, v30, v172
	ds_read_b128 v[172:175], v98 offset:656
	s_waitcnt vmcnt(28)
	v_mul_f32_e32 v176, v170, v228
	v_fmac_f32_e32 v176, v171, v227
	v_add_f32_e32 v30, v30, v176
	ds_read_b128 v[176:179], v98 offset:672
	s_waitcnt vmcnt(26) lgkmcnt(1)
	v_mul_f32_e32 v180, v172, v230
	v_fmac_f32_e32 v180, v173, v229
	v_add_f32_e32 v30, v30, v180
	s_waitcnt vmcnt(25)
	v_mul_f32_e32 v180, v174, v231
	s_waitcnt vmcnt(22)
	v_fmac_f32_e32 v180, v175, v234
	v_add_f32_e32 v30, v30, v180
	s_waitcnt lgkmcnt(0)
	v_mul_f32_e32 v180, v176, v233
	v_fmac_f32_e32 v180, v177, v232
	v_add_f32_e32 v30, v30, v180
	ds_read_b128 v[180:183], v98 offset:688
	s_waitcnt vmcnt(20)
	v_mul_f32_e32 v184, v178, v236
	v_fmac_f32_e32 v184, v179, v235
	v_add_f32_e32 v30, v30, v184
	ds_read_b128 v[184:187], v98 offset:704
	;; [unrolled: 19-line block ×3, first 2 shown]
	s_waitcnt vmcnt(10) lgkmcnt(1)
	v_mul_f32_e32 v196, v188, v246
	v_fmac_f32_e32 v196, v189, v245
	v_add_f32_e32 v30, v30, v196
	s_waitcnt vmcnt(9)
	v_mul_f32_e32 v196, v190, v247
	s_waitcnt vmcnt(6)
	v_fmac_f32_e32 v196, v191, v250
	v_add_f32_e32 v30, v30, v196
	ds_read_b128 v[196:199], v98 offset:752
	s_waitcnt lgkmcnt(1)
	v_mul_f32_e32 v31, v192, v249
	v_fmac_f32_e32 v31, v193, v248
	v_add_f32_e32 v30, v30, v31
	s_waitcnt vmcnt(4)
	v_mul_f32_e32 v31, v194, v252
	v_fmac_f32_e32 v31, v195, v251
	v_add_f32_e32 v30, v30, v31
	s_waitcnt vmcnt(3) lgkmcnt(0)
	v_mul_f32_e32 v31, v196, v253
	s_waitcnt vmcnt(0)
	v_fmac_f32_e32 v31, v197, v29
	v_add_f32_e32 v30, v30, v31
	v_mul_f32_e32 v31, v198, v255
	v_fmac_f32_e32 v31, v199, v254
	v_add_f32_e32 v30, v30, v31
	v_mul_f32_e32 v31, v109, v107
	v_fma_f32 v8, v108, v8, -v31
	v_mul_f32_e32 v31, v111, v106
	v_add_f32_e32 v8, 0, v8
	v_fma_f32 v7, v110, v7, -v31
	v_add_f32_e32 v7, v8, v7
	v_mul_f32_e32 v8, v113, v105
	v_fma_f32 v6, v112, v6, -v8
	v_add_f32_e32 v6, v7, v6
	v_mul_f32_e32 v7, v115, v104
	;; [unrolled: 3-line block ×5, first 2 shown]
	v_fma_f32 v7, v120, v9, -v7
	v_add_f32_e32 v6, v6, v7
	v_add_f32_e32 v1, v6, v1
	v_add_f32_e32 v1, v1, v2
	v_mul_f32_e32 v2, v127, v3
	v_fma_f32 v2, v126, v14, -v2
	v_add_f32_e32 v1, v1, v2
	v_mul_f32_e32 v2, v129, v4
	v_fma_f32 v2, v128, v13, -v2
	v_add_f32_e32 v1, v1, v2
	;; [unrolled: 3-line block ×37, first 2 shown]
	v_sub_f32_e32 v1, v99, v1
	v_sub_f32_e32 v2, v100, v30
	buffer_store_dword v1, off, s[0:3], 0 offset:8
	buffer_store_dword v2, off, s[0:3], 0 offset:12
	s_and_saveexec_b64 s[4:5], vcc
	s_cbranch_execz .LBB47_301
; %bb.300:
	buffer_load_dword v98, off, s[0:3], 0
	buffer_load_dword v99, off, s[0:3], 0 offset:4
	v_mov_b32_e32 v0, 0
	buffer_store_dword v0, off, s[0:3], 0
	buffer_store_dword v0, off, s[0:3], 0 offset:4
	s_waitcnt vmcnt(2)
	ds_write_b64 v97, v[98:99]
.LBB47_301:
	s_or_b64 exec, exec, s[4:5]
	s_waitcnt lgkmcnt(0)
	; wave barrier
	buffer_load_dword v102, off, s[0:3], 0 offset:12
	buffer_load_dword v101, off, s[0:3], 0 offset:20
	;; [unrolled: 1-line block ×38, first 2 shown]
	buffer_load_dword v104, off, s[0:3], 0
	buffer_load_dword v105, off, s[0:3], 0 offset:4
	buffer_load_dword v32, off, s[0:3], 0 offset:160
	buffer_load_dword v200, off, s[0:3], 0 offset:164
	buffer_load_dword v201, off, s[0:3], 0 offset:168
	buffer_load_dword v202, off, s[0:3], 0 offset:172
	buffer_load_dword v203, off, s[0:3], 0 offset:176
	buffer_load_dword v204, off, s[0:3], 0 offset:180
	buffer_load_dword v205, off, s[0:3], 0 offset:184
	buffer_load_dword v206, off, s[0:3], 0 offset:188
	v_mov_b32_e32 v103, 0
	ds_read2_b64 v[106:109], v103 offset0:49 offset1:50
	ds_read2_b64 v[110:113], v103 offset0:51 offset1:52
	;; [unrolled: 1-line block ×7, first 2 shown]
	s_and_b64 vcc, exec, s[22:23]
	s_waitcnt vmcnt(47) lgkmcnt(6)
	v_mul_f32_e32 v134, v106, v102
	s_waitcnt vmcnt(46)
	v_mul_f32_e32 v135, v108, v101
	s_waitcnt vmcnt(45) lgkmcnt(5)
	v_mul_f32_e32 v136, v110, v100
	s_waitcnt vmcnt(44)
	v_mul_f32_e32 v137, v112, v99
	;; [unrolled: 4-line block ×6, first 2 shown]
	s_waitcnt vmcnt(35)
	v_fmac_f32_e32 v136, v111, v6
	s_waitcnt vmcnt(34)
	v_fmac_f32_e32 v135, v109, v7
	;; [unrolled: 2-line block ×3, first 2 shown]
	v_add_f32_e32 v134, 0, v134
	v_add_f32_e32 v134, v134, v135
	;; [unrolled: 1-line block ×3, first 2 shown]
	s_waitcnt vmcnt(29)
	v_fmac_f32_e32 v137, v113, v12
	v_fmac_f32_e32 v138, v115, v11
	v_add_f32_e32 v134, v134, v137
	v_fmac_f32_e32 v139, v117, v10
	v_add_f32_e32 v134, v134, v138
	v_fmac_f32_e32 v140, v119, v9
	v_add_f32_e32 v134, v134, v139
	s_waitcnt vmcnt(25)
	v_fmac_f32_e32 v141, v121, v16
	v_add_f32_e32 v134, v134, v140
	v_fmac_f32_e32 v142, v123, v15
	v_add_f32_e32 v134, v134, v141
	;; [unrolled: 2-line block ×4, first 2 shown]
	s_waitcnt vmcnt(21)
	v_fmac_f32_e32 v145, v129, v20
	v_add_f32_e32 v134, v134, v144
	v_add_f32_e32 v138, v134, v145
	ds_read2_b64 v[134:137], v103 offset0:63 offset1:64
	buffer_load_dword v207, off, s[0:3], 0 offset:192
	buffer_load_dword v208, off, s[0:3], 0 offset:196
	;; [unrolled: 1-line block ×8, first 2 shown]
	s_waitcnt vmcnt(28) lgkmcnt(1)
	v_mul_f32_e32 v139, v130, v21
	buffer_load_dword v215, off, s[0:3], 0 offset:224
	buffer_load_dword v216, off, s[0:3], 0 offset:228
	v_fmac_f32_e32 v139, v131, v19
	v_add_f32_e32 v138, v138, v139
	s_waitcnt vmcnt(29)
	v_mul_f32_e32 v139, v132, v22
	v_fmac_f32_e32 v139, v133, v18
	v_add_f32_e32 v138, v138, v139
	s_waitcnt vmcnt(28) lgkmcnt(0)
	v_mul_f32_e32 v139, v134, v23
	v_fmac_f32_e32 v139, v135, v17
	v_add_f32_e32 v142, v138, v139
	ds_read2_b64 v[138:141], v103 offset0:65 offset1:66
	buffer_load_dword v217, off, s[0:3], 0 offset:232
	buffer_load_dword v218, off, s[0:3], 0 offset:236
	;; [unrolled: 1-line block ×6, first 2 shown]
	s_waitcnt vmcnt(33)
	v_mul_f32_e32 v143, v136, v24
	s_waitcnt vmcnt(26)
	v_fmac_f32_e32 v143, v137, v31
	v_add_f32_e32 v146, v142, v143
	ds_read2_b64 v[142:145], v103 offset0:67 offset1:68
	buffer_load_dword v223, off, s[0:3], 0 offset:256
	buffer_load_dword v224, off, s[0:3], 0 offset:260
	;; [unrolled: 1-line block ×8, first 2 shown]
	s_waitcnt lgkmcnt(1)
	v_mul_f32_e32 v147, v138, v26
	buffer_load_dword v231, off, s[0:3], 0 offset:288
	buffer_load_dword v232, off, s[0:3], 0 offset:292
	v_fmac_f32_e32 v147, v139, v25
	v_add_f32_e32 v146, v146, v147
	v_mul_f32_e32 v147, v140, v28
	v_fmac_f32_e32 v147, v141, v27
	v_add_f32_e32 v146, v146, v147
	s_waitcnt lgkmcnt(0)
	v_mul_f32_e32 v147, v142, v30
	v_fmac_f32_e32 v147, v143, v29
	v_add_f32_e32 v150, v146, v147
	ds_read2_b64 v[146:149], v103 offset0:69 offset1:70
	buffer_load_dword v233, off, s[0:3], 0 offset:296
	buffer_load_dword v234, off, s[0:3], 0 offset:300
	;; [unrolled: 1-line block ×6, first 2 shown]
	s_waitcnt vmcnt(38)
	v_mul_f32_e32 v151, v144, v200
	v_fmac_f32_e32 v151, v145, v32
	v_add_f32_e32 v154, v150, v151
	ds_read2_b64 v[150:153], v103 offset0:71 offset1:72
	buffer_load_dword v239, off, s[0:3], 0 offset:320
	buffer_load_dword v240, off, s[0:3], 0 offset:324
	;; [unrolled: 1-line block ×16, first 2 shown]
	s_waitcnt vmcnt(52) lgkmcnt(1)
	v_mul_f32_e32 v155, v146, v202
	v_fmac_f32_e32 v155, v147, v201
	v_add_f32_e32 v154, v154, v155
	s_waitcnt vmcnt(50)
	v_mul_f32_e32 v155, v148, v204
	v_fmac_f32_e32 v155, v149, v203
	v_add_f32_e32 v154, v154, v155
	s_waitcnt vmcnt(48) lgkmcnt(0)
	v_mul_f32_e32 v155, v150, v206
	v_fmac_f32_e32 v155, v151, v205
	v_add_f32_e32 v158, v154, v155
	ds_read2_b64 v[154:157], v103 offset0:73 offset1:74
	v_mul_f32_e32 v0, v119, v0
	v_fma_f32 v0, v118, v9, -v0
	v_mul_f32_e32 v1, v121, v1
	v_fma_f32 v1, v120, v16, -v1
	s_waitcnt vmcnt(46)
	v_mul_f32_e32 v159, v152, v208
	v_fmac_f32_e32 v159, v153, v207
	v_add_f32_e32 v162, v158, v159
	ds_read2_b64 v[158:161], v103 offset0:75 offset1:76
	s_waitcnt vmcnt(44) lgkmcnt(1)
	v_mul_f32_e32 v163, v154, v210
	v_fmac_f32_e32 v163, v155, v209
	v_add_f32_e32 v162, v162, v163
	s_waitcnt vmcnt(43)
	v_mul_f32_e32 v163, v156, v211
	s_waitcnt vmcnt(40)
	v_fmac_f32_e32 v163, v157, v214
	v_add_f32_e32 v162, v162, v163
	s_waitcnt lgkmcnt(0)
	v_mul_f32_e32 v163, v158, v213
	v_fmac_f32_e32 v163, v159, v212
	v_add_f32_e32 v166, v162, v163
	ds_read2_b64 v[162:165], v103 offset0:77 offset1:78
	s_waitcnt vmcnt(38)
	v_mul_f32_e32 v167, v160, v216
	v_fmac_f32_e32 v167, v161, v215
	v_add_f32_e32 v170, v166, v167
	ds_read2_b64 v[166:169], v103 offset0:79 offset1:80
	s_waitcnt vmcnt(36) lgkmcnt(1)
	v_mul_f32_e32 v171, v162, v218
	v_fmac_f32_e32 v171, v163, v217
	v_add_f32_e32 v170, v170, v171
	s_waitcnt vmcnt(35)
	v_mul_f32_e32 v171, v164, v219
	s_waitcnt vmcnt(32)
	v_fmac_f32_e32 v171, v165, v222
	v_add_f32_e32 v170, v170, v171
	s_waitcnt lgkmcnt(0)
	v_mul_f32_e32 v171, v166, v221
	v_fmac_f32_e32 v171, v167, v220
	v_add_f32_e32 v174, v170, v171
	ds_read2_b64 v[170:173], v103 offset0:81 offset1:82
	;; [unrolled: 19-line block ×5, first 2 shown]
	s_waitcnt vmcnt(6)
	v_mul_f32_e32 v199, v192, v248
	v_fmac_f32_e32 v199, v193, v247
	v_add_f32_e32 v255, v198, v199
	ds_read_b64 v[198:199], v103 offset:760
	s_waitcnt vmcnt(4) lgkmcnt(1)
	v_mul_f32_e32 v33, v194, v250
	v_fmac_f32_e32 v33, v195, v249
	s_waitcnt vmcnt(3)
	v_mul_f32_e32 v34, v196, v251
	v_add_f32_e32 v33, v255, v33
	s_waitcnt vmcnt(0)
	v_fmac_f32_e32 v34, v197, v254
	v_add_f32_e32 v33, v33, v34
	s_waitcnt lgkmcnt(0)
	v_mul_f32_e32 v34, v198, v253
	v_fmac_f32_e32 v34, v199, v252
	v_add_f32_e32 v33, v33, v34
	v_mul_f32_e32 v34, v107, v102
	v_fma_f32 v8, v106, v8, -v34
	v_mul_f32_e32 v34, v109, v101
	v_add_f32_e32 v8, 0, v8
	v_fma_f32 v7, v108, v7, -v34
	v_add_f32_e32 v7, v8, v7
	v_mul_f32_e32 v8, v111, v100
	v_fma_f32 v6, v110, v6, -v8
	v_add_f32_e32 v6, v7, v6
	v_mul_f32_e32 v7, v113, v99
	;; [unrolled: 3-line block ×4, first 2 shown]
	v_fma_f32 v7, v116, v10, -v7
	v_add_f32_e32 v6, v6, v7
	v_add_f32_e32 v0, v6, v0
	;; [unrolled: 1-line block ×3, first 2 shown]
	v_mul_f32_e32 v1, v123, v2
	v_fma_f32 v1, v122, v15, -v1
	v_add_f32_e32 v0, v0, v1
	v_mul_f32_e32 v1, v125, v3
	v_fma_f32 v1, v124, v14, -v1
	v_add_f32_e32 v0, v0, v1
	;; [unrolled: 3-line block ×39, first 2 shown]
	v_sub_f32_e32 v0, v104, v0
	v_sub_f32_e32 v1, v105, v33
	buffer_store_dword v0, off, s[0:3], 0
	buffer_store_dword v1, off, s[0:3], 0 offset:4
	s_cbranch_vccz .LBB47_396
; %bb.302:
	global_load_dword v0, v103, s[20:21] offset:184
	s_waitcnt vmcnt(0)
	v_add_u32_e32 v0, -1, v0
	v_cmp_ne_u32_e32 vcc, 46, v0
	s_cbranch_vccz .LBB47_304
; %bb.303:
	v_lshlrev_b32_e32 v0, 3, v0
	buffer_load_dword v1, v0, s[0:3], 0 offen
	buffer_load_dword v2, v0, s[0:3], 0 offen offset:4
	buffer_load_dword v3, off, s[0:3], 0 offset:372
	buffer_load_dword v4, off, s[0:3], 0 offset:368
	s_waitcnt vmcnt(3)
	buffer_store_dword v1, off, s[0:3], 0 offset:368
	s_waitcnt vmcnt(3)
	buffer_store_dword v2, off, s[0:3], 0 offset:372
	s_waitcnt vmcnt(3)
	buffer_store_dword v3, v0, s[0:3], 0 offen offset:4
	s_waitcnt vmcnt(3)
	buffer_store_dword v4, v0, s[0:3], 0 offen
.LBB47_304:
	v_mov_b32_e32 v0, 0
	global_load_dword v1, v0, s[20:21] offset:180
	s_waitcnt vmcnt(0)
	v_add_u32_e32 v97, -1, v1
	v_cmp_eq_u32_e32 vcc, 45, v97
	s_cbranch_vccnz .LBB47_306
; %bb.305:
	v_lshlrev_b32_e32 v1, 3, v97
	buffer_load_dword v2, v1, s[0:3], 0 offen
	buffer_load_dword v3, v1, s[0:3], 0 offen offset:4
	buffer_load_dword v4, off, s[0:3], 0 offset:360
	buffer_load_dword v5, off, s[0:3], 0 offset:364
	s_waitcnt vmcnt(3)
	buffer_store_dword v2, off, s[0:3], 0 offset:360
	s_waitcnt vmcnt(3)
	buffer_store_dword v3, off, s[0:3], 0 offset:364
	s_waitcnt vmcnt(3)
	buffer_store_dword v4, v1, s[0:3], 0 offen
	s_waitcnt vmcnt(3)
	buffer_store_dword v5, v1, s[0:3], 0 offen offset:4
.LBB47_306:
	global_load_dword v0, v0, s[20:21] offset:176
	s_waitcnt vmcnt(0)
	v_add_u32_e32 v0, -1, v0
	v_cmp_eq_u32_e32 vcc, 44, v0
	s_cbranch_vccnz .LBB47_308
; %bb.307:
	v_lshlrev_b32_e32 v0, 3, v0
	buffer_load_dword v1, v0, s[0:3], 0 offen
	buffer_load_dword v2, v0, s[0:3], 0 offen offset:4
	buffer_load_dword v3, off, s[0:3], 0 offset:356
	buffer_load_dword v4, off, s[0:3], 0 offset:352
	s_waitcnt vmcnt(3)
	buffer_store_dword v1, off, s[0:3], 0 offset:352
	s_waitcnt vmcnt(3)
	buffer_store_dword v2, off, s[0:3], 0 offset:356
	s_waitcnt vmcnt(3)
	buffer_store_dword v3, v0, s[0:3], 0 offen offset:4
	s_waitcnt vmcnt(3)
	buffer_store_dword v4, v0, s[0:3], 0 offen
.LBB47_308:
	v_mov_b32_e32 v0, 0
	global_load_dword v1, v0, s[20:21] offset:172
	s_waitcnt vmcnt(0)
	v_add_u32_e32 v97, -1, v1
	v_cmp_eq_u32_e32 vcc, 43, v97
	s_cbranch_vccnz .LBB47_310
; %bb.309:
	v_lshlrev_b32_e32 v1, 3, v97
	buffer_load_dword v2, v1, s[0:3], 0 offen
	buffer_load_dword v3, v1, s[0:3], 0 offen offset:4
	buffer_load_dword v4, off, s[0:3], 0 offset:344
	buffer_load_dword v5, off, s[0:3], 0 offset:348
	s_waitcnt vmcnt(3)
	buffer_store_dword v2, off, s[0:3], 0 offset:344
	s_waitcnt vmcnt(3)
	buffer_store_dword v3, off, s[0:3], 0 offset:348
	s_waitcnt vmcnt(3)
	buffer_store_dword v4, v1, s[0:3], 0 offen
	s_waitcnt vmcnt(3)
	buffer_store_dword v5, v1, s[0:3], 0 offen offset:4
.LBB47_310:
	global_load_dword v0, v0, s[20:21] offset:168
	s_waitcnt vmcnt(0)
	v_add_u32_e32 v0, -1, v0
	v_cmp_eq_u32_e32 vcc, 42, v0
	s_cbranch_vccnz .LBB47_312
; %bb.311:
	v_lshlrev_b32_e32 v0, 3, v0
	buffer_load_dword v1, v0, s[0:3], 0 offen
	buffer_load_dword v2, v0, s[0:3], 0 offen offset:4
	buffer_load_dword v3, off, s[0:3], 0 offset:340
	buffer_load_dword v4, off, s[0:3], 0 offset:336
	s_waitcnt vmcnt(3)
	buffer_store_dword v1, off, s[0:3], 0 offset:336
	s_waitcnt vmcnt(3)
	buffer_store_dword v2, off, s[0:3], 0 offset:340
	s_waitcnt vmcnt(3)
	buffer_store_dword v3, v0, s[0:3], 0 offen offset:4
	s_waitcnt vmcnt(3)
	buffer_store_dword v4, v0, s[0:3], 0 offen
.LBB47_312:
	;; [unrolled: 41-line block ×22, first 2 shown]
	v_mov_b32_e32 v0, 0
	global_load_dword v1, v0, s[20:21] offset:4
	s_waitcnt vmcnt(0)
	v_add_u32_e32 v97, -1, v1
	v_cmp_eq_u32_e32 vcc, 1, v97
	s_cbranch_vccnz .LBB47_394
; %bb.393:
	v_lshlrev_b32_e32 v1, 3, v97
	buffer_load_dword v2, v1, s[0:3], 0 offen
	buffer_load_dword v3, v1, s[0:3], 0 offen offset:4
	buffer_load_dword v4, off, s[0:3], 0 offset:8
	buffer_load_dword v5, off, s[0:3], 0 offset:12
	s_waitcnt vmcnt(3)
	buffer_store_dword v2, off, s[0:3], 0 offset:8
	s_waitcnt vmcnt(3)
	buffer_store_dword v3, off, s[0:3], 0 offset:12
	s_waitcnt vmcnt(3)
	buffer_store_dword v4, v1, s[0:3], 0 offen
	s_waitcnt vmcnt(3)
	buffer_store_dword v5, v1, s[0:3], 0 offen offset:4
.LBB47_394:
	global_load_dword v0, v0, s[20:21]
	s_waitcnt vmcnt(0)
	v_add_u32_e32 v0, -1, v0
	v_cmp_eq_u32_e32 vcc, 0, v0
	s_cbranch_vccnz .LBB47_396
; %bb.395:
	v_lshlrev_b32_e32 v0, 3, v0
	buffer_load_dword v1, v0, s[0:3], 0 offen
	buffer_load_dword v2, v0, s[0:3], 0 offen offset:4
	buffer_load_dword v3, off, s[0:3], 0 offset:4
	buffer_load_dword v4, off, s[0:3], 0
	s_waitcnt vmcnt(3)
	buffer_store_dword v1, off, s[0:3], 0
	s_waitcnt vmcnt(3)
	buffer_store_dword v2, off, s[0:3], 0 offset:4
	s_waitcnt vmcnt(3)
	buffer_store_dword v3, v0, s[0:3], 0 offen offset:4
	s_waitcnt vmcnt(3)
	buffer_store_dword v4, v0, s[0:3], 0 offen
.LBB47_396:
	buffer_load_dword v97, off, s[0:3], 0
	buffer_load_dword v98, off, s[0:3], 0 offset:4
	buffer_load_dword v99, off, s[0:3], 0 offset:8
	;; [unrolled: 1-line block ×95, first 2 shown]
	s_waitcnt vmcnt(62)
	global_store_dwordx2 v[87:88], v[97:98], off
	global_store_dwordx2 v[89:90], v[99:100], off
	buffer_load_dword v0, off, s[0:3], 0 offset:384 ; 4-byte Folded Reload
	buffer_load_dword v1, off, s[0:3], 0 offset:388 ; 4-byte Folded Reload
	s_waitcnt vmcnt(0)
	global_store_dwordx2 v[0:1], v[101:102], off
	buffer_load_dword v0, off, s[0:3], 0 offset:392 ; 4-byte Folded Reload
	s_nop 0
	buffer_load_dword v1, off, s[0:3], 0 offset:396 ; 4-byte Folded Reload
	s_waitcnt vmcnt(0)
	global_store_dwordx2 v[0:1], v[103:104], off
	buffer_load_dword v0, off, s[0:3], 0 offset:400 ; 4-byte Folded Reload
	s_nop 0
	;; [unrolled: 5-line block ×16, first 2 shown]
	buffer_load_dword v1, off, s[0:3], 0 offset:516 ; 4-byte Folded Reload
	s_waitcnt vmcnt(0)
	global_store_dwordx2 v[0:1], v[133:134], off
	global_store_dwordx2 v[35:36], v[135:136], off
	;; [unrolled: 1-line block ×30, first 2 shown]
	s_endpgm
	.section	.rodata,"a",@progbits
	.p2align	6, 0x0
	.amdhsa_kernel _ZN9rocsolver6v33100L18getri_kernel_smallILi48E19rocblas_complex_numIfEPS3_EEvT1_iilPiilS6_bb
		.amdhsa_group_segment_fixed_size 772
		.amdhsa_private_segment_fixed_size 528
		.amdhsa_kernarg_size 60
		.amdhsa_user_sgpr_count 6
		.amdhsa_user_sgpr_private_segment_buffer 1
		.amdhsa_user_sgpr_dispatch_ptr 0
		.amdhsa_user_sgpr_queue_ptr 0
		.amdhsa_user_sgpr_kernarg_segment_ptr 1
		.amdhsa_user_sgpr_dispatch_id 0
		.amdhsa_user_sgpr_flat_scratch_init 0
		.amdhsa_user_sgpr_private_segment_size 0
		.amdhsa_uses_dynamic_stack 0
		.amdhsa_system_sgpr_private_segment_wavefront_offset 1
		.amdhsa_system_sgpr_workgroup_id_x 1
		.amdhsa_system_sgpr_workgroup_id_y 0
		.amdhsa_system_sgpr_workgroup_id_z 0
		.amdhsa_system_sgpr_workgroup_info 0
		.amdhsa_system_vgpr_workitem_id 0
		.amdhsa_next_free_vgpr 256
		.amdhsa_next_free_sgpr 24
		.amdhsa_reserve_vcc 1
		.amdhsa_reserve_flat_scratch 0
		.amdhsa_float_round_mode_32 0
		.amdhsa_float_round_mode_16_64 0
		.amdhsa_float_denorm_mode_32 3
		.amdhsa_float_denorm_mode_16_64 3
		.amdhsa_dx10_clamp 1
		.amdhsa_ieee_mode 1
		.amdhsa_fp16_overflow 0
		.amdhsa_exception_fp_ieee_invalid_op 0
		.amdhsa_exception_fp_denorm_src 0
		.amdhsa_exception_fp_ieee_div_zero 0
		.amdhsa_exception_fp_ieee_overflow 0
		.amdhsa_exception_fp_ieee_underflow 0
		.amdhsa_exception_fp_ieee_inexact 0
		.amdhsa_exception_int_div_zero 0
	.end_amdhsa_kernel
	.section	.text._ZN9rocsolver6v33100L18getri_kernel_smallILi48E19rocblas_complex_numIfEPS3_EEvT1_iilPiilS6_bb,"axG",@progbits,_ZN9rocsolver6v33100L18getri_kernel_smallILi48E19rocblas_complex_numIfEPS3_EEvT1_iilPiilS6_bb,comdat
.Lfunc_end47:
	.size	_ZN9rocsolver6v33100L18getri_kernel_smallILi48E19rocblas_complex_numIfEPS3_EEvT1_iilPiilS6_bb, .Lfunc_end47-_ZN9rocsolver6v33100L18getri_kernel_smallILi48E19rocblas_complex_numIfEPS3_EEvT1_iilPiilS6_bb
                                        ; -- End function
	.set _ZN9rocsolver6v33100L18getri_kernel_smallILi48E19rocblas_complex_numIfEPS3_EEvT1_iilPiilS6_bb.num_vgpr, 256
	.set _ZN9rocsolver6v33100L18getri_kernel_smallILi48E19rocblas_complex_numIfEPS3_EEvT1_iilPiilS6_bb.num_agpr, 0
	.set _ZN9rocsolver6v33100L18getri_kernel_smallILi48E19rocblas_complex_numIfEPS3_EEvT1_iilPiilS6_bb.numbered_sgpr, 24
	.set _ZN9rocsolver6v33100L18getri_kernel_smallILi48E19rocblas_complex_numIfEPS3_EEvT1_iilPiilS6_bb.num_named_barrier, 0
	.set _ZN9rocsolver6v33100L18getri_kernel_smallILi48E19rocblas_complex_numIfEPS3_EEvT1_iilPiilS6_bb.private_seg_size, 528
	.set _ZN9rocsolver6v33100L18getri_kernel_smallILi48E19rocblas_complex_numIfEPS3_EEvT1_iilPiilS6_bb.uses_vcc, 1
	.set _ZN9rocsolver6v33100L18getri_kernel_smallILi48E19rocblas_complex_numIfEPS3_EEvT1_iilPiilS6_bb.uses_flat_scratch, 0
	.set _ZN9rocsolver6v33100L18getri_kernel_smallILi48E19rocblas_complex_numIfEPS3_EEvT1_iilPiilS6_bb.has_dyn_sized_stack, 0
	.set _ZN9rocsolver6v33100L18getri_kernel_smallILi48E19rocblas_complex_numIfEPS3_EEvT1_iilPiilS6_bb.has_recursion, 0
	.set _ZN9rocsolver6v33100L18getri_kernel_smallILi48E19rocblas_complex_numIfEPS3_EEvT1_iilPiilS6_bb.has_indirect_call, 0
	.section	.AMDGPU.csdata,"",@progbits
; Kernel info:
; codeLenInByte = 87160
; TotalNumSgprs: 28
; NumVgprs: 256
; ScratchSize: 528
; MemoryBound: 0
; FloatMode: 240
; IeeeMode: 1
; LDSByteSize: 772 bytes/workgroup (compile time only)
; SGPRBlocks: 3
; VGPRBlocks: 63
; NumSGPRsForWavesPerEU: 28
; NumVGPRsForWavesPerEU: 256
; Occupancy: 1
; WaveLimiterHint : 1
; COMPUTE_PGM_RSRC2:SCRATCH_EN: 1
; COMPUTE_PGM_RSRC2:USER_SGPR: 6
; COMPUTE_PGM_RSRC2:TRAP_HANDLER: 0
; COMPUTE_PGM_RSRC2:TGID_X_EN: 1
; COMPUTE_PGM_RSRC2:TGID_Y_EN: 0
; COMPUTE_PGM_RSRC2:TGID_Z_EN: 0
; COMPUTE_PGM_RSRC2:TIDIG_COMP_CNT: 0
	.section	.text._ZN9rocsolver6v33100L18getri_kernel_smallILi49E19rocblas_complex_numIfEPS3_EEvT1_iilPiilS6_bb,"axG",@progbits,_ZN9rocsolver6v33100L18getri_kernel_smallILi49E19rocblas_complex_numIfEPS3_EEvT1_iilPiilS6_bb,comdat
	.globl	_ZN9rocsolver6v33100L18getri_kernel_smallILi49E19rocblas_complex_numIfEPS3_EEvT1_iilPiilS6_bb ; -- Begin function _ZN9rocsolver6v33100L18getri_kernel_smallILi49E19rocblas_complex_numIfEPS3_EEvT1_iilPiilS6_bb
	.p2align	8
	.type	_ZN9rocsolver6v33100L18getri_kernel_smallILi49E19rocblas_complex_numIfEPS3_EEvT1_iilPiilS6_bb,@function
_ZN9rocsolver6v33100L18getri_kernel_smallILi49E19rocblas_complex_numIfEPS3_EEvT1_iilPiilS6_bb: ; @_ZN9rocsolver6v33100L18getri_kernel_smallILi49E19rocblas_complex_numIfEPS3_EEvT1_iilPiilS6_bb
; %bb.0:
	s_add_u32 s0, s0, s7
	s_addc_u32 s1, s1, 0
	v_cmp_gt_u32_e32 vcc, 49, v0
	s_and_saveexec_b64 s[8:9], vcc
	s_cbranch_execz .LBB48_210
; %bb.1:
	s_load_dword s12, s[4:5], 0x38
	s_load_dwordx4 s[16:19], s[4:5], 0x10
	s_load_dwordx4 s[8:11], s[4:5], 0x28
                                        ; implicit-def: $sgpr20_sgpr21
	s_waitcnt lgkmcnt(0)
	s_bitcmp1_b32 s12, 8
	s_cselect_b64 s[22:23], -1, 0
	s_ashr_i32 s7, s6, 31
	s_bfe_u32 s12, s12, 0x10008
	s_cmp_eq_u32 s12, 0
	s_cbranch_scc1 .LBB48_3
; %bb.2:
	s_load_dword s12, s[4:5], 0x20
	s_mul_i32 s13, s8, s7
	s_mul_hi_u32 s14, s8, s6
	s_mul_i32 s9, s9, s6
	s_add_i32 s14, s14, s13
	s_add_i32 s9, s14, s9
	s_mul_i32 s8, s8, s6
	s_waitcnt lgkmcnt(0)
	s_ashr_i32 s13, s12, 31
	s_lshl_b64 s[8:9], s[8:9], 2
	s_add_u32 s14, s18, s8
	s_addc_u32 s15, s19, s9
	s_lshl_b64 s[8:9], s[12:13], 2
	s_add_u32 s20, s14, s8
	s_addc_u32 s21, s15, s9
.LBB48_3:
	s_load_dwordx4 s[12:15], s[4:5], 0x0
	s_load_dword s8, s[4:5], 0x38
	s_mul_i32 s9, s16, s7
	s_mul_hi_u32 s18, s16, s6
	s_add_i32 s9, s18, s9
	s_waitcnt lgkmcnt(0)
	s_ashr_i32 s5, s14, 31
	s_mov_b32 s4, s14
	s_mul_i32 s14, s17, s6
	s_add_i32 s17, s9, s14
	s_mul_i32 s16, s16, s6
	s_lshl_b64 s[16:17], s[16:17], 3
	s_add_u32 s9, s12, s16
	s_addc_u32 s12, s13, s17
	s_lshl_b64 s[4:5], s[4:5], 3
	s_add_u32 s4, s9, s4
	s_addc_u32 s5, s12, s5
	s_add_i32 s9, s15, s15
	v_add_u32_e32 v3, s9, v0
	v_ashrrev_i32_e32 v4, 31, v3
	v_lshlrev_b64 v[1:2], 3, v[3:4]
	v_add_u32_e32 v5, s15, v3
	v_mov_b32_e32 v4, s5
	v_add_co_u32_e32 v1, vcc, s4, v1
	v_ashrrev_i32_e32 v6, 31, v5
	v_addc_co_u32_e32 v2, vcc, v4, v2, vcc
	v_lshlrev_b64 v[3:4], 3, v[5:6]
	v_add_u32_e32 v7, s15, v5
	v_mov_b32_e32 v6, s5
	v_add_co_u32_e32 v3, vcc, s4, v3
	v_ashrrev_i32_e32 v8, 31, v7
	v_addc_co_u32_e32 v4, vcc, v6, v4, vcc
	;; [unrolled: 6-line block ×8, first 2 shown]
	v_lshlrev_b64 v[17:18], 3, v[19:20]
	v_mov_b32_e32 v21, s5
	v_add_co_u32_e32 v17, vcc, s4, v17
	v_addc_co_u32_e32 v18, vcc, v21, v18, vcc
	v_add_u32_e32 v21, s15, v19
	v_ashrrev_i32_e32 v22, 31, v21
	v_lshlrev_b64 v[19:20], 3, v[21:22]
	v_mov_b32_e32 v23, s5
	v_add_co_u32_e32 v19, vcc, s4, v19
	v_addc_co_u32_e32 v20, vcc, v23, v20, vcc
	v_add_u32_e32 v23, s15, v21
	v_ashrrev_i32_e32 v24, 31, v23
	;; [unrolled: 6-line block ×32, first 2 shown]
	v_lshlrev_b64 v[81:82], 3, v[83:84]
	v_mov_b32_e32 v85, s5
	v_add_co_u32_e32 v81, vcc, s4, v81
	v_addc_co_u32_e32 v82, vcc, v85, v82, vcc
	v_lshlrev_b32_e32 v101, 3, v0
	v_add_u32_e32 v85, s15, v83
	v_mov_b32_e32 v83, s5
	v_add_co_u32_e32 v89, vcc, s4, v101
	s_ashr_i32 s13, s15, 31
	s_mov_b32 s12, s15
	v_addc_co_u32_e32 v90, vcc, 0, v83, vcc
	s_lshl_b64 s[12:13], s[12:13], 3
	v_mov_b32_e32 v83, s13
	v_add_co_u32_e32 v91, vcc, s12, v89
	v_addc_co_u32_e32 v92, vcc, v90, v83, vcc
	global_load_dwordx2 v[99:100], v101, s[4:5]
	global_load_dwordx2 v[102:103], v[91:92], off
	s_nop 0
	buffer_store_dword v1, off, s[0:3], 0 offset:392 ; 4-byte Folded Spill
	s_nop 0
	buffer_store_dword v2, off, s[0:3], 0 offset:396 ; 4-byte Folded Spill
	v_ashrrev_i32_e32 v86, 31, v85
	v_lshlrev_b64 v[83:84], 3, v[85:86]
	v_mov_b32_e32 v87, s5
	v_add_co_u32_e32 v83, vcc, s4, v83
	v_addc_co_u32_e32 v84, vcc, v87, v84, vcc
	v_add_u32_e32 v87, s15, v85
	v_ashrrev_i32_e32 v88, 31, v87
	v_lshlrev_b64 v[85:86], 3, v[87:88]
	v_mov_b32_e32 v93, s5
	v_add_co_u32_e32 v85, vcc, s4, v85
	v_addc_co_u32_e32 v86, vcc, v93, v86, vcc
	v_add_u32_e32 v93, s15, v87
	;; [unrolled: 6-line block ×5, first 2 shown]
	v_ashrrev_i32_e32 v98, 31, v97
	v_lshlrev_b64 v[97:98], 3, v[97:98]
	v_mov_b32_e32 v162, s5
	v_add_co_u32_e32 v97, vcc, s4, v97
	v_addc_co_u32_e32 v98, vcc, v162, v98, vcc
	s_bitcmp0_b32 s8, 0
	s_mov_b64 s[8:9], -1
	global_load_dwordx2 v[104:105], v[1:2], off
	s_nop 0
	buffer_store_dword v3, off, s[0:3], 0 offset:400 ; 4-byte Folded Spill
	s_nop 0
	buffer_store_dword v4, off, s[0:3], 0 offset:404 ; 4-byte Folded Spill
	global_load_dwordx2 v[106:107], v[3:4], off
	s_nop 0
	buffer_store_dword v5, off, s[0:3], 0 offset:408 ; 4-byte Folded Spill
	s_nop 0
	buffer_store_dword v6, off, s[0:3], 0 offset:412 ; 4-byte Folded Spill
	;; [unrolled: 5-line block ×18, first 2 shown]
	global_load_dwordx2 v[140:141], v[37:38], off
	global_load_dwordx2 v[142:143], v[39:40], off
	;; [unrolled: 1-line block ×21, first 2 shown]
	s_waitcnt vmcnt(62)
	buffer_store_dword v100, off, s[0:3], 0 offset:4
	buffer_store_dword v99, off, s[0:3], 0
	global_load_dwordx2 v[99:100], v[63:64], off
	s_nop 0
	buffer_store_dword v103, off, s[0:3], 0 offset:12
	buffer_store_dword v102, off, s[0:3], 0 offset:8
	global_load_dwordx2 v[102:103], v[67:68], off
	s_nop 0
	buffer_store_dword v105, off, s[0:3], 0 offset:20
	buffer_store_dword v104, off, s[0:3], 0 offset:16
	;; [unrolled: 4-line block ×6, first 2 shown]
	global_load_dwordx2 v[112:113], v[87:88], off
	s_waitcnt vmcnt(62)
	buffer_store_dword v115, off, s[0:3], 0 offset:60
	buffer_store_dword v114, off, s[0:3], 0 offset:56
	global_load_dwordx2 v[114:115], v[95:96], off
	s_nop 0
	buffer_store_dword v117, off, s[0:3], 0 offset:68
	buffer_store_dword v116, off, s[0:3], 0 offset:64
	;; [unrolled: 1-line block ×12, first 2 shown]
	s_waitcnt vmcnt(62)
	buffer_store_dword v129, off, s[0:3], 0 offset:116
	buffer_store_dword v128, off, s[0:3], 0 offset:112
	;; [unrolled: 1-line block ×10, first 2 shown]
	s_waitcnt vmcnt(62)
	buffer_store_dword v139, off, s[0:3], 0 offset:156
	buffer_store_dword v138, off, s[0:3], 0 offset:152
	buffer_store_dword v141, off, s[0:3], 0 offset:164
	buffer_store_dword v140, off, s[0:3], 0 offset:160
	buffer_store_dword v142, off, s[0:3], 0 offset:168
	buffer_store_dword v143, off, s[0:3], 0 offset:172
	buffer_store_dword v144, off, s[0:3], 0 offset:176
	buffer_store_dword v145, off, s[0:3], 0 offset:180
	buffer_store_dword v146, off, s[0:3], 0 offset:184
	buffer_store_dword v147, off, s[0:3], 0 offset:188
	buffer_store_dword v148, off, s[0:3], 0 offset:192
	buffer_store_dword v149, off, s[0:3], 0 offset:196
	s_waitcnt vmcnt(62)
	buffer_store_dword v151, off, s[0:3], 0 offset:204
	buffer_store_dword v150, off, s[0:3], 0 offset:200
	buffer_store_dword v153, off, s[0:3], 0 offset:212
	buffer_store_dword v152, off, s[0:3], 0 offset:208
	buffer_store_dword v154, off, s[0:3], 0 offset:216
	buffer_store_dword v155, off, s[0:3], 0 offset:220
	buffer_store_dword v156, off, s[0:3], 0 offset:224
	buffer_store_dword v157, off, s[0:3], 0 offset:228
	buffer_store_dword v158, off, s[0:3], 0 offset:232
	buffer_store_dword v159, off, s[0:3], 0 offset:236
	buffer_store_dword v160, off, s[0:3], 0 offset:240
	buffer_store_dword v161, off, s[0:3], 0 offset:244
	buffer_store_dword v163, off, s[0:3], 0 offset:252
	buffer_store_dword v162, off, s[0:3], 0 offset:248
	buffer_store_dword v165, off, s[0:3], 0 offset:260
	buffer_store_dword v164, off, s[0:3], 0 offset:256
	s_waitcnt vmcnt(62)
	buffer_store_dword v99, off, s[0:3], 0 offset:264
	buffer_store_dword v100, off, s[0:3], 0 offset:268
	buffer_store_dword v166, off, s[0:3], 0 offset:272
	buffer_store_dword v167, off, s[0:3], 0 offset:276
	;; [unrolled: 17-line block ×3, first 2 shown]
	buffer_store_dword v111, off, s[0:3], 0 offset:348
	buffer_store_dword v110, off, s[0:3], 0 offset:344
	buffer_store_dword v177, off, s[0:3], 0 offset:356
	buffer_store_dword v176, off, s[0:3], 0 offset:352
	buffer_store_dword v112, off, s[0:3], 0 offset:360
	buffer_store_dword v113, off, s[0:3], 0 offset:364
	buffer_store_dword v178, off, s[0:3], 0 offset:368
	buffer_store_dword v179, off, s[0:3], 0 offset:372
	buffer_store_dword v114, off, s[0:3], 0 offset:376
	buffer_store_dword v115, off, s[0:3], 0 offset:380
	buffer_store_dword v180, off, s[0:3], 0 offset:384
	buffer_store_dword v181, off, s[0:3], 0 offset:388
	s_cbranch_scc1 .LBB48_208
; %bb.4:
	v_cmp_eq_u32_e64 s[4:5], 0, v0
	s_and_saveexec_b64 s[8:9], s[4:5]
; %bb.5:
	v_mov_b32_e32 v99, 0
	ds_write_b32 v99, v99 offset:392
; %bb.6:
	s_or_b64 exec, exec, s[8:9]
	v_mov_b32_e32 v99, 0
	v_lshl_add_u32 v103, v0, 3, v99
	s_waitcnt lgkmcnt(0)
	; wave barrier
	buffer_load_dword v99, v103, s[0:3], 0 offen
	buffer_load_dword v100, v103, s[0:3], 0 offen offset:4
	s_waitcnt vmcnt(1)
	v_cmp_eq_f32_e32 vcc, 0, v99
	s_waitcnt vmcnt(0)
	v_cmp_eq_f32_e64 s[8:9], 0, v100
	s_and_b64 s[8:9], vcc, s[8:9]
	s_and_saveexec_b64 s[12:13], s[8:9]
	s_cbranch_execz .LBB48_10
; %bb.7:
	v_mov_b32_e32 v99, 0
	ds_read_b32 v102, v99 offset:392
	v_add_u32_e32 v100, 1, v0
	s_waitcnt lgkmcnt(0)
	v_readfirstlane_b32 s8, v102
	s_cmp_eq_u32 s8, 0
	s_cselect_b64 s[14:15], -1, 0
	v_cmp_gt_i32_e32 vcc, s8, v100
	s_or_b64 s[14:15], s[14:15], vcc
	s_and_b64 exec, exec, s[14:15]
	s_cbranch_execz .LBB48_10
; %bb.8:
	s_mov_b64 s[14:15], 0
	v_mov_b32_e32 v102, s8
.LBB48_9:                               ; =>This Inner Loop Header: Depth=1
	ds_cmpst_rtn_b32 v102, v99, v102, v100 offset:392
	s_waitcnt lgkmcnt(0)
	v_cmp_ne_u32_e32 vcc, 0, v102
	v_cmp_le_i32_e64 s[8:9], v102, v100
	s_and_b64 s[8:9], vcc, s[8:9]
	s_and_b64 s[8:9], exec, s[8:9]
	s_or_b64 s[14:15], s[8:9], s[14:15]
	s_andn2_b64 exec, exec, s[14:15]
	s_cbranch_execnz .LBB48_9
.LBB48_10:
	s_or_b64 exec, exec, s[12:13]
	v_mov_b32_e32 v100, 0
	; wave barrier
	ds_read_b32 v99, v100 offset:392
	s_and_saveexec_b64 s[8:9], s[4:5]
	s_cbranch_execz .LBB48_12
; %bb.11:
	s_lshl_b64 s[12:13], s[6:7], 2
	s_add_u32 s12, s10, s12
	s_addc_u32 s13, s11, s13
	s_waitcnt lgkmcnt(0)
	global_store_dword v100, v99, s[12:13]
.LBB48_12:
	s_or_b64 exec, exec, s[8:9]
	s_waitcnt lgkmcnt(0)
	v_cmp_ne_u32_e32 vcc, 0, v99
	s_mov_b64 s[8:9], 0
	s_cbranch_vccnz .LBB48_208
; %bb.13:
	buffer_load_dword v100, v103, s[0:3], 0 offen
	buffer_load_dword v102, v103, s[0:3], 0 offen offset:4
                                        ; implicit-def: $vgpr105
                                        ; implicit-def: $vgpr104
                                        ; implicit-def: $vgpr99
	s_waitcnt vmcnt(0)
	v_cmp_ngt_f32_e64 s[8:9], |v100|, |v102|
	s_and_saveexec_b64 s[12:13], s[8:9]
	s_xor_b64 s[8:9], exec, s[12:13]
	s_cbranch_execz .LBB48_15
; %bb.14:
	v_div_scale_f32 v99, s[12:13], v102, v102, v100
	v_div_scale_f32 v104, vcc, v100, v102, v100
	v_rcp_f32_e32 v105, v99
	v_fma_f32 v106, -v99, v105, 1.0
	v_fmac_f32_e32 v105, v106, v105
	v_mul_f32_e32 v106, v104, v105
	v_fma_f32 v107, -v99, v106, v104
	v_fmac_f32_e32 v106, v107, v105
	v_fma_f32 v99, -v99, v106, v104
	v_div_fmas_f32 v99, v99, v105, v106
	v_div_fixup_f32 v99, v99, v102, v100
	v_fmac_f32_e32 v102, v100, v99
	v_div_scale_f32 v100, s[12:13], v102, v102, 1.0
	v_div_scale_f32 v104, vcc, 1.0, v102, 1.0
	v_rcp_f32_e32 v105, v100
	v_fma_f32 v106, -v100, v105, 1.0
	v_fmac_f32_e32 v105, v106, v105
	v_mul_f32_e32 v106, v104, v105
	v_fma_f32 v107, -v100, v106, v104
	v_fmac_f32_e32 v106, v107, v105
	v_fma_f32 v100, -v100, v106, v104
	v_div_fmas_f32 v100, v100, v105, v106
	v_div_fixup_f32 v100, v100, v102, 1.0
	v_mul_f32_e32 v105, v99, v100
	v_xor_b32_e32 v104, 0x80000000, v100
	v_xor_b32_e32 v99, 0x80000000, v105
                                        ; implicit-def: $vgpr100
                                        ; implicit-def: $vgpr102
.LBB48_15:
	s_andn2_saveexec_b64 s[8:9], s[8:9]
	s_cbranch_execz .LBB48_17
; %bb.16:
	v_div_scale_f32 v99, s[12:13], v100, v100, v102
	v_div_scale_f32 v104, vcc, v102, v100, v102
	v_rcp_f32_e32 v105, v99
	v_fma_f32 v106, -v99, v105, 1.0
	v_fmac_f32_e32 v105, v106, v105
	v_mul_f32_e32 v106, v104, v105
	v_fma_f32 v107, -v99, v106, v104
	v_fmac_f32_e32 v106, v107, v105
	v_fma_f32 v99, -v99, v106, v104
	v_div_fmas_f32 v99, v99, v105, v106
	v_div_fixup_f32 v104, v99, v100, v102
	v_fmac_f32_e32 v100, v102, v104
	v_div_scale_f32 v99, s[12:13], v100, v100, 1.0
	v_div_scale_f32 v102, vcc, 1.0, v100, 1.0
	v_rcp_f32_e32 v105, v99
	v_fma_f32 v106, -v99, v105, 1.0
	v_fmac_f32_e32 v105, v106, v105
	v_mul_f32_e32 v106, v102, v105
	v_fma_f32 v107, -v99, v106, v102
	v_fmac_f32_e32 v106, v107, v105
	v_fma_f32 v99, -v99, v106, v102
	v_div_fmas_f32 v99, v99, v105, v106
	v_div_fixup_f32 v105, v99, v100, 1.0
	v_xor_b32_e32 v99, 0x80000000, v105
	v_mul_f32_e64 v104, v104, -v105
.LBB48_17:
	s_or_b64 exec, exec, s[8:9]
	buffer_store_dword v105, v103, s[0:3], 0 offen
	buffer_store_dword v104, v103, s[0:3], 0 offen offset:4
	buffer_load_dword v106, off, s[0:3], 0 offset:12
	s_nop 0
	buffer_load_dword v105, off, s[0:3], 0 offset:8
	v_xor_b32_e32 v100, 0x80000000, v104
	v_add_u32_e32 v102, 0x190, v101
	s_waitcnt vmcnt(0)
	ds_write2_b64 v101, v[99:100], v[105:106] offset1:50
	s_waitcnt lgkmcnt(0)
	; wave barrier
	s_and_saveexec_b64 s[8:9], s[4:5]
	s_cbranch_execz .LBB48_19
; %bb.18:
	buffer_load_dword v106, v103, s[0:3], 0 offen offset:4
	buffer_load_dword v107, v103, s[0:3], 0 offen
	ds_read_b64 v[99:100], v102
	v_mov_b32_e32 v104, 0
	ds_read_b64 v[104:105], v104 offset:8
	s_waitcnt vmcnt(1) lgkmcnt(1)
	v_mul_f32_e32 v108, v100, v106
	v_mul_f32_e32 v106, v99, v106
	s_waitcnt vmcnt(0)
	v_fmac_f32_e32 v106, v100, v107
	v_fma_f32 v99, v99, v107, -v108
	v_add_f32_e32 v100, 0, v106
	v_add_f32_e32 v99, 0, v99
	s_waitcnt lgkmcnt(0)
	v_mul_f32_e32 v106, v100, v105
	v_mul_f32_e32 v105, v99, v105
	v_fma_f32 v99, v99, v104, -v106
	v_fmac_f32_e32 v105, v100, v104
	buffer_store_dword v99, off, s[0:3], 0 offset:8
	buffer_store_dword v105, off, s[0:3], 0 offset:12
.LBB48_19:
	s_or_b64 exec, exec, s[8:9]
	; wave barrier
	buffer_load_dword v99, off, s[0:3], 0 offset:16
	buffer_load_dword v100, off, s[0:3], 0 offset:20
	v_cmp_gt_u32_e32 vcc, 2, v0
	s_waitcnt vmcnt(0)
	ds_write_b64 v102, v[99:100]
	s_waitcnt lgkmcnt(0)
	; wave barrier
	s_and_saveexec_b64 s[8:9], vcc
	s_cbranch_execz .LBB48_23
; %bb.20:
	buffer_load_dword v104, v103, s[0:3], 0 offen offset:4
	buffer_load_dword v105, v103, s[0:3], 0 offen
	ds_read_b64 v[99:100], v102
	s_waitcnt vmcnt(1) lgkmcnt(0)
	v_mul_f32_e32 v103, v100, v104
	v_mul_f32_e32 v104, v99, v104
	s_waitcnt vmcnt(0)
	v_fma_f32 v99, v99, v105, -v103
	v_fmac_f32_e32 v104, v100, v105
	v_add_f32_e32 v100, 0, v99
	v_add_f32_e32 v99, 0, v104
	s_and_saveexec_b64 s[12:13], s[4:5]
	s_cbranch_execz .LBB48_22
; %bb.21:
	buffer_load_dword v105, off, s[0:3], 0 offset:12
	buffer_load_dword v106, off, s[0:3], 0 offset:8
	v_mov_b32_e32 v103, 0
	ds_read_b64 v[103:104], v103 offset:408
	s_waitcnt vmcnt(1) lgkmcnt(0)
	v_mul_f32_e32 v107, v103, v105
	v_mul_f32_e32 v105, v104, v105
	s_waitcnt vmcnt(0)
	v_fmac_f32_e32 v107, v104, v106
	v_fma_f32 v103, v103, v106, -v105
	v_add_f32_e32 v99, v99, v107
	v_add_f32_e32 v100, v100, v103
.LBB48_22:
	s_or_b64 exec, exec, s[12:13]
	v_mov_b32_e32 v103, 0
	ds_read_b64 v[103:104], v103 offset:16
	s_waitcnt lgkmcnt(0)
	v_mul_f32_e32 v105, v99, v104
	v_mul_f32_e32 v104, v100, v104
	v_fma_f32 v100, v100, v103, -v105
	v_fmac_f32_e32 v104, v99, v103
	buffer_store_dword v100, off, s[0:3], 0 offset:16
	buffer_store_dword v104, off, s[0:3], 0 offset:20
.LBB48_23:
	s_or_b64 exec, exec, s[8:9]
	; wave barrier
	buffer_load_dword v99, off, s[0:3], 0 offset:24
	buffer_load_dword v100, off, s[0:3], 0 offset:28
	v_cmp_gt_u32_e32 vcc, 3, v0
	s_waitcnt vmcnt(0)
	ds_write_b64 v102, v[99:100]
	v_add_u32_e32 v99, -1, v0
	s_waitcnt lgkmcnt(0)
	; wave barrier
	s_and_saveexec_b64 s[4:5], vcc
	s_cbranch_execz .LBB48_27
; %bb.24:
	v_add_u32_e32 v103, -1, v0
	v_add_u32_e32 v104, 0x190, v101
	v_mov_b32_e32 v105, v101
	v_mov_b32_e32 v100, 0
	s_mov_b64 s[8:9], 0
	v_mov_b32_e32 v106, 0
.LBB48_25:                              ; =>This Inner Loop Header: Depth=1
	buffer_load_dword v109, v105, s[0:3], 0 offen offset:4
	buffer_load_dword v110, v105, s[0:3], 0 offen
	ds_read_b64 v[107:108], v104
	v_add_u32_e32 v103, 1, v103
	v_cmp_lt_u32_e32 vcc, 1, v103
	v_add_u32_e32 v104, 8, v104
	v_add_u32_e32 v105, 8, v105
	s_or_b64 s[8:9], vcc, s[8:9]
	s_waitcnt vmcnt(1) lgkmcnt(0)
	v_mul_f32_e32 v111, v108, v109
	v_mul_f32_e32 v109, v107, v109
	s_waitcnt vmcnt(0)
	v_fma_f32 v107, v107, v110, -v111
	v_fmac_f32_e32 v109, v108, v110
	v_add_f32_e32 v106, v106, v107
	v_add_f32_e32 v100, v100, v109
	s_andn2_b64 exec, exec, s[8:9]
	s_cbranch_execnz .LBB48_25
; %bb.26:
	s_or_b64 exec, exec, s[8:9]
	v_mov_b32_e32 v103, 0
	ds_read_b64 v[103:104], v103 offset:24
	s_waitcnt lgkmcnt(0)
	v_mul_f32_e32 v105, v100, v104
	v_mul_f32_e32 v104, v106, v104
	v_fma_f32 v105, v106, v103, -v105
	v_fmac_f32_e32 v104, v100, v103
	buffer_store_dword v105, off, s[0:3], 0 offset:24
	buffer_store_dword v104, off, s[0:3], 0 offset:28
.LBB48_27:
	s_or_b64 exec, exec, s[4:5]
	; wave barrier
	buffer_load_dword v103, off, s[0:3], 0 offset:32
	buffer_load_dword v104, off, s[0:3], 0 offset:36
	v_cmp_gt_u32_e32 vcc, 4, v0
	s_waitcnt vmcnt(0)
	ds_write_b64 v102, v[103:104]
	s_waitcnt lgkmcnt(0)
	; wave barrier
	s_and_saveexec_b64 s[4:5], vcc
	s_cbranch_execz .LBB48_31
; %bb.28:
	v_add_u32_e32 v103, -1, v0
	v_add_u32_e32 v104, 0x190, v101
	v_mov_b32_e32 v105, v101
	v_mov_b32_e32 v100, 0
	s_mov_b64 s[8:9], 0
	v_mov_b32_e32 v106, 0
.LBB48_29:                              ; =>This Inner Loop Header: Depth=1
	buffer_load_dword v109, v105, s[0:3], 0 offen offset:4
	buffer_load_dword v110, v105, s[0:3], 0 offen
	ds_read_b64 v[107:108], v104
	v_add_u32_e32 v103, 1, v103
	v_cmp_lt_u32_e32 vcc, 2, v103
	v_add_u32_e32 v104, 8, v104
	v_add_u32_e32 v105, 8, v105
	s_or_b64 s[8:9], vcc, s[8:9]
	s_waitcnt vmcnt(1) lgkmcnt(0)
	v_mul_f32_e32 v111, v108, v109
	v_mul_f32_e32 v109, v107, v109
	s_waitcnt vmcnt(0)
	v_fma_f32 v107, v107, v110, -v111
	v_fmac_f32_e32 v109, v108, v110
	v_add_f32_e32 v106, v106, v107
	v_add_f32_e32 v100, v100, v109
	s_andn2_b64 exec, exec, s[8:9]
	s_cbranch_execnz .LBB48_29
; %bb.30:
	s_or_b64 exec, exec, s[8:9]
	v_mov_b32_e32 v103, 0
	ds_read_b64 v[103:104], v103 offset:32
	s_waitcnt lgkmcnt(0)
	v_mul_f32_e32 v105, v100, v104
	v_mul_f32_e32 v104, v106, v104
	v_fma_f32 v105, v106, v103, -v105
	v_fmac_f32_e32 v104, v100, v103
	buffer_store_dword v105, off, s[0:3], 0 offset:32
	buffer_store_dword v104, off, s[0:3], 0 offset:36
.LBB48_31:
	s_or_b64 exec, exec, s[4:5]
	; wave barrier
	buffer_load_dword v103, off, s[0:3], 0 offset:40
	buffer_load_dword v104, off, s[0:3], 0 offset:44
	v_cmp_gt_u32_e32 vcc, 5, v0
	s_waitcnt vmcnt(0)
	ds_write_b64 v102, v[103:104]
	;; [unrolled: 49-line block ×19, first 2 shown]
	s_waitcnt lgkmcnt(0)
	; wave barrier
	s_and_saveexec_b64 s[4:5], vcc
	s_cbranch_execz .LBB48_103
; %bb.100:
	v_add_u32_e32 v103, -1, v0
	v_add_u32_e32 v104, 0x190, v101
	v_mov_b32_e32 v105, v101
	v_mov_b32_e32 v100, 0
	s_mov_b64 s[8:9], 0
	v_mov_b32_e32 v106, 0
.LBB48_101:                             ; =>This Inner Loop Header: Depth=1
	buffer_load_dword v109, v105, s[0:3], 0 offen offset:4
	buffer_load_dword v110, v105, s[0:3], 0 offen
	ds_read_b64 v[107:108], v104
	v_add_u32_e32 v103, 1, v103
	v_cmp_lt_u32_e32 vcc, 20, v103
	v_add_u32_e32 v104, 8, v104
	v_add_u32_e32 v105, 8, v105
	s_or_b64 s[8:9], vcc, s[8:9]
	s_waitcnt vmcnt(1) lgkmcnt(0)
	v_mul_f32_e32 v111, v108, v109
	v_mul_f32_e32 v109, v107, v109
	s_waitcnt vmcnt(0)
	v_fma_f32 v107, v107, v110, -v111
	v_fmac_f32_e32 v109, v108, v110
	v_add_f32_e32 v106, v106, v107
	v_add_f32_e32 v100, v100, v109
	s_andn2_b64 exec, exec, s[8:9]
	s_cbranch_execnz .LBB48_101
; %bb.102:
	s_or_b64 exec, exec, s[8:9]
	v_mov_b32_e32 v103, 0
	ds_read_b64 v[103:104], v103 offset:176
	s_waitcnt lgkmcnt(0)
	v_mul_f32_e32 v105, v100, v104
	v_mul_f32_e32 v104, v106, v104
	v_fma_f32 v105, v106, v103, -v105
	v_fmac_f32_e32 v104, v100, v103
	buffer_store_dword v105, off, s[0:3], 0 offset:176
	buffer_store_dword v104, off, s[0:3], 0 offset:180
.LBB48_103:
	s_or_b64 exec, exec, s[4:5]
	; wave barrier
	buffer_load_dword v103, off, s[0:3], 0 offset:184
	buffer_load_dword v104, off, s[0:3], 0 offset:188
	v_cmp_gt_u32_e32 vcc, 23, v0
	s_waitcnt vmcnt(0)
	ds_write_b64 v102, v[103:104]
	s_waitcnt lgkmcnt(0)
	; wave barrier
	s_and_saveexec_b64 s[4:5], vcc
	s_cbranch_execz .LBB48_107
; %bb.104:
	v_add_u32_e32 v103, -1, v0
	v_add_u32_e32 v104, 0x190, v101
	v_mov_b32_e32 v105, v101
	v_mov_b32_e32 v100, 0
	s_mov_b64 s[8:9], 0
	v_mov_b32_e32 v106, 0
.LBB48_105:                             ; =>This Inner Loop Header: Depth=1
	buffer_load_dword v109, v105, s[0:3], 0 offen offset:4
	buffer_load_dword v110, v105, s[0:3], 0 offen
	ds_read_b64 v[107:108], v104
	v_add_u32_e32 v103, 1, v103
	v_cmp_lt_u32_e32 vcc, 21, v103
	v_add_u32_e32 v104, 8, v104
	v_add_u32_e32 v105, 8, v105
	s_or_b64 s[8:9], vcc, s[8:9]
	s_waitcnt vmcnt(1) lgkmcnt(0)
	v_mul_f32_e32 v111, v108, v109
	v_mul_f32_e32 v109, v107, v109
	s_waitcnt vmcnt(0)
	v_fma_f32 v107, v107, v110, -v111
	v_fmac_f32_e32 v109, v108, v110
	v_add_f32_e32 v106, v106, v107
	v_add_f32_e32 v100, v100, v109
	s_andn2_b64 exec, exec, s[8:9]
	s_cbranch_execnz .LBB48_105
; %bb.106:
	s_or_b64 exec, exec, s[8:9]
	v_mov_b32_e32 v103, 0
	ds_read_b64 v[103:104], v103 offset:184
	s_waitcnt lgkmcnt(0)
	v_mul_f32_e32 v105, v100, v104
	v_mul_f32_e32 v104, v106, v104
	v_fma_f32 v105, v106, v103, -v105
	v_fmac_f32_e32 v104, v100, v103
	buffer_store_dword v105, off, s[0:3], 0 offset:184
	buffer_store_dword v104, off, s[0:3], 0 offset:188
.LBB48_107:
	s_or_b64 exec, exec, s[4:5]
	; wave barrier
	buffer_load_dword v103, off, s[0:3], 0 offset:192
	buffer_load_dword v104, off, s[0:3], 0 offset:196
	v_cmp_gt_u32_e32 vcc, 24, v0
	s_waitcnt vmcnt(0)
	ds_write_b64 v102, v[103:104]
	;; [unrolled: 49-line block ×25, first 2 shown]
	s_waitcnt lgkmcnt(0)
	; wave barrier
	s_and_saveexec_b64 s[4:5], vcc
	s_cbranch_execz .LBB48_203
; %bb.200:
	v_add_u32_e32 v103, -1, v0
	v_add_u32_e32 v104, 0x190, v101
	v_mov_b32_e32 v105, v101
	v_mov_b32_e32 v100, 0
	s_mov_b64 s[8:9], 0
	v_mov_b32_e32 v106, 0
.LBB48_201:                             ; =>This Inner Loop Header: Depth=1
	buffer_load_dword v109, v105, s[0:3], 0 offen offset:4
	buffer_load_dword v110, v105, s[0:3], 0 offen
	ds_read_b64 v[107:108], v104
	v_add_u32_e32 v103, 1, v103
	v_cmp_lt_u32_e32 vcc, 45, v103
	v_add_u32_e32 v104, 8, v104
	v_add_u32_e32 v105, 8, v105
	s_or_b64 s[8:9], vcc, s[8:9]
	s_waitcnt vmcnt(1) lgkmcnt(0)
	v_mul_f32_e32 v111, v108, v109
	v_mul_f32_e32 v109, v107, v109
	s_waitcnt vmcnt(0)
	v_fma_f32 v107, v107, v110, -v111
	v_fmac_f32_e32 v109, v108, v110
	v_add_f32_e32 v106, v106, v107
	v_add_f32_e32 v100, v100, v109
	s_andn2_b64 exec, exec, s[8:9]
	s_cbranch_execnz .LBB48_201
; %bb.202:
	s_or_b64 exec, exec, s[8:9]
	v_mov_b32_e32 v103, 0
	ds_read_b64 v[103:104], v103 offset:376
	s_waitcnt lgkmcnt(0)
	v_mul_f32_e32 v105, v100, v104
	v_mul_f32_e32 v104, v106, v104
	v_fma_f32 v105, v106, v103, -v105
	v_fmac_f32_e32 v104, v100, v103
	buffer_store_dword v105, off, s[0:3], 0 offset:376
	buffer_store_dword v104, off, s[0:3], 0 offset:380
.LBB48_203:
	s_or_b64 exec, exec, s[4:5]
	; wave barrier
	buffer_load_dword v103, off, s[0:3], 0 offset:384
	buffer_load_dword v104, off, s[0:3], 0 offset:388
	v_cmp_ne_u32_e32 vcc, 48, v0
	s_waitcnt vmcnt(0)
	ds_write_b64 v102, v[103:104]
	s_waitcnt lgkmcnt(0)
	; wave barrier
	s_and_saveexec_b64 s[4:5], vcc
	s_cbranch_execz .LBB48_207
; %bb.204:
	v_add_u32_e32 v102, 0x190, v101
	v_mov_b32_e32 v100, 0
	s_mov_b64 s[8:9], 0
	v_mov_b32_e32 v103, 0
.LBB48_205:                             ; =>This Inner Loop Header: Depth=1
	buffer_load_dword v106, v101, s[0:3], 0 offen offset:4
	buffer_load_dword v107, v101, s[0:3], 0 offen
	ds_read_b64 v[104:105], v102
	v_add_u32_e32 v99, 1, v99
	v_cmp_lt_u32_e32 vcc, 46, v99
	v_add_u32_e32 v102, 8, v102
	v_add_u32_e32 v101, 8, v101
	s_or_b64 s[8:9], vcc, s[8:9]
	s_waitcnt vmcnt(1) lgkmcnt(0)
	v_mul_f32_e32 v108, v105, v106
	v_mul_f32_e32 v106, v104, v106
	s_waitcnt vmcnt(0)
	v_fma_f32 v104, v104, v107, -v108
	v_fmac_f32_e32 v106, v105, v107
	v_add_f32_e32 v103, v103, v104
	v_add_f32_e32 v100, v100, v106
	s_andn2_b64 exec, exec, s[8:9]
	s_cbranch_execnz .LBB48_205
; %bb.206:
	s_or_b64 exec, exec, s[8:9]
	v_mov_b32_e32 v99, 0
	ds_read_b64 v[101:102], v99 offset:384
	s_waitcnt lgkmcnt(0)
	v_mul_f32_e32 v99, v100, v102
	v_mul_f32_e32 v102, v103, v102
	v_fma_f32 v99, v103, v101, -v99
	v_fmac_f32_e32 v102, v100, v101
	buffer_store_dword v99, off, s[0:3], 0 offset:384
	buffer_store_dword v102, off, s[0:3], 0 offset:388
.LBB48_207:
	s_or_b64 exec, exec, s[4:5]
	s_mov_b64 s[8:9], -1
	; wave barrier
.LBB48_208:
	s_and_b64 vcc, exec, s[8:9]
	s_cbranch_vccz .LBB48_210
; %bb.209:
	s_lshl_b64 s[4:5], s[6:7], 2
	s_add_u32 s4, s10, s4
	s_addc_u32 s5, s11, s5
	v_mov_b32_e32 v99, 0
	global_load_dword v99, v99, s[4:5]
	s_waitcnt vmcnt(0)
	v_cmp_ne_u32_e32 vcc, 0, v99
	s_cbranch_vccz .LBB48_211
.LBB48_210:
	s_endpgm
.LBB48_211:
	v_mov_b32_e32 v99, 0x190
	v_lshl_add_u32 v99, v0, 3, v99
	v_cmp_eq_u32_e32 vcc, 48, v0
	s_and_saveexec_b64 s[4:5], vcc
	s_cbranch_execz .LBB48_213
; %bb.212:
	buffer_load_dword v100, off, s[0:3], 0 offset:376
	buffer_load_dword v101, off, s[0:3], 0 offset:380
	v_mov_b32_e32 v102, 0
	buffer_store_dword v102, off, s[0:3], 0 offset:376
	buffer_store_dword v102, off, s[0:3], 0 offset:380
	s_waitcnt vmcnt(2)
	ds_write_b64 v99, v[100:101]
.LBB48_213:
	s_or_b64 exec, exec, s[4:5]
	s_waitcnt lgkmcnt(0)
	; wave barrier
	buffer_load_dword v103, off, s[0:3], 0 offset:388
	buffer_load_dword v104, off, s[0:3], 0 offset:384
	;; [unrolled: 1-line block ×4, first 2 shown]
	v_mov_b32_e32 v100, 0
	ds_read_b64 v[101:102], v100 offset:784
	v_cmp_lt_u32_e32 vcc, 46, v0
	s_waitcnt vmcnt(3) lgkmcnt(0)
	v_mul_f32_e32 v107, v101, v103
	v_mul_f32_e32 v103, v102, v103
	s_waitcnt vmcnt(2)
	v_fma_f32 v101, v101, v104, -v103
	v_fmac_f32_e32 v107, v102, v104
	v_add_f32_e32 v101, 0, v101
	v_add_f32_e32 v102, 0, v107
	s_waitcnt vmcnt(1)
	v_sub_f32_e32 v101, v105, v101
	s_waitcnt vmcnt(0)
	v_sub_f32_e32 v102, v106, v102
	buffer_store_dword v101, off, s[0:3], 0 offset:376
	buffer_store_dword v102, off, s[0:3], 0 offset:380
	s_and_saveexec_b64 s[4:5], vcc
	s_cbranch_execz .LBB48_215
; %bb.214:
	buffer_load_dword v101, off, s[0:3], 0 offset:368
	buffer_load_dword v102, off, s[0:3], 0 offset:372
	s_waitcnt vmcnt(0)
	ds_write_b64 v99, v[101:102]
	buffer_store_dword v100, off, s[0:3], 0 offset:368
	buffer_store_dword v100, off, s[0:3], 0 offset:372
.LBB48_215:
	s_or_b64 exec, exec, s[4:5]
	s_waitcnt lgkmcnt(0)
	; wave barrier
	buffer_load_dword v104, off, s[0:3], 0 offset:380
	buffer_load_dword v105, off, s[0:3], 0 offset:388
	;; [unrolled: 1-line block ×6, first 2 shown]
	ds_read2_b64 v[100:103], v100 offset0:97 offset1:98
	v_cmp_lt_u32_e32 vcc, 45, v0
	s_waitcnt vmcnt(5) lgkmcnt(0)
	v_mul_f32_e32 v110, v100, v104
	v_mul_f32_e32 v104, v101, v104
	s_waitcnt vmcnt(4)
	v_mul_f32_e32 v111, v102, v105
	v_mul_f32_e32 v105, v103, v105
	s_waitcnt vmcnt(3)
	v_fma_f32 v100, v100, v106, -v104
	v_fmac_f32_e32 v110, v101, v106
	s_waitcnt vmcnt(2)
	v_fma_f32 v101, v102, v107, -v105
	v_add_f32_e32 v100, 0, v100
	v_fmac_f32_e32 v111, v103, v107
	v_add_f32_e32 v102, 0, v110
	v_add_f32_e32 v100, v100, v101
	;; [unrolled: 1-line block ×3, first 2 shown]
	s_waitcnt vmcnt(1)
	v_sub_f32_e32 v100, v108, v100
	s_waitcnt vmcnt(0)
	v_sub_f32_e32 v101, v109, v102
	buffer_store_dword v100, off, s[0:3], 0 offset:368
	buffer_store_dword v101, off, s[0:3], 0 offset:372
	s_and_saveexec_b64 s[4:5], vcc
	s_cbranch_execz .LBB48_217
; %bb.216:
	buffer_load_dword v100, off, s[0:3], 0 offset:360
	buffer_load_dword v101, off, s[0:3], 0 offset:364
	v_mov_b32_e32 v102, 0
	buffer_store_dword v102, off, s[0:3], 0 offset:360
	buffer_store_dword v102, off, s[0:3], 0 offset:364
	s_waitcnt vmcnt(2)
	ds_write_b64 v99, v[100:101]
.LBB48_217:
	s_or_b64 exec, exec, s[4:5]
	s_waitcnt lgkmcnt(0)
	; wave barrier
	buffer_load_dword v107, off, s[0:3], 0 offset:372
	buffer_load_dword v108, off, s[0:3], 0 offset:380
	;; [unrolled: 1-line block ×8, first 2 shown]
	v_mov_b32_e32 v100, 0
	ds_read_b128 v[101:104], v100 offset:768
	ds_read_b64 v[105:106], v100 offset:784
	v_cmp_lt_u32_e32 vcc, 44, v0
	s_waitcnt vmcnt(7) lgkmcnt(1)
	v_mul_f32_e32 v115, v101, v107
	v_mul_f32_e32 v107, v102, v107
	s_waitcnt vmcnt(6)
	v_mul_f32_e32 v116, v103, v108
	v_mul_f32_e32 v108, v104, v108
	s_waitcnt vmcnt(4)
	v_fma_f32 v101, v101, v110, -v107
	s_waitcnt lgkmcnt(0)
	v_mul_f32_e32 v117, v105, v109
	v_mul_f32_e32 v109, v106, v109
	v_fmac_f32_e32 v115, v102, v110
	s_waitcnt vmcnt(3)
	v_fma_f32 v102, v103, v111, -v108
	v_add_f32_e32 v101, 0, v101
	v_fmac_f32_e32 v116, v104, v111
	s_waitcnt vmcnt(2)
	v_fma_f32 v103, v105, v112, -v109
	v_add_f32_e32 v104, 0, v115
	v_add_f32_e32 v101, v101, v102
	v_fmac_f32_e32 v117, v106, v112
	v_add_f32_e32 v104, v104, v116
	v_add_f32_e32 v101, v101, v103
	;; [unrolled: 1-line block ×3, first 2 shown]
	s_waitcnt vmcnt(1)
	v_sub_f32_e32 v101, v113, v101
	s_waitcnt vmcnt(0)
	v_sub_f32_e32 v102, v114, v102
	buffer_store_dword v101, off, s[0:3], 0 offset:360
	buffer_store_dword v102, off, s[0:3], 0 offset:364
	s_and_saveexec_b64 s[4:5], vcc
	s_cbranch_execz .LBB48_219
; %bb.218:
	buffer_load_dword v101, off, s[0:3], 0 offset:352
	buffer_load_dword v102, off, s[0:3], 0 offset:356
	s_waitcnt vmcnt(0)
	ds_write_b64 v99, v[101:102]
	buffer_store_dword v100, off, s[0:3], 0 offset:352
	buffer_store_dword v100, off, s[0:3], 0 offset:356
.LBB48_219:
	s_or_b64 exec, exec, s[4:5]
	s_waitcnt lgkmcnt(0)
	; wave barrier
	buffer_load_dword v109, off, s[0:3], 0 offset:364
	buffer_load_dword v110, off, s[0:3], 0 offset:372
	;; [unrolled: 1-line block ×10, first 2 shown]
	ds_read2_b64 v[101:104], v100 offset0:95 offset1:96
	ds_read2_b64 v[105:108], v100 offset0:97 offset1:98
	v_cmp_lt_u32_e32 vcc, 43, v0
	s_waitcnt vmcnt(9) lgkmcnt(1)
	v_mul_f32_e32 v100, v101, v109
	v_mul_f32_e32 v109, v102, v109
	s_waitcnt vmcnt(8)
	v_mul_f32_e32 v119, v103, v110
	v_mul_f32_e32 v110, v104, v110
	s_waitcnt vmcnt(5)
	v_fma_f32 v101, v101, v113, -v109
	s_waitcnt lgkmcnt(0)
	v_mul_f32_e32 v120, v105, v111
	v_mul_f32_e32 v111, v106, v111
	v_fmac_f32_e32 v100, v102, v113
	s_waitcnt vmcnt(4)
	v_fma_f32 v102, v103, v114, -v110
	v_add_f32_e32 v101, 0, v101
	v_mul_f32_e32 v121, v107, v112
	v_mul_f32_e32 v112, v108, v112
	v_fmac_f32_e32 v119, v104, v114
	s_waitcnt vmcnt(3)
	v_fma_f32 v103, v105, v115, -v111
	v_add_f32_e32 v100, 0, v100
	v_add_f32_e32 v101, v101, v102
	v_fmac_f32_e32 v120, v106, v115
	s_waitcnt vmcnt(2)
	v_fma_f32 v104, v107, v116, -v112
	v_add_f32_e32 v100, v100, v119
	v_add_f32_e32 v101, v101, v103
	v_fmac_f32_e32 v121, v108, v116
	v_add_f32_e32 v100, v100, v120
	v_add_f32_e32 v101, v101, v104
	v_add_f32_e32 v100, v100, v121
	s_waitcnt vmcnt(1)
	v_sub_f32_e32 v101, v117, v101
	s_waitcnt vmcnt(0)
	v_sub_f32_e32 v100, v118, v100
	buffer_store_dword v101, off, s[0:3], 0 offset:352
	buffer_store_dword v100, off, s[0:3], 0 offset:356
	s_and_saveexec_b64 s[4:5], vcc
	s_cbranch_execz .LBB48_221
; %bb.220:
	buffer_load_dword v100, off, s[0:3], 0 offset:344
	buffer_load_dword v101, off, s[0:3], 0 offset:348
	v_mov_b32_e32 v102, 0
	buffer_store_dword v102, off, s[0:3], 0 offset:344
	buffer_store_dword v102, off, s[0:3], 0 offset:348
	s_waitcnt vmcnt(2)
	ds_write_b64 v99, v[100:101]
.LBB48_221:
	s_or_b64 exec, exec, s[4:5]
	v_mov_b32_e32 v100, 0
	s_waitcnt lgkmcnt(0)
	; wave barrier
	ds_read_b128 v[101:104], v100 offset:752
	ds_read_b128 v[105:108], v100 offset:768
	ds_read_b64 v[109:110], v100 offset:784
	buffer_load_dword v111, off, s[0:3], 0 offset:344
	buffer_load_dword v112, off, s[0:3], 0 offset:348
	;; [unrolled: 1-line block ×12, first 2 shown]
	v_cmp_lt_u32_e32 vcc, 42, v0
	s_waitcnt vmcnt(8) lgkmcnt(2)
	v_mul_f32_e32 v123, v101, v114
	v_fmac_f32_e32 v123, v102, v113
	v_mul_f32_e32 v102, v102, v114
	v_fma_f32 v101, v101, v113, -v102
	s_waitcnt vmcnt(6)
	v_mul_f32_e32 v102, v104, v116
	v_mul_f32_e32 v124, v103, v116
	v_add_f32_e32 v101, 0, v101
	v_fma_f32 v102, v103, v115, -v102
	v_add_f32_e32 v123, 0, v123
	v_fmac_f32_e32 v124, v104, v115
	v_add_f32_e32 v101, v101, v102
	s_waitcnt vmcnt(4) lgkmcnt(1)
	v_mul_f32_e32 v102, v106, v118
	v_add_f32_e32 v123, v123, v124
	v_mul_f32_e32 v124, v105, v118
	v_fma_f32 v102, v105, v117, -v102
	v_fmac_f32_e32 v124, v106, v117
	v_add_f32_e32 v101, v101, v102
	s_waitcnt vmcnt(2)
	v_mul_f32_e32 v102, v108, v120
	v_add_f32_e32 v123, v123, v124
	v_mul_f32_e32 v124, v107, v120
	v_fma_f32 v102, v107, v119, -v102
	v_fmac_f32_e32 v124, v108, v119
	v_add_f32_e32 v101, v101, v102
	s_waitcnt vmcnt(0) lgkmcnt(0)
	v_mul_f32_e32 v102, v110, v122
	v_add_f32_e32 v123, v123, v124
	v_mul_f32_e32 v124, v109, v122
	v_fma_f32 v102, v109, v121, -v102
	v_fmac_f32_e32 v124, v110, v121
	v_add_f32_e32 v101, v101, v102
	v_add_f32_e32 v123, v123, v124
	v_sub_f32_e32 v101, v111, v101
	v_sub_f32_e32 v102, v112, v123
	buffer_store_dword v101, off, s[0:3], 0 offset:344
	buffer_store_dword v102, off, s[0:3], 0 offset:348
	s_and_saveexec_b64 s[4:5], vcc
	s_cbranch_execz .LBB48_223
; %bb.222:
	buffer_load_dword v101, off, s[0:3], 0 offset:336
	buffer_load_dword v102, off, s[0:3], 0 offset:340
	s_waitcnt vmcnt(0)
	ds_write_b64 v99, v[101:102]
	buffer_store_dword v100, off, s[0:3], 0 offset:336
	buffer_store_dword v100, off, s[0:3], 0 offset:340
.LBB48_223:
	s_or_b64 exec, exec, s[4:5]
	s_waitcnt lgkmcnt(0)
	; wave barrier
	buffer_load_dword v113, off, s[0:3], 0 offset:348
	buffer_load_dword v114, off, s[0:3], 0 offset:356
	;; [unrolled: 1-line block ×14, first 2 shown]
	ds_read2_b64 v[101:104], v100 offset0:93 offset1:94
	ds_read2_b64 v[105:108], v100 offset0:95 offset1:96
	;; [unrolled: 1-line block ×3, first 2 shown]
	v_cmp_lt_u32_e32 vcc, 41, v0
	s_waitcnt vmcnt(13) lgkmcnt(2)
	v_mul_f32_e32 v100, v101, v113
	v_mul_f32_e32 v113, v102, v113
	s_waitcnt vmcnt(12)
	v_mul_f32_e32 v127, v103, v114
	v_mul_f32_e32 v114, v104, v114
	s_waitcnt vmcnt(11) lgkmcnt(1)
	v_mul_f32_e32 v128, v105, v115
	v_mul_f32_e32 v115, v106, v115
	s_waitcnt vmcnt(7)
	v_fma_f32 v101, v101, v119, -v113
	v_fmac_f32_e32 v100, v102, v119
	s_waitcnt vmcnt(6)
	v_fma_f32 v102, v103, v120, -v114
	v_add_f32_e32 v101, 0, v101
	v_mul_f32_e32 v129, v107, v116
	v_mul_f32_e32 v116, v108, v116
	v_fmac_f32_e32 v127, v104, v120
	s_waitcnt vmcnt(5)
	v_fma_f32 v103, v105, v121, -v115
	v_add_f32_e32 v100, 0, v100
	v_add_f32_e32 v101, v101, v102
	s_waitcnt lgkmcnt(0)
	v_mul_f32_e32 v130, v109, v117
	v_mul_f32_e32 v117, v110, v117
	v_fmac_f32_e32 v128, v106, v121
	s_waitcnt vmcnt(4)
	v_fma_f32 v104, v107, v122, -v116
	v_add_f32_e32 v100, v100, v127
	v_add_f32_e32 v101, v101, v103
	v_mul_f32_e32 v131, v111, v118
	v_mul_f32_e32 v118, v112, v118
	v_fmac_f32_e32 v129, v108, v122
	s_waitcnt vmcnt(3)
	v_fma_f32 v105, v109, v123, -v117
	v_add_f32_e32 v100, v100, v128
	v_add_f32_e32 v101, v101, v104
	v_fmac_f32_e32 v130, v110, v123
	s_waitcnt vmcnt(2)
	v_fma_f32 v106, v111, v124, -v118
	v_add_f32_e32 v100, v100, v129
	v_add_f32_e32 v101, v101, v105
	v_fmac_f32_e32 v131, v112, v124
	v_add_f32_e32 v100, v100, v130
	v_add_f32_e32 v101, v101, v106
	;; [unrolled: 1-line block ×3, first 2 shown]
	s_waitcnt vmcnt(1)
	v_sub_f32_e32 v101, v125, v101
	s_waitcnt vmcnt(0)
	v_sub_f32_e32 v100, v126, v100
	buffer_store_dword v101, off, s[0:3], 0 offset:336
	buffer_store_dword v100, off, s[0:3], 0 offset:340
	s_and_saveexec_b64 s[4:5], vcc
	s_cbranch_execz .LBB48_225
; %bb.224:
	buffer_load_dword v100, off, s[0:3], 0 offset:328
	buffer_load_dword v101, off, s[0:3], 0 offset:332
	v_mov_b32_e32 v102, 0
	buffer_store_dword v102, off, s[0:3], 0 offset:328
	buffer_store_dword v102, off, s[0:3], 0 offset:332
	s_waitcnt vmcnt(2)
	ds_write_b64 v99, v[100:101]
.LBB48_225:
	s_or_b64 exec, exec, s[4:5]
	s_waitcnt lgkmcnt(0)
	; wave barrier
	buffer_load_dword v115, off, s[0:3], 0 offset:340
	buffer_load_dword v116, off, s[0:3], 0 offset:348
	buffer_load_dword v117, off, s[0:3], 0 offset:356
	buffer_load_dword v118, off, s[0:3], 0 offset:364
	buffer_load_dword v119, off, s[0:3], 0 offset:372
	buffer_load_dword v120, off, s[0:3], 0 offset:380
	buffer_load_dword v121, off, s[0:3], 0 offset:388
	buffer_load_dword v122, off, s[0:3], 0 offset:336
	buffer_load_dword v123, off, s[0:3], 0 offset:344
	buffer_load_dword v124, off, s[0:3], 0 offset:352
	buffer_load_dword v125, off, s[0:3], 0 offset:360
	buffer_load_dword v126, off, s[0:3], 0 offset:368
	buffer_load_dword v127, off, s[0:3], 0 offset:376
	buffer_load_dword v128, off, s[0:3], 0 offset:384
	buffer_load_dword v129, off, s[0:3], 0 offset:328
	buffer_load_dword v130, off, s[0:3], 0 offset:332
	v_mov_b32_e32 v100, 0
	ds_read_b128 v[101:104], v100 offset:736
	ds_read_b128 v[105:108], v100 offset:752
	;; [unrolled: 1-line block ×3, first 2 shown]
	ds_read_b64 v[113:114], v100 offset:784
	v_cmp_lt_u32_e32 vcc, 40, v0
	s_waitcnt vmcnt(15) lgkmcnt(3)
	v_mul_f32_e32 v131, v101, v115
	v_mul_f32_e32 v115, v102, v115
	s_waitcnt vmcnt(14)
	v_mul_f32_e32 v132, v103, v116
	v_mul_f32_e32 v116, v104, v116
	s_waitcnt vmcnt(13) lgkmcnt(2)
	v_mul_f32_e32 v133, v105, v117
	s_waitcnt vmcnt(12)
	v_mul_f32_e32 v134, v107, v118
	v_mul_f32_e32 v117, v106, v117
	s_waitcnt vmcnt(8)
	v_fma_f32 v101, v101, v122, -v115
	v_fmac_f32_e32 v131, v102, v122
	s_waitcnt vmcnt(7)
	v_fma_f32 v102, v103, v123, -v116
	v_add_f32_e32 v101, 0, v101
	v_mul_f32_e32 v118, v108, v118
	v_fmac_f32_e32 v132, v104, v123
	s_waitcnt vmcnt(5)
	v_fmac_f32_e32 v134, v108, v125
	v_fma_f32 v103, v105, v124, -v117
	v_add_f32_e32 v108, 0, v131
	v_add_f32_e32 v101, v101, v102
	s_waitcnt lgkmcnt(1)
	v_mul_f32_e32 v135, v109, v119
	v_mul_f32_e32 v119, v110, v119
	v_fmac_f32_e32 v133, v106, v124
	v_fma_f32 v104, v107, v125, -v118
	v_add_f32_e32 v108, v108, v132
	v_add_f32_e32 v101, v101, v103
	v_mul_f32_e32 v136, v111, v120
	v_mul_f32_e32 v120, v112, v120
	s_waitcnt vmcnt(4)
	v_fma_f32 v105, v109, v126, -v119
	v_add_f32_e32 v102, v108, v133
	v_add_f32_e32 v101, v101, v104
	s_waitcnt lgkmcnt(0)
	v_mul_f32_e32 v137, v113, v121
	v_mul_f32_e32 v121, v114, v121
	v_fmac_f32_e32 v135, v110, v126
	s_waitcnt vmcnt(3)
	v_fma_f32 v106, v111, v127, -v120
	v_add_f32_e32 v102, v102, v134
	v_add_f32_e32 v101, v101, v105
	v_fmac_f32_e32 v136, v112, v127
	s_waitcnt vmcnt(2)
	v_fma_f32 v107, v113, v128, -v121
	v_add_f32_e32 v102, v102, v135
	v_add_f32_e32 v101, v101, v106
	v_fmac_f32_e32 v137, v114, v128
	v_add_f32_e32 v102, v102, v136
	v_add_f32_e32 v101, v101, v107
	;; [unrolled: 1-line block ×3, first 2 shown]
	s_waitcnt vmcnt(1)
	v_sub_f32_e32 v101, v129, v101
	s_waitcnt vmcnt(0)
	v_sub_f32_e32 v102, v130, v102
	buffer_store_dword v101, off, s[0:3], 0 offset:328
	buffer_store_dword v102, off, s[0:3], 0 offset:332
	s_and_saveexec_b64 s[4:5], vcc
	s_cbranch_execz .LBB48_227
; %bb.226:
	buffer_load_dword v101, off, s[0:3], 0 offset:320
	buffer_load_dword v102, off, s[0:3], 0 offset:324
	s_waitcnt vmcnt(0)
	ds_write_b64 v99, v[101:102]
	buffer_store_dword v100, off, s[0:3], 0 offset:320
	buffer_store_dword v100, off, s[0:3], 0 offset:324
.LBB48_227:
	s_or_b64 exec, exec, s[4:5]
	s_waitcnt lgkmcnt(0)
	; wave barrier
	buffer_load_dword v117, off, s[0:3], 0 offset:332
	buffer_load_dword v118, off, s[0:3], 0 offset:340
	buffer_load_dword v119, off, s[0:3], 0 offset:348
	buffer_load_dword v120, off, s[0:3], 0 offset:356
	buffer_load_dword v121, off, s[0:3], 0 offset:364
	buffer_load_dword v122, off, s[0:3], 0 offset:372
	buffer_load_dword v123, off, s[0:3], 0 offset:380
	buffer_load_dword v124, off, s[0:3], 0 offset:388
	buffer_load_dword v125, off, s[0:3], 0 offset:328
	buffer_load_dword v126, off, s[0:3], 0 offset:336
	buffer_load_dword v127, off, s[0:3], 0 offset:344
	buffer_load_dword v128, off, s[0:3], 0 offset:352
	buffer_load_dword v129, off, s[0:3], 0 offset:360
	buffer_load_dword v130, off, s[0:3], 0 offset:368
	buffer_load_dword v131, off, s[0:3], 0 offset:376
	buffer_load_dword v132, off, s[0:3], 0 offset:384
	buffer_load_dword v133, off, s[0:3], 0 offset:320
	buffer_load_dword v134, off, s[0:3], 0 offset:324
	ds_read2_b64 v[101:104], v100 offset0:91 offset1:92
	ds_read2_b64 v[105:108], v100 offset0:93 offset1:94
	;; [unrolled: 1-line block ×4, first 2 shown]
	v_cmp_lt_u32_e32 vcc, 39, v0
	s_waitcnt vmcnt(17) lgkmcnt(3)
	v_mul_f32_e32 v100, v101, v117
	v_mul_f32_e32 v117, v102, v117
	s_waitcnt vmcnt(16)
	v_mul_f32_e32 v135, v103, v118
	v_mul_f32_e32 v118, v104, v118
	s_waitcnt vmcnt(15) lgkmcnt(2)
	v_mul_f32_e32 v136, v105, v119
	v_mul_f32_e32 v119, v106, v119
	s_waitcnt vmcnt(14)
	v_mul_f32_e32 v137, v107, v120
	v_mul_f32_e32 v120, v108, v120
	s_waitcnt vmcnt(9)
	v_fma_f32 v101, v101, v125, -v117
	v_fmac_f32_e32 v100, v102, v125
	s_waitcnt vmcnt(8)
	v_fma_f32 v102, v103, v126, -v118
	v_add_f32_e32 v101, 0, v101
	v_fmac_f32_e32 v135, v104, v126
	s_waitcnt vmcnt(7)
	v_fma_f32 v103, v105, v127, -v119
	v_add_f32_e32 v100, 0, v100
	v_add_f32_e32 v101, v101, v102
	s_waitcnt lgkmcnt(1)
	v_mul_f32_e32 v138, v109, v121
	v_mul_f32_e32 v121, v110, v121
	v_fmac_f32_e32 v136, v106, v127
	s_waitcnt vmcnt(6)
	v_fma_f32 v104, v107, v128, -v120
	v_add_f32_e32 v100, v100, v135
	v_add_f32_e32 v101, v101, v103
	v_mul_f32_e32 v139, v111, v122
	v_mul_f32_e32 v122, v112, v122
	v_fmac_f32_e32 v137, v108, v128
	s_waitcnt vmcnt(5)
	v_fma_f32 v105, v109, v129, -v121
	v_add_f32_e32 v100, v100, v136
	v_add_f32_e32 v101, v101, v104
	s_waitcnt lgkmcnt(0)
	v_mul_f32_e32 v140, v113, v123
	v_mul_f32_e32 v123, v114, v123
	v_fmac_f32_e32 v138, v110, v129
	s_waitcnt vmcnt(4)
	v_fma_f32 v106, v111, v130, -v122
	v_add_f32_e32 v100, v100, v137
	v_add_f32_e32 v101, v101, v105
	v_mul_f32_e32 v141, v115, v124
	v_mul_f32_e32 v124, v116, v124
	v_fmac_f32_e32 v139, v112, v130
	s_waitcnt vmcnt(3)
	v_fma_f32 v107, v113, v131, -v123
	v_add_f32_e32 v100, v100, v138
	v_add_f32_e32 v101, v101, v106
	v_fmac_f32_e32 v140, v114, v131
	s_waitcnt vmcnt(2)
	v_fma_f32 v108, v115, v132, -v124
	v_add_f32_e32 v100, v100, v139
	v_add_f32_e32 v101, v101, v107
	v_fmac_f32_e32 v141, v116, v132
	v_add_f32_e32 v100, v100, v140
	v_add_f32_e32 v101, v101, v108
	;; [unrolled: 1-line block ×3, first 2 shown]
	s_waitcnt vmcnt(1)
	v_sub_f32_e32 v101, v133, v101
	s_waitcnt vmcnt(0)
	v_sub_f32_e32 v100, v134, v100
	buffer_store_dword v101, off, s[0:3], 0 offset:320
	buffer_store_dword v100, off, s[0:3], 0 offset:324
	s_and_saveexec_b64 s[4:5], vcc
	s_cbranch_execz .LBB48_229
; %bb.228:
	buffer_load_dword v100, off, s[0:3], 0 offset:312
	buffer_load_dword v101, off, s[0:3], 0 offset:316
	v_mov_b32_e32 v102, 0
	buffer_store_dword v102, off, s[0:3], 0 offset:312
	buffer_store_dword v102, off, s[0:3], 0 offset:316
	s_waitcnt vmcnt(2)
	ds_write_b64 v99, v[100:101]
.LBB48_229:
	s_or_b64 exec, exec, s[4:5]
	s_waitcnt lgkmcnt(0)
	; wave barrier
	buffer_load_dword v119, off, s[0:3], 0 offset:324
	buffer_load_dword v120, off, s[0:3], 0 offset:332
	;; [unrolled: 1-line block ×20, first 2 shown]
	v_mov_b32_e32 v100, 0
	ds_read_b128 v[101:104], v100 offset:720
	ds_read_b128 v[105:108], v100 offset:736
	ds_read_b128 v[109:112], v100 offset:752
	ds_read_b128 v[113:116], v100 offset:768
	ds_read_b64 v[117:118], v100 offset:784
	v_cmp_lt_u32_e32 vcc, 38, v0
	s_waitcnt vmcnt(19) lgkmcnt(4)
	v_mul_f32_e32 v139, v101, v119
	v_mul_f32_e32 v119, v102, v119
	s_waitcnt vmcnt(18)
	v_mul_f32_e32 v140, v103, v120
	v_mul_f32_e32 v120, v104, v120
	s_waitcnt vmcnt(17) lgkmcnt(3)
	v_mul_f32_e32 v141, v105, v121
	s_waitcnt vmcnt(15) lgkmcnt(2)
	v_mul_f32_e32 v143, v109, v123
	v_mul_f32_e32 v121, v106, v121
	;; [unrolled: 1-line block ×4, first 2 shown]
	s_waitcnt vmcnt(10)
	v_fma_f32 v101, v101, v128, -v119
	v_fmac_f32_e32 v139, v102, v128
	s_waitcnt vmcnt(9)
	v_fma_f32 v102, v103, v129, -v120
	v_add_f32_e32 v101, 0, v101
	v_mul_f32_e32 v123, v110, v123
	v_fmac_f32_e32 v140, v104, v129
	s_waitcnt vmcnt(6)
	v_fmac_f32_e32 v143, v110, v132
	v_fma_f32 v103, v105, v130, -v121
	v_add_f32_e32 v110, 0, v139
	v_add_f32_e32 v101, v101, v102
	v_fmac_f32_e32 v141, v106, v130
	v_fma_f32 v104, v107, v131, -v122
	v_add_f32_e32 v110, v110, v140
	v_add_f32_e32 v101, v101, v103
	v_mul_f32_e32 v144, v111, v124
	v_mul_f32_e32 v124, v112, v124
	v_fmac_f32_e32 v142, v108, v131
	v_fma_f32 v105, v109, v132, -v123
	v_add_f32_e32 v102, v110, v141
	v_add_f32_e32 v101, v101, v104
	s_waitcnt lgkmcnt(1)
	v_mul_f32_e32 v145, v113, v125
	v_mul_f32_e32 v125, v114, v125
	s_waitcnt vmcnt(5)
	v_fma_f32 v106, v111, v133, -v124
	v_add_f32_e32 v102, v102, v142
	v_add_f32_e32 v101, v101, v105
	v_mul_f32_e32 v146, v115, v126
	v_mul_f32_e32 v126, v116, v126
	v_fmac_f32_e32 v144, v112, v133
	s_waitcnt vmcnt(4)
	v_fma_f32 v107, v113, v134, -v125
	v_add_f32_e32 v102, v102, v143
	v_add_f32_e32 v101, v101, v106
	s_waitcnt lgkmcnt(0)
	v_mul_f32_e32 v147, v117, v127
	v_mul_f32_e32 v127, v118, v127
	v_fmac_f32_e32 v145, v114, v134
	s_waitcnt vmcnt(3)
	v_fma_f32 v108, v115, v135, -v126
	v_add_f32_e32 v102, v102, v144
	v_add_f32_e32 v101, v101, v107
	v_fmac_f32_e32 v146, v116, v135
	s_waitcnt vmcnt(2)
	v_fma_f32 v109, v117, v136, -v127
	v_add_f32_e32 v102, v102, v145
	v_add_f32_e32 v101, v101, v108
	v_fmac_f32_e32 v147, v118, v136
	v_add_f32_e32 v102, v102, v146
	v_add_f32_e32 v101, v101, v109
	;; [unrolled: 1-line block ×3, first 2 shown]
	s_waitcnt vmcnt(1)
	v_sub_f32_e32 v101, v137, v101
	s_waitcnt vmcnt(0)
	v_sub_f32_e32 v102, v138, v102
	buffer_store_dword v101, off, s[0:3], 0 offset:312
	buffer_store_dword v102, off, s[0:3], 0 offset:316
	s_and_saveexec_b64 s[4:5], vcc
	s_cbranch_execz .LBB48_231
; %bb.230:
	buffer_load_dword v101, off, s[0:3], 0 offset:304
	buffer_load_dword v102, off, s[0:3], 0 offset:308
	s_waitcnt vmcnt(0)
	ds_write_b64 v99, v[101:102]
	buffer_store_dword v100, off, s[0:3], 0 offset:304
	buffer_store_dword v100, off, s[0:3], 0 offset:308
.LBB48_231:
	s_or_b64 exec, exec, s[4:5]
	s_waitcnt lgkmcnt(0)
	; wave barrier
	buffer_load_dword v121, off, s[0:3], 0 offset:316
	buffer_load_dword v122, off, s[0:3], 0 offset:324
	;; [unrolled: 1-line block ×22, first 2 shown]
	ds_read2_b64 v[101:104], v100 offset0:89 offset1:90
	ds_read2_b64 v[105:108], v100 offset0:91 offset1:92
	ds_read2_b64 v[109:112], v100 offset0:93 offset1:94
	ds_read2_b64 v[113:116], v100 offset0:95 offset1:96
	ds_read2_b64 v[117:120], v100 offset0:97 offset1:98
	v_cmp_lt_u32_e32 vcc, 37, v0
	s_waitcnt vmcnt(21) lgkmcnt(4)
	v_mul_f32_e32 v100, v101, v121
	v_mul_f32_e32 v121, v102, v121
	s_waitcnt vmcnt(20)
	v_mul_f32_e32 v143, v103, v122
	v_mul_f32_e32 v122, v104, v122
	s_waitcnt vmcnt(19) lgkmcnt(3)
	v_mul_f32_e32 v144, v105, v123
	v_mul_f32_e32 v123, v106, v123
	s_waitcnt vmcnt(18)
	v_mul_f32_e32 v145, v107, v124
	v_mul_f32_e32 v124, v108, v124
	s_waitcnt vmcnt(17) lgkmcnt(2)
	v_mul_f32_e32 v146, v109, v125
	v_mul_f32_e32 v125, v110, v125
	s_waitcnt vmcnt(11)
	v_fma_f32 v101, v101, v131, -v121
	v_fmac_f32_e32 v100, v102, v131
	s_waitcnt vmcnt(10)
	v_fma_f32 v102, v103, v132, -v122
	v_add_f32_e32 v101, 0, v101
	v_fmac_f32_e32 v143, v104, v132
	s_waitcnt vmcnt(9)
	v_fma_f32 v103, v105, v133, -v123
	v_add_f32_e32 v100, 0, v100
	v_add_f32_e32 v101, v101, v102
	v_fmac_f32_e32 v144, v106, v133
	s_waitcnt vmcnt(8)
	v_fma_f32 v104, v107, v134, -v124
	v_add_f32_e32 v100, v100, v143
	v_add_f32_e32 v101, v101, v103
	v_mul_f32_e32 v147, v111, v126
	v_mul_f32_e32 v126, v112, v126
	v_fmac_f32_e32 v145, v108, v134
	s_waitcnt vmcnt(7)
	v_fma_f32 v105, v109, v135, -v125
	v_add_f32_e32 v100, v100, v144
	v_add_f32_e32 v101, v101, v104
	s_waitcnt lgkmcnt(1)
	v_mul_f32_e32 v148, v113, v127
	v_mul_f32_e32 v127, v114, v127
	v_fmac_f32_e32 v146, v110, v135
	s_waitcnt vmcnt(6)
	v_fma_f32 v106, v111, v136, -v126
	v_add_f32_e32 v100, v100, v145
	v_add_f32_e32 v101, v101, v105
	v_mul_f32_e32 v149, v115, v128
	v_mul_f32_e32 v128, v116, v128
	v_fmac_f32_e32 v147, v112, v136
	s_waitcnt vmcnt(5)
	v_fma_f32 v107, v113, v137, -v127
	v_add_f32_e32 v100, v100, v146
	v_add_f32_e32 v101, v101, v106
	s_waitcnt lgkmcnt(0)
	v_mul_f32_e32 v150, v117, v129
	v_mul_f32_e32 v129, v118, v129
	v_fmac_f32_e32 v148, v114, v137
	s_waitcnt vmcnt(4)
	v_fma_f32 v108, v115, v138, -v128
	v_add_f32_e32 v100, v100, v147
	v_add_f32_e32 v101, v101, v107
	v_mul_f32_e32 v151, v119, v130
	v_mul_f32_e32 v130, v120, v130
	v_fmac_f32_e32 v149, v116, v138
	s_waitcnt vmcnt(3)
	v_fma_f32 v109, v117, v139, -v129
	v_add_f32_e32 v100, v100, v148
	v_add_f32_e32 v101, v101, v108
	v_fmac_f32_e32 v150, v118, v139
	s_waitcnt vmcnt(2)
	v_fma_f32 v110, v119, v140, -v130
	v_add_f32_e32 v100, v100, v149
	v_add_f32_e32 v101, v101, v109
	v_fmac_f32_e32 v151, v120, v140
	v_add_f32_e32 v100, v100, v150
	v_add_f32_e32 v101, v101, v110
	;; [unrolled: 1-line block ×3, first 2 shown]
	s_waitcnt vmcnt(1)
	v_sub_f32_e32 v101, v141, v101
	s_waitcnt vmcnt(0)
	v_sub_f32_e32 v100, v142, v100
	buffer_store_dword v101, off, s[0:3], 0 offset:304
	buffer_store_dword v100, off, s[0:3], 0 offset:308
	s_and_saveexec_b64 s[4:5], vcc
	s_cbranch_execz .LBB48_233
; %bb.232:
	buffer_load_dword v100, off, s[0:3], 0 offset:296
	buffer_load_dword v101, off, s[0:3], 0 offset:300
	v_mov_b32_e32 v102, 0
	buffer_store_dword v102, off, s[0:3], 0 offset:296
	buffer_store_dword v102, off, s[0:3], 0 offset:300
	s_waitcnt vmcnt(2)
	ds_write_b64 v99, v[100:101]
.LBB48_233:
	s_or_b64 exec, exec, s[4:5]
	s_waitcnt lgkmcnt(0)
	; wave barrier
	buffer_load_dword v123, off, s[0:3], 0 offset:308
	buffer_load_dword v124, off, s[0:3], 0 offset:316
	;; [unrolled: 1-line block ×24, first 2 shown]
	v_mov_b32_e32 v100, 0
	ds_read_b128 v[101:104], v100 offset:704
	ds_read_b128 v[105:108], v100 offset:720
	ds_read_b128 v[109:112], v100 offset:736
	ds_read_b128 v[113:116], v100 offset:752
	ds_read_b128 v[117:120], v100 offset:768
	ds_read_b64 v[121:122], v100 offset:784
	v_cmp_lt_u32_e32 vcc, 36, v0
	s_waitcnt vmcnt(23) lgkmcnt(5)
	v_mul_f32_e32 v147, v101, v123
	v_mul_f32_e32 v123, v102, v123
	s_waitcnt vmcnt(22)
	v_mul_f32_e32 v148, v103, v124
	v_mul_f32_e32 v124, v104, v124
	s_waitcnt vmcnt(21) lgkmcnt(4)
	v_mul_f32_e32 v149, v105, v125
	v_mul_f32_e32 v125, v106, v125
	s_waitcnt vmcnt(20)
	v_mul_f32_e32 v150, v107, v126
	s_waitcnt vmcnt(19) lgkmcnt(3)
	v_mul_f32_e32 v151, v109, v127
	v_mul_f32_e32 v126, v108, v126
	;; [unrolled: 1-line block ×3, first 2 shown]
	s_waitcnt vmcnt(18)
	v_mul_f32_e32 v152, v111, v128
	s_waitcnt vmcnt(12)
	v_fma_f32 v101, v101, v134, -v123
	v_fmac_f32_e32 v147, v102, v134
	s_waitcnt vmcnt(11)
	v_fma_f32 v102, v103, v135, -v124
	v_add_f32_e32 v101, 0, v101
	s_waitcnt vmcnt(10)
	v_fma_f32 v103, v105, v136, -v125
	v_add_f32_e32 v101, v101, v102
	v_fmac_f32_e32 v148, v104, v135
	s_waitcnt vmcnt(8)
	v_fmac_f32_e32 v151, v110, v138
	v_fma_f32 v104, v107, v137, -v126
	v_add_f32_e32 v110, 0, v147
	v_add_f32_e32 v101, v101, v103
	v_mul_f32_e32 v128, v112, v128
	v_fmac_f32_e32 v149, v106, v136
	v_fma_f32 v105, v109, v138, -v127
	v_add_f32_e32 v110, v110, v148
	v_add_f32_e32 v101, v101, v104
	s_waitcnt lgkmcnt(2)
	v_mul_f32_e32 v153, v113, v129
	v_mul_f32_e32 v129, v114, v129
	v_fmac_f32_e32 v150, v108, v137
	s_waitcnt vmcnt(7)
	v_fma_f32 v106, v111, v139, -v128
	v_add_f32_e32 v102, v110, v149
	v_add_f32_e32 v101, v101, v105
	v_mul_f32_e32 v154, v115, v130
	v_mul_f32_e32 v130, v116, v130
	s_waitcnt vmcnt(6)
	v_fma_f32 v107, v113, v140, -v129
	v_add_f32_e32 v102, v102, v150
	v_add_f32_e32 v101, v101, v106
	s_waitcnt lgkmcnt(1)
	v_mul_f32_e32 v155, v117, v131
	v_mul_f32_e32 v131, v118, v131
	v_fmac_f32_e32 v152, v112, v139
	s_waitcnt vmcnt(5)
	v_fma_f32 v108, v115, v141, -v130
	v_add_f32_e32 v102, v102, v151
	v_add_f32_e32 v101, v101, v107
	v_fmac_f32_e32 v153, v114, v140
	s_waitcnt vmcnt(4)
	v_fma_f32 v109, v117, v142, -v131
	v_add_f32_e32 v102, v102, v152
	v_add_f32_e32 v101, v101, v108
	v_mul_f32_e32 v103, v120, v132
	v_fmac_f32_e32 v154, v116, v141
	v_add_f32_e32 v102, v102, v153
	v_add_f32_e32 v101, v101, v109
	s_waitcnt vmcnt(3)
	v_fma_f32 v103, v119, v143, -v103
	v_mul_f32_e32 v156, v119, v132
	v_fmac_f32_e32 v155, v118, v142
	v_add_f32_e32 v102, v102, v154
	v_add_f32_e32 v101, v101, v103
	s_waitcnt lgkmcnt(0)
	v_mul_f32_e32 v103, v122, v133
	v_mul_f32_e32 v157, v121, v133
	v_fmac_f32_e32 v156, v120, v143
	v_add_f32_e32 v102, v102, v155
	s_waitcnt vmcnt(2)
	v_fma_f32 v103, v121, v144, -v103
	v_fmac_f32_e32 v157, v122, v144
	v_add_f32_e32 v102, v102, v156
	v_add_f32_e32 v101, v101, v103
	;; [unrolled: 1-line block ×3, first 2 shown]
	s_waitcnt vmcnt(1)
	v_sub_f32_e32 v101, v145, v101
	s_waitcnt vmcnt(0)
	v_sub_f32_e32 v102, v146, v102
	buffer_store_dword v101, off, s[0:3], 0 offset:296
	buffer_store_dword v102, off, s[0:3], 0 offset:300
	s_and_saveexec_b64 s[4:5], vcc
	s_cbranch_execz .LBB48_235
; %bb.234:
	buffer_load_dword v101, off, s[0:3], 0 offset:288
	buffer_load_dword v102, off, s[0:3], 0 offset:292
	s_waitcnt vmcnt(0)
	ds_write_b64 v99, v[101:102]
	buffer_store_dword v100, off, s[0:3], 0 offset:288
	buffer_store_dword v100, off, s[0:3], 0 offset:292
.LBB48_235:
	s_or_b64 exec, exec, s[4:5]
	s_waitcnt lgkmcnt(0)
	; wave barrier
	buffer_load_dword v125, off, s[0:3], 0 offset:300
	buffer_load_dword v126, off, s[0:3], 0 offset:308
	;; [unrolled: 1-line block ×26, first 2 shown]
	ds_read2_b64 v[101:104], v100 offset0:87 offset1:88
	ds_read2_b64 v[105:108], v100 offset0:89 offset1:90
	;; [unrolled: 1-line block ×6, first 2 shown]
	v_cmp_lt_u32_e32 vcc, 35, v0
	s_waitcnt vmcnt(25) lgkmcnt(5)
	v_mul_f32_e32 v100, v101, v125
	v_mul_f32_e32 v125, v102, v125
	s_waitcnt vmcnt(24)
	v_mul_f32_e32 v151, v103, v126
	v_mul_f32_e32 v126, v104, v126
	s_waitcnt vmcnt(23) lgkmcnt(4)
	v_mul_f32_e32 v152, v105, v127
	v_mul_f32_e32 v127, v106, v127
	s_waitcnt vmcnt(22)
	v_mul_f32_e32 v153, v107, v128
	v_mul_f32_e32 v128, v108, v128
	;; [unrolled: 6-line block ×3, first 2 shown]
	s_waitcnt vmcnt(13)
	v_fma_f32 v101, v101, v137, -v125
	v_fmac_f32_e32 v100, v102, v137
	s_waitcnt vmcnt(12)
	v_fma_f32 v102, v103, v138, -v126
	v_add_f32_e32 v101, 0, v101
	s_waitcnt vmcnt(11)
	v_fma_f32 v103, v105, v139, -v127
	v_add_f32_e32 v101, v101, v102
	v_fmac_f32_e32 v151, v104, v138
	s_waitcnt vmcnt(10)
	v_fma_f32 v104, v107, v140, -v128
	v_add_f32_e32 v101, v101, v103
	s_waitcnt vmcnt(9)
	v_fma_f32 v105, v109, v141, -v129
	v_add_f32_e32 v101, v101, v104
	s_waitcnt lgkmcnt(2)
	v_mul_f32_e32 v156, v113, v131
	v_mul_f32_e32 v131, v114, v131
	v_fmac_f32_e32 v152, v106, v139
	s_waitcnt vmcnt(8)
	v_fma_f32 v106, v111, v142, -v130
	v_add_f32_e32 v100, 0, v100
	v_add_f32_e32 v101, v101, v105
	v_mul_f32_e32 v157, v115, v132
	v_mul_f32_e32 v132, v116, v132
	s_waitcnt vmcnt(7)
	v_fma_f32 v107, v113, v143, -v131
	v_add_f32_e32 v100, v100, v151
	v_add_f32_e32 v101, v101, v106
	v_fmac_f32_e32 v153, v108, v140
	s_waitcnt vmcnt(6)
	v_fma_f32 v108, v115, v144, -v132
	v_add_f32_e32 v100, v100, v152
	v_add_f32_e32 v101, v101, v107
	s_waitcnt lgkmcnt(1)
	v_mul_f32_e32 v102, v118, v133
	v_fmac_f32_e32 v154, v110, v141
	v_add_f32_e32 v100, v100, v153
	v_add_f32_e32 v101, v101, v108
	s_waitcnt vmcnt(5)
	v_fma_f32 v102, v117, v145, -v102
	v_fmac_f32_e32 v155, v112, v142
	v_add_f32_e32 v100, v100, v154
	v_add_f32_e32 v101, v101, v102
	v_mul_f32_e32 v102, v120, v134
	v_fmac_f32_e32 v156, v114, v143
	v_add_f32_e32 v100, v100, v155
	s_waitcnt vmcnt(4)
	v_fma_f32 v102, v119, v146, -v102
	v_mul_f32_e32 v158, v117, v133
	v_fmac_f32_e32 v157, v116, v144
	v_add_f32_e32 v100, v100, v156
	v_add_f32_e32 v101, v101, v102
	s_waitcnt lgkmcnt(0)
	v_mul_f32_e32 v102, v122, v135
	v_mul_f32_e32 v159, v119, v134
	v_fmac_f32_e32 v158, v118, v145
	v_add_f32_e32 v100, v100, v157
	s_waitcnt vmcnt(3)
	v_fma_f32 v102, v121, v147, -v102
	v_mul_f32_e32 v160, v121, v135
	v_fmac_f32_e32 v159, v120, v146
	v_add_f32_e32 v100, v100, v158
	v_add_f32_e32 v101, v101, v102
	v_mul_f32_e32 v102, v124, v136
	v_mul_f32_e32 v161, v123, v136
	v_fmac_f32_e32 v160, v122, v147
	v_add_f32_e32 v100, v100, v159
	s_waitcnt vmcnt(2)
	v_fma_f32 v102, v123, v148, -v102
	v_fmac_f32_e32 v161, v124, v148
	v_add_f32_e32 v100, v100, v160
	v_add_f32_e32 v101, v101, v102
	v_add_f32_e32 v100, v100, v161
	s_waitcnt vmcnt(1)
	v_sub_f32_e32 v101, v149, v101
	s_waitcnt vmcnt(0)
	v_sub_f32_e32 v100, v150, v100
	buffer_store_dword v101, off, s[0:3], 0 offset:288
	buffer_store_dword v100, off, s[0:3], 0 offset:292
	s_and_saveexec_b64 s[4:5], vcc
	s_cbranch_execz .LBB48_237
; %bb.236:
	buffer_load_dword v100, off, s[0:3], 0 offset:280
	buffer_load_dword v101, off, s[0:3], 0 offset:284
	v_mov_b32_e32 v102, 0
	buffer_store_dword v102, off, s[0:3], 0 offset:280
	buffer_store_dword v102, off, s[0:3], 0 offset:284
	s_waitcnt vmcnt(2)
	ds_write_b64 v99, v[100:101]
.LBB48_237:
	s_or_b64 exec, exec, s[4:5]
	s_waitcnt lgkmcnt(0)
	; wave barrier
	buffer_load_dword v127, off, s[0:3], 0 offset:292
	buffer_load_dword v128, off, s[0:3], 0 offset:300
	;; [unrolled: 1-line block ×28, first 2 shown]
	v_mov_b32_e32 v100, 0
	ds_read_b128 v[101:104], v100 offset:688
	ds_read_b128 v[105:108], v100 offset:704
	;; [unrolled: 1-line block ×6, first 2 shown]
	ds_read_b64 v[125:126], v100 offset:784
	v_cmp_lt_u32_e32 vcc, 34, v0
	s_waitcnt vmcnt(27) lgkmcnt(6)
	v_mul_f32_e32 v155, v101, v127
	v_mul_f32_e32 v127, v102, v127
	s_waitcnt vmcnt(26)
	v_mul_f32_e32 v156, v103, v128
	v_mul_f32_e32 v128, v104, v128
	s_waitcnt vmcnt(25) lgkmcnt(5)
	v_mul_f32_e32 v157, v105, v129
	v_mul_f32_e32 v129, v106, v129
	s_waitcnt vmcnt(24)
	v_mul_f32_e32 v158, v107, v130
	v_mul_f32_e32 v130, v108, v130
	s_waitcnt vmcnt(23) lgkmcnt(4)
	v_mul_f32_e32 v159, v109, v131
	v_mul_f32_e32 v131, v110, v131
	s_waitcnt vmcnt(22)
	v_mul_f32_e32 v160, v111, v132
	v_mul_f32_e32 v132, v112, v132
	s_waitcnt vmcnt(21) lgkmcnt(3)
	v_mul_f32_e32 v161, v113, v133
	s_waitcnt vmcnt(14)
	v_fma_f32 v101, v101, v140, -v127
	v_fmac_f32_e32 v155, v102, v140
	s_waitcnt vmcnt(13)
	v_fma_f32 v102, v103, v141, -v128
	v_add_f32_e32 v101, 0, v101
	s_waitcnt vmcnt(12)
	v_fma_f32 v103, v105, v142, -v129
	v_add_f32_e32 v101, v101, v102
	v_fmac_f32_e32 v156, v104, v141
	s_waitcnt vmcnt(11)
	v_fma_f32 v104, v107, v143, -v130
	v_add_f32_e32 v101, v101, v103
	s_waitcnt vmcnt(10)
	v_fma_f32 v105, v109, v144, -v131
	v_add_f32_e32 v101, v101, v104
	v_fmac_f32_e32 v157, v106, v142
	s_waitcnt vmcnt(9)
	v_fma_f32 v106, v111, v145, -v132
	v_add_f32_e32 v101, v101, v105
	v_mul_f32_e32 v103, v114, v133
	v_add_f32_e32 v101, v101, v106
	s_waitcnt vmcnt(8)
	v_fma_f32 v103, v113, v146, -v103
	v_add_f32_e32 v101, v101, v103
	v_mul_f32_e32 v103, v116, v134
	v_add_f32_e32 v107, 0, v155
	s_waitcnt vmcnt(7)
	v_fma_f32 v103, v115, v147, -v103
	v_add_f32_e32 v107, v107, v156
	v_add_f32_e32 v101, v101, v103
	s_waitcnt lgkmcnt(2)
	v_mul_f32_e32 v103, v118, v135
	v_fmac_f32_e32 v158, v108, v143
	v_add_f32_e32 v102, v107, v157
	s_waitcnt vmcnt(6)
	v_fma_f32 v103, v117, v148, -v103
	v_fmac_f32_e32 v159, v110, v144
	v_add_f32_e32 v102, v102, v158
	v_add_f32_e32 v101, v101, v103
	v_mul_f32_e32 v103, v120, v136
	v_fmac_f32_e32 v160, v112, v145
	v_add_f32_e32 v102, v102, v159
	s_waitcnt vmcnt(5)
	v_fma_f32 v103, v119, v149, -v103
	v_mul_f32_e32 v162, v115, v134
	v_fmac_f32_e32 v161, v114, v146
	v_add_f32_e32 v102, v102, v160
	v_add_f32_e32 v101, v101, v103
	s_waitcnt lgkmcnt(1)
	v_mul_f32_e32 v103, v122, v137
	v_mul_f32_e32 v163, v117, v135
	v_fmac_f32_e32 v162, v116, v147
	v_add_f32_e32 v102, v102, v161
	s_waitcnt vmcnt(4)
	v_fma_f32 v103, v121, v150, -v103
	v_mul_f32_e32 v164, v119, v136
	v_fmac_f32_e32 v163, v118, v148
	v_add_f32_e32 v102, v102, v162
	v_add_f32_e32 v101, v101, v103
	v_mul_f32_e32 v103, v124, v138
	v_mul_f32_e32 v165, v121, v137
	v_fmac_f32_e32 v164, v120, v149
	v_add_f32_e32 v102, v102, v163
	s_waitcnt vmcnt(3)
	v_fma_f32 v103, v123, v151, -v103
	v_mul_f32_e32 v166, v123, v138
	v_fmac_f32_e32 v165, v122, v150
	v_add_f32_e32 v102, v102, v164
	v_add_f32_e32 v101, v101, v103
	s_waitcnt lgkmcnt(0)
	v_mul_f32_e32 v103, v126, v139
	v_mul_f32_e32 v167, v125, v139
	v_fmac_f32_e32 v166, v124, v151
	v_add_f32_e32 v102, v102, v165
	s_waitcnt vmcnt(2)
	v_fma_f32 v103, v125, v152, -v103
	v_fmac_f32_e32 v167, v126, v152
	v_add_f32_e32 v102, v102, v166
	v_add_f32_e32 v101, v101, v103
	;; [unrolled: 1-line block ×3, first 2 shown]
	s_waitcnt vmcnt(1)
	v_sub_f32_e32 v101, v153, v101
	s_waitcnt vmcnt(0)
	v_sub_f32_e32 v102, v154, v102
	buffer_store_dword v101, off, s[0:3], 0 offset:280
	buffer_store_dword v102, off, s[0:3], 0 offset:284
	s_and_saveexec_b64 s[4:5], vcc
	s_cbranch_execz .LBB48_239
; %bb.238:
	buffer_load_dword v101, off, s[0:3], 0 offset:272
	buffer_load_dword v102, off, s[0:3], 0 offset:276
	s_waitcnt vmcnt(0)
	ds_write_b64 v99, v[101:102]
	buffer_store_dword v100, off, s[0:3], 0 offset:272
	buffer_store_dword v100, off, s[0:3], 0 offset:276
.LBB48_239:
	s_or_b64 exec, exec, s[4:5]
	s_waitcnt lgkmcnt(0)
	; wave barrier
	buffer_load_dword v129, off, s[0:3], 0 offset:284
	buffer_load_dword v130, off, s[0:3], 0 offset:292
	;; [unrolled: 1-line block ×30, first 2 shown]
	ds_read2_b64 v[101:104], v100 offset0:85 offset1:86
	ds_read2_b64 v[105:108], v100 offset0:87 offset1:88
	;; [unrolled: 1-line block ×7, first 2 shown]
	v_cmp_lt_u32_e32 vcc, 33, v0
	s_waitcnt vmcnt(29) lgkmcnt(6)
	v_mul_f32_e32 v100, v101, v129
	v_mul_f32_e32 v129, v102, v129
	s_waitcnt vmcnt(28)
	v_mul_f32_e32 v159, v103, v130
	v_mul_f32_e32 v130, v104, v130
	s_waitcnt vmcnt(27) lgkmcnt(5)
	v_mul_f32_e32 v160, v105, v131
	v_mul_f32_e32 v131, v106, v131
	s_waitcnt vmcnt(26)
	v_mul_f32_e32 v161, v107, v132
	v_mul_f32_e32 v132, v108, v132
	s_waitcnt vmcnt(25) lgkmcnt(4)
	v_mul_f32_e32 v162, v109, v133
	v_mul_f32_e32 v133, v110, v133
	s_waitcnt vmcnt(24)
	v_mul_f32_e32 v163, v111, v134
	s_waitcnt vmcnt(23) lgkmcnt(3)
	v_mul_f32_e32 v164, v113, v135
	s_waitcnt vmcnt(22)
	v_mul_f32_e32 v165, v115, v136
	s_waitcnt vmcnt(21) lgkmcnt(2)
	v_mul_f32_e32 v166, v117, v137
	s_waitcnt vmcnt(15)
	v_fma_f32 v101, v101, v143, -v129
	v_fmac_f32_e32 v100, v102, v143
	s_waitcnt vmcnt(14)
	v_fma_f32 v102, v103, v144, -v130
	v_add_f32_e32 v101, 0, v101
	s_waitcnt vmcnt(13)
	v_fma_f32 v103, v105, v145, -v131
	v_add_f32_e32 v101, v101, v102
	v_fmac_f32_e32 v159, v104, v144
	s_waitcnt vmcnt(12)
	v_fma_f32 v104, v107, v146, -v132
	v_add_f32_e32 v101, v101, v103
	s_waitcnt vmcnt(11)
	v_fma_f32 v105, v109, v147, -v133
	v_add_f32_e32 v101, v101, v104
	v_mul_f32_e32 v102, v112, v134
	v_add_f32_e32 v101, v101, v105
	s_waitcnt vmcnt(10)
	v_fma_f32 v102, v111, v148, -v102
	v_add_f32_e32 v101, v101, v102
	v_mul_f32_e32 v102, v114, v135
	s_waitcnt vmcnt(9)
	v_fma_f32 v102, v113, v149, -v102
	v_add_f32_e32 v101, v101, v102
	v_mul_f32_e32 v102, v116, v136
	s_waitcnt vmcnt(8)
	v_fma_f32 v102, v115, v150, -v102
	v_add_f32_e32 v100, 0, v100
	v_add_f32_e32 v101, v101, v102
	v_mul_f32_e32 v102, v118, v137
	v_fmac_f32_e32 v160, v106, v145
	v_add_f32_e32 v100, v100, v159
	s_waitcnt vmcnt(7)
	v_fma_f32 v102, v117, v151, -v102
	v_fmac_f32_e32 v161, v108, v146
	v_add_f32_e32 v100, v100, v160
	v_add_f32_e32 v101, v101, v102
	v_mul_f32_e32 v102, v120, v138
	v_fmac_f32_e32 v162, v110, v147
	v_add_f32_e32 v100, v100, v161
	s_waitcnt vmcnt(6)
	v_fma_f32 v102, v119, v152, -v102
	v_fmac_f32_e32 v163, v112, v148
	v_add_f32_e32 v100, v100, v162
	v_add_f32_e32 v101, v101, v102
	s_waitcnt lgkmcnt(1)
	v_mul_f32_e32 v102, v122, v139
	v_fmac_f32_e32 v164, v114, v149
	v_add_f32_e32 v100, v100, v163
	s_waitcnt vmcnt(5)
	v_fma_f32 v102, v121, v153, -v102
	v_fmac_f32_e32 v165, v116, v150
	v_add_f32_e32 v100, v100, v164
	v_add_f32_e32 v101, v101, v102
	v_mul_f32_e32 v102, v124, v140
	v_mul_f32_e32 v167, v119, v138
	v_fmac_f32_e32 v166, v118, v151
	v_add_f32_e32 v100, v100, v165
	s_waitcnt vmcnt(4)
	v_fma_f32 v102, v123, v154, -v102
	v_mul_f32_e32 v168, v121, v139
	v_fmac_f32_e32 v167, v120, v152
	v_add_f32_e32 v100, v100, v166
	v_add_f32_e32 v101, v101, v102
	s_waitcnt lgkmcnt(0)
	v_mul_f32_e32 v102, v126, v141
	v_mul_f32_e32 v169, v123, v140
	v_fmac_f32_e32 v168, v122, v153
	v_add_f32_e32 v100, v100, v167
	s_waitcnt vmcnt(3)
	v_fma_f32 v102, v125, v155, -v102
	v_mul_f32_e32 v170, v125, v141
	v_fmac_f32_e32 v169, v124, v154
	v_add_f32_e32 v100, v100, v168
	v_add_f32_e32 v101, v101, v102
	v_mul_f32_e32 v102, v128, v142
	v_mul_f32_e32 v171, v127, v142
	v_fmac_f32_e32 v170, v126, v155
	v_add_f32_e32 v100, v100, v169
	s_waitcnt vmcnt(2)
	v_fma_f32 v102, v127, v156, -v102
	v_fmac_f32_e32 v171, v128, v156
	v_add_f32_e32 v100, v100, v170
	v_add_f32_e32 v101, v101, v102
	;; [unrolled: 1-line block ×3, first 2 shown]
	s_waitcnt vmcnt(1)
	v_sub_f32_e32 v101, v157, v101
	s_waitcnt vmcnt(0)
	v_sub_f32_e32 v100, v158, v100
	buffer_store_dword v101, off, s[0:3], 0 offset:272
	buffer_store_dword v100, off, s[0:3], 0 offset:276
	s_and_saveexec_b64 s[4:5], vcc
	s_cbranch_execz .LBB48_241
; %bb.240:
	buffer_load_dword v100, off, s[0:3], 0 offset:264
	buffer_load_dword v101, off, s[0:3], 0 offset:268
	v_mov_b32_e32 v102, 0
	buffer_store_dword v102, off, s[0:3], 0 offset:264
	buffer_store_dword v102, off, s[0:3], 0 offset:268
	s_waitcnt vmcnt(2)
	ds_write_b64 v99, v[100:101]
.LBB48_241:
	s_or_b64 exec, exec, s[4:5]
	s_waitcnt lgkmcnt(0)
	; wave barrier
	buffer_load_dword v131, off, s[0:3], 0 offset:276
	buffer_load_dword v132, off, s[0:3], 0 offset:284
	;; [unrolled: 1-line block ×32, first 2 shown]
	v_mov_b32_e32 v100, 0
	ds_read_b128 v[101:104], v100 offset:672
	ds_read_b128 v[105:108], v100 offset:688
	;; [unrolled: 1-line block ×7, first 2 shown]
	ds_read_b64 v[129:130], v100 offset:784
	v_cmp_lt_u32_e32 vcc, 32, v0
	s_waitcnt vmcnt(31) lgkmcnt(7)
	v_mul_f32_e32 v163, v101, v131
	v_mul_f32_e32 v131, v102, v131
	s_waitcnt vmcnt(30)
	v_mul_f32_e32 v164, v103, v132
	v_mul_f32_e32 v132, v104, v132
	s_waitcnt vmcnt(29) lgkmcnt(6)
	v_mul_f32_e32 v165, v105, v133
	v_mul_f32_e32 v133, v106, v133
	s_waitcnt vmcnt(28)
	v_mul_f32_e32 v166, v107, v134
	s_waitcnt vmcnt(27) lgkmcnt(5)
	v_mul_f32_e32 v167, v109, v135
	s_waitcnt vmcnt(26)
	v_mul_f32_e32 v168, v111, v136
	s_waitcnt vmcnt(25) lgkmcnt(4)
	;; [unrolled: 4-line block ×4, first 2 shown]
	v_mul_f32_e32 v173, v121, v141
	s_waitcnt vmcnt(20)
	v_mul_f32_e32 v174, v123, v142
	s_waitcnt vmcnt(16)
	v_fma_f32 v101, v101, v146, -v131
	v_fmac_f32_e32 v163, v102, v146
	s_waitcnt vmcnt(15)
	v_fma_f32 v102, v103, v147, -v132
	v_add_f32_e32 v101, 0, v101
	s_waitcnt vmcnt(14)
	v_fma_f32 v103, v105, v148, -v133
	v_add_f32_e32 v101, v101, v102
	v_add_f32_e32 v101, v101, v103
	v_mul_f32_e32 v103, v108, v134
	s_waitcnt vmcnt(13)
	v_fma_f32 v103, v107, v149, -v103
	v_add_f32_e32 v101, v101, v103
	v_mul_f32_e32 v103, v110, v135
	s_waitcnt vmcnt(12)
	v_fma_f32 v103, v109, v150, -v103
	;; [unrolled: 4-line block ×5, first 2 shown]
	v_add_f32_e32 v101, v101, v103
	v_mul_f32_e32 v103, v118, v139
	v_fmac_f32_e32 v164, v104, v147
	v_add_f32_e32 v104, 0, v163
	s_waitcnt vmcnt(8)
	v_fma_f32 v103, v117, v154, -v103
	v_fmac_f32_e32 v165, v106, v148
	v_add_f32_e32 v104, v104, v164
	v_add_f32_e32 v101, v101, v103
	v_mul_f32_e32 v103, v120, v140
	v_fmac_f32_e32 v166, v108, v149
	v_add_f32_e32 v102, v104, v165
	s_waitcnt vmcnt(7)
	v_fma_f32 v103, v119, v155, -v103
	v_fmac_f32_e32 v167, v110, v150
	v_add_f32_e32 v102, v102, v166
	;; [unrolled: 8-line block ×4, first 2 shown]
	v_add_f32_e32 v101, v101, v103
	s_waitcnt lgkmcnt(1)
	v_mul_f32_e32 v103, v126, v143
	v_fmac_f32_e32 v172, v120, v155
	v_add_f32_e32 v102, v102, v171
	s_waitcnt vmcnt(4)
	v_fma_f32 v103, v125, v158, -v103
	v_fmac_f32_e32 v173, v122, v156
	v_add_f32_e32 v102, v102, v172
	v_add_f32_e32 v101, v101, v103
	v_mul_f32_e32 v103, v128, v144
	v_mul_f32_e32 v175, v125, v143
	v_fmac_f32_e32 v174, v124, v157
	v_add_f32_e32 v102, v102, v173
	s_waitcnt vmcnt(3)
	v_fma_f32 v103, v127, v159, -v103
	v_mul_f32_e32 v176, v127, v144
	v_fmac_f32_e32 v175, v126, v158
	v_add_f32_e32 v102, v102, v174
	v_add_f32_e32 v101, v101, v103
	s_waitcnt lgkmcnt(0)
	v_mul_f32_e32 v103, v130, v145
	v_mul_f32_e32 v177, v129, v145
	v_fmac_f32_e32 v176, v128, v159
	v_add_f32_e32 v102, v102, v175
	s_waitcnt vmcnt(2)
	v_fma_f32 v103, v129, v160, -v103
	v_fmac_f32_e32 v177, v130, v160
	v_add_f32_e32 v102, v102, v176
	v_add_f32_e32 v101, v101, v103
	;; [unrolled: 1-line block ×3, first 2 shown]
	s_waitcnt vmcnt(1)
	v_sub_f32_e32 v101, v161, v101
	s_waitcnt vmcnt(0)
	v_sub_f32_e32 v102, v162, v102
	buffer_store_dword v101, off, s[0:3], 0 offset:264
	buffer_store_dword v102, off, s[0:3], 0 offset:268
	s_and_saveexec_b64 s[4:5], vcc
	s_cbranch_execz .LBB48_243
; %bb.242:
	buffer_load_dword v101, off, s[0:3], 0 offset:256
	buffer_load_dword v102, off, s[0:3], 0 offset:260
	s_waitcnt vmcnt(0)
	ds_write_b64 v99, v[101:102]
	buffer_store_dword v100, off, s[0:3], 0 offset:256
	buffer_store_dword v100, off, s[0:3], 0 offset:260
.LBB48_243:
	s_or_b64 exec, exec, s[4:5]
	s_waitcnt lgkmcnt(0)
	; wave barrier
	buffer_load_dword v133, off, s[0:3], 0 offset:268
	buffer_load_dword v134, off, s[0:3], 0 offset:276
	;; [unrolled: 1-line block ×34, first 2 shown]
	ds_read2_b64 v[101:104], v100 offset0:83 offset1:84
	ds_read2_b64 v[105:108], v100 offset0:85 offset1:86
	ds_read2_b64 v[109:112], v100 offset0:87 offset1:88
	ds_read2_b64 v[113:116], v100 offset0:89 offset1:90
	ds_read2_b64 v[117:120], v100 offset0:91 offset1:92
	ds_read2_b64 v[121:124], v100 offset0:93 offset1:94
	ds_read2_b64 v[125:128], v100 offset0:95 offset1:96
	ds_read2_b64 v[129:132], v100 offset0:97 offset1:98
	v_cmp_lt_u32_e32 vcc, 31, v0
	s_waitcnt vmcnt(33) lgkmcnt(7)
	v_mul_f32_e32 v100, v101, v133
	v_mul_f32_e32 v133, v102, v133
	s_waitcnt vmcnt(32)
	v_mul_f32_e32 v167, v103, v134
	v_mul_f32_e32 v134, v104, v134
	s_waitcnt vmcnt(31) lgkmcnt(6)
	v_mul_f32_e32 v168, v105, v135
	s_waitcnt vmcnt(30)
	v_mul_f32_e32 v169, v107, v136
	s_waitcnt vmcnt(29) lgkmcnt(5)
	v_mul_f32_e32 v170, v109, v137
	s_waitcnt vmcnt(28)
	;; [unrolled: 4-line block ×6, first 2 shown]
	v_mul_f32_e32 v179, v127, v146
	s_waitcnt vmcnt(17)
	v_fma_f32 v101, v101, v149, -v133
	v_fmac_f32_e32 v100, v102, v149
	s_waitcnt vmcnt(16)
	v_fma_f32 v102, v103, v150, -v134
	v_add_f32_e32 v101, 0, v101
	v_add_f32_e32 v101, v101, v102
	v_mul_f32_e32 v102, v106, v135
	s_waitcnt vmcnt(15)
	v_fma_f32 v102, v105, v151, -v102
	v_add_f32_e32 v101, v101, v102
	v_mul_f32_e32 v102, v108, v136
	s_waitcnt vmcnt(14)
	v_fma_f32 v102, v107, v152, -v102
	v_add_f32_e32 v101, v101, v102
	v_mul_f32_e32 v102, v110, v137
	s_waitcnt vmcnt(13)
	v_fma_f32 v102, v109, v153, -v102
	v_add_f32_e32 v101, v101, v102
	v_mul_f32_e32 v102, v112, v138
	s_waitcnt vmcnt(12)
	v_fma_f32 v102, v111, v154, -v102
	v_add_f32_e32 v101, v101, v102
	v_mul_f32_e32 v102, v114, v139
	s_waitcnt vmcnt(11)
	v_fma_f32 v102, v113, v155, -v102
	v_add_f32_e32 v101, v101, v102
	v_mul_f32_e32 v102, v116, v140
	s_waitcnt vmcnt(10)
	v_fma_f32 v102, v115, v156, -v102
	v_add_f32_e32 v101, v101, v102
	v_mul_f32_e32 v102, v118, v141
	s_waitcnt vmcnt(9)
	v_fma_f32 v102, v117, v157, -v102
	v_fmac_f32_e32 v167, v104, v150
	v_add_f32_e32 v100, 0, v100
	v_add_f32_e32 v101, v101, v102
	v_mul_f32_e32 v102, v120, v142
	v_fmac_f32_e32 v168, v106, v151
	v_add_f32_e32 v100, v100, v167
	s_waitcnt vmcnt(8)
	v_fma_f32 v102, v119, v158, -v102
	v_fmac_f32_e32 v169, v108, v152
	v_add_f32_e32 v100, v100, v168
	v_add_f32_e32 v101, v101, v102
	v_mul_f32_e32 v102, v122, v143
	v_fmac_f32_e32 v170, v110, v153
	v_add_f32_e32 v100, v100, v169
	s_waitcnt vmcnt(7)
	v_fma_f32 v102, v121, v159, -v102
	;; [unrolled: 8-line block ×5, first 2 shown]
	v_fmac_f32_e32 v177, v124, v160
	v_add_f32_e32 v100, v100, v176
	v_add_f32_e32 v101, v101, v102
	s_waitcnt lgkmcnt(0)
	v_mul_f32_e32 v102, v130, v147
	v_fmac_f32_e32 v178, v126, v161
	v_add_f32_e32 v100, v100, v177
	s_waitcnt vmcnt(3)
	v_fma_f32 v102, v129, v163, -v102
	v_mul_f32_e32 v180, v129, v147
	v_fmac_f32_e32 v179, v128, v162
	v_add_f32_e32 v100, v100, v178
	v_add_f32_e32 v101, v101, v102
	v_mul_f32_e32 v102, v132, v148
	v_mul_f32_e32 v181, v131, v148
	v_fmac_f32_e32 v180, v130, v163
	v_add_f32_e32 v100, v100, v179
	s_waitcnt vmcnt(2)
	v_fma_f32 v102, v131, v164, -v102
	v_fmac_f32_e32 v181, v132, v164
	v_add_f32_e32 v100, v100, v180
	v_add_f32_e32 v101, v101, v102
	v_add_f32_e32 v100, v100, v181
	s_waitcnt vmcnt(1)
	v_sub_f32_e32 v101, v165, v101
	s_waitcnt vmcnt(0)
	v_sub_f32_e32 v100, v166, v100
	buffer_store_dword v101, off, s[0:3], 0 offset:256
	buffer_store_dword v100, off, s[0:3], 0 offset:260
	s_and_saveexec_b64 s[4:5], vcc
	s_cbranch_execz .LBB48_245
; %bb.244:
	buffer_load_dword v100, off, s[0:3], 0 offset:248
	buffer_load_dword v101, off, s[0:3], 0 offset:252
	v_mov_b32_e32 v102, 0
	buffer_store_dword v102, off, s[0:3], 0 offset:248
	buffer_store_dword v102, off, s[0:3], 0 offset:252
	s_waitcnt vmcnt(2)
	ds_write_b64 v99, v[100:101]
.LBB48_245:
	s_or_b64 exec, exec, s[4:5]
	s_waitcnt lgkmcnt(0)
	; wave barrier
	buffer_load_dword v135, off, s[0:3], 0 offset:260
	buffer_load_dword v136, off, s[0:3], 0 offset:268
	;; [unrolled: 1-line block ×36, first 2 shown]
	v_mov_b32_e32 v100, 0
	ds_read_b128 v[101:104], v100 offset:656
	ds_read_b128 v[105:108], v100 offset:672
	;; [unrolled: 1-line block ×8, first 2 shown]
	ds_read_b64 v[133:134], v100 offset:784
	v_cmp_lt_u32_e32 vcc, 30, v0
	s_waitcnt vmcnt(35) lgkmcnt(8)
	v_mul_f32_e32 v171, v101, v135
	s_waitcnt vmcnt(34)
	v_mul_f32_e32 v172, v103, v136
	s_waitcnt vmcnt(33) lgkmcnt(7)
	v_mul_f32_e32 v173, v105, v137
	s_waitcnt vmcnt(32)
	v_mul_f32_e32 v174, v107, v138
	;; [unrolled: 4-line block ×8, first 2 shown]
	s_waitcnt vmcnt(19) lgkmcnt(0)
	v_mul_f32_e32 v187, v133, v151
	s_waitcnt vmcnt(18)
	v_fmac_f32_e32 v171, v102, v152
	v_mul_f32_e32 v102, v102, v135
	v_fma_f32 v101, v101, v152, -v102
	v_mul_f32_e32 v102, v104, v136
	v_add_f32_e32 v101, 0, v101
	s_waitcnt vmcnt(17)
	v_fma_f32 v102, v103, v153, -v102
	v_add_f32_e32 v101, v101, v102
	v_mul_f32_e32 v102, v106, v137
	s_waitcnt vmcnt(16)
	v_fma_f32 v102, v105, v154, -v102
	v_add_f32_e32 v101, v101, v102
	v_mul_f32_e32 v102, v108, v138
	;; [unrolled: 4-line block ×8, first 2 shown]
	v_fmac_f32_e32 v172, v104, v153
	v_add_f32_e32 v171, 0, v171
	s_waitcnt vmcnt(9)
	v_fma_f32 v102, v119, v161, -v102
	v_fmac_f32_e32 v173, v106, v154
	v_add_f32_e32 v171, v171, v172
	v_add_f32_e32 v101, v101, v102
	v_mul_f32_e32 v102, v122, v145
	v_fmac_f32_e32 v174, v108, v155
	v_add_f32_e32 v171, v171, v173
	s_waitcnt vmcnt(8)
	v_fma_f32 v102, v121, v162, -v102
	v_fmac_f32_e32 v175, v110, v156
	v_add_f32_e32 v171, v171, v174
	v_add_f32_e32 v101, v101, v102
	v_mul_f32_e32 v102, v124, v146
	v_fmac_f32_e32 v176, v112, v157
	v_add_f32_e32 v171, v171, v175
	s_waitcnt vmcnt(7)
	v_fma_f32 v102, v123, v163, -v102
	v_fmac_f32_e32 v177, v114, v158
	v_add_f32_e32 v171, v171, v176
	v_add_f32_e32 v101, v101, v102
	v_mul_f32_e32 v102, v126, v147
	v_fmac_f32_e32 v178, v116, v159
	v_add_f32_e32 v171, v171, v177
	s_waitcnt vmcnt(6)
	v_fma_f32 v102, v125, v164, -v102
	v_fmac_f32_e32 v179, v118, v160
	v_add_f32_e32 v171, v171, v178
	v_add_f32_e32 v101, v101, v102
	v_mul_f32_e32 v102, v128, v148
	v_fmac_f32_e32 v180, v120, v161
	v_add_f32_e32 v171, v171, v179
	s_waitcnt vmcnt(5)
	v_fma_f32 v102, v127, v165, -v102
	v_fmac_f32_e32 v181, v122, v162
	v_add_f32_e32 v171, v171, v180
	v_add_f32_e32 v101, v101, v102
	v_mul_f32_e32 v102, v130, v149
	v_fmac_f32_e32 v182, v124, v163
	v_add_f32_e32 v171, v171, v181
	s_waitcnt vmcnt(4)
	v_fma_f32 v102, v129, v166, -v102
	v_fmac_f32_e32 v183, v126, v164
	v_add_f32_e32 v171, v171, v182
	v_add_f32_e32 v101, v101, v102
	v_mul_f32_e32 v102, v132, v150
	v_fmac_f32_e32 v184, v128, v165
	v_add_f32_e32 v171, v171, v183
	s_waitcnt vmcnt(3)
	v_fma_f32 v102, v131, v167, -v102
	v_fmac_f32_e32 v185, v130, v166
	v_add_f32_e32 v171, v171, v184
	v_add_f32_e32 v101, v101, v102
	v_mul_f32_e32 v102, v134, v151
	v_fmac_f32_e32 v186, v132, v167
	v_add_f32_e32 v171, v171, v185
	s_waitcnt vmcnt(2)
	v_fma_f32 v102, v133, v168, -v102
	v_fmac_f32_e32 v187, v134, v168
	v_add_f32_e32 v171, v171, v186
	v_add_f32_e32 v101, v101, v102
	;; [unrolled: 1-line block ×3, first 2 shown]
	s_waitcnt vmcnt(1)
	v_sub_f32_e32 v101, v169, v101
	s_waitcnt vmcnt(0)
	v_sub_f32_e32 v102, v170, v171
	buffer_store_dword v101, off, s[0:3], 0 offset:248
	buffer_store_dword v102, off, s[0:3], 0 offset:252
	s_and_saveexec_b64 s[4:5], vcc
	s_cbranch_execz .LBB48_247
; %bb.246:
	buffer_load_dword v101, off, s[0:3], 0 offset:240
	buffer_load_dword v102, off, s[0:3], 0 offset:244
	s_waitcnt vmcnt(0)
	ds_write_b64 v99, v[101:102]
	buffer_store_dword v100, off, s[0:3], 0 offset:240
	buffer_store_dword v100, off, s[0:3], 0 offset:244
.LBB48_247:
	s_or_b64 exec, exec, s[4:5]
	s_waitcnt lgkmcnt(0)
	; wave barrier
	buffer_load_dword v137, off, s[0:3], 0 offset:252
	buffer_load_dword v138, off, s[0:3], 0 offset:260
	;; [unrolled: 1-line block ×38, first 2 shown]
	ds_read2_b64 v[101:104], v100 offset0:81 offset1:82
	ds_read2_b64 v[105:108], v100 offset0:83 offset1:84
	;; [unrolled: 1-line block ×9, first 2 shown]
	v_cmp_lt_u32_e32 vcc, 29, v0
	s_waitcnt vmcnt(37) lgkmcnt(8)
	v_mul_f32_e32 v100, v101, v137
	s_waitcnt vmcnt(36)
	v_mul_f32_e32 v175, v103, v138
	s_waitcnt vmcnt(35) lgkmcnt(7)
	v_mul_f32_e32 v176, v105, v139
	s_waitcnt vmcnt(34)
	v_mul_f32_e32 v177, v107, v140
	;; [unrolled: 4-line block ×8, first 2 shown]
	s_waitcnt vmcnt(21) lgkmcnt(0)
	v_mul_f32_e32 v190, v133, v153
	s_waitcnt vmcnt(20)
	v_fmac_f32_e32 v100, v102, v154
	v_mul_f32_e32 v102, v102, v137
	v_fma_f32 v101, v101, v154, -v102
	v_mul_f32_e32 v102, v104, v138
	v_add_f32_e32 v101, 0, v101
	s_waitcnt vmcnt(19)
	v_fma_f32 v102, v103, v155, -v102
	v_add_f32_e32 v101, v101, v102
	v_mul_f32_e32 v102, v106, v139
	s_waitcnt vmcnt(18)
	v_fma_f32 v102, v105, v156, -v102
	v_add_f32_e32 v101, v101, v102
	v_mul_f32_e32 v102, v108, v140
	;; [unrolled: 4-line block ×8, first 2 shown]
	s_waitcnt vmcnt(11)
	v_fma_f32 v102, v119, v163, -v102
	v_fmac_f32_e32 v175, v104, v155
	v_add_f32_e32 v100, 0, v100
	v_add_f32_e32 v101, v101, v102
	v_mul_f32_e32 v102, v122, v147
	v_fmac_f32_e32 v176, v106, v156
	v_add_f32_e32 v100, v100, v175
	s_waitcnt vmcnt(10)
	v_fma_f32 v102, v121, v164, -v102
	v_fmac_f32_e32 v177, v108, v157
	v_add_f32_e32 v100, v100, v176
	v_add_f32_e32 v101, v101, v102
	v_mul_f32_e32 v102, v124, v148
	v_fmac_f32_e32 v178, v110, v158
	v_add_f32_e32 v100, v100, v177
	;; [unrolled: 8-line block ×7, first 2 shown]
	s_waitcnt vmcnt(4)
	v_fma_f32 v102, v133, v170, -v102
	v_fmac_f32_e32 v189, v132, v169
	v_add_f32_e32 v100, v100, v188
	v_add_f32_e32 v101, v101, v102
	s_waitcnt vmcnt(3)
	v_mul_f32_e32 v102, v136, v171
	v_add_f32_e32 v100, v100, v189
	v_fmac_f32_e32 v190, v134, v170
	v_mul_f32_e32 v175, v135, v171
	s_waitcnt vmcnt(2)
	v_fma_f32 v102, v135, v172, -v102
	v_add_f32_e32 v100, v100, v190
	v_fmac_f32_e32 v175, v136, v172
	v_add_f32_e32 v101, v101, v102
	v_add_f32_e32 v100, v100, v175
	s_waitcnt vmcnt(1)
	v_sub_f32_e32 v101, v173, v101
	s_waitcnt vmcnt(0)
	v_sub_f32_e32 v100, v174, v100
	buffer_store_dword v101, off, s[0:3], 0 offset:240
	buffer_store_dword v100, off, s[0:3], 0 offset:244
	s_and_saveexec_b64 s[4:5], vcc
	s_cbranch_execz .LBB48_249
; %bb.248:
	buffer_load_dword v100, off, s[0:3], 0 offset:232
	buffer_load_dword v101, off, s[0:3], 0 offset:236
	v_mov_b32_e32 v102, 0
	buffer_store_dword v102, off, s[0:3], 0 offset:232
	buffer_store_dword v102, off, s[0:3], 0 offset:236
	s_waitcnt vmcnt(2)
	ds_write_b64 v99, v[100:101]
.LBB48_249:
	s_or_b64 exec, exec, s[4:5]
	s_waitcnt lgkmcnt(0)
	; wave barrier
	buffer_load_dword v139, off, s[0:3], 0 offset:244
	buffer_load_dword v140, off, s[0:3], 0 offset:252
	;; [unrolled: 1-line block ×40, first 2 shown]
	v_mov_b32_e32 v100, 0
	ds_read_b128 v[101:104], v100 offset:640
	ds_read_b128 v[105:108], v100 offset:656
	;; [unrolled: 1-line block ×9, first 2 shown]
	v_cmp_lt_u32_e32 vcc, 28, v0
	s_waitcnt vmcnt(39) lgkmcnt(8)
	v_mul_f32_e32 v137, v101, v139
	s_waitcnt vmcnt(38)
	v_mul_f32_e32 v138, v103, v140
	s_waitcnt vmcnt(37) lgkmcnt(7)
	v_mul_f32_e32 v179, v105, v141
	s_waitcnt vmcnt(36)
	v_mul_f32_e32 v180, v107, v142
	;; [unrolled: 4-line block ×7, first 2 shown]
	s_waitcnt vmcnt(25) lgkmcnt(1)
	v_mul_f32_e32 v191, v129, v153
	s_waitcnt vmcnt(24)
	v_fmac_f32_e32 v137, v102, v154
	v_mul_f32_e32 v102, v102, v139
	v_fma_f32 v101, v101, v154, -v102
	v_mul_f32_e32 v102, v104, v140
	v_add_f32_e32 v101, 0, v101
	s_waitcnt vmcnt(23)
	v_fma_f32 v102, v103, v155, -v102
	v_add_f32_e32 v101, v101, v102
	v_mul_f32_e32 v102, v106, v141
	s_waitcnt vmcnt(22)
	v_fma_f32 v102, v105, v156, -v102
	v_add_f32_e32 v101, v101, v102
	v_mul_f32_e32 v102, v108, v142
	;; [unrolled: 4-line block ×6, first 2 shown]
	s_waitcnt vmcnt(17)
	v_fma_f32 v102, v115, v161, -v102
	v_fmac_f32_e32 v138, v104, v155
	v_add_f32_e32 v137, 0, v137
	v_add_f32_e32 v101, v101, v102
	v_mul_f32_e32 v102, v118, v147
	v_fmac_f32_e32 v179, v106, v156
	v_add_f32_e32 v137, v137, v138
	s_waitcnt vmcnt(16)
	v_fma_f32 v102, v117, v162, -v102
	v_fmac_f32_e32 v180, v108, v157
	v_add_f32_e32 v137, v137, v179
	v_add_f32_e32 v101, v101, v102
	v_mul_f32_e32 v102, v120, v148
	v_fmac_f32_e32 v181, v110, v158
	v_add_f32_e32 v137, v137, v180
	;; [unrolled: 8-line block ×6, first 2 shown]
	s_waitcnt vmcnt(11)
	v_fma_f32 v102, v127, v167, -v102
	v_fmac_f32_e32 v190, v128, v167
	v_add_f32_e32 v137, v137, v189
	v_add_f32_e32 v101, v101, v102
	v_mul_f32_e32 v102, v130, v153
	s_waitcnt vmcnt(10)
	v_fmac_f32_e32 v191, v130, v168
	v_add_f32_e32 v137, v137, v190
	s_waitcnt vmcnt(9)
	v_mul_f32_e32 v138, v131, v169
	v_fma_f32 v102, v129, v168, -v102
	v_add_f32_e32 v137, v137, v191
	s_waitcnt vmcnt(8)
	v_fmac_f32_e32 v138, v132, v170
	v_add_f32_e32 v101, v101, v102
	v_mul_f32_e32 v102, v132, v169
	v_add_f32_e32 v179, v137, v138
	ds_read_b64 v[137:138], v100 offset:784
	v_fma_f32 v102, v131, v170, -v102
	v_add_f32_e32 v101, v101, v102
	s_waitcnt vmcnt(7) lgkmcnt(1)
	v_mul_f32_e32 v102, v134, v171
	v_mul_f32_e32 v180, v133, v171
	s_waitcnt vmcnt(6)
	v_fma_f32 v102, v133, v172, -v102
	v_fmac_f32_e32 v180, v134, v172
	v_add_f32_e32 v101, v101, v102
	s_waitcnt vmcnt(5)
	v_mul_f32_e32 v102, v136, v173
	v_add_f32_e32 v179, v179, v180
	v_mul_f32_e32 v180, v135, v173
	s_waitcnt vmcnt(4)
	v_fma_f32 v102, v135, v174, -v102
	v_fmac_f32_e32 v180, v136, v174
	v_add_f32_e32 v101, v101, v102
	s_waitcnt vmcnt(3) lgkmcnt(0)
	v_mul_f32_e32 v102, v138, v175
	v_add_f32_e32 v179, v179, v180
	v_mul_f32_e32 v180, v137, v175
	s_waitcnt vmcnt(2)
	v_fma_f32 v102, v137, v176, -v102
	v_fmac_f32_e32 v180, v138, v176
	v_add_f32_e32 v101, v101, v102
	v_add_f32_e32 v179, v179, v180
	s_waitcnt vmcnt(1)
	v_sub_f32_e32 v101, v177, v101
	s_waitcnt vmcnt(0)
	v_sub_f32_e32 v102, v178, v179
	buffer_store_dword v101, off, s[0:3], 0 offset:232
	buffer_store_dword v102, off, s[0:3], 0 offset:236
	s_and_saveexec_b64 s[4:5], vcc
	s_cbranch_execz .LBB48_251
; %bb.250:
	buffer_load_dword v101, off, s[0:3], 0 offset:224
	buffer_load_dword v102, off, s[0:3], 0 offset:228
	s_waitcnt vmcnt(0)
	ds_write_b64 v99, v[101:102]
	buffer_store_dword v100, off, s[0:3], 0 offset:224
	buffer_store_dword v100, off, s[0:3], 0 offset:228
.LBB48_251:
	s_or_b64 exec, exec, s[4:5]
	s_waitcnt lgkmcnt(0)
	; wave barrier
	buffer_load_dword v141, off, s[0:3], 0 offset:236
	buffer_load_dword v142, off, s[0:3], 0 offset:244
	buffer_load_dword v143, off, s[0:3], 0 offset:252
	buffer_load_dword v144, off, s[0:3], 0 offset:260
	buffer_load_dword v145, off, s[0:3], 0 offset:268
	buffer_load_dword v146, off, s[0:3], 0 offset:276
	buffer_load_dword v147, off, s[0:3], 0 offset:284
	buffer_load_dword v148, off, s[0:3], 0 offset:292
	buffer_load_dword v149, off, s[0:3], 0 offset:300
	buffer_load_dword v150, off, s[0:3], 0 offset:308
	buffer_load_dword v151, off, s[0:3], 0 offset:316
	buffer_load_dword v152, off, s[0:3], 0 offset:324
	buffer_load_dword v153, off, s[0:3], 0 offset:332
	buffer_load_dword v154, off, s[0:3], 0 offset:340
	buffer_load_dword v155, off, s[0:3], 0 offset:348
	buffer_load_dword v156, off, s[0:3], 0 offset:232
	buffer_load_dword v157, off, s[0:3], 0 offset:240
	buffer_load_dword v158, off, s[0:3], 0 offset:248
	buffer_load_dword v159, off, s[0:3], 0 offset:256
	buffer_load_dword v160, off, s[0:3], 0 offset:264
	buffer_load_dword v161, off, s[0:3], 0 offset:272
	buffer_load_dword v162, off, s[0:3], 0 offset:280
	buffer_load_dword v163, off, s[0:3], 0 offset:288
	buffer_load_dword v164, off, s[0:3], 0 offset:296
	buffer_load_dword v165, off, s[0:3], 0 offset:304
	buffer_load_dword v166, off, s[0:3], 0 offset:312
	buffer_load_dword v167, off, s[0:3], 0 offset:320
	buffer_load_dword v168, off, s[0:3], 0 offset:328
	buffer_load_dword v169, off, s[0:3], 0 offset:336
	buffer_load_dword v170, off, s[0:3], 0 offset:344
	buffer_load_dword v171, off, s[0:3], 0 offset:356
	buffer_load_dword v172, off, s[0:3], 0 offset:352
	buffer_load_dword v173, off, s[0:3], 0 offset:364
	buffer_load_dword v174, off, s[0:3], 0 offset:360
	buffer_load_dword v175, off, s[0:3], 0 offset:372
	buffer_load_dword v176, off, s[0:3], 0 offset:368
	buffer_load_dword v177, off, s[0:3], 0 offset:380
	buffer_load_dword v178, off, s[0:3], 0 offset:376
	buffer_load_dword v179, off, s[0:3], 0 offset:388
	buffer_load_dword v180, off, s[0:3], 0 offset:384
	buffer_load_dword v181, off, s[0:3], 0 offset:224
	buffer_load_dword v182, off, s[0:3], 0 offset:228
	ds_read2_b64 v[101:104], v100 offset0:79 offset1:80
	ds_read2_b64 v[105:108], v100 offset0:81 offset1:82
	;; [unrolled: 1-line block ×8, first 2 shown]
	v_cmp_lt_u32_e32 vcc, 27, v0
	s_waitcnt vmcnt(41) lgkmcnt(7)
	v_mul_f32_e32 v133, v101, v141
	s_waitcnt vmcnt(40)
	v_mul_f32_e32 v134, v103, v142
	s_waitcnt vmcnt(39) lgkmcnt(6)
	v_mul_f32_e32 v135, v105, v143
	s_waitcnt vmcnt(38)
	v_mul_f32_e32 v136, v107, v144
	;; [unrolled: 4-line block ×7, first 2 shown]
	s_waitcnt vmcnt(27) lgkmcnt(0)
	v_mul_f32_e32 v189, v129, v155
	s_waitcnt vmcnt(26)
	v_fmac_f32_e32 v133, v102, v156
	v_mul_f32_e32 v102, v102, v141
	v_fma_f32 v101, v101, v156, -v102
	v_mul_f32_e32 v102, v104, v142
	v_add_f32_e32 v101, 0, v101
	s_waitcnt vmcnt(25)
	v_fma_f32 v102, v103, v157, -v102
	v_add_f32_e32 v101, v101, v102
	v_mul_f32_e32 v102, v106, v143
	s_waitcnt vmcnt(24)
	v_fma_f32 v102, v105, v158, -v102
	v_add_f32_e32 v101, v101, v102
	v_mul_f32_e32 v102, v108, v144
	;; [unrolled: 4-line block ×5, first 2 shown]
	v_fmac_f32_e32 v134, v104, v157
	v_add_f32_e32 v133, 0, v133
	s_waitcnt vmcnt(20)
	v_fma_f32 v102, v113, v162, -v102
	v_fmac_f32_e32 v135, v106, v158
	v_add_f32_e32 v133, v133, v134
	v_add_f32_e32 v101, v101, v102
	v_mul_f32_e32 v102, v116, v148
	v_fmac_f32_e32 v136, v108, v159
	v_add_f32_e32 v133, v133, v135
	s_waitcnt vmcnt(19)
	v_fma_f32 v102, v115, v163, -v102
	v_fmac_f32_e32 v137, v110, v160
	v_add_f32_e32 v133, v133, v136
	v_add_f32_e32 v101, v101, v102
	v_mul_f32_e32 v102, v118, v149
	;; [unrolled: 8-line block ×5, first 2 shown]
	s_waitcnt vmcnt(15)
	v_fmac_f32_e32 v186, v124, v167
	v_add_f32_e32 v133, v133, v185
	v_fma_f32 v102, v123, v167, -v102
	s_waitcnt vmcnt(14)
	v_fmac_f32_e32 v187, v126, v168
	v_add_f32_e32 v133, v133, v186
	v_add_f32_e32 v101, v101, v102
	v_mul_f32_e32 v102, v126, v153
	s_waitcnt vmcnt(13)
	v_fmac_f32_e32 v188, v128, v169
	v_add_f32_e32 v133, v133, v187
	v_fma_f32 v102, v125, v168, -v102
	s_waitcnt vmcnt(12)
	v_fmac_f32_e32 v189, v130, v170
	v_add_f32_e32 v133, v133, v188
	v_add_f32_e32 v101, v101, v102
	v_mul_f32_e32 v102, v128, v154
	v_add_f32_e32 v137, v133, v189
	ds_read2_b64 v[133:136], v100 offset0:95 offset1:96
	v_fma_f32 v102, v127, v169, -v102
	v_add_f32_e32 v101, v101, v102
	v_mul_f32_e32 v102, v130, v155
	s_waitcnt vmcnt(11)
	v_mul_f32_e32 v138, v131, v171
	v_fma_f32 v102, v129, v170, -v102
	s_waitcnt vmcnt(10)
	v_fmac_f32_e32 v138, v132, v172
	v_add_f32_e32 v101, v101, v102
	v_mul_f32_e32 v102, v132, v171
	v_add_f32_e32 v183, v137, v138
	ds_read2_b64 v[137:140], v100 offset0:97 offset1:98
	v_fma_f32 v102, v131, v172, -v102
	v_add_f32_e32 v101, v101, v102
	s_waitcnt vmcnt(9) lgkmcnt(1)
	v_mul_f32_e32 v102, v134, v173
	v_mul_f32_e32 v100, v133, v173
	s_waitcnt vmcnt(8)
	v_fma_f32 v102, v133, v174, -v102
	v_fmac_f32_e32 v100, v134, v174
	v_add_f32_e32 v101, v101, v102
	s_waitcnt vmcnt(7)
	v_mul_f32_e32 v102, v136, v175
	v_add_f32_e32 v100, v183, v100
	v_mul_f32_e32 v183, v135, v175
	s_waitcnt vmcnt(6)
	v_fma_f32 v102, v135, v176, -v102
	v_fmac_f32_e32 v183, v136, v176
	v_add_f32_e32 v101, v101, v102
	s_waitcnt vmcnt(5) lgkmcnt(0)
	v_mul_f32_e32 v102, v138, v177
	v_add_f32_e32 v100, v100, v183
	v_mul_f32_e32 v183, v137, v177
	s_waitcnt vmcnt(4)
	v_fma_f32 v102, v137, v178, -v102
	v_fmac_f32_e32 v183, v138, v178
	v_add_f32_e32 v101, v101, v102
	s_waitcnt vmcnt(3)
	v_mul_f32_e32 v102, v140, v179
	v_add_f32_e32 v100, v100, v183
	v_mul_f32_e32 v183, v139, v179
	s_waitcnt vmcnt(2)
	v_fma_f32 v102, v139, v180, -v102
	v_fmac_f32_e32 v183, v140, v180
	v_add_f32_e32 v101, v101, v102
	v_add_f32_e32 v100, v100, v183
	s_waitcnt vmcnt(1)
	v_sub_f32_e32 v101, v181, v101
	s_waitcnt vmcnt(0)
	v_sub_f32_e32 v100, v182, v100
	buffer_store_dword v101, off, s[0:3], 0 offset:224
	buffer_store_dword v100, off, s[0:3], 0 offset:228
	s_and_saveexec_b64 s[4:5], vcc
	s_cbranch_execz .LBB48_253
; %bb.252:
	buffer_load_dword v100, off, s[0:3], 0 offset:216
	buffer_load_dword v101, off, s[0:3], 0 offset:220
	v_mov_b32_e32 v102, 0
	buffer_store_dword v102, off, s[0:3], 0 offset:216
	buffer_store_dword v102, off, s[0:3], 0 offset:220
	s_waitcnt vmcnt(2)
	ds_write_b64 v99, v[100:101]
.LBB48_253:
	s_or_b64 exec, exec, s[4:5]
	s_waitcnt lgkmcnt(0)
	; wave barrier
	buffer_load_dword v143, off, s[0:3], 0 offset:228
	buffer_load_dword v144, off, s[0:3], 0 offset:236
	;; [unrolled: 1-line block ×44, first 2 shown]
	v_mov_b32_e32 v100, 0
	ds_read_b128 v[101:104], v100 offset:624
	ds_read_b128 v[105:108], v100 offset:640
	;; [unrolled: 1-line block ×8, first 2 shown]
	v_cmp_lt_u32_e32 vcc, 26, v0
	s_waitcnt vmcnt(43) lgkmcnt(7)
	v_mul_f32_e32 v133, v101, v143
	s_waitcnt vmcnt(42)
	v_mul_f32_e32 v134, v103, v144
	s_waitcnt vmcnt(41) lgkmcnt(6)
	v_mul_f32_e32 v135, v105, v145
	s_waitcnt vmcnt(40)
	v_mul_f32_e32 v136, v107, v146
	;; [unrolled: 4-line block ×7, first 2 shown]
	s_waitcnt vmcnt(29)
	v_fmac_f32_e32 v133, v102, v157
	v_mul_f32_e32 v102, v102, v143
	v_fma_f32 v101, v101, v157, -v102
	v_mul_f32_e32 v102, v104, v144
	v_add_f32_e32 v101, 0, v101
	s_waitcnt vmcnt(28)
	v_fma_f32 v102, v103, v158, -v102
	v_add_f32_e32 v101, v101, v102
	v_mul_f32_e32 v102, v106, v145
	s_waitcnt vmcnt(27)
	v_fma_f32 v102, v105, v159, -v102
	v_add_f32_e32 v101, v101, v102
	v_mul_f32_e32 v102, v108, v146
	;; [unrolled: 4-line block ×4, first 2 shown]
	s_waitcnt vmcnt(24)
	v_fma_f32 v102, v111, v162, -v102
	v_fmac_f32_e32 v134, v104, v158
	v_add_f32_e32 v133, 0, v133
	v_add_f32_e32 v101, v101, v102
	v_mul_f32_e32 v102, v114, v149
	v_fmac_f32_e32 v135, v106, v159
	v_add_f32_e32 v133, v133, v134
	s_waitcnt vmcnt(23)
	v_fma_f32 v102, v113, v163, -v102
	v_fmac_f32_e32 v136, v108, v160
	v_add_f32_e32 v133, v133, v135
	v_add_f32_e32 v101, v101, v102
	v_mul_f32_e32 v102, v116, v150
	v_fmac_f32_e32 v137, v110, v161
	v_add_f32_e32 v133, v133, v136
	;; [unrolled: 8-line block ×4, first 2 shown]
	s_waitcnt vmcnt(20)
	v_fma_f32 v102, v119, v166, -v102
	v_fmac_f32_e32 v142, v120, v166
	v_add_f32_e32 v133, v133, v141
	v_add_f32_e32 v101, v101, v102
	v_mul_f32_e32 v102, v122, v153
	s_waitcnt vmcnt(19)
	v_fmac_f32_e32 v187, v122, v167
	v_add_f32_e32 v133, v133, v142
	v_fma_f32 v102, v121, v167, -v102
	s_waitcnt vmcnt(18)
	v_fmac_f32_e32 v188, v124, v168
	v_add_f32_e32 v133, v133, v187
	v_add_f32_e32 v101, v101, v102
	v_mul_f32_e32 v102, v124, v154
	s_waitcnt vmcnt(17)
	v_fmac_f32_e32 v189, v126, v169
	v_add_f32_e32 v133, v133, v188
	v_fma_f32 v102, v123, v168, -v102
	v_add_f32_e32 v133, v133, v189
	s_waitcnt vmcnt(16)
	v_fmac_f32_e32 v190, v128, v170
	s_waitcnt vmcnt(15) lgkmcnt(0)
	v_mul_f32_e32 v134, v129, v171
	v_add_f32_e32 v101, v101, v102
	v_mul_f32_e32 v102, v126, v155
	v_add_f32_e32 v133, v133, v190
	s_waitcnt vmcnt(14)
	v_fmac_f32_e32 v134, v130, v172
	v_fma_f32 v102, v125, v169, -v102
	v_add_f32_e32 v137, v133, v134
	ds_read_b128 v[133:136], v100 offset:752
	v_add_f32_e32 v101, v101, v102
	v_mul_f32_e32 v102, v128, v156
	v_fma_f32 v102, v127, v170, -v102
	v_add_f32_e32 v101, v101, v102
	v_mul_f32_e32 v102, v130, v171
	s_waitcnt vmcnt(13)
	v_mul_f32_e32 v138, v131, v173
	v_fma_f32 v102, v129, v172, -v102
	s_waitcnt vmcnt(12)
	v_fmac_f32_e32 v138, v132, v174
	v_add_f32_e32 v101, v101, v102
	v_mul_f32_e32 v102, v132, v173
	v_add_f32_e32 v141, v137, v138
	ds_read_b128 v[137:140], v100 offset:768
	s_waitcnt vmcnt(11) lgkmcnt(1)
	v_mul_f32_e32 v142, v133, v175
	v_fma_f32 v102, v131, v174, -v102
	s_waitcnt vmcnt(10)
	v_fmac_f32_e32 v142, v134, v176
	v_add_f32_e32 v101, v101, v102
	v_mul_f32_e32 v102, v134, v175
	v_add_f32_e32 v141, v141, v142
	s_waitcnt vmcnt(9)
	v_mul_f32_e32 v142, v135, v177
	v_fma_f32 v102, v133, v176, -v102
	s_waitcnt vmcnt(8)
	v_fmac_f32_e32 v142, v136, v178
	v_add_f32_e32 v101, v101, v102
	v_mul_f32_e32 v102, v136, v177
	v_add_f32_e32 v187, v141, v142
	ds_read_b64 v[141:142], v100 offset:784
	v_fma_f32 v102, v135, v178, -v102
	v_add_f32_e32 v101, v101, v102
	s_waitcnt vmcnt(7) lgkmcnt(1)
	v_mul_f32_e32 v102, v138, v179
	v_mul_f32_e32 v188, v137, v179
	s_waitcnt vmcnt(6)
	v_fma_f32 v102, v137, v180, -v102
	v_fmac_f32_e32 v188, v138, v180
	v_add_f32_e32 v101, v101, v102
	s_waitcnt vmcnt(5)
	v_mul_f32_e32 v102, v140, v181
	v_add_f32_e32 v187, v187, v188
	v_mul_f32_e32 v188, v139, v181
	s_waitcnt vmcnt(4)
	v_fma_f32 v102, v139, v182, -v102
	v_fmac_f32_e32 v188, v140, v182
	v_add_f32_e32 v101, v101, v102
	s_waitcnt vmcnt(3) lgkmcnt(0)
	v_mul_f32_e32 v102, v142, v183
	v_add_f32_e32 v187, v187, v188
	v_mul_f32_e32 v188, v141, v183
	s_waitcnt vmcnt(2)
	v_fma_f32 v102, v141, v184, -v102
	v_fmac_f32_e32 v188, v142, v184
	v_add_f32_e32 v101, v101, v102
	v_add_f32_e32 v187, v187, v188
	s_waitcnt vmcnt(1)
	v_sub_f32_e32 v101, v185, v101
	s_waitcnt vmcnt(0)
	v_sub_f32_e32 v102, v186, v187
	buffer_store_dword v101, off, s[0:3], 0 offset:216
	buffer_store_dword v102, off, s[0:3], 0 offset:220
	s_and_saveexec_b64 s[4:5], vcc
	s_cbranch_execz .LBB48_255
; %bb.254:
	buffer_load_dword v101, off, s[0:3], 0 offset:208
	buffer_load_dword v102, off, s[0:3], 0 offset:212
	s_waitcnt vmcnt(0)
	ds_write_b64 v99, v[101:102]
	buffer_store_dword v100, off, s[0:3], 0 offset:208
	buffer_store_dword v100, off, s[0:3], 0 offset:212
.LBB48_255:
	s_or_b64 exec, exec, s[4:5]
	s_waitcnt lgkmcnt(0)
	; wave barrier
	buffer_load_dword v145, off, s[0:3], 0 offset:220
	buffer_load_dword v146, off, s[0:3], 0 offset:228
	buffer_load_dword v147, off, s[0:3], 0 offset:236
	buffer_load_dword v148, off, s[0:3], 0 offset:244
	buffer_load_dword v149, off, s[0:3], 0 offset:252
	buffer_load_dword v150, off, s[0:3], 0 offset:260
	buffer_load_dword v151, off, s[0:3], 0 offset:268
	buffer_load_dword v152, off, s[0:3], 0 offset:276
	buffer_load_dword v153, off, s[0:3], 0 offset:284
	buffer_load_dword v154, off, s[0:3], 0 offset:292
	buffer_load_dword v155, off, s[0:3], 0 offset:300
	buffer_load_dword v156, off, s[0:3], 0 offset:308
	buffer_load_dword v157, off, s[0:3], 0 offset:316
	buffer_load_dword v158, off, s[0:3], 0 offset:216
	buffer_load_dword v159, off, s[0:3], 0 offset:224
	buffer_load_dword v160, off, s[0:3], 0 offset:232
	buffer_load_dword v161, off, s[0:3], 0 offset:240
	buffer_load_dword v162, off, s[0:3], 0 offset:248
	buffer_load_dword v163, off, s[0:3], 0 offset:256
	buffer_load_dword v164, off, s[0:3], 0 offset:264
	buffer_load_dword v165, off, s[0:3], 0 offset:272
	buffer_load_dword v166, off, s[0:3], 0 offset:280
	buffer_load_dword v167, off, s[0:3], 0 offset:288
	buffer_load_dword v168, off, s[0:3], 0 offset:296
	buffer_load_dword v169, off, s[0:3], 0 offset:304
	buffer_load_dword v170, off, s[0:3], 0 offset:312
	buffer_load_dword v171, off, s[0:3], 0 offset:324
	buffer_load_dword v172, off, s[0:3], 0 offset:320
	buffer_load_dword v173, off, s[0:3], 0 offset:332
	buffer_load_dword v174, off, s[0:3], 0 offset:328
	buffer_load_dword v175, off, s[0:3], 0 offset:340
	buffer_load_dword v176, off, s[0:3], 0 offset:336
	buffer_load_dword v177, off, s[0:3], 0 offset:348
	buffer_load_dword v178, off, s[0:3], 0 offset:344
	buffer_load_dword v179, off, s[0:3], 0 offset:356
	buffer_load_dword v180, off, s[0:3], 0 offset:352
	buffer_load_dword v181, off, s[0:3], 0 offset:364
	buffer_load_dword v182, off, s[0:3], 0 offset:360
	buffer_load_dword v183, off, s[0:3], 0 offset:372
	buffer_load_dword v184, off, s[0:3], 0 offset:368
	buffer_load_dword v185, off, s[0:3], 0 offset:380
	buffer_load_dword v186, off, s[0:3], 0 offset:376
	buffer_load_dword v187, off, s[0:3], 0 offset:388
	buffer_load_dword v188, off, s[0:3], 0 offset:384
	buffer_load_dword v189, off, s[0:3], 0 offset:208
	buffer_load_dword v190, off, s[0:3], 0 offset:212
	ds_read2_b64 v[101:104], v100 offset0:77 offset1:78
	ds_read2_b64 v[105:108], v100 offset0:79 offset1:80
	;; [unrolled: 1-line block ×8, first 2 shown]
	v_cmp_lt_u32_e32 vcc, 25, v0
	s_waitcnt vmcnt(45) lgkmcnt(7)
	v_mul_f32_e32 v133, v101, v145
	s_waitcnt vmcnt(44)
	v_mul_f32_e32 v134, v103, v146
	s_waitcnt vmcnt(43) lgkmcnt(6)
	v_mul_f32_e32 v135, v105, v147
	s_waitcnt vmcnt(42)
	v_mul_f32_e32 v136, v107, v148
	;; [unrolled: 4-line block ×6, first 2 shown]
	s_waitcnt vmcnt(33) lgkmcnt(1)
	v_mul_f32_e32 v191, v125, v157
	s_waitcnt vmcnt(32)
	v_fmac_f32_e32 v133, v102, v158
	v_mul_f32_e32 v102, v102, v145
	v_fma_f32 v101, v101, v158, -v102
	v_mul_f32_e32 v102, v104, v146
	v_add_f32_e32 v101, 0, v101
	s_waitcnt vmcnt(31)
	v_fma_f32 v102, v103, v159, -v102
	v_add_f32_e32 v101, v101, v102
	v_mul_f32_e32 v102, v106, v147
	s_waitcnt vmcnt(30)
	v_fma_f32 v102, v105, v160, -v102
	v_add_f32_e32 v101, v101, v102
	v_mul_f32_e32 v102, v108, v148
	;; [unrolled: 4-line block ×4, first 2 shown]
	v_fmac_f32_e32 v134, v104, v159
	v_add_f32_e32 v133, 0, v133
	s_waitcnt vmcnt(27)
	v_fma_f32 v102, v111, v163, -v102
	v_fmac_f32_e32 v135, v106, v160
	v_add_f32_e32 v133, v133, v134
	v_add_f32_e32 v101, v101, v102
	v_mul_f32_e32 v102, v114, v151
	v_fmac_f32_e32 v136, v108, v161
	v_add_f32_e32 v133, v133, v135
	s_waitcnt vmcnt(26)
	v_fma_f32 v102, v113, v164, -v102
	v_fmac_f32_e32 v137, v110, v162
	v_add_f32_e32 v133, v133, v136
	v_add_f32_e32 v101, v101, v102
	v_mul_f32_e32 v102, v116, v152
	;; [unrolled: 8-line block ×4, first 2 shown]
	s_waitcnt vmcnt(23)
	v_fmac_f32_e32 v142, v120, v167
	v_add_f32_e32 v133, v133, v141
	v_fma_f32 v102, v119, v167, -v102
	s_waitcnt vmcnt(22)
	v_fmac_f32_e32 v143, v122, v168
	v_add_f32_e32 v133, v133, v142
	v_add_f32_e32 v101, v101, v102
	v_mul_f32_e32 v102, v122, v155
	s_waitcnt vmcnt(21)
	v_fmac_f32_e32 v144, v124, v169
	v_add_f32_e32 v133, v133, v143
	v_fma_f32 v102, v121, v168, -v102
	s_waitcnt vmcnt(20)
	v_fmac_f32_e32 v191, v126, v170
	v_add_f32_e32 v133, v133, v144
	s_waitcnt vmcnt(19)
	v_mul_f32_e32 v134, v127, v171
	v_add_f32_e32 v101, v101, v102
	v_mul_f32_e32 v102, v124, v156
	v_add_f32_e32 v133, v133, v191
	s_waitcnt vmcnt(18)
	v_fmac_f32_e32 v134, v128, v172
	v_fma_f32 v102, v123, v169, -v102
	v_add_f32_e32 v133, v133, v134
	s_waitcnt vmcnt(17) lgkmcnt(0)
	v_mul_f32_e32 v134, v129, v173
	v_add_f32_e32 v101, v101, v102
	v_mul_f32_e32 v102, v126, v157
	s_waitcnt vmcnt(16)
	v_fmac_f32_e32 v134, v130, v174
	v_fma_f32 v102, v125, v170, -v102
	v_add_f32_e32 v137, v133, v134
	ds_read2_b64 v[133:136], v100 offset0:93 offset1:94
	v_add_f32_e32 v101, v101, v102
	v_mul_f32_e32 v102, v128, v171
	v_fma_f32 v102, v127, v172, -v102
	v_add_f32_e32 v101, v101, v102
	v_mul_f32_e32 v102, v130, v173
	s_waitcnt vmcnt(15)
	v_mul_f32_e32 v138, v131, v175
	v_fma_f32 v102, v129, v174, -v102
	s_waitcnt vmcnt(14)
	v_fmac_f32_e32 v138, v132, v176
	v_add_f32_e32 v101, v101, v102
	v_mul_f32_e32 v102, v132, v175
	v_add_f32_e32 v141, v137, v138
	ds_read2_b64 v[137:140], v100 offset0:95 offset1:96
	s_waitcnt vmcnt(13) lgkmcnt(1)
	v_mul_f32_e32 v142, v133, v177
	v_fma_f32 v102, v131, v176, -v102
	s_waitcnt vmcnt(12)
	v_fmac_f32_e32 v142, v134, v178
	v_add_f32_e32 v101, v101, v102
	v_mul_f32_e32 v102, v134, v177
	v_add_f32_e32 v141, v141, v142
	s_waitcnt vmcnt(11)
	v_mul_f32_e32 v142, v135, v179
	v_fma_f32 v102, v133, v178, -v102
	s_waitcnt vmcnt(10)
	v_fmac_f32_e32 v142, v136, v180
	v_add_f32_e32 v101, v101, v102
	v_mul_f32_e32 v102, v136, v179
	v_add_f32_e32 v191, v141, v142
	ds_read2_b64 v[141:144], v100 offset0:97 offset1:98
	v_fma_f32 v102, v135, v180, -v102
	v_add_f32_e32 v101, v101, v102
	s_waitcnt vmcnt(9) lgkmcnt(1)
	v_mul_f32_e32 v102, v138, v181
	v_mul_f32_e32 v192, v137, v181
	s_waitcnt vmcnt(8)
	v_fma_f32 v102, v137, v182, -v102
	v_fmac_f32_e32 v192, v138, v182
	v_add_f32_e32 v101, v101, v102
	s_waitcnt vmcnt(7)
	v_mul_f32_e32 v102, v140, v183
	v_add_f32_e32 v100, v191, v192
	v_mul_f32_e32 v191, v139, v183
	s_waitcnt vmcnt(6)
	v_fma_f32 v102, v139, v184, -v102
	v_fmac_f32_e32 v191, v140, v184
	v_add_f32_e32 v101, v101, v102
	s_waitcnt vmcnt(5) lgkmcnt(0)
	v_mul_f32_e32 v102, v142, v185
	v_add_f32_e32 v100, v100, v191
	v_mul_f32_e32 v191, v141, v185
	s_waitcnt vmcnt(4)
	v_fma_f32 v102, v141, v186, -v102
	v_fmac_f32_e32 v191, v142, v186
	v_add_f32_e32 v101, v101, v102
	s_waitcnt vmcnt(3)
	v_mul_f32_e32 v102, v144, v187
	v_add_f32_e32 v100, v100, v191
	v_mul_f32_e32 v191, v143, v187
	s_waitcnt vmcnt(2)
	v_fma_f32 v102, v143, v188, -v102
	v_fmac_f32_e32 v191, v144, v188
	v_add_f32_e32 v101, v101, v102
	v_add_f32_e32 v100, v100, v191
	s_waitcnt vmcnt(1)
	v_sub_f32_e32 v101, v189, v101
	s_waitcnt vmcnt(0)
	v_sub_f32_e32 v100, v190, v100
	buffer_store_dword v101, off, s[0:3], 0 offset:208
	buffer_store_dword v100, off, s[0:3], 0 offset:212
	s_and_saveexec_b64 s[4:5], vcc
	s_cbranch_execz .LBB48_257
; %bb.256:
	buffer_load_dword v100, off, s[0:3], 0 offset:200
	buffer_load_dword v101, off, s[0:3], 0 offset:204
	v_mov_b32_e32 v102, 0
	buffer_store_dword v102, off, s[0:3], 0 offset:200
	buffer_store_dword v102, off, s[0:3], 0 offset:204
	s_waitcnt vmcnt(2)
	ds_write_b64 v99, v[100:101]
.LBB48_257:
	s_or_b64 exec, exec, s[4:5]
	s_waitcnt lgkmcnt(0)
	; wave barrier
	buffer_load_dword v147, off, s[0:3], 0 offset:212
	buffer_load_dword v148, off, s[0:3], 0 offset:220
	;; [unrolled: 1-line block ×48, first 2 shown]
	v_mov_b32_e32 v100, 0
	ds_read_b128 v[101:104], v100 offset:608
	ds_read_b128 v[105:108], v100 offset:624
	;; [unrolled: 1-line block ×7, first 2 shown]
	v_cmp_lt_u32_e32 vcc, 24, v0
	s_waitcnt vmcnt(47) lgkmcnt(6)
	v_mul_f32_e32 v129, v101, v147
	s_waitcnt vmcnt(46)
	v_mul_f32_e32 v130, v103, v148
	s_waitcnt vmcnt(45) lgkmcnt(5)
	v_mul_f32_e32 v131, v105, v149
	s_waitcnt vmcnt(44)
	v_mul_f32_e32 v132, v107, v150
	;; [unrolled: 4-line block ×6, first 2 shown]
	s_waitcnt vmcnt(35)
	v_fmac_f32_e32 v129, v102, v159
	v_mul_f32_e32 v102, v102, v147
	v_fma_f32 v101, v101, v159, -v102
	v_mul_f32_e32 v102, v104, v148
	v_add_f32_e32 v101, 0, v101
	s_waitcnt vmcnt(34)
	v_fma_f32 v102, v103, v160, -v102
	v_add_f32_e32 v101, v101, v102
	v_mul_f32_e32 v102, v106, v149
	s_waitcnt vmcnt(33)
	v_fma_f32 v102, v105, v161, -v102
	v_fmac_f32_e32 v130, v104, v160
	v_add_f32_e32 v129, 0, v129
	v_add_f32_e32 v101, v101, v102
	v_mul_f32_e32 v102, v108, v150
	v_fmac_f32_e32 v131, v106, v161
	v_add_f32_e32 v129, v129, v130
	s_waitcnt vmcnt(32)
	v_fma_f32 v102, v107, v162, -v102
	v_fmac_f32_e32 v132, v108, v162
	v_add_f32_e32 v129, v129, v131
	v_add_f32_e32 v101, v101, v102
	v_mul_f32_e32 v102, v110, v151
	s_waitcnt vmcnt(31)
	v_fmac_f32_e32 v133, v110, v163
	v_add_f32_e32 v129, v129, v132
	v_fma_f32 v102, v109, v163, -v102
	s_waitcnt vmcnt(30)
	v_fmac_f32_e32 v134, v112, v164
	v_add_f32_e32 v129, v129, v133
	v_add_f32_e32 v101, v101, v102
	v_mul_f32_e32 v102, v112, v152
	s_waitcnt vmcnt(29)
	v_fmac_f32_e32 v135, v114, v165
	v_add_f32_e32 v129, v129, v134
	v_fma_f32 v102, v111, v164, -v102
	s_waitcnt vmcnt(28)
	v_fmac_f32_e32 v136, v116, v166
	v_add_f32_e32 v129, v129, v135
	v_add_f32_e32 v101, v101, v102
	v_mul_f32_e32 v102, v114, v153
	s_waitcnt vmcnt(27)
	v_fmac_f32_e32 v137, v118, v167
	v_add_f32_e32 v129, v129, v136
	v_fma_f32 v102, v113, v165, -v102
	s_waitcnt vmcnt(26)
	v_fmac_f32_e32 v138, v120, v168
	v_add_f32_e32 v129, v129, v137
	v_add_f32_e32 v101, v101, v102
	v_mul_f32_e32 v102, v116, v154
	s_waitcnt vmcnt(25)
	v_fmac_f32_e32 v139, v122, v169
	v_add_f32_e32 v129, v129, v138
	v_fma_f32 v102, v115, v166, -v102
	s_waitcnt vmcnt(24)
	v_fmac_f32_e32 v140, v124, v170
	v_add_f32_e32 v129, v129, v139
	v_add_f32_e32 v101, v101, v102
	v_mul_f32_e32 v102, v118, v155
	v_add_f32_e32 v133, v129, v140
	ds_read_b128 v[129:132], v100 offset:720
	v_fma_f32 v102, v117, v167, -v102
	s_waitcnt vmcnt(23) lgkmcnt(1)
	v_mul_f32_e32 v134, v125, v171
	v_add_f32_e32 v101, v101, v102
	v_mul_f32_e32 v102, v120, v156
	s_waitcnt vmcnt(22)
	v_fmac_f32_e32 v134, v126, v172
	v_fma_f32 v102, v119, v168, -v102
	v_add_f32_e32 v133, v133, v134
	s_waitcnt vmcnt(21)
	v_mul_f32_e32 v134, v127, v173
	v_add_f32_e32 v101, v101, v102
	v_mul_f32_e32 v102, v122, v157
	s_waitcnt vmcnt(20)
	v_fmac_f32_e32 v134, v128, v174
	v_fma_f32 v102, v121, v169, -v102
	v_add_f32_e32 v133, v133, v134
	s_waitcnt vmcnt(19) lgkmcnt(0)
	v_mul_f32_e32 v134, v129, v175
	v_add_f32_e32 v101, v101, v102
	v_mul_f32_e32 v102, v124, v158
	s_waitcnt vmcnt(18)
	v_fmac_f32_e32 v134, v130, v176
	v_fma_f32 v102, v123, v170, -v102
	v_add_f32_e32 v137, v133, v134
	ds_read_b128 v[133:136], v100 offset:736
	v_add_f32_e32 v101, v101, v102
	v_mul_f32_e32 v102, v126, v171
	v_fma_f32 v102, v125, v172, -v102
	s_waitcnt vmcnt(17)
	v_mul_f32_e32 v138, v131, v177
	v_add_f32_e32 v101, v101, v102
	v_mul_f32_e32 v102, v128, v173
	s_waitcnt vmcnt(16)
	v_fmac_f32_e32 v138, v132, v178
	v_fma_f32 v102, v127, v174, -v102
	v_add_f32_e32 v141, v137, v138
	ds_read_b128 v[137:140], v100 offset:752
	v_add_f32_e32 v101, v101, v102
	v_mul_f32_e32 v102, v130, v175
	s_waitcnt vmcnt(15) lgkmcnt(1)
	v_mul_f32_e32 v142, v133, v179
	v_fma_f32 v102, v129, v176, -v102
	s_waitcnt vmcnt(14)
	v_fmac_f32_e32 v142, v134, v180
	v_add_f32_e32 v101, v101, v102
	v_mul_f32_e32 v102, v132, v177
	v_add_f32_e32 v141, v141, v142
	s_waitcnt vmcnt(13)
	v_mul_f32_e32 v142, v135, v181
	v_fma_f32 v102, v131, v178, -v102
	s_waitcnt vmcnt(12)
	v_fmac_f32_e32 v142, v136, v182
	v_add_f32_e32 v101, v101, v102
	v_mul_f32_e32 v102, v134, v179
	v_add_f32_e32 v141, v141, v142
	s_waitcnt vmcnt(11) lgkmcnt(0)
	v_mul_f32_e32 v142, v137, v183
	v_fma_f32 v102, v133, v180, -v102
	s_waitcnt vmcnt(10)
	v_fmac_f32_e32 v142, v138, v184
	v_add_f32_e32 v101, v101, v102
	v_mul_f32_e32 v102, v136, v181
	v_add_f32_e32 v145, v141, v142
	ds_read_b128 v[141:144], v100 offset:768
	v_fma_f32 v102, v135, v182, -v102
	v_add_f32_e32 v101, v101, v102
	v_mul_f32_e32 v102, v138, v183
	s_waitcnt vmcnt(9)
	v_mul_f32_e32 v146, v139, v185
	v_fma_f32 v102, v137, v184, -v102
	s_waitcnt vmcnt(8)
	v_fmac_f32_e32 v146, v140, v186
	v_add_f32_e32 v101, v101, v102
	v_mul_f32_e32 v102, v140, v185
	v_add_f32_e32 v195, v145, v146
	ds_read_b64 v[145:146], v100 offset:784
	v_fma_f32 v102, v139, v186, -v102
	v_add_f32_e32 v101, v101, v102
	s_waitcnt vmcnt(6) lgkmcnt(1)
	v_mul_f32_e32 v102, v142, v188
	v_mul_f32_e32 v196, v141, v188
	v_fma_f32 v102, v141, v187, -v102
	v_fmac_f32_e32 v196, v142, v187
	v_add_f32_e32 v101, v101, v102
	s_waitcnt vmcnt(3)
	v_mul_f32_e32 v102, v144, v191
	v_add_f32_e32 v195, v195, v196
	v_mul_f32_e32 v196, v143, v191
	s_waitcnt vmcnt(2)
	v_fma_f32 v102, v143, v192, -v102
	v_fmac_f32_e32 v196, v144, v192
	v_add_f32_e32 v101, v101, v102
	s_waitcnt vmcnt(0) lgkmcnt(0)
	v_mul_f32_e32 v102, v146, v194
	v_add_f32_e32 v195, v195, v196
	v_mul_f32_e32 v196, v145, v194
	v_fma_f32 v102, v145, v193, -v102
	v_fmac_f32_e32 v196, v146, v193
	v_add_f32_e32 v101, v101, v102
	v_add_f32_e32 v195, v195, v196
	v_sub_f32_e32 v101, v189, v101
	v_sub_f32_e32 v102, v190, v195
	buffer_store_dword v101, off, s[0:3], 0 offset:200
	buffer_store_dword v102, off, s[0:3], 0 offset:204
	s_and_saveexec_b64 s[4:5], vcc
	s_cbranch_execz .LBB48_259
; %bb.258:
	buffer_load_dword v101, off, s[0:3], 0 offset:192
	buffer_load_dword v102, off, s[0:3], 0 offset:196
	s_waitcnt vmcnt(0)
	ds_write_b64 v99, v[101:102]
	buffer_store_dword v100, off, s[0:3], 0 offset:192
	buffer_store_dword v100, off, s[0:3], 0 offset:196
.LBB48_259:
	s_or_b64 exec, exec, s[4:5]
	s_waitcnt lgkmcnt(0)
	; wave barrier
	buffer_load_dword v149, off, s[0:3], 0 offset:204
	buffer_load_dword v150, off, s[0:3], 0 offset:212
	buffer_load_dword v151, off, s[0:3], 0 offset:220
	buffer_load_dword v152, off, s[0:3], 0 offset:228
	buffer_load_dword v153, off, s[0:3], 0 offset:236
	buffer_load_dword v154, off, s[0:3], 0 offset:244
	buffer_load_dword v155, off, s[0:3], 0 offset:252
	buffer_load_dword v156, off, s[0:3], 0 offset:260
	buffer_load_dword v157, off, s[0:3], 0 offset:268
	buffer_load_dword v158, off, s[0:3], 0 offset:276
	buffer_load_dword v159, off, s[0:3], 0 offset:284
	buffer_load_dword v160, off, s[0:3], 0 offset:292
	buffer_load_dword v161, off, s[0:3], 0 offset:200
	buffer_load_dword v162, off, s[0:3], 0 offset:208
	buffer_load_dword v163, off, s[0:3], 0 offset:216
	buffer_load_dword v164, off, s[0:3], 0 offset:224
	buffer_load_dword v165, off, s[0:3], 0 offset:232
	buffer_load_dword v166, off, s[0:3], 0 offset:240
	buffer_load_dword v167, off, s[0:3], 0 offset:248
	buffer_load_dword v168, off, s[0:3], 0 offset:256
	buffer_load_dword v169, off, s[0:3], 0 offset:264
	buffer_load_dword v170, off, s[0:3], 0 offset:272
	buffer_load_dword v171, off, s[0:3], 0 offset:280
	buffer_load_dword v172, off, s[0:3], 0 offset:288
	buffer_load_dword v173, off, s[0:3], 0 offset:300
	buffer_load_dword v174, off, s[0:3], 0 offset:296
	buffer_load_dword v175, off, s[0:3], 0 offset:308
	buffer_load_dword v176, off, s[0:3], 0 offset:304
	buffer_load_dword v177, off, s[0:3], 0 offset:316
	buffer_load_dword v178, off, s[0:3], 0 offset:312
	buffer_load_dword v179, off, s[0:3], 0 offset:324
	buffer_load_dword v180, off, s[0:3], 0 offset:320
	buffer_load_dword v181, off, s[0:3], 0 offset:332
	buffer_load_dword v182, off, s[0:3], 0 offset:328
	buffer_load_dword v183, off, s[0:3], 0 offset:340
	buffer_load_dword v184, off, s[0:3], 0 offset:336
	buffer_load_dword v185, off, s[0:3], 0 offset:348
	buffer_load_dword v186, off, s[0:3], 0 offset:344
	buffer_load_dword v187, off, s[0:3], 0 offset:356
	buffer_load_dword v188, off, s[0:3], 0 offset:352
	buffer_load_dword v189, off, s[0:3], 0 offset:192
	buffer_load_dword v190, off, s[0:3], 0 offset:196
	buffer_load_dword v191, off, s[0:3], 0 offset:364
	buffer_load_dword v192, off, s[0:3], 0 offset:360
	buffer_load_dword v193, off, s[0:3], 0 offset:368
	buffer_load_dword v194, off, s[0:3], 0 offset:372
	buffer_load_dword v195, off, s[0:3], 0 offset:376
	buffer_load_dword v196, off, s[0:3], 0 offset:380
	ds_read2_b64 v[101:104], v100 offset0:75 offset1:76
	ds_read2_b64 v[105:108], v100 offset0:77 offset1:78
	buffer_load_dword v197, off, s[0:3], 0 offset:384
	buffer_load_dword v198, off, s[0:3], 0 offset:388
	ds_read2_b64 v[109:112], v100 offset0:79 offset1:80
	ds_read2_b64 v[113:116], v100 offset0:81 offset1:82
	;; [unrolled: 1-line block ×5, first 2 shown]
	v_cmp_lt_u32_e32 vcc, 23, v0
	s_waitcnt vmcnt(49) lgkmcnt(6)
	v_mul_f32_e32 v129, v101, v149
	s_waitcnt vmcnt(48)
	v_mul_f32_e32 v130, v103, v150
	s_waitcnt vmcnt(47) lgkmcnt(5)
	v_mul_f32_e32 v131, v105, v151
	s_waitcnt vmcnt(46)
	v_mul_f32_e32 v132, v107, v152
	;; [unrolled: 4-line block ×6, first 2 shown]
	s_waitcnt vmcnt(37)
	v_fmac_f32_e32 v129, v102, v161
	v_mul_f32_e32 v102, v102, v149
	v_fma_f32 v101, v101, v161, -v102
	v_mul_f32_e32 v102, v104, v150
	v_add_f32_e32 v101, 0, v101
	s_waitcnt vmcnt(36)
	v_fma_f32 v102, v103, v162, -v102
	v_add_f32_e32 v101, v101, v102
	v_mul_f32_e32 v102, v106, v151
	s_waitcnt vmcnt(35)
	v_fma_f32 v102, v105, v163, -v102
	v_fmac_f32_e32 v130, v104, v162
	v_add_f32_e32 v129, 0, v129
	v_add_f32_e32 v101, v101, v102
	v_mul_f32_e32 v102, v108, v152
	v_fmac_f32_e32 v131, v106, v163
	v_add_f32_e32 v129, v129, v130
	s_waitcnt vmcnt(34)
	v_fma_f32 v102, v107, v164, -v102
	v_fmac_f32_e32 v132, v108, v164
	v_add_f32_e32 v129, v129, v131
	v_add_f32_e32 v101, v101, v102
	v_mul_f32_e32 v102, v110, v153
	s_waitcnt vmcnt(33)
	v_fmac_f32_e32 v133, v110, v165
	v_add_f32_e32 v129, v129, v132
	v_fma_f32 v102, v109, v165, -v102
	s_waitcnt vmcnt(32)
	v_fmac_f32_e32 v134, v112, v166
	v_add_f32_e32 v129, v129, v133
	v_add_f32_e32 v101, v101, v102
	v_mul_f32_e32 v102, v112, v154
	s_waitcnt vmcnt(31)
	v_fmac_f32_e32 v135, v114, v167
	v_add_f32_e32 v129, v129, v134
	v_fma_f32 v102, v111, v166, -v102
	s_waitcnt vmcnt(30)
	;; [unrolled: 9-line block ×3, first 2 shown]
	v_fmac_f32_e32 v138, v120, v170
	v_add_f32_e32 v129, v129, v137
	v_add_f32_e32 v101, v101, v102
	v_mul_f32_e32 v102, v116, v156
	s_waitcnt vmcnt(27)
	v_fmac_f32_e32 v139, v122, v171
	v_add_f32_e32 v129, v129, v138
	v_fma_f32 v102, v115, v168, -v102
	v_add_f32_e32 v129, v129, v139
	s_waitcnt vmcnt(26)
	v_fmac_f32_e32 v140, v124, v172
	v_add_f32_e32 v101, v101, v102
	v_mul_f32_e32 v102, v118, v157
	v_add_f32_e32 v133, v129, v140
	ds_read2_b64 v[129:132], v100 offset0:89 offset1:90
	v_fma_f32 v102, v117, v169, -v102
	s_waitcnt vmcnt(25) lgkmcnt(1)
	v_mul_f32_e32 v134, v125, v173
	v_add_f32_e32 v101, v101, v102
	v_mul_f32_e32 v102, v120, v158
	s_waitcnt vmcnt(24)
	v_fmac_f32_e32 v134, v126, v174
	v_fma_f32 v102, v119, v170, -v102
	v_add_f32_e32 v133, v133, v134
	s_waitcnt vmcnt(23)
	v_mul_f32_e32 v134, v127, v175
	v_add_f32_e32 v101, v101, v102
	v_mul_f32_e32 v102, v122, v159
	s_waitcnt vmcnt(22)
	v_fmac_f32_e32 v134, v128, v176
	v_fma_f32 v102, v121, v171, -v102
	v_add_f32_e32 v133, v133, v134
	s_waitcnt vmcnt(21) lgkmcnt(0)
	v_mul_f32_e32 v134, v129, v177
	v_add_f32_e32 v101, v101, v102
	v_mul_f32_e32 v102, v124, v160
	s_waitcnt vmcnt(20)
	v_fmac_f32_e32 v134, v130, v178
	v_fma_f32 v102, v123, v172, -v102
	v_add_f32_e32 v137, v133, v134
	ds_read2_b64 v[133:136], v100 offset0:91 offset1:92
	v_add_f32_e32 v101, v101, v102
	v_mul_f32_e32 v102, v126, v173
	v_fma_f32 v102, v125, v174, -v102
	s_waitcnt vmcnt(19)
	v_mul_f32_e32 v138, v131, v179
	v_add_f32_e32 v101, v101, v102
	v_mul_f32_e32 v102, v128, v175
	s_waitcnt vmcnt(18)
	v_fmac_f32_e32 v138, v132, v180
	v_fma_f32 v102, v127, v176, -v102
	v_add_f32_e32 v141, v137, v138
	ds_read2_b64 v[137:140], v100 offset0:93 offset1:94
	v_add_f32_e32 v101, v101, v102
	v_mul_f32_e32 v102, v130, v177
	s_waitcnt vmcnt(17) lgkmcnt(1)
	v_mul_f32_e32 v142, v133, v181
	v_fma_f32 v102, v129, v178, -v102
	s_waitcnt vmcnt(16)
	v_fmac_f32_e32 v142, v134, v182
	v_add_f32_e32 v101, v101, v102
	v_mul_f32_e32 v102, v132, v179
	v_add_f32_e32 v141, v141, v142
	s_waitcnt vmcnt(15)
	v_mul_f32_e32 v142, v135, v183
	v_fma_f32 v102, v131, v180, -v102
	s_waitcnt vmcnt(14)
	v_fmac_f32_e32 v142, v136, v184
	v_add_f32_e32 v101, v101, v102
	v_mul_f32_e32 v102, v134, v181
	v_add_f32_e32 v141, v141, v142
	s_waitcnt vmcnt(13) lgkmcnt(0)
	v_mul_f32_e32 v142, v137, v185
	v_fma_f32 v102, v133, v182, -v102
	s_waitcnt vmcnt(12)
	v_fmac_f32_e32 v142, v138, v186
	v_add_f32_e32 v101, v101, v102
	v_mul_f32_e32 v102, v136, v183
	v_add_f32_e32 v145, v141, v142
	ds_read2_b64 v[141:144], v100 offset0:95 offset1:96
	v_fma_f32 v102, v135, v184, -v102
	v_add_f32_e32 v101, v101, v102
	v_mul_f32_e32 v102, v138, v185
	s_waitcnt vmcnt(11)
	v_mul_f32_e32 v146, v139, v187
	v_fma_f32 v102, v137, v186, -v102
	s_waitcnt vmcnt(10)
	v_fmac_f32_e32 v146, v140, v188
	v_add_f32_e32 v101, v101, v102
	v_mul_f32_e32 v102, v140, v187
	v_add_f32_e32 v199, v145, v146
	ds_read2_b64 v[145:148], v100 offset0:97 offset1:98
	v_fma_f32 v102, v139, v188, -v102
	v_add_f32_e32 v101, v101, v102
	s_waitcnt vmcnt(7) lgkmcnt(1)
	v_mul_f32_e32 v102, v142, v191
	v_mul_f32_e32 v100, v141, v191
	s_waitcnt vmcnt(6)
	v_fma_f32 v102, v141, v192, -v102
	v_fmac_f32_e32 v100, v142, v192
	v_add_f32_e32 v101, v101, v102
	s_waitcnt vmcnt(4)
	v_mul_f32_e32 v102, v144, v194
	v_add_f32_e32 v100, v199, v100
	v_mul_f32_e32 v199, v143, v194
	v_fma_f32 v102, v143, v193, -v102
	v_fmac_f32_e32 v199, v144, v193
	v_add_f32_e32 v101, v101, v102
	s_waitcnt vmcnt(2) lgkmcnt(0)
	v_mul_f32_e32 v102, v146, v196
	v_add_f32_e32 v100, v100, v199
	v_mul_f32_e32 v199, v145, v196
	v_fma_f32 v102, v145, v195, -v102
	v_fmac_f32_e32 v199, v146, v195
	v_add_f32_e32 v101, v101, v102
	s_waitcnt vmcnt(0)
	v_mul_f32_e32 v102, v148, v198
	v_add_f32_e32 v100, v100, v199
	v_mul_f32_e32 v199, v147, v198
	v_fma_f32 v102, v147, v197, -v102
	v_fmac_f32_e32 v199, v148, v197
	v_add_f32_e32 v101, v101, v102
	v_add_f32_e32 v100, v100, v199
	v_sub_f32_e32 v101, v189, v101
	v_sub_f32_e32 v100, v190, v100
	buffer_store_dword v101, off, s[0:3], 0 offset:192
	buffer_store_dword v100, off, s[0:3], 0 offset:196
	s_and_saveexec_b64 s[4:5], vcc
	s_cbranch_execz .LBB48_261
; %bb.260:
	buffer_load_dword v100, off, s[0:3], 0 offset:184
	buffer_load_dword v101, off, s[0:3], 0 offset:188
	v_mov_b32_e32 v102, 0
	buffer_store_dword v102, off, s[0:3], 0 offset:184
	buffer_store_dword v102, off, s[0:3], 0 offset:188
	s_waitcnt vmcnt(2)
	ds_write_b64 v99, v[100:101]
.LBB48_261:
	s_or_b64 exec, exec, s[4:5]
	s_waitcnt lgkmcnt(0)
	; wave barrier
	buffer_load_dword v151, off, s[0:3], 0 offset:196
	buffer_load_dword v152, off, s[0:3], 0 offset:204
	;; [unrolled: 1-line block ×52, first 2 shown]
	v_mov_b32_e32 v100, 0
	ds_read_b128 v[101:104], v100 offset:592
	ds_read_b128 v[105:108], v100 offset:608
	;; [unrolled: 1-line block ×6, first 2 shown]
	v_cmp_lt_u32_e32 vcc, 22, v0
	s_waitcnt vmcnt(51) lgkmcnt(5)
	v_mul_f32_e32 v125, v101, v151
	s_waitcnt vmcnt(50)
	v_mul_f32_e32 v126, v103, v152
	s_waitcnt vmcnt(49) lgkmcnt(4)
	v_mul_f32_e32 v127, v105, v153
	s_waitcnt vmcnt(48)
	v_mul_f32_e32 v128, v107, v154
	;; [unrolled: 4-line block ×5, first 2 shown]
	s_waitcnt vmcnt(41) lgkmcnt(0)
	v_mul_f32_e32 v135, v121, v161
	s_waitcnt vmcnt(40)
	v_fmac_f32_e32 v125, v102, v162
	v_mul_f32_e32 v102, v102, v151
	s_waitcnt vmcnt(39)
	v_fmac_f32_e32 v126, v104, v163
	v_add_f32_e32 v125, 0, v125
	v_fma_f32 v101, v101, v162, -v102
	v_mul_f32_e32 v102, v104, v152
	s_waitcnt vmcnt(38)
	v_fmac_f32_e32 v127, v106, v164
	v_add_f32_e32 v125, v125, v126
	v_add_f32_e32 v101, 0, v101
	v_fma_f32 v102, v103, v163, -v102
	s_waitcnt vmcnt(37)
	v_fmac_f32_e32 v128, v108, v165
	v_add_f32_e32 v125, v125, v127
	v_add_f32_e32 v101, v101, v102
	v_mul_f32_e32 v102, v106, v153
	s_waitcnt vmcnt(36)
	v_fmac_f32_e32 v129, v110, v166
	v_add_f32_e32 v125, v125, v128
	v_fma_f32 v102, v105, v164, -v102
	s_waitcnt vmcnt(35)
	v_fmac_f32_e32 v130, v112, v167
	v_add_f32_e32 v125, v125, v129
	v_add_f32_e32 v101, v101, v102
	v_mul_f32_e32 v102, v108, v154
	s_waitcnt vmcnt(34)
	v_fmac_f32_e32 v131, v114, v168
	;; [unrolled: 9-line block ×3, first 2 shown]
	v_add_f32_e32 v125, v125, v132
	v_fma_f32 v102, v109, v166, -v102
	s_waitcnt vmcnt(31)
	v_fmac_f32_e32 v134, v120, v171
	v_add_f32_e32 v125, v125, v133
	v_add_f32_e32 v101, v101, v102
	v_mul_f32_e32 v102, v112, v156
	v_add_f32_e32 v125, v125, v134
	s_waitcnt vmcnt(30)
	v_fmac_f32_e32 v135, v122, v172
	v_fma_f32 v102, v111, v167, -v102
	v_add_f32_e32 v129, v125, v135
	ds_read_b128 v[125:128], v100 offset:688
	v_add_f32_e32 v101, v101, v102
	v_mul_f32_e32 v102, v114, v157
	v_fma_f32 v102, v113, v168, -v102
	s_waitcnt vmcnt(29)
	v_mul_f32_e32 v130, v123, v173
	v_add_f32_e32 v101, v101, v102
	v_mul_f32_e32 v102, v116, v158
	s_waitcnt vmcnt(28)
	v_fmac_f32_e32 v130, v124, v174
	v_fma_f32 v102, v115, v169, -v102
	v_add_f32_e32 v133, v129, v130
	ds_read_b128 v[129:132], v100 offset:704
	v_add_f32_e32 v101, v101, v102
	v_mul_f32_e32 v102, v118, v159
	s_waitcnt vmcnt(27) lgkmcnt(1)
	v_mul_f32_e32 v134, v125, v175
	v_fma_f32 v102, v117, v170, -v102
	s_waitcnt vmcnt(26)
	v_fmac_f32_e32 v134, v126, v176
	v_add_f32_e32 v101, v101, v102
	v_mul_f32_e32 v102, v120, v160
	v_add_f32_e32 v133, v133, v134
	s_waitcnt vmcnt(25)
	v_mul_f32_e32 v134, v127, v177
	v_fma_f32 v102, v119, v171, -v102
	s_waitcnt vmcnt(24)
	v_fmac_f32_e32 v134, v128, v178
	v_add_f32_e32 v101, v101, v102
	v_mul_f32_e32 v102, v122, v161
	v_add_f32_e32 v133, v133, v134
	s_waitcnt vmcnt(23) lgkmcnt(0)
	v_mul_f32_e32 v134, v129, v179
	v_fma_f32 v102, v121, v172, -v102
	s_waitcnt vmcnt(22)
	v_fmac_f32_e32 v134, v130, v180
	v_add_f32_e32 v101, v101, v102
	v_mul_f32_e32 v102, v124, v173
	v_add_f32_e32 v137, v133, v134
	ds_read_b128 v[133:136], v100 offset:720
	v_fma_f32 v102, v123, v174, -v102
	v_add_f32_e32 v101, v101, v102
	v_mul_f32_e32 v102, v126, v175
	s_waitcnt vmcnt(21)
	v_mul_f32_e32 v138, v131, v181
	v_fma_f32 v102, v125, v176, -v102
	s_waitcnt vmcnt(20)
	v_fmac_f32_e32 v138, v132, v182
	v_add_f32_e32 v101, v101, v102
	v_mul_f32_e32 v102, v128, v177
	v_add_f32_e32 v141, v137, v138
	ds_read_b128 v[137:140], v100 offset:736
	v_fma_f32 v102, v127, v178, -v102
	s_waitcnt vmcnt(19) lgkmcnt(1)
	v_mul_f32_e32 v142, v133, v183
	v_add_f32_e32 v101, v101, v102
	v_mul_f32_e32 v102, v130, v179
	s_waitcnt vmcnt(18)
	v_fmac_f32_e32 v142, v134, v184
	v_fma_f32 v102, v129, v180, -v102
	v_add_f32_e32 v141, v141, v142
	s_waitcnt vmcnt(17)
	v_mul_f32_e32 v142, v135, v185
	v_add_f32_e32 v101, v101, v102
	v_mul_f32_e32 v102, v132, v181
	s_waitcnt vmcnt(16)
	v_fmac_f32_e32 v142, v136, v186
	v_fma_f32 v102, v131, v182, -v102
	v_add_f32_e32 v141, v141, v142
	s_waitcnt vmcnt(14) lgkmcnt(0)
	v_mul_f32_e32 v142, v137, v188
	v_add_f32_e32 v101, v101, v102
	v_mul_f32_e32 v102, v134, v183
	v_fmac_f32_e32 v142, v138, v187
	v_fma_f32 v102, v133, v184, -v102
	v_add_f32_e32 v145, v141, v142
	ds_read_b128 v[141:144], v100 offset:752
	v_add_f32_e32 v101, v101, v102
	v_mul_f32_e32 v102, v136, v185
	v_fma_f32 v102, v135, v186, -v102
	v_add_f32_e32 v101, v101, v102
	v_mul_f32_e32 v102, v138, v188
	s_waitcnt vmcnt(11)
	v_mul_f32_e32 v146, v139, v191
	v_fma_f32 v102, v137, v187, -v102
	s_waitcnt vmcnt(10)
	v_fmac_f32_e32 v146, v140, v192
	v_add_f32_e32 v101, v101, v102
	v_mul_f32_e32 v102, v140, v191
	v_add_f32_e32 v149, v145, v146
	ds_read_b128 v[145:148], v100 offset:768
	s_waitcnt vmcnt(8) lgkmcnt(1)
	v_mul_f32_e32 v150, v141, v194
	v_fma_f32 v102, v139, v192, -v102
	v_fmac_f32_e32 v150, v142, v193
	v_add_f32_e32 v101, v101, v102
	v_mul_f32_e32 v102, v142, v194
	v_add_f32_e32 v149, v149, v150
	s_waitcnt vmcnt(6)
	v_mul_f32_e32 v150, v143, v196
	v_fma_f32 v102, v141, v193, -v102
	v_fmac_f32_e32 v150, v144, v195
	v_add_f32_e32 v101, v101, v102
	v_mul_f32_e32 v102, v144, v196
	v_add_f32_e32 v203, v149, v150
	ds_read_b64 v[149:150], v100 offset:784
	v_fma_f32 v102, v143, v195, -v102
	v_add_f32_e32 v101, v101, v102
	s_waitcnt vmcnt(4) lgkmcnt(1)
	v_mul_f32_e32 v102, v146, v198
	v_mul_f32_e32 v204, v145, v198
	v_fma_f32 v102, v145, v197, -v102
	v_fmac_f32_e32 v204, v146, v197
	v_add_f32_e32 v101, v101, v102
	s_waitcnt vmcnt(2)
	v_mul_f32_e32 v102, v148, v200
	v_add_f32_e32 v203, v203, v204
	v_mul_f32_e32 v204, v147, v200
	v_fma_f32 v102, v147, v199, -v102
	v_fmac_f32_e32 v204, v148, v199
	v_add_f32_e32 v101, v101, v102
	s_waitcnt vmcnt(0) lgkmcnt(0)
	v_mul_f32_e32 v102, v150, v202
	v_add_f32_e32 v203, v203, v204
	v_mul_f32_e32 v204, v149, v202
	v_fma_f32 v102, v149, v201, -v102
	v_fmac_f32_e32 v204, v150, v201
	v_add_f32_e32 v101, v101, v102
	v_add_f32_e32 v203, v203, v204
	v_sub_f32_e32 v101, v189, v101
	v_sub_f32_e32 v102, v190, v203
	buffer_store_dword v101, off, s[0:3], 0 offset:184
	buffer_store_dword v102, off, s[0:3], 0 offset:188
	s_and_saveexec_b64 s[4:5], vcc
	s_cbranch_execz .LBB48_263
; %bb.262:
	buffer_load_dword v101, off, s[0:3], 0 offset:176
	buffer_load_dword v102, off, s[0:3], 0 offset:180
	s_waitcnt vmcnt(0)
	ds_write_b64 v99, v[101:102]
	buffer_store_dword v100, off, s[0:3], 0 offset:176
	buffer_store_dword v100, off, s[0:3], 0 offset:180
.LBB48_263:
	s_or_b64 exec, exec, s[4:5]
	s_waitcnt lgkmcnt(0)
	; wave barrier
	buffer_load_dword v153, off, s[0:3], 0 offset:188
	buffer_load_dword v154, off, s[0:3], 0 offset:196
	buffer_load_dword v155, off, s[0:3], 0 offset:204
	buffer_load_dword v156, off, s[0:3], 0 offset:212
	buffer_load_dword v157, off, s[0:3], 0 offset:220
	buffer_load_dword v158, off, s[0:3], 0 offset:228
	buffer_load_dword v159, off, s[0:3], 0 offset:236
	buffer_load_dword v160, off, s[0:3], 0 offset:244
	buffer_load_dword v161, off, s[0:3], 0 offset:252
	buffer_load_dword v162, off, s[0:3], 0 offset:260
	buffer_load_dword v163, off, s[0:3], 0 offset:184
	buffer_load_dword v164, off, s[0:3], 0 offset:192
	buffer_load_dword v165, off, s[0:3], 0 offset:200
	buffer_load_dword v166, off, s[0:3], 0 offset:208
	buffer_load_dword v167, off, s[0:3], 0 offset:216
	buffer_load_dword v168, off, s[0:3], 0 offset:224
	buffer_load_dword v169, off, s[0:3], 0 offset:232
	buffer_load_dword v170, off, s[0:3], 0 offset:240
	buffer_load_dword v171, off, s[0:3], 0 offset:248
	buffer_load_dword v172, off, s[0:3], 0 offset:256
	buffer_load_dword v173, off, s[0:3], 0 offset:268
	buffer_load_dword v174, off, s[0:3], 0 offset:264
	buffer_load_dword v175, off, s[0:3], 0 offset:276
	buffer_load_dword v176, off, s[0:3], 0 offset:272
	buffer_load_dword v177, off, s[0:3], 0 offset:284
	buffer_load_dword v178, off, s[0:3], 0 offset:280
	buffer_load_dword v179, off, s[0:3], 0 offset:292
	buffer_load_dword v180, off, s[0:3], 0 offset:288
	buffer_load_dword v181, off, s[0:3], 0 offset:300
	buffer_load_dword v182, off, s[0:3], 0 offset:296
	buffer_load_dword v183, off, s[0:3], 0 offset:308
	buffer_load_dword v184, off, s[0:3], 0 offset:304
	buffer_load_dword v185, off, s[0:3], 0 offset:316
	buffer_load_dword v186, off, s[0:3], 0 offset:312
	buffer_load_dword v187, off, s[0:3], 0 offset:320
	buffer_load_dword v188, off, s[0:3], 0 offset:324
	buffer_load_dword v189, off, s[0:3], 0 offset:176
	buffer_load_dword v190, off, s[0:3], 0 offset:180
	buffer_load_dword v191, off, s[0:3], 0 offset:332
	buffer_load_dword v192, off, s[0:3], 0 offset:328
	buffer_load_dword v193, off, s[0:3], 0 offset:336
	buffer_load_dword v194, off, s[0:3], 0 offset:340
	ds_read2_b64 v[101:104], v100 offset0:73 offset1:74
	ds_read2_b64 v[105:108], v100 offset0:75 offset1:76
	;; [unrolled: 1-line block ×4, first 2 shown]
	buffer_load_dword v195, off, s[0:3], 0 offset:348
	buffer_load_dword v196, off, s[0:3], 0 offset:344
	;; [unrolled: 1-line block ×6, first 2 shown]
	ds_read2_b64 v[117:120], v100 offset0:81 offset1:82
	ds_read2_b64 v[121:124], v100 offset0:83 offset1:84
	buffer_load_dword v201, off, s[0:3], 0 offset:368
	buffer_load_dword v202, off, s[0:3], 0 offset:372
	;; [unrolled: 1-line block ×6, first 2 shown]
	v_cmp_lt_u32_e32 vcc, 21, v0
	s_waitcnt vmcnt(53) lgkmcnt(5)
	v_mul_f32_e32 v125, v101, v153
	s_waitcnt vmcnt(52)
	v_mul_f32_e32 v126, v103, v154
	s_waitcnt vmcnt(51) lgkmcnt(4)
	v_mul_f32_e32 v127, v105, v155
	s_waitcnt vmcnt(50)
	v_mul_f32_e32 v128, v107, v156
	;; [unrolled: 4-line block ×5, first 2 shown]
	s_waitcnt vmcnt(43)
	v_fmac_f32_e32 v125, v102, v163
	v_mul_f32_e32 v102, v102, v153
	s_waitcnt vmcnt(42)
	v_fmac_f32_e32 v126, v104, v164
	v_add_f32_e32 v125, 0, v125
	v_fma_f32 v101, v101, v163, -v102
	v_mul_f32_e32 v102, v104, v154
	s_waitcnt vmcnt(41)
	v_fmac_f32_e32 v127, v106, v165
	v_add_f32_e32 v125, v125, v126
	v_add_f32_e32 v101, 0, v101
	v_fma_f32 v102, v103, v164, -v102
	s_waitcnt vmcnt(40)
	v_fmac_f32_e32 v128, v108, v166
	v_add_f32_e32 v125, v125, v127
	v_add_f32_e32 v101, v101, v102
	v_mul_f32_e32 v102, v106, v155
	s_waitcnt vmcnt(39)
	v_fmac_f32_e32 v129, v110, v167
	v_add_f32_e32 v125, v125, v128
	v_fma_f32 v102, v105, v165, -v102
	s_waitcnt vmcnt(38)
	v_fmac_f32_e32 v130, v112, v168
	v_add_f32_e32 v125, v125, v129
	v_add_f32_e32 v101, v101, v102
	v_mul_f32_e32 v102, v108, v156
	s_waitcnt vmcnt(37)
	v_fmac_f32_e32 v131, v114, v169
	;; [unrolled: 9-line block ×3, first 2 shown]
	v_add_f32_e32 v125, v125, v132
	v_fma_f32 v102, v109, v167, -v102
	s_waitcnt vmcnt(34)
	v_fmac_f32_e32 v134, v120, v172
	v_add_f32_e32 v125, v125, v133
	s_waitcnt vmcnt(33) lgkmcnt(0)
	v_mul_f32_e32 v126, v121, v173
	v_add_f32_e32 v101, v101, v102
	v_mul_f32_e32 v102, v112, v158
	v_add_f32_e32 v125, v125, v134
	s_waitcnt vmcnt(32)
	v_fmac_f32_e32 v126, v122, v174
	v_fma_f32 v102, v111, v168, -v102
	v_add_f32_e32 v129, v125, v126
	ds_read2_b64 v[125:128], v100 offset0:85 offset1:86
	v_add_f32_e32 v101, v101, v102
	v_mul_f32_e32 v102, v114, v159
	v_fma_f32 v102, v113, v169, -v102
	s_waitcnt vmcnt(31)
	v_mul_f32_e32 v130, v123, v175
	v_add_f32_e32 v101, v101, v102
	v_mul_f32_e32 v102, v116, v160
	s_waitcnt vmcnt(30)
	v_fmac_f32_e32 v130, v124, v176
	v_fma_f32 v102, v115, v170, -v102
	v_add_f32_e32 v133, v129, v130
	ds_read2_b64 v[129:132], v100 offset0:87 offset1:88
	v_add_f32_e32 v101, v101, v102
	v_mul_f32_e32 v102, v118, v161
	s_waitcnt vmcnt(29) lgkmcnt(1)
	v_mul_f32_e32 v134, v125, v177
	v_fma_f32 v102, v117, v171, -v102
	s_waitcnt vmcnt(28)
	v_fmac_f32_e32 v134, v126, v178
	v_add_f32_e32 v101, v101, v102
	v_mul_f32_e32 v102, v120, v162
	v_add_f32_e32 v133, v133, v134
	s_waitcnt vmcnt(27)
	v_mul_f32_e32 v134, v127, v179
	v_fma_f32 v102, v119, v172, -v102
	s_waitcnt vmcnt(26)
	v_fmac_f32_e32 v134, v128, v180
	v_add_f32_e32 v101, v101, v102
	v_mul_f32_e32 v102, v122, v173
	v_add_f32_e32 v133, v133, v134
	s_waitcnt vmcnt(25) lgkmcnt(0)
	v_mul_f32_e32 v134, v129, v181
	v_fma_f32 v102, v121, v174, -v102
	s_waitcnt vmcnt(24)
	v_fmac_f32_e32 v134, v130, v182
	v_add_f32_e32 v101, v101, v102
	v_mul_f32_e32 v102, v124, v175
	v_add_f32_e32 v137, v133, v134
	ds_read2_b64 v[133:136], v100 offset0:89 offset1:90
	v_fma_f32 v102, v123, v176, -v102
	v_add_f32_e32 v101, v101, v102
	v_mul_f32_e32 v102, v126, v177
	s_waitcnt vmcnt(23)
	v_mul_f32_e32 v138, v131, v183
	v_fma_f32 v102, v125, v178, -v102
	s_waitcnt vmcnt(22)
	v_fmac_f32_e32 v138, v132, v184
	v_add_f32_e32 v101, v101, v102
	v_mul_f32_e32 v102, v128, v179
	v_add_f32_e32 v141, v137, v138
	ds_read2_b64 v[137:140], v100 offset0:91 offset1:92
	v_fma_f32 v102, v127, v180, -v102
	s_waitcnt vmcnt(21) lgkmcnt(1)
	v_mul_f32_e32 v142, v133, v185
	v_add_f32_e32 v101, v101, v102
	v_mul_f32_e32 v102, v130, v181
	s_waitcnt vmcnt(20)
	v_fmac_f32_e32 v142, v134, v186
	v_fma_f32 v102, v129, v182, -v102
	v_add_f32_e32 v141, v141, v142
	s_waitcnt vmcnt(18)
	v_mul_f32_e32 v142, v135, v188
	v_add_f32_e32 v101, v101, v102
	v_mul_f32_e32 v102, v132, v183
	v_fmac_f32_e32 v142, v136, v187
	v_fma_f32 v102, v131, v184, -v102
	v_add_f32_e32 v141, v141, v142
	s_waitcnt vmcnt(15) lgkmcnt(0)
	v_mul_f32_e32 v142, v137, v191
	v_add_f32_e32 v101, v101, v102
	v_mul_f32_e32 v102, v134, v185
	s_waitcnt vmcnt(14)
	v_fmac_f32_e32 v142, v138, v192
	v_fma_f32 v102, v133, v186, -v102
	v_add_f32_e32 v145, v141, v142
	ds_read2_b64 v[141:144], v100 offset0:93 offset1:94
	v_add_f32_e32 v101, v101, v102
	v_mul_f32_e32 v102, v136, v188
	v_fma_f32 v102, v135, v187, -v102
	v_add_f32_e32 v101, v101, v102
	v_mul_f32_e32 v102, v138, v191
	s_waitcnt vmcnt(12)
	v_mul_f32_e32 v146, v139, v194
	v_fma_f32 v102, v137, v192, -v102
	v_fmac_f32_e32 v146, v140, v193
	v_add_f32_e32 v101, v101, v102
	v_mul_f32_e32 v102, v140, v194
	v_add_f32_e32 v149, v145, v146
	ds_read2_b64 v[145:148], v100 offset0:95 offset1:96
	s_waitcnt vmcnt(11) lgkmcnt(1)
	v_mul_f32_e32 v150, v141, v195
	v_fma_f32 v102, v139, v193, -v102
	s_waitcnt vmcnt(10)
	v_fmac_f32_e32 v150, v142, v196
	v_add_f32_e32 v101, v101, v102
	v_mul_f32_e32 v102, v142, v195
	v_add_f32_e32 v149, v149, v150
	s_waitcnt vmcnt(8)
	v_mul_f32_e32 v150, v143, v198
	v_fma_f32 v102, v141, v196, -v102
	v_fmac_f32_e32 v150, v144, v197
	v_add_f32_e32 v101, v101, v102
	v_mul_f32_e32 v102, v144, v198
	v_add_f32_e32 v207, v149, v150
	ds_read2_b64 v[149:152], v100 offset0:97 offset1:98
	v_fma_f32 v102, v143, v197, -v102
	v_add_f32_e32 v101, v101, v102
	s_waitcnt vmcnt(6) lgkmcnt(1)
	v_mul_f32_e32 v102, v146, v200
	v_mul_f32_e32 v208, v145, v200
	v_fma_f32 v102, v145, v199, -v102
	v_fmac_f32_e32 v208, v146, v199
	v_add_f32_e32 v101, v101, v102
	s_waitcnt vmcnt(4)
	v_mul_f32_e32 v102, v148, v202
	v_add_f32_e32 v100, v207, v208
	v_mul_f32_e32 v207, v147, v202
	v_fma_f32 v102, v147, v201, -v102
	v_fmac_f32_e32 v207, v148, v201
	v_add_f32_e32 v101, v101, v102
	s_waitcnt vmcnt(2) lgkmcnt(0)
	v_mul_f32_e32 v102, v150, v204
	v_add_f32_e32 v100, v100, v207
	v_mul_f32_e32 v207, v149, v204
	v_fma_f32 v102, v149, v203, -v102
	v_fmac_f32_e32 v207, v150, v203
	v_add_f32_e32 v101, v101, v102
	s_waitcnt vmcnt(0)
	v_mul_f32_e32 v102, v152, v206
	v_add_f32_e32 v100, v100, v207
	v_mul_f32_e32 v207, v151, v206
	v_fma_f32 v102, v151, v205, -v102
	v_fmac_f32_e32 v207, v152, v205
	v_add_f32_e32 v101, v101, v102
	v_add_f32_e32 v100, v100, v207
	v_sub_f32_e32 v101, v189, v101
	v_sub_f32_e32 v100, v190, v100
	buffer_store_dword v101, off, s[0:3], 0 offset:176
	buffer_store_dword v100, off, s[0:3], 0 offset:180
	s_and_saveexec_b64 s[4:5], vcc
	s_cbranch_execz .LBB48_265
; %bb.264:
	buffer_load_dword v100, off, s[0:3], 0 offset:168
	buffer_load_dword v101, off, s[0:3], 0 offset:172
	v_mov_b32_e32 v102, 0
	buffer_store_dword v102, off, s[0:3], 0 offset:168
	buffer_store_dword v102, off, s[0:3], 0 offset:172
	s_waitcnt vmcnt(2)
	ds_write_b64 v99, v[100:101]
.LBB48_265:
	s_or_b64 exec, exec, s[4:5]
	s_waitcnt lgkmcnt(0)
	; wave barrier
	buffer_load_dword v155, off, s[0:3], 0 offset:180
	buffer_load_dword v156, off, s[0:3], 0 offset:188
	;; [unrolled: 1-line block ×56, first 2 shown]
	v_mov_b32_e32 v100, 0
	ds_read_b128 v[101:104], v100 offset:576
	ds_read_b128 v[105:108], v100 offset:592
	ds_read_b128 v[109:112], v100 offset:608
	ds_read_b128 v[113:116], v100 offset:624
	ds_read_b128 v[117:120], v100 offset:640
	ds_read_b128 v[121:124], v100 offset:656
	v_cmp_lt_u32_e32 vcc, 20, v0
	s_waitcnt vmcnt(55) lgkmcnt(5)
	v_mul_f32_e32 v125, v101, v155
	s_waitcnt vmcnt(54)
	v_mul_f32_e32 v126, v103, v156
	s_waitcnt vmcnt(53) lgkmcnt(4)
	v_mul_f32_e32 v127, v105, v157
	s_waitcnt vmcnt(52)
	v_mul_f32_e32 v128, v107, v158
	s_waitcnt vmcnt(51) lgkmcnt(3)
	v_mul_f32_e32 v129, v109, v159
	s_waitcnt vmcnt(50)
	v_mul_f32_e32 v130, v111, v160
	s_waitcnt vmcnt(49) lgkmcnt(2)
	v_mul_f32_e32 v131, v113, v161
	s_waitcnt vmcnt(48)
	v_mul_f32_e32 v132, v115, v162
	s_waitcnt vmcnt(47) lgkmcnt(1)
	v_mul_f32_e32 v133, v117, v163
	s_waitcnt vmcnt(46)
	v_fmac_f32_e32 v125, v102, v164
	s_waitcnt vmcnt(45)
	v_fmac_f32_e32 v126, v104, v165
	v_add_f32_e32 v125, 0, v125
	s_waitcnt vmcnt(44)
	v_fmac_f32_e32 v127, v106, v166
	v_add_f32_e32 v125, v125, v126
	;; [unrolled: 3-line block ×3, first 2 shown]
	v_mul_f32_e32 v102, v102, v155
	s_waitcnt vmcnt(42)
	v_fmac_f32_e32 v129, v110, v168
	v_add_f32_e32 v125, v125, v128
	v_fma_f32 v101, v101, v164, -v102
	v_mul_f32_e32 v102, v104, v156
	s_waitcnt vmcnt(41)
	v_fmac_f32_e32 v130, v112, v169
	v_add_f32_e32 v125, v125, v129
	v_add_f32_e32 v101, 0, v101
	v_fma_f32 v102, v103, v165, -v102
	s_waitcnt vmcnt(40)
	v_fmac_f32_e32 v131, v114, v170
	v_add_f32_e32 v125, v125, v130
	v_add_f32_e32 v101, v101, v102
	v_mul_f32_e32 v102, v106, v157
	s_waitcnt vmcnt(39)
	v_fmac_f32_e32 v132, v116, v171
	v_add_f32_e32 v125, v125, v131
	v_fma_f32 v102, v105, v166, -v102
	v_add_f32_e32 v125, v125, v132
	s_waitcnt vmcnt(38)
	v_fmac_f32_e32 v133, v118, v172
	s_waitcnt vmcnt(37)
	v_mul_f32_e32 v126, v119, v173
	v_add_f32_e32 v101, v101, v102
	v_mul_f32_e32 v102, v108, v158
	v_add_f32_e32 v125, v125, v133
	s_waitcnt vmcnt(36)
	v_fmac_f32_e32 v126, v120, v174
	v_fma_f32 v102, v107, v167, -v102
	v_add_f32_e32 v125, v125, v126
	s_waitcnt vmcnt(35) lgkmcnt(0)
	v_mul_f32_e32 v126, v121, v175
	v_add_f32_e32 v101, v101, v102
	v_mul_f32_e32 v102, v110, v159
	s_waitcnt vmcnt(34)
	v_fmac_f32_e32 v126, v122, v176
	v_fma_f32 v102, v109, v168, -v102
	v_add_f32_e32 v129, v125, v126
	ds_read_b128 v[125:128], v100 offset:672
	v_add_f32_e32 v101, v101, v102
	v_mul_f32_e32 v102, v112, v160
	v_fma_f32 v102, v111, v169, -v102
	s_waitcnt vmcnt(33)
	v_mul_f32_e32 v130, v123, v177
	v_add_f32_e32 v101, v101, v102
	v_mul_f32_e32 v102, v114, v161
	s_waitcnt vmcnt(32)
	v_fmac_f32_e32 v130, v124, v178
	v_fma_f32 v102, v113, v170, -v102
	v_add_f32_e32 v133, v129, v130
	ds_read_b128 v[129:132], v100 offset:688
	v_add_f32_e32 v101, v101, v102
	v_mul_f32_e32 v102, v116, v162
	s_waitcnt vmcnt(31) lgkmcnt(1)
	v_mul_f32_e32 v134, v125, v179
	v_fma_f32 v102, v115, v171, -v102
	s_waitcnt vmcnt(30)
	v_fmac_f32_e32 v134, v126, v180
	v_add_f32_e32 v101, v101, v102
	v_mul_f32_e32 v102, v118, v163
	v_add_f32_e32 v133, v133, v134
	s_waitcnt vmcnt(29)
	v_mul_f32_e32 v134, v127, v181
	v_fma_f32 v102, v117, v172, -v102
	s_waitcnt vmcnt(28)
	v_fmac_f32_e32 v134, v128, v182
	v_add_f32_e32 v101, v101, v102
	v_mul_f32_e32 v102, v120, v173
	v_add_f32_e32 v133, v133, v134
	s_waitcnt vmcnt(27) lgkmcnt(0)
	v_mul_f32_e32 v134, v129, v183
	v_fma_f32 v102, v119, v174, -v102
	s_waitcnt vmcnt(26)
	v_fmac_f32_e32 v134, v130, v184
	v_add_f32_e32 v101, v101, v102
	v_mul_f32_e32 v102, v122, v175
	v_add_f32_e32 v137, v133, v134
	ds_read_b128 v[133:136], v100 offset:704
	v_fma_f32 v102, v121, v176, -v102
	v_add_f32_e32 v101, v101, v102
	v_mul_f32_e32 v102, v124, v177
	s_waitcnt vmcnt(24)
	v_mul_f32_e32 v138, v131, v186
	v_fma_f32 v102, v123, v178, -v102
	v_fmac_f32_e32 v138, v132, v185
	v_add_f32_e32 v101, v101, v102
	v_mul_f32_e32 v102, v126, v179
	v_add_f32_e32 v141, v137, v138
	ds_read_b128 v[137:140], v100 offset:720
	v_fma_f32 v102, v125, v180, -v102
	s_waitcnt vmcnt(21) lgkmcnt(1)
	v_mul_f32_e32 v142, v133, v189
	v_add_f32_e32 v101, v101, v102
	v_mul_f32_e32 v102, v128, v181
	s_waitcnt vmcnt(20)
	v_fmac_f32_e32 v142, v134, v190
	v_fma_f32 v102, v127, v182, -v102
	v_add_f32_e32 v141, v141, v142
	s_waitcnt vmcnt(18)
	v_mul_f32_e32 v142, v135, v192
	v_add_f32_e32 v101, v101, v102
	v_mul_f32_e32 v102, v130, v183
	v_fmac_f32_e32 v142, v136, v191
	v_fma_f32 v102, v129, v184, -v102
	v_add_f32_e32 v141, v141, v142
	s_waitcnt vmcnt(16) lgkmcnt(0)
	v_mul_f32_e32 v142, v137, v194
	v_add_f32_e32 v101, v101, v102
	v_mul_f32_e32 v102, v132, v186
	v_fmac_f32_e32 v142, v138, v193
	v_fma_f32 v102, v131, v185, -v102
	v_add_f32_e32 v145, v141, v142
	ds_read_b128 v[141:144], v100 offset:736
	v_add_f32_e32 v101, v101, v102
	v_mul_f32_e32 v102, v134, v189
	v_fma_f32 v102, v133, v190, -v102
	s_waitcnt vmcnt(14)
	v_mul_f32_e32 v146, v139, v196
	v_add_f32_e32 v101, v101, v102
	v_mul_f32_e32 v102, v136, v192
	v_fmac_f32_e32 v146, v140, v195
	v_fma_f32 v102, v135, v191, -v102
	v_add_f32_e32 v149, v145, v146
	ds_read_b128 v[145:148], v100 offset:752
	v_add_f32_e32 v101, v101, v102
	v_mul_f32_e32 v102, v138, v194
	s_waitcnt vmcnt(12) lgkmcnt(1)
	v_mul_f32_e32 v150, v141, v198
	v_fma_f32 v102, v137, v193, -v102
	v_fmac_f32_e32 v150, v142, v197
	v_add_f32_e32 v101, v101, v102
	v_mul_f32_e32 v102, v140, v196
	v_add_f32_e32 v149, v149, v150
	s_waitcnt vmcnt(10)
	v_mul_f32_e32 v150, v143, v200
	v_fma_f32 v102, v139, v195, -v102
	v_fmac_f32_e32 v150, v144, v199
	v_add_f32_e32 v101, v101, v102
	v_mul_f32_e32 v102, v142, v198
	v_add_f32_e32 v149, v149, v150
	s_waitcnt vmcnt(8) lgkmcnt(0)
	v_mul_f32_e32 v150, v145, v202
	v_fma_f32 v102, v141, v197, -v102
	v_fmac_f32_e32 v150, v146, v201
	v_add_f32_e32 v101, v101, v102
	v_mul_f32_e32 v102, v144, v200
	v_add_f32_e32 v153, v149, v150
	ds_read_b128 v[149:152], v100 offset:768
	v_fma_f32 v102, v143, v199, -v102
	v_add_f32_e32 v101, v101, v102
	v_mul_f32_e32 v102, v146, v202
	s_waitcnt vmcnt(6)
	v_mul_f32_e32 v154, v147, v204
	v_fma_f32 v102, v145, v201, -v102
	v_fmac_f32_e32 v154, v148, v203
	v_add_f32_e32 v101, v101, v102
	v_mul_f32_e32 v102, v148, v204
	v_add_f32_e32 v211, v153, v154
	ds_read_b64 v[153:154], v100 offset:784
	v_fma_f32 v102, v147, v203, -v102
	v_add_f32_e32 v101, v101, v102
	s_waitcnt vmcnt(4) lgkmcnt(1)
	v_mul_f32_e32 v102, v150, v206
	v_mul_f32_e32 v212, v149, v206
	v_fma_f32 v102, v149, v205, -v102
	v_fmac_f32_e32 v212, v150, v205
	v_add_f32_e32 v101, v101, v102
	s_waitcnt vmcnt(2)
	v_mul_f32_e32 v102, v152, v208
	v_add_f32_e32 v211, v211, v212
	v_mul_f32_e32 v212, v151, v208
	v_fma_f32 v102, v151, v207, -v102
	v_fmac_f32_e32 v212, v152, v207
	v_add_f32_e32 v101, v101, v102
	s_waitcnt vmcnt(0) lgkmcnt(0)
	v_mul_f32_e32 v102, v154, v210
	v_add_f32_e32 v211, v211, v212
	v_mul_f32_e32 v212, v153, v210
	v_fma_f32 v102, v153, v209, -v102
	v_fmac_f32_e32 v212, v154, v209
	v_add_f32_e32 v101, v101, v102
	v_add_f32_e32 v211, v211, v212
	v_sub_f32_e32 v101, v187, v101
	v_sub_f32_e32 v102, v188, v211
	buffer_store_dword v101, off, s[0:3], 0 offset:168
	buffer_store_dword v102, off, s[0:3], 0 offset:172
	s_and_saveexec_b64 s[4:5], vcc
	s_cbranch_execz .LBB48_267
; %bb.266:
	buffer_load_dword v101, off, s[0:3], 0 offset:160
	buffer_load_dword v102, off, s[0:3], 0 offset:164
	s_waitcnt vmcnt(0)
	ds_write_b64 v99, v[101:102]
	buffer_store_dword v100, off, s[0:3], 0 offset:160
	buffer_store_dword v100, off, s[0:3], 0 offset:164
.LBB48_267:
	s_or_b64 exec, exec, s[4:5]
	s_waitcnt lgkmcnt(0)
	; wave barrier
	buffer_load_dword v157, off, s[0:3], 0 offset:172
	buffer_load_dword v158, off, s[0:3], 0 offset:180
	;; [unrolled: 1-line block ×34, first 2 shown]
	ds_read2_b64 v[101:104], v100 offset0:71 offset1:72
	ds_read2_b64 v[105:108], v100 offset0:73 offset1:74
	buffer_load_dword v191, off, s[0:3], 0 offset:300
	buffer_load_dword v192, off, s[0:3], 0 offset:296
	;; [unrolled: 1-line block ×6, first 2 shown]
	ds_read2_b64 v[109:112], v100 offset0:75 offset1:76
	ds_read2_b64 v[113:116], v100 offset0:77 offset1:78
	;; [unrolled: 1-line block ×4, first 2 shown]
	buffer_load_dword v197, off, s[0:3], 0 offset:324
	buffer_load_dword v198, off, s[0:3], 0 offset:320
	;; [unrolled: 1-line block ×18, first 2 shown]
	v_cmp_lt_u32_e32 vcc, 19, v0
	s_waitcnt vmcnt(57) lgkmcnt(5)
	v_mul_f32_e32 v125, v101, v157
	s_waitcnt vmcnt(56)
	v_mul_f32_e32 v126, v103, v158
	s_waitcnt vmcnt(55) lgkmcnt(4)
	v_mul_f32_e32 v127, v105, v159
	s_waitcnt vmcnt(54)
	v_mul_f32_e32 v128, v107, v160
	;; [unrolled: 4-line block ×4, first 2 shown]
	s_waitcnt vmcnt(49)
	v_fmac_f32_e32 v125, v102, v165
	s_waitcnt vmcnt(48)
	v_fmac_f32_e32 v126, v104, v166
	v_add_f32_e32 v125, 0, v125
	s_waitcnt vmcnt(47)
	v_fmac_f32_e32 v127, v106, v167
	v_add_f32_e32 v125, v125, v126
	;; [unrolled: 3-line block ×4, first 2 shown]
	v_mul_f32_e32 v102, v102, v157
	s_waitcnt vmcnt(44)
	v_fmac_f32_e32 v130, v112, v170
	v_add_f32_e32 v125, v125, v129
	v_fma_f32 v101, v101, v165, -v102
	v_mul_f32_e32 v102, v104, v158
	s_waitcnt vmcnt(43)
	v_fmac_f32_e32 v131, v114, v171
	v_add_f32_e32 v125, v125, v130
	v_add_f32_e32 v101, 0, v101
	v_fma_f32 v102, v103, v166, -v102
	s_waitcnt vmcnt(42)
	v_fmac_f32_e32 v132, v116, v172
	v_add_f32_e32 v125, v125, v131
	s_waitcnt vmcnt(41) lgkmcnt(1)
	v_mul_f32_e32 v126, v117, v173
	v_add_f32_e32 v101, v101, v102
	v_mul_f32_e32 v102, v106, v159
	v_add_f32_e32 v125, v125, v132
	s_waitcnt vmcnt(40)
	v_fmac_f32_e32 v126, v118, v174
	v_fma_f32 v102, v105, v167, -v102
	v_add_f32_e32 v125, v125, v126
	s_waitcnt vmcnt(39)
	v_mul_f32_e32 v126, v119, v175
	v_add_f32_e32 v101, v101, v102
	v_mul_f32_e32 v102, v108, v160
	s_waitcnt vmcnt(38)
	v_fmac_f32_e32 v126, v120, v176
	v_fma_f32 v102, v107, v168, -v102
	v_add_f32_e32 v125, v125, v126
	s_waitcnt vmcnt(37) lgkmcnt(0)
	v_mul_f32_e32 v126, v121, v177
	v_add_f32_e32 v101, v101, v102
	v_mul_f32_e32 v102, v110, v161
	s_waitcnt vmcnt(36)
	v_fmac_f32_e32 v126, v122, v178
	v_fma_f32 v102, v109, v169, -v102
	v_add_f32_e32 v129, v125, v126
	ds_read2_b64 v[125:128], v100 offset0:83 offset1:84
	v_add_f32_e32 v101, v101, v102
	v_mul_f32_e32 v102, v112, v162
	v_fma_f32 v102, v111, v170, -v102
	s_waitcnt vmcnt(35)
	v_mul_f32_e32 v130, v123, v179
	v_add_f32_e32 v101, v101, v102
	v_mul_f32_e32 v102, v114, v163
	s_waitcnt vmcnt(34)
	v_fmac_f32_e32 v130, v124, v180
	v_fma_f32 v102, v113, v171, -v102
	v_add_f32_e32 v133, v129, v130
	ds_read2_b64 v[129:132], v100 offset0:85 offset1:86
	v_add_f32_e32 v101, v101, v102
	v_mul_f32_e32 v102, v116, v164
	s_waitcnt vmcnt(33) lgkmcnt(1)
	v_mul_f32_e32 v134, v125, v181
	v_fma_f32 v102, v115, v172, -v102
	s_waitcnt vmcnt(32)
	v_fmac_f32_e32 v134, v126, v182
	v_add_f32_e32 v101, v101, v102
	v_mul_f32_e32 v102, v118, v173
	v_add_f32_e32 v133, v133, v134
	s_waitcnt vmcnt(31)
	v_mul_f32_e32 v134, v127, v183
	v_fma_f32 v102, v117, v174, -v102
	s_waitcnt vmcnt(30)
	v_fmac_f32_e32 v134, v128, v184
	v_add_f32_e32 v101, v101, v102
	v_mul_f32_e32 v102, v120, v175
	v_add_f32_e32 v133, v133, v134
	s_waitcnt vmcnt(29) lgkmcnt(0)
	v_mul_f32_e32 v134, v129, v185
	v_fma_f32 v102, v119, v176, -v102
	s_waitcnt vmcnt(28)
	v_fmac_f32_e32 v134, v130, v186
	v_add_f32_e32 v101, v101, v102
	v_mul_f32_e32 v102, v122, v177
	v_add_f32_e32 v137, v133, v134
	ds_read2_b64 v[133:136], v100 offset0:87 offset1:88
	v_fma_f32 v102, v121, v178, -v102
	v_add_f32_e32 v101, v101, v102
	v_mul_f32_e32 v102, v124, v179
	s_waitcnt vmcnt(25)
	v_mul_f32_e32 v138, v131, v189
	v_fma_f32 v102, v123, v180, -v102
	s_waitcnt vmcnt(24)
	v_fmac_f32_e32 v138, v132, v190
	v_add_f32_e32 v101, v101, v102
	v_mul_f32_e32 v102, v126, v181
	v_add_f32_e32 v141, v137, v138
	ds_read2_b64 v[137:140], v100 offset0:89 offset1:90
	v_fma_f32 v102, v125, v182, -v102
	s_waitcnt vmcnt(23) lgkmcnt(1)
	v_mul_f32_e32 v142, v133, v191
	v_add_f32_e32 v101, v101, v102
	v_mul_f32_e32 v102, v128, v183
	s_waitcnt vmcnt(22)
	v_fmac_f32_e32 v142, v134, v192
	v_fma_f32 v102, v127, v184, -v102
	v_add_f32_e32 v141, v141, v142
	s_waitcnt vmcnt(20)
	v_mul_f32_e32 v142, v135, v194
	v_add_f32_e32 v101, v101, v102
	v_mul_f32_e32 v102, v130, v185
	v_fmac_f32_e32 v142, v136, v193
	v_fma_f32 v102, v129, v186, -v102
	v_add_f32_e32 v141, v141, v142
	s_waitcnt vmcnt(18) lgkmcnt(0)
	v_mul_f32_e32 v142, v137, v196
	v_add_f32_e32 v101, v101, v102
	v_mul_f32_e32 v102, v132, v189
	v_fmac_f32_e32 v142, v138, v195
	v_fma_f32 v102, v131, v190, -v102
	v_add_f32_e32 v145, v141, v142
	ds_read2_b64 v[141:144], v100 offset0:91 offset1:92
	v_add_f32_e32 v101, v101, v102
	v_mul_f32_e32 v102, v134, v191
	v_fma_f32 v102, v133, v192, -v102
	s_waitcnt vmcnt(17)
	v_mul_f32_e32 v146, v139, v197
	v_add_f32_e32 v101, v101, v102
	v_mul_f32_e32 v102, v136, v194
	s_waitcnt vmcnt(16)
	v_fmac_f32_e32 v146, v140, v198
	v_fma_f32 v102, v135, v193, -v102
	v_add_f32_e32 v149, v145, v146
	ds_read2_b64 v[145:148], v100 offset0:93 offset1:94
	v_add_f32_e32 v101, v101, v102
	v_mul_f32_e32 v102, v138, v196
	s_waitcnt vmcnt(14) lgkmcnt(1)
	v_mul_f32_e32 v150, v141, v200
	v_fma_f32 v102, v137, v195, -v102
	v_fmac_f32_e32 v150, v142, v199
	v_add_f32_e32 v101, v101, v102
	v_mul_f32_e32 v102, v140, v197
	v_add_f32_e32 v149, v149, v150
	s_waitcnt vmcnt(12)
	v_mul_f32_e32 v150, v143, v202
	v_fma_f32 v102, v139, v198, -v102
	v_fmac_f32_e32 v150, v144, v201
	v_add_f32_e32 v101, v101, v102
	v_mul_f32_e32 v102, v142, v200
	v_add_f32_e32 v149, v149, v150
	s_waitcnt vmcnt(10) lgkmcnt(0)
	v_mul_f32_e32 v150, v145, v204
	v_fma_f32 v102, v141, v199, -v102
	v_fmac_f32_e32 v150, v146, v203
	v_add_f32_e32 v101, v101, v102
	v_mul_f32_e32 v102, v144, v202
	v_add_f32_e32 v153, v149, v150
	ds_read2_b64 v[149:152], v100 offset0:95 offset1:96
	v_fma_f32 v102, v143, v201, -v102
	v_add_f32_e32 v101, v101, v102
	v_mul_f32_e32 v102, v146, v204
	s_waitcnt vmcnt(8)
	v_mul_f32_e32 v154, v147, v206
	v_fma_f32 v102, v145, v203, -v102
	v_fmac_f32_e32 v154, v148, v205
	v_add_f32_e32 v101, v101, v102
	v_mul_f32_e32 v102, v148, v206
	v_add_f32_e32 v215, v153, v154
	ds_read2_b64 v[153:156], v100 offset0:97 offset1:98
	v_fma_f32 v102, v147, v205, -v102
	v_add_f32_e32 v101, v101, v102
	s_waitcnt vmcnt(6) lgkmcnt(1)
	v_mul_f32_e32 v102, v150, v208
	v_mul_f32_e32 v100, v149, v208
	v_fma_f32 v102, v149, v207, -v102
	v_fmac_f32_e32 v100, v150, v207
	v_add_f32_e32 v101, v101, v102
	s_waitcnt vmcnt(4)
	v_mul_f32_e32 v102, v152, v210
	v_add_f32_e32 v100, v215, v100
	v_mul_f32_e32 v215, v151, v210
	v_fma_f32 v102, v151, v209, -v102
	v_fmac_f32_e32 v215, v152, v209
	v_add_f32_e32 v101, v101, v102
	s_waitcnt vmcnt(2) lgkmcnt(0)
	v_mul_f32_e32 v102, v154, v212
	v_add_f32_e32 v100, v100, v215
	v_mul_f32_e32 v215, v153, v212
	v_fma_f32 v102, v153, v211, -v102
	v_fmac_f32_e32 v215, v154, v211
	v_add_f32_e32 v101, v101, v102
	s_waitcnt vmcnt(0)
	v_mul_f32_e32 v102, v156, v214
	v_add_f32_e32 v100, v100, v215
	v_mul_f32_e32 v215, v155, v214
	v_fma_f32 v102, v155, v213, -v102
	v_fmac_f32_e32 v215, v156, v213
	v_add_f32_e32 v101, v101, v102
	v_add_f32_e32 v100, v100, v215
	v_sub_f32_e32 v101, v187, v101
	v_sub_f32_e32 v100, v188, v100
	buffer_store_dword v101, off, s[0:3], 0 offset:160
	buffer_store_dword v100, off, s[0:3], 0 offset:164
	s_and_saveexec_b64 s[4:5], vcc
	s_cbranch_execz .LBB48_269
; %bb.268:
	buffer_load_dword v100, off, s[0:3], 0 offset:152
	buffer_load_dword v101, off, s[0:3], 0 offset:156
	v_mov_b32_e32 v102, 0
	buffer_store_dword v102, off, s[0:3], 0 offset:152
	buffer_store_dword v102, off, s[0:3], 0 offset:156
	s_waitcnt vmcnt(2)
	ds_write_b64 v99, v[100:101]
.LBB48_269:
	s_or_b64 exec, exec, s[4:5]
	s_waitcnt lgkmcnt(0)
	; wave barrier
	buffer_load_dword v159, off, s[0:3], 0 offset:164
	buffer_load_dword v160, off, s[0:3], 0 offset:172
	;; [unrolled: 1-line block ×60, first 2 shown]
	v_mov_b32_e32 v100, 0
	ds_read_b128 v[101:104], v100 offset:560
	ds_read_b128 v[105:108], v100 offset:576
	;; [unrolled: 1-line block ×5, first 2 shown]
	v_cmp_lt_u32_e32 vcc, 18, v0
	s_waitcnt vmcnt(59) lgkmcnt(4)
	v_mul_f32_e32 v121, v101, v159
	s_waitcnt vmcnt(58)
	v_mul_f32_e32 v122, v103, v160
	s_waitcnt vmcnt(57) lgkmcnt(3)
	v_mul_f32_e32 v123, v105, v161
	s_waitcnt vmcnt(56)
	v_mul_f32_e32 v124, v107, v162
	;; [unrolled: 4-line block ×3, first 2 shown]
	s_waitcnt vmcnt(53) lgkmcnt(1)
	v_mul_f32_e32 v127, v113, v165
	s_waitcnt vmcnt(52)
	v_fmac_f32_e32 v121, v102, v166
	s_waitcnt vmcnt(51)
	v_fmac_f32_e32 v122, v104, v167
	v_add_f32_e32 v121, 0, v121
	s_waitcnt vmcnt(50)
	v_fmac_f32_e32 v123, v106, v168
	v_add_f32_e32 v121, v121, v122
	;; [unrolled: 3-line block ×6, first 2 shown]
	s_waitcnt vmcnt(45)
	v_mul_f32_e32 v122, v115, v173
	v_add_f32_e32 v121, v121, v127
	s_waitcnt vmcnt(44)
	v_fmac_f32_e32 v122, v116, v174
	v_mul_f32_e32 v102, v102, v159
	v_add_f32_e32 v125, v121, v122
	ds_read_b128 v[121:124], v100 offset:640
	v_fma_f32 v101, v101, v166, -v102
	v_mul_f32_e32 v102, v104, v160
	s_waitcnt vmcnt(43) lgkmcnt(1)
	v_mul_f32_e32 v126, v117, v175
	v_add_f32_e32 v101, 0, v101
	v_fma_f32 v102, v103, v167, -v102
	s_waitcnt vmcnt(42)
	v_fmac_f32_e32 v126, v118, v176
	v_add_f32_e32 v101, v101, v102
	v_mul_f32_e32 v102, v106, v161
	v_add_f32_e32 v125, v125, v126
	s_waitcnt vmcnt(41)
	v_mul_f32_e32 v126, v119, v177
	v_fma_f32 v102, v105, v168, -v102
	s_waitcnt vmcnt(40)
	v_fmac_f32_e32 v126, v120, v178
	v_add_f32_e32 v101, v101, v102
	v_mul_f32_e32 v102, v108, v162
	v_add_f32_e32 v125, v125, v126
	s_waitcnt vmcnt(39) lgkmcnt(0)
	v_mul_f32_e32 v126, v121, v179
	v_fma_f32 v102, v107, v169, -v102
	s_waitcnt vmcnt(38)
	v_fmac_f32_e32 v126, v122, v180
	v_add_f32_e32 v101, v101, v102
	v_mul_f32_e32 v102, v110, v163
	v_add_f32_e32 v129, v125, v126
	ds_read_b128 v[125:128], v100 offset:656
	v_fma_f32 v102, v109, v170, -v102
	v_add_f32_e32 v101, v101, v102
	v_mul_f32_e32 v102, v112, v164
	s_waitcnt vmcnt(37)
	v_mul_f32_e32 v130, v123, v181
	v_fma_f32 v102, v111, v171, -v102
	s_waitcnt vmcnt(36)
	v_fmac_f32_e32 v130, v124, v182
	v_add_f32_e32 v101, v101, v102
	v_mul_f32_e32 v102, v114, v165
	v_add_f32_e32 v133, v129, v130
	ds_read_b128 v[129:132], v100 offset:672
	v_fma_f32 v102, v113, v172, -v102
	s_waitcnt vmcnt(34) lgkmcnt(1)
	v_mul_f32_e32 v134, v125, v184
	v_add_f32_e32 v101, v101, v102
	v_mul_f32_e32 v102, v116, v173
	v_fmac_f32_e32 v134, v126, v183
	v_fma_f32 v102, v115, v174, -v102
	v_add_f32_e32 v133, v133, v134
	s_waitcnt vmcnt(31)
	v_mul_f32_e32 v134, v127, v187
	v_add_f32_e32 v101, v101, v102
	v_mul_f32_e32 v102, v118, v175
	s_waitcnt vmcnt(30)
	v_fmac_f32_e32 v134, v128, v188
	v_fma_f32 v102, v117, v176, -v102
	v_add_f32_e32 v133, v133, v134
	s_waitcnt vmcnt(28) lgkmcnt(0)
	v_mul_f32_e32 v134, v129, v190
	v_add_f32_e32 v101, v101, v102
	v_mul_f32_e32 v102, v120, v177
	v_fmac_f32_e32 v134, v130, v189
	v_fma_f32 v102, v119, v178, -v102
	v_add_f32_e32 v137, v133, v134
	ds_read_b128 v[133:136], v100 offset:688
	v_add_f32_e32 v101, v101, v102
	v_mul_f32_e32 v102, v122, v179
	v_fma_f32 v102, v121, v180, -v102
	s_waitcnt vmcnt(26)
	v_mul_f32_e32 v138, v131, v192
	v_add_f32_e32 v101, v101, v102
	v_mul_f32_e32 v102, v124, v181
	v_fmac_f32_e32 v138, v132, v191
	v_fma_f32 v102, v123, v182, -v102
	v_add_f32_e32 v141, v137, v138
	ds_read_b128 v[137:140], v100 offset:704
	v_add_f32_e32 v101, v101, v102
	v_mul_f32_e32 v102, v126, v184
	s_waitcnt vmcnt(24) lgkmcnt(1)
	v_mul_f32_e32 v142, v133, v194
	v_fma_f32 v102, v125, v183, -v102
	v_fmac_f32_e32 v142, v134, v193
	v_add_f32_e32 v101, v101, v102
	v_mul_f32_e32 v102, v128, v187
	v_add_f32_e32 v141, v141, v142
	s_waitcnt vmcnt(22)
	v_mul_f32_e32 v142, v135, v196
	v_fma_f32 v102, v127, v188, -v102
	v_fmac_f32_e32 v142, v136, v195
	v_add_f32_e32 v101, v101, v102
	v_mul_f32_e32 v102, v130, v190
	v_add_f32_e32 v141, v141, v142
	s_waitcnt vmcnt(20) lgkmcnt(0)
	v_mul_f32_e32 v142, v137, v198
	v_fma_f32 v102, v129, v189, -v102
	v_fmac_f32_e32 v142, v138, v197
	v_add_f32_e32 v101, v101, v102
	v_mul_f32_e32 v102, v132, v192
	v_add_f32_e32 v145, v141, v142
	ds_read_b128 v[141:144], v100 offset:720
	v_fma_f32 v102, v131, v191, -v102
	v_add_f32_e32 v101, v101, v102
	v_mul_f32_e32 v102, v134, v194
	s_waitcnt vmcnt(18)
	v_mul_f32_e32 v146, v139, v200
	v_fma_f32 v102, v133, v193, -v102
	v_fmac_f32_e32 v146, v140, v199
	v_add_f32_e32 v101, v101, v102
	v_mul_f32_e32 v102, v136, v196
	v_add_f32_e32 v149, v145, v146
	ds_read_b128 v[145:148], v100 offset:736
	v_fma_f32 v102, v135, v195, -v102
	s_waitcnt vmcnt(16) lgkmcnt(1)
	v_mul_f32_e32 v150, v141, v202
	v_add_f32_e32 v101, v101, v102
	v_mul_f32_e32 v102, v138, v198
	v_fmac_f32_e32 v150, v142, v201
	v_fma_f32 v102, v137, v197, -v102
	v_add_f32_e32 v149, v149, v150
	s_waitcnt vmcnt(14)
	v_mul_f32_e32 v150, v143, v204
	v_add_f32_e32 v101, v101, v102
	v_mul_f32_e32 v102, v140, v200
	v_fmac_f32_e32 v150, v144, v203
	v_fma_f32 v102, v139, v199, -v102
	v_add_f32_e32 v149, v149, v150
	s_waitcnt vmcnt(12) lgkmcnt(0)
	v_mul_f32_e32 v150, v145, v206
	v_add_f32_e32 v101, v101, v102
	v_mul_f32_e32 v102, v142, v202
	v_fmac_f32_e32 v150, v146, v205
	v_fma_f32 v102, v141, v201, -v102
	v_add_f32_e32 v153, v149, v150
	ds_read_b128 v[149:152], v100 offset:752
	v_add_f32_e32 v101, v101, v102
	v_mul_f32_e32 v102, v144, v204
	v_fma_f32 v102, v143, v203, -v102
	v_add_f32_e32 v101, v101, v102
	v_mul_f32_e32 v102, v146, v206
	s_waitcnt vmcnt(10)
	v_mul_f32_e32 v154, v147, v208
	v_fma_f32 v102, v145, v205, -v102
	v_fmac_f32_e32 v154, v148, v207
	v_add_f32_e32 v101, v101, v102
	v_mul_f32_e32 v102, v148, v208
	v_add_f32_e32 v157, v153, v154
	ds_read_b128 v[153:156], v100 offset:768
	s_waitcnt vmcnt(8) lgkmcnt(1)
	v_mul_f32_e32 v158, v149, v210
	v_fma_f32 v102, v147, v207, -v102
	v_fmac_f32_e32 v158, v150, v209
	v_add_f32_e32 v101, v101, v102
	v_mul_f32_e32 v102, v150, v210
	v_add_f32_e32 v157, v157, v158
	s_waitcnt vmcnt(6)
	v_mul_f32_e32 v158, v151, v212
	v_fma_f32 v102, v149, v209, -v102
	v_fmac_f32_e32 v158, v152, v211
	v_add_f32_e32 v101, v101, v102
	v_mul_f32_e32 v102, v152, v212
	v_add_f32_e32 v219, v157, v158
	ds_read_b64 v[157:158], v100 offset:784
	v_fma_f32 v102, v151, v211, -v102
	v_add_f32_e32 v101, v101, v102
	s_waitcnt vmcnt(4) lgkmcnt(1)
	v_mul_f32_e32 v102, v154, v214
	v_mul_f32_e32 v220, v153, v214
	v_fma_f32 v102, v153, v213, -v102
	v_fmac_f32_e32 v220, v154, v213
	v_add_f32_e32 v101, v101, v102
	s_waitcnt vmcnt(2)
	v_mul_f32_e32 v102, v156, v216
	v_add_f32_e32 v219, v219, v220
	v_mul_f32_e32 v220, v155, v216
	v_fma_f32 v102, v155, v215, -v102
	v_fmac_f32_e32 v220, v156, v215
	v_add_f32_e32 v101, v101, v102
	s_waitcnt vmcnt(0) lgkmcnt(0)
	v_mul_f32_e32 v102, v158, v218
	v_add_f32_e32 v219, v219, v220
	v_mul_f32_e32 v220, v157, v218
	v_fma_f32 v102, v157, v217, -v102
	v_fmac_f32_e32 v220, v158, v217
	v_add_f32_e32 v101, v101, v102
	v_add_f32_e32 v219, v219, v220
	v_sub_f32_e32 v101, v185, v101
	v_sub_f32_e32 v102, v186, v219
	buffer_store_dword v101, off, s[0:3], 0 offset:152
	buffer_store_dword v102, off, s[0:3], 0 offset:156
	s_and_saveexec_b64 s[4:5], vcc
	s_cbranch_execz .LBB48_271
; %bb.270:
	buffer_load_dword v101, off, s[0:3], 0 offset:144
	buffer_load_dword v102, off, s[0:3], 0 offset:148
	s_waitcnt vmcnt(0)
	ds_write_b64 v99, v[101:102]
	buffer_store_dword v100, off, s[0:3], 0 offset:144
	buffer_store_dword v100, off, s[0:3], 0 offset:148
.LBB48_271:
	s_or_b64 exec, exec, s[4:5]
	s_waitcnt lgkmcnt(0)
	; wave barrier
	buffer_load_dword v161, off, s[0:3], 0 offset:156
	buffer_load_dword v162, off, s[0:3], 0 offset:164
	;; [unrolled: 1-line block ×32, first 2 shown]
	ds_read2_b64 v[101:104], v100 offset0:69 offset1:70
	ds_read2_b64 v[105:108], v100 offset0:71 offset1:72
	ds_read2_b64 v[109:112], v100 offset0:73 offset1:74
	ds_read2_b64 v[113:116], v100 offset0:75 offset1:76
	buffer_load_dword v193, off, s[0:3], 0 offset:276
	buffer_load_dword v194, off, s[0:3], 0 offset:272
	;; [unrolled: 1-line block ×30, first 2 shown]
	v_cmp_lt_u32_e32 vcc, 17, v0
	s_waitcnt vmcnt(61) lgkmcnt(3)
	v_mul_f32_e32 v117, v101, v161
	s_waitcnt vmcnt(60)
	v_mul_f32_e32 v118, v103, v162
	s_waitcnt vmcnt(59) lgkmcnt(2)
	v_mul_f32_e32 v119, v105, v163
	s_waitcnt vmcnt(58)
	v_mul_f32_e32 v120, v107, v164
	;; [unrolled: 4-line block ×3, first 2 shown]
	s_waitcnt vmcnt(55) lgkmcnt(0)
	v_mul_f32_e32 v123, v113, v167
	s_waitcnt vmcnt(54)
	v_fmac_f32_e32 v117, v102, v168
	s_waitcnt vmcnt(53)
	v_fmac_f32_e32 v118, v104, v169
	v_add_f32_e32 v117, 0, v117
	s_waitcnt vmcnt(52)
	v_fmac_f32_e32 v119, v106, v170
	v_add_f32_e32 v117, v117, v118
	;; [unrolled: 3-line block ×6, first 2 shown]
	v_add_f32_e32 v121, v117, v123
	ds_read2_b64 v[117:120], v100 offset0:77 offset1:78
	s_waitcnt vmcnt(47)
	v_mul_f32_e32 v122, v115, v175
	s_waitcnt vmcnt(46)
	v_fmac_f32_e32 v122, v116, v176
	v_mul_f32_e32 v102, v102, v161
	v_add_f32_e32 v125, v121, v122
	ds_read2_b64 v[121:124], v100 offset0:79 offset1:80
	v_fma_f32 v101, v101, v168, -v102
	v_mul_f32_e32 v102, v104, v162
	s_waitcnt vmcnt(45) lgkmcnt(1)
	v_mul_f32_e32 v126, v117, v177
	v_add_f32_e32 v101, 0, v101
	v_fma_f32 v102, v103, v169, -v102
	s_waitcnt vmcnt(44)
	v_fmac_f32_e32 v126, v118, v178
	v_add_f32_e32 v101, v101, v102
	v_mul_f32_e32 v102, v106, v163
	v_add_f32_e32 v125, v125, v126
	s_waitcnt vmcnt(43)
	v_mul_f32_e32 v126, v119, v179
	v_fma_f32 v102, v105, v170, -v102
	s_waitcnt vmcnt(42)
	v_fmac_f32_e32 v126, v120, v180
	v_add_f32_e32 v101, v101, v102
	v_mul_f32_e32 v102, v108, v164
	v_add_f32_e32 v125, v125, v126
	s_waitcnt vmcnt(41) lgkmcnt(0)
	v_mul_f32_e32 v126, v121, v181
	v_fma_f32 v102, v107, v171, -v102
	s_waitcnt vmcnt(40)
	v_fmac_f32_e32 v126, v122, v182
	v_add_f32_e32 v101, v101, v102
	v_mul_f32_e32 v102, v110, v165
	v_add_f32_e32 v129, v125, v126
	ds_read2_b64 v[125:128], v100 offset0:81 offset1:82
	v_fma_f32 v102, v109, v172, -v102
	v_add_f32_e32 v101, v101, v102
	v_mul_f32_e32 v102, v112, v166
	s_waitcnt vmcnt(39)
	v_mul_f32_e32 v130, v123, v183
	v_fma_f32 v102, v111, v173, -v102
	s_waitcnt vmcnt(38)
	v_fmac_f32_e32 v130, v124, v184
	v_add_f32_e32 v101, v101, v102
	v_mul_f32_e32 v102, v114, v167
	v_add_f32_e32 v133, v129, v130
	ds_read2_b64 v[129:132], v100 offset0:83 offset1:84
	v_fma_f32 v102, v113, v174, -v102
	s_waitcnt vmcnt(35) lgkmcnt(1)
	v_mul_f32_e32 v134, v125, v187
	v_add_f32_e32 v101, v101, v102
	v_mul_f32_e32 v102, v116, v175
	s_waitcnt vmcnt(34)
	v_fmac_f32_e32 v134, v126, v188
	v_fma_f32 v102, v115, v176, -v102
	v_add_f32_e32 v133, v133, v134
	s_waitcnt vmcnt(32)
	v_mul_f32_e32 v134, v127, v190
	v_add_f32_e32 v101, v101, v102
	v_mul_f32_e32 v102, v118, v177
	v_fmac_f32_e32 v134, v128, v189
	v_fma_f32 v102, v117, v178, -v102
	v_add_f32_e32 v133, v133, v134
	s_waitcnt vmcnt(30) lgkmcnt(0)
	v_mul_f32_e32 v134, v129, v192
	v_add_f32_e32 v101, v101, v102
	v_mul_f32_e32 v102, v120, v179
	v_fmac_f32_e32 v134, v130, v191
	v_fma_f32 v102, v119, v180, -v102
	v_add_f32_e32 v137, v133, v134
	ds_read2_b64 v[133:136], v100 offset0:85 offset1:86
	v_add_f32_e32 v101, v101, v102
	v_mul_f32_e32 v102, v122, v181
	v_fma_f32 v102, v121, v182, -v102
	s_waitcnt vmcnt(29)
	v_mul_f32_e32 v138, v131, v193
	v_add_f32_e32 v101, v101, v102
	v_mul_f32_e32 v102, v124, v183
	s_waitcnt vmcnt(28)
	v_fmac_f32_e32 v138, v132, v194
	v_fma_f32 v102, v123, v184, -v102
	v_add_f32_e32 v141, v137, v138
	ds_read2_b64 v[137:140], v100 offset0:87 offset1:88
	v_add_f32_e32 v101, v101, v102
	v_mul_f32_e32 v102, v126, v187
	s_waitcnt vmcnt(26) lgkmcnt(1)
	v_mul_f32_e32 v142, v133, v196
	v_fma_f32 v102, v125, v188, -v102
	v_fmac_f32_e32 v142, v134, v195
	v_add_f32_e32 v101, v101, v102
	v_mul_f32_e32 v102, v128, v190
	v_add_f32_e32 v141, v141, v142
	s_waitcnt vmcnt(24)
	v_mul_f32_e32 v142, v135, v198
	v_fma_f32 v102, v127, v189, -v102
	v_fmac_f32_e32 v142, v136, v197
	v_add_f32_e32 v101, v101, v102
	v_mul_f32_e32 v102, v130, v192
	v_add_f32_e32 v141, v141, v142
	s_waitcnt vmcnt(22) lgkmcnt(0)
	v_mul_f32_e32 v142, v137, v200
	v_fma_f32 v102, v129, v191, -v102
	v_fmac_f32_e32 v142, v138, v199
	v_add_f32_e32 v101, v101, v102
	v_mul_f32_e32 v102, v132, v193
	v_add_f32_e32 v145, v141, v142
	ds_read2_b64 v[141:144], v100 offset0:89 offset1:90
	v_fma_f32 v102, v131, v194, -v102
	v_add_f32_e32 v101, v101, v102
	v_mul_f32_e32 v102, v134, v196
	s_waitcnt vmcnt(20)
	v_mul_f32_e32 v146, v139, v202
	v_fma_f32 v102, v133, v195, -v102
	v_fmac_f32_e32 v146, v140, v201
	v_add_f32_e32 v101, v101, v102
	v_mul_f32_e32 v102, v136, v198
	v_add_f32_e32 v149, v145, v146
	ds_read2_b64 v[145:148], v100 offset0:91 offset1:92
	v_fma_f32 v102, v135, v197, -v102
	s_waitcnt vmcnt(18) lgkmcnt(1)
	v_mul_f32_e32 v150, v141, v204
	v_add_f32_e32 v101, v101, v102
	v_mul_f32_e32 v102, v138, v200
	v_fmac_f32_e32 v150, v142, v203
	v_fma_f32 v102, v137, v199, -v102
	v_add_f32_e32 v149, v149, v150
	s_waitcnt vmcnt(16)
	v_mul_f32_e32 v150, v143, v206
	v_add_f32_e32 v101, v101, v102
	v_mul_f32_e32 v102, v140, v202
	v_fmac_f32_e32 v150, v144, v205
	v_fma_f32 v102, v139, v201, -v102
	v_add_f32_e32 v149, v149, v150
	s_waitcnt vmcnt(14) lgkmcnt(0)
	v_mul_f32_e32 v150, v145, v208
	v_add_f32_e32 v101, v101, v102
	v_mul_f32_e32 v102, v142, v204
	v_fmac_f32_e32 v150, v146, v207
	v_fma_f32 v102, v141, v203, -v102
	v_add_f32_e32 v153, v149, v150
	ds_read2_b64 v[149:152], v100 offset0:93 offset1:94
	v_add_f32_e32 v101, v101, v102
	v_mul_f32_e32 v102, v144, v206
	v_fma_f32 v102, v143, v205, -v102
	v_add_f32_e32 v101, v101, v102
	v_mul_f32_e32 v102, v146, v208
	s_waitcnt vmcnt(12)
	v_mul_f32_e32 v154, v147, v210
	v_fma_f32 v102, v145, v207, -v102
	v_fmac_f32_e32 v154, v148, v209
	v_add_f32_e32 v101, v101, v102
	v_mul_f32_e32 v102, v148, v210
	v_add_f32_e32 v157, v153, v154
	ds_read2_b64 v[153:156], v100 offset0:95 offset1:96
	s_waitcnt vmcnt(10) lgkmcnt(1)
	v_mul_f32_e32 v158, v149, v212
	v_fma_f32 v102, v147, v209, -v102
	v_fmac_f32_e32 v158, v150, v211
	v_add_f32_e32 v101, v101, v102
	v_mul_f32_e32 v102, v150, v212
	v_add_f32_e32 v157, v157, v158
	s_waitcnt vmcnt(8)
	v_mul_f32_e32 v158, v151, v214
	v_fma_f32 v102, v149, v211, -v102
	v_fmac_f32_e32 v158, v152, v213
	v_add_f32_e32 v101, v101, v102
	v_mul_f32_e32 v102, v152, v214
	v_add_f32_e32 v223, v157, v158
	ds_read2_b64 v[157:160], v100 offset0:97 offset1:98
	v_fma_f32 v102, v151, v213, -v102
	v_add_f32_e32 v101, v101, v102
	s_waitcnt vmcnt(6) lgkmcnt(1)
	v_mul_f32_e32 v102, v154, v216
	v_mul_f32_e32 v224, v153, v216
	v_fma_f32 v102, v153, v215, -v102
	v_fmac_f32_e32 v224, v154, v215
	v_add_f32_e32 v101, v101, v102
	s_waitcnt vmcnt(4)
	v_mul_f32_e32 v102, v156, v218
	v_add_f32_e32 v100, v223, v224
	v_mul_f32_e32 v223, v155, v218
	v_fma_f32 v102, v155, v217, -v102
	v_fmac_f32_e32 v223, v156, v217
	v_add_f32_e32 v101, v101, v102
	s_waitcnt vmcnt(2) lgkmcnt(0)
	v_mul_f32_e32 v102, v158, v220
	v_add_f32_e32 v100, v100, v223
	v_mul_f32_e32 v223, v157, v220
	v_fma_f32 v102, v157, v219, -v102
	v_fmac_f32_e32 v223, v158, v219
	v_add_f32_e32 v101, v101, v102
	s_waitcnt vmcnt(0)
	v_mul_f32_e32 v102, v160, v222
	v_add_f32_e32 v100, v100, v223
	v_mul_f32_e32 v223, v159, v222
	v_fma_f32 v102, v159, v221, -v102
	v_fmac_f32_e32 v223, v160, v221
	v_add_f32_e32 v101, v101, v102
	v_add_f32_e32 v100, v100, v223
	v_sub_f32_e32 v101, v185, v101
	v_sub_f32_e32 v100, v186, v100
	buffer_store_dword v101, off, s[0:3], 0 offset:144
	buffer_store_dword v100, off, s[0:3], 0 offset:148
	s_and_saveexec_b64 s[4:5], vcc
	s_cbranch_execz .LBB48_273
; %bb.272:
	buffer_load_dword v100, off, s[0:3], 0 offset:136
	buffer_load_dword v101, off, s[0:3], 0 offset:140
	v_mov_b32_e32 v102, 0
	buffer_store_dword v102, off, s[0:3], 0 offset:136
	buffer_store_dword v102, off, s[0:3], 0 offset:140
	s_waitcnt vmcnt(2)
	ds_write_b64 v99, v[100:101]
.LBB48_273:
	s_or_b64 exec, exec, s[4:5]
	s_waitcnt lgkmcnt(0)
	; wave barrier
	buffer_load_dword v163, off, s[0:3], 0 offset:148
	buffer_load_dword v164, off, s[0:3], 0 offset:156
	;; [unrolled: 1-line block ×56, first 2 shown]
	v_mov_b32_e32 v100, 0
	ds_read_b128 v[101:104], v100 offset:544
	buffer_load_dword v219, off, s[0:3], 0 offset:360
	buffer_load_dword v220, off, s[0:3], 0 offset:364
	;; [unrolled: 1-line block ×4, first 2 shown]
	ds_read_b128 v[105:108], v100 offset:560
	ds_read_b128 v[109:112], v100 offset:576
	;; [unrolled: 1-line block ×3, first 2 shown]
	v_cmp_lt_u32_e32 vcc, 16, v0
	s_waitcnt vmcnt(59) lgkmcnt(3)
	v_mul_f32_e32 v117, v101, v163
	s_waitcnt vmcnt(58)
	v_mul_f32_e32 v118, v103, v164
	s_waitcnt vmcnt(57) lgkmcnt(2)
	v_mul_f32_e32 v119, v105, v165
	s_waitcnt vmcnt(56)
	v_mul_f32_e32 v120, v107, v166
	;; [unrolled: 4-line block ×4, first 2 shown]
	s_waitcnt vmcnt(51)
	v_fmac_f32_e32 v117, v102, v171
	s_waitcnt vmcnt(50)
	v_fmac_f32_e32 v118, v104, v172
	v_add_f32_e32 v117, 0, v117
	s_waitcnt vmcnt(49)
	v_fmac_f32_e32 v119, v106, v173
	v_add_f32_e32 v117, v117, v118
	;; [unrolled: 3-line block ×6, first 2 shown]
	v_add_f32_e32 v121, v117, v123
	ds_read_b128 v[117:120], v100 offset:608
	buffer_load_dword v223, off, s[0:3], 0 offset:380
	buffer_load_dword v224, off, s[0:3], 0 offset:376
	buffer_load_dword v225, off, s[0:3], 0 offset:384
	buffer_load_dword v226, off, s[0:3], 0 offset:388
	s_waitcnt vmcnt(48)
	v_fmac_f32_e32 v124, v116, v178
	v_add_f32_e32 v125, v121, v124
	ds_read_b128 v[121:124], v100 offset:624
	s_waitcnt vmcnt(47) lgkmcnt(1)
	v_mul_f32_e32 v126, v117, v179
	v_mul_f32_e32 v102, v102, v163
	s_waitcnt vmcnt(46)
	v_fmac_f32_e32 v126, v118, v180
	v_fma_f32 v101, v101, v171, -v102
	v_mul_f32_e32 v102, v104, v164
	v_add_f32_e32 v125, v125, v126
	s_waitcnt vmcnt(45)
	v_mul_f32_e32 v126, v119, v181
	v_add_f32_e32 v101, 0, v101
	v_fma_f32 v102, v103, v172, -v102
	s_waitcnt vmcnt(44)
	v_fmac_f32_e32 v126, v120, v182
	v_add_f32_e32 v101, v101, v102
	v_mul_f32_e32 v102, v106, v165
	v_add_f32_e32 v125, v125, v126
	s_waitcnt vmcnt(42) lgkmcnt(0)
	v_mul_f32_e32 v126, v121, v184
	v_fma_f32 v102, v105, v173, -v102
	v_fmac_f32_e32 v126, v122, v183
	v_add_f32_e32 v101, v101, v102
	v_mul_f32_e32 v102, v108, v166
	v_add_f32_e32 v129, v125, v126
	ds_read_b128 v[125:128], v100 offset:640
	v_fma_f32 v102, v107, v174, -v102
	v_add_f32_e32 v101, v101, v102
	v_mul_f32_e32 v102, v110, v167
	s_waitcnt vmcnt(39)
	v_mul_f32_e32 v130, v123, v187
	v_fma_f32 v102, v109, v175, -v102
	s_waitcnt vmcnt(38)
	v_fmac_f32_e32 v130, v124, v188
	v_add_f32_e32 v101, v101, v102
	v_mul_f32_e32 v102, v112, v168
	v_add_f32_e32 v133, v129, v130
	ds_read_b128 v[129:132], v100 offset:656
	v_fma_f32 v102, v111, v176, -v102
	s_waitcnt vmcnt(36) lgkmcnt(1)
	v_mul_f32_e32 v134, v125, v190
	v_add_f32_e32 v101, v101, v102
	v_mul_f32_e32 v102, v114, v169
	v_fmac_f32_e32 v134, v126, v189
	v_fma_f32 v102, v113, v177, -v102
	v_add_f32_e32 v133, v133, v134
	s_waitcnt vmcnt(34)
	v_mul_f32_e32 v134, v127, v192
	v_add_f32_e32 v101, v101, v102
	v_mul_f32_e32 v102, v116, v170
	v_fmac_f32_e32 v134, v128, v191
	v_fma_f32 v102, v115, v178, -v102
	v_add_f32_e32 v133, v133, v134
	s_waitcnt vmcnt(32) lgkmcnt(0)
	v_mul_f32_e32 v134, v129, v194
	v_add_f32_e32 v101, v101, v102
	v_mul_f32_e32 v102, v118, v179
	v_fmac_f32_e32 v134, v130, v193
	v_fma_f32 v102, v117, v180, -v102
	v_add_f32_e32 v137, v133, v134
	ds_read_b128 v[133:136], v100 offset:672
	v_add_f32_e32 v101, v101, v102
	v_mul_f32_e32 v102, v120, v181
	v_fma_f32 v102, v119, v182, -v102
	s_waitcnt vmcnt(30)
	v_mul_f32_e32 v138, v131, v196
	v_add_f32_e32 v101, v101, v102
	v_mul_f32_e32 v102, v122, v184
	v_fmac_f32_e32 v138, v132, v195
	v_fma_f32 v102, v121, v183, -v102
	v_add_f32_e32 v141, v137, v138
	ds_read_b128 v[137:140], v100 offset:688
	v_add_f32_e32 v101, v101, v102
	v_mul_f32_e32 v102, v124, v187
	s_waitcnt vmcnt(28) lgkmcnt(1)
	v_mul_f32_e32 v142, v133, v198
	v_fma_f32 v102, v123, v188, -v102
	v_fmac_f32_e32 v142, v134, v197
	v_add_f32_e32 v101, v101, v102
	v_mul_f32_e32 v102, v126, v190
	v_add_f32_e32 v141, v141, v142
	s_waitcnt vmcnt(26)
	v_mul_f32_e32 v142, v135, v200
	v_fma_f32 v102, v125, v189, -v102
	v_fmac_f32_e32 v142, v136, v199
	v_add_f32_e32 v101, v101, v102
	v_mul_f32_e32 v102, v128, v192
	v_add_f32_e32 v141, v141, v142
	s_waitcnt vmcnt(24) lgkmcnt(0)
	v_mul_f32_e32 v142, v137, v202
	v_fma_f32 v102, v127, v191, -v102
	v_fmac_f32_e32 v142, v138, v201
	v_add_f32_e32 v101, v101, v102
	v_mul_f32_e32 v102, v130, v194
	v_add_f32_e32 v145, v141, v142
	ds_read_b128 v[141:144], v100 offset:704
	v_fma_f32 v102, v129, v193, -v102
	v_add_f32_e32 v101, v101, v102
	v_mul_f32_e32 v102, v132, v196
	s_waitcnt vmcnt(22)
	v_mul_f32_e32 v146, v139, v204
	v_fma_f32 v102, v131, v195, -v102
	v_fmac_f32_e32 v146, v140, v203
	v_add_f32_e32 v101, v101, v102
	v_mul_f32_e32 v102, v134, v198
	v_add_f32_e32 v149, v145, v146
	ds_read_b128 v[145:148], v100 offset:720
	v_fma_f32 v102, v133, v197, -v102
	s_waitcnt vmcnt(20) lgkmcnt(1)
	v_mul_f32_e32 v150, v141, v206
	v_add_f32_e32 v101, v101, v102
	v_mul_f32_e32 v102, v136, v200
	v_fmac_f32_e32 v150, v142, v205
	v_fma_f32 v102, v135, v199, -v102
	v_add_f32_e32 v149, v149, v150
	s_waitcnt vmcnt(18)
	v_mul_f32_e32 v150, v143, v208
	v_add_f32_e32 v101, v101, v102
	v_mul_f32_e32 v102, v138, v202
	v_fmac_f32_e32 v150, v144, v207
	v_fma_f32 v102, v137, v201, -v102
	v_add_f32_e32 v149, v149, v150
	s_waitcnt vmcnt(16) lgkmcnt(0)
	v_mul_f32_e32 v150, v145, v210
	v_add_f32_e32 v101, v101, v102
	v_mul_f32_e32 v102, v140, v204
	v_fmac_f32_e32 v150, v146, v209
	v_fma_f32 v102, v139, v203, -v102
	v_add_f32_e32 v153, v149, v150
	ds_read_b128 v[149:152], v100 offset:736
	v_add_f32_e32 v101, v101, v102
	v_mul_f32_e32 v102, v142, v206
	v_fma_f32 v102, v141, v205, -v102
	s_waitcnt vmcnt(14)
	v_mul_f32_e32 v154, v147, v212
	v_add_f32_e32 v101, v101, v102
	v_mul_f32_e32 v102, v144, v208
	v_fmac_f32_e32 v154, v148, v211
	v_fma_f32 v102, v143, v207, -v102
	v_add_f32_e32 v157, v153, v154
	ds_read_b128 v[153:156], v100 offset:752
	v_add_f32_e32 v101, v101, v102
	v_mul_f32_e32 v102, v146, v210
	s_waitcnt vmcnt(12) lgkmcnt(1)
	v_mul_f32_e32 v158, v149, v214
	v_fma_f32 v102, v145, v209, -v102
	v_fmac_f32_e32 v158, v150, v213
	v_add_f32_e32 v101, v101, v102
	v_mul_f32_e32 v102, v148, v212
	v_add_f32_e32 v157, v157, v158
	s_waitcnt vmcnt(10)
	v_mul_f32_e32 v158, v151, v216
	v_fma_f32 v102, v147, v211, -v102
	v_fmac_f32_e32 v158, v152, v215
	v_add_f32_e32 v101, v101, v102
	v_mul_f32_e32 v102, v150, v214
	v_add_f32_e32 v157, v157, v158
	s_waitcnt vmcnt(8) lgkmcnt(0)
	v_mul_f32_e32 v158, v153, v218
	v_fma_f32 v102, v149, v213, -v102
	v_fmac_f32_e32 v158, v154, v217
	v_add_f32_e32 v101, v101, v102
	v_mul_f32_e32 v102, v152, v216
	v_add_f32_e32 v161, v157, v158
	ds_read_b128 v[157:160], v100 offset:768
	v_fma_f32 v102, v151, v215, -v102
	v_add_f32_e32 v101, v101, v102
	v_mul_f32_e32 v102, v154, v218
	s_waitcnt vmcnt(6)
	v_mul_f32_e32 v162, v155, v220
	v_fma_f32 v102, v153, v217, -v102
	v_fmac_f32_e32 v162, v156, v219
	v_add_f32_e32 v101, v101, v102
	v_mul_f32_e32 v102, v156, v220
	v_add_f32_e32 v227, v161, v162
	ds_read_b64 v[161:162], v100 offset:784
	v_fma_f32 v102, v155, v219, -v102
	v_add_f32_e32 v101, v101, v102
	s_waitcnt vmcnt(4) lgkmcnt(1)
	v_mul_f32_e32 v102, v158, v222
	v_mul_f32_e32 v228, v157, v222
	v_fma_f32 v102, v157, v221, -v102
	v_fmac_f32_e32 v228, v158, v221
	v_add_f32_e32 v101, v101, v102
	s_waitcnt vmcnt(3)
	v_mul_f32_e32 v102, v160, v223
	v_add_f32_e32 v227, v227, v228
	v_mul_f32_e32 v228, v159, v223
	s_waitcnt vmcnt(2)
	v_fma_f32 v102, v159, v224, -v102
	v_fmac_f32_e32 v228, v160, v224
	v_add_f32_e32 v101, v101, v102
	s_waitcnt vmcnt(0) lgkmcnt(0)
	v_mul_f32_e32 v102, v162, v226
	v_add_f32_e32 v227, v227, v228
	v_mul_f32_e32 v228, v161, v226
	v_fma_f32 v102, v161, v225, -v102
	v_fmac_f32_e32 v228, v162, v225
	v_add_f32_e32 v101, v101, v102
	v_add_f32_e32 v227, v227, v228
	v_sub_f32_e32 v101, v185, v101
	v_sub_f32_e32 v102, v186, v227
	buffer_store_dword v101, off, s[0:3], 0 offset:136
	buffer_store_dword v102, off, s[0:3], 0 offset:140
	s_and_saveexec_b64 s[4:5], vcc
	s_cbranch_execz .LBB48_275
; %bb.274:
	buffer_load_dword v101, off, s[0:3], 0 offset:128
	buffer_load_dword v102, off, s[0:3], 0 offset:132
	s_waitcnt vmcnt(0)
	ds_write_b64 v99, v[101:102]
	buffer_store_dword v100, off, s[0:3], 0 offset:128
	buffer_store_dword v100, off, s[0:3], 0 offset:132
.LBB48_275:
	s_or_b64 exec, exec, s[4:5]
	s_waitcnt lgkmcnt(0)
	; wave barrier
	buffer_load_dword v165, off, s[0:3], 0 offset:140
	buffer_load_dword v166, off, s[0:3], 0 offset:148
	;; [unrolled: 1-line block ×26, first 2 shown]
	ds_read2_b64 v[101:104], v100 offset0:67 offset1:68
	ds_read2_b64 v[105:108], v100 offset0:69 offset1:70
	;; [unrolled: 1-line block ×4, first 2 shown]
	buffer_load_dword v191, off, s[0:3], 0 offset:236
	buffer_load_dword v192, off, s[0:3], 0 offset:232
	;; [unrolled: 1-line block ×34, first 2 shown]
	v_cmp_lt_u32_e32 vcc, 15, v0
	s_waitcnt vmcnt(59) lgkmcnt(3)
	v_mul_f32_e32 v117, v101, v165
	s_waitcnt vmcnt(58)
	v_mul_f32_e32 v118, v103, v166
	s_waitcnt vmcnt(57) lgkmcnt(2)
	v_mul_f32_e32 v119, v105, v167
	s_waitcnt vmcnt(56)
	v_mul_f32_e32 v120, v107, v168
	;; [unrolled: 4-line block ×4, first 2 shown]
	s_waitcnt vmcnt(51)
	v_fmac_f32_e32 v117, v102, v173
	s_waitcnt vmcnt(50)
	v_fmac_f32_e32 v118, v104, v174
	v_add_f32_e32 v117, 0, v117
	s_waitcnt vmcnt(49)
	v_fmac_f32_e32 v119, v106, v175
	v_add_f32_e32 v117, v117, v118
	;; [unrolled: 3-line block ×7, first 2 shown]
	v_add_f32_e32 v125, v117, v124
	ds_read2_b64 v[117:120], v100 offset0:75 offset1:76
	buffer_load_dword v225, off, s[0:3], 0 offset:372
	buffer_load_dword v226, off, s[0:3], 0 offset:368
	;; [unrolled: 1-line block ×4, first 2 shown]
	ds_read2_b64 v[121:124], v100 offset0:77 offset1:78
	buffer_load_dword v229, off, s[0:3], 0 offset:384
	buffer_load_dword v230, off, s[0:3], 0 offset:388
	v_mul_f32_e32 v102, v102, v165
	s_waitcnt vmcnt(49) lgkmcnt(1)
	v_mul_f32_e32 v126, v117, v181
	s_waitcnt vmcnt(48)
	v_fmac_f32_e32 v126, v118, v182
	v_fma_f32 v101, v101, v173, -v102
	v_mul_f32_e32 v102, v104, v166
	v_add_f32_e32 v125, v125, v126
	s_waitcnt vmcnt(46)
	v_mul_f32_e32 v126, v119, v184
	v_add_f32_e32 v101, 0, v101
	v_fma_f32 v102, v103, v174, -v102
	v_fmac_f32_e32 v126, v120, v183
	v_add_f32_e32 v101, v101, v102
	v_mul_f32_e32 v102, v106, v167
	v_add_f32_e32 v125, v125, v126
	s_waitcnt vmcnt(43) lgkmcnt(0)
	v_mul_f32_e32 v126, v121, v187
	v_fma_f32 v102, v105, v175, -v102
	s_waitcnt vmcnt(42)
	v_fmac_f32_e32 v126, v122, v188
	v_add_f32_e32 v101, v101, v102
	v_mul_f32_e32 v102, v108, v168
	v_add_f32_e32 v129, v125, v126
	ds_read2_b64 v[125:128], v100 offset0:79 offset1:80
	v_fma_f32 v102, v107, v176, -v102
	v_add_f32_e32 v101, v101, v102
	v_mul_f32_e32 v102, v110, v169
	s_waitcnt vmcnt(40)
	v_mul_f32_e32 v130, v123, v190
	v_fma_f32 v102, v109, v177, -v102
	v_fmac_f32_e32 v130, v124, v189
	v_add_f32_e32 v101, v101, v102
	v_mul_f32_e32 v102, v112, v170
	v_add_f32_e32 v133, v129, v130
	ds_read2_b64 v[129:132], v100 offset0:81 offset1:82
	v_fma_f32 v102, v111, v178, -v102
	s_waitcnt vmcnt(39) lgkmcnt(1)
	v_mul_f32_e32 v134, v125, v191
	v_add_f32_e32 v101, v101, v102
	v_mul_f32_e32 v102, v114, v171
	s_waitcnt vmcnt(38)
	v_fmac_f32_e32 v134, v126, v192
	v_fma_f32 v102, v113, v179, -v102
	v_add_f32_e32 v133, v133, v134
	s_waitcnt vmcnt(36)
	v_mul_f32_e32 v134, v127, v194
	v_add_f32_e32 v101, v101, v102
	v_mul_f32_e32 v102, v116, v172
	v_fmac_f32_e32 v134, v128, v193
	v_fma_f32 v102, v115, v180, -v102
	v_add_f32_e32 v133, v133, v134
	s_waitcnt vmcnt(34) lgkmcnt(0)
	v_mul_f32_e32 v134, v129, v196
	v_add_f32_e32 v101, v101, v102
	v_mul_f32_e32 v102, v118, v181
	v_fmac_f32_e32 v134, v130, v195
	v_fma_f32 v102, v117, v182, -v102
	v_add_f32_e32 v137, v133, v134
	ds_read2_b64 v[133:136], v100 offset0:83 offset1:84
	v_add_f32_e32 v101, v101, v102
	v_mul_f32_e32 v102, v120, v184
	v_fma_f32 v102, v119, v183, -v102
	s_waitcnt vmcnt(32)
	v_mul_f32_e32 v138, v131, v198
	v_add_f32_e32 v101, v101, v102
	v_mul_f32_e32 v102, v122, v187
	v_fmac_f32_e32 v138, v132, v197
	v_fma_f32 v102, v121, v188, -v102
	v_add_f32_e32 v141, v137, v138
	ds_read2_b64 v[137:140], v100 offset0:85 offset1:86
	v_add_f32_e32 v101, v101, v102
	v_mul_f32_e32 v102, v124, v190
	s_waitcnt vmcnt(30) lgkmcnt(1)
	v_mul_f32_e32 v142, v133, v200
	v_fma_f32 v102, v123, v189, -v102
	v_fmac_f32_e32 v142, v134, v199
	v_add_f32_e32 v101, v101, v102
	v_mul_f32_e32 v102, v126, v191
	v_add_f32_e32 v141, v141, v142
	s_waitcnt vmcnt(28)
	v_mul_f32_e32 v142, v135, v202
	v_fma_f32 v102, v125, v192, -v102
	v_fmac_f32_e32 v142, v136, v201
	v_add_f32_e32 v101, v101, v102
	v_mul_f32_e32 v102, v128, v194
	v_add_f32_e32 v141, v141, v142
	s_waitcnt vmcnt(26) lgkmcnt(0)
	v_mul_f32_e32 v142, v137, v204
	v_fma_f32 v102, v127, v193, -v102
	v_fmac_f32_e32 v142, v138, v203
	v_add_f32_e32 v101, v101, v102
	v_mul_f32_e32 v102, v130, v196
	v_add_f32_e32 v145, v141, v142
	ds_read2_b64 v[141:144], v100 offset0:87 offset1:88
	v_fma_f32 v102, v129, v195, -v102
	v_add_f32_e32 v101, v101, v102
	v_mul_f32_e32 v102, v132, v198
	s_waitcnt vmcnt(24)
	v_mul_f32_e32 v146, v139, v206
	v_fma_f32 v102, v131, v197, -v102
	v_fmac_f32_e32 v146, v140, v205
	v_add_f32_e32 v101, v101, v102
	v_mul_f32_e32 v102, v134, v200
	v_add_f32_e32 v149, v145, v146
	ds_read2_b64 v[145:148], v100 offset0:89 offset1:90
	v_fma_f32 v102, v133, v199, -v102
	s_waitcnt vmcnt(22) lgkmcnt(1)
	v_mul_f32_e32 v150, v141, v208
	v_add_f32_e32 v101, v101, v102
	v_mul_f32_e32 v102, v136, v202
	v_fmac_f32_e32 v150, v142, v207
	v_fma_f32 v102, v135, v201, -v102
	v_add_f32_e32 v149, v149, v150
	s_waitcnt vmcnt(20)
	v_mul_f32_e32 v150, v143, v210
	v_add_f32_e32 v101, v101, v102
	v_mul_f32_e32 v102, v138, v204
	v_fmac_f32_e32 v150, v144, v209
	v_fma_f32 v102, v137, v203, -v102
	v_add_f32_e32 v149, v149, v150
	s_waitcnt vmcnt(18) lgkmcnt(0)
	v_mul_f32_e32 v150, v145, v212
	v_add_f32_e32 v101, v101, v102
	v_mul_f32_e32 v102, v140, v206
	v_fmac_f32_e32 v150, v146, v211
	v_fma_f32 v102, v139, v205, -v102
	v_add_f32_e32 v153, v149, v150
	ds_read2_b64 v[149:152], v100 offset0:91 offset1:92
	v_add_f32_e32 v101, v101, v102
	v_mul_f32_e32 v102, v142, v208
	v_fma_f32 v102, v141, v207, -v102
	s_waitcnt vmcnt(16)
	v_mul_f32_e32 v154, v147, v214
	v_add_f32_e32 v101, v101, v102
	v_mul_f32_e32 v102, v144, v210
	v_fmac_f32_e32 v154, v148, v213
	v_fma_f32 v102, v143, v209, -v102
	v_add_f32_e32 v157, v153, v154
	ds_read2_b64 v[153:156], v100 offset0:93 offset1:94
	v_add_f32_e32 v101, v101, v102
	v_mul_f32_e32 v102, v146, v212
	s_waitcnt vmcnt(14) lgkmcnt(1)
	v_mul_f32_e32 v158, v149, v216
	v_fma_f32 v102, v145, v211, -v102
	v_fmac_f32_e32 v158, v150, v215
	v_add_f32_e32 v101, v101, v102
	v_mul_f32_e32 v102, v148, v214
	v_add_f32_e32 v157, v157, v158
	s_waitcnt vmcnt(12)
	v_mul_f32_e32 v158, v151, v218
	v_fma_f32 v102, v147, v213, -v102
	v_fmac_f32_e32 v158, v152, v217
	v_add_f32_e32 v101, v101, v102
	v_mul_f32_e32 v102, v150, v216
	v_add_f32_e32 v157, v157, v158
	s_waitcnt vmcnt(10) lgkmcnt(0)
	v_mul_f32_e32 v158, v153, v220
	v_fma_f32 v102, v149, v215, -v102
	v_fmac_f32_e32 v158, v154, v219
	v_add_f32_e32 v101, v101, v102
	v_mul_f32_e32 v102, v152, v218
	v_add_f32_e32 v161, v157, v158
	ds_read2_b64 v[157:160], v100 offset0:95 offset1:96
	v_fma_f32 v102, v151, v217, -v102
	v_add_f32_e32 v101, v101, v102
	v_mul_f32_e32 v102, v154, v220
	s_waitcnt vmcnt(8)
	v_mul_f32_e32 v162, v155, v222
	v_fma_f32 v102, v153, v219, -v102
	v_fmac_f32_e32 v162, v156, v221
	v_add_f32_e32 v101, v101, v102
	v_mul_f32_e32 v102, v156, v222
	v_add_f32_e32 v231, v161, v162
	ds_read2_b64 v[161:164], v100 offset0:97 offset1:98
	v_fma_f32 v102, v155, v221, -v102
	v_add_f32_e32 v101, v101, v102
	s_waitcnt vmcnt(6) lgkmcnt(1)
	v_mul_f32_e32 v102, v158, v224
	v_mul_f32_e32 v100, v157, v224
	v_fma_f32 v102, v157, v223, -v102
	v_fmac_f32_e32 v100, v158, v223
	v_add_f32_e32 v101, v101, v102
	s_waitcnt vmcnt(5)
	v_mul_f32_e32 v102, v160, v225
	v_add_f32_e32 v100, v231, v100
	v_mul_f32_e32 v231, v159, v225
	s_waitcnt vmcnt(4)
	v_fma_f32 v102, v159, v226, -v102
	v_fmac_f32_e32 v231, v160, v226
	v_add_f32_e32 v101, v101, v102
	s_waitcnt vmcnt(2) lgkmcnt(0)
	v_mul_f32_e32 v102, v162, v228
	v_add_f32_e32 v100, v100, v231
	v_mul_f32_e32 v231, v161, v228
	v_fma_f32 v102, v161, v227, -v102
	v_fmac_f32_e32 v231, v162, v227
	v_add_f32_e32 v101, v101, v102
	s_waitcnt vmcnt(0)
	v_mul_f32_e32 v102, v164, v230
	v_add_f32_e32 v100, v100, v231
	v_mul_f32_e32 v231, v163, v230
	v_fma_f32 v102, v163, v229, -v102
	v_fmac_f32_e32 v231, v164, v229
	v_add_f32_e32 v101, v101, v102
	v_add_f32_e32 v100, v100, v231
	v_sub_f32_e32 v101, v185, v101
	v_sub_f32_e32 v100, v186, v100
	buffer_store_dword v101, off, s[0:3], 0 offset:128
	buffer_store_dword v100, off, s[0:3], 0 offset:132
	s_and_saveexec_b64 s[4:5], vcc
	s_cbranch_execz .LBB48_277
; %bb.276:
	buffer_load_dword v100, off, s[0:3], 0 offset:120
	buffer_load_dword v101, off, s[0:3], 0 offset:124
	v_mov_b32_e32 v102, 0
	buffer_store_dword v102, off, s[0:3], 0 offset:120
	buffer_store_dword v102, off, s[0:3], 0 offset:124
	s_waitcnt vmcnt(2)
	ds_write_b64 v99, v[100:101]
.LBB48_277:
	s_or_b64 exec, exec, s[4:5]
	s_waitcnt lgkmcnt(0)
	; wave barrier
	buffer_load_dword v167, off, s[0:3], 0 offset:132
	buffer_load_dword v168, off, s[0:3], 0 offset:140
	;; [unrolled: 1-line block ×58, first 2 shown]
	v_mov_b32_e32 v100, 0
	ds_read_b128 v[101:104], v100 offset:528
	ds_read_b128 v[105:108], v100 offset:544
	;; [unrolled: 1-line block ×5, first 2 shown]
	buffer_load_dword v225, off, s[0:3], 0 offset:352
	buffer_load_dword v226, off, s[0:3], 0 offset:356
	v_cmp_lt_u32_e32 vcc, 14, v0
	s_waitcnt vmcnt(59) lgkmcnt(4)
	v_mul_f32_e32 v121, v101, v167
	s_waitcnt vmcnt(58)
	v_mul_f32_e32 v122, v103, v168
	s_waitcnt vmcnt(57) lgkmcnt(3)
	v_mul_f32_e32 v123, v105, v169
	s_waitcnt vmcnt(56)
	v_mul_f32_e32 v124, v107, v170
	;; [unrolled: 4-line block ×4, first 2 shown]
	s_waitcnt vmcnt(51)
	v_fmac_f32_e32 v121, v102, v175
	s_waitcnt vmcnt(50)
	v_fmac_f32_e32 v122, v104, v176
	v_add_f32_e32 v121, 0, v121
	s_waitcnt vmcnt(49)
	v_fmac_f32_e32 v123, v106, v177
	v_add_f32_e32 v121, v121, v122
	;; [unrolled: 3-line block ×7, first 2 shown]
	v_add_f32_e32 v125, v121, v128
	ds_read_b128 v[121:124], v100 offset:608
	buffer_load_dword v227, off, s[0:3], 0 offset:364
	buffer_load_dword v228, off, s[0:3], 0 offset:360
	;; [unrolled: 1-line block ×8, first 2 shown]
	s_waitcnt vmcnt(51) lgkmcnt(1)
	v_mul_f32_e32 v126, v117, v183
	s_waitcnt vmcnt(50)
	v_fmac_f32_e32 v126, v118, v184
	v_mul_f32_e32 v102, v102, v167
	v_add_f32_e32 v125, v125, v126
	s_waitcnt vmcnt(49)
	v_mul_f32_e32 v126, v119, v185
	v_fma_f32 v101, v101, v175, -v102
	v_mul_f32_e32 v102, v104, v168
	s_waitcnt vmcnt(46)
	v_fmac_f32_e32 v126, v120, v188
	v_add_f32_e32 v101, 0, v101
	v_fma_f32 v102, v103, v176, -v102
	v_add_f32_e32 v125, v125, v126
	s_waitcnt vmcnt(44) lgkmcnt(0)
	v_mul_f32_e32 v126, v121, v190
	v_add_f32_e32 v101, v101, v102
	v_mul_f32_e32 v102, v106, v169
	v_fmac_f32_e32 v126, v122, v189
	v_fma_f32 v102, v105, v177, -v102
	v_add_f32_e32 v129, v125, v126
	ds_read_b128 v[125:128], v100 offset:624
	v_add_f32_e32 v101, v101, v102
	v_mul_f32_e32 v102, v108, v170
	v_fma_f32 v102, v107, v178, -v102
	s_waitcnt vmcnt(42)
	v_mul_f32_e32 v130, v123, v192
	v_add_f32_e32 v101, v101, v102
	v_mul_f32_e32 v102, v110, v171
	v_fmac_f32_e32 v130, v124, v191
	v_fma_f32 v102, v109, v179, -v102
	v_add_f32_e32 v133, v129, v130
	ds_read_b128 v[129:132], v100 offset:640
	v_add_f32_e32 v101, v101, v102
	v_mul_f32_e32 v102, v112, v172
	s_waitcnt vmcnt(40) lgkmcnt(1)
	v_mul_f32_e32 v134, v125, v194
	v_fma_f32 v102, v111, v180, -v102
	v_fmac_f32_e32 v134, v126, v193
	v_add_f32_e32 v101, v101, v102
	v_mul_f32_e32 v102, v114, v173
	v_add_f32_e32 v133, v133, v134
	s_waitcnt vmcnt(38)
	v_mul_f32_e32 v134, v127, v196
	v_fma_f32 v102, v113, v181, -v102
	v_fmac_f32_e32 v134, v128, v195
	v_add_f32_e32 v101, v101, v102
	v_mul_f32_e32 v102, v116, v174
	v_add_f32_e32 v133, v133, v134
	s_waitcnt vmcnt(36) lgkmcnt(0)
	v_mul_f32_e32 v134, v129, v198
	v_fma_f32 v102, v115, v182, -v102
	v_fmac_f32_e32 v134, v130, v197
	v_add_f32_e32 v101, v101, v102
	v_mul_f32_e32 v102, v118, v183
	v_add_f32_e32 v137, v133, v134
	ds_read_b128 v[133:136], v100 offset:656
	v_fma_f32 v102, v117, v184, -v102
	v_add_f32_e32 v101, v101, v102
	v_mul_f32_e32 v102, v120, v185
	s_waitcnt vmcnt(34)
	v_mul_f32_e32 v138, v131, v200
	v_fma_f32 v102, v119, v188, -v102
	v_fmac_f32_e32 v138, v132, v199
	v_add_f32_e32 v101, v101, v102
	v_mul_f32_e32 v102, v122, v190
	v_add_f32_e32 v141, v137, v138
	ds_read_b128 v[137:140], v100 offset:672
	v_fma_f32 v102, v121, v189, -v102
	s_waitcnt vmcnt(32) lgkmcnt(1)
	v_mul_f32_e32 v142, v133, v202
	v_add_f32_e32 v101, v101, v102
	v_mul_f32_e32 v102, v124, v192
	v_fmac_f32_e32 v142, v134, v201
	v_fma_f32 v102, v123, v191, -v102
	v_add_f32_e32 v141, v141, v142
	s_waitcnt vmcnt(30)
	v_mul_f32_e32 v142, v135, v204
	v_add_f32_e32 v101, v101, v102
	v_mul_f32_e32 v102, v126, v194
	v_fmac_f32_e32 v142, v136, v203
	v_fma_f32 v102, v125, v193, -v102
	v_add_f32_e32 v141, v141, v142
	s_waitcnt vmcnt(28) lgkmcnt(0)
	v_mul_f32_e32 v142, v137, v206
	v_add_f32_e32 v101, v101, v102
	v_mul_f32_e32 v102, v128, v196
	v_fmac_f32_e32 v142, v138, v205
	v_fma_f32 v102, v127, v195, -v102
	v_add_f32_e32 v145, v141, v142
	ds_read_b128 v[141:144], v100 offset:688
	v_add_f32_e32 v101, v101, v102
	v_mul_f32_e32 v102, v130, v198
	v_fma_f32 v102, v129, v197, -v102
	s_waitcnt vmcnt(26)
	v_mul_f32_e32 v146, v139, v208
	v_add_f32_e32 v101, v101, v102
	v_mul_f32_e32 v102, v132, v200
	v_fmac_f32_e32 v146, v140, v207
	v_fma_f32 v102, v131, v199, -v102
	v_add_f32_e32 v149, v145, v146
	ds_read_b128 v[145:148], v100 offset:704
	v_add_f32_e32 v101, v101, v102
	v_mul_f32_e32 v102, v134, v202
	s_waitcnt vmcnt(24) lgkmcnt(1)
	v_mul_f32_e32 v150, v141, v210
	v_fma_f32 v102, v133, v201, -v102
	v_fmac_f32_e32 v150, v142, v209
	v_add_f32_e32 v101, v101, v102
	v_mul_f32_e32 v102, v136, v204
	v_add_f32_e32 v149, v149, v150
	s_waitcnt vmcnt(22)
	v_mul_f32_e32 v150, v143, v212
	v_fma_f32 v102, v135, v203, -v102
	v_fmac_f32_e32 v150, v144, v211
	v_add_f32_e32 v101, v101, v102
	v_mul_f32_e32 v102, v138, v206
	v_add_f32_e32 v149, v149, v150
	s_waitcnt vmcnt(20) lgkmcnt(0)
	v_mul_f32_e32 v150, v145, v214
	v_fma_f32 v102, v137, v205, -v102
	v_fmac_f32_e32 v150, v146, v213
	v_add_f32_e32 v101, v101, v102
	v_mul_f32_e32 v102, v140, v208
	v_add_f32_e32 v153, v149, v150
	ds_read_b128 v[149:152], v100 offset:720
	v_fma_f32 v102, v139, v207, -v102
	v_add_f32_e32 v101, v101, v102
	v_mul_f32_e32 v102, v142, v210
	s_waitcnt vmcnt(18)
	v_mul_f32_e32 v154, v147, v216
	v_fma_f32 v102, v141, v209, -v102
	v_fmac_f32_e32 v154, v148, v215
	v_add_f32_e32 v101, v101, v102
	v_mul_f32_e32 v102, v144, v212
	v_add_f32_e32 v157, v153, v154
	ds_read_b128 v[153:156], v100 offset:736
	v_fma_f32 v102, v143, v211, -v102
	s_waitcnt vmcnt(16) lgkmcnt(1)
	v_mul_f32_e32 v158, v149, v218
	v_add_f32_e32 v101, v101, v102
	v_mul_f32_e32 v102, v146, v214
	v_fmac_f32_e32 v158, v150, v217
	v_fma_f32 v102, v145, v213, -v102
	v_add_f32_e32 v157, v157, v158
	s_waitcnt vmcnt(14)
	v_mul_f32_e32 v158, v151, v220
	v_add_f32_e32 v101, v101, v102
	v_mul_f32_e32 v102, v148, v216
	v_fmac_f32_e32 v158, v152, v219
	v_fma_f32 v102, v147, v215, -v102
	v_add_f32_e32 v157, v157, v158
	s_waitcnt vmcnt(12) lgkmcnt(0)
	v_mul_f32_e32 v158, v153, v222
	v_add_f32_e32 v101, v101, v102
	v_mul_f32_e32 v102, v150, v218
	v_fmac_f32_e32 v158, v154, v221
	v_fma_f32 v102, v149, v217, -v102
	v_add_f32_e32 v161, v157, v158
	ds_read_b128 v[157:160], v100 offset:752
	v_add_f32_e32 v101, v101, v102
	v_mul_f32_e32 v102, v152, v220
	v_fma_f32 v102, v151, v219, -v102
	v_add_f32_e32 v101, v101, v102
	v_mul_f32_e32 v102, v154, v222
	s_waitcnt vmcnt(10)
	v_mul_f32_e32 v162, v155, v224
	v_fma_f32 v102, v153, v221, -v102
	v_fmac_f32_e32 v162, v156, v223
	v_add_f32_e32 v101, v101, v102
	v_mul_f32_e32 v102, v156, v224
	v_add_f32_e32 v165, v161, v162
	ds_read_b128 v[161:164], v100 offset:768
	s_waitcnt vmcnt(8) lgkmcnt(1)
	v_mul_f32_e32 v166, v157, v226
	v_fma_f32 v102, v155, v223, -v102
	v_fmac_f32_e32 v166, v158, v225
	v_add_f32_e32 v101, v101, v102
	v_mul_f32_e32 v102, v158, v226
	v_add_f32_e32 v165, v165, v166
	s_waitcnt vmcnt(7)
	v_mul_f32_e32 v166, v159, v227
	v_fma_f32 v102, v157, v225, -v102
	s_waitcnt vmcnt(6)
	v_fmac_f32_e32 v166, v160, v228
	v_add_f32_e32 v101, v101, v102
	v_mul_f32_e32 v102, v160, v227
	v_add_f32_e32 v235, v165, v166
	ds_read_b64 v[165:166], v100 offset:784
	v_fma_f32 v102, v159, v228, -v102
	v_add_f32_e32 v101, v101, v102
	s_waitcnt vmcnt(4) lgkmcnt(1)
	v_mul_f32_e32 v102, v162, v230
	v_mul_f32_e32 v236, v161, v230
	v_fma_f32 v102, v161, v229, -v102
	v_fmac_f32_e32 v236, v162, v229
	v_add_f32_e32 v101, v101, v102
	s_waitcnt vmcnt(3)
	v_mul_f32_e32 v102, v164, v231
	v_add_f32_e32 v235, v235, v236
	v_mul_f32_e32 v236, v163, v231
	s_waitcnt vmcnt(2)
	v_fma_f32 v102, v163, v232, -v102
	v_fmac_f32_e32 v236, v164, v232
	v_add_f32_e32 v101, v101, v102
	s_waitcnt vmcnt(0) lgkmcnt(0)
	v_mul_f32_e32 v102, v166, v234
	v_add_f32_e32 v235, v235, v236
	v_mul_f32_e32 v236, v165, v234
	v_fma_f32 v102, v165, v233, -v102
	v_fmac_f32_e32 v236, v166, v233
	v_add_f32_e32 v101, v101, v102
	v_add_f32_e32 v235, v235, v236
	v_sub_f32_e32 v101, v186, v101
	v_sub_f32_e32 v102, v187, v235
	buffer_store_dword v101, off, s[0:3], 0 offset:120
	buffer_store_dword v102, off, s[0:3], 0 offset:124
	s_and_saveexec_b64 s[4:5], vcc
	s_cbranch_execz .LBB48_279
; %bb.278:
	buffer_load_dword v101, off, s[0:3], 0 offset:112
	buffer_load_dword v102, off, s[0:3], 0 offset:116
	s_waitcnt vmcnt(0)
	ds_write_b64 v99, v[101:102]
	buffer_store_dword v100, off, s[0:3], 0 offset:112
	buffer_store_dword v100, off, s[0:3], 0 offset:116
.LBB48_279:
	s_or_b64 exec, exec, s[4:5]
	s_waitcnt lgkmcnt(0)
	; wave barrier
	buffer_load_dword v169, off, s[0:3], 0 offset:124
	buffer_load_dword v170, off, s[0:3], 0 offset:132
	;; [unrolled: 1-line block ×24, first 2 shown]
	ds_read2_b64 v[101:104], v100 offset0:65 offset1:66
	ds_read2_b64 v[105:108], v100 offset0:67 offset1:68
	;; [unrolled: 1-line block ×6, first 2 shown]
	buffer_load_dword v193, off, s[0:3], 0 offset:212
	buffer_load_dword v194, off, s[0:3], 0 offset:208
	;; [unrolled: 1-line block ×46, first 2 shown]
	v_cmp_lt_u32_e32 vcc, 13, v0
	s_waitcnt vmcnt(62) lgkmcnt(5)
	v_mul_f32_e32 v125, v101, v169
	v_mul_f32_e32 v126, v103, v170
	s_waitcnt lgkmcnt(4)
	v_mul_f32_e32 v127, v105, v171
	v_mul_f32_e32 v128, v107, v172
	s_waitcnt lgkmcnt(3)
	;; [unrolled: 3-line block ×3, first 2 shown]
	v_mul_f32_e32 v131, v113, v175
	v_mul_f32_e32 v132, v115, v176
	s_waitcnt vmcnt(61)
	v_fmac_f32_e32 v125, v102, v177
	s_waitcnt vmcnt(60)
	v_fmac_f32_e32 v126, v104, v178
	v_add_f32_e32 v125, 0, v125
	s_waitcnt vmcnt(59)
	v_fmac_f32_e32 v127, v106, v179
	v_add_f32_e32 v125, v125, v126
	;; [unrolled: 3-line block ×7, first 2 shown]
	s_waitcnt vmcnt(53) lgkmcnt(1)
	v_mul_f32_e32 v126, v117, v185
	v_add_f32_e32 v125, v125, v132
	s_waitcnt vmcnt(52)
	v_fmac_f32_e32 v126, v118, v186
	v_mul_f32_e32 v102, v102, v169
	v_add_f32_e32 v125, v125, v126
	s_waitcnt vmcnt(51)
	v_mul_f32_e32 v126, v119, v187
	v_fma_f32 v101, v101, v177, -v102
	v_mul_f32_e32 v102, v104, v170
	s_waitcnt vmcnt(50)
	v_fmac_f32_e32 v126, v120, v188
	v_add_f32_e32 v101, 0, v101
	v_fma_f32 v102, v103, v178, -v102
	v_add_f32_e32 v125, v125, v126
	s_waitcnt vmcnt(47) lgkmcnt(0)
	v_mul_f32_e32 v126, v121, v191
	v_add_f32_e32 v101, v101, v102
	v_mul_f32_e32 v102, v106, v171
	s_waitcnt vmcnt(46)
	v_fmac_f32_e32 v126, v122, v192
	v_fma_f32 v102, v105, v179, -v102
	v_add_f32_e32 v129, v125, v126
	ds_read2_b64 v[125:128], v100 offset0:77 offset1:78
	v_add_f32_e32 v101, v101, v102
	v_mul_f32_e32 v102, v108, v172
	v_fma_f32 v102, v107, v180, -v102
	s_waitcnt vmcnt(45)
	v_mul_f32_e32 v130, v123, v193
	v_add_f32_e32 v101, v101, v102
	v_mul_f32_e32 v102, v110, v173
	s_waitcnt vmcnt(44)
	v_fmac_f32_e32 v130, v124, v194
	v_fma_f32 v102, v109, v181, -v102
	v_add_f32_e32 v133, v129, v130
	ds_read2_b64 v[129:132], v100 offset0:79 offset1:80
	v_add_f32_e32 v101, v101, v102
	v_mul_f32_e32 v102, v112, v174
	s_waitcnt vmcnt(42) lgkmcnt(1)
	v_mul_f32_e32 v134, v125, v196
	v_fma_f32 v102, v111, v182, -v102
	v_fmac_f32_e32 v134, v126, v195
	v_add_f32_e32 v101, v101, v102
	v_mul_f32_e32 v102, v114, v175
	v_add_f32_e32 v133, v133, v134
	s_waitcnt vmcnt(40)
	v_mul_f32_e32 v134, v127, v198
	v_fma_f32 v102, v113, v183, -v102
	v_fmac_f32_e32 v134, v128, v197
	v_add_f32_e32 v101, v101, v102
	v_mul_f32_e32 v102, v116, v176
	v_add_f32_e32 v133, v133, v134
	s_waitcnt vmcnt(38) lgkmcnt(0)
	v_mul_f32_e32 v134, v129, v200
	v_fma_f32 v102, v115, v184, -v102
	v_fmac_f32_e32 v134, v130, v199
	v_add_f32_e32 v101, v101, v102
	v_mul_f32_e32 v102, v118, v185
	v_add_f32_e32 v137, v133, v134
	ds_read2_b64 v[133:136], v100 offset0:81 offset1:82
	v_fma_f32 v102, v117, v186, -v102
	v_add_f32_e32 v101, v101, v102
	v_mul_f32_e32 v102, v120, v187
	s_waitcnt vmcnt(36)
	v_mul_f32_e32 v138, v131, v202
	v_fma_f32 v102, v119, v188, -v102
	v_fmac_f32_e32 v138, v132, v201
	v_add_f32_e32 v101, v101, v102
	v_mul_f32_e32 v102, v122, v191
	v_add_f32_e32 v141, v137, v138
	ds_read2_b64 v[137:140], v100 offset0:83 offset1:84
	v_fma_f32 v102, v121, v192, -v102
	s_waitcnt vmcnt(34) lgkmcnt(1)
	v_mul_f32_e32 v142, v133, v204
	v_add_f32_e32 v101, v101, v102
	v_mul_f32_e32 v102, v124, v193
	v_fmac_f32_e32 v142, v134, v203
	v_fma_f32 v102, v123, v194, -v102
	v_add_f32_e32 v141, v141, v142
	s_waitcnt vmcnt(32)
	v_mul_f32_e32 v142, v135, v206
	v_add_f32_e32 v101, v101, v102
	v_mul_f32_e32 v102, v126, v196
	v_fmac_f32_e32 v142, v136, v205
	v_fma_f32 v102, v125, v195, -v102
	v_add_f32_e32 v141, v141, v142
	s_waitcnt vmcnt(30) lgkmcnt(0)
	v_mul_f32_e32 v142, v137, v208
	v_add_f32_e32 v101, v101, v102
	v_mul_f32_e32 v102, v128, v198
	v_fmac_f32_e32 v142, v138, v207
	v_fma_f32 v102, v127, v197, -v102
	v_add_f32_e32 v145, v141, v142
	ds_read2_b64 v[141:144], v100 offset0:85 offset1:86
	v_add_f32_e32 v101, v101, v102
	v_mul_f32_e32 v102, v130, v200
	v_fma_f32 v102, v129, v199, -v102
	s_waitcnt vmcnt(28)
	v_mul_f32_e32 v146, v139, v210
	v_add_f32_e32 v101, v101, v102
	v_mul_f32_e32 v102, v132, v202
	v_fmac_f32_e32 v146, v140, v209
	v_fma_f32 v102, v131, v201, -v102
	v_add_f32_e32 v149, v145, v146
	ds_read2_b64 v[145:148], v100 offset0:87 offset1:88
	v_add_f32_e32 v101, v101, v102
	v_mul_f32_e32 v102, v134, v204
	s_waitcnt vmcnt(26) lgkmcnt(1)
	v_mul_f32_e32 v150, v141, v212
	v_fma_f32 v102, v133, v203, -v102
	v_fmac_f32_e32 v150, v142, v211
	v_add_f32_e32 v101, v101, v102
	v_mul_f32_e32 v102, v136, v206
	v_add_f32_e32 v149, v149, v150
	s_waitcnt vmcnt(24)
	v_mul_f32_e32 v150, v143, v214
	v_fma_f32 v102, v135, v205, -v102
	v_fmac_f32_e32 v150, v144, v213
	v_add_f32_e32 v101, v101, v102
	v_mul_f32_e32 v102, v138, v208
	v_add_f32_e32 v149, v149, v150
	s_waitcnt vmcnt(22) lgkmcnt(0)
	v_mul_f32_e32 v150, v145, v216
	v_fma_f32 v102, v137, v207, -v102
	v_fmac_f32_e32 v150, v146, v215
	v_add_f32_e32 v101, v101, v102
	v_mul_f32_e32 v102, v140, v210
	v_add_f32_e32 v153, v149, v150
	ds_read2_b64 v[149:152], v100 offset0:89 offset1:90
	v_fma_f32 v102, v139, v209, -v102
	v_add_f32_e32 v101, v101, v102
	v_mul_f32_e32 v102, v142, v212
	s_waitcnt vmcnt(20)
	v_mul_f32_e32 v154, v147, v218
	v_fma_f32 v102, v141, v211, -v102
	v_fmac_f32_e32 v154, v148, v217
	v_add_f32_e32 v101, v101, v102
	v_mul_f32_e32 v102, v144, v214
	v_add_f32_e32 v157, v153, v154
	ds_read2_b64 v[153:156], v100 offset0:91 offset1:92
	v_fma_f32 v102, v143, v213, -v102
	s_waitcnt vmcnt(18) lgkmcnt(1)
	v_mul_f32_e32 v158, v149, v220
	v_add_f32_e32 v101, v101, v102
	v_mul_f32_e32 v102, v146, v216
	v_fmac_f32_e32 v158, v150, v219
	v_fma_f32 v102, v145, v215, -v102
	v_add_f32_e32 v157, v157, v158
	s_waitcnt vmcnt(16)
	v_mul_f32_e32 v158, v151, v222
	v_add_f32_e32 v101, v101, v102
	v_mul_f32_e32 v102, v148, v218
	v_fmac_f32_e32 v158, v152, v221
	v_fma_f32 v102, v147, v217, -v102
	v_add_f32_e32 v157, v157, v158
	s_waitcnt vmcnt(14) lgkmcnt(0)
	v_mul_f32_e32 v158, v153, v224
	v_add_f32_e32 v101, v101, v102
	v_mul_f32_e32 v102, v150, v220
	v_fmac_f32_e32 v158, v154, v223
	v_fma_f32 v102, v149, v219, -v102
	v_add_f32_e32 v161, v157, v158
	ds_read2_b64 v[157:160], v100 offset0:93 offset1:94
	v_add_f32_e32 v101, v101, v102
	v_mul_f32_e32 v102, v152, v222
	v_fma_f32 v102, v151, v221, -v102
	v_add_f32_e32 v101, v101, v102
	v_mul_f32_e32 v102, v154, v224
	s_waitcnt vmcnt(12)
	v_mul_f32_e32 v162, v155, v226
	v_fma_f32 v102, v153, v223, -v102
	v_fmac_f32_e32 v162, v156, v225
	v_add_f32_e32 v101, v101, v102
	v_mul_f32_e32 v102, v156, v226
	v_add_f32_e32 v165, v161, v162
	ds_read2_b64 v[161:164], v100 offset0:95 offset1:96
	s_waitcnt vmcnt(10) lgkmcnt(1)
	v_mul_f32_e32 v166, v157, v228
	v_fma_f32 v102, v155, v225, -v102
	v_fmac_f32_e32 v166, v158, v227
	v_add_f32_e32 v101, v101, v102
	v_mul_f32_e32 v102, v158, v228
	v_add_f32_e32 v165, v165, v166
	s_waitcnt vmcnt(9)
	v_mul_f32_e32 v166, v159, v229
	v_fma_f32 v102, v157, v227, -v102
	s_waitcnt vmcnt(8)
	v_fmac_f32_e32 v166, v160, v230
	v_add_f32_e32 v101, v101, v102
	v_mul_f32_e32 v102, v160, v229
	v_add_f32_e32 v239, v165, v166
	ds_read2_b64 v[165:168], v100 offset0:97 offset1:98
	v_fma_f32 v102, v159, v230, -v102
	v_add_f32_e32 v101, v101, v102
	s_waitcnt vmcnt(6) lgkmcnt(1)
	v_mul_f32_e32 v102, v162, v232
	v_mul_f32_e32 v240, v161, v232
	v_fma_f32 v102, v161, v231, -v102
	v_fmac_f32_e32 v240, v162, v231
	v_add_f32_e32 v101, v101, v102
	s_waitcnt vmcnt(4)
	v_mul_f32_e32 v102, v164, v234
	v_add_f32_e32 v100, v239, v240
	v_mul_f32_e32 v239, v163, v234
	v_fma_f32 v102, v163, v233, -v102
	v_fmac_f32_e32 v239, v164, v233
	v_add_f32_e32 v101, v101, v102
	s_waitcnt vmcnt(3) lgkmcnt(0)
	v_mul_f32_e32 v102, v166, v235
	v_add_f32_e32 v100, v100, v239
	v_mul_f32_e32 v239, v165, v235
	s_waitcnt vmcnt(2)
	v_fma_f32 v102, v165, v236, -v102
	v_fmac_f32_e32 v239, v166, v236
	v_add_f32_e32 v101, v101, v102
	s_waitcnt vmcnt(0)
	v_mul_f32_e32 v102, v168, v238
	v_add_f32_e32 v100, v100, v239
	v_mul_f32_e32 v239, v167, v238
	v_fma_f32 v102, v167, v237, -v102
	v_fmac_f32_e32 v239, v168, v237
	v_add_f32_e32 v101, v101, v102
	v_add_f32_e32 v100, v100, v239
	v_sub_f32_e32 v101, v189, v101
	v_sub_f32_e32 v100, v190, v100
	buffer_store_dword v101, off, s[0:3], 0 offset:112
	buffer_store_dword v100, off, s[0:3], 0 offset:116
	s_and_saveexec_b64 s[4:5], vcc
	s_cbranch_execz .LBB48_281
; %bb.280:
	buffer_load_dword v100, off, s[0:3], 0 offset:104
	buffer_load_dword v101, off, s[0:3], 0 offset:108
	v_mov_b32_e32 v102, 0
	buffer_store_dword v102, off, s[0:3], 0 offset:104
	buffer_store_dword v102, off, s[0:3], 0 offset:108
	s_waitcnt vmcnt(2)
	ds_write_b64 v99, v[100:101]
.LBB48_281:
	s_or_b64 exec, exec, s[4:5]
	s_waitcnt lgkmcnt(0)
	; wave barrier
	buffer_load_dword v171, off, s[0:3], 0 offset:116
	buffer_load_dword v172, off, s[0:3], 0 offset:124
	;; [unrolled: 1-line block ×56, first 2 shown]
	v_mov_b32_e32 v100, 0
	ds_read_b128 v[101:104], v100 offset:512
	ds_read_b128 v[105:108], v100 offset:528
	;; [unrolled: 1-line block ×6, first 2 shown]
	buffer_load_dword v227, off, s[0:3], 0 offset:328
	buffer_load_dword v228, off, s[0:3], 0 offset:332
	buffer_load_dword v229, off, s[0:3], 0 offset:336
	buffer_load_dword v230, off, s[0:3], 0 offset:340
	buffer_load_dword v231, off, s[0:3], 0 offset:348
	buffer_load_dword v232, off, s[0:3], 0 offset:344
	buffer_load_dword v233, off, s[0:3], 0 offset:352
	buffer_load_dword v234, off, s[0:3], 0 offset:356
	buffer_load_dword v235, off, s[0:3], 0 offset:360
	buffer_load_dword v236, off, s[0:3], 0 offset:364
	buffer_load_dword v237, off, s[0:3], 0 offset:368
	buffer_load_dword v238, off, s[0:3], 0 offset:372
	v_cmp_lt_u32_e32 vcc, 12, v0
	s_waitcnt vmcnt(62) lgkmcnt(5)
	v_mul_f32_e32 v125, v101, v171
	v_mul_f32_e32 v126, v103, v172
	s_waitcnt lgkmcnt(4)
	v_mul_f32_e32 v127, v105, v173
	v_mul_f32_e32 v128, v107, v174
	s_waitcnt lgkmcnt(3)
	v_mul_f32_e32 v129, v109, v175
	v_mul_f32_e32 v130, v111, v176
	s_waitcnt vmcnt(61) lgkmcnt(2)
	v_mul_f32_e32 v131, v113, v177
	s_waitcnt vmcnt(60)
	v_mul_f32_e32 v132, v115, v178
	s_waitcnt vmcnt(59) lgkmcnt(1)
	v_mul_f32_e32 v133, v117, v179
	s_waitcnt vmcnt(58)
	v_fmac_f32_e32 v125, v102, v180
	s_waitcnt vmcnt(57)
	v_fmac_f32_e32 v126, v104, v181
	v_add_f32_e32 v125, 0, v125
	s_waitcnt vmcnt(56)
	v_fmac_f32_e32 v127, v106, v182
	v_add_f32_e32 v125, v125, v126
	;; [unrolled: 3-line block ×7, first 2 shown]
	v_add_f32_e32 v125, v125, v132
	s_waitcnt vmcnt(50)
	v_fmac_f32_e32 v133, v118, v188
	s_waitcnt vmcnt(49)
	v_mul_f32_e32 v126, v119, v189
	v_add_f32_e32 v125, v125, v133
	s_waitcnt vmcnt(48)
	v_fmac_f32_e32 v126, v120, v190
	v_add_f32_e32 v125, v125, v126
	s_waitcnt vmcnt(47) lgkmcnt(0)
	v_mul_f32_e32 v126, v121, v191
	s_waitcnt vmcnt(44)
	v_fmac_f32_e32 v126, v122, v194
	v_add_f32_e32 v129, v125, v126
	ds_read_b128 v[125:128], v100 offset:608
	buffer_load_dword v239, off, s[0:3], 0 offset:380
	buffer_load_dword v240, off, s[0:3], 0 offset:376
	;; [unrolled: 1-line block ×4, first 2 shown]
	v_mul_f32_e32 v102, v102, v171
	v_fma_f32 v101, v101, v180, -v102
	v_mul_f32_e32 v102, v104, v172
	v_add_f32_e32 v101, 0, v101
	v_fma_f32 v102, v103, v181, -v102
	v_add_f32_e32 v101, v101, v102
	v_mul_f32_e32 v102, v106, v173
	v_fma_f32 v102, v105, v182, -v102
	s_waitcnt vmcnt(46)
	v_mul_f32_e32 v130, v123, v196
	v_add_f32_e32 v101, v101, v102
	v_mul_f32_e32 v102, v108, v174
	v_fmac_f32_e32 v130, v124, v195
	v_fma_f32 v102, v107, v183, -v102
	v_add_f32_e32 v133, v129, v130
	ds_read_b128 v[129:132], v100 offset:624
	v_add_f32_e32 v101, v101, v102
	v_mul_f32_e32 v102, v110, v175
	s_waitcnt vmcnt(44) lgkmcnt(1)
	v_mul_f32_e32 v134, v125, v198
	v_fma_f32 v102, v109, v184, -v102
	v_fmac_f32_e32 v134, v126, v197
	v_add_f32_e32 v101, v101, v102
	v_mul_f32_e32 v102, v112, v176
	v_add_f32_e32 v133, v133, v134
	s_waitcnt vmcnt(42)
	v_mul_f32_e32 v134, v127, v200
	v_fma_f32 v102, v111, v185, -v102
	v_fmac_f32_e32 v134, v128, v199
	v_add_f32_e32 v101, v101, v102
	v_mul_f32_e32 v102, v114, v177
	v_add_f32_e32 v133, v133, v134
	s_waitcnt vmcnt(40) lgkmcnt(0)
	v_mul_f32_e32 v134, v129, v202
	v_fma_f32 v102, v113, v186, -v102
	v_fmac_f32_e32 v134, v130, v201
	v_add_f32_e32 v101, v101, v102
	v_mul_f32_e32 v102, v116, v178
	v_add_f32_e32 v137, v133, v134
	ds_read_b128 v[133:136], v100 offset:640
	v_fma_f32 v102, v115, v187, -v102
	v_add_f32_e32 v101, v101, v102
	v_mul_f32_e32 v102, v118, v179
	s_waitcnt vmcnt(38)
	v_mul_f32_e32 v138, v131, v204
	v_fma_f32 v102, v117, v188, -v102
	v_fmac_f32_e32 v138, v132, v203
	v_add_f32_e32 v101, v101, v102
	v_mul_f32_e32 v102, v120, v189
	v_add_f32_e32 v141, v137, v138
	ds_read_b128 v[137:140], v100 offset:656
	v_fma_f32 v102, v119, v190, -v102
	s_waitcnt vmcnt(36) lgkmcnt(1)
	v_mul_f32_e32 v142, v133, v206
	v_add_f32_e32 v101, v101, v102
	v_mul_f32_e32 v102, v122, v191
	v_fmac_f32_e32 v142, v134, v205
	v_fma_f32 v102, v121, v194, -v102
	v_add_f32_e32 v141, v141, v142
	s_waitcnt vmcnt(34)
	v_mul_f32_e32 v142, v135, v208
	v_add_f32_e32 v101, v101, v102
	v_mul_f32_e32 v102, v124, v196
	v_fmac_f32_e32 v142, v136, v207
	v_fma_f32 v102, v123, v195, -v102
	v_add_f32_e32 v141, v141, v142
	s_waitcnt vmcnt(32) lgkmcnt(0)
	v_mul_f32_e32 v142, v137, v210
	v_add_f32_e32 v101, v101, v102
	v_mul_f32_e32 v102, v126, v198
	v_fmac_f32_e32 v142, v138, v209
	v_fma_f32 v102, v125, v197, -v102
	v_add_f32_e32 v145, v141, v142
	ds_read_b128 v[141:144], v100 offset:672
	v_add_f32_e32 v101, v101, v102
	v_mul_f32_e32 v102, v128, v200
	v_fma_f32 v102, v127, v199, -v102
	s_waitcnt vmcnt(30)
	v_mul_f32_e32 v146, v139, v212
	v_add_f32_e32 v101, v101, v102
	v_mul_f32_e32 v102, v130, v202
	v_fmac_f32_e32 v146, v140, v211
	v_fma_f32 v102, v129, v201, -v102
	v_add_f32_e32 v149, v145, v146
	ds_read_b128 v[145:148], v100 offset:688
	v_add_f32_e32 v101, v101, v102
	v_mul_f32_e32 v102, v132, v204
	s_waitcnt vmcnt(28) lgkmcnt(1)
	v_mul_f32_e32 v150, v141, v214
	v_fma_f32 v102, v131, v203, -v102
	v_fmac_f32_e32 v150, v142, v213
	v_add_f32_e32 v101, v101, v102
	v_mul_f32_e32 v102, v134, v206
	v_add_f32_e32 v149, v149, v150
	s_waitcnt vmcnt(26)
	v_mul_f32_e32 v150, v143, v216
	v_fma_f32 v102, v133, v205, -v102
	v_fmac_f32_e32 v150, v144, v215
	v_add_f32_e32 v101, v101, v102
	v_mul_f32_e32 v102, v136, v208
	v_add_f32_e32 v149, v149, v150
	s_waitcnt vmcnt(24) lgkmcnt(0)
	v_mul_f32_e32 v150, v145, v218
	v_fma_f32 v102, v135, v207, -v102
	v_fmac_f32_e32 v150, v146, v217
	v_add_f32_e32 v101, v101, v102
	v_mul_f32_e32 v102, v138, v210
	v_add_f32_e32 v153, v149, v150
	ds_read_b128 v[149:152], v100 offset:704
	v_fma_f32 v102, v137, v209, -v102
	v_add_f32_e32 v101, v101, v102
	v_mul_f32_e32 v102, v140, v212
	s_waitcnt vmcnt(22)
	v_mul_f32_e32 v154, v147, v220
	v_fma_f32 v102, v139, v211, -v102
	v_fmac_f32_e32 v154, v148, v219
	v_add_f32_e32 v101, v101, v102
	v_mul_f32_e32 v102, v142, v214
	v_add_f32_e32 v157, v153, v154
	ds_read_b128 v[153:156], v100 offset:720
	v_fma_f32 v102, v141, v213, -v102
	s_waitcnt vmcnt(20) lgkmcnt(1)
	v_mul_f32_e32 v158, v149, v222
	v_add_f32_e32 v101, v101, v102
	v_mul_f32_e32 v102, v144, v216
	v_fmac_f32_e32 v158, v150, v221
	v_fma_f32 v102, v143, v215, -v102
	v_add_f32_e32 v157, v157, v158
	s_waitcnt vmcnt(18)
	v_mul_f32_e32 v158, v151, v224
	v_add_f32_e32 v101, v101, v102
	v_mul_f32_e32 v102, v146, v218
	v_fmac_f32_e32 v158, v152, v223
	v_fma_f32 v102, v145, v217, -v102
	v_add_f32_e32 v157, v157, v158
	s_waitcnt vmcnt(16) lgkmcnt(0)
	v_mul_f32_e32 v158, v153, v226
	v_add_f32_e32 v101, v101, v102
	v_mul_f32_e32 v102, v148, v220
	v_fmac_f32_e32 v158, v154, v225
	v_fma_f32 v102, v147, v219, -v102
	v_add_f32_e32 v161, v157, v158
	ds_read_b128 v[157:160], v100 offset:736
	v_add_f32_e32 v101, v101, v102
	v_mul_f32_e32 v102, v150, v222
	v_fma_f32 v102, v149, v221, -v102
	s_waitcnt vmcnt(14)
	v_mul_f32_e32 v162, v155, v228
	v_add_f32_e32 v101, v101, v102
	v_mul_f32_e32 v102, v152, v224
	v_fmac_f32_e32 v162, v156, v227
	v_fma_f32 v102, v151, v223, -v102
	v_add_f32_e32 v165, v161, v162
	ds_read_b128 v[161:164], v100 offset:752
	v_add_f32_e32 v101, v101, v102
	v_mul_f32_e32 v102, v154, v226
	s_waitcnt vmcnt(12) lgkmcnt(1)
	v_mul_f32_e32 v166, v157, v230
	v_fma_f32 v102, v153, v225, -v102
	v_fmac_f32_e32 v166, v158, v229
	v_add_f32_e32 v101, v101, v102
	v_mul_f32_e32 v102, v156, v228
	v_add_f32_e32 v165, v165, v166
	s_waitcnt vmcnt(11)
	v_mul_f32_e32 v166, v159, v231
	v_fma_f32 v102, v155, v227, -v102
	s_waitcnt vmcnt(10)
	v_fmac_f32_e32 v166, v160, v232
	v_add_f32_e32 v101, v101, v102
	v_mul_f32_e32 v102, v158, v230
	v_add_f32_e32 v165, v165, v166
	s_waitcnt vmcnt(8) lgkmcnt(0)
	v_mul_f32_e32 v166, v161, v234
	v_fma_f32 v102, v157, v229, -v102
	v_fmac_f32_e32 v166, v162, v233
	v_add_f32_e32 v101, v101, v102
	v_mul_f32_e32 v102, v160, v231
	v_add_f32_e32 v169, v165, v166
	ds_read_b128 v[165:168], v100 offset:768
	v_fma_f32 v102, v159, v232, -v102
	v_add_f32_e32 v101, v101, v102
	v_mul_f32_e32 v102, v162, v234
	s_waitcnt vmcnt(6)
	v_mul_f32_e32 v170, v163, v236
	v_fma_f32 v102, v161, v233, -v102
	v_fmac_f32_e32 v170, v164, v235
	v_add_f32_e32 v101, v101, v102
	v_mul_f32_e32 v102, v164, v236
	v_add_f32_e32 v243, v169, v170
	ds_read_b64 v[169:170], v100 offset:784
	v_fma_f32 v102, v163, v235, -v102
	v_add_f32_e32 v101, v101, v102
	s_waitcnt vmcnt(4) lgkmcnt(1)
	v_mul_f32_e32 v102, v166, v238
	v_mul_f32_e32 v244, v165, v238
	v_fma_f32 v102, v165, v237, -v102
	v_fmac_f32_e32 v244, v166, v237
	v_add_f32_e32 v101, v101, v102
	s_waitcnt vmcnt(3)
	v_mul_f32_e32 v102, v168, v239
	v_add_f32_e32 v243, v243, v244
	v_mul_f32_e32 v244, v167, v239
	s_waitcnt vmcnt(2)
	v_fma_f32 v102, v167, v240, -v102
	v_fmac_f32_e32 v244, v168, v240
	v_add_f32_e32 v101, v101, v102
	s_waitcnt vmcnt(0) lgkmcnt(0)
	v_mul_f32_e32 v102, v170, v242
	v_add_f32_e32 v243, v243, v244
	v_mul_f32_e32 v244, v169, v242
	v_fma_f32 v102, v169, v241, -v102
	v_fmac_f32_e32 v244, v170, v241
	v_add_f32_e32 v101, v101, v102
	v_add_f32_e32 v243, v243, v244
	v_sub_f32_e32 v101, v192, v101
	v_sub_f32_e32 v102, v193, v243
	buffer_store_dword v101, off, s[0:3], 0 offset:104
	buffer_store_dword v102, off, s[0:3], 0 offset:108
	s_and_saveexec_b64 s[4:5], vcc
	s_cbranch_execz .LBB48_283
; %bb.282:
	buffer_load_dword v101, off, s[0:3], 0 offset:96
	buffer_load_dword v102, off, s[0:3], 0 offset:100
	s_waitcnt vmcnt(0)
	ds_write_b64 v99, v[101:102]
	buffer_store_dword v100, off, s[0:3], 0 offset:96
	buffer_store_dword v100, off, s[0:3], 0 offset:100
.LBB48_283:
	s_or_b64 exec, exec, s[4:5]
	s_waitcnt lgkmcnt(0)
	; wave barrier
	buffer_load_dword v173, off, s[0:3], 0 offset:108
	buffer_load_dword v174, off, s[0:3], 0 offset:116
	;; [unrolled: 1-line block ×26, first 2 shown]
	ds_read2_b64 v[101:104], v100 offset0:63 offset1:64
	ds_read2_b64 v[105:108], v100 offset0:65 offset1:66
	;; [unrolled: 1-line block ×6, first 2 shown]
	buffer_load_dword v199, off, s[0:3], 0 offset:200
	buffer_load_dword v200, off, s[0:3], 0 offset:204
	;; [unrolled: 1-line block ×42, first 2 shown]
	v_cmp_lt_u32_e32 vcc, 11, v0
	s_waitcnt vmcnt(62) lgkmcnt(5)
	v_mul_f32_e32 v125, v101, v173
	v_mul_f32_e32 v126, v103, v174
	s_waitcnt lgkmcnt(4)
	v_mul_f32_e32 v127, v105, v175
	v_mul_f32_e32 v128, v107, v176
	s_waitcnt lgkmcnt(3)
	v_mul_f32_e32 v129, v109, v177
	v_mul_f32_e32 v130, v111, v178
	s_waitcnt vmcnt(61) lgkmcnt(2)
	v_mul_f32_e32 v131, v113, v179
	s_waitcnt vmcnt(60)
	v_mul_f32_e32 v132, v115, v180
	s_waitcnt vmcnt(59) lgkmcnt(1)
	v_mul_f32_e32 v133, v117, v181
	s_waitcnt vmcnt(58)
	v_fmac_f32_e32 v125, v102, v182
	s_waitcnt vmcnt(57)
	v_fmac_f32_e32 v126, v104, v183
	v_add_f32_e32 v125, 0, v125
	s_waitcnt vmcnt(56)
	v_fmac_f32_e32 v127, v106, v184
	v_add_f32_e32 v125, v125, v126
	;; [unrolled: 3-line block ×8, first 2 shown]
	s_waitcnt vmcnt(49)
	v_mul_f32_e32 v126, v119, v191
	v_add_f32_e32 v125, v125, v133
	s_waitcnt vmcnt(48)
	v_fmac_f32_e32 v126, v120, v192
	v_add_f32_e32 v125, v125, v126
	s_waitcnt vmcnt(47) lgkmcnt(0)
	v_mul_f32_e32 v126, v121, v193
	s_waitcnt vmcnt(46)
	v_fmac_f32_e32 v126, v122, v194
	v_add_f32_e32 v125, v125, v126
	s_waitcnt vmcnt(42)
	v_mul_f32_e32 v126, v123, v198
	v_fmac_f32_e32 v126, v124, v197
	v_add_f32_e32 v133, v125, v126
	ds_read2_b64 v[125:128], v100 offset0:75 offset1:76
	buffer_load_dword v241, off, s[0:3], 0 offset:372
	buffer_load_dword v242, off, s[0:3], 0 offset:368
	;; [unrolled: 1-line block ×4, first 2 shown]
	ds_read2_b64 v[129:132], v100 offset0:77 offset1:78
	buffer_load_dword v245, off, s[0:3], 0 offset:384
	buffer_load_dword v246, off, s[0:3], 0 offset:388
	v_mul_f32_e32 v102, v102, v173
	v_fma_f32 v101, v101, v182, -v102
	v_mul_f32_e32 v102, v104, v174
	v_add_f32_e32 v101, 0, v101
	v_fma_f32 v102, v103, v183, -v102
	v_add_f32_e32 v101, v101, v102
	v_mul_f32_e32 v102, v106, v175
	v_fma_f32 v102, v105, v184, -v102
	v_add_f32_e32 v101, v101, v102
	v_mul_f32_e32 v102, v108, v176
	;; [unrolled: 3-line block ×3, first 2 shown]
	s_waitcnt vmcnt(46) lgkmcnt(1)
	v_mul_f32_e32 v134, v125, v200
	v_fma_f32 v102, v109, v186, -v102
	v_fmac_f32_e32 v134, v126, v199
	v_add_f32_e32 v101, v101, v102
	v_mul_f32_e32 v102, v112, v178
	v_add_f32_e32 v133, v133, v134
	s_waitcnt vmcnt(44)
	v_mul_f32_e32 v134, v127, v202
	v_fma_f32 v102, v111, v187, -v102
	v_fmac_f32_e32 v134, v128, v201
	v_add_f32_e32 v101, v101, v102
	v_mul_f32_e32 v102, v114, v179
	v_add_f32_e32 v133, v133, v134
	s_waitcnt vmcnt(42) lgkmcnt(0)
	v_mul_f32_e32 v134, v129, v204
	v_fma_f32 v102, v113, v188, -v102
	v_fmac_f32_e32 v134, v130, v203
	v_add_f32_e32 v101, v101, v102
	v_mul_f32_e32 v102, v116, v180
	v_add_f32_e32 v137, v133, v134
	ds_read2_b64 v[133:136], v100 offset0:79 offset1:80
	v_fma_f32 v102, v115, v189, -v102
	v_add_f32_e32 v101, v101, v102
	v_mul_f32_e32 v102, v118, v181
	s_waitcnt vmcnt(40)
	v_mul_f32_e32 v138, v131, v206
	v_fma_f32 v102, v117, v190, -v102
	v_fmac_f32_e32 v138, v132, v205
	v_add_f32_e32 v101, v101, v102
	v_mul_f32_e32 v102, v120, v191
	v_add_f32_e32 v141, v137, v138
	ds_read2_b64 v[137:140], v100 offset0:81 offset1:82
	v_fma_f32 v102, v119, v192, -v102
	s_waitcnt vmcnt(38) lgkmcnt(1)
	v_mul_f32_e32 v142, v133, v208
	v_add_f32_e32 v101, v101, v102
	v_mul_f32_e32 v102, v122, v193
	v_fmac_f32_e32 v142, v134, v207
	v_fma_f32 v102, v121, v194, -v102
	v_add_f32_e32 v141, v141, v142
	s_waitcnt vmcnt(36)
	v_mul_f32_e32 v142, v135, v210
	v_add_f32_e32 v101, v101, v102
	v_mul_f32_e32 v102, v124, v198
	v_fmac_f32_e32 v142, v136, v209
	v_fma_f32 v102, v123, v197, -v102
	v_add_f32_e32 v141, v141, v142
	s_waitcnt vmcnt(34) lgkmcnt(0)
	v_mul_f32_e32 v142, v137, v212
	v_add_f32_e32 v101, v101, v102
	v_mul_f32_e32 v102, v126, v200
	v_fmac_f32_e32 v142, v138, v211
	v_fma_f32 v102, v125, v199, -v102
	v_add_f32_e32 v145, v141, v142
	ds_read2_b64 v[141:144], v100 offset0:83 offset1:84
	v_add_f32_e32 v101, v101, v102
	v_mul_f32_e32 v102, v128, v202
	v_fma_f32 v102, v127, v201, -v102
	s_waitcnt vmcnt(32)
	v_mul_f32_e32 v146, v139, v214
	v_add_f32_e32 v101, v101, v102
	v_mul_f32_e32 v102, v130, v204
	v_fmac_f32_e32 v146, v140, v213
	v_fma_f32 v102, v129, v203, -v102
	v_add_f32_e32 v149, v145, v146
	ds_read2_b64 v[145:148], v100 offset0:85 offset1:86
	v_add_f32_e32 v101, v101, v102
	v_mul_f32_e32 v102, v132, v206
	s_waitcnt vmcnt(30) lgkmcnt(1)
	v_mul_f32_e32 v150, v141, v216
	v_fma_f32 v102, v131, v205, -v102
	v_fmac_f32_e32 v150, v142, v215
	v_add_f32_e32 v101, v101, v102
	v_mul_f32_e32 v102, v134, v208
	v_add_f32_e32 v149, v149, v150
	s_waitcnt vmcnt(28)
	v_mul_f32_e32 v150, v143, v218
	v_fma_f32 v102, v133, v207, -v102
	v_fmac_f32_e32 v150, v144, v217
	v_add_f32_e32 v101, v101, v102
	v_mul_f32_e32 v102, v136, v210
	v_add_f32_e32 v149, v149, v150
	s_waitcnt vmcnt(26) lgkmcnt(0)
	v_mul_f32_e32 v150, v145, v220
	v_fma_f32 v102, v135, v209, -v102
	v_fmac_f32_e32 v150, v146, v219
	v_add_f32_e32 v101, v101, v102
	v_mul_f32_e32 v102, v138, v212
	v_add_f32_e32 v153, v149, v150
	ds_read2_b64 v[149:152], v100 offset0:87 offset1:88
	v_fma_f32 v102, v137, v211, -v102
	v_add_f32_e32 v101, v101, v102
	v_mul_f32_e32 v102, v140, v214
	s_waitcnt vmcnt(24)
	v_mul_f32_e32 v154, v147, v222
	v_fma_f32 v102, v139, v213, -v102
	v_fmac_f32_e32 v154, v148, v221
	v_add_f32_e32 v101, v101, v102
	v_mul_f32_e32 v102, v142, v216
	v_add_f32_e32 v157, v153, v154
	ds_read2_b64 v[153:156], v100 offset0:89 offset1:90
	v_fma_f32 v102, v141, v215, -v102
	s_waitcnt vmcnt(22) lgkmcnt(1)
	v_mul_f32_e32 v158, v149, v224
	v_add_f32_e32 v101, v101, v102
	v_mul_f32_e32 v102, v144, v218
	v_fmac_f32_e32 v158, v150, v223
	v_fma_f32 v102, v143, v217, -v102
	v_add_f32_e32 v157, v157, v158
	s_waitcnt vmcnt(20)
	v_mul_f32_e32 v158, v151, v226
	v_add_f32_e32 v101, v101, v102
	v_mul_f32_e32 v102, v146, v220
	v_fmac_f32_e32 v158, v152, v225
	v_fma_f32 v102, v145, v219, -v102
	v_add_f32_e32 v157, v157, v158
	s_waitcnt vmcnt(18) lgkmcnt(0)
	v_mul_f32_e32 v158, v153, v228
	v_add_f32_e32 v101, v101, v102
	v_mul_f32_e32 v102, v148, v222
	v_fmac_f32_e32 v158, v154, v227
	v_fma_f32 v102, v147, v221, -v102
	v_add_f32_e32 v161, v157, v158
	ds_read2_b64 v[157:160], v100 offset0:91 offset1:92
	v_add_f32_e32 v101, v101, v102
	v_mul_f32_e32 v102, v150, v224
	v_fma_f32 v102, v149, v223, -v102
	s_waitcnt vmcnt(16)
	v_mul_f32_e32 v162, v155, v230
	v_add_f32_e32 v101, v101, v102
	v_mul_f32_e32 v102, v152, v226
	v_fmac_f32_e32 v162, v156, v229
	v_fma_f32 v102, v151, v225, -v102
	v_add_f32_e32 v165, v161, v162
	ds_read2_b64 v[161:164], v100 offset0:93 offset1:94
	v_add_f32_e32 v101, v101, v102
	v_mul_f32_e32 v102, v154, v228
	s_waitcnt vmcnt(14) lgkmcnt(1)
	v_mul_f32_e32 v166, v157, v232
	v_fma_f32 v102, v153, v227, -v102
	v_fmac_f32_e32 v166, v158, v231
	v_add_f32_e32 v101, v101, v102
	v_mul_f32_e32 v102, v156, v230
	v_add_f32_e32 v165, v165, v166
	s_waitcnt vmcnt(13)
	v_mul_f32_e32 v166, v159, v233
	v_fma_f32 v102, v155, v229, -v102
	s_waitcnt vmcnt(12)
	v_fmac_f32_e32 v166, v160, v234
	v_add_f32_e32 v101, v101, v102
	v_mul_f32_e32 v102, v158, v232
	v_add_f32_e32 v165, v165, v166
	s_waitcnt vmcnt(10) lgkmcnt(0)
	v_mul_f32_e32 v166, v161, v236
	v_fma_f32 v102, v157, v231, -v102
	v_fmac_f32_e32 v166, v162, v235
	v_add_f32_e32 v101, v101, v102
	v_mul_f32_e32 v102, v160, v233
	v_add_f32_e32 v169, v165, v166
	ds_read2_b64 v[165:168], v100 offset0:95 offset1:96
	v_fma_f32 v102, v159, v234, -v102
	v_add_f32_e32 v101, v101, v102
	v_mul_f32_e32 v102, v162, v236
	s_waitcnt vmcnt(8)
	v_mul_f32_e32 v170, v163, v238
	v_fma_f32 v102, v161, v235, -v102
	v_fmac_f32_e32 v170, v164, v237
	v_add_f32_e32 v101, v101, v102
	v_mul_f32_e32 v102, v164, v238
	v_add_f32_e32 v247, v169, v170
	ds_read2_b64 v[169:172], v100 offset0:97 offset1:98
	v_fma_f32 v102, v163, v237, -v102
	v_add_f32_e32 v101, v101, v102
	s_waitcnt vmcnt(6) lgkmcnt(1)
	v_mul_f32_e32 v102, v166, v240
	v_mul_f32_e32 v100, v165, v240
	v_fma_f32 v102, v165, v239, -v102
	v_fmac_f32_e32 v100, v166, v239
	v_add_f32_e32 v101, v101, v102
	s_waitcnt vmcnt(5)
	v_mul_f32_e32 v102, v168, v241
	v_add_f32_e32 v100, v247, v100
	v_mul_f32_e32 v247, v167, v241
	s_waitcnt vmcnt(4)
	v_fma_f32 v102, v167, v242, -v102
	v_fmac_f32_e32 v247, v168, v242
	v_add_f32_e32 v101, v101, v102
	s_waitcnt vmcnt(2) lgkmcnt(0)
	v_mul_f32_e32 v102, v170, v244
	v_add_f32_e32 v100, v100, v247
	v_mul_f32_e32 v247, v169, v244
	v_fma_f32 v102, v169, v243, -v102
	v_fmac_f32_e32 v247, v170, v243
	v_add_f32_e32 v101, v101, v102
	s_waitcnt vmcnt(0)
	v_mul_f32_e32 v102, v172, v246
	v_add_f32_e32 v100, v100, v247
	v_mul_f32_e32 v247, v171, v246
	v_fma_f32 v102, v171, v245, -v102
	v_fmac_f32_e32 v247, v172, v245
	v_add_f32_e32 v101, v101, v102
	v_add_f32_e32 v100, v100, v247
	v_sub_f32_e32 v101, v195, v101
	v_sub_f32_e32 v100, v196, v100
	buffer_store_dword v101, off, s[0:3], 0 offset:96
	buffer_store_dword v100, off, s[0:3], 0 offset:100
	s_and_saveexec_b64 s[4:5], vcc
	s_cbranch_execz .LBB48_285
; %bb.284:
	buffer_load_dword v100, off, s[0:3], 0 offset:88
	buffer_load_dword v101, off, s[0:3], 0 offset:92
	v_mov_b32_e32 v102, 0
	buffer_store_dword v102, off, s[0:3], 0 offset:88
	buffer_store_dword v102, off, s[0:3], 0 offset:92
	s_waitcnt vmcnt(2)
	ds_write_b64 v99, v[100:101]
.LBB48_285:
	s_or_b64 exec, exec, s[4:5]
	s_waitcnt lgkmcnt(0)
	; wave barrier
	buffer_load_dword v175, off, s[0:3], 0 offset:100
	buffer_load_dword v176, off, s[0:3], 0 offset:108
	;; [unrolled: 1-line block ×52, first 2 shown]
	v_mov_b32_e32 v100, 0
	ds_read_b128 v[101:104], v100 offset:496
	ds_read_b128 v[105:108], v100 offset:512
	;; [unrolled: 1-line block ×6, first 2 shown]
	buffer_load_dword v227, off, s[0:3], 0 offset:300
	buffer_load_dword v228, off, s[0:3], 0 offset:296
	buffer_load_dword v229, off, s[0:3], 0 offset:304
	buffer_load_dword v230, off, s[0:3], 0 offset:308
	buffer_load_dword v231, off, s[0:3], 0 offset:312
	buffer_load_dword v232, off, s[0:3], 0 offset:316
	buffer_load_dword v233, off, s[0:3], 0 offset:320
	buffer_load_dword v234, off, s[0:3], 0 offset:324
	buffer_load_dword v235, off, s[0:3], 0 offset:332
	buffer_load_dword v236, off, s[0:3], 0 offset:328
	buffer_load_dword v237, off, s[0:3], 0 offset:336
	buffer_load_dword v238, off, s[0:3], 0 offset:340
	buffer_load_dword v239, off, s[0:3], 0 offset:344
	buffer_load_dword v240, off, s[0:3], 0 offset:348
	v_cmp_lt_u32_e32 vcc, 10, v0
	s_waitcnt vmcnt(62) lgkmcnt(5)
	v_mul_f32_e32 v125, v101, v175
	v_mul_f32_e32 v126, v103, v176
	s_waitcnt lgkmcnt(4)
	v_mul_f32_e32 v127, v105, v177
	v_mul_f32_e32 v128, v107, v178
	s_waitcnt vmcnt(61) lgkmcnt(3)
	v_mul_f32_e32 v129, v109, v179
	s_waitcnt vmcnt(60)
	v_mul_f32_e32 v130, v111, v180
	s_waitcnt vmcnt(59) lgkmcnt(2)
	v_mul_f32_e32 v131, v113, v181
	s_waitcnt vmcnt(58)
	v_mul_f32_e32 v132, v115, v182
	s_waitcnt vmcnt(57) lgkmcnt(1)
	v_mul_f32_e32 v133, v117, v183
	s_waitcnt vmcnt(56)
	v_fmac_f32_e32 v125, v102, v184
	s_waitcnt vmcnt(55)
	v_fmac_f32_e32 v126, v104, v185
	v_add_f32_e32 v125, 0, v125
	s_waitcnt vmcnt(54)
	v_fmac_f32_e32 v127, v106, v186
	v_add_f32_e32 v125, v125, v126
	;; [unrolled: 3-line block ×8, first 2 shown]
	s_waitcnt vmcnt(47)
	v_mul_f32_e32 v126, v119, v193
	v_add_f32_e32 v125, v125, v133
	s_waitcnt vmcnt(46)
	v_fmac_f32_e32 v126, v120, v194
	v_add_f32_e32 v125, v125, v126
	s_waitcnt vmcnt(45) lgkmcnt(0)
	v_mul_f32_e32 v126, v121, v195
	s_waitcnt vmcnt(44)
	v_fmac_f32_e32 v126, v122, v196
	v_add_f32_e32 v129, v125, v126
	ds_read_b128 v[125:128], v100 offset:592
	buffer_load_dword v241, off, s[0:3], 0 offset:352
	buffer_load_dword v242, off, s[0:3], 0 offset:356
	s_waitcnt vmcnt(43)
	v_mul_f32_e32 v130, v123, v199
	s_waitcnt vmcnt(42)
	v_fmac_f32_e32 v130, v124, v200
	v_add_f32_e32 v133, v129, v130
	ds_read_b128 v[129:132], v100 offset:608
	buffer_load_dword v243, off, s[0:3], 0 offset:364
	buffer_load_dword v244, off, s[0:3], 0 offset:360
	buffer_load_dword v245, off, s[0:3], 0 offset:368
	buffer_load_dword v246, off, s[0:3], 0 offset:372
	buffer_load_dword v247, off, s[0:3], 0 offset:380
	buffer_load_dword v248, off, s[0:3], 0 offset:376
	buffer_load_dword v249, off, s[0:3], 0 offset:384
	buffer_load_dword v250, off, s[0:3], 0 offset:388
	v_mul_f32_e32 v102, v102, v175
	v_fma_f32 v101, v101, v184, -v102
	v_mul_f32_e32 v102, v104, v176
	v_add_f32_e32 v101, 0, v101
	v_fma_f32 v102, v103, v185, -v102
	v_add_f32_e32 v101, v101, v102
	v_mul_f32_e32 v102, v106, v177
	v_fma_f32 v102, v105, v186, -v102
	v_add_f32_e32 v101, v101, v102
	v_mul_f32_e32 v102, v108, v178
	v_fma_f32 v102, v107, v187, -v102
	s_waitcnt vmcnt(48) lgkmcnt(1)
	v_mul_f32_e32 v134, v125, v202
	v_add_f32_e32 v101, v101, v102
	v_mul_f32_e32 v102, v110, v179
	v_fmac_f32_e32 v134, v126, v201
	v_fma_f32 v102, v109, v188, -v102
	v_add_f32_e32 v133, v133, v134
	s_waitcnt vmcnt(46)
	v_mul_f32_e32 v134, v127, v204
	v_add_f32_e32 v101, v101, v102
	v_mul_f32_e32 v102, v112, v180
	v_fmac_f32_e32 v134, v128, v203
	v_fma_f32 v102, v111, v189, -v102
	v_add_f32_e32 v133, v133, v134
	s_waitcnt vmcnt(44) lgkmcnt(0)
	v_mul_f32_e32 v134, v129, v206
	v_add_f32_e32 v101, v101, v102
	v_mul_f32_e32 v102, v114, v181
	v_fmac_f32_e32 v134, v130, v205
	v_fma_f32 v102, v113, v190, -v102
	v_add_f32_e32 v137, v133, v134
	ds_read_b128 v[133:136], v100 offset:624
	v_add_f32_e32 v101, v101, v102
	v_mul_f32_e32 v102, v116, v182
	v_fma_f32 v102, v115, v191, -v102
	s_waitcnt vmcnt(42)
	v_mul_f32_e32 v138, v131, v208
	v_add_f32_e32 v101, v101, v102
	v_mul_f32_e32 v102, v118, v183
	v_fmac_f32_e32 v138, v132, v207
	v_fma_f32 v102, v117, v192, -v102
	v_add_f32_e32 v141, v137, v138
	ds_read_b128 v[137:140], v100 offset:640
	v_add_f32_e32 v101, v101, v102
	v_mul_f32_e32 v102, v120, v193
	s_waitcnt vmcnt(40) lgkmcnt(1)
	v_mul_f32_e32 v142, v133, v210
	v_fma_f32 v102, v119, v194, -v102
	v_fmac_f32_e32 v142, v134, v209
	v_add_f32_e32 v101, v101, v102
	v_mul_f32_e32 v102, v122, v195
	v_add_f32_e32 v141, v141, v142
	s_waitcnt vmcnt(38)
	v_mul_f32_e32 v142, v135, v212
	v_fma_f32 v102, v121, v196, -v102
	v_fmac_f32_e32 v142, v136, v211
	v_add_f32_e32 v101, v101, v102
	v_mul_f32_e32 v102, v124, v199
	v_add_f32_e32 v141, v141, v142
	s_waitcnt vmcnt(36) lgkmcnt(0)
	v_mul_f32_e32 v142, v137, v214
	v_fma_f32 v102, v123, v200, -v102
	v_fmac_f32_e32 v142, v138, v213
	v_add_f32_e32 v101, v101, v102
	v_mul_f32_e32 v102, v126, v202
	v_add_f32_e32 v145, v141, v142
	ds_read_b128 v[141:144], v100 offset:656
	v_fma_f32 v102, v125, v201, -v102
	v_add_f32_e32 v101, v101, v102
	v_mul_f32_e32 v102, v128, v204
	s_waitcnt vmcnt(34)
	v_mul_f32_e32 v146, v139, v216
	v_fma_f32 v102, v127, v203, -v102
	v_fmac_f32_e32 v146, v140, v215
	v_add_f32_e32 v101, v101, v102
	v_mul_f32_e32 v102, v130, v206
	v_add_f32_e32 v149, v145, v146
	ds_read_b128 v[145:148], v100 offset:672
	v_fma_f32 v102, v129, v205, -v102
	s_waitcnt vmcnt(32) lgkmcnt(1)
	v_mul_f32_e32 v150, v141, v218
	v_add_f32_e32 v101, v101, v102
	v_mul_f32_e32 v102, v132, v208
	v_fmac_f32_e32 v150, v142, v217
	v_fma_f32 v102, v131, v207, -v102
	v_add_f32_e32 v149, v149, v150
	s_waitcnt vmcnt(30)
	v_mul_f32_e32 v150, v143, v220
	v_add_f32_e32 v101, v101, v102
	v_mul_f32_e32 v102, v134, v210
	v_fmac_f32_e32 v150, v144, v219
	v_fma_f32 v102, v133, v209, -v102
	v_add_f32_e32 v149, v149, v150
	s_waitcnt vmcnt(28) lgkmcnt(0)
	v_mul_f32_e32 v150, v145, v222
	v_add_f32_e32 v101, v101, v102
	v_mul_f32_e32 v102, v136, v212
	v_fmac_f32_e32 v150, v146, v221
	v_fma_f32 v102, v135, v211, -v102
	v_add_f32_e32 v153, v149, v150
	ds_read_b128 v[149:152], v100 offset:688
	v_add_f32_e32 v101, v101, v102
	v_mul_f32_e32 v102, v138, v214
	v_fma_f32 v102, v137, v213, -v102
	s_waitcnt vmcnt(26)
	v_mul_f32_e32 v154, v147, v224
	v_add_f32_e32 v101, v101, v102
	v_mul_f32_e32 v102, v140, v216
	v_fmac_f32_e32 v154, v148, v223
	v_fma_f32 v102, v139, v215, -v102
	v_add_f32_e32 v157, v153, v154
	ds_read_b128 v[153:156], v100 offset:704
	v_add_f32_e32 v101, v101, v102
	v_mul_f32_e32 v102, v142, v218
	s_waitcnt vmcnt(24) lgkmcnt(1)
	v_mul_f32_e32 v158, v149, v226
	v_fma_f32 v102, v141, v217, -v102
	v_fmac_f32_e32 v158, v150, v225
	v_add_f32_e32 v101, v101, v102
	v_mul_f32_e32 v102, v144, v220
	v_add_f32_e32 v157, v157, v158
	s_waitcnt vmcnt(23)
	v_mul_f32_e32 v158, v151, v227
	v_fma_f32 v102, v143, v219, -v102
	s_waitcnt vmcnt(22)
	v_fmac_f32_e32 v158, v152, v228
	v_add_f32_e32 v101, v101, v102
	v_mul_f32_e32 v102, v146, v222
	v_add_f32_e32 v157, v157, v158
	s_waitcnt vmcnt(20) lgkmcnt(0)
	v_mul_f32_e32 v158, v153, v230
	v_fma_f32 v102, v145, v221, -v102
	v_fmac_f32_e32 v158, v154, v229
	v_add_f32_e32 v101, v101, v102
	v_mul_f32_e32 v102, v148, v224
	v_add_f32_e32 v161, v157, v158
	ds_read_b128 v[157:160], v100 offset:720
	v_fma_f32 v102, v147, v223, -v102
	v_add_f32_e32 v101, v101, v102
	v_mul_f32_e32 v102, v150, v226
	s_waitcnt vmcnt(18)
	v_mul_f32_e32 v162, v155, v232
	v_fma_f32 v102, v149, v225, -v102
	v_fmac_f32_e32 v162, v156, v231
	v_add_f32_e32 v101, v101, v102
	v_mul_f32_e32 v102, v152, v227
	v_add_f32_e32 v165, v161, v162
	ds_read_b128 v[161:164], v100 offset:736
	v_fma_f32 v102, v151, v228, -v102
	s_waitcnt vmcnt(16) lgkmcnt(1)
	v_mul_f32_e32 v166, v157, v234
	v_add_f32_e32 v101, v101, v102
	v_mul_f32_e32 v102, v154, v230
	v_fmac_f32_e32 v166, v158, v233
	v_fma_f32 v102, v153, v229, -v102
	v_add_f32_e32 v165, v165, v166
	s_waitcnt vmcnt(15)
	v_mul_f32_e32 v166, v159, v235
	v_add_f32_e32 v101, v101, v102
	v_mul_f32_e32 v102, v156, v232
	s_waitcnt vmcnt(14)
	v_fmac_f32_e32 v166, v160, v236
	v_fma_f32 v102, v155, v231, -v102
	v_add_f32_e32 v165, v165, v166
	s_waitcnt vmcnt(12) lgkmcnt(0)
	v_mul_f32_e32 v166, v161, v238
	v_add_f32_e32 v101, v101, v102
	v_mul_f32_e32 v102, v158, v234
	v_fmac_f32_e32 v166, v162, v237
	v_fma_f32 v102, v157, v233, -v102
	v_add_f32_e32 v169, v165, v166
	ds_read_b128 v[165:168], v100 offset:752
	v_add_f32_e32 v101, v101, v102
	v_mul_f32_e32 v102, v160, v235
	v_fma_f32 v102, v159, v236, -v102
	v_add_f32_e32 v101, v101, v102
	v_mul_f32_e32 v102, v162, v238
	s_waitcnt vmcnt(10)
	v_mul_f32_e32 v170, v163, v240
	v_fma_f32 v102, v161, v237, -v102
	v_fmac_f32_e32 v170, v164, v239
	v_add_f32_e32 v101, v101, v102
	v_mul_f32_e32 v102, v164, v240
	v_add_f32_e32 v173, v169, v170
	ds_read_b128 v[169:172], v100 offset:768
	s_waitcnt vmcnt(8) lgkmcnt(1)
	v_mul_f32_e32 v174, v165, v242
	v_fma_f32 v102, v163, v239, -v102
	v_fmac_f32_e32 v174, v166, v241
	v_add_f32_e32 v101, v101, v102
	v_mul_f32_e32 v102, v166, v242
	v_add_f32_e32 v173, v173, v174
	s_waitcnt vmcnt(7)
	v_mul_f32_e32 v174, v167, v243
	v_fma_f32 v102, v165, v241, -v102
	s_waitcnt vmcnt(6)
	v_fmac_f32_e32 v174, v168, v244
	v_add_f32_e32 v101, v101, v102
	v_mul_f32_e32 v102, v168, v243
	v_add_f32_e32 v251, v173, v174
	ds_read_b64 v[173:174], v100 offset:784
	v_fma_f32 v102, v167, v244, -v102
	v_add_f32_e32 v101, v101, v102
	s_waitcnt vmcnt(4) lgkmcnt(1)
	v_mul_f32_e32 v102, v170, v246
	v_mul_f32_e32 v252, v169, v246
	v_fma_f32 v102, v169, v245, -v102
	v_fmac_f32_e32 v252, v170, v245
	v_add_f32_e32 v101, v101, v102
	s_waitcnt vmcnt(3)
	v_mul_f32_e32 v102, v172, v247
	v_add_f32_e32 v251, v251, v252
	v_mul_f32_e32 v252, v171, v247
	s_waitcnt vmcnt(2)
	v_fma_f32 v102, v171, v248, -v102
	v_fmac_f32_e32 v252, v172, v248
	v_add_f32_e32 v101, v101, v102
	s_waitcnt vmcnt(0) lgkmcnt(0)
	v_mul_f32_e32 v102, v174, v250
	v_add_f32_e32 v251, v251, v252
	v_mul_f32_e32 v252, v173, v250
	v_fma_f32 v102, v173, v249, -v102
	v_fmac_f32_e32 v252, v174, v249
	v_add_f32_e32 v101, v101, v102
	v_add_f32_e32 v251, v251, v252
	v_sub_f32_e32 v101, v197, v101
	v_sub_f32_e32 v102, v198, v251
	buffer_store_dword v101, off, s[0:3], 0 offset:88
	buffer_store_dword v102, off, s[0:3], 0 offset:92
	s_and_saveexec_b64 s[4:5], vcc
	s_cbranch_execz .LBB48_287
; %bb.286:
	buffer_load_dword v101, off, s[0:3], 0 offset:80
	buffer_load_dword v102, off, s[0:3], 0 offset:84
	s_waitcnt vmcnt(0)
	ds_write_b64 v99, v[101:102]
	buffer_store_dword v100, off, s[0:3], 0 offset:80
	buffer_store_dword v100, off, s[0:3], 0 offset:84
.LBB48_287:
	s_or_b64 exec, exec, s[4:5]
	s_waitcnt lgkmcnt(0)
	; wave barrier
	buffer_load_dword v177, off, s[0:3], 0 offset:92
	buffer_load_dword v178, off, s[0:3], 0 offset:100
	;; [unrolled: 1-line block ×32, first 2 shown]
	ds_read2_b64 v[101:104], v100 offset0:61 offset1:62
	ds_read2_b64 v[105:108], v100 offset0:63 offset1:64
	;; [unrolled: 1-line block ×6, first 2 shown]
	buffer_load_dword v209, off, s[0:3], 0 offset:208
	buffer_load_dword v210, off, s[0:3], 0 offset:212
	;; [unrolled: 1-line block ×32, first 2 shown]
	v_cmp_lt_u32_e32 vcc, 9, v0
	s_waitcnt vmcnt(62) lgkmcnt(5)
	v_mul_f32_e32 v125, v101, v177
	v_mul_f32_e32 v126, v103, v178
	s_waitcnt vmcnt(61) lgkmcnt(4)
	v_mul_f32_e32 v127, v105, v179
	s_waitcnt vmcnt(60)
	v_mul_f32_e32 v128, v107, v180
	s_waitcnt vmcnt(59) lgkmcnt(3)
	v_mul_f32_e32 v129, v109, v181
	s_waitcnt vmcnt(58)
	;; [unrolled: 4-line block ×4, first 2 shown]
	v_mul_f32_e32 v134, v119, v186
	s_waitcnt vmcnt(53)
	v_fmac_f32_e32 v127, v106, v187
	s_waitcnt vmcnt(52)
	v_fmac_f32_e32 v126, v104, v188
	;; [unrolled: 2-line block ×3, first 2 shown]
	v_add_f32_e32 v125, 0, v125
	v_add_f32_e32 v125, v125, v126
	;; [unrolled: 1-line block ×3, first 2 shown]
	s_waitcnt vmcnt(47)
	v_fmac_f32_e32 v128, v108, v193
	v_fmac_f32_e32 v129, v110, v192
	v_add_f32_e32 v125, v125, v128
	v_fmac_f32_e32 v130, v112, v191
	v_add_f32_e32 v125, v125, v129
	;; [unrolled: 2-line block ×3, first 2 shown]
	s_waitcnt vmcnt(43)
	v_fmac_f32_e32 v132, v116, v197
	v_add_f32_e32 v125, v125, v131
	v_fmac_f32_e32 v133, v118, v196
	v_add_f32_e32 v125, v125, v132
	;; [unrolled: 2-line block ×3, first 2 shown]
	s_waitcnt vmcnt(42) lgkmcnt(0)
	v_mul_f32_e32 v126, v121, v198
	v_add_f32_e32 v125, v125, v134
	v_fmac_f32_e32 v126, v122, v194
	v_add_f32_e32 v129, v125, v126
	ds_read2_b64 v[125:128], v100 offset0:73 offset1:74
	buffer_load_dword v241, off, s[0:3], 0 offset:336
	buffer_load_dword v242, off, s[0:3], 0 offset:340
	s_waitcnt vmcnt(43)
	v_mul_f32_e32 v130, v123, v199
	s_waitcnt vmcnt(37)
	v_fmac_f32_e32 v130, v124, v205
	v_add_f32_e32 v133, v129, v130
	ds_read2_b64 v[129:132], v100 offset0:75 offset1:76
	buffer_load_dword v243, off, s[0:3], 0 offset:344
	buffer_load_dword v244, off, s[0:3], 0 offset:348
	buffer_load_dword v245, off, s[0:3], 0 offset:356
	buffer_load_dword v246, off, s[0:3], 0 offset:360
	buffer_load_dword v247, off, s[0:3], 0 offset:364
	buffer_load_dword v248, off, s[0:3], 0 offset:352
	buffer_load_dword v249, off, s[0:3], 0 offset:368
	buffer_load_dword v250, off, s[0:3], 0 offset:372
	buffer_load_dword v251, off, s[0:3], 0 offset:380
	buffer_load_dword v252, off, s[0:3], 0 offset:384
	buffer_load_dword v253, off, s[0:3], 0 offset:388
	buffer_load_dword v254, off, s[0:3], 0 offset:376
	s_waitcnt vmcnt(48) lgkmcnt(1)
	v_mul_f32_e32 v134, v125, v206
	v_fmac_f32_e32 v134, v126, v204
	v_add_f32_e32 v133, v133, v134
	v_mul_f32_e32 v134, v127, v201
	v_fmac_f32_e32 v134, v128, v200
	v_add_f32_e32 v133, v133, v134
	s_waitcnt lgkmcnt(0)
	v_mul_f32_e32 v134, v129, v203
	v_fmac_f32_e32 v134, v130, v202
	v_add_f32_e32 v137, v133, v134
	ds_read2_b64 v[133:136], v100 offset0:77 offset1:78
	s_waitcnt vmcnt(44)
	v_mul_f32_e32 v138, v131, v210
	v_fmac_f32_e32 v138, v132, v209
	v_add_f32_e32 v141, v137, v138
	ds_read2_b64 v[137:140], v100 offset0:79 offset1:80
	s_waitcnt vmcnt(42) lgkmcnt(1)
	v_mul_f32_e32 v142, v133, v212
	v_fmac_f32_e32 v142, v134, v211
	v_add_f32_e32 v141, v141, v142
	s_waitcnt vmcnt(40)
	v_mul_f32_e32 v142, v135, v214
	v_fmac_f32_e32 v142, v136, v213
	v_add_f32_e32 v141, v141, v142
	s_waitcnt vmcnt(38) lgkmcnt(0)
	v_mul_f32_e32 v142, v137, v216
	v_fmac_f32_e32 v142, v138, v215
	v_add_f32_e32 v145, v141, v142
	ds_read2_b64 v[141:144], v100 offset0:81 offset1:82
	s_waitcnt vmcnt(36)
	v_mul_f32_e32 v146, v139, v218
	v_fmac_f32_e32 v146, v140, v217
	v_add_f32_e32 v149, v145, v146
	ds_read2_b64 v[145:148], v100 offset0:83 offset1:84
	s_waitcnt vmcnt(34) lgkmcnt(1)
	v_mul_f32_e32 v150, v141, v220
	v_fmac_f32_e32 v150, v142, v219
	v_add_f32_e32 v149, v149, v150
	s_waitcnt vmcnt(32)
	v_mul_f32_e32 v150, v143, v222
	v_fmac_f32_e32 v150, v144, v221
	v_add_f32_e32 v149, v149, v150
	s_waitcnt vmcnt(30) lgkmcnt(0)
	v_mul_f32_e32 v150, v145, v224
	v_fmac_f32_e32 v150, v146, v223
	v_add_f32_e32 v153, v149, v150
	ds_read2_b64 v[149:152], v100 offset0:85 offset1:86
	s_waitcnt vmcnt(28)
	v_mul_f32_e32 v154, v147, v226
	v_fmac_f32_e32 v154, v148, v225
	v_add_f32_e32 v157, v153, v154
	ds_read2_b64 v[153:156], v100 offset0:87 offset1:88
	s_waitcnt vmcnt(26) lgkmcnt(1)
	v_mul_f32_e32 v158, v149, v228
	v_fmac_f32_e32 v158, v150, v227
	v_add_f32_e32 v157, v157, v158
	s_waitcnt vmcnt(25)
	v_mul_f32_e32 v158, v151, v229
	s_waitcnt vmcnt(22)
	v_fmac_f32_e32 v158, v152, v232
	v_add_f32_e32 v157, v157, v158
	s_waitcnt lgkmcnt(0)
	v_mul_f32_e32 v158, v153, v231
	v_fmac_f32_e32 v158, v154, v230
	v_add_f32_e32 v161, v157, v158
	ds_read2_b64 v[157:160], v100 offset0:89 offset1:90
	s_waitcnt vmcnt(20)
	v_mul_f32_e32 v162, v155, v234
	v_fmac_f32_e32 v162, v156, v233
	v_add_f32_e32 v165, v161, v162
	ds_read2_b64 v[161:164], v100 offset0:91 offset1:92
	s_waitcnt vmcnt(18) lgkmcnt(1)
	v_mul_f32_e32 v166, v157, v236
	v_fmac_f32_e32 v166, v158, v235
	v_add_f32_e32 v165, v165, v166
	s_waitcnt vmcnt(17)
	v_mul_f32_e32 v166, v159, v237
	s_waitcnt vmcnt(14)
	v_fmac_f32_e32 v166, v160, v240
	v_add_f32_e32 v165, v165, v166
	s_waitcnt lgkmcnt(0)
	v_mul_f32_e32 v166, v161, v239
	v_fmac_f32_e32 v166, v162, v238
	v_add_f32_e32 v169, v165, v166
	ds_read2_b64 v[165:168], v100 offset0:93 offset1:94
	s_waitcnt vmcnt(12)
	v_mul_f32_e32 v170, v163, v242
	v_fmac_f32_e32 v170, v164, v241
	v_add_f32_e32 v173, v169, v170
	ds_read2_b64 v[169:172], v100 offset0:95 offset1:96
	s_waitcnt vmcnt(10) lgkmcnt(1)
	v_mul_f32_e32 v174, v165, v244
	v_fmac_f32_e32 v174, v166, v243
	v_add_f32_e32 v173, v173, v174
	s_waitcnt vmcnt(9)
	v_mul_f32_e32 v174, v167, v245
	s_waitcnt vmcnt(6)
	v_fmac_f32_e32 v174, v168, v248
	v_add_f32_e32 v255, v173, v174
	ds_read2_b64 v[173:176], v100 offset0:97 offset1:98
	s_waitcnt lgkmcnt(1)
	v_mul_f32_e32 v1, v169, v247
	v_fmac_f32_e32 v1, v170, v246
	s_waitcnt vmcnt(4)
	v_mul_f32_e32 v2, v171, v250
	v_add_f32_e32 v1, v255, v1
	v_fmac_f32_e32 v2, v172, v249
	v_add_f32_e32 v1, v1, v2
	s_waitcnt vmcnt(3) lgkmcnt(0)
	v_mul_f32_e32 v2, v173, v251
	s_waitcnt vmcnt(0)
	v_fmac_f32_e32 v2, v174, v254
	v_add_f32_e32 v1, v1, v2
	v_mul_f32_e32 v2, v175, v253
	v_fmac_f32_e32 v2, v176, v252
	v_add_f32_e32 v1, v1, v2
	v_mul_f32_e32 v2, v102, v177
	v_fma_f32 v2, v101, v189, -v2
	v_mul_f32_e32 v100, v104, v178
	v_add_f32_e32 v2, 0, v2
	v_fma_f32 v100, v103, v188, -v100
	v_add_f32_e32 v2, v2, v100
	v_mul_f32_e32 v100, v106, v179
	v_fma_f32 v100, v105, v187, -v100
	v_add_f32_e32 v2, v2, v100
	v_mul_f32_e32 v100, v108, v180
	;; [unrolled: 3-line block ×36, first 2 shown]
	v_fma_f32 v100, v175, v252, -v100
	v_add_f32_e32 v2, v2, v100
	v_sub_f32_e32 v2, v207, v2
	v_sub_f32_e32 v1, v208, v1
	buffer_store_dword v2, off, s[0:3], 0 offset:80
	buffer_store_dword v1, off, s[0:3], 0 offset:84
	s_and_saveexec_b64 s[4:5], vcc
	s_cbranch_execz .LBB48_289
; %bb.288:
	buffer_load_dword v100, off, s[0:3], 0 offset:72
	buffer_load_dword v101, off, s[0:3], 0 offset:76
	v_mov_b32_e32 v1, 0
	buffer_store_dword v1, off, s[0:3], 0 offset:72
	buffer_store_dword v1, off, s[0:3], 0 offset:76
	s_waitcnt vmcnt(2)
	ds_write_b64 v99, v[100:101]
.LBB48_289:
	s_or_b64 exec, exec, s[4:5]
	s_waitcnt lgkmcnt(0)
	; wave barrier
	buffer_load_dword v1, off, s[0:3], 0 offset:84
	buffer_load_dword v2, off, s[0:3], 0 offset:92
	;; [unrolled: 1-line block ×50, first 2 shown]
	v_mov_b32_e32 v100, 0
	ds_read_b128 v[101:104], v100 offset:480
	ds_read_b128 v[105:108], v100 offset:496
	;; [unrolled: 1-line block ×6, first 2 shown]
	buffer_load_dword v227, off, s[0:3], 0 offset:272
	buffer_load_dword v228, off, s[0:3], 0 offset:276
	;; [unrolled: 1-line block ×8, first 2 shown]
	v_cmp_lt_u32_e32 vcc, 8, v0
	s_waitcnt vmcnt(57) lgkmcnt(5)
	v_mul_f32_e32 v125, v101, v1
	s_waitcnt vmcnt(56)
	v_mul_f32_e32 v126, v103, v2
	s_waitcnt vmcnt(55) lgkmcnt(4)
	v_mul_f32_e32 v127, v105, v179
	s_waitcnt vmcnt(54)
	v_mul_f32_e32 v128, v107, v180
	;; [unrolled: 4-line block ×5, first 2 shown]
	s_waitcnt vmcnt(47) lgkmcnt(0)
	v_mul_f32_e32 v135, v121, v187
	s_waitcnt vmcnt(46)
	v_fmac_f32_e32 v127, v106, v188
	s_waitcnt vmcnt(45)
	v_fmac_f32_e32 v126, v104, v189
	;; [unrolled: 2-line block ×3, first 2 shown]
	v_add_f32_e32 v125, 0, v125
	v_add_f32_e32 v125, v125, v126
	;; [unrolled: 1-line block ×3, first 2 shown]
	s_waitcnt vmcnt(40)
	v_fmac_f32_e32 v128, v108, v194
	v_fmac_f32_e32 v129, v110, v193
	v_add_f32_e32 v125, v125, v128
	v_fmac_f32_e32 v130, v112, v192
	v_add_f32_e32 v125, v125, v129
	;; [unrolled: 2-line block ×3, first 2 shown]
	s_waitcnt vmcnt(36)
	v_fmac_f32_e32 v132, v116, v198
	v_add_f32_e32 v125, v125, v131
	v_fmac_f32_e32 v133, v118, v197
	v_add_f32_e32 v125, v125, v132
	;; [unrolled: 2-line block ×3, first 2 shown]
	v_add_f32_e32 v125, v125, v134
	v_fmac_f32_e32 v135, v122, v195
	v_add_f32_e32 v129, v125, v135
	ds_read_b128 v[125:128], v100 offset:576
	buffer_load_dword v235, off, s[0:3], 0 offset:304
	buffer_load_dword v236, off, s[0:3], 0 offset:308
	;; [unrolled: 1-line block ×6, first 2 shown]
	s_waitcnt vmcnt(41)
	v_mul_f32_e32 v130, v123, v199
	s_waitcnt vmcnt(34)
	v_fmac_f32_e32 v130, v124, v206
	v_add_f32_e32 v133, v129, v130
	ds_read_b128 v[129:132], v100 offset:592
	buffer_load_dword v241, off, s[0:3], 0 offset:328
	buffer_load_dword v242, off, s[0:3], 0 offset:332
	;; [unrolled: 1-line block ×16, first 2 shown]
	v_mul_f32_e32 v1, v102, v1
	v_fma_f32 v1, v101, v190, -v1
	v_mul_f32_e32 v2, v104, v2
	v_add_f32_e32 v1, 0, v1
	v_fma_f32 v2, v103, v189, -v2
	v_add_f32_e32 v1, v1, v2
	v_mul_f32_e32 v2, v106, v179
	v_fma_f32 v2, v105, v188, -v2
	s_waitcnt lgkmcnt(1)
	v_mul_f32_e32 v134, v125, v201
	v_add_f32_e32 v1, v1, v2
	v_mul_f32_e32 v2, v108, v180
	v_fmac_f32_e32 v134, v126, v200
	v_fma_f32 v2, v107, v194, -v2
	v_add_f32_e32 v133, v133, v134
	v_mul_f32_e32 v134, v127, v203
	v_add_f32_e32 v1, v1, v2
	v_mul_f32_e32 v2, v110, v181
	v_fmac_f32_e32 v134, v128, v202
	v_fma_f32 v2, v109, v193, -v2
	v_add_f32_e32 v133, v133, v134
	s_waitcnt lgkmcnt(0)
	v_mul_f32_e32 v134, v129, v205
	v_add_f32_e32 v1, v1, v2
	v_mul_f32_e32 v2, v112, v182
	v_fmac_f32_e32 v134, v130, v204
	v_fma_f32 v2, v111, v192, -v2
	v_add_f32_e32 v137, v133, v134
	ds_read_b128 v[133:136], v100 offset:608
	v_add_f32_e32 v1, v1, v2
	v_mul_f32_e32 v2, v114, v183
	v_fma_f32 v2, v113, v191, -v2
	s_waitcnt vmcnt(46)
	v_mul_f32_e32 v4, v131, v210
	v_add_f32_e32 v1, v1, v2
	v_mul_f32_e32 v2, v116, v184
	v_fmac_f32_e32 v4, v132, v209
	v_fma_f32 v2, v115, v198, -v2
	v_add_f32_e32 v4, v137, v4
	ds_read_b128 v[137:140], v100 offset:624
	v_add_f32_e32 v1, v1, v2
	v_mul_f32_e32 v2, v118, v185
	s_waitcnt vmcnt(44) lgkmcnt(1)
	v_mul_f32_e32 v141, v133, v212
	v_fma_f32 v2, v117, v197, -v2
	v_fmac_f32_e32 v141, v134, v211
	v_add_f32_e32 v1, v1, v2
	v_mul_f32_e32 v2, v120, v186
	v_add_f32_e32 v4, v4, v141
	s_waitcnt vmcnt(42)
	v_mul_f32_e32 v141, v135, v214
	v_fma_f32 v2, v119, v196, -v2
	v_fmac_f32_e32 v141, v136, v213
	v_add_f32_e32 v1, v1, v2
	v_mul_f32_e32 v2, v122, v187
	v_add_f32_e32 v4, v4, v141
	s_waitcnt vmcnt(40) lgkmcnt(0)
	v_mul_f32_e32 v141, v137, v216
	v_fma_f32 v2, v121, v195, -v2
	v_fmac_f32_e32 v141, v138, v215
	v_add_f32_e32 v1, v1, v2
	v_mul_f32_e32 v2, v124, v199
	v_add_f32_e32 v4, v4, v141
	ds_read_b128 v[141:144], v100 offset:640
	v_fma_f32 v2, v123, v206, -v2
	v_add_f32_e32 v1, v1, v2
	v_mul_f32_e32 v2, v126, v201
	s_waitcnt vmcnt(38)
	v_mul_f32_e32 v145, v139, v218
	v_fma_f32 v2, v125, v200, -v2
	v_fmac_f32_e32 v145, v140, v217
	v_add_f32_e32 v1, v1, v2
	v_mul_f32_e32 v2, v128, v203
	v_add_f32_e32 v4, v4, v145
	ds_read_b128 v[145:148], v100 offset:656
	v_fma_f32 v2, v127, v202, -v2
	s_waitcnt vmcnt(36) lgkmcnt(1)
	v_mul_f32_e32 v149, v141, v220
	v_add_f32_e32 v1, v1, v2
	v_mul_f32_e32 v2, v130, v205
	v_fmac_f32_e32 v149, v142, v219
	v_fma_f32 v2, v129, v204, -v2
	v_add_f32_e32 v4, v4, v149
	s_waitcnt vmcnt(34)
	v_mul_f32_e32 v149, v143, v222
	v_add_f32_e32 v1, v1, v2
	v_mul_f32_e32 v2, v132, v210
	v_fmac_f32_e32 v149, v144, v221
	v_fma_f32 v2, v131, v209, -v2
	v_add_f32_e32 v4, v4, v149
	s_waitcnt vmcnt(32) lgkmcnt(0)
	v_mul_f32_e32 v149, v145, v224
	v_add_f32_e32 v1, v1, v2
	v_mul_f32_e32 v2, v134, v212
	v_fmac_f32_e32 v149, v146, v223
	v_fma_f32 v2, v133, v211, -v2
	v_add_f32_e32 v4, v4, v149
	ds_read_b128 v[149:152], v100 offset:672
	v_add_f32_e32 v1, v1, v2
	v_mul_f32_e32 v2, v136, v214
	v_fma_f32 v2, v135, v213, -v2
	s_waitcnt vmcnt(30)
	v_mul_f32_e32 v153, v147, v226
	v_add_f32_e32 v1, v1, v2
	v_mul_f32_e32 v2, v138, v216
	v_fmac_f32_e32 v153, v148, v225
	v_fma_f32 v2, v137, v215, -v2
	v_add_f32_e32 v4, v4, v153
	ds_read_b128 v[153:156], v100 offset:688
	v_add_f32_e32 v1, v1, v2
	v_mul_f32_e32 v2, v140, v218
	s_waitcnt vmcnt(28) lgkmcnt(1)
	v_mul_f32_e32 v157, v149, v228
	v_fma_f32 v2, v139, v217, -v2
	v_fmac_f32_e32 v157, v150, v227
	v_add_f32_e32 v1, v1, v2
	v_mul_f32_e32 v2, v142, v220
	v_add_f32_e32 v4, v4, v157
	s_waitcnt vmcnt(27)
	v_mul_f32_e32 v157, v151, v229
	v_fma_f32 v2, v141, v219, -v2
	s_waitcnt vmcnt(24)
	v_fmac_f32_e32 v157, v152, v232
	v_add_f32_e32 v1, v1, v2
	v_mul_f32_e32 v2, v144, v222
	v_add_f32_e32 v4, v4, v157
	s_waitcnt lgkmcnt(0)
	v_mul_f32_e32 v157, v153, v231
	v_fma_f32 v2, v143, v221, -v2
	v_fmac_f32_e32 v157, v154, v230
	v_add_f32_e32 v1, v1, v2
	v_mul_f32_e32 v2, v146, v224
	v_add_f32_e32 v4, v4, v157
	ds_read_b128 v[157:160], v100 offset:704
	v_fma_f32 v2, v145, v223, -v2
	v_add_f32_e32 v1, v1, v2
	v_mul_f32_e32 v2, v148, v226
	s_waitcnt vmcnt(22)
	v_mul_f32_e32 v161, v155, v234
	v_fma_f32 v2, v147, v225, -v2
	v_fmac_f32_e32 v161, v156, v233
	v_add_f32_e32 v1, v1, v2
	v_mul_f32_e32 v2, v150, v228
	v_add_f32_e32 v4, v4, v161
	ds_read_b128 v[161:164], v100 offset:720
	v_fma_f32 v2, v149, v227, -v2
	s_waitcnt vmcnt(20) lgkmcnt(1)
	v_mul_f32_e32 v165, v157, v236
	v_add_f32_e32 v1, v1, v2
	v_mul_f32_e32 v2, v152, v229
	v_fmac_f32_e32 v165, v158, v235
	v_fma_f32 v2, v151, v232, -v2
	v_add_f32_e32 v4, v4, v165
	s_waitcnt vmcnt(19)
	v_mul_f32_e32 v165, v159, v237
	v_add_f32_e32 v1, v1, v2
	v_mul_f32_e32 v2, v154, v231
	s_waitcnt vmcnt(16)
	v_fmac_f32_e32 v165, v160, v240
	v_fma_f32 v2, v153, v230, -v2
	v_add_f32_e32 v4, v4, v165
	s_waitcnt lgkmcnt(0)
	v_mul_f32_e32 v165, v161, v239
	v_add_f32_e32 v1, v1, v2
	v_mul_f32_e32 v2, v156, v234
	v_fmac_f32_e32 v165, v162, v238
	v_fma_f32 v2, v155, v233, -v2
	v_add_f32_e32 v4, v4, v165
	ds_read_b128 v[165:168], v100 offset:736
	v_add_f32_e32 v1, v1, v2
	v_mul_f32_e32 v2, v158, v236
	v_fma_f32 v2, v157, v235, -v2
	s_waitcnt vmcnt(14)
	v_mul_f32_e32 v169, v163, v242
	v_add_f32_e32 v1, v1, v2
	v_mul_f32_e32 v2, v160, v237
	v_fmac_f32_e32 v169, v164, v241
	v_fma_f32 v2, v159, v240, -v2
	v_add_f32_e32 v4, v4, v169
	ds_read_b128 v[169:172], v100 offset:752
	v_add_f32_e32 v1, v1, v2
	v_mul_f32_e32 v2, v162, v239
	s_waitcnt vmcnt(12) lgkmcnt(1)
	v_mul_f32_e32 v173, v165, v244
	v_fma_f32 v2, v161, v238, -v2
	v_fmac_f32_e32 v173, v166, v243
	v_add_f32_e32 v1, v1, v2
	v_mul_f32_e32 v2, v164, v242
	v_add_f32_e32 v4, v4, v173
	s_waitcnt vmcnt(11)
	v_mul_f32_e32 v173, v167, v245
	v_fma_f32 v2, v163, v241, -v2
	s_waitcnt vmcnt(8)
	v_fmac_f32_e32 v173, v168, v248
	v_add_f32_e32 v1, v1, v2
	v_mul_f32_e32 v2, v166, v244
	v_add_f32_e32 v4, v4, v173
	s_waitcnt lgkmcnt(0)
	v_mul_f32_e32 v173, v169, v247
	v_fma_f32 v2, v165, v243, -v2
	v_fmac_f32_e32 v173, v170, v246
	v_add_f32_e32 v1, v1, v2
	v_mul_f32_e32 v2, v168, v245
	v_add_f32_e32 v4, v4, v173
	ds_read_b128 v[173:176], v100 offset:768
	v_fma_f32 v2, v167, v248, -v2
	v_add_f32_e32 v1, v1, v2
	v_mul_f32_e32 v2, v170, v247
	s_waitcnt vmcnt(6)
	v_mul_f32_e32 v177, v171, v250
	v_fma_f32 v2, v169, v246, -v2
	v_fmac_f32_e32 v177, v172, v249
	v_add_f32_e32 v1, v1, v2
	v_mul_f32_e32 v2, v172, v250
	v_add_f32_e32 v4, v4, v177
	ds_read_b64 v[177:178], v100 offset:784
	v_fma_f32 v2, v171, v249, -v2
	v_add_f32_e32 v1, v1, v2
	s_waitcnt vmcnt(4) lgkmcnt(1)
	v_mul_f32_e32 v2, v174, v252
	v_mul_f32_e32 v5, v173, v252
	v_fma_f32 v2, v173, v251, -v2
	v_fmac_f32_e32 v5, v174, v251
	v_add_f32_e32 v1, v1, v2
	s_waitcnt vmcnt(3)
	v_mul_f32_e32 v2, v176, v253
	v_add_f32_e32 v4, v4, v5
	v_mul_f32_e32 v5, v175, v253
	s_waitcnt vmcnt(0)
	v_fma_f32 v2, v175, v3, -v2
	v_fmac_f32_e32 v5, v176, v3
	v_add_f32_e32 v1, v1, v2
	s_waitcnt lgkmcnt(0)
	v_mul_f32_e32 v2, v178, v255
	v_add_f32_e32 v4, v4, v5
	v_mul_f32_e32 v5, v177, v255
	v_fma_f32 v2, v177, v254, -v2
	v_fmac_f32_e32 v5, v178, v254
	v_add_f32_e32 v1, v1, v2
	v_add_f32_e32 v4, v4, v5
	v_sub_f32_e32 v1, v207, v1
	v_sub_f32_e32 v2, v208, v4
	buffer_store_dword v1, off, s[0:3], 0 offset:72
	buffer_store_dword v2, off, s[0:3], 0 offset:76
	s_and_saveexec_b64 s[4:5], vcc
	s_cbranch_execz .LBB48_291
; %bb.290:
	buffer_load_dword v101, off, s[0:3], 0 offset:64
	buffer_load_dword v102, off, s[0:3], 0 offset:68
	s_waitcnt vmcnt(0)
	ds_write_b64 v99, v[101:102]
	buffer_store_dword v100, off, s[0:3], 0 offset:64
	buffer_store_dword v100, off, s[0:3], 0 offset:68
.LBB48_291:
	s_or_b64 exec, exec, s[4:5]
	s_waitcnt lgkmcnt(0)
	; wave barrier
	buffer_load_dword v1, off, s[0:3], 0 offset:76
	buffer_load_dword v2, off, s[0:3], 0 offset:84
	;; [unrolled: 1-line block ×32, first 2 shown]
	ds_read2_b64 v[101:104], v100 offset0:59 offset1:60
	ds_read2_b64 v[105:108], v100 offset0:61 offset1:62
	;; [unrolled: 1-line block ×6, first 2 shown]
	buffer_load_dword v207, off, s[0:3], 0 offset:192
	buffer_load_dword v208, off, s[0:3], 0 offset:196
	;; [unrolled: 1-line block ×26, first 2 shown]
	v_cmp_lt_u32_e32 vcc, 7, v0
	s_waitcnt vmcnt(57) lgkmcnt(5)
	v_mul_f32_e32 v125, v101, v1
	s_waitcnt vmcnt(56)
	v_mul_f32_e32 v126, v103, v2
	s_waitcnt vmcnt(55) lgkmcnt(4)
	v_mul_f32_e32 v127, v105, v3
	s_waitcnt vmcnt(54)
	v_mul_f32_e32 v128, v107, v4
	;; [unrolled: 4-line block ×5, first 2 shown]
	s_waitcnt vmcnt(47) lgkmcnt(0)
	v_mul_f32_e32 v135, v121, v185
	s_waitcnt vmcnt(46)
	v_fmac_f32_e32 v127, v106, v186
	s_waitcnt vmcnt(45)
	v_fmac_f32_e32 v126, v104, v187
	;; [unrolled: 2-line block ×3, first 2 shown]
	v_add_f32_e32 v125, 0, v125
	v_add_f32_e32 v125, v125, v126
	;; [unrolled: 1-line block ×3, first 2 shown]
	s_waitcnt vmcnt(40)
	v_fmac_f32_e32 v128, v108, v192
	v_fmac_f32_e32 v129, v110, v191
	v_add_f32_e32 v125, v125, v128
	v_fmac_f32_e32 v130, v112, v190
	v_add_f32_e32 v125, v125, v129
	;; [unrolled: 2-line block ×3, first 2 shown]
	s_waitcnt vmcnt(36)
	v_fmac_f32_e32 v132, v116, v196
	v_add_f32_e32 v125, v125, v131
	v_fmac_f32_e32 v133, v118, v195
	v_add_f32_e32 v125, v125, v132
	;; [unrolled: 2-line block ×4, first 2 shown]
	v_add_f32_e32 v129, v125, v135
	ds_read2_b64 v[125:128], v100 offset0:71 offset1:72
	buffer_load_dword v233, off, s[0:3], 0 offset:296
	buffer_load_dword v234, off, s[0:3], 0 offset:300
	;; [unrolled: 1-line block ×6, first 2 shown]
	s_waitcnt vmcnt(41)
	v_mul_f32_e32 v130, v123, v197
	s_waitcnt vmcnt(35)
	v_fmac_f32_e32 v130, v124, v203
	v_add_f32_e32 v133, v129, v130
	ds_read2_b64 v[129:132], v100 offset0:73 offset1:74
	buffer_load_dword v239, off, s[0:3], 0 offset:320
	buffer_load_dword v240, off, s[0:3], 0 offset:324
	;; [unrolled: 1-line block ×10, first 2 shown]
	s_waitcnt vmcnt(44) lgkmcnt(1)
	v_mul_f32_e32 v134, v125, v204
	v_fmac_f32_e32 v134, v126, v202
	v_add_f32_e32 v133, v133, v134
	v_mul_f32_e32 v134, v127, v199
	v_fmac_f32_e32 v134, v128, v198
	v_add_f32_e32 v133, v133, v134
	s_waitcnt lgkmcnt(0)
	v_mul_f32_e32 v134, v129, v201
	buffer_load_dword v249, off, s[0:3], 0 offset:360
	buffer_load_dword v250, off, s[0:3], 0 offset:364
	;; [unrolled: 1-line block ×6, first 2 shown]
	v_fmac_f32_e32 v134, v130, v200
	s_waitcnt vmcnt(46)
	v_mul_f32_e32 v138, v131, v208
	v_add_f32_e32 v137, v133, v134
	v_fmac_f32_e32 v138, v132, v207
	ds_read2_b64 v[133:136], v100 offset0:75 offset1:76
	v_add_f32_e32 v141, v137, v138
	ds_read2_b64 v[137:140], v100 offset0:77 offset1:78
	buffer_load_dword v255, off, s[0:3], 0 offset:384
	buffer_load_dword v7, off, s[0:3], 0 offset:388
	v_mul_f32_e32 v1, v102, v1
	v_fma_f32 v1, v101, v188, -v1
	v_mul_f32_e32 v2, v104, v2
	v_add_f32_e32 v1, 0, v1
	v_fma_f32 v2, v103, v187, -v2
	v_add_f32_e32 v1, v1, v2
	v_mul_f32_e32 v2, v106, v3
	v_fma_f32 v2, v105, v186, -v2
	v_add_f32_e32 v1, v1, v2
	v_mul_f32_e32 v2, v108, v4
	;; [unrolled: 3-line block ×7, first 2 shown]
	s_waitcnt vmcnt(46) lgkmcnt(1)
	v_mul_f32_e32 v8, v133, v210
	v_fma_f32 v2, v117, v195, -v2
	v_fmac_f32_e32 v8, v134, v209
	v_add_f32_e32 v1, v1, v2
	v_mul_f32_e32 v2, v120, v184
	v_add_f32_e32 v8, v141, v8
	s_waitcnt vmcnt(44)
	v_mul_f32_e32 v141, v135, v212
	v_fma_f32 v2, v119, v194, -v2
	v_fmac_f32_e32 v141, v136, v211
	v_add_f32_e32 v1, v1, v2
	v_mul_f32_e32 v2, v122, v185
	v_add_f32_e32 v8, v8, v141
	s_waitcnt vmcnt(42) lgkmcnt(0)
	v_mul_f32_e32 v141, v137, v214
	v_fma_f32 v2, v121, v193, -v2
	v_fmac_f32_e32 v141, v138, v213
	v_add_f32_e32 v1, v1, v2
	v_mul_f32_e32 v2, v124, v197
	v_add_f32_e32 v8, v8, v141
	ds_read2_b64 v[141:144], v100 offset0:79 offset1:80
	v_fma_f32 v2, v123, v203, -v2
	v_add_f32_e32 v1, v1, v2
	v_mul_f32_e32 v2, v126, v204
	s_waitcnt vmcnt(40)
	v_mul_f32_e32 v145, v139, v216
	v_fma_f32 v2, v125, v202, -v2
	v_fmac_f32_e32 v145, v140, v215
	v_add_f32_e32 v1, v1, v2
	v_mul_f32_e32 v2, v128, v199
	v_add_f32_e32 v8, v8, v145
	ds_read2_b64 v[145:148], v100 offset0:81 offset1:82
	v_fma_f32 v2, v127, v198, -v2
	s_waitcnt vmcnt(38) lgkmcnt(1)
	v_mul_f32_e32 v149, v141, v218
	v_add_f32_e32 v1, v1, v2
	v_mul_f32_e32 v2, v130, v201
	v_fmac_f32_e32 v149, v142, v217
	v_fma_f32 v2, v129, v200, -v2
	v_add_f32_e32 v8, v8, v149
	s_waitcnt vmcnt(36)
	v_mul_f32_e32 v149, v143, v220
	v_add_f32_e32 v1, v1, v2
	v_mul_f32_e32 v2, v132, v208
	v_fmac_f32_e32 v149, v144, v219
	v_fma_f32 v2, v131, v207, -v2
	v_add_f32_e32 v8, v8, v149
	s_waitcnt vmcnt(34) lgkmcnt(0)
	v_mul_f32_e32 v149, v145, v222
	v_add_f32_e32 v1, v1, v2
	v_mul_f32_e32 v2, v134, v210
	v_fmac_f32_e32 v149, v146, v221
	v_fma_f32 v2, v133, v209, -v2
	v_add_f32_e32 v8, v8, v149
	ds_read2_b64 v[149:152], v100 offset0:83 offset1:84
	v_add_f32_e32 v1, v1, v2
	v_mul_f32_e32 v2, v136, v212
	v_fma_f32 v2, v135, v211, -v2
	s_waitcnt vmcnt(32)
	v_mul_f32_e32 v153, v147, v224
	v_add_f32_e32 v1, v1, v2
	v_mul_f32_e32 v2, v138, v214
	v_fmac_f32_e32 v153, v148, v223
	v_fma_f32 v2, v137, v213, -v2
	v_add_f32_e32 v8, v8, v153
	ds_read2_b64 v[153:156], v100 offset0:85 offset1:86
	v_add_f32_e32 v1, v1, v2
	v_mul_f32_e32 v2, v140, v216
	s_waitcnt vmcnt(30) lgkmcnt(1)
	v_mul_f32_e32 v157, v149, v226
	v_fma_f32 v2, v139, v215, -v2
	v_fmac_f32_e32 v157, v150, v225
	v_add_f32_e32 v1, v1, v2
	v_mul_f32_e32 v2, v142, v218
	v_add_f32_e32 v8, v8, v157
	s_waitcnt vmcnt(29)
	v_mul_f32_e32 v157, v151, v227
	v_fma_f32 v2, v141, v217, -v2
	s_waitcnt vmcnt(26)
	v_fmac_f32_e32 v157, v152, v230
	v_add_f32_e32 v1, v1, v2
	v_mul_f32_e32 v2, v144, v220
	v_add_f32_e32 v8, v8, v157
	s_waitcnt lgkmcnt(0)
	v_mul_f32_e32 v157, v153, v229
	v_fma_f32 v2, v143, v219, -v2
	v_fmac_f32_e32 v157, v154, v228
	v_add_f32_e32 v1, v1, v2
	v_mul_f32_e32 v2, v146, v222
	v_add_f32_e32 v8, v8, v157
	ds_read2_b64 v[157:160], v100 offset0:87 offset1:88
	v_fma_f32 v2, v145, v221, -v2
	v_add_f32_e32 v1, v1, v2
	v_mul_f32_e32 v2, v148, v224
	s_waitcnt vmcnt(24)
	v_mul_f32_e32 v161, v155, v232
	v_fma_f32 v2, v147, v223, -v2
	v_fmac_f32_e32 v161, v156, v231
	v_add_f32_e32 v1, v1, v2
	v_mul_f32_e32 v2, v150, v226
	v_add_f32_e32 v8, v8, v161
	ds_read2_b64 v[161:164], v100 offset0:89 offset1:90
	v_fma_f32 v2, v149, v225, -v2
	s_waitcnt vmcnt(22) lgkmcnt(1)
	v_mul_f32_e32 v165, v157, v234
	v_add_f32_e32 v1, v1, v2
	v_mul_f32_e32 v2, v152, v227
	v_fmac_f32_e32 v165, v158, v233
	v_fma_f32 v2, v151, v230, -v2
	v_add_f32_e32 v8, v8, v165
	s_waitcnt vmcnt(21)
	v_mul_f32_e32 v165, v159, v235
	v_add_f32_e32 v1, v1, v2
	v_mul_f32_e32 v2, v154, v229
	s_waitcnt vmcnt(18)
	v_fmac_f32_e32 v165, v160, v238
	v_fma_f32 v2, v153, v228, -v2
	v_add_f32_e32 v8, v8, v165
	s_waitcnt lgkmcnt(0)
	v_mul_f32_e32 v165, v161, v237
	v_add_f32_e32 v1, v1, v2
	v_mul_f32_e32 v2, v156, v232
	v_fmac_f32_e32 v165, v162, v236
	v_fma_f32 v2, v155, v231, -v2
	v_add_f32_e32 v8, v8, v165
	ds_read2_b64 v[165:168], v100 offset0:91 offset1:92
	v_add_f32_e32 v1, v1, v2
	v_mul_f32_e32 v2, v158, v234
	v_fma_f32 v2, v157, v233, -v2
	s_waitcnt vmcnt(16)
	v_mul_f32_e32 v169, v163, v240
	v_add_f32_e32 v1, v1, v2
	v_mul_f32_e32 v2, v160, v235
	v_fmac_f32_e32 v169, v164, v239
	v_fma_f32 v2, v159, v238, -v2
	v_add_f32_e32 v8, v8, v169
	ds_read2_b64 v[169:172], v100 offset0:93 offset1:94
	v_add_f32_e32 v1, v1, v2
	v_mul_f32_e32 v2, v162, v237
	s_waitcnt vmcnt(14) lgkmcnt(1)
	v_mul_f32_e32 v173, v165, v242
	v_fma_f32 v2, v161, v236, -v2
	v_fmac_f32_e32 v173, v166, v241
	v_add_f32_e32 v1, v1, v2
	v_mul_f32_e32 v2, v164, v240
	v_add_f32_e32 v8, v8, v173
	s_waitcnt vmcnt(13)
	v_mul_f32_e32 v173, v167, v243
	v_fma_f32 v2, v163, v239, -v2
	s_waitcnt vmcnt(10)
	v_fmac_f32_e32 v173, v168, v246
	v_add_f32_e32 v1, v1, v2
	v_mul_f32_e32 v2, v166, v242
	v_add_f32_e32 v8, v8, v173
	s_waitcnt lgkmcnt(0)
	v_mul_f32_e32 v173, v169, v245
	v_fma_f32 v2, v165, v241, -v2
	v_fmac_f32_e32 v173, v170, v244
	v_add_f32_e32 v1, v1, v2
	v_mul_f32_e32 v2, v168, v243
	v_add_f32_e32 v8, v8, v173
	ds_read2_b64 v[173:176], v100 offset0:95 offset1:96
	v_fma_f32 v2, v167, v246, -v2
	v_add_f32_e32 v1, v1, v2
	v_mul_f32_e32 v2, v170, v245
	s_waitcnt vmcnt(8)
	v_mul_f32_e32 v177, v171, v248
	v_fma_f32 v2, v169, v244, -v2
	v_fmac_f32_e32 v177, v172, v247
	v_add_f32_e32 v1, v1, v2
	v_mul_f32_e32 v2, v172, v248
	v_add_f32_e32 v8, v8, v177
	ds_read2_b64 v[177:180], v100 offset0:97 offset1:98
	v_fma_f32 v2, v171, v247, -v2
	v_add_f32_e32 v1, v1, v2
	s_waitcnt vmcnt(6) lgkmcnt(1)
	v_mul_f32_e32 v2, v174, v250
	v_mul_f32_e32 v100, v173, v250
	v_fma_f32 v2, v173, v249, -v2
	v_fmac_f32_e32 v100, v174, v249
	v_add_f32_e32 v1, v1, v2
	s_waitcnt vmcnt(5)
	v_mul_f32_e32 v2, v176, v251
	v_add_f32_e32 v8, v8, v100
	v_mul_f32_e32 v100, v175, v251
	s_waitcnt vmcnt(2)
	v_fma_f32 v2, v175, v254, -v2
	v_fmac_f32_e32 v100, v176, v254
	v_add_f32_e32 v1, v1, v2
	s_waitcnt lgkmcnt(0)
	v_mul_f32_e32 v2, v178, v253
	v_add_f32_e32 v8, v8, v100
	v_mul_f32_e32 v100, v177, v253
	v_fma_f32 v2, v177, v252, -v2
	v_fmac_f32_e32 v100, v178, v252
	v_add_f32_e32 v1, v1, v2
	s_waitcnt vmcnt(0)
	v_mul_f32_e32 v2, v180, v7
	v_add_f32_e32 v8, v8, v100
	v_mul_f32_e32 v100, v179, v7
	v_fma_f32 v2, v179, v255, -v2
	v_fmac_f32_e32 v100, v180, v255
	v_add_f32_e32 v1, v1, v2
	v_add_f32_e32 v8, v8, v100
	v_sub_f32_e32 v1, v205, v1
	v_sub_f32_e32 v2, v206, v8
	buffer_store_dword v1, off, s[0:3], 0 offset:64
	buffer_store_dword v2, off, s[0:3], 0 offset:68
	s_and_saveexec_b64 s[4:5], vcc
	s_cbranch_execz .LBB48_293
; %bb.292:
	buffer_load_dword v100, off, s[0:3], 0 offset:56
	buffer_load_dword v101, off, s[0:3], 0 offset:60
	v_mov_b32_e32 v1, 0
	buffer_store_dword v1, off, s[0:3], 0 offset:56
	buffer_store_dword v1, off, s[0:3], 0 offset:60
	s_waitcnt vmcnt(2)
	ds_write_b64 v99, v[100:101]
.LBB48_293:
	s_or_b64 exec, exec, s[4:5]
	s_waitcnt lgkmcnt(0)
	; wave barrier
	buffer_load_dword v109, off, s[0:3], 0 offset:68
	buffer_load_dword v108, off, s[0:3], 0 offset:76
	;; [unrolled: 1-line block ×50, first 2 shown]
	v_mov_b32_e32 v100, 0
	ds_read_b128 v[110:113], v100 offset:464
	ds_read_b128 v[114:117], v100 offset:480
	;; [unrolled: 1-line block ×6, first 2 shown]
	buffer_load_dword v225, off, s[0:3], 0 offset:256
	buffer_load_dword v226, off, s[0:3], 0 offset:260
	;; [unrolled: 1-line block ×6, first 2 shown]
	v_cmp_lt_u32_e32 vcc, 6, v0
	s_waitcnt vmcnt(55) lgkmcnt(5)
	v_mul_f32_e32 v134, v110, v109
	s_waitcnt vmcnt(54)
	v_mul_f32_e32 v135, v112, v108
	s_waitcnt vmcnt(53) lgkmcnt(4)
	v_mul_f32_e32 v136, v114, v107
	s_waitcnt vmcnt(52)
	v_mul_f32_e32 v137, v116, v106
	;; [unrolled: 4-line block ×5, first 2 shown]
	s_waitcnt vmcnt(45) lgkmcnt(0)
	v_mul_f32_e32 v144, v130, v4
	s_waitcnt vmcnt(44)
	v_fmac_f32_e32 v136, v115, v5
	s_waitcnt vmcnt(43)
	v_fmac_f32_e32 v135, v113, v6
	;; [unrolled: 2-line block ×3, first 2 shown]
	v_add_f32_e32 v134, 0, v134
	v_add_f32_e32 v134, v134, v135
	;; [unrolled: 1-line block ×3, first 2 shown]
	s_waitcnt vmcnt(38)
	v_fmac_f32_e32 v137, v117, v194
	v_fmac_f32_e32 v138, v119, v193
	v_add_f32_e32 v134, v134, v137
	v_fmac_f32_e32 v139, v121, v192
	v_add_f32_e32 v134, v134, v138
	;; [unrolled: 2-line block ×3, first 2 shown]
	s_waitcnt vmcnt(34)
	v_fmac_f32_e32 v141, v125, v198
	v_add_f32_e32 v134, v134, v140
	v_fmac_f32_e32 v142, v127, v197
	v_add_f32_e32 v134, v134, v141
	;; [unrolled: 2-line block ×4, first 2 shown]
	v_add_f32_e32 v138, v134, v144
	ds_read_b128 v[134:137], v100 offset:560
	buffer_load_dword v231, off, s[0:3], 0 offset:280
	buffer_load_dword v232, off, s[0:3], 0 offset:284
	s_waitcnt vmcnt(35)
	v_mul_f32_e32 v139, v132, v199
	s_waitcnt vmcnt(29)
	v_fmac_f32_e32 v139, v133, v205
	v_add_f32_e32 v142, v138, v139
	ds_read_b128 v[138:141], v100 offset:576
	buffer_load_dword v233, off, s[0:3], 0 offset:288
	buffer_load_dword v234, off, s[0:3], 0 offset:292
	;; [unrolled: 1-line block ×14, first 2 shown]
	s_waitcnt vmcnt(42) lgkmcnt(1)
	v_mul_f32_e32 v143, v134, v206
	v_fmac_f32_e32 v143, v135, v204
	buffer_load_dword v247, off, s[0:3], 0 offset:344
	buffer_load_dword v248, off, s[0:3], 0 offset:348
	v_add_f32_e32 v142, v142, v143
	v_mul_f32_e32 v143, v136, v201
	v_fmac_f32_e32 v143, v137, v200
	v_add_f32_e32 v142, v142, v143
	s_waitcnt lgkmcnt(0)
	v_mul_f32_e32 v143, v138, v203
	v_fmac_f32_e32 v143, v139, v202
	v_add_f32_e32 v146, v142, v143
	ds_read_b128 v[142:145], v100 offset:592
	buffer_load_dword v249, off, s[0:3], 0 offset:352
	buffer_load_dword v250, off, s[0:3], 0 offset:356
	;; [unrolled: 1-line block ×6, first 2 shown]
	s_waitcnt vmcnt(46)
	v_mul_f32_e32 v147, v140, v208
	v_fmac_f32_e32 v147, v141, v207
	v_add_f32_e32 v150, v146, v147
	ds_read_b128 v[146:149], v100 offset:608
	buffer_load_dword v255, off, s[0:3], 0 offset:380
	buffer_load_dword v9, off, s[0:3], 0 offset:384
	;; [unrolled: 1-line block ×4, first 2 shown]
	s_waitcnt vmcnt(48) lgkmcnt(1)
	v_mul_f32_e32 v151, v142, v210
	v_fmac_f32_e32 v151, v143, v209
	v_add_f32_e32 v12, v150, v151
	s_waitcnt vmcnt(46)
	v_mul_f32_e32 v150, v144, v212
	v_fmac_f32_e32 v150, v145, v211
	v_add_f32_e32 v12, v12, v150
	s_waitcnt vmcnt(44) lgkmcnt(0)
	v_mul_f32_e32 v150, v146, v214
	v_fmac_f32_e32 v150, v147, v213
	v_add_f32_e32 v12, v12, v150
	ds_read_b128 v[150:153], v100 offset:624
	s_waitcnt vmcnt(42)
	v_mul_f32_e32 v154, v148, v216
	v_fmac_f32_e32 v154, v149, v215
	v_add_f32_e32 v12, v12, v154
	ds_read_b128 v[154:157], v100 offset:640
	s_waitcnt vmcnt(40) lgkmcnt(1)
	v_mul_f32_e32 v158, v150, v218
	v_fmac_f32_e32 v158, v151, v217
	v_add_f32_e32 v12, v12, v158
	s_waitcnt vmcnt(38)
	v_mul_f32_e32 v158, v152, v220
	v_fmac_f32_e32 v158, v153, v219
	v_add_f32_e32 v12, v12, v158
	s_waitcnt vmcnt(36) lgkmcnt(0)
	v_mul_f32_e32 v158, v154, v222
	v_fmac_f32_e32 v158, v155, v221
	v_add_f32_e32 v12, v12, v158
	ds_read_b128 v[158:161], v100 offset:656
	s_waitcnt vmcnt(34)
	v_mul_f32_e32 v162, v156, v224
	v_fmac_f32_e32 v162, v157, v223
	v_add_f32_e32 v12, v12, v162
	ds_read_b128 v[162:165], v100 offset:672
	s_waitcnt vmcnt(32) lgkmcnt(1)
	v_mul_f32_e32 v166, v158, v226
	v_fmac_f32_e32 v166, v159, v225
	v_add_f32_e32 v12, v12, v166
	s_waitcnt vmcnt(31)
	v_mul_f32_e32 v166, v160, v227
	s_waitcnt vmcnt(28)
	v_fmac_f32_e32 v166, v161, v230
	v_add_f32_e32 v12, v12, v166
	s_waitcnt lgkmcnt(0)
	v_mul_f32_e32 v166, v162, v229
	v_fmac_f32_e32 v166, v163, v228
	v_add_f32_e32 v12, v12, v166
	ds_read_b128 v[166:169], v100 offset:688
	v_mul_f32_e32 v1, v125, v1
	v_fma_f32 v1, v124, v198, -v1
	v_mul_f32_e32 v2, v127, v2
	v_fma_f32 v2, v126, v197, -v2
	s_waitcnt vmcnt(26)
	v_mul_f32_e32 v170, v164, v232
	v_fmac_f32_e32 v170, v165, v231
	v_add_f32_e32 v12, v12, v170
	ds_read_b128 v[170:173], v100 offset:704
	s_waitcnt vmcnt(24) lgkmcnt(1)
	v_mul_f32_e32 v174, v166, v234
	v_fmac_f32_e32 v174, v167, v233
	v_add_f32_e32 v12, v12, v174
	s_waitcnt vmcnt(23)
	v_mul_f32_e32 v174, v168, v235
	s_waitcnt vmcnt(20)
	v_fmac_f32_e32 v174, v169, v238
	v_add_f32_e32 v12, v12, v174
	s_waitcnt lgkmcnt(0)
	v_mul_f32_e32 v174, v170, v237
	v_fmac_f32_e32 v174, v171, v236
	v_add_f32_e32 v12, v12, v174
	ds_read_b128 v[174:177], v100 offset:720
	s_waitcnt vmcnt(18)
	v_mul_f32_e32 v178, v172, v240
	v_fmac_f32_e32 v178, v173, v239
	v_add_f32_e32 v12, v12, v178
	ds_read_b128 v[178:181], v100 offset:736
	s_waitcnt vmcnt(16) lgkmcnt(1)
	v_mul_f32_e32 v182, v174, v242
	v_fmac_f32_e32 v182, v175, v241
	v_add_f32_e32 v12, v12, v182
	s_waitcnt vmcnt(15)
	v_mul_f32_e32 v182, v176, v243
	s_waitcnt vmcnt(12)
	v_fmac_f32_e32 v182, v177, v246
	v_add_f32_e32 v12, v12, v182
	s_waitcnt lgkmcnt(0)
	v_mul_f32_e32 v182, v178, v245
	v_fmac_f32_e32 v182, v179, v244
	v_add_f32_e32 v12, v12, v182
	ds_read_b128 v[182:185], v100 offset:752
	s_waitcnt vmcnt(10)
	v_mul_f32_e32 v186, v180, v248
	v_fmac_f32_e32 v186, v181, v247
	v_add_f32_e32 v12, v12, v186
	ds_read_b128 v[186:189], v100 offset:768
	s_waitcnt vmcnt(8) lgkmcnt(1)
	v_mul_f32_e32 v190, v182, v250
	v_fmac_f32_e32 v190, v183, v249
	v_add_f32_e32 v12, v12, v190
	s_waitcnt vmcnt(7)
	v_mul_f32_e32 v190, v184, v251
	s_waitcnt vmcnt(4)
	v_fmac_f32_e32 v190, v185, v254
	v_add_f32_e32 v12, v12, v190
	ds_read_b64 v[190:191], v100 offset:784
	s_waitcnt lgkmcnt(1)
	v_mul_f32_e32 v13, v186, v253
	v_fmac_f32_e32 v13, v187, v252
	v_add_f32_e32 v12, v12, v13
	s_waitcnt vmcnt(3)
	v_mul_f32_e32 v13, v188, v255
	s_waitcnt vmcnt(0)
	v_fmac_f32_e32 v13, v189, v11
	v_add_f32_e32 v12, v12, v13
	s_waitcnt lgkmcnt(0)
	v_mul_f32_e32 v13, v190, v10
	v_fmac_f32_e32 v13, v191, v9
	v_add_f32_e32 v12, v12, v13
	v_mul_f32_e32 v13, v111, v109
	v_fma_f32 v7, v110, v7, -v13
	v_mul_f32_e32 v13, v113, v108
	v_add_f32_e32 v7, 0, v7
	v_fma_f32 v6, v112, v6, -v13
	v_add_f32_e32 v6, v7, v6
	v_mul_f32_e32 v7, v115, v107
	v_fma_f32 v5, v114, v5, -v7
	v_add_f32_e32 v5, v6, v5
	v_mul_f32_e32 v6, v117, v106
	;; [unrolled: 3-line block ×5, first 2 shown]
	v_fma_f32 v6, v122, v8, -v6
	v_add_f32_e32 v5, v5, v6
	v_add_f32_e32 v1, v5, v1
	;; [unrolled: 1-line block ×3, first 2 shown]
	v_mul_f32_e32 v2, v129, v3
	v_fma_f32 v2, v128, v196, -v2
	v_add_f32_e32 v1, v1, v2
	v_mul_f32_e32 v2, v131, v4
	v_fma_f32 v2, v130, v195, -v2
	v_add_f32_e32 v1, v1, v2
	;; [unrolled: 3-line block ×32, first 2 shown]
	v_sub_f32_e32 v1, v101, v1
	v_sub_f32_e32 v2, v102, v12
	buffer_store_dword v1, off, s[0:3], 0 offset:56
	buffer_store_dword v2, off, s[0:3], 0 offset:60
	s_and_saveexec_b64 s[4:5], vcc
	s_cbranch_execz .LBB48_295
; %bb.294:
	buffer_load_dword v101, off, s[0:3], 0 offset:48
	buffer_load_dword v102, off, s[0:3], 0 offset:52
	s_waitcnt vmcnt(0)
	ds_write_b64 v99, v[101:102]
	buffer_store_dword v100, off, s[0:3], 0 offset:48
	buffer_store_dword v100, off, s[0:3], 0 offset:52
.LBB48_295:
	s_or_b64 exec, exec, s[4:5]
	s_waitcnt lgkmcnt(0)
	; wave barrier
	buffer_load_dword v1, off, s[0:3], 0 offset:60
	buffer_load_dword v2, off, s[0:3], 0 offset:68
	;; [unrolled: 1-line block ×32, first 2 shown]
	ds_read2_b64 v[101:104], v100 offset0:57 offset1:58
	ds_read2_b64 v[105:108], v100 offset0:59 offset1:60
	;; [unrolled: 1-line block ×6, first 2 shown]
	buffer_load_dword v203, off, s[0:3], 0 offset:176
	buffer_load_dword v204, off, s[0:3], 0 offset:180
	;; [unrolled: 1-line block ×18, first 2 shown]
	v_cmp_lt_u32_e32 vcc, 5, v0
	s_waitcnt vmcnt(49) lgkmcnt(5)
	v_mul_f32_e32 v125, v101, v1
	s_waitcnt vmcnt(48)
	v_mul_f32_e32 v126, v103, v2
	s_waitcnt vmcnt(47) lgkmcnt(4)
	v_mul_f32_e32 v127, v105, v3
	s_waitcnt vmcnt(46)
	v_mul_f32_e32 v128, v107, v4
	;; [unrolled: 4-line block ×6, first 2 shown]
	s_waitcnt vmcnt(37)
	v_fmac_f32_e32 v127, v106, v13
	s_waitcnt vmcnt(36)
	v_fmac_f32_e32 v126, v104, v14
	;; [unrolled: 2-line block ×3, first 2 shown]
	v_add_f32_e32 v125, 0, v125
	v_add_f32_e32 v125, v125, v126
	;; [unrolled: 1-line block ×3, first 2 shown]
	s_waitcnt vmcnt(31)
	v_fmac_f32_e32 v128, v108, v189
	v_fmac_f32_e32 v129, v110, v188
	v_add_f32_e32 v125, v125, v128
	v_fmac_f32_e32 v130, v112, v187
	v_add_f32_e32 v125, v125, v129
	;; [unrolled: 2-line block ×3, first 2 shown]
	s_waitcnt vmcnt(27)
	v_fmac_f32_e32 v132, v116, v193
	v_add_f32_e32 v125, v125, v131
	v_fmac_f32_e32 v133, v118, v192
	v_add_f32_e32 v125, v125, v132
	;; [unrolled: 2-line block ×3, first 2 shown]
	v_add_f32_e32 v129, v125, v134
	ds_read2_b64 v[125:128], v100 offset0:69 offset1:70
	buffer_load_dword v221, off, s[0:3], 0 offset:248
	buffer_load_dword v222, off, s[0:3], 0 offset:252
	;; [unrolled: 1-line block ×6, first 2 shown]
	v_fmac_f32_e32 v135, v122, v190
	s_waitcnt vmcnt(27)
	v_fmac_f32_e32 v136, v124, v199
	v_add_f32_e32 v129, v129, v135
	v_add_f32_e32 v133, v129, v136
	ds_read2_b64 v[129:132], v100 offset0:71 offset1:72
	buffer_load_dword v227, off, s[0:3], 0 offset:272
	buffer_load_dword v228, off, s[0:3], 0 offset:276
	;; [unrolled: 1-line block ×10, first 2 shown]
	s_waitcnt vmcnt(36) lgkmcnt(1)
	v_mul_f32_e32 v134, v125, v200
	buffer_load_dword v237, off, s[0:3], 0 offset:312
	buffer_load_dword v238, off, s[0:3], 0 offset:316
	;; [unrolled: 1-line block ×6, first 2 shown]
	v_fmac_f32_e32 v134, v126, v198
	v_add_f32_e32 v133, v133, v134
	v_mul_f32_e32 v134, v127, v195
	v_fmac_f32_e32 v134, v128, v194
	v_add_f32_e32 v133, v133, v134
	s_waitcnt lgkmcnt(0)
	v_mul_f32_e32 v134, v129, v197
	v_fmac_f32_e32 v134, v130, v196
	v_add_f32_e32 v137, v133, v134
	ds_read2_b64 v[133:136], v100 offset0:73 offset1:74
	buffer_load_dword v243, off, s[0:3], 0 offset:336
	buffer_load_dword v244, off, s[0:3], 0 offset:340
	s_waitcnt vmcnt(40)
	v_mul_f32_e32 v138, v131, v204
	v_fmac_f32_e32 v138, v132, v203
	v_add_f32_e32 v141, v137, v138
	ds_read2_b64 v[137:140], v100 offset0:75 offset1:76
	buffer_load_dword v245, off, s[0:3], 0 offset:344
	buffer_load_dword v246, off, s[0:3], 0 offset:348
	;; [unrolled: 1-line block ×12, first 2 shown]
	v_mul_f32_e32 v1, v102, v1
	v_fma_f32 v1, v101, v185, -v1
	v_mul_f32_e32 v2, v104, v2
	v_add_f32_e32 v1, 0, v1
	v_fma_f32 v2, v103, v14, -v2
	v_add_f32_e32 v1, v1, v2
	v_mul_f32_e32 v2, v106, v3
	v_fma_f32 v2, v105, v13, -v2
	v_add_f32_e32 v1, v1, v2
	v_mul_f32_e32 v2, v108, v4
	v_fma_f32 v2, v107, v189, -v2
	v_add_f32_e32 v1, v1, v2
	v_mul_f32_e32 v2, v110, v5
	v_fma_f32 v2, v109, v188, -v2
	v_add_f32_e32 v1, v1, v2
	v_mul_f32_e32 v2, v112, v6
	v_fma_f32 v2, v111, v187, -v2
	v_add_f32_e32 v1, v1, v2
	v_mul_f32_e32 v2, v114, v7
	v_fma_f32 v2, v113, v186, -v2
	v_add_f32_e32 v1, v1, v2
	v_mul_f32_e32 v2, v116, v8
	v_fma_f32 v2, v115, v193, -v2
	s_waitcnt vmcnt(50) lgkmcnt(1)
	v_mul_f32_e32 v142, v133, v206
	v_add_f32_e32 v1, v1, v2
	v_mul_f32_e32 v2, v118, v9
	v_fmac_f32_e32 v142, v134, v205
	v_fma_f32 v2, v117, v192, -v2
	v_add_f32_e32 v141, v141, v142
	s_waitcnt vmcnt(48)
	v_mul_f32_e32 v142, v135, v208
	v_add_f32_e32 v1, v1, v2
	v_mul_f32_e32 v2, v120, v10
	v_fmac_f32_e32 v142, v136, v207
	v_fma_f32 v2, v119, v191, -v2
	v_add_f32_e32 v16, v141, v142
	s_waitcnt vmcnt(46) lgkmcnt(0)
	v_mul_f32_e32 v141, v137, v210
	v_add_f32_e32 v1, v1, v2
	v_mul_f32_e32 v2, v122, v11
	v_fmac_f32_e32 v141, v138, v209
	v_fma_f32 v2, v121, v190, -v2
	v_add_f32_e32 v16, v16, v141
	ds_read2_b64 v[141:144], v100 offset0:77 offset1:78
	v_add_f32_e32 v1, v1, v2
	v_mul_f32_e32 v2, v124, v12
	v_fma_f32 v2, v123, v199, -v2
	s_waitcnt vmcnt(44)
	v_mul_f32_e32 v145, v139, v212
	v_add_f32_e32 v1, v1, v2
	v_mul_f32_e32 v2, v126, v200
	v_fmac_f32_e32 v145, v140, v211
	v_fma_f32 v2, v125, v198, -v2
	v_add_f32_e32 v16, v16, v145
	ds_read2_b64 v[145:148], v100 offset0:79 offset1:80
	v_add_f32_e32 v1, v1, v2
	v_mul_f32_e32 v2, v128, v195
	s_waitcnt vmcnt(42) lgkmcnt(1)
	v_mul_f32_e32 v149, v141, v214
	v_fma_f32 v2, v127, v194, -v2
	v_fmac_f32_e32 v149, v142, v213
	v_add_f32_e32 v1, v1, v2
	v_mul_f32_e32 v2, v130, v197
	v_add_f32_e32 v16, v16, v149
	s_waitcnt vmcnt(40)
	v_mul_f32_e32 v149, v143, v216
	v_fma_f32 v2, v129, v196, -v2
	v_fmac_f32_e32 v149, v144, v215
	v_add_f32_e32 v1, v1, v2
	v_mul_f32_e32 v2, v132, v204
	v_add_f32_e32 v16, v16, v149
	s_waitcnt vmcnt(38) lgkmcnt(0)
	v_mul_f32_e32 v149, v145, v218
	v_fma_f32 v2, v131, v203, -v2
	v_fmac_f32_e32 v149, v146, v217
	v_add_f32_e32 v1, v1, v2
	v_mul_f32_e32 v2, v134, v206
	v_add_f32_e32 v16, v16, v149
	ds_read2_b64 v[149:152], v100 offset0:81 offset1:82
	v_fma_f32 v2, v133, v205, -v2
	v_add_f32_e32 v1, v1, v2
	v_mul_f32_e32 v2, v136, v208
	s_waitcnt vmcnt(36)
	v_mul_f32_e32 v153, v147, v220
	v_fma_f32 v2, v135, v207, -v2
	v_fmac_f32_e32 v153, v148, v219
	v_add_f32_e32 v1, v1, v2
	v_mul_f32_e32 v2, v138, v210
	v_add_f32_e32 v16, v16, v153
	ds_read2_b64 v[153:156], v100 offset0:83 offset1:84
	v_fma_f32 v2, v137, v209, -v2
	s_waitcnt vmcnt(34) lgkmcnt(1)
	v_mul_f32_e32 v157, v149, v222
	v_add_f32_e32 v1, v1, v2
	v_mul_f32_e32 v2, v140, v212
	v_fmac_f32_e32 v157, v150, v221
	v_fma_f32 v2, v139, v211, -v2
	v_add_f32_e32 v16, v16, v157
	s_waitcnt vmcnt(33)
	v_mul_f32_e32 v157, v151, v223
	v_add_f32_e32 v1, v1, v2
	v_mul_f32_e32 v2, v142, v214
	s_waitcnt vmcnt(30)
	v_fmac_f32_e32 v157, v152, v226
	v_fma_f32 v2, v141, v213, -v2
	v_add_f32_e32 v16, v16, v157
	s_waitcnt lgkmcnt(0)
	v_mul_f32_e32 v157, v153, v225
	v_add_f32_e32 v1, v1, v2
	v_mul_f32_e32 v2, v144, v216
	v_fmac_f32_e32 v157, v154, v224
	v_fma_f32 v2, v143, v215, -v2
	v_add_f32_e32 v16, v16, v157
	ds_read2_b64 v[157:160], v100 offset0:85 offset1:86
	v_add_f32_e32 v1, v1, v2
	v_mul_f32_e32 v2, v146, v218
	v_fma_f32 v2, v145, v217, -v2
	s_waitcnt vmcnt(28)
	v_mul_f32_e32 v161, v155, v228
	v_add_f32_e32 v1, v1, v2
	v_mul_f32_e32 v2, v148, v220
	v_fmac_f32_e32 v161, v156, v227
	v_fma_f32 v2, v147, v219, -v2
	v_add_f32_e32 v16, v16, v161
	ds_read2_b64 v[161:164], v100 offset0:87 offset1:88
	v_add_f32_e32 v1, v1, v2
	v_mul_f32_e32 v2, v150, v222
	s_waitcnt vmcnt(26) lgkmcnt(1)
	v_mul_f32_e32 v165, v157, v230
	v_fma_f32 v2, v149, v221, -v2
	v_fmac_f32_e32 v165, v158, v229
	v_add_f32_e32 v1, v1, v2
	v_mul_f32_e32 v2, v152, v223
	v_add_f32_e32 v16, v16, v165
	s_waitcnt vmcnt(25)
	v_mul_f32_e32 v165, v159, v231
	v_fma_f32 v2, v151, v226, -v2
	s_waitcnt vmcnt(22)
	v_fmac_f32_e32 v165, v160, v234
	v_add_f32_e32 v1, v1, v2
	v_mul_f32_e32 v2, v154, v225
	v_add_f32_e32 v16, v16, v165
	s_waitcnt lgkmcnt(0)
	v_mul_f32_e32 v165, v161, v233
	v_fma_f32 v2, v153, v224, -v2
	v_fmac_f32_e32 v165, v162, v232
	v_add_f32_e32 v1, v1, v2
	v_mul_f32_e32 v2, v156, v228
	v_add_f32_e32 v16, v16, v165
	ds_read2_b64 v[165:168], v100 offset0:89 offset1:90
	v_fma_f32 v2, v155, v227, -v2
	v_add_f32_e32 v1, v1, v2
	v_mul_f32_e32 v2, v158, v230
	s_waitcnt vmcnt(20)
	v_mul_f32_e32 v169, v163, v236
	v_fma_f32 v2, v157, v229, -v2
	v_fmac_f32_e32 v169, v164, v235
	v_add_f32_e32 v1, v1, v2
	v_mul_f32_e32 v2, v160, v231
	v_add_f32_e32 v16, v16, v169
	ds_read2_b64 v[169:172], v100 offset0:91 offset1:92
	v_fma_f32 v2, v159, v234, -v2
	s_waitcnt vmcnt(18) lgkmcnt(1)
	v_mul_f32_e32 v173, v165, v238
	v_add_f32_e32 v1, v1, v2
	v_mul_f32_e32 v2, v162, v233
	v_fmac_f32_e32 v173, v166, v237
	v_fma_f32 v2, v161, v232, -v2
	v_add_f32_e32 v16, v16, v173
	s_waitcnt vmcnt(17)
	v_mul_f32_e32 v173, v167, v239
	v_add_f32_e32 v1, v1, v2
	v_mul_f32_e32 v2, v164, v236
	s_waitcnt vmcnt(14)
	v_fmac_f32_e32 v173, v168, v242
	v_fma_f32 v2, v163, v235, -v2
	v_add_f32_e32 v16, v16, v173
	s_waitcnt lgkmcnt(0)
	v_mul_f32_e32 v173, v169, v241
	v_add_f32_e32 v1, v1, v2
	v_mul_f32_e32 v2, v166, v238
	v_fmac_f32_e32 v173, v170, v240
	v_fma_f32 v2, v165, v237, -v2
	v_add_f32_e32 v16, v16, v173
	ds_read2_b64 v[173:176], v100 offset0:93 offset1:94
	v_add_f32_e32 v1, v1, v2
	v_mul_f32_e32 v2, v168, v239
	v_fma_f32 v2, v167, v242, -v2
	v_add_f32_e32 v1, v1, v2
	v_mul_f32_e32 v2, v170, v241
	s_waitcnt vmcnt(12)
	v_mul_f32_e32 v177, v171, v244
	v_fma_f32 v2, v169, v240, -v2
	v_fmac_f32_e32 v177, v172, v243
	v_add_f32_e32 v1, v1, v2
	v_mul_f32_e32 v2, v172, v244
	v_add_f32_e32 v16, v16, v177
	ds_read2_b64 v[177:180], v100 offset0:95 offset1:96
	s_waitcnt vmcnt(10) lgkmcnt(1)
	v_mul_f32_e32 v181, v173, v246
	v_fma_f32 v2, v171, v243, -v2
	v_fmac_f32_e32 v181, v174, v245
	v_add_f32_e32 v1, v1, v2
	v_mul_f32_e32 v2, v174, v246
	v_add_f32_e32 v16, v16, v181
	s_waitcnt vmcnt(9)
	v_mul_f32_e32 v181, v175, v247
	v_fma_f32 v2, v173, v245, -v2
	s_waitcnt vmcnt(6)
	v_fmac_f32_e32 v181, v176, v250
	v_add_f32_e32 v1, v1, v2
	v_mul_f32_e32 v2, v176, v247
	v_add_f32_e32 v16, v16, v181
	ds_read2_b64 v[181:184], v100 offset0:97 offset1:98
	v_fma_f32 v2, v175, v250, -v2
	v_add_f32_e32 v1, v1, v2
	s_waitcnt lgkmcnt(1)
	v_mul_f32_e32 v2, v178, v249
	v_mul_f32_e32 v17, v177, v249
	v_fma_f32 v2, v177, v248, -v2
	v_fmac_f32_e32 v17, v178, v248
	v_add_f32_e32 v1, v1, v2
	s_waitcnt vmcnt(4)
	v_mul_f32_e32 v2, v180, v252
	v_add_f32_e32 v16, v16, v17
	v_mul_f32_e32 v17, v179, v252
	v_fma_f32 v2, v179, v251, -v2
	v_fmac_f32_e32 v17, v180, v251
	v_add_f32_e32 v1, v1, v2
	s_waitcnt vmcnt(3) lgkmcnt(0)
	v_mul_f32_e32 v2, v182, v253
	v_add_f32_e32 v16, v16, v17
	v_mul_f32_e32 v17, v181, v253
	s_waitcnt vmcnt(0)
	v_fma_f32 v2, v181, v15, -v2
	v_fmac_f32_e32 v17, v182, v15
	v_add_f32_e32 v1, v1, v2
	v_mul_f32_e32 v2, v184, v255
	v_add_f32_e32 v16, v16, v17
	v_mul_f32_e32 v17, v183, v255
	v_fma_f32 v2, v183, v254, -v2
	v_fmac_f32_e32 v17, v184, v254
	v_add_f32_e32 v1, v1, v2
	v_add_f32_e32 v16, v16, v17
	v_sub_f32_e32 v1, v201, v1
	v_sub_f32_e32 v2, v202, v16
	buffer_store_dword v1, off, s[0:3], 0 offset:48
	buffer_store_dword v2, off, s[0:3], 0 offset:52
	s_and_saveexec_b64 s[4:5], vcc
	s_cbranch_execz .LBB48_297
; %bb.296:
	buffer_load_dword v100, off, s[0:3], 0 offset:40
	buffer_load_dword v101, off, s[0:3], 0 offset:44
	v_mov_b32_e32 v1, 0
	buffer_store_dword v1, off, s[0:3], 0 offset:40
	buffer_store_dword v1, off, s[0:3], 0 offset:44
	s_waitcnt vmcnt(2)
	ds_write_b64 v99, v[100:101]
.LBB48_297:
	s_or_b64 exec, exec, s[4:5]
	s_waitcnt lgkmcnt(0)
	; wave barrier
	buffer_load_dword v109, off, s[0:3], 0 offset:52
	buffer_load_dword v108, off, s[0:3], 0 offset:60
	;; [unrolled: 1-line block ×48, first 2 shown]
	v_mov_b32_e32 v100, 0
	ds_read_b128 v[115:118], v100 offset:448
	ds_read_b128 v[119:122], v100 offset:464
	;; [unrolled: 1-line block ×6, first 2 shown]
	buffer_load_dword v217, off, s[0:3], 0 offset:232
	buffer_load_dword v218, off, s[0:3], 0 offset:236
	v_cmp_lt_u32_e32 vcc, 4, v0
	s_waitcnt vmcnt(49) lgkmcnt(5)
	v_mul_f32_e32 v139, v115, v109
	s_waitcnt vmcnt(48)
	v_mul_f32_e32 v140, v117, v108
	s_waitcnt vmcnt(47) lgkmcnt(4)
	v_mul_f32_e32 v141, v119, v107
	s_waitcnt vmcnt(46)
	v_mul_f32_e32 v142, v121, v106
	;; [unrolled: 4-line block ×6, first 2 shown]
	s_waitcnt vmcnt(37)
	v_fmac_f32_e32 v141, v120, v1
	s_waitcnt vmcnt(36)
	v_fmac_f32_e32 v140, v118, v2
	;; [unrolled: 2-line block ×3, first 2 shown]
	v_add_f32_e32 v139, 0, v139
	v_add_f32_e32 v139, v139, v140
	;; [unrolled: 1-line block ×3, first 2 shown]
	s_waitcnt vmcnt(31)
	v_fmac_f32_e32 v142, v122, v7
	v_fmac_f32_e32 v143, v124, v6
	v_add_f32_e32 v139, v139, v142
	v_fmac_f32_e32 v144, v126, v5
	v_add_f32_e32 v139, v139, v143
	v_fmac_f32_e32 v145, v128, v4
	v_add_f32_e32 v139, v139, v144
	s_waitcnt vmcnt(27)
	v_fmac_f32_e32 v146, v130, v11
	v_add_f32_e32 v139, v139, v145
	v_fmac_f32_e32 v147, v132, v10
	v_add_f32_e32 v139, v139, v146
	;; [unrolled: 2-line block ×4, first 2 shown]
	v_add_f32_e32 v143, v139, v149
	ds_read_b128 v[139:142], v100 offset:544
	buffer_load_dword v219, off, s[0:3], 0 offset:240
	buffer_load_dword v220, off, s[0:3], 0 offset:244
	;; [unrolled: 1-line block ×6, first 2 shown]
	s_waitcnt vmcnt(28)
	v_fmac_f32_e32 v150, v138, v16
	v_add_f32_e32 v147, v143, v150
	ds_read_b128 v[143:146], v100 offset:560
	buffer_load_dword v225, off, s[0:3], 0 offset:264
	buffer_load_dword v226, off, s[0:3], 0 offset:268
	;; [unrolled: 1-line block ×8, first 2 shown]
	s_waitcnt vmcnt(35) lgkmcnt(1)
	v_mul_f32_e32 v148, v139, v17
	buffer_load_dword v233, off, s[0:3], 0 offset:296
	buffer_load_dword v234, off, s[0:3], 0 offset:300
	v_fmac_f32_e32 v148, v140, v15
	v_add_f32_e32 v147, v147, v148
	s_waitcnt vmcnt(36)
	v_mul_f32_e32 v148, v141, v18
	v_fmac_f32_e32 v148, v142, v14
	v_add_f32_e32 v147, v147, v148
	s_waitcnt lgkmcnt(0)
	v_mul_f32_e32 v148, v143, v13
	v_fmac_f32_e32 v148, v144, v12
	v_add_f32_e32 v151, v147, v148
	ds_read_b128 v[147:150], v100 offset:576
	buffer_load_dword v235, off, s[0:3], 0 offset:304
	buffer_load_dword v236, off, s[0:3], 0 offset:308
	;; [unrolled: 1-line block ×6, first 2 shown]
	s_waitcnt vmcnt(38)
	v_mul_f32_e32 v152, v145, v202
	v_fmac_f32_e32 v152, v146, v201
	v_add_f32_e32 v155, v151, v152
	ds_read_b128 v[151:154], v100 offset:592
	buffer_load_dword v241, off, s[0:3], 0 offset:328
	buffer_load_dword v242, off, s[0:3], 0 offset:332
	;; [unrolled: 1-line block ×16, first 2 shown]
	s_waitcnt vmcnt(52) lgkmcnt(1)
	v_mul_f32_e32 v156, v147, v204
	v_fmac_f32_e32 v156, v148, v203
	v_add_f32_e32 v155, v155, v156
	s_waitcnt vmcnt(50)
	v_mul_f32_e32 v156, v149, v206
	v_fmac_f32_e32 v156, v150, v205
	v_add_f32_e32 v155, v155, v156
	s_waitcnt vmcnt(48) lgkmcnt(0)
	v_mul_f32_e32 v156, v151, v208
	v_fmac_f32_e32 v156, v152, v207
	v_add_f32_e32 v159, v155, v156
	ds_read_b128 v[155:158], v100 offset:608
	s_waitcnt vmcnt(46)
	v_mul_f32_e32 v20, v153, v210
	v_fmac_f32_e32 v20, v154, v209
	v_add_f32_e32 v20, v159, v20
	ds_read_b128 v[159:162], v100 offset:624
	s_waitcnt vmcnt(44) lgkmcnt(1)
	v_mul_f32_e32 v163, v155, v212
	v_fmac_f32_e32 v163, v156, v211
	v_add_f32_e32 v20, v20, v163
	s_waitcnt vmcnt(42)
	v_mul_f32_e32 v163, v157, v214
	v_fmac_f32_e32 v163, v158, v213
	v_add_f32_e32 v20, v20, v163
	s_waitcnt vmcnt(40) lgkmcnt(0)
	v_mul_f32_e32 v163, v159, v216
	v_fmac_f32_e32 v163, v160, v215
	v_add_f32_e32 v20, v20, v163
	ds_read_b128 v[163:166], v100 offset:640
	s_waitcnt vmcnt(38)
	v_mul_f32_e32 v167, v161, v218
	v_fmac_f32_e32 v167, v162, v217
	v_add_f32_e32 v20, v20, v167
	ds_read_b128 v[167:170], v100 offset:656
	s_waitcnt vmcnt(36) lgkmcnt(1)
	v_mul_f32_e32 v171, v163, v220
	v_fmac_f32_e32 v171, v164, v219
	v_add_f32_e32 v20, v20, v171
	s_waitcnt vmcnt(35)
	v_mul_f32_e32 v171, v165, v221
	s_waitcnt vmcnt(32)
	v_fmac_f32_e32 v171, v166, v224
	v_add_f32_e32 v20, v20, v171
	s_waitcnt lgkmcnt(0)
	v_mul_f32_e32 v171, v167, v223
	v_fmac_f32_e32 v171, v168, v222
	v_add_f32_e32 v20, v20, v171
	ds_read_b128 v[171:174], v100 offset:672
	s_waitcnt vmcnt(30)
	v_mul_f32_e32 v175, v169, v226
	v_fmac_f32_e32 v175, v170, v225
	v_add_f32_e32 v20, v20, v175
	ds_read_b128 v[175:178], v100 offset:688
	s_waitcnt vmcnt(28) lgkmcnt(1)
	v_mul_f32_e32 v179, v171, v228
	v_fmac_f32_e32 v179, v172, v227
	v_add_f32_e32 v20, v20, v179
	s_waitcnt vmcnt(27)
	v_mul_f32_e32 v179, v173, v229
	s_waitcnt vmcnt(24)
	v_fmac_f32_e32 v179, v174, v232
	v_add_f32_e32 v20, v20, v179
	s_waitcnt lgkmcnt(0)
	;; [unrolled: 19-line block ×4, first 2 shown]
	v_mul_f32_e32 v195, v191, v247
	v_fmac_f32_e32 v195, v192, v246
	v_add_f32_e32 v20, v20, v195
	ds_read_b128 v[195:198], v100 offset:768
	s_waitcnt vmcnt(6)
	v_mul_f32_e32 v199, v193, v250
	v_fmac_f32_e32 v199, v194, v249
	v_add_f32_e32 v20, v20, v199
	ds_read_b64 v[199:200], v100 offset:784
	s_waitcnt vmcnt(4) lgkmcnt(1)
	v_mul_f32_e32 v21, v195, v252
	v_fmac_f32_e32 v21, v196, v251
	v_add_f32_e32 v20, v20, v21
	s_waitcnt vmcnt(3)
	v_mul_f32_e32 v21, v197, v253
	s_waitcnt vmcnt(0)
	v_fmac_f32_e32 v21, v198, v19
	v_add_f32_e32 v20, v20, v21
	s_waitcnt lgkmcnt(0)
	v_mul_f32_e32 v21, v199, v255
	v_fmac_f32_e32 v21, v200, v254
	v_add_f32_e32 v20, v20, v21
	v_mul_f32_e32 v21, v116, v109
	v_fma_f32 v3, v115, v3, -v21
	v_mul_f32_e32 v21, v118, v108
	v_add_f32_e32 v3, 0, v3
	v_fma_f32 v2, v117, v2, -v21
	v_add_f32_e32 v2, v3, v2
	v_mul_f32_e32 v3, v120, v107
	v_fma_f32 v1, v119, v1, -v3
	v_add_f32_e32 v1, v2, v1
	v_mul_f32_e32 v2, v122, v106
	v_fma_f32 v2, v121, v7, -v2
	v_add_f32_e32 v1, v1, v2
	v_mul_f32_e32 v2, v124, v105
	v_fma_f32 v2, v123, v6, -v2
	v_add_f32_e32 v1, v1, v2
	v_mul_f32_e32 v2, v126, v104
	v_fma_f32 v2, v125, v5, -v2
	v_add_f32_e32 v1, v1, v2
	v_mul_f32_e32 v2, v128, v103
	v_fma_f32 v2, v127, v4, -v2
	v_add_f32_e32 v1, v1, v2
	v_mul_f32_e32 v2, v130, v110
	v_fma_f32 v2, v129, v11, -v2
	v_add_f32_e32 v1, v1, v2
	v_mul_f32_e32 v2, v132, v111
	v_fma_f32 v2, v131, v10, -v2
	v_add_f32_e32 v1, v1, v2
	v_mul_f32_e32 v2, v134, v112
	v_fma_f32 v2, v133, v9, -v2
	v_add_f32_e32 v1, v1, v2
	v_mul_f32_e32 v2, v136, v113
	v_fma_f32 v2, v135, v8, -v2
	v_add_f32_e32 v1, v1, v2
	v_mul_f32_e32 v2, v138, v114
	v_fma_f32 v2, v137, v16, -v2
	v_add_f32_e32 v1, v1, v2
	v_mul_f32_e32 v2, v140, v17
	v_fma_f32 v2, v139, v15, -v2
	v_add_f32_e32 v1, v1, v2
	v_mul_f32_e32 v2, v142, v18
	v_fma_f32 v2, v141, v14, -v2
	v_add_f32_e32 v1, v1, v2
	v_mul_f32_e32 v2, v144, v13
	v_fma_f32 v2, v143, v12, -v2
	v_add_f32_e32 v1, v1, v2
	v_mul_f32_e32 v2, v146, v202
	v_fma_f32 v2, v145, v201, -v2
	v_add_f32_e32 v1, v1, v2
	v_mul_f32_e32 v2, v148, v204
	v_fma_f32 v2, v147, v203, -v2
	v_add_f32_e32 v1, v1, v2
	v_mul_f32_e32 v2, v150, v206
	v_fma_f32 v2, v149, v205, -v2
	v_add_f32_e32 v1, v1, v2
	v_mul_f32_e32 v2, v152, v208
	v_fma_f32 v2, v151, v207, -v2
	v_add_f32_e32 v1, v1, v2
	v_mul_f32_e32 v2, v154, v210
	v_fma_f32 v2, v153, v209, -v2
	v_add_f32_e32 v1, v1, v2
	v_mul_f32_e32 v2, v156, v212
	v_fma_f32 v2, v155, v211, -v2
	v_add_f32_e32 v1, v1, v2
	v_mul_f32_e32 v2, v158, v214
	v_fma_f32 v2, v157, v213, -v2
	v_add_f32_e32 v1, v1, v2
	v_mul_f32_e32 v2, v160, v216
	v_fma_f32 v2, v159, v215, -v2
	v_add_f32_e32 v1, v1, v2
	v_mul_f32_e32 v2, v162, v218
	v_fma_f32 v2, v161, v217, -v2
	v_add_f32_e32 v1, v1, v2
	v_mul_f32_e32 v2, v164, v220
	v_fma_f32 v2, v163, v219, -v2
	v_add_f32_e32 v1, v1, v2
	v_mul_f32_e32 v2, v166, v221
	v_fma_f32 v2, v165, v224, -v2
	v_add_f32_e32 v1, v1, v2
	v_mul_f32_e32 v2, v168, v223
	v_fma_f32 v2, v167, v222, -v2
	v_add_f32_e32 v1, v1, v2
	v_mul_f32_e32 v2, v170, v226
	v_fma_f32 v2, v169, v225, -v2
	v_add_f32_e32 v1, v1, v2
	v_mul_f32_e32 v2, v172, v228
	v_fma_f32 v2, v171, v227, -v2
	v_add_f32_e32 v1, v1, v2
	v_mul_f32_e32 v2, v174, v229
	v_fma_f32 v2, v173, v232, -v2
	v_add_f32_e32 v1, v1, v2
	v_mul_f32_e32 v2, v176, v231
	v_fma_f32 v2, v175, v230, -v2
	v_add_f32_e32 v1, v1, v2
	v_mul_f32_e32 v2, v178, v234
	v_fma_f32 v2, v177, v233, -v2
	v_add_f32_e32 v1, v1, v2
	v_mul_f32_e32 v2, v180, v236
	v_fma_f32 v2, v179, v235, -v2
	v_add_f32_e32 v1, v1, v2
	v_mul_f32_e32 v2, v182, v237
	v_fma_f32 v2, v181, v240, -v2
	v_add_f32_e32 v1, v1, v2
	v_mul_f32_e32 v2, v184, v239
	v_fma_f32 v2, v183, v238, -v2
	v_add_f32_e32 v1, v1, v2
	v_mul_f32_e32 v2, v186, v242
	v_fma_f32 v2, v185, v241, -v2
	v_add_f32_e32 v1, v1, v2
	v_mul_f32_e32 v2, v188, v244
	v_fma_f32 v2, v187, v243, -v2
	v_add_f32_e32 v1, v1, v2
	v_mul_f32_e32 v2, v190, v245
	v_fma_f32 v2, v189, v248, -v2
	v_add_f32_e32 v1, v1, v2
	v_mul_f32_e32 v2, v192, v247
	v_fma_f32 v2, v191, v246, -v2
	v_add_f32_e32 v1, v1, v2
	v_mul_f32_e32 v2, v194, v250
	v_fma_f32 v2, v193, v249, -v2
	v_add_f32_e32 v1, v1, v2
	v_mul_f32_e32 v2, v196, v252
	v_fma_f32 v2, v195, v251, -v2
	v_add_f32_e32 v1, v1, v2
	v_mul_f32_e32 v2, v198, v253
	v_fma_f32 v2, v197, v19, -v2
	v_add_f32_e32 v1, v1, v2
	v_mul_f32_e32 v2, v200, v255
	v_fma_f32 v2, v199, v254, -v2
	v_add_f32_e32 v1, v1, v2
	v_sub_f32_e32 v1, v101, v1
	v_sub_f32_e32 v2, v102, v20
	buffer_store_dword v1, off, s[0:3], 0 offset:40
	buffer_store_dword v2, off, s[0:3], 0 offset:44
	s_and_saveexec_b64 s[4:5], vcc
	s_cbranch_execz .LBB48_299
; %bb.298:
	buffer_load_dword v101, off, s[0:3], 0 offset:32
	buffer_load_dword v102, off, s[0:3], 0 offset:36
	s_waitcnt vmcnt(0)
	ds_write_b64 v99, v[101:102]
	buffer_store_dword v100, off, s[0:3], 0 offset:32
	buffer_store_dword v100, off, s[0:3], 0 offset:36
.LBB48_299:
	s_or_b64 exec, exec, s[4:5]
	s_waitcnt lgkmcnt(0)
	; wave barrier
	buffer_load_dword v109, off, s[0:3], 0 offset:44
	buffer_load_dword v108, off, s[0:3], 0 offset:52
	;; [unrolled: 1-line block ×32, first 2 shown]
	ds_read2_b64 v[115:118], v100 offset0:55 offset1:56
	ds_read2_b64 v[119:122], v100 offset0:57 offset1:58
	ds_read2_b64 v[123:126], v100 offset0:59 offset1:60
	ds_read2_b64 v[127:130], v100 offset0:61 offset1:62
	buffer_load_dword v19, off, s[0:3], 0 offset:160
	buffer_load_dword v20, off, s[0:3], 0 offset:164
	ds_read2_b64 v[131:134], v100 offset0:63 offset1:64
	ds_read2_b64 v[135:138], v100 offset0:65 offset1:66
	ds_read2_b64 v[139:142], v100 offset0:67 offset1:68
	buffer_load_dword v21, off, s[0:3], 0 offset:168
	buffer_load_dword v22, off, s[0:3], 0 offset:172
	;; [unrolled: 1-line block ×16, first 2 shown]
	v_cmp_lt_u32_e32 vcc, 3, v0
	s_waitcnt vmcnt(49) lgkmcnt(6)
	v_mul_f32_e32 v143, v115, v109
	s_waitcnt vmcnt(48)
	v_mul_f32_e32 v144, v117, v108
	s_waitcnt vmcnt(47) lgkmcnt(5)
	v_mul_f32_e32 v145, v119, v107
	s_waitcnt vmcnt(46)
	v_mul_f32_e32 v146, v121, v106
	;; [unrolled: 4-line block ×6, first 2 shown]
	s_waitcnt vmcnt(37)
	v_fmac_f32_e32 v145, v120, v1
	s_waitcnt vmcnt(36)
	v_fmac_f32_e32 v144, v118, v2
	;; [unrolled: 2-line block ×3, first 2 shown]
	v_add_f32_e32 v143, 0, v143
	v_add_f32_e32 v143, v143, v144
	;; [unrolled: 1-line block ×3, first 2 shown]
	s_waitcnt vmcnt(31)
	v_fmac_f32_e32 v146, v122, v7
	v_fmac_f32_e32 v147, v124, v6
	v_add_f32_e32 v143, v143, v146
	v_fmac_f32_e32 v148, v126, v5
	v_add_f32_e32 v143, v143, v147
	v_fmac_f32_e32 v149, v128, v4
	v_add_f32_e32 v143, v143, v148
	s_waitcnt vmcnt(27)
	v_fmac_f32_e32 v150, v130, v11
	v_add_f32_e32 v143, v143, v149
	v_fmac_f32_e32 v151, v132, v10
	v_add_f32_e32 v143, v143, v150
	;; [unrolled: 2-line block ×4, first 2 shown]
	s_waitcnt vmcnt(23)
	v_fmac_f32_e32 v154, v138, v15
	v_add_f32_e32 v143, v143, v153
	v_add_f32_e32 v147, v143, v154
	ds_read2_b64 v[143:146], v100 offset0:69 offset1:70
	buffer_load_dword v217, off, s[0:3], 0 offset:232
	buffer_load_dword v218, off, s[0:3], 0 offset:236
	;; [unrolled: 1-line block ×14, first 2 shown]
	s_waitcnt vmcnt(36) lgkmcnt(1)
	v_mul_f32_e32 v148, v139, v16
	buffer_load_dword v231, off, s[0:3], 0 offset:288
	buffer_load_dword v232, off, s[0:3], 0 offset:292
	v_fmac_f32_e32 v148, v140, v14
	v_add_f32_e32 v147, v147, v148
	s_waitcnt vmcnt(37)
	v_mul_f32_e32 v148, v141, v17
	v_fmac_f32_e32 v148, v142, v13
	v_add_f32_e32 v147, v147, v148
	s_waitcnt vmcnt(36) lgkmcnt(0)
	v_mul_f32_e32 v148, v143, v18
	v_fmac_f32_e32 v148, v144, v12
	v_add_f32_e32 v151, v147, v148
	ds_read2_b64 v[147:150], v100 offset0:71 offset1:72
	buffer_load_dword v233, off, s[0:3], 0 offset:296
	buffer_load_dword v234, off, s[0:3], 0 offset:300
	;; [unrolled: 1-line block ×6, first 2 shown]
	s_waitcnt vmcnt(38)
	v_mul_f32_e32 v152, v145, v20
	v_fmac_f32_e32 v152, v146, v19
	v_add_f32_e32 v155, v151, v152
	ds_read2_b64 v[151:154], v100 offset0:73 offset1:74
	buffer_load_dword v239, off, s[0:3], 0 offset:320
	buffer_load_dword v240, off, s[0:3], 0 offset:324
	;; [unrolled: 1-line block ×10, first 2 shown]
	s_waitcnt vmcnt(46) lgkmcnt(1)
	v_mul_f32_e32 v156, v147, v22
	v_fmac_f32_e32 v156, v148, v21
	v_add_f32_e32 v155, v155, v156
	s_waitcnt vmcnt(44)
	v_mul_f32_e32 v156, v149, v204
	v_fmac_f32_e32 v156, v150, v203
	v_add_f32_e32 v155, v155, v156
	s_waitcnt vmcnt(42) lgkmcnt(0)
	v_mul_f32_e32 v156, v151, v206
	buffer_load_dword v249, off, s[0:3], 0 offset:360
	buffer_load_dword v250, off, s[0:3], 0 offset:364
	;; [unrolled: 1-line block ×6, first 2 shown]
	v_fmac_f32_e32 v156, v152, v205
	s_waitcnt vmcnt(46)
	v_mul_f32_e32 v160, v153, v208
	v_add_f32_e32 v159, v155, v156
	v_fmac_f32_e32 v160, v154, v207
	ds_read2_b64 v[155:158], v100 offset0:75 offset1:76
	v_add_f32_e32 v163, v159, v160
	ds_read2_b64 v[159:162], v100 offset0:77 offset1:78
	buffer_load_dword v255, off, s[0:3], 0 offset:384
	buffer_load_dword v23, off, s[0:3], 0 offset:388
	s_waitcnt vmcnt(46) lgkmcnt(1)
	v_mul_f32_e32 v24, v155, v210
	v_fmac_f32_e32 v24, v156, v209
	v_add_f32_e32 v24, v163, v24
	s_waitcnt vmcnt(44)
	v_mul_f32_e32 v163, v157, v212
	v_fmac_f32_e32 v163, v158, v211
	v_add_f32_e32 v24, v24, v163
	s_waitcnt vmcnt(42) lgkmcnt(0)
	v_mul_f32_e32 v163, v159, v214
	v_fmac_f32_e32 v163, v160, v213
	v_add_f32_e32 v24, v24, v163
	ds_read2_b64 v[163:166], v100 offset0:79 offset1:80
	s_waitcnt vmcnt(40)
	v_mul_f32_e32 v167, v161, v216
	v_fmac_f32_e32 v167, v162, v215
	v_add_f32_e32 v24, v24, v167
	ds_read2_b64 v[167:170], v100 offset0:81 offset1:82
	s_waitcnt vmcnt(38) lgkmcnt(1)
	v_mul_f32_e32 v171, v163, v218
	v_fmac_f32_e32 v171, v164, v217
	v_add_f32_e32 v24, v24, v171
	s_waitcnt vmcnt(37)
	v_mul_f32_e32 v171, v165, v219
	s_waitcnt vmcnt(34)
	v_fmac_f32_e32 v171, v166, v222
	v_add_f32_e32 v24, v24, v171
	s_waitcnt lgkmcnt(0)
	v_mul_f32_e32 v171, v167, v221
	v_fmac_f32_e32 v171, v168, v220
	v_add_f32_e32 v24, v24, v171
	ds_read2_b64 v[171:174], v100 offset0:83 offset1:84
	s_waitcnt vmcnt(32)
	v_mul_f32_e32 v175, v169, v224
	v_fmac_f32_e32 v175, v170, v223
	v_add_f32_e32 v24, v24, v175
	ds_read2_b64 v[175:178], v100 offset0:85 offset1:86
	s_waitcnt vmcnt(30) lgkmcnt(1)
	v_mul_f32_e32 v179, v171, v226
	v_fmac_f32_e32 v179, v172, v225
	v_add_f32_e32 v24, v24, v179
	s_waitcnt vmcnt(29)
	v_mul_f32_e32 v179, v173, v227
	s_waitcnt vmcnt(26)
	v_fmac_f32_e32 v179, v174, v230
	v_add_f32_e32 v24, v24, v179
	s_waitcnt lgkmcnt(0)
	;; [unrolled: 19-line block ×5, first 2 shown]
	v_mul_f32_e32 v100, v199, v253
	v_fmac_f32_e32 v100, v200, v252
	v_add_f32_e32 v24, v24, v100
	s_waitcnt vmcnt(0)
	v_mul_f32_e32 v100, v201, v23
	v_fmac_f32_e32 v100, v202, v255
	v_add_f32_e32 v24, v24, v100
	v_mul_f32_e32 v100, v116, v109
	v_fma_f32 v3, v115, v3, -v100
	v_mul_f32_e32 v100, v118, v108
	v_add_f32_e32 v3, 0, v3
	v_fma_f32 v2, v117, v2, -v100
	v_add_f32_e32 v2, v3, v2
	v_mul_f32_e32 v3, v120, v107
	v_fma_f32 v1, v119, v1, -v3
	v_add_f32_e32 v1, v2, v1
	v_mul_f32_e32 v2, v122, v106
	v_fma_f32 v2, v121, v7, -v2
	v_add_f32_e32 v1, v1, v2
	v_mul_f32_e32 v2, v124, v105
	v_fma_f32 v2, v123, v6, -v2
	v_add_f32_e32 v1, v1, v2
	v_mul_f32_e32 v2, v126, v104
	v_fma_f32 v2, v125, v5, -v2
	v_add_f32_e32 v1, v1, v2
	v_mul_f32_e32 v2, v128, v103
	v_fma_f32 v2, v127, v4, -v2
	v_add_f32_e32 v1, v1, v2
	v_mul_f32_e32 v2, v130, v110
	v_fma_f32 v2, v129, v11, -v2
	v_add_f32_e32 v1, v1, v2
	v_mul_f32_e32 v2, v132, v111
	v_fma_f32 v2, v131, v10, -v2
	v_add_f32_e32 v1, v1, v2
	v_mul_f32_e32 v2, v134, v112
	v_fma_f32 v2, v133, v9, -v2
	v_add_f32_e32 v1, v1, v2
	v_mul_f32_e32 v2, v136, v113
	v_fma_f32 v2, v135, v8, -v2
	v_add_f32_e32 v1, v1, v2
	v_mul_f32_e32 v2, v138, v114
	v_fma_f32 v2, v137, v15, -v2
	v_add_f32_e32 v1, v1, v2
	v_mul_f32_e32 v2, v140, v16
	v_fma_f32 v2, v139, v14, -v2
	v_add_f32_e32 v1, v1, v2
	v_mul_f32_e32 v2, v142, v17
	v_fma_f32 v2, v141, v13, -v2
	v_add_f32_e32 v1, v1, v2
	v_mul_f32_e32 v2, v144, v18
	v_fma_f32 v2, v143, v12, -v2
	v_add_f32_e32 v1, v1, v2
	v_mul_f32_e32 v2, v146, v20
	v_fma_f32 v2, v145, v19, -v2
	v_add_f32_e32 v1, v1, v2
	v_mul_f32_e32 v2, v148, v22
	v_fma_f32 v2, v147, v21, -v2
	v_add_f32_e32 v1, v1, v2
	v_mul_f32_e32 v2, v150, v204
	v_fma_f32 v2, v149, v203, -v2
	v_add_f32_e32 v1, v1, v2
	v_mul_f32_e32 v2, v152, v206
	v_fma_f32 v2, v151, v205, -v2
	v_add_f32_e32 v1, v1, v2
	v_mul_f32_e32 v2, v154, v208
	v_fma_f32 v2, v153, v207, -v2
	v_add_f32_e32 v1, v1, v2
	v_mul_f32_e32 v2, v156, v210
	v_fma_f32 v2, v155, v209, -v2
	v_add_f32_e32 v1, v1, v2
	v_mul_f32_e32 v2, v158, v212
	v_fma_f32 v2, v157, v211, -v2
	v_add_f32_e32 v1, v1, v2
	v_mul_f32_e32 v2, v160, v214
	v_fma_f32 v2, v159, v213, -v2
	v_add_f32_e32 v1, v1, v2
	v_mul_f32_e32 v2, v162, v216
	v_fma_f32 v2, v161, v215, -v2
	v_add_f32_e32 v1, v1, v2
	v_mul_f32_e32 v2, v164, v218
	v_fma_f32 v2, v163, v217, -v2
	v_add_f32_e32 v1, v1, v2
	v_mul_f32_e32 v2, v166, v219
	v_fma_f32 v2, v165, v222, -v2
	v_add_f32_e32 v1, v1, v2
	v_mul_f32_e32 v2, v168, v221
	v_fma_f32 v2, v167, v220, -v2
	v_add_f32_e32 v1, v1, v2
	v_mul_f32_e32 v2, v170, v224
	v_fma_f32 v2, v169, v223, -v2
	v_add_f32_e32 v1, v1, v2
	v_mul_f32_e32 v2, v172, v226
	v_fma_f32 v2, v171, v225, -v2
	v_add_f32_e32 v1, v1, v2
	v_mul_f32_e32 v2, v174, v227
	v_fma_f32 v2, v173, v230, -v2
	v_add_f32_e32 v1, v1, v2
	v_mul_f32_e32 v2, v176, v229
	v_fma_f32 v2, v175, v228, -v2
	v_add_f32_e32 v1, v1, v2
	v_mul_f32_e32 v2, v178, v232
	v_fma_f32 v2, v177, v231, -v2
	v_add_f32_e32 v1, v1, v2
	v_mul_f32_e32 v2, v180, v234
	v_fma_f32 v2, v179, v233, -v2
	v_add_f32_e32 v1, v1, v2
	v_mul_f32_e32 v2, v182, v235
	v_fma_f32 v2, v181, v238, -v2
	v_add_f32_e32 v1, v1, v2
	v_mul_f32_e32 v2, v184, v237
	v_fma_f32 v2, v183, v236, -v2
	v_add_f32_e32 v1, v1, v2
	v_mul_f32_e32 v2, v186, v240
	v_fma_f32 v2, v185, v239, -v2
	v_add_f32_e32 v1, v1, v2
	v_mul_f32_e32 v2, v188, v242
	v_fma_f32 v2, v187, v241, -v2
	v_add_f32_e32 v1, v1, v2
	v_mul_f32_e32 v2, v190, v243
	v_fma_f32 v2, v189, v246, -v2
	v_add_f32_e32 v1, v1, v2
	v_mul_f32_e32 v2, v192, v245
	v_fma_f32 v2, v191, v244, -v2
	v_add_f32_e32 v1, v1, v2
	v_mul_f32_e32 v2, v194, v248
	v_fma_f32 v2, v193, v247, -v2
	v_add_f32_e32 v1, v1, v2
	v_mul_f32_e32 v2, v196, v250
	v_fma_f32 v2, v195, v249, -v2
	v_add_f32_e32 v1, v1, v2
	v_mul_f32_e32 v2, v198, v251
	v_fma_f32 v2, v197, v254, -v2
	v_add_f32_e32 v1, v1, v2
	v_mul_f32_e32 v2, v200, v253
	v_fma_f32 v2, v199, v252, -v2
	v_add_f32_e32 v1, v1, v2
	v_mul_f32_e32 v2, v202, v23
	v_fma_f32 v2, v201, v255, -v2
	v_add_f32_e32 v1, v1, v2
	v_sub_f32_e32 v1, v101, v1
	v_sub_f32_e32 v2, v102, v24
	buffer_store_dword v1, off, s[0:3], 0 offset:32
	buffer_store_dword v2, off, s[0:3], 0 offset:36
	s_and_saveexec_b64 s[4:5], vcc
	s_cbranch_execz .LBB48_301
; %bb.300:
	buffer_load_dword v100, off, s[0:3], 0 offset:24
	buffer_load_dword v101, off, s[0:3], 0 offset:28
	v_mov_b32_e32 v1, 0
	buffer_store_dword v1, off, s[0:3], 0 offset:24
	buffer_store_dword v1, off, s[0:3], 0 offset:28
	s_waitcnt vmcnt(2)
	ds_write_b64 v99, v[100:101]
.LBB48_301:
	s_or_b64 exec, exec, s[4:5]
	s_waitcnt lgkmcnt(0)
	; wave barrier
	buffer_load_dword v1, off, s[0:3], 0 offset:36
	buffer_load_dword v2, off, s[0:3], 0 offset:44
	;; [unrolled: 1-line block ×48, first 2 shown]
	v_mov_b32_e32 v100, 0
	ds_read_b128 v[103:106], v100 offset:432
	ds_read_b128 v[107:110], v100 offset:448
	;; [unrolled: 1-line block ×7, first 2 shown]
	v_cmp_lt_u32_e32 vcc, 2, v0
	s_waitcnt vmcnt(47) lgkmcnt(6)
	v_mul_f32_e32 v131, v103, v1
	s_waitcnt vmcnt(46)
	v_mul_f32_e32 v132, v105, v2
	s_waitcnt vmcnt(45) lgkmcnt(5)
	v_mul_f32_e32 v133, v107, v3
	s_waitcnt vmcnt(44)
	v_mul_f32_e32 v134, v109, v4
	;; [unrolled: 4-line block ×6, first 2 shown]
	s_waitcnt vmcnt(35)
	v_fmac_f32_e32 v133, v108, v13
	s_waitcnt vmcnt(34)
	v_fmac_f32_e32 v132, v106, v14
	;; [unrolled: 2-line block ×3, first 2 shown]
	v_add_f32_e32 v131, 0, v131
	v_add_f32_e32 v131, v131, v132
	;; [unrolled: 1-line block ×3, first 2 shown]
	s_waitcnt vmcnt(29)
	v_fmac_f32_e32 v134, v110, v19
	v_fmac_f32_e32 v135, v112, v18
	v_add_f32_e32 v131, v131, v134
	v_fmac_f32_e32 v136, v114, v17
	v_add_f32_e32 v131, v131, v135
	;; [unrolled: 2-line block ×3, first 2 shown]
	s_waitcnt vmcnt(25)
	v_fmac_f32_e32 v138, v118, v23
	v_add_f32_e32 v131, v131, v137
	v_fmac_f32_e32 v139, v120, v22
	v_add_f32_e32 v131, v131, v138
	v_fmac_f32_e32 v140, v122, v21
	v_add_f32_e32 v131, v131, v139
	v_fmac_f32_e32 v141, v124, v20
	v_add_f32_e32 v131, v131, v140
	s_waitcnt vmcnt(21)
	v_fmac_f32_e32 v142, v126, v195
	v_add_f32_e32 v131, v131, v141
	v_add_f32_e32 v135, v131, v142
	ds_read_b128 v[131:134], v100 offset:544
	buffer_load_dword v215, off, s[0:3], 0 offset:216
	buffer_load_dword v216, off, s[0:3], 0 offset:220
	;; [unrolled: 1-line block ×10, first 2 shown]
	s_waitcnt vmcnt(30) lgkmcnt(1)
	v_mul_f32_e32 v136, v127, v196
	v_fmac_f32_e32 v136, v128, v194
	buffer_load_dword v225, off, s[0:3], 0 offset:256
	buffer_load_dword v226, off, s[0:3], 0 offset:260
	;; [unrolled: 1-line block ×6, first 2 shown]
	v_add_f32_e32 v135, v135, v136
	s_waitcnt vmcnt(35)
	v_mul_f32_e32 v136, v129, v197
	v_fmac_f32_e32 v136, v130, v193
	v_add_f32_e32 v135, v135, v136
	s_waitcnt vmcnt(34) lgkmcnt(0)
	v_mul_f32_e32 v136, v131, v198
	v_fmac_f32_e32 v136, v132, v24
	v_add_f32_e32 v139, v135, v136
	ds_read_b128 v[135:138], v100 offset:560
	buffer_load_dword v231, off, s[0:3], 0 offset:280
	buffer_load_dword v232, off, s[0:3], 0 offset:284
	s_waitcnt vmcnt(32)
	v_mul_f32_e32 v140, v133, v200
	v_fmac_f32_e32 v140, v134, v199
	v_add_f32_e32 v143, v139, v140
	ds_read_b128 v[139:142], v100 offset:576
	buffer_load_dword v233, off, s[0:3], 0 offset:288
	buffer_load_dword v234, off, s[0:3], 0 offset:292
	;; [unrolled: 1-line block ×14, first 2 shown]
	s_waitcnt vmcnt(44) lgkmcnt(1)
	v_mul_f32_e32 v144, v135, v202
	v_fmac_f32_e32 v144, v136, v201
	buffer_load_dword v247, off, s[0:3], 0 offset:344
	buffer_load_dword v248, off, s[0:3], 0 offset:348
	v_add_f32_e32 v143, v143, v144
	s_waitcnt vmcnt(44)
	v_mul_f32_e32 v144, v137, v204
	v_fmac_f32_e32 v144, v138, v203
	v_add_f32_e32 v143, v143, v144
	s_waitcnt vmcnt(42) lgkmcnt(0)
	v_mul_f32_e32 v144, v139, v206
	v_fmac_f32_e32 v144, v140, v205
	v_mul_f32_e32 v1, v104, v1
	v_add_f32_e32 v147, v143, v144
	ds_read_b128 v[143:146], v100 offset:592
	buffer_load_dword v249, off, s[0:3], 0 offset:352
	buffer_load_dword v250, off, s[0:3], 0 offset:356
	;; [unrolled: 1-line block ×6, first 2 shown]
	v_fma_f32 v1, v103, v15, -v1
	v_mul_f32_e32 v2, v106, v2
	v_add_f32_e32 v1, 0, v1
	v_fma_f32 v2, v105, v14, -v2
	v_add_f32_e32 v1, v1, v2
	v_mul_f32_e32 v2, v108, v3
	s_waitcnt vmcnt(46)
	v_mul_f32_e32 v148, v141, v208
	v_fma_f32 v2, v107, v13, -v2
	v_fmac_f32_e32 v148, v142, v207
	v_add_f32_e32 v1, v1, v2
	v_mul_f32_e32 v2, v110, v4
	v_add_f32_e32 v151, v147, v148
	ds_read_b128 v[147:150], v100 offset:608
	buffer_load_dword v255, off, s[0:3], 0 offset:380
	buffer_load_dword v25, off, s[0:3], 0 offset:384
	;; [unrolled: 1-line block ×4, first 2 shown]
	v_fma_f32 v2, v109, v19, -v2
	v_add_f32_e32 v1, v1, v2
	v_mul_f32_e32 v2, v112, v5
	v_fma_f32 v2, v111, v18, -v2
	v_add_f32_e32 v1, v1, v2
	v_mul_f32_e32 v2, v114, v6
	;; [unrolled: 3-line block ×8, first 2 shown]
	v_fma_f32 v2, v125, v195, -v2
	s_waitcnt vmcnt(48) lgkmcnt(1)
	v_mul_f32_e32 v152, v143, v210
	v_add_f32_e32 v1, v1, v2
	v_mul_f32_e32 v2, v128, v196
	v_fmac_f32_e32 v152, v144, v209
	v_fma_f32 v2, v127, v194, -v2
	v_add_f32_e32 v28, v151, v152
	s_waitcnt vmcnt(46)
	v_mul_f32_e32 v151, v145, v212
	v_add_f32_e32 v1, v1, v2
	v_mul_f32_e32 v2, v130, v197
	v_fmac_f32_e32 v151, v146, v211
	v_fma_f32 v2, v129, v193, -v2
	v_add_f32_e32 v28, v28, v151
	s_waitcnt vmcnt(44) lgkmcnt(0)
	v_mul_f32_e32 v151, v147, v214
	v_add_f32_e32 v1, v1, v2
	v_mul_f32_e32 v2, v132, v198
	v_fmac_f32_e32 v151, v148, v213
	v_fma_f32 v2, v131, v24, -v2
	v_add_f32_e32 v28, v28, v151
	ds_read_b128 v[151:154], v100 offset:624
	v_add_f32_e32 v1, v1, v2
	v_mul_f32_e32 v2, v134, v200
	v_fma_f32 v2, v133, v199, -v2
	s_waitcnt vmcnt(42)
	v_mul_f32_e32 v155, v149, v216
	v_add_f32_e32 v1, v1, v2
	v_mul_f32_e32 v2, v136, v202
	v_fmac_f32_e32 v155, v150, v215
	v_fma_f32 v2, v135, v201, -v2
	v_add_f32_e32 v28, v28, v155
	ds_read_b128 v[155:158], v100 offset:640
	v_add_f32_e32 v1, v1, v2
	v_mul_f32_e32 v2, v138, v204
	s_waitcnt vmcnt(40) lgkmcnt(1)
	v_mul_f32_e32 v159, v151, v218
	v_fma_f32 v2, v137, v203, -v2
	v_fmac_f32_e32 v159, v152, v217
	v_add_f32_e32 v1, v1, v2
	v_mul_f32_e32 v2, v140, v206
	v_add_f32_e32 v28, v28, v159
	s_waitcnt vmcnt(39)
	v_mul_f32_e32 v159, v153, v219
	v_fma_f32 v2, v139, v205, -v2
	s_waitcnt vmcnt(36)
	v_fmac_f32_e32 v159, v154, v222
	v_add_f32_e32 v1, v1, v2
	v_mul_f32_e32 v2, v142, v208
	v_add_f32_e32 v28, v28, v159
	s_waitcnt lgkmcnt(0)
	v_mul_f32_e32 v159, v155, v221
	v_fma_f32 v2, v141, v207, -v2
	v_fmac_f32_e32 v159, v156, v220
	v_add_f32_e32 v1, v1, v2
	v_mul_f32_e32 v2, v144, v210
	v_add_f32_e32 v28, v28, v159
	ds_read_b128 v[159:162], v100 offset:656
	v_fma_f32 v2, v143, v209, -v2
	v_add_f32_e32 v1, v1, v2
	v_mul_f32_e32 v2, v146, v212
	s_waitcnt vmcnt(34)
	v_mul_f32_e32 v163, v157, v224
	v_fma_f32 v2, v145, v211, -v2
	v_fmac_f32_e32 v163, v158, v223
	v_add_f32_e32 v1, v1, v2
	v_mul_f32_e32 v2, v148, v214
	v_add_f32_e32 v28, v28, v163
	ds_read_b128 v[163:166], v100 offset:672
	v_fma_f32 v2, v147, v213, -v2
	s_waitcnt vmcnt(32) lgkmcnt(1)
	v_mul_f32_e32 v167, v159, v226
	v_add_f32_e32 v1, v1, v2
	v_mul_f32_e32 v2, v150, v216
	v_fmac_f32_e32 v167, v160, v225
	v_fma_f32 v2, v149, v215, -v2
	v_add_f32_e32 v28, v28, v167
	s_waitcnt vmcnt(31)
	v_mul_f32_e32 v167, v161, v227
	v_add_f32_e32 v1, v1, v2
	v_mul_f32_e32 v2, v152, v218
	s_waitcnt vmcnt(28)
	v_fmac_f32_e32 v167, v162, v230
	v_fma_f32 v2, v151, v217, -v2
	v_add_f32_e32 v28, v28, v167
	s_waitcnt lgkmcnt(0)
	v_mul_f32_e32 v167, v163, v229
	v_add_f32_e32 v1, v1, v2
	v_mul_f32_e32 v2, v154, v219
	v_fmac_f32_e32 v167, v164, v228
	v_fma_f32 v2, v153, v222, -v2
	v_add_f32_e32 v28, v28, v167
	ds_read_b128 v[167:170], v100 offset:688
	v_add_f32_e32 v1, v1, v2
	v_mul_f32_e32 v2, v156, v221
	v_fma_f32 v2, v155, v220, -v2
	s_waitcnt vmcnt(26)
	v_mul_f32_e32 v171, v165, v232
	v_add_f32_e32 v1, v1, v2
	v_mul_f32_e32 v2, v158, v224
	v_fmac_f32_e32 v171, v166, v231
	v_fma_f32 v2, v157, v223, -v2
	v_add_f32_e32 v28, v28, v171
	ds_read_b128 v[171:174], v100 offset:704
	v_add_f32_e32 v1, v1, v2
	v_mul_f32_e32 v2, v160, v226
	s_waitcnt vmcnt(24) lgkmcnt(1)
	v_mul_f32_e32 v175, v167, v234
	v_fma_f32 v2, v159, v225, -v2
	v_fmac_f32_e32 v175, v168, v233
	v_add_f32_e32 v1, v1, v2
	v_mul_f32_e32 v2, v162, v227
	v_add_f32_e32 v28, v28, v175
	s_waitcnt vmcnt(23)
	v_mul_f32_e32 v175, v169, v235
	v_fma_f32 v2, v161, v230, -v2
	s_waitcnt vmcnt(20)
	v_fmac_f32_e32 v175, v170, v238
	v_add_f32_e32 v1, v1, v2
	v_mul_f32_e32 v2, v164, v229
	v_add_f32_e32 v28, v28, v175
	s_waitcnt lgkmcnt(0)
	v_mul_f32_e32 v175, v171, v237
	v_fma_f32 v2, v163, v228, -v2
	v_fmac_f32_e32 v175, v172, v236
	v_add_f32_e32 v1, v1, v2
	v_mul_f32_e32 v2, v166, v232
	v_add_f32_e32 v28, v28, v175
	ds_read_b128 v[175:178], v100 offset:720
	v_fma_f32 v2, v165, v231, -v2
	v_add_f32_e32 v1, v1, v2
	v_mul_f32_e32 v2, v168, v234
	s_waitcnt vmcnt(18)
	v_mul_f32_e32 v179, v173, v240
	v_fma_f32 v2, v167, v233, -v2
	v_fmac_f32_e32 v179, v174, v239
	v_add_f32_e32 v1, v1, v2
	v_mul_f32_e32 v2, v170, v235
	v_add_f32_e32 v28, v28, v179
	ds_read_b128 v[179:182], v100 offset:736
	v_fma_f32 v2, v169, v238, -v2
	s_waitcnt vmcnt(16) lgkmcnt(1)
	v_mul_f32_e32 v183, v175, v242
	v_add_f32_e32 v1, v1, v2
	v_mul_f32_e32 v2, v172, v237
	v_fmac_f32_e32 v183, v176, v241
	v_fma_f32 v2, v171, v236, -v2
	v_add_f32_e32 v28, v28, v183
	s_waitcnt vmcnt(15)
	v_mul_f32_e32 v183, v177, v243
	v_add_f32_e32 v1, v1, v2
	v_mul_f32_e32 v2, v174, v240
	s_waitcnt vmcnt(12)
	v_fmac_f32_e32 v183, v178, v246
	v_fma_f32 v2, v173, v239, -v2
	v_add_f32_e32 v28, v28, v183
	s_waitcnt lgkmcnt(0)
	v_mul_f32_e32 v183, v179, v245
	v_add_f32_e32 v1, v1, v2
	v_mul_f32_e32 v2, v176, v242
	v_fmac_f32_e32 v183, v180, v244
	v_fma_f32 v2, v175, v241, -v2
	v_add_f32_e32 v28, v28, v183
	ds_read_b128 v[183:186], v100 offset:752
	v_add_f32_e32 v1, v1, v2
	v_mul_f32_e32 v2, v178, v243
	v_fma_f32 v2, v177, v246, -v2
	v_add_f32_e32 v1, v1, v2
	v_mul_f32_e32 v2, v180, v245
	s_waitcnt vmcnt(10)
	v_mul_f32_e32 v187, v181, v248
	v_fma_f32 v2, v179, v244, -v2
	v_fmac_f32_e32 v187, v182, v247
	v_add_f32_e32 v1, v1, v2
	v_mul_f32_e32 v2, v182, v248
	v_add_f32_e32 v28, v28, v187
	ds_read_b128 v[187:190], v100 offset:768
	s_waitcnt vmcnt(8) lgkmcnt(1)
	v_mul_f32_e32 v191, v183, v250
	v_fma_f32 v2, v181, v247, -v2
	v_fmac_f32_e32 v191, v184, v249
	v_add_f32_e32 v1, v1, v2
	v_mul_f32_e32 v2, v184, v250
	v_add_f32_e32 v28, v28, v191
	s_waitcnt vmcnt(7)
	v_mul_f32_e32 v191, v185, v251
	v_fma_f32 v2, v183, v249, -v2
	s_waitcnt vmcnt(4)
	v_fmac_f32_e32 v191, v186, v254
	v_add_f32_e32 v1, v1, v2
	v_mul_f32_e32 v2, v186, v251
	v_add_f32_e32 v28, v28, v191
	ds_read_b64 v[191:192], v100 offset:784
	v_fma_f32 v2, v185, v254, -v2
	v_add_f32_e32 v1, v1, v2
	s_waitcnt lgkmcnt(1)
	v_mul_f32_e32 v2, v188, v253
	v_mul_f32_e32 v29, v187, v253
	v_fma_f32 v2, v187, v252, -v2
	v_fmac_f32_e32 v29, v188, v252
	v_add_f32_e32 v1, v1, v2
	s_waitcnt vmcnt(3)
	v_mul_f32_e32 v2, v190, v255
	v_add_f32_e32 v28, v28, v29
	v_mul_f32_e32 v29, v189, v255
	s_waitcnt vmcnt(0)
	v_fma_f32 v2, v189, v27, -v2
	v_fmac_f32_e32 v29, v190, v27
	v_add_f32_e32 v1, v1, v2
	s_waitcnt lgkmcnt(0)
	v_mul_f32_e32 v2, v192, v26
	v_add_f32_e32 v28, v28, v29
	v_mul_f32_e32 v29, v191, v26
	v_fma_f32 v2, v191, v25, -v2
	v_fmac_f32_e32 v29, v192, v25
	v_add_f32_e32 v1, v1, v2
	v_add_f32_e32 v28, v28, v29
	v_sub_f32_e32 v1, v101, v1
	v_sub_f32_e32 v2, v102, v28
	buffer_store_dword v1, off, s[0:3], 0 offset:24
	buffer_store_dword v2, off, s[0:3], 0 offset:28
	s_and_saveexec_b64 s[4:5], vcc
	s_cbranch_execz .LBB48_303
; %bb.302:
	buffer_load_dword v101, off, s[0:3], 0 offset:16
	buffer_load_dword v102, off, s[0:3], 0 offset:20
	s_waitcnt vmcnt(0)
	ds_write_b64 v99, v[101:102]
	buffer_store_dword v100, off, s[0:3], 0 offset:16
	buffer_store_dword v100, off, s[0:3], 0 offset:20
.LBB48_303:
	s_or_b64 exec, exec, s[4:5]
	s_waitcnt lgkmcnt(0)
	; wave barrier
	buffer_load_dword v109, off, s[0:3], 0 offset:28
	buffer_load_dword v108, off, s[0:3], 0 offset:36
	;; [unrolled: 1-line block ×33, first 2 shown]
	ds_read2_b64 v[110:113], v100 offset0:53 offset1:54
	ds_read2_b64 v[114:117], v100 offset0:55 offset1:56
	;; [unrolled: 1-line block ×6, first 2 shown]
	buffer_load_dword v25, off, s[0:3], 0 offset:144
	buffer_load_dword v26, off, s[0:3], 0 offset:156
	;; [unrolled: 1-line block ×7, first 2 shown]
	ds_read2_b64 v[134:137], v100 offset0:65 offset1:66
	ds_read2_b64 v[138:141], v100 offset0:67 offset1:68
	buffer_load_dword v203, off, s[0:3], 0 offset:176
	buffer_load_dword v204, off, s[0:3], 0 offset:180
	;; [unrolled: 1-line block ×18, first 2 shown]
	v_cmp_lt_u32_e32 vcc, 1, v0
	s_waitcnt vmcnt(57) lgkmcnt(7)
	v_mul_f32_e32 v142, v110, v109
	s_waitcnt vmcnt(56)
	v_mul_f32_e32 v143, v112, v108
	s_waitcnt vmcnt(55) lgkmcnt(6)
	v_mul_f32_e32 v144, v114, v107
	s_waitcnt vmcnt(54)
	v_mul_f32_e32 v145, v116, v106
	;; [unrolled: 4-line block ×6, first 2 shown]
	s_waitcnt vmcnt(45)
	v_fmac_f32_e32 v144, v115, v6
	s_waitcnt vmcnt(44)
	v_fmac_f32_e32 v143, v113, v7
	;; [unrolled: 2-line block ×3, first 2 shown]
	v_add_f32_e32 v142, 0, v142
	v_add_f32_e32 v142, v142, v143
	;; [unrolled: 1-line block ×3, first 2 shown]
	s_waitcnt vmcnt(39)
	v_fmac_f32_e32 v145, v117, v12
	v_fmac_f32_e32 v146, v119, v11
	v_add_f32_e32 v142, v142, v145
	v_fmac_f32_e32 v147, v121, v10
	v_add_f32_e32 v142, v142, v146
	;; [unrolled: 2-line block ×3, first 2 shown]
	s_waitcnt vmcnt(35)
	v_fmac_f32_e32 v149, v125, v16
	v_add_f32_e32 v142, v142, v148
	v_fmac_f32_e32 v150, v127, v15
	v_add_f32_e32 v142, v142, v149
	;; [unrolled: 2-line block ×4, first 2 shown]
	s_waitcnt vmcnt(31)
	v_fmac_f32_e32 v153, v133, v20
	v_add_f32_e32 v142, v142, v152
	s_waitcnt vmcnt(30) lgkmcnt(1)
	v_mul_f32_e32 v143, v134, v21
	v_add_f32_e32 v142, v142, v153
	v_fmac_f32_e32 v143, v135, v19
	v_add_f32_e32 v142, v142, v143
	s_waitcnt vmcnt(29)
	v_mul_f32_e32 v143, v136, v22
	v_fmac_f32_e32 v143, v137, v18
	v_add_f32_e32 v142, v142, v143
	s_waitcnt vmcnt(28) lgkmcnt(0)
	v_mul_f32_e32 v143, v138, v23
	v_fmac_f32_e32 v143, v139, v17
	v_add_f32_e32 v146, v142, v143
	ds_read2_b64 v[142:145], v100 offset0:69 offset1:70
	buffer_load_dword v221, off, s[0:3], 0 offset:248
	buffer_load_dword v222, off, s[0:3], 0 offset:252
	;; [unrolled: 1-line block ×6, first 2 shown]
	s_waitcnt vmcnt(33)
	v_mul_f32_e32 v147, v140, v24
	s_waitcnt vmcnt(30)
	v_fmac_f32_e32 v147, v141, v25
	v_add_f32_e32 v150, v146, v147
	ds_read2_b64 v[146:149], v100 offset0:71 offset1:72
	buffer_load_dword v227, off, s[0:3], 0 offset:272
	buffer_load_dword v228, off, s[0:3], 0 offset:276
	;; [unrolled: 1-line block ×10, first 2 shown]
	s_waitcnt vmcnt(39) lgkmcnt(1)
	v_mul_f32_e32 v151, v142, v26
	buffer_load_dword v237, off, s[0:3], 0 offset:312
	buffer_load_dword v238, off, s[0:3], 0 offset:316
	;; [unrolled: 1-line block ×6, first 2 shown]
	s_waitcnt vmcnt(40)
	v_fmac_f32_e32 v151, v143, v202
	v_add_f32_e32 v150, v150, v151
	v_mul_f32_e32 v151, v144, v28
	v_fmac_f32_e32 v151, v145, v27
	v_add_f32_e32 v150, v150, v151
	s_waitcnt lgkmcnt(0)
	v_mul_f32_e32 v151, v146, v30
	v_fmac_f32_e32 v151, v147, v29
	v_add_f32_e32 v154, v150, v151
	ds_read2_b64 v[150:153], v100 offset0:73 offset1:74
	buffer_load_dword v243, off, s[0:3], 0 offset:336
	buffer_load_dword v244, off, s[0:3], 0 offset:340
	s_waitcnt vmcnt(40)
	v_mul_f32_e32 v155, v148, v204
	v_fmac_f32_e32 v155, v149, v203
	v_add_f32_e32 v158, v154, v155
	ds_read2_b64 v[154:157], v100 offset0:75 offset1:76
	buffer_load_dword v245, off, s[0:3], 0 offset:344
	buffer_load_dword v246, off, s[0:3], 0 offset:348
	;; [unrolled: 1-line block ×12, first 2 shown]
	s_waitcnt vmcnt(50) lgkmcnt(1)
	v_mul_f32_e32 v159, v150, v206
	v_fmac_f32_e32 v159, v151, v205
	v_add_f32_e32 v158, v158, v159
	s_waitcnt vmcnt(48)
	v_mul_f32_e32 v159, v152, v208
	v_fmac_f32_e32 v159, v153, v207
	v_add_f32_e32 v32, v158, v159
	s_waitcnt vmcnt(46) lgkmcnt(0)
	v_mul_f32_e32 v158, v154, v210
	v_fmac_f32_e32 v158, v155, v209
	v_add_f32_e32 v32, v32, v158
	ds_read2_b64 v[158:161], v100 offset0:77 offset1:78
	s_waitcnt vmcnt(44)
	v_mul_f32_e32 v162, v156, v212
	v_fmac_f32_e32 v162, v157, v211
	v_add_f32_e32 v32, v32, v162
	ds_read2_b64 v[162:165], v100 offset0:79 offset1:80
	s_waitcnt vmcnt(42) lgkmcnt(1)
	v_mul_f32_e32 v166, v158, v214
	v_fmac_f32_e32 v166, v159, v213
	v_add_f32_e32 v32, v32, v166
	s_waitcnt vmcnt(41)
	v_mul_f32_e32 v166, v160, v215
	s_waitcnt vmcnt(38)
	v_fmac_f32_e32 v166, v161, v218
	v_add_f32_e32 v32, v32, v166
	s_waitcnt lgkmcnt(0)
	v_mul_f32_e32 v166, v162, v217
	v_fmac_f32_e32 v166, v163, v216
	v_add_f32_e32 v32, v32, v166
	ds_read2_b64 v[166:169], v100 offset0:81 offset1:82
	s_waitcnt vmcnt(36)
	v_mul_f32_e32 v170, v164, v220
	v_fmac_f32_e32 v170, v165, v219
	v_add_f32_e32 v32, v32, v170
	ds_read2_b64 v[170:173], v100 offset0:83 offset1:84
	v_mul_f32_e32 v1, v125, v1
	v_fma_f32 v1, v124, v16, -v1
	v_mul_f32_e32 v2, v127, v2
	v_fma_f32 v2, v126, v15, -v2
	s_waitcnt vmcnt(34) lgkmcnt(1)
	v_mul_f32_e32 v174, v166, v222
	v_fmac_f32_e32 v174, v167, v221
	v_add_f32_e32 v32, v32, v174
	s_waitcnt vmcnt(33)
	v_mul_f32_e32 v174, v168, v223
	s_waitcnt vmcnt(30)
	v_fmac_f32_e32 v174, v169, v226
	v_add_f32_e32 v32, v32, v174
	s_waitcnt lgkmcnt(0)
	v_mul_f32_e32 v174, v170, v225
	v_fmac_f32_e32 v174, v171, v224
	v_add_f32_e32 v32, v32, v174
	ds_read2_b64 v[174:177], v100 offset0:85 offset1:86
	s_waitcnt vmcnt(28)
	v_mul_f32_e32 v178, v172, v228
	v_fmac_f32_e32 v178, v173, v227
	v_add_f32_e32 v32, v32, v178
	ds_read2_b64 v[178:181], v100 offset0:87 offset1:88
	s_waitcnt vmcnt(26) lgkmcnt(1)
	v_mul_f32_e32 v182, v174, v230
	v_fmac_f32_e32 v182, v175, v229
	v_add_f32_e32 v32, v32, v182
	s_waitcnt vmcnt(25)
	v_mul_f32_e32 v182, v176, v231
	s_waitcnt vmcnt(22)
	v_fmac_f32_e32 v182, v177, v234
	v_add_f32_e32 v32, v32, v182
	s_waitcnt lgkmcnt(0)
	v_mul_f32_e32 v182, v178, v233
	v_fmac_f32_e32 v182, v179, v232
	v_add_f32_e32 v32, v32, v182
	ds_read2_b64 v[182:185], v100 offset0:89 offset1:90
	s_waitcnt vmcnt(20)
	v_mul_f32_e32 v186, v180, v236
	v_fmac_f32_e32 v186, v181, v235
	v_add_f32_e32 v32, v32, v186
	ds_read2_b64 v[186:189], v100 offset0:91 offset1:92
	;; [unrolled: 19-line block ×3, first 2 shown]
	s_waitcnt vmcnt(10) lgkmcnt(1)
	v_mul_f32_e32 v198, v190, v246
	v_fmac_f32_e32 v198, v191, v245
	v_add_f32_e32 v32, v32, v198
	s_waitcnt vmcnt(9)
	v_mul_f32_e32 v198, v192, v247
	s_waitcnt vmcnt(6)
	v_fmac_f32_e32 v198, v193, v250
	v_add_f32_e32 v32, v32, v198
	ds_read2_b64 v[198:201], v100 offset0:97 offset1:98
	s_waitcnt lgkmcnt(1)
	v_mul_f32_e32 v33, v194, v249
	v_fmac_f32_e32 v33, v195, v248
	v_add_f32_e32 v32, v32, v33
	s_waitcnt vmcnt(4)
	v_mul_f32_e32 v33, v196, v252
	v_fmac_f32_e32 v33, v197, v251
	v_add_f32_e32 v32, v32, v33
	s_waitcnt vmcnt(3) lgkmcnt(0)
	v_mul_f32_e32 v33, v198, v253
	s_waitcnt vmcnt(0)
	v_fmac_f32_e32 v33, v199, v31
	v_add_f32_e32 v32, v32, v33
	v_mul_f32_e32 v33, v200, v255
	v_fmac_f32_e32 v33, v201, v254
	v_add_f32_e32 v32, v32, v33
	v_mul_f32_e32 v33, v111, v109
	v_fma_f32 v8, v110, v8, -v33
	v_mul_f32_e32 v33, v113, v108
	v_add_f32_e32 v8, 0, v8
	v_fma_f32 v7, v112, v7, -v33
	v_add_f32_e32 v7, v8, v7
	v_mul_f32_e32 v8, v115, v107
	v_fma_f32 v6, v114, v6, -v8
	v_add_f32_e32 v6, v7, v6
	v_mul_f32_e32 v7, v117, v106
	;; [unrolled: 3-line block ×5, first 2 shown]
	v_fma_f32 v7, v122, v9, -v7
	v_add_f32_e32 v6, v6, v7
	v_add_f32_e32 v1, v6, v1
	;; [unrolled: 1-line block ×3, first 2 shown]
	v_mul_f32_e32 v2, v129, v3
	v_fma_f32 v2, v128, v14, -v2
	v_add_f32_e32 v1, v1, v2
	v_mul_f32_e32 v2, v131, v4
	v_fma_f32 v2, v130, v13, -v2
	v_add_f32_e32 v1, v1, v2
	;; [unrolled: 3-line block ×37, first 2 shown]
	v_sub_f32_e32 v1, v101, v1
	v_sub_f32_e32 v2, v102, v32
	buffer_store_dword v1, off, s[0:3], 0 offset:16
	buffer_store_dword v2, off, s[0:3], 0 offset:20
	s_and_saveexec_b64 s[4:5], vcc
	s_cbranch_execz .LBB48_305
; %bb.304:
	buffer_load_dword v100, off, s[0:3], 0 offset:8
	buffer_load_dword v101, off, s[0:3], 0 offset:12
	v_mov_b32_e32 v1, 0
	buffer_store_dword v1, off, s[0:3], 0 offset:8
	buffer_store_dword v1, off, s[0:3], 0 offset:12
	s_waitcnt vmcnt(2)
	ds_write_b64 v99, v[100:101]
.LBB48_305:
	s_or_b64 exec, exec, s[4:5]
	s_waitcnt lgkmcnt(0)
	; wave barrier
	buffer_load_dword v107, off, s[0:3], 0 offset:20
	buffer_load_dword v106, off, s[0:3], 0 offset:28
	;; [unrolled: 1-line block ×48, first 2 shown]
	v_mov_b32_e32 v100, 0
	ds_read_b128 v[110:113], v100 offset:416
	ds_read_b128 v[114:117], v100 offset:432
	;; [unrolled: 1-line block ×7, first 2 shown]
	v_cmp_ne_u32_e32 vcc, 0, v0
	s_waitcnt vmcnt(47) lgkmcnt(6)
	v_mul_f32_e32 v138, v110, v107
	s_waitcnt vmcnt(46)
	v_mul_f32_e32 v139, v112, v106
	s_waitcnt vmcnt(45) lgkmcnt(5)
	v_mul_f32_e32 v140, v114, v105
	s_waitcnt vmcnt(44)
	v_mul_f32_e32 v141, v116, v104
	;; [unrolled: 4-line block ×6, first 2 shown]
	s_waitcnt vmcnt(35)
	v_fmac_f32_e32 v140, v115, v6
	s_waitcnt vmcnt(34)
	v_fmac_f32_e32 v139, v113, v7
	;; [unrolled: 2-line block ×3, first 2 shown]
	v_add_f32_e32 v138, 0, v138
	v_add_f32_e32 v138, v138, v139
	;; [unrolled: 1-line block ×3, first 2 shown]
	s_waitcnt vmcnt(29)
	v_fmac_f32_e32 v141, v117, v12
	v_fmac_f32_e32 v142, v119, v11
	v_add_f32_e32 v138, v138, v141
	v_fmac_f32_e32 v143, v121, v10
	v_add_f32_e32 v138, v138, v142
	;; [unrolled: 2-line block ×3, first 2 shown]
	s_waitcnt vmcnt(25)
	v_fmac_f32_e32 v145, v125, v16
	v_add_f32_e32 v138, v138, v144
	v_fmac_f32_e32 v146, v127, v15
	v_add_f32_e32 v138, v138, v145
	;; [unrolled: 2-line block ×4, first 2 shown]
	s_waitcnt vmcnt(21)
	v_fmac_f32_e32 v149, v133, v20
	v_add_f32_e32 v138, v138, v148
	v_add_f32_e32 v142, v138, v149
	ds_read_b128 v[138:141], v100 offset:528
	buffer_load_dword v209, off, s[0:3], 0 offset:200
	buffer_load_dword v210, off, s[0:3], 0 offset:204
	;; [unrolled: 1-line block ×8, first 2 shown]
	s_waitcnt vmcnt(28) lgkmcnt(1)
	v_mul_f32_e32 v143, v134, v21
	buffer_load_dword v217, off, s[0:3], 0 offset:232
	buffer_load_dword v218, off, s[0:3], 0 offset:236
	v_fmac_f32_e32 v143, v135, v19
	v_add_f32_e32 v142, v142, v143
	s_waitcnt vmcnt(29)
	v_mul_f32_e32 v143, v136, v22
	v_fmac_f32_e32 v143, v137, v18
	v_add_f32_e32 v142, v142, v143
	s_waitcnt vmcnt(28) lgkmcnt(0)
	v_mul_f32_e32 v143, v138, v23
	v_fmac_f32_e32 v143, v139, v17
	v_add_f32_e32 v146, v142, v143
	ds_read_b128 v[142:145], v100 offset:544
	buffer_load_dword v219, off, s[0:3], 0 offset:240
	buffer_load_dword v220, off, s[0:3], 0 offset:244
	;; [unrolled: 1-line block ×6, first 2 shown]
	s_waitcnt vmcnt(33)
	v_mul_f32_e32 v147, v140, v24
	s_waitcnt vmcnt(26)
	v_fmac_f32_e32 v147, v141, v31
	v_add_f32_e32 v150, v146, v147
	ds_read_b128 v[146:149], v100 offset:560
	buffer_load_dword v225, off, s[0:3], 0 offset:264
	buffer_load_dword v226, off, s[0:3], 0 offset:268
	;; [unrolled: 1-line block ×8, first 2 shown]
	s_waitcnt lgkmcnt(1)
	v_mul_f32_e32 v151, v142, v26
	buffer_load_dword v233, off, s[0:3], 0 offset:296
	buffer_load_dword v234, off, s[0:3], 0 offset:300
	v_fmac_f32_e32 v151, v143, v25
	v_add_f32_e32 v150, v150, v151
	v_mul_f32_e32 v151, v144, v28
	v_fmac_f32_e32 v151, v145, v27
	v_add_f32_e32 v150, v150, v151
	s_waitcnt lgkmcnt(0)
	v_mul_f32_e32 v151, v146, v30
	v_fmac_f32_e32 v151, v147, v29
	v_add_f32_e32 v154, v150, v151
	ds_read_b128 v[150:153], v100 offset:576
	buffer_load_dword v235, off, s[0:3], 0 offset:304
	buffer_load_dword v236, off, s[0:3], 0 offset:308
	;; [unrolled: 1-line block ×6, first 2 shown]
	s_waitcnt vmcnt(38)
	v_mul_f32_e32 v155, v148, v33
	v_fmac_f32_e32 v155, v149, v32
	v_add_f32_e32 v158, v154, v155
	ds_read_b128 v[154:157], v100 offset:592
	buffer_load_dword v241, off, s[0:3], 0 offset:328
	buffer_load_dword v242, off, s[0:3], 0 offset:332
	;; [unrolled: 1-line block ×16, first 2 shown]
	s_waitcnt vmcnt(52) lgkmcnt(1)
	v_mul_f32_e32 v159, v150, v204
	v_fmac_f32_e32 v159, v151, v34
	v_add_f32_e32 v158, v158, v159
	s_waitcnt vmcnt(50)
	v_mul_f32_e32 v159, v152, v206
	v_fmac_f32_e32 v159, v153, v205
	v_add_f32_e32 v158, v158, v159
	s_waitcnt vmcnt(48) lgkmcnt(0)
	v_mul_f32_e32 v159, v154, v208
	v_fmac_f32_e32 v159, v155, v207
	v_add_f32_e32 v162, v158, v159
	ds_read_b128 v[158:161], v100 offset:608
	v_mul_f32_e32 v1, v125, v1
	v_fma_f32 v1, v124, v16, -v1
	v_mul_f32_e32 v2, v127, v2
	v_fma_f32 v2, v126, v15, -v2
	s_waitcnt vmcnt(46)
	v_mul_f32_e32 v36, v156, v210
	v_fmac_f32_e32 v36, v157, v209
	v_add_f32_e32 v36, v162, v36
	ds_read_b128 v[162:165], v100 offset:624
	s_waitcnt vmcnt(44) lgkmcnt(1)
	v_mul_f32_e32 v166, v158, v212
	v_fmac_f32_e32 v166, v159, v211
	v_add_f32_e32 v36, v36, v166
	s_waitcnt vmcnt(43)
	v_mul_f32_e32 v166, v160, v213
	s_waitcnt vmcnt(40)
	v_fmac_f32_e32 v166, v161, v216
	v_add_f32_e32 v36, v36, v166
	s_waitcnt lgkmcnt(0)
	v_mul_f32_e32 v166, v162, v215
	v_fmac_f32_e32 v166, v163, v214
	v_add_f32_e32 v36, v36, v166
	ds_read_b128 v[166:169], v100 offset:640
	s_waitcnt vmcnt(38)
	v_mul_f32_e32 v170, v164, v218
	v_fmac_f32_e32 v170, v165, v217
	v_add_f32_e32 v36, v36, v170
	ds_read_b128 v[170:173], v100 offset:656
	s_waitcnt vmcnt(36) lgkmcnt(1)
	v_mul_f32_e32 v174, v166, v220
	v_fmac_f32_e32 v174, v167, v219
	v_add_f32_e32 v36, v36, v174
	s_waitcnt vmcnt(35)
	v_mul_f32_e32 v174, v168, v221
	s_waitcnt vmcnt(32)
	v_fmac_f32_e32 v174, v169, v224
	v_add_f32_e32 v36, v36, v174
	s_waitcnt lgkmcnt(0)
	v_mul_f32_e32 v174, v170, v223
	v_fmac_f32_e32 v174, v171, v222
	v_add_f32_e32 v36, v36, v174
	ds_read_b128 v[174:177], v100 offset:672
	;; [unrolled: 19-line block ×5, first 2 shown]
	s_waitcnt vmcnt(6)
	v_mul_f32_e32 v202, v196, v250
	v_fmac_f32_e32 v202, v197, v249
	v_add_f32_e32 v36, v36, v202
	ds_read_b64 v[202:203], v100 offset:784
	s_waitcnt vmcnt(4) lgkmcnt(1)
	v_mul_f32_e32 v37, v198, v252
	v_fmac_f32_e32 v37, v199, v251
	v_add_f32_e32 v36, v36, v37
	s_waitcnt vmcnt(3)
	v_mul_f32_e32 v37, v200, v253
	s_waitcnt vmcnt(0)
	v_fmac_f32_e32 v37, v201, v35
	v_add_f32_e32 v36, v36, v37
	s_waitcnt lgkmcnt(0)
	v_mul_f32_e32 v37, v202, v255
	v_fmac_f32_e32 v37, v203, v254
	v_add_f32_e32 v36, v36, v37
	v_mul_f32_e32 v37, v111, v107
	v_fma_f32 v8, v110, v8, -v37
	v_mul_f32_e32 v37, v113, v106
	v_add_f32_e32 v8, 0, v8
	v_fma_f32 v7, v112, v7, -v37
	v_add_f32_e32 v7, v8, v7
	v_mul_f32_e32 v8, v115, v105
	v_fma_f32 v6, v114, v6, -v8
	v_add_f32_e32 v6, v7, v6
	v_mul_f32_e32 v7, v117, v104
	;; [unrolled: 3-line block ×5, first 2 shown]
	v_fma_f32 v7, v122, v9, -v7
	v_add_f32_e32 v6, v6, v7
	v_add_f32_e32 v1, v6, v1
	;; [unrolled: 1-line block ×3, first 2 shown]
	v_mul_f32_e32 v2, v129, v3
	v_fma_f32 v2, v128, v14, -v2
	v_add_f32_e32 v1, v1, v2
	v_mul_f32_e32 v2, v131, v4
	v_fma_f32 v2, v130, v13, -v2
	v_add_f32_e32 v1, v1, v2
	;; [unrolled: 3-line block ×38, first 2 shown]
	v_sub_f32_e32 v1, v108, v1
	v_sub_f32_e32 v2, v109, v36
	buffer_store_dword v1, off, s[0:3], 0 offset:8
	buffer_store_dword v2, off, s[0:3], 0 offset:12
	s_and_saveexec_b64 s[4:5], vcc
	s_cbranch_execz .LBB48_307
; %bb.306:
	buffer_load_dword v101, off, s[0:3], 0
	buffer_load_dword v102, off, s[0:3], 0 offset:4
	s_waitcnt vmcnt(0)
	ds_write_b64 v99, v[101:102]
	buffer_store_dword v100, off, s[0:3], 0
	buffer_store_dword v100, off, s[0:3], 0 offset:4
.LBB48_307:
	s_or_b64 exec, exec, s[4:5]
	s_waitcnt lgkmcnt(0)
	; wave barrier
	buffer_load_dword v105, off, s[0:3], 0 offset:12
	buffer_load_dword v104, off, s[0:3], 0 offset:20
	;; [unrolled: 1-line block ×38, first 2 shown]
	buffer_load_dword v106, off, s[0:3], 0
	buffer_load_dword v107, off, s[0:3], 0 offset:4
	ds_read2_b64 v[136:139], v100 offset0:51 offset1:52
	ds_read2_b64 v[140:143], v100 offset0:53 offset1:54
	;; [unrolled: 1-line block ×7, first 2 shown]
	buffer_load_dword v4, off, s[0:3], 0 offset:160
	buffer_load_dword v5, off, s[0:3], 0 offset:164
	;; [unrolled: 1-line block ×8, first 2 shown]
	s_and_b64 vcc, exec, s[22:23]
	s_waitcnt vmcnt(47) lgkmcnt(6)
	v_mul_f32_e32 v12, v136, v105
	s_waitcnt vmcnt(46)
	v_mul_f32_e32 v13, v138, v104
	s_waitcnt vmcnt(45) lgkmcnt(5)
	v_mul_f32_e32 v14, v140, v103
	s_waitcnt vmcnt(44)
	v_mul_f32_e32 v15, v142, v102
	;; [unrolled: 4-line block ×6, first 2 shown]
	s_waitcnt vmcnt(35)
	v_fmac_f32_e32 v14, v141, v118
	s_waitcnt vmcnt(34)
	v_fmac_f32_e32 v13, v139, v121
	s_waitcnt vmcnt(33)
	v_fmac_f32_e32 v12, v137, v124
	v_add_f32_e32 v12, 0, v12
	v_add_f32_e32 v12, v12, v13
	;; [unrolled: 1-line block ×3, first 2 shown]
	buffer_load_dword v13, off, s[0:3], 0 offset:192
	buffer_load_dword v14, off, s[0:3], 0 offset:196
	s_waitcnt vmcnt(31)
	v_fmac_f32_e32 v15, v143, v123
	v_fmac_f32_e32 v16, v145, v120
	v_add_f32_e32 v12, v12, v15
	v_fmac_f32_e32 v17, v147, v117
	v_add_f32_e32 v12, v12, v16
	;; [unrolled: 2-line block ×3, first 2 shown]
	s_waitcnt vmcnt(27)
	v_fmac_f32_e32 v19, v151, v119
	v_add_f32_e32 v12, v12, v18
	v_fmac_f32_e32 v20, v153, v116
	v_add_f32_e32 v12, v12, v19
	;; [unrolled: 2-line block ×4, first 2 shown]
	ds_read2_b64 v[164:167], v100 offset0:65 offset1:66
	s_waitcnt vmcnt(23)
	v_fmac_f32_e32 v23, v159, v131
	v_add_f32_e32 v12, v12, v22
	s_waitcnt vmcnt(22) lgkmcnt(1)
	v_mul_f32_e32 v15, v160, v130
	v_add_f32_e32 v12, v12, v23
	v_fmac_f32_e32 v15, v161, v127
	v_add_f32_e32 v12, v12, v15
	s_waitcnt vmcnt(21)
	v_mul_f32_e32 v15, v162, v128
	v_fmac_f32_e32 v15, v163, v125
	v_add_f32_e32 v12, v12, v15
	s_waitcnt vmcnt(20) lgkmcnt(0)
	v_mul_f32_e32 v15, v164, v126
	v_fmac_f32_e32 v15, v165, v122
	v_add_f32_e32 v12, v12, v15
	buffer_load_dword v15, off, s[0:3], 0 offset:200
	buffer_load_dword v16, off, s[0:3], 0 offset:204
	;; [unrolled: 1-line block ×6, first 2 shown]
	s_waitcnt vmcnt(25)
	v_mul_f32_e32 v21, v166, v129
	s_waitcnt vmcnt(18)
	v_fmac_f32_e32 v21, v167, v3
	ds_read2_b64 v[168:171], v100 offset0:67 offset1:68
	v_add_f32_e32 v12, v12, v21
	buffer_load_dword v21, off, s[0:3], 0 offset:224
	buffer_load_dword v22, off, s[0:3], 0 offset:228
	ds_read2_b64 v[172:175], v100 offset0:69 offset1:70
	buffer_load_dword v24, off, s[0:3], 0 offset:232
	buffer_load_dword v25, off, s[0:3], 0 offset:236
	buffer_load_dword v26, off, s[0:3], 0 offset:244
	buffer_load_dword v27, off, s[0:3], 0 offset:248
	buffer_load_dword v28, off, s[0:3], 0 offset:252
	buffer_load_dword v29, off, s[0:3], 0 offset:240
	buffer_load_dword v30, off, s[0:3], 0 offset:256
	buffer_load_dword v31, off, s[0:3], 0 offset:260
	buffer_load_dword v32, off, s[0:3], 0 offset:264
	buffer_load_dword v33, off, s[0:3], 0 offset:268
	buffer_load_dword v34, off, s[0:3], 0 offset:276
	buffer_load_dword v35, off, s[0:3], 0 offset:280
	buffer_load_dword v36, off, s[0:3], 0 offset:284
	buffer_load_dword v37, off, s[0:3], 0 offset:272
	s_waitcnt lgkmcnt(1)
	v_mul_f32_e32 v23, v168, v133
	v_fmac_f32_e32 v23, v169, v132
	v_add_f32_e32 v12, v12, v23
	v_mul_f32_e32 v23, v170, v135
	buffer_load_dword v38, off, s[0:3], 0 offset:288
	buffer_load_dword v232, off, s[0:3], 0 offset:292
	v_fmac_f32_e32 v23, v171, v134
	v_add_f32_e32 v12, v12, v23
	s_waitcnt lgkmcnt(0)
	v_mul_f32_e32 v23, v172, v2
	v_fmac_f32_e32 v23, v173, v1
	v_add_f32_e32 v12, v12, v23
	s_waitcnt vmcnt(32)
	v_mul_f32_e32 v23, v174, v5
	v_fmac_f32_e32 v23, v175, v4
	ds_read2_b64 v[176:179], v100 offset0:71 offset1:72
	v_add_f32_e32 v12, v12, v23
	buffer_load_dword v23, off, s[0:3], 0 offset:296
	buffer_load_dword v233, off, s[0:3], 0 offset:300
	;; [unrolled: 1-line block ×6, first 2 shown]
	ds_read2_b64 v[180:183], v100 offset0:73 offset1:74
	buffer_load_dword v238, off, s[0:3], 0 offset:320
	buffer_load_dword v239, off, s[0:3], 0 offset:324
	;; [unrolled: 1-line block ×10, first 2 shown]
	s_waitcnt vmcnt(46) lgkmcnt(1)
	v_mul_f32_e32 v184, v176, v7
	v_fmac_f32_e32 v184, v177, v6
	v_add_f32_e32 v12, v12, v184
	s_waitcnt vmcnt(44)
	v_mul_f32_e32 v184, v178, v9
	v_fmac_f32_e32 v184, v179, v8
	v_add_f32_e32 v12, v12, v184
	s_waitcnt vmcnt(42) lgkmcnt(0)
	v_mul_f32_e32 v184, v180, v11
	buffer_load_dword v248, off, s[0:3], 0 offset:360
	buffer_load_dword v249, off, s[0:3], 0 offset:364
	;; [unrolled: 1-line block ×6, first 2 shown]
	v_fmac_f32_e32 v184, v181, v10
	v_add_f32_e32 v12, v12, v184
	ds_read2_b64 v[184:187], v100 offset0:75 offset1:76
	v_mul_f32_e32 v104, v139, v104
	v_fma_f32 v104, v138, v121, -v104
	v_mul_f32_e32 v103, v141, v103
	v_fma_f32 v103, v140, v118, -v103
	;; [unrolled: 2-line block ×5, first 2 shown]
	v_mul_f32_e32 v0, v149, v0
	s_waitcnt vmcnt(46)
	v_mul_f32_e32 v188, v182, v14
	v_fmac_f32_e32 v188, v183, v13
	v_add_f32_e32 v12, v12, v188
	ds_read2_b64 v[188:191], v100 offset0:77 offset1:78
	buffer_load_dword v254, off, s[0:3], 0 offset:384
	buffer_load_dword v255, off, s[0:3], 0 offset:388
	v_fma_f32 v0, v148, v115, -v0
	v_mul_f32_e32 v2, v173, v2
	v_fma_f32 v1, v172, v1, -v2
	s_waitcnt vmcnt(46) lgkmcnt(1)
	v_mul_f32_e32 v192, v184, v16
	v_fmac_f32_e32 v192, v185, v15
	v_add_f32_e32 v12, v12, v192
	s_waitcnt vmcnt(45)
	v_mul_f32_e32 v192, v186, v17
	s_waitcnt vmcnt(42)
	v_fmac_f32_e32 v192, v187, v20
	v_add_f32_e32 v12, v12, v192
	s_waitcnt lgkmcnt(0)
	v_mul_f32_e32 v192, v188, v19
	v_fmac_f32_e32 v192, v189, v18
	v_add_f32_e32 v12, v12, v192
	ds_read2_b64 v[192:195], v100 offset0:79 offset1:80
	s_waitcnt vmcnt(40)
	v_mul_f32_e32 v196, v190, v22
	v_fmac_f32_e32 v196, v191, v21
	v_add_f32_e32 v12, v12, v196
	ds_read2_b64 v[196:199], v100 offset0:81 offset1:82
	s_waitcnt vmcnt(38) lgkmcnt(1)
	v_mul_f32_e32 v200, v192, v25
	v_fmac_f32_e32 v200, v193, v24
	v_add_f32_e32 v12, v12, v200
	s_waitcnt vmcnt(37)
	v_mul_f32_e32 v200, v194, v26
	s_waitcnt vmcnt(34)
	v_fmac_f32_e32 v200, v195, v29
	v_add_f32_e32 v12, v12, v200
	s_waitcnt lgkmcnt(0)
	v_mul_f32_e32 v200, v196, v28
	v_fmac_f32_e32 v200, v197, v27
	v_add_f32_e32 v12, v12, v200
	ds_read2_b64 v[200:203], v100 offset0:83 offset1:84
	s_waitcnt vmcnt(32)
	v_mul_f32_e32 v204, v198, v31
	v_fmac_f32_e32 v204, v199, v30
	v_add_f32_e32 v12, v12, v204
	ds_read2_b64 v[204:207], v100 offset0:85 offset1:86
	;; [unrolled: 19-line block ×5, first 2 shown]
	s_waitcnt vmcnt(6) lgkmcnt(1)
	v_mul_f32_e32 v100, v224, v249
	v_fmac_f32_e32 v100, v225, v248
	v_add_f32_e32 v12, v12, v100
	s_waitcnt vmcnt(5)
	v_mul_f32_e32 v100, v226, v250
	s_waitcnt vmcnt(2)
	v_fmac_f32_e32 v100, v227, v253
	v_add_f32_e32 v12, v12, v100
	s_waitcnt lgkmcnt(0)
	v_mul_f32_e32 v100, v228, v252
	v_fmac_f32_e32 v100, v229, v251
	v_add_f32_e32 v12, v12, v100
	s_waitcnt vmcnt(0)
	v_mul_f32_e32 v100, v230, v255
	v_fmac_f32_e32 v100, v231, v254
	v_add_f32_e32 v12, v12, v100
	v_mul_f32_e32 v100, v137, v105
	v_fma_f32 v100, v136, v124, -v100
	v_add_f32_e32 v100, 0, v100
	v_add_f32_e32 v100, v100, v104
	;; [unrolled: 1-line block ×7, first 2 shown]
	v_mul_f32_e32 v99, v151, v108
	v_fma_f32 v99, v150, v119, -v99
	v_add_f32_e32 v0, v0, v99
	v_mul_f32_e32 v99, v153, v109
	v_fma_f32 v99, v152, v116, -v99
	v_add_f32_e32 v0, v0, v99
	;; [unrolled: 3-line block ×11, first 2 shown]
	v_add_f32_e32 v0, v0, v1
	v_mul_f32_e32 v1, v175, v5
	v_fma_f32 v1, v174, v4, -v1
	v_add_f32_e32 v0, v0, v1
	v_mul_f32_e32 v1, v177, v7
	v_fma_f32 v1, v176, v6, -v1
	;; [unrolled: 3-line block ×29, first 2 shown]
	v_add_f32_e32 v0, v0, v1
	v_sub_f32_e32 v0, v106, v0
	v_sub_f32_e32 v1, v107, v12
	buffer_store_dword v0, off, s[0:3], 0
	buffer_store_dword v1, off, s[0:3], 0 offset:4
	s_cbranch_vccz .LBB48_404
; %bb.308:
	v_mov_b32_e32 v0, 0
	global_load_dword v99, v0, s[20:21] offset:188
	s_waitcnt vmcnt(0)
	v_add_u32_e32 v99, -1, v99
	v_cmp_ne_u32_e32 vcc, 47, v99
	s_cbranch_vccz .LBB48_310
; %bb.309:
	v_lshlrev_b32_e32 v1, 3, v99
	buffer_load_dword v2, v1, s[0:3], 0 offen
	buffer_load_dword v3, v1, s[0:3], 0 offen offset:4
	buffer_load_dword v4, off, s[0:3], 0 offset:376
	buffer_load_dword v5, off, s[0:3], 0 offset:380
	s_waitcnt vmcnt(3)
	buffer_store_dword v2, off, s[0:3], 0 offset:376
	s_waitcnt vmcnt(3)
	buffer_store_dword v3, off, s[0:3], 0 offset:380
	s_waitcnt vmcnt(3)
	buffer_store_dword v4, v1, s[0:3], 0 offen
	s_waitcnt vmcnt(3)
	buffer_store_dword v5, v1, s[0:3], 0 offen offset:4
.LBB48_310:
	global_load_dword v0, v0, s[20:21] offset:184
	s_waitcnt vmcnt(0)
	v_add_u32_e32 v0, -1, v0
	v_cmp_eq_u32_e32 vcc, 46, v0
	s_cbranch_vccnz .LBB48_312
; %bb.311:
	v_lshlrev_b32_e32 v0, 3, v0
	buffer_load_dword v1, v0, s[0:3], 0 offen
	buffer_load_dword v2, v0, s[0:3], 0 offen offset:4
	buffer_load_dword v3, off, s[0:3], 0 offset:372
	buffer_load_dword v4, off, s[0:3], 0 offset:368
	s_waitcnt vmcnt(3)
	buffer_store_dword v1, off, s[0:3], 0 offset:368
	s_waitcnt vmcnt(3)
	buffer_store_dword v2, off, s[0:3], 0 offset:372
	s_waitcnt vmcnt(3)
	buffer_store_dword v3, v0, s[0:3], 0 offen offset:4
	s_waitcnt vmcnt(3)
	buffer_store_dword v4, v0, s[0:3], 0 offen
.LBB48_312:
	v_mov_b32_e32 v0, 0
	global_load_dword v1, v0, s[20:21] offset:180
	s_waitcnt vmcnt(0)
	v_add_u32_e32 v99, -1, v1
	v_cmp_eq_u32_e32 vcc, 45, v99
	s_cbranch_vccnz .LBB48_314
; %bb.313:
	v_lshlrev_b32_e32 v1, 3, v99
	buffer_load_dword v2, v1, s[0:3], 0 offen
	buffer_load_dword v3, v1, s[0:3], 0 offen offset:4
	buffer_load_dword v4, off, s[0:3], 0 offset:360
	buffer_load_dword v5, off, s[0:3], 0 offset:364
	s_waitcnt vmcnt(3)
	buffer_store_dword v2, off, s[0:3], 0 offset:360
	s_waitcnt vmcnt(3)
	buffer_store_dword v3, off, s[0:3], 0 offset:364
	s_waitcnt vmcnt(3)
	buffer_store_dword v4, v1, s[0:3], 0 offen
	s_waitcnt vmcnt(3)
	buffer_store_dword v5, v1, s[0:3], 0 offen offset:4
.LBB48_314:
	global_load_dword v0, v0, s[20:21] offset:176
	s_waitcnt vmcnt(0)
	v_add_u32_e32 v0, -1, v0
	v_cmp_eq_u32_e32 vcc, 44, v0
	s_cbranch_vccnz .LBB48_316
; %bb.315:
	v_lshlrev_b32_e32 v0, 3, v0
	buffer_load_dword v1, v0, s[0:3], 0 offen
	buffer_load_dword v2, v0, s[0:3], 0 offen offset:4
	buffer_load_dword v3, off, s[0:3], 0 offset:356
	buffer_load_dword v4, off, s[0:3], 0 offset:352
	s_waitcnt vmcnt(3)
	buffer_store_dword v1, off, s[0:3], 0 offset:352
	s_waitcnt vmcnt(3)
	buffer_store_dword v2, off, s[0:3], 0 offset:356
	s_waitcnt vmcnt(3)
	buffer_store_dword v3, v0, s[0:3], 0 offen offset:4
	s_waitcnt vmcnt(3)
	buffer_store_dword v4, v0, s[0:3], 0 offen
.LBB48_316:
	v_mov_b32_e32 v0, 0
	global_load_dword v1, v0, s[20:21] offset:172
	s_waitcnt vmcnt(0)
	v_add_u32_e32 v99, -1, v1
	v_cmp_eq_u32_e32 vcc, 43, v99
	s_cbranch_vccnz .LBB48_318
; %bb.317:
	v_lshlrev_b32_e32 v1, 3, v99
	buffer_load_dword v2, v1, s[0:3], 0 offen
	buffer_load_dword v3, v1, s[0:3], 0 offen offset:4
	buffer_load_dword v4, off, s[0:3], 0 offset:344
	buffer_load_dword v5, off, s[0:3], 0 offset:348
	s_waitcnt vmcnt(3)
	buffer_store_dword v2, off, s[0:3], 0 offset:344
	s_waitcnt vmcnt(3)
	buffer_store_dword v3, off, s[0:3], 0 offset:348
	s_waitcnt vmcnt(3)
	buffer_store_dword v4, v1, s[0:3], 0 offen
	s_waitcnt vmcnt(3)
	buffer_store_dword v5, v1, s[0:3], 0 offen offset:4
.LBB48_318:
	;; [unrolled: 41-line block ×23, first 2 shown]
	global_load_dword v0, v0, s[20:21]
	s_waitcnt vmcnt(0)
	v_add_u32_e32 v0, -1, v0
	v_cmp_eq_u32_e32 vcc, 0, v0
	s_cbranch_vccnz .LBB48_404
; %bb.403:
	v_lshlrev_b32_e32 v0, 3, v0
	buffer_load_dword v1, v0, s[0:3], 0 offen
	buffer_load_dword v2, v0, s[0:3], 0 offen offset:4
	buffer_load_dword v3, off, s[0:3], 0 offset:4
	buffer_load_dword v4, off, s[0:3], 0
	s_waitcnt vmcnt(3)
	buffer_store_dword v1, off, s[0:3], 0
	s_waitcnt vmcnt(3)
	buffer_store_dword v2, off, s[0:3], 0 offset:4
	s_waitcnt vmcnt(3)
	buffer_store_dword v3, v0, s[0:3], 0 offen offset:4
	s_waitcnt vmcnt(3)
	buffer_store_dword v4, v0, s[0:3], 0 offen
.LBB48_404:
	buffer_load_dword v99, off, s[0:3], 0
	buffer_load_dword v100, off, s[0:3], 0 offset:4
	buffer_load_dword v101, off, s[0:3], 0 offset:8
	;; [unrolled: 1-line block ×97, first 2 shown]
	s_waitcnt vmcnt(62)
	global_store_dwordx2 v[89:90], v[99:100], off
	global_store_dwordx2 v[91:92], v[101:102], off
	buffer_load_dword v0, off, s[0:3], 0 offset:392 ; 4-byte Folded Reload
	buffer_load_dword v1, off, s[0:3], 0 offset:396 ; 4-byte Folded Reload
	s_waitcnt vmcnt(0)
	global_store_dwordx2 v[0:1], v[103:104], off
	buffer_load_dword v0, off, s[0:3], 0 offset:400 ; 4-byte Folded Reload
	s_nop 0
	buffer_load_dword v1, off, s[0:3], 0 offset:404 ; 4-byte Folded Reload
	s_waitcnt vmcnt(0)
	global_store_dwordx2 v[0:1], v[105:106], off
	buffer_load_dword v0, off, s[0:3], 0 offset:408 ; 4-byte Folded Reload
	s_nop 0
	buffer_load_dword v1, off, s[0:3], 0 offset:412 ; 4-byte Folded Reload
	s_waitcnt vmcnt(0)
	global_store_dwordx2 v[0:1], v[107:108], off
	buffer_load_dword v0, off, s[0:3], 0 offset:416 ; 4-byte Folded Reload
	s_nop 0
	buffer_load_dword v1, off, s[0:3], 0 offset:420 ; 4-byte Folded Reload
	s_waitcnt vmcnt(0)
	global_store_dwordx2 v[0:1], v[109:110], off
	buffer_load_dword v0, off, s[0:3], 0 offset:424 ; 4-byte Folded Reload
	s_nop 0
	buffer_load_dword v1, off, s[0:3], 0 offset:428 ; 4-byte Folded Reload
	s_waitcnt vmcnt(0)
	global_store_dwordx2 v[0:1], v[111:112], off
	buffer_load_dword v0, off, s[0:3], 0 offset:432 ; 4-byte Folded Reload
	s_nop 0
	buffer_load_dword v1, off, s[0:3], 0 offset:436 ; 4-byte Folded Reload
	s_waitcnt vmcnt(0)
	global_store_dwordx2 v[0:1], v[113:114], off
	buffer_load_dword v0, off, s[0:3], 0 offset:440 ; 4-byte Folded Reload
	s_nop 0
	buffer_load_dword v1, off, s[0:3], 0 offset:444 ; 4-byte Folded Reload
	s_waitcnt vmcnt(0)
	global_store_dwordx2 v[0:1], v[115:116], off
	buffer_load_dword v0, off, s[0:3], 0 offset:448 ; 4-byte Folded Reload
	s_nop 0
	buffer_load_dword v1, off, s[0:3], 0 offset:452 ; 4-byte Folded Reload
	s_waitcnt vmcnt(0)
	global_store_dwordx2 v[0:1], v[117:118], off
	buffer_load_dword v0, off, s[0:3], 0 offset:456 ; 4-byte Folded Reload
	s_nop 0
	buffer_load_dword v1, off, s[0:3], 0 offset:460 ; 4-byte Folded Reload
	s_waitcnt vmcnt(0)
	global_store_dwordx2 v[0:1], v[119:120], off
	buffer_load_dword v0, off, s[0:3], 0 offset:464 ; 4-byte Folded Reload
	s_nop 0
	buffer_load_dword v1, off, s[0:3], 0 offset:468 ; 4-byte Folded Reload
	s_waitcnt vmcnt(0)
	global_store_dwordx2 v[0:1], v[121:122], off
	buffer_load_dword v0, off, s[0:3], 0 offset:472 ; 4-byte Folded Reload
	s_nop 0
	buffer_load_dword v1, off, s[0:3], 0 offset:476 ; 4-byte Folded Reload
	s_waitcnt vmcnt(0)
	global_store_dwordx2 v[0:1], v[123:124], off
	buffer_load_dword v0, off, s[0:3], 0 offset:480 ; 4-byte Folded Reload
	s_nop 0
	buffer_load_dword v1, off, s[0:3], 0 offset:484 ; 4-byte Folded Reload
	s_waitcnt vmcnt(0)
	global_store_dwordx2 v[0:1], v[125:126], off
	buffer_load_dword v0, off, s[0:3], 0 offset:488 ; 4-byte Folded Reload
	s_nop 0
	buffer_load_dword v1, off, s[0:3], 0 offset:492 ; 4-byte Folded Reload
	s_waitcnt vmcnt(0)
	global_store_dwordx2 v[0:1], v[127:128], off
	buffer_load_dword v0, off, s[0:3], 0 offset:496 ; 4-byte Folded Reload
	s_nop 0
	buffer_load_dword v1, off, s[0:3], 0 offset:500 ; 4-byte Folded Reload
	s_waitcnt vmcnt(0)
	global_store_dwordx2 v[0:1], v[129:130], off
	buffer_load_dword v0, off, s[0:3], 0 offset:504 ; 4-byte Folded Reload
	s_nop 0
	buffer_load_dword v1, off, s[0:3], 0 offset:508 ; 4-byte Folded Reload
	s_waitcnt vmcnt(0)
	global_store_dwordx2 v[0:1], v[131:132], off
	buffer_load_dword v0, off, s[0:3], 0 offset:512 ; 4-byte Folded Reload
	s_nop 0
	buffer_load_dword v1, off, s[0:3], 0 offset:516 ; 4-byte Folded Reload
	s_waitcnt vmcnt(0)
	global_store_dwordx2 v[0:1], v[133:134], off
	buffer_load_dword v0, off, s[0:3], 0 offset:520 ; 4-byte Folded Reload
	s_nop 0
	buffer_load_dword v1, off, s[0:3], 0 offset:524 ; 4-byte Folded Reload
	s_waitcnt vmcnt(0)
	global_store_dwordx2 v[0:1], v[135:136], off
	buffer_load_dword v0, off, s[0:3], 0 offset:528 ; 4-byte Folded Reload
	s_nop 0
	buffer_load_dword v1, off, s[0:3], 0 offset:532 ; 4-byte Folded Reload
	s_waitcnt vmcnt(0)
	global_store_dwordx2 v[0:1], v[137:138], off
	buffer_load_dword v0, off, s[0:3], 0 offset:536 ; 4-byte Folded Reload
	s_nop 0
	buffer_load_dword v1, off, s[0:3], 0 offset:540 ; 4-byte Folded Reload
	s_waitcnt vmcnt(0)
	global_store_dwordx2 v[0:1], v[139:140], off
	global_store_dwordx2 v[39:40], v[141:142], off
	;; [unrolled: 1-line block ×29, first 2 shown]
	s_endpgm
	.section	.rodata,"a",@progbits
	.p2align	6, 0x0
	.amdhsa_kernel _ZN9rocsolver6v33100L18getri_kernel_smallILi49E19rocblas_complex_numIfEPS3_EEvT1_iilPiilS6_bb
		.amdhsa_group_segment_fixed_size 792
		.amdhsa_private_segment_fixed_size 560
		.amdhsa_kernarg_size 60
		.amdhsa_user_sgpr_count 6
		.amdhsa_user_sgpr_private_segment_buffer 1
		.amdhsa_user_sgpr_dispatch_ptr 0
		.amdhsa_user_sgpr_queue_ptr 0
		.amdhsa_user_sgpr_kernarg_segment_ptr 1
		.amdhsa_user_sgpr_dispatch_id 0
		.amdhsa_user_sgpr_flat_scratch_init 0
		.amdhsa_user_sgpr_private_segment_size 0
		.amdhsa_uses_dynamic_stack 0
		.amdhsa_system_sgpr_private_segment_wavefront_offset 1
		.amdhsa_system_sgpr_workgroup_id_x 1
		.amdhsa_system_sgpr_workgroup_id_y 0
		.amdhsa_system_sgpr_workgroup_id_z 0
		.amdhsa_system_sgpr_workgroup_info 0
		.amdhsa_system_vgpr_workitem_id 0
		.amdhsa_next_free_vgpr 256
		.amdhsa_next_free_sgpr 24
		.amdhsa_reserve_vcc 1
		.amdhsa_reserve_flat_scratch 0
		.amdhsa_float_round_mode_32 0
		.amdhsa_float_round_mode_16_64 0
		.amdhsa_float_denorm_mode_32 3
		.amdhsa_float_denorm_mode_16_64 3
		.amdhsa_dx10_clamp 1
		.amdhsa_ieee_mode 1
		.amdhsa_fp16_overflow 0
		.amdhsa_exception_fp_ieee_invalid_op 0
		.amdhsa_exception_fp_denorm_src 0
		.amdhsa_exception_fp_ieee_div_zero 0
		.amdhsa_exception_fp_ieee_overflow 0
		.amdhsa_exception_fp_ieee_underflow 0
		.amdhsa_exception_fp_ieee_inexact 0
		.amdhsa_exception_int_div_zero 0
	.end_amdhsa_kernel
	.section	.text._ZN9rocsolver6v33100L18getri_kernel_smallILi49E19rocblas_complex_numIfEPS3_EEvT1_iilPiilS6_bb,"axG",@progbits,_ZN9rocsolver6v33100L18getri_kernel_smallILi49E19rocblas_complex_numIfEPS3_EEvT1_iilPiilS6_bb,comdat
.Lfunc_end48:
	.size	_ZN9rocsolver6v33100L18getri_kernel_smallILi49E19rocblas_complex_numIfEPS3_EEvT1_iilPiilS6_bb, .Lfunc_end48-_ZN9rocsolver6v33100L18getri_kernel_smallILi49E19rocblas_complex_numIfEPS3_EEvT1_iilPiilS6_bb
                                        ; -- End function
	.set _ZN9rocsolver6v33100L18getri_kernel_smallILi49E19rocblas_complex_numIfEPS3_EEvT1_iilPiilS6_bb.num_vgpr, 256
	.set _ZN9rocsolver6v33100L18getri_kernel_smallILi49E19rocblas_complex_numIfEPS3_EEvT1_iilPiilS6_bb.num_agpr, 0
	.set _ZN9rocsolver6v33100L18getri_kernel_smallILi49E19rocblas_complex_numIfEPS3_EEvT1_iilPiilS6_bb.numbered_sgpr, 24
	.set _ZN9rocsolver6v33100L18getri_kernel_smallILi49E19rocblas_complex_numIfEPS3_EEvT1_iilPiilS6_bb.num_named_barrier, 0
	.set _ZN9rocsolver6v33100L18getri_kernel_smallILi49E19rocblas_complex_numIfEPS3_EEvT1_iilPiilS6_bb.private_seg_size, 560
	.set _ZN9rocsolver6v33100L18getri_kernel_smallILi49E19rocblas_complex_numIfEPS3_EEvT1_iilPiilS6_bb.uses_vcc, 1
	.set _ZN9rocsolver6v33100L18getri_kernel_smallILi49E19rocblas_complex_numIfEPS3_EEvT1_iilPiilS6_bb.uses_flat_scratch, 0
	.set _ZN9rocsolver6v33100L18getri_kernel_smallILi49E19rocblas_complex_numIfEPS3_EEvT1_iilPiilS6_bb.has_dyn_sized_stack, 0
	.set _ZN9rocsolver6v33100L18getri_kernel_smallILi49E19rocblas_complex_numIfEPS3_EEvT1_iilPiilS6_bb.has_recursion, 0
	.set _ZN9rocsolver6v33100L18getri_kernel_smallILi49E19rocblas_complex_numIfEPS3_EEvT1_iilPiilS6_bb.has_indirect_call, 0
	.section	.AMDGPU.csdata,"",@progbits
; Kernel info:
; codeLenInByte = 90272
; TotalNumSgprs: 28
; NumVgprs: 256
; ScratchSize: 560
; MemoryBound: 0
; FloatMode: 240
; IeeeMode: 1
; LDSByteSize: 792 bytes/workgroup (compile time only)
; SGPRBlocks: 3
; VGPRBlocks: 63
; NumSGPRsForWavesPerEU: 28
; NumVGPRsForWavesPerEU: 256
; Occupancy: 1
; WaveLimiterHint : 1
; COMPUTE_PGM_RSRC2:SCRATCH_EN: 1
; COMPUTE_PGM_RSRC2:USER_SGPR: 6
; COMPUTE_PGM_RSRC2:TRAP_HANDLER: 0
; COMPUTE_PGM_RSRC2:TGID_X_EN: 1
; COMPUTE_PGM_RSRC2:TGID_Y_EN: 0
; COMPUTE_PGM_RSRC2:TGID_Z_EN: 0
; COMPUTE_PGM_RSRC2:TIDIG_COMP_CNT: 0
	.section	.text._ZN9rocsolver6v33100L18getri_kernel_smallILi50E19rocblas_complex_numIfEPS3_EEvT1_iilPiilS6_bb,"axG",@progbits,_ZN9rocsolver6v33100L18getri_kernel_smallILi50E19rocblas_complex_numIfEPS3_EEvT1_iilPiilS6_bb,comdat
	.globl	_ZN9rocsolver6v33100L18getri_kernel_smallILi50E19rocblas_complex_numIfEPS3_EEvT1_iilPiilS6_bb ; -- Begin function _ZN9rocsolver6v33100L18getri_kernel_smallILi50E19rocblas_complex_numIfEPS3_EEvT1_iilPiilS6_bb
	.p2align	8
	.type	_ZN9rocsolver6v33100L18getri_kernel_smallILi50E19rocblas_complex_numIfEPS3_EEvT1_iilPiilS6_bb,@function
_ZN9rocsolver6v33100L18getri_kernel_smallILi50E19rocblas_complex_numIfEPS3_EEvT1_iilPiilS6_bb: ; @_ZN9rocsolver6v33100L18getri_kernel_smallILi50E19rocblas_complex_numIfEPS3_EEvT1_iilPiilS6_bb
; %bb.0:
	s_add_u32 s0, s0, s7
	s_addc_u32 s1, s1, 0
	v_cmp_gt_u32_e32 vcc, 50, v0
	s_and_saveexec_b64 s[8:9], vcc
	s_cbranch_execz .LBB49_214
; %bb.1:
	s_load_dword s12, s[4:5], 0x38
	s_load_dwordx4 s[16:19], s[4:5], 0x10
	s_load_dwordx4 s[8:11], s[4:5], 0x28
                                        ; implicit-def: $sgpr20_sgpr21
	s_waitcnt lgkmcnt(0)
	s_bitcmp1_b32 s12, 8
	s_cselect_b64 s[22:23], -1, 0
	s_ashr_i32 s7, s6, 31
	s_bfe_u32 s12, s12, 0x10008
	s_cmp_eq_u32 s12, 0
	s_cbranch_scc1 .LBB49_3
; %bb.2:
	s_load_dword s12, s[4:5], 0x20
	s_mul_i32 s13, s8, s7
	s_mul_hi_u32 s14, s8, s6
	s_mul_i32 s9, s9, s6
	s_add_i32 s14, s14, s13
	s_add_i32 s9, s14, s9
	s_mul_i32 s8, s8, s6
	s_waitcnt lgkmcnt(0)
	s_ashr_i32 s13, s12, 31
	s_lshl_b64 s[8:9], s[8:9], 2
	s_add_u32 s14, s18, s8
	s_addc_u32 s15, s19, s9
	s_lshl_b64 s[8:9], s[12:13], 2
	s_add_u32 s20, s14, s8
	s_addc_u32 s21, s15, s9
.LBB49_3:
	s_load_dwordx4 s[12:15], s[4:5], 0x0
	s_load_dword s8, s[4:5], 0x38
	s_mul_i32 s9, s16, s7
	s_mul_hi_u32 s18, s16, s6
	s_add_i32 s9, s18, s9
	s_waitcnt lgkmcnt(0)
	s_ashr_i32 s5, s14, 31
	s_mov_b32 s4, s14
	s_mul_i32 s14, s17, s6
	s_add_i32 s17, s9, s14
	s_mul_i32 s16, s16, s6
	s_lshl_b64 s[16:17], s[16:17], 3
	s_add_u32 s9, s12, s16
	s_addc_u32 s12, s13, s17
	s_lshl_b64 s[4:5], s[4:5], 3
	s_add_u32 s4, s9, s4
	s_addc_u32 s5, s12, s5
	s_add_i32 s9, s15, s15
	v_add_u32_e32 v3, s9, v0
	v_ashrrev_i32_e32 v4, 31, v3
	v_lshlrev_b64 v[1:2], 3, v[3:4]
	v_add_u32_e32 v5, s15, v3
	v_mov_b32_e32 v4, s5
	v_add_co_u32_e32 v1, vcc, s4, v1
	v_ashrrev_i32_e32 v6, 31, v5
	v_addc_co_u32_e32 v2, vcc, v4, v2, vcc
	v_lshlrev_b64 v[3:4], 3, v[5:6]
	v_add_u32_e32 v7, s15, v5
	v_mov_b32_e32 v6, s5
	v_add_co_u32_e32 v3, vcc, s4, v3
	v_ashrrev_i32_e32 v8, 31, v7
	v_addc_co_u32_e32 v4, vcc, v6, v4, vcc
	;; [unrolled: 6-line block ×8, first 2 shown]
	v_lshlrev_b64 v[17:18], 3, v[19:20]
	v_mov_b32_e32 v21, s5
	v_add_co_u32_e32 v17, vcc, s4, v17
	v_addc_co_u32_e32 v18, vcc, v21, v18, vcc
	v_add_u32_e32 v21, s15, v19
	v_ashrrev_i32_e32 v22, 31, v21
	v_lshlrev_b64 v[19:20], 3, v[21:22]
	v_mov_b32_e32 v23, s5
	v_add_co_u32_e32 v19, vcc, s4, v19
	v_addc_co_u32_e32 v20, vcc, v23, v20, vcc
	v_add_u32_e32 v23, s15, v21
	v_ashrrev_i32_e32 v24, 31, v23
	;; [unrolled: 6-line block ×33, first 2 shown]
	v_lshlrev_b64 v[83:84], 3, v[85:86]
	v_mov_b32_e32 v87, s5
	v_add_co_u32_e32 v83, vcc, s4, v83
	v_addc_co_u32_e32 v84, vcc, v87, v84, vcc
	v_lshlrev_b32_e32 v103, 3, v0
	v_add_u32_e32 v87, s15, v85
	v_mov_b32_e32 v85, s5
	v_add_co_u32_e32 v91, vcc, s4, v103
	s_ashr_i32 s13, s15, 31
	s_mov_b32 s12, s15
	v_addc_co_u32_e32 v92, vcc, 0, v85, vcc
	s_lshl_b64 s[12:13], s[12:13], 3
	v_mov_b32_e32 v85, s13
	v_add_co_u32_e32 v93, vcc, s12, v91
	v_addc_co_u32_e32 v94, vcc, v92, v85, vcc
	global_load_dwordx2 v[101:102], v103, s[4:5]
	global_load_dwordx2 v[104:105], v[93:94], off
	s_nop 0
	buffer_store_dword v1, off, s[0:3], 0 offset:400 ; 4-byte Folded Spill
	s_nop 0
	buffer_store_dword v2, off, s[0:3], 0 offset:404 ; 4-byte Folded Spill
	v_ashrrev_i32_e32 v88, 31, v87
	v_lshlrev_b64 v[85:86], 3, v[87:88]
	v_mov_b32_e32 v89, s5
	v_add_co_u32_e32 v85, vcc, s4, v85
	v_addc_co_u32_e32 v86, vcc, v89, v86, vcc
	v_add_u32_e32 v89, s15, v87
	v_ashrrev_i32_e32 v90, 31, v89
	v_lshlrev_b64 v[87:88], 3, v[89:90]
	v_mov_b32_e32 v95, s5
	v_add_co_u32_e32 v87, vcc, s4, v87
	v_addc_co_u32_e32 v88, vcc, v95, v88, vcc
	v_add_u32_e32 v95, s15, v89
	;; [unrolled: 6-line block ×5, first 2 shown]
	v_ashrrev_i32_e32 v100, 31, v99
	v_lshlrev_b64 v[99:100], 3, v[99:100]
	v_mov_b32_e32 v162, s5
	v_add_co_u32_e32 v99, vcc, s4, v99
	v_addc_co_u32_e32 v100, vcc, v162, v100, vcc
	s_bitcmp0_b32 s8, 0
	s_mov_b64 s[8:9], -1
	global_load_dwordx2 v[106:107], v[1:2], off
	s_nop 0
	buffer_store_dword v3, off, s[0:3], 0 offset:408 ; 4-byte Folded Spill
	s_nop 0
	buffer_store_dword v4, off, s[0:3], 0 offset:412 ; 4-byte Folded Spill
	global_load_dwordx2 v[108:109], v[3:4], off
	s_nop 0
	buffer_store_dword v5, off, s[0:3], 0 offset:416 ; 4-byte Folded Spill
	s_nop 0
	buffer_store_dword v6, off, s[0:3], 0 offset:420 ; 4-byte Folded Spill
	;; [unrolled: 5-line block ×22, first 2 shown]
	global_load_dwordx2 v[152:153], v[47:48], off
	global_load_dwordx2 v[150:151], v[45:46], off
	;; [unrolled: 1-line block ×17, first 2 shown]
	s_waitcnt vmcnt(62)
	buffer_store_dword v102, off, s[0:3], 0 offset:4
	buffer_store_dword v101, off, s[0:3], 0
	global_load_dwordx2 v[101:102], v[61:62], off
	s_nop 0
	buffer_store_dword v105, off, s[0:3], 0 offset:12
	buffer_store_dword v104, off, s[0:3], 0 offset:8
	global_load_dwordx2 v[104:105], v[65:66], off
	s_nop 0
	buffer_store_dword v107, off, s[0:3], 0 offset:20
	buffer_store_dword v106, off, s[0:3], 0 offset:16
	;; [unrolled: 4-line block ×8, first 2 shown]
	global_load_dwordx2 v[118:119], v[97:98], off
	s_waitcnt vmcnt(62)
	buffer_store_dword v120, off, s[0:3], 0 offset:72
	buffer_store_dword v121, off, s[0:3], 0 offset:76
	buffer_store_dword v122, off, s[0:3], 0 offset:80
	buffer_store_dword v123, off, s[0:3], 0 offset:84
	buffer_store_dword v124, off, s[0:3], 0 offset:88
	buffer_store_dword v125, off, s[0:3], 0 offset:92
	buffer_store_dword v126, off, s[0:3], 0 offset:96
	buffer_store_dword v127, off, s[0:3], 0 offset:100
	buffer_store_dword v128, off, s[0:3], 0 offset:104
	buffer_store_dword v129, off, s[0:3], 0 offset:108
	buffer_store_dword v131, off, s[0:3], 0 offset:116
	buffer_store_dword v130, off, s[0:3], 0 offset:112
	buffer_store_dword v132, off, s[0:3], 0 offset:120
	buffer_store_dword v133, off, s[0:3], 0 offset:124
	buffer_store_dword v134, off, s[0:3], 0 offset:128
	buffer_store_dword v135, off, s[0:3], 0 offset:132
	buffer_store_dword v136, off, s[0:3], 0 offset:136
	buffer_store_dword v137, off, s[0:3], 0 offset:140
	s_waitcnt vmcnt(62)
	buffer_store_dword v138, off, s[0:3], 0 offset:144
	buffer_store_dword v139, off, s[0:3], 0 offset:148
	;; [unrolled: 1-line block ×12, first 2 shown]
	s_waitcnt vmcnt(62)
	buffer_store_dword v150, off, s[0:3], 0 offset:192
	buffer_store_dword v151, off, s[0:3], 0 offset:196
	;; [unrolled: 1-line block ×16, first 2 shown]
	s_waitcnt vmcnt(62)
	buffer_store_dword v102, off, s[0:3], 0 offset:260
	buffer_store_dword v101, off, s[0:3], 0 offset:256
	;; [unrolled: 1-line block ×12, first 2 shown]
	s_waitcnt vmcnt(62)
	buffer_store_dword v109, off, s[0:3], 0 offset:308
	buffer_store_dword v108, off, s[0:3], 0 offset:304
	;; [unrolled: 1-line block ×16, first 2 shown]
	s_waitcnt vmcnt(62)
	buffer_store_dword v116, off, s[0:3], 0 offset:368
	buffer_store_dword v117, off, s[0:3], 0 offset:372
	;; [unrolled: 1-line block ×8, first 2 shown]
	s_cbranch_scc1 .LBB49_212
; %bb.4:
	v_cmp_eq_u32_e64 s[4:5], 0, v0
	s_and_saveexec_b64 s[8:9], s[4:5]
; %bb.5:
	v_mov_b32_e32 v101, 0
	ds_write_b32 v101, v101 offset:800
; %bb.6:
	s_or_b64 exec, exec, s[8:9]
	v_mov_b32_e32 v101, 0
	v_lshl_add_u32 v105, v0, 3, v101
	s_waitcnt lgkmcnt(0)
	; wave barrier
	buffer_load_dword v101, v105, s[0:3], 0 offen
	buffer_load_dword v102, v105, s[0:3], 0 offen offset:4
	s_waitcnt vmcnt(1)
	v_cmp_eq_f32_e32 vcc, 0, v101
	s_waitcnt vmcnt(0)
	v_cmp_eq_f32_e64 s[8:9], 0, v102
	s_and_b64 s[8:9], vcc, s[8:9]
	s_and_saveexec_b64 s[12:13], s[8:9]
	s_cbranch_execz .LBB49_10
; %bb.7:
	v_mov_b32_e32 v101, 0
	ds_read_b32 v104, v101 offset:800
	v_add_u32_e32 v102, 1, v0
	s_waitcnt lgkmcnt(0)
	v_readfirstlane_b32 s8, v104
	s_cmp_eq_u32 s8, 0
	s_cselect_b64 s[14:15], -1, 0
	v_cmp_gt_i32_e32 vcc, s8, v102
	s_or_b64 s[14:15], s[14:15], vcc
	s_and_b64 exec, exec, s[14:15]
	s_cbranch_execz .LBB49_10
; %bb.8:
	s_mov_b64 s[14:15], 0
	v_mov_b32_e32 v104, s8
.LBB49_9:                               ; =>This Inner Loop Header: Depth=1
	ds_cmpst_rtn_b32 v104, v101, v104, v102 offset:800
	s_waitcnt lgkmcnt(0)
	v_cmp_ne_u32_e32 vcc, 0, v104
	v_cmp_le_i32_e64 s[8:9], v104, v102
	s_and_b64 s[8:9], vcc, s[8:9]
	s_and_b64 s[8:9], exec, s[8:9]
	s_or_b64 s[14:15], s[8:9], s[14:15]
	s_andn2_b64 exec, exec, s[14:15]
	s_cbranch_execnz .LBB49_9
.LBB49_10:
	s_or_b64 exec, exec, s[12:13]
	v_mov_b32_e32 v102, 0
	; wave barrier
	ds_read_b32 v101, v102 offset:800
	s_and_saveexec_b64 s[8:9], s[4:5]
	s_cbranch_execz .LBB49_12
; %bb.11:
	s_lshl_b64 s[12:13], s[6:7], 2
	s_add_u32 s12, s10, s12
	s_addc_u32 s13, s11, s13
	s_waitcnt lgkmcnt(0)
	global_store_dword v102, v101, s[12:13]
.LBB49_12:
	s_or_b64 exec, exec, s[8:9]
	s_waitcnt lgkmcnt(0)
	v_cmp_ne_u32_e32 vcc, 0, v101
	s_mov_b64 s[8:9], 0
	s_cbranch_vccnz .LBB49_212
; %bb.13:
	buffer_load_dword v102, v105, s[0:3], 0 offen
	buffer_load_dword v104, v105, s[0:3], 0 offen offset:4
                                        ; implicit-def: $vgpr107
                                        ; implicit-def: $vgpr106
                                        ; implicit-def: $vgpr101
	s_waitcnt vmcnt(0)
	v_cmp_ngt_f32_e64 s[8:9], |v102|, |v104|
	s_and_saveexec_b64 s[12:13], s[8:9]
	s_xor_b64 s[8:9], exec, s[12:13]
	s_cbranch_execz .LBB49_15
; %bb.14:
	v_div_scale_f32 v101, s[12:13], v104, v104, v102
	v_div_scale_f32 v106, vcc, v102, v104, v102
	v_rcp_f32_e32 v107, v101
	v_fma_f32 v108, -v101, v107, 1.0
	v_fmac_f32_e32 v107, v108, v107
	v_mul_f32_e32 v108, v106, v107
	v_fma_f32 v109, -v101, v108, v106
	v_fmac_f32_e32 v108, v109, v107
	v_fma_f32 v101, -v101, v108, v106
	v_div_fmas_f32 v101, v101, v107, v108
	v_div_fixup_f32 v101, v101, v104, v102
	v_fmac_f32_e32 v104, v102, v101
	v_div_scale_f32 v102, s[12:13], v104, v104, 1.0
	v_div_scale_f32 v106, vcc, 1.0, v104, 1.0
	v_rcp_f32_e32 v107, v102
	v_fma_f32 v108, -v102, v107, 1.0
	v_fmac_f32_e32 v107, v108, v107
	v_mul_f32_e32 v108, v106, v107
	v_fma_f32 v109, -v102, v108, v106
	v_fmac_f32_e32 v108, v109, v107
	v_fma_f32 v102, -v102, v108, v106
	v_div_fmas_f32 v102, v102, v107, v108
	v_div_fixup_f32 v102, v102, v104, 1.0
	v_mul_f32_e32 v107, v101, v102
	v_xor_b32_e32 v106, 0x80000000, v102
	v_xor_b32_e32 v101, 0x80000000, v107
                                        ; implicit-def: $vgpr102
                                        ; implicit-def: $vgpr104
.LBB49_15:
	s_andn2_saveexec_b64 s[8:9], s[8:9]
	s_cbranch_execz .LBB49_17
; %bb.16:
	v_div_scale_f32 v101, s[12:13], v102, v102, v104
	v_div_scale_f32 v106, vcc, v104, v102, v104
	v_rcp_f32_e32 v107, v101
	v_fma_f32 v108, -v101, v107, 1.0
	v_fmac_f32_e32 v107, v108, v107
	v_mul_f32_e32 v108, v106, v107
	v_fma_f32 v109, -v101, v108, v106
	v_fmac_f32_e32 v108, v109, v107
	v_fma_f32 v101, -v101, v108, v106
	v_div_fmas_f32 v101, v101, v107, v108
	v_div_fixup_f32 v106, v101, v102, v104
	v_fmac_f32_e32 v102, v104, v106
	v_div_scale_f32 v101, s[12:13], v102, v102, 1.0
	v_div_scale_f32 v104, vcc, 1.0, v102, 1.0
	v_rcp_f32_e32 v107, v101
	v_fma_f32 v108, -v101, v107, 1.0
	v_fmac_f32_e32 v107, v108, v107
	v_mul_f32_e32 v108, v104, v107
	v_fma_f32 v109, -v101, v108, v104
	v_fmac_f32_e32 v108, v109, v107
	v_fma_f32 v101, -v101, v108, v104
	v_div_fmas_f32 v101, v101, v107, v108
	v_div_fixup_f32 v107, v101, v102, 1.0
	v_xor_b32_e32 v101, 0x80000000, v107
	v_mul_f32_e64 v106, v106, -v107
.LBB49_17:
	s_or_b64 exec, exec, s[8:9]
	buffer_store_dword v107, v105, s[0:3], 0 offen
	buffer_store_dword v106, v105, s[0:3], 0 offen offset:4
	buffer_load_dword v108, off, s[0:3], 0 offset:12
	s_nop 0
	buffer_load_dword v107, off, s[0:3], 0 offset:8
	v_xor_b32_e32 v102, 0x80000000, v106
	v_add_u32_e32 v104, 0x190, v103
	s_waitcnt vmcnt(0)
	ds_write2_b64 v103, v[101:102], v[107:108] offset1:50
	s_waitcnt lgkmcnt(0)
	; wave barrier
	s_and_saveexec_b64 s[8:9], s[4:5]
	s_cbranch_execz .LBB49_19
; %bb.18:
	buffer_load_dword v108, v105, s[0:3], 0 offen offset:4
	buffer_load_dword v109, v105, s[0:3], 0 offen
	ds_read_b64 v[101:102], v104
	v_mov_b32_e32 v106, 0
	ds_read_b64 v[106:107], v106 offset:8
	s_waitcnt vmcnt(1) lgkmcnt(1)
	v_mul_f32_e32 v110, v102, v108
	v_mul_f32_e32 v108, v101, v108
	s_waitcnt vmcnt(0)
	v_fmac_f32_e32 v108, v102, v109
	v_fma_f32 v101, v101, v109, -v110
	v_add_f32_e32 v102, 0, v108
	v_add_f32_e32 v101, 0, v101
	s_waitcnt lgkmcnt(0)
	v_mul_f32_e32 v108, v102, v107
	v_mul_f32_e32 v107, v101, v107
	v_fma_f32 v101, v101, v106, -v108
	v_fmac_f32_e32 v107, v102, v106
	buffer_store_dword v101, off, s[0:3], 0 offset:8
	buffer_store_dword v107, off, s[0:3], 0 offset:12
.LBB49_19:
	s_or_b64 exec, exec, s[8:9]
	; wave barrier
	buffer_load_dword v101, off, s[0:3], 0 offset:16
	buffer_load_dword v102, off, s[0:3], 0 offset:20
	v_cmp_gt_u32_e32 vcc, 2, v0
	s_waitcnt vmcnt(0)
	ds_write_b64 v104, v[101:102]
	s_waitcnt lgkmcnt(0)
	; wave barrier
	s_and_saveexec_b64 s[8:9], vcc
	s_cbranch_execz .LBB49_23
; %bb.20:
	buffer_load_dword v106, v105, s[0:3], 0 offen offset:4
	buffer_load_dword v107, v105, s[0:3], 0 offen
	ds_read_b64 v[101:102], v104
	s_waitcnt vmcnt(1) lgkmcnt(0)
	v_mul_f32_e32 v105, v102, v106
	v_mul_f32_e32 v106, v101, v106
	s_waitcnt vmcnt(0)
	v_fma_f32 v101, v101, v107, -v105
	v_fmac_f32_e32 v106, v102, v107
	v_add_f32_e32 v102, 0, v101
	v_add_f32_e32 v101, 0, v106
	s_and_saveexec_b64 s[12:13], s[4:5]
	s_cbranch_execz .LBB49_22
; %bb.21:
	buffer_load_dword v107, off, s[0:3], 0 offset:12
	buffer_load_dword v108, off, s[0:3], 0 offset:8
	v_mov_b32_e32 v105, 0
	ds_read_b64 v[105:106], v105 offset:408
	s_waitcnt vmcnt(1) lgkmcnt(0)
	v_mul_f32_e32 v109, v105, v107
	v_mul_f32_e32 v107, v106, v107
	s_waitcnt vmcnt(0)
	v_fmac_f32_e32 v109, v106, v108
	v_fma_f32 v105, v105, v108, -v107
	v_add_f32_e32 v101, v101, v109
	v_add_f32_e32 v102, v102, v105
.LBB49_22:
	s_or_b64 exec, exec, s[12:13]
	v_mov_b32_e32 v105, 0
	ds_read_b64 v[105:106], v105 offset:16
	s_waitcnt lgkmcnt(0)
	v_mul_f32_e32 v107, v101, v106
	v_mul_f32_e32 v106, v102, v106
	v_fma_f32 v102, v102, v105, -v107
	v_fmac_f32_e32 v106, v101, v105
	buffer_store_dword v102, off, s[0:3], 0 offset:16
	buffer_store_dword v106, off, s[0:3], 0 offset:20
.LBB49_23:
	s_or_b64 exec, exec, s[8:9]
	; wave barrier
	buffer_load_dword v101, off, s[0:3], 0 offset:24
	buffer_load_dword v102, off, s[0:3], 0 offset:28
	v_cmp_gt_u32_e32 vcc, 3, v0
	s_waitcnt vmcnt(0)
	ds_write_b64 v104, v[101:102]
	v_add_u32_e32 v101, -1, v0
	s_waitcnt lgkmcnt(0)
	; wave barrier
	s_and_saveexec_b64 s[4:5], vcc
	s_cbranch_execz .LBB49_27
; %bb.24:
	v_add_u32_e32 v105, -1, v0
	v_add_u32_e32 v106, 0x190, v103
	v_mov_b32_e32 v107, v103
	v_mov_b32_e32 v102, 0
	s_mov_b64 s[8:9], 0
	v_mov_b32_e32 v108, 0
.LBB49_25:                              ; =>This Inner Loop Header: Depth=1
	buffer_load_dword v111, v107, s[0:3], 0 offen offset:4
	buffer_load_dword v112, v107, s[0:3], 0 offen
	ds_read_b64 v[109:110], v106
	v_add_u32_e32 v105, 1, v105
	v_cmp_lt_u32_e32 vcc, 1, v105
	v_add_u32_e32 v106, 8, v106
	v_add_u32_e32 v107, 8, v107
	s_or_b64 s[8:9], vcc, s[8:9]
	s_waitcnt vmcnt(1) lgkmcnt(0)
	v_mul_f32_e32 v113, v110, v111
	v_mul_f32_e32 v111, v109, v111
	s_waitcnt vmcnt(0)
	v_fma_f32 v109, v109, v112, -v113
	v_fmac_f32_e32 v111, v110, v112
	v_add_f32_e32 v108, v108, v109
	v_add_f32_e32 v102, v102, v111
	s_andn2_b64 exec, exec, s[8:9]
	s_cbranch_execnz .LBB49_25
; %bb.26:
	s_or_b64 exec, exec, s[8:9]
	v_mov_b32_e32 v105, 0
	ds_read_b64 v[105:106], v105 offset:24
	s_waitcnt lgkmcnt(0)
	v_mul_f32_e32 v107, v102, v106
	v_mul_f32_e32 v106, v108, v106
	v_fma_f32 v107, v108, v105, -v107
	v_fmac_f32_e32 v106, v102, v105
	buffer_store_dword v107, off, s[0:3], 0 offset:24
	buffer_store_dword v106, off, s[0:3], 0 offset:28
.LBB49_27:
	s_or_b64 exec, exec, s[4:5]
	; wave barrier
	buffer_load_dword v105, off, s[0:3], 0 offset:32
	buffer_load_dword v106, off, s[0:3], 0 offset:36
	v_cmp_gt_u32_e32 vcc, 4, v0
	s_waitcnt vmcnt(0)
	ds_write_b64 v104, v[105:106]
	s_waitcnt lgkmcnt(0)
	; wave barrier
	s_and_saveexec_b64 s[4:5], vcc
	s_cbranch_execz .LBB49_31
; %bb.28:
	v_add_u32_e32 v105, -1, v0
	v_add_u32_e32 v106, 0x190, v103
	v_mov_b32_e32 v107, v103
	v_mov_b32_e32 v102, 0
	s_mov_b64 s[8:9], 0
	v_mov_b32_e32 v108, 0
.LBB49_29:                              ; =>This Inner Loop Header: Depth=1
	buffer_load_dword v111, v107, s[0:3], 0 offen offset:4
	buffer_load_dword v112, v107, s[0:3], 0 offen
	ds_read_b64 v[109:110], v106
	v_add_u32_e32 v105, 1, v105
	v_cmp_lt_u32_e32 vcc, 2, v105
	v_add_u32_e32 v106, 8, v106
	v_add_u32_e32 v107, 8, v107
	s_or_b64 s[8:9], vcc, s[8:9]
	s_waitcnt vmcnt(1) lgkmcnt(0)
	v_mul_f32_e32 v113, v110, v111
	v_mul_f32_e32 v111, v109, v111
	s_waitcnt vmcnt(0)
	v_fma_f32 v109, v109, v112, -v113
	v_fmac_f32_e32 v111, v110, v112
	v_add_f32_e32 v108, v108, v109
	v_add_f32_e32 v102, v102, v111
	s_andn2_b64 exec, exec, s[8:9]
	s_cbranch_execnz .LBB49_29
; %bb.30:
	s_or_b64 exec, exec, s[8:9]
	v_mov_b32_e32 v105, 0
	ds_read_b64 v[105:106], v105 offset:32
	s_waitcnt lgkmcnt(0)
	v_mul_f32_e32 v107, v102, v106
	v_mul_f32_e32 v106, v108, v106
	v_fma_f32 v107, v108, v105, -v107
	v_fmac_f32_e32 v106, v102, v105
	buffer_store_dword v107, off, s[0:3], 0 offset:32
	buffer_store_dword v106, off, s[0:3], 0 offset:36
.LBB49_31:
	s_or_b64 exec, exec, s[4:5]
	; wave barrier
	buffer_load_dword v105, off, s[0:3], 0 offset:40
	buffer_load_dword v106, off, s[0:3], 0 offset:44
	v_cmp_gt_u32_e32 vcc, 5, v0
	s_waitcnt vmcnt(0)
	ds_write_b64 v104, v[105:106]
	;; [unrolled: 49-line block ×19, first 2 shown]
	s_waitcnt lgkmcnt(0)
	; wave barrier
	s_and_saveexec_b64 s[4:5], vcc
	s_cbranch_execz .LBB49_103
; %bb.100:
	v_add_u32_e32 v105, -1, v0
	v_add_u32_e32 v106, 0x190, v103
	v_mov_b32_e32 v107, v103
	v_mov_b32_e32 v102, 0
	s_mov_b64 s[8:9], 0
	v_mov_b32_e32 v108, 0
.LBB49_101:                             ; =>This Inner Loop Header: Depth=1
	buffer_load_dword v111, v107, s[0:3], 0 offen offset:4
	buffer_load_dword v112, v107, s[0:3], 0 offen
	ds_read_b64 v[109:110], v106
	v_add_u32_e32 v105, 1, v105
	v_cmp_lt_u32_e32 vcc, 20, v105
	v_add_u32_e32 v106, 8, v106
	v_add_u32_e32 v107, 8, v107
	s_or_b64 s[8:9], vcc, s[8:9]
	s_waitcnt vmcnt(1) lgkmcnt(0)
	v_mul_f32_e32 v113, v110, v111
	v_mul_f32_e32 v111, v109, v111
	s_waitcnt vmcnt(0)
	v_fma_f32 v109, v109, v112, -v113
	v_fmac_f32_e32 v111, v110, v112
	v_add_f32_e32 v108, v108, v109
	v_add_f32_e32 v102, v102, v111
	s_andn2_b64 exec, exec, s[8:9]
	s_cbranch_execnz .LBB49_101
; %bb.102:
	s_or_b64 exec, exec, s[8:9]
	v_mov_b32_e32 v105, 0
	ds_read_b64 v[105:106], v105 offset:176
	s_waitcnt lgkmcnt(0)
	v_mul_f32_e32 v107, v102, v106
	v_mul_f32_e32 v106, v108, v106
	v_fma_f32 v107, v108, v105, -v107
	v_fmac_f32_e32 v106, v102, v105
	buffer_store_dword v107, off, s[0:3], 0 offset:176
	buffer_store_dword v106, off, s[0:3], 0 offset:180
.LBB49_103:
	s_or_b64 exec, exec, s[4:5]
	; wave barrier
	buffer_load_dword v105, off, s[0:3], 0 offset:184
	buffer_load_dword v106, off, s[0:3], 0 offset:188
	v_cmp_gt_u32_e32 vcc, 23, v0
	s_waitcnt vmcnt(0)
	ds_write_b64 v104, v[105:106]
	s_waitcnt lgkmcnt(0)
	; wave barrier
	s_and_saveexec_b64 s[4:5], vcc
	s_cbranch_execz .LBB49_107
; %bb.104:
	v_add_u32_e32 v105, -1, v0
	v_add_u32_e32 v106, 0x190, v103
	v_mov_b32_e32 v107, v103
	v_mov_b32_e32 v102, 0
	s_mov_b64 s[8:9], 0
	v_mov_b32_e32 v108, 0
.LBB49_105:                             ; =>This Inner Loop Header: Depth=1
	buffer_load_dword v111, v107, s[0:3], 0 offen offset:4
	buffer_load_dword v112, v107, s[0:3], 0 offen
	ds_read_b64 v[109:110], v106
	v_add_u32_e32 v105, 1, v105
	v_cmp_lt_u32_e32 vcc, 21, v105
	v_add_u32_e32 v106, 8, v106
	v_add_u32_e32 v107, 8, v107
	s_or_b64 s[8:9], vcc, s[8:9]
	s_waitcnt vmcnt(1) lgkmcnt(0)
	v_mul_f32_e32 v113, v110, v111
	v_mul_f32_e32 v111, v109, v111
	s_waitcnt vmcnt(0)
	v_fma_f32 v109, v109, v112, -v113
	v_fmac_f32_e32 v111, v110, v112
	v_add_f32_e32 v108, v108, v109
	v_add_f32_e32 v102, v102, v111
	s_andn2_b64 exec, exec, s[8:9]
	s_cbranch_execnz .LBB49_105
; %bb.106:
	s_or_b64 exec, exec, s[8:9]
	v_mov_b32_e32 v105, 0
	ds_read_b64 v[105:106], v105 offset:184
	s_waitcnt lgkmcnt(0)
	v_mul_f32_e32 v107, v102, v106
	v_mul_f32_e32 v106, v108, v106
	v_fma_f32 v107, v108, v105, -v107
	v_fmac_f32_e32 v106, v102, v105
	buffer_store_dword v107, off, s[0:3], 0 offset:184
	buffer_store_dword v106, off, s[0:3], 0 offset:188
.LBB49_107:
	s_or_b64 exec, exec, s[4:5]
	; wave barrier
	buffer_load_dword v105, off, s[0:3], 0 offset:192
	buffer_load_dword v106, off, s[0:3], 0 offset:196
	v_cmp_gt_u32_e32 vcc, 24, v0
	s_waitcnt vmcnt(0)
	ds_write_b64 v104, v[105:106]
	s_waitcnt lgkmcnt(0)
	; wave barrier
	s_and_saveexec_b64 s[4:5], vcc
	s_cbranch_execz .LBB49_111
; %bb.108:
	v_add_u32_e32 v105, -1, v0
	v_add_u32_e32 v106, 0x190, v103
	v_mov_b32_e32 v107, v103
	v_mov_b32_e32 v102, 0
	s_mov_b64 s[8:9], 0
	v_mov_b32_e32 v108, 0
.LBB49_109:                             ; =>This Inner Loop Header: Depth=1
	buffer_load_dword v111, v107, s[0:3], 0 offen offset:4
	buffer_load_dword v112, v107, s[0:3], 0 offen
	ds_read_b64 v[109:110], v106
	v_add_u32_e32 v105, 1, v105
	v_cmp_lt_u32_e32 vcc, 22, v105
	v_add_u32_e32 v106, 8, v106
	v_add_u32_e32 v107, 8, v107
	s_or_b64 s[8:9], vcc, s[8:9]
	s_waitcnt vmcnt(1) lgkmcnt(0)
	v_mul_f32_e32 v113, v110, v111
	v_mul_f32_e32 v111, v109, v111
	s_waitcnt vmcnt(0)
	v_fma_f32 v109, v109, v112, -v113
	v_fmac_f32_e32 v111, v110, v112
	v_add_f32_e32 v108, v108, v109
	v_add_f32_e32 v102, v102, v111
	s_andn2_b64 exec, exec, s[8:9]
	s_cbranch_execnz .LBB49_109
; %bb.110:
	s_or_b64 exec, exec, s[8:9]
	v_mov_b32_e32 v105, 0
	ds_read_b64 v[105:106], v105 offset:192
	s_waitcnt lgkmcnt(0)
	v_mul_f32_e32 v107, v102, v106
	v_mul_f32_e32 v106, v108, v106
	v_fma_f32 v107, v108, v105, -v107
	v_fmac_f32_e32 v106, v102, v105
	buffer_store_dword v107, off, s[0:3], 0 offset:192
	buffer_store_dword v106, off, s[0:3], 0 offset:196
.LBB49_111:
	s_or_b64 exec, exec, s[4:5]
	; wave barrier
	buffer_load_dword v105, off, s[0:3], 0 offset:200
	buffer_load_dword v106, off, s[0:3], 0 offset:204
	v_cmp_gt_u32_e32 vcc, 25, v0
	s_waitcnt vmcnt(0)
	ds_write_b64 v104, v[105:106]
	s_waitcnt lgkmcnt(0)
	; wave barrier
	s_and_saveexec_b64 s[4:5], vcc
	s_cbranch_execz .LBB49_115
; %bb.112:
	v_add_u32_e32 v105, -1, v0
	v_add_u32_e32 v106, 0x190, v103
	v_mov_b32_e32 v107, v103
	v_mov_b32_e32 v102, 0
	s_mov_b64 s[8:9], 0
	v_mov_b32_e32 v108, 0
.LBB49_113:                             ; =>This Inner Loop Header: Depth=1
	buffer_load_dword v111, v107, s[0:3], 0 offen offset:4
	buffer_load_dword v112, v107, s[0:3], 0 offen
	ds_read_b64 v[109:110], v106
	v_add_u32_e32 v105, 1, v105
	v_cmp_lt_u32_e32 vcc, 23, v105
	v_add_u32_e32 v106, 8, v106
	v_add_u32_e32 v107, 8, v107
	s_or_b64 s[8:9], vcc, s[8:9]
	s_waitcnt vmcnt(1) lgkmcnt(0)
	v_mul_f32_e32 v113, v110, v111
	v_mul_f32_e32 v111, v109, v111
	s_waitcnt vmcnt(0)
	v_fma_f32 v109, v109, v112, -v113
	v_fmac_f32_e32 v111, v110, v112
	v_add_f32_e32 v108, v108, v109
	v_add_f32_e32 v102, v102, v111
	s_andn2_b64 exec, exec, s[8:9]
	s_cbranch_execnz .LBB49_113
; %bb.114:
	s_or_b64 exec, exec, s[8:9]
	v_mov_b32_e32 v105, 0
	ds_read_b64 v[105:106], v105 offset:200
	s_waitcnt lgkmcnt(0)
	v_mul_f32_e32 v107, v102, v106
	v_mul_f32_e32 v106, v108, v106
	v_fma_f32 v107, v108, v105, -v107
	v_fmac_f32_e32 v106, v102, v105
	buffer_store_dword v107, off, s[0:3], 0 offset:200
	buffer_store_dword v106, off, s[0:3], 0 offset:204
.LBB49_115:
	s_or_b64 exec, exec, s[4:5]
	; wave barrier
	buffer_load_dword v105, off, s[0:3], 0 offset:208
	buffer_load_dword v106, off, s[0:3], 0 offset:212
	v_cmp_gt_u32_e32 vcc, 26, v0
	s_waitcnt vmcnt(0)
	ds_write_b64 v104, v[105:106]
	s_waitcnt lgkmcnt(0)
	; wave barrier
	s_and_saveexec_b64 s[4:5], vcc
	s_cbranch_execz .LBB49_119
; %bb.116:
	v_add_u32_e32 v105, -1, v0
	v_add_u32_e32 v106, 0x190, v103
	v_mov_b32_e32 v107, v103
	v_mov_b32_e32 v102, 0
	s_mov_b64 s[8:9], 0
	v_mov_b32_e32 v108, 0
.LBB49_117:                             ; =>This Inner Loop Header: Depth=1
	buffer_load_dword v111, v107, s[0:3], 0 offen offset:4
	buffer_load_dword v112, v107, s[0:3], 0 offen
	ds_read_b64 v[109:110], v106
	v_add_u32_e32 v105, 1, v105
	v_cmp_lt_u32_e32 vcc, 24, v105
	v_add_u32_e32 v106, 8, v106
	v_add_u32_e32 v107, 8, v107
	s_or_b64 s[8:9], vcc, s[8:9]
	s_waitcnt vmcnt(1) lgkmcnt(0)
	v_mul_f32_e32 v113, v110, v111
	v_mul_f32_e32 v111, v109, v111
	s_waitcnt vmcnt(0)
	v_fma_f32 v109, v109, v112, -v113
	v_fmac_f32_e32 v111, v110, v112
	v_add_f32_e32 v108, v108, v109
	v_add_f32_e32 v102, v102, v111
	s_andn2_b64 exec, exec, s[8:9]
	s_cbranch_execnz .LBB49_117
; %bb.118:
	s_or_b64 exec, exec, s[8:9]
	v_mov_b32_e32 v105, 0
	ds_read_b64 v[105:106], v105 offset:208
	s_waitcnt lgkmcnt(0)
	v_mul_f32_e32 v107, v102, v106
	v_mul_f32_e32 v106, v108, v106
	v_fma_f32 v107, v108, v105, -v107
	v_fmac_f32_e32 v106, v102, v105
	buffer_store_dword v107, off, s[0:3], 0 offset:208
	buffer_store_dword v106, off, s[0:3], 0 offset:212
.LBB49_119:
	s_or_b64 exec, exec, s[4:5]
	; wave barrier
	buffer_load_dword v105, off, s[0:3], 0 offset:216
	buffer_load_dword v106, off, s[0:3], 0 offset:220
	v_cmp_gt_u32_e32 vcc, 27, v0
	s_waitcnt vmcnt(0)
	ds_write_b64 v104, v[105:106]
	s_waitcnt lgkmcnt(0)
	; wave barrier
	s_and_saveexec_b64 s[4:5], vcc
	s_cbranch_execz .LBB49_123
; %bb.120:
	v_add_u32_e32 v105, -1, v0
	v_add_u32_e32 v106, 0x190, v103
	v_mov_b32_e32 v107, v103
	v_mov_b32_e32 v102, 0
	s_mov_b64 s[8:9], 0
	v_mov_b32_e32 v108, 0
.LBB49_121:                             ; =>This Inner Loop Header: Depth=1
	buffer_load_dword v111, v107, s[0:3], 0 offen offset:4
	buffer_load_dword v112, v107, s[0:3], 0 offen
	ds_read_b64 v[109:110], v106
	v_add_u32_e32 v105, 1, v105
	v_cmp_lt_u32_e32 vcc, 25, v105
	v_add_u32_e32 v106, 8, v106
	v_add_u32_e32 v107, 8, v107
	s_or_b64 s[8:9], vcc, s[8:9]
	s_waitcnt vmcnt(1) lgkmcnt(0)
	v_mul_f32_e32 v113, v110, v111
	v_mul_f32_e32 v111, v109, v111
	s_waitcnt vmcnt(0)
	v_fma_f32 v109, v109, v112, -v113
	v_fmac_f32_e32 v111, v110, v112
	v_add_f32_e32 v108, v108, v109
	v_add_f32_e32 v102, v102, v111
	s_andn2_b64 exec, exec, s[8:9]
	s_cbranch_execnz .LBB49_121
; %bb.122:
	s_or_b64 exec, exec, s[8:9]
	v_mov_b32_e32 v105, 0
	ds_read_b64 v[105:106], v105 offset:216
	s_waitcnt lgkmcnt(0)
	v_mul_f32_e32 v107, v102, v106
	v_mul_f32_e32 v106, v108, v106
	v_fma_f32 v107, v108, v105, -v107
	v_fmac_f32_e32 v106, v102, v105
	buffer_store_dword v107, off, s[0:3], 0 offset:216
	buffer_store_dword v106, off, s[0:3], 0 offset:220
.LBB49_123:
	s_or_b64 exec, exec, s[4:5]
	; wave barrier
	buffer_load_dword v105, off, s[0:3], 0 offset:224
	buffer_load_dword v106, off, s[0:3], 0 offset:228
	v_cmp_gt_u32_e32 vcc, 28, v0
	s_waitcnt vmcnt(0)
	ds_write_b64 v104, v[105:106]
	s_waitcnt lgkmcnt(0)
	; wave barrier
	s_and_saveexec_b64 s[4:5], vcc
	s_cbranch_execz .LBB49_127
; %bb.124:
	v_add_u32_e32 v105, -1, v0
	v_add_u32_e32 v106, 0x190, v103
	v_mov_b32_e32 v107, v103
	v_mov_b32_e32 v102, 0
	s_mov_b64 s[8:9], 0
	v_mov_b32_e32 v108, 0
.LBB49_125:                             ; =>This Inner Loop Header: Depth=1
	buffer_load_dword v111, v107, s[0:3], 0 offen offset:4
	buffer_load_dword v112, v107, s[0:3], 0 offen
	ds_read_b64 v[109:110], v106
	v_add_u32_e32 v105, 1, v105
	v_cmp_lt_u32_e32 vcc, 26, v105
	v_add_u32_e32 v106, 8, v106
	v_add_u32_e32 v107, 8, v107
	s_or_b64 s[8:9], vcc, s[8:9]
	s_waitcnt vmcnt(1) lgkmcnt(0)
	v_mul_f32_e32 v113, v110, v111
	v_mul_f32_e32 v111, v109, v111
	s_waitcnt vmcnt(0)
	v_fma_f32 v109, v109, v112, -v113
	v_fmac_f32_e32 v111, v110, v112
	v_add_f32_e32 v108, v108, v109
	v_add_f32_e32 v102, v102, v111
	s_andn2_b64 exec, exec, s[8:9]
	s_cbranch_execnz .LBB49_125
; %bb.126:
	s_or_b64 exec, exec, s[8:9]
	v_mov_b32_e32 v105, 0
	ds_read_b64 v[105:106], v105 offset:224
	s_waitcnt lgkmcnt(0)
	v_mul_f32_e32 v107, v102, v106
	v_mul_f32_e32 v106, v108, v106
	v_fma_f32 v107, v108, v105, -v107
	v_fmac_f32_e32 v106, v102, v105
	buffer_store_dword v107, off, s[0:3], 0 offset:224
	buffer_store_dword v106, off, s[0:3], 0 offset:228
.LBB49_127:
	s_or_b64 exec, exec, s[4:5]
	; wave barrier
	buffer_load_dword v105, off, s[0:3], 0 offset:232
	buffer_load_dword v106, off, s[0:3], 0 offset:236
	v_cmp_gt_u32_e32 vcc, 29, v0
	s_waitcnt vmcnt(0)
	ds_write_b64 v104, v[105:106]
	s_waitcnt lgkmcnt(0)
	; wave barrier
	s_and_saveexec_b64 s[4:5], vcc
	s_cbranch_execz .LBB49_131
; %bb.128:
	v_add_u32_e32 v105, -1, v0
	v_add_u32_e32 v106, 0x190, v103
	v_mov_b32_e32 v107, v103
	v_mov_b32_e32 v102, 0
	s_mov_b64 s[8:9], 0
	v_mov_b32_e32 v108, 0
.LBB49_129:                             ; =>This Inner Loop Header: Depth=1
	buffer_load_dword v111, v107, s[0:3], 0 offen offset:4
	buffer_load_dword v112, v107, s[0:3], 0 offen
	ds_read_b64 v[109:110], v106
	v_add_u32_e32 v105, 1, v105
	v_cmp_lt_u32_e32 vcc, 27, v105
	v_add_u32_e32 v106, 8, v106
	v_add_u32_e32 v107, 8, v107
	s_or_b64 s[8:9], vcc, s[8:9]
	s_waitcnt vmcnt(1) lgkmcnt(0)
	v_mul_f32_e32 v113, v110, v111
	v_mul_f32_e32 v111, v109, v111
	s_waitcnt vmcnt(0)
	v_fma_f32 v109, v109, v112, -v113
	v_fmac_f32_e32 v111, v110, v112
	v_add_f32_e32 v108, v108, v109
	v_add_f32_e32 v102, v102, v111
	s_andn2_b64 exec, exec, s[8:9]
	s_cbranch_execnz .LBB49_129
; %bb.130:
	s_or_b64 exec, exec, s[8:9]
	v_mov_b32_e32 v105, 0
	ds_read_b64 v[105:106], v105 offset:232
	s_waitcnt lgkmcnt(0)
	v_mul_f32_e32 v107, v102, v106
	v_mul_f32_e32 v106, v108, v106
	v_fma_f32 v107, v108, v105, -v107
	v_fmac_f32_e32 v106, v102, v105
	buffer_store_dword v107, off, s[0:3], 0 offset:232
	buffer_store_dword v106, off, s[0:3], 0 offset:236
.LBB49_131:
	s_or_b64 exec, exec, s[4:5]
	; wave barrier
	buffer_load_dword v105, off, s[0:3], 0 offset:240
	buffer_load_dword v106, off, s[0:3], 0 offset:244
	v_cmp_gt_u32_e32 vcc, 30, v0
	s_waitcnt vmcnt(0)
	ds_write_b64 v104, v[105:106]
	s_waitcnt lgkmcnt(0)
	; wave barrier
	s_and_saveexec_b64 s[4:5], vcc
	s_cbranch_execz .LBB49_135
; %bb.132:
	v_add_u32_e32 v105, -1, v0
	v_add_u32_e32 v106, 0x190, v103
	v_mov_b32_e32 v107, v103
	v_mov_b32_e32 v102, 0
	s_mov_b64 s[8:9], 0
	v_mov_b32_e32 v108, 0
.LBB49_133:                             ; =>This Inner Loop Header: Depth=1
	buffer_load_dword v111, v107, s[0:3], 0 offen offset:4
	buffer_load_dword v112, v107, s[0:3], 0 offen
	ds_read_b64 v[109:110], v106
	v_add_u32_e32 v105, 1, v105
	v_cmp_lt_u32_e32 vcc, 28, v105
	v_add_u32_e32 v106, 8, v106
	v_add_u32_e32 v107, 8, v107
	s_or_b64 s[8:9], vcc, s[8:9]
	s_waitcnt vmcnt(1) lgkmcnt(0)
	v_mul_f32_e32 v113, v110, v111
	v_mul_f32_e32 v111, v109, v111
	s_waitcnt vmcnt(0)
	v_fma_f32 v109, v109, v112, -v113
	v_fmac_f32_e32 v111, v110, v112
	v_add_f32_e32 v108, v108, v109
	v_add_f32_e32 v102, v102, v111
	s_andn2_b64 exec, exec, s[8:9]
	s_cbranch_execnz .LBB49_133
; %bb.134:
	s_or_b64 exec, exec, s[8:9]
	v_mov_b32_e32 v105, 0
	ds_read_b64 v[105:106], v105 offset:240
	s_waitcnt lgkmcnt(0)
	v_mul_f32_e32 v107, v102, v106
	v_mul_f32_e32 v106, v108, v106
	v_fma_f32 v107, v108, v105, -v107
	v_fmac_f32_e32 v106, v102, v105
	buffer_store_dword v107, off, s[0:3], 0 offset:240
	buffer_store_dword v106, off, s[0:3], 0 offset:244
.LBB49_135:
	s_or_b64 exec, exec, s[4:5]
	; wave barrier
	buffer_load_dword v105, off, s[0:3], 0 offset:248
	buffer_load_dword v106, off, s[0:3], 0 offset:252
	v_cmp_gt_u32_e32 vcc, 31, v0
	s_waitcnt vmcnt(0)
	ds_write_b64 v104, v[105:106]
	s_waitcnt lgkmcnt(0)
	; wave barrier
	s_and_saveexec_b64 s[4:5], vcc
	s_cbranch_execz .LBB49_139
; %bb.136:
	v_add_u32_e32 v105, -1, v0
	v_add_u32_e32 v106, 0x190, v103
	v_mov_b32_e32 v107, v103
	v_mov_b32_e32 v102, 0
	s_mov_b64 s[8:9], 0
	v_mov_b32_e32 v108, 0
.LBB49_137:                             ; =>This Inner Loop Header: Depth=1
	buffer_load_dword v111, v107, s[0:3], 0 offen offset:4
	buffer_load_dword v112, v107, s[0:3], 0 offen
	ds_read_b64 v[109:110], v106
	v_add_u32_e32 v105, 1, v105
	v_cmp_lt_u32_e32 vcc, 29, v105
	v_add_u32_e32 v106, 8, v106
	v_add_u32_e32 v107, 8, v107
	s_or_b64 s[8:9], vcc, s[8:9]
	s_waitcnt vmcnt(1) lgkmcnt(0)
	v_mul_f32_e32 v113, v110, v111
	v_mul_f32_e32 v111, v109, v111
	s_waitcnt vmcnt(0)
	v_fma_f32 v109, v109, v112, -v113
	v_fmac_f32_e32 v111, v110, v112
	v_add_f32_e32 v108, v108, v109
	v_add_f32_e32 v102, v102, v111
	s_andn2_b64 exec, exec, s[8:9]
	s_cbranch_execnz .LBB49_137
; %bb.138:
	s_or_b64 exec, exec, s[8:9]
	v_mov_b32_e32 v105, 0
	ds_read_b64 v[105:106], v105 offset:248
	s_waitcnt lgkmcnt(0)
	v_mul_f32_e32 v107, v102, v106
	v_mul_f32_e32 v106, v108, v106
	v_fma_f32 v107, v108, v105, -v107
	v_fmac_f32_e32 v106, v102, v105
	buffer_store_dword v107, off, s[0:3], 0 offset:248
	buffer_store_dword v106, off, s[0:3], 0 offset:252
.LBB49_139:
	s_or_b64 exec, exec, s[4:5]
	; wave barrier
	buffer_load_dword v105, off, s[0:3], 0 offset:256
	buffer_load_dword v106, off, s[0:3], 0 offset:260
	v_cmp_gt_u32_e32 vcc, 32, v0
	s_waitcnt vmcnt(0)
	ds_write_b64 v104, v[105:106]
	s_waitcnt lgkmcnt(0)
	; wave barrier
	s_and_saveexec_b64 s[4:5], vcc
	s_cbranch_execz .LBB49_143
; %bb.140:
	v_add_u32_e32 v105, -1, v0
	v_add_u32_e32 v106, 0x190, v103
	v_mov_b32_e32 v107, v103
	v_mov_b32_e32 v102, 0
	s_mov_b64 s[8:9], 0
	v_mov_b32_e32 v108, 0
.LBB49_141:                             ; =>This Inner Loop Header: Depth=1
	buffer_load_dword v111, v107, s[0:3], 0 offen offset:4
	buffer_load_dword v112, v107, s[0:3], 0 offen
	ds_read_b64 v[109:110], v106
	v_add_u32_e32 v105, 1, v105
	v_cmp_lt_u32_e32 vcc, 30, v105
	v_add_u32_e32 v106, 8, v106
	v_add_u32_e32 v107, 8, v107
	s_or_b64 s[8:9], vcc, s[8:9]
	s_waitcnt vmcnt(1) lgkmcnt(0)
	v_mul_f32_e32 v113, v110, v111
	v_mul_f32_e32 v111, v109, v111
	s_waitcnt vmcnt(0)
	v_fma_f32 v109, v109, v112, -v113
	v_fmac_f32_e32 v111, v110, v112
	v_add_f32_e32 v108, v108, v109
	v_add_f32_e32 v102, v102, v111
	s_andn2_b64 exec, exec, s[8:9]
	s_cbranch_execnz .LBB49_141
; %bb.142:
	s_or_b64 exec, exec, s[8:9]
	v_mov_b32_e32 v105, 0
	ds_read_b64 v[105:106], v105 offset:256
	s_waitcnt lgkmcnt(0)
	v_mul_f32_e32 v107, v102, v106
	v_mul_f32_e32 v106, v108, v106
	v_fma_f32 v107, v108, v105, -v107
	v_fmac_f32_e32 v106, v102, v105
	buffer_store_dword v107, off, s[0:3], 0 offset:256
	buffer_store_dword v106, off, s[0:3], 0 offset:260
.LBB49_143:
	s_or_b64 exec, exec, s[4:5]
	; wave barrier
	buffer_load_dword v105, off, s[0:3], 0 offset:264
	buffer_load_dword v106, off, s[0:3], 0 offset:268
	v_cmp_gt_u32_e32 vcc, 33, v0
	s_waitcnt vmcnt(0)
	ds_write_b64 v104, v[105:106]
	s_waitcnt lgkmcnt(0)
	; wave barrier
	s_and_saveexec_b64 s[4:5], vcc
	s_cbranch_execz .LBB49_147
; %bb.144:
	v_add_u32_e32 v105, -1, v0
	v_add_u32_e32 v106, 0x190, v103
	v_mov_b32_e32 v107, v103
	v_mov_b32_e32 v102, 0
	s_mov_b64 s[8:9], 0
	v_mov_b32_e32 v108, 0
.LBB49_145:                             ; =>This Inner Loop Header: Depth=1
	buffer_load_dword v111, v107, s[0:3], 0 offen offset:4
	buffer_load_dword v112, v107, s[0:3], 0 offen
	ds_read_b64 v[109:110], v106
	v_add_u32_e32 v105, 1, v105
	v_cmp_lt_u32_e32 vcc, 31, v105
	v_add_u32_e32 v106, 8, v106
	v_add_u32_e32 v107, 8, v107
	s_or_b64 s[8:9], vcc, s[8:9]
	s_waitcnt vmcnt(1) lgkmcnt(0)
	v_mul_f32_e32 v113, v110, v111
	v_mul_f32_e32 v111, v109, v111
	s_waitcnt vmcnt(0)
	v_fma_f32 v109, v109, v112, -v113
	v_fmac_f32_e32 v111, v110, v112
	v_add_f32_e32 v108, v108, v109
	v_add_f32_e32 v102, v102, v111
	s_andn2_b64 exec, exec, s[8:9]
	s_cbranch_execnz .LBB49_145
; %bb.146:
	s_or_b64 exec, exec, s[8:9]
	v_mov_b32_e32 v105, 0
	ds_read_b64 v[105:106], v105 offset:264
	s_waitcnt lgkmcnt(0)
	v_mul_f32_e32 v107, v102, v106
	v_mul_f32_e32 v106, v108, v106
	v_fma_f32 v107, v108, v105, -v107
	v_fmac_f32_e32 v106, v102, v105
	buffer_store_dword v107, off, s[0:3], 0 offset:264
	buffer_store_dword v106, off, s[0:3], 0 offset:268
.LBB49_147:
	s_or_b64 exec, exec, s[4:5]
	; wave barrier
	buffer_load_dword v105, off, s[0:3], 0 offset:272
	buffer_load_dword v106, off, s[0:3], 0 offset:276
	v_cmp_gt_u32_e32 vcc, 34, v0
	s_waitcnt vmcnt(0)
	ds_write_b64 v104, v[105:106]
	s_waitcnt lgkmcnt(0)
	; wave barrier
	s_and_saveexec_b64 s[4:5], vcc
	s_cbranch_execz .LBB49_151
; %bb.148:
	v_add_u32_e32 v105, -1, v0
	v_add_u32_e32 v106, 0x190, v103
	v_mov_b32_e32 v107, v103
	v_mov_b32_e32 v102, 0
	s_mov_b64 s[8:9], 0
	v_mov_b32_e32 v108, 0
.LBB49_149:                             ; =>This Inner Loop Header: Depth=1
	buffer_load_dword v111, v107, s[0:3], 0 offen offset:4
	buffer_load_dword v112, v107, s[0:3], 0 offen
	ds_read_b64 v[109:110], v106
	v_add_u32_e32 v105, 1, v105
	v_cmp_lt_u32_e32 vcc, 32, v105
	v_add_u32_e32 v106, 8, v106
	v_add_u32_e32 v107, 8, v107
	s_or_b64 s[8:9], vcc, s[8:9]
	s_waitcnt vmcnt(1) lgkmcnt(0)
	v_mul_f32_e32 v113, v110, v111
	v_mul_f32_e32 v111, v109, v111
	s_waitcnt vmcnt(0)
	v_fma_f32 v109, v109, v112, -v113
	v_fmac_f32_e32 v111, v110, v112
	v_add_f32_e32 v108, v108, v109
	v_add_f32_e32 v102, v102, v111
	s_andn2_b64 exec, exec, s[8:9]
	s_cbranch_execnz .LBB49_149
; %bb.150:
	s_or_b64 exec, exec, s[8:9]
	v_mov_b32_e32 v105, 0
	ds_read_b64 v[105:106], v105 offset:272
	s_waitcnt lgkmcnt(0)
	v_mul_f32_e32 v107, v102, v106
	v_mul_f32_e32 v106, v108, v106
	v_fma_f32 v107, v108, v105, -v107
	v_fmac_f32_e32 v106, v102, v105
	buffer_store_dword v107, off, s[0:3], 0 offset:272
	buffer_store_dword v106, off, s[0:3], 0 offset:276
.LBB49_151:
	s_or_b64 exec, exec, s[4:5]
	; wave barrier
	buffer_load_dword v105, off, s[0:3], 0 offset:280
	buffer_load_dword v106, off, s[0:3], 0 offset:284
	v_cmp_gt_u32_e32 vcc, 35, v0
	s_waitcnt vmcnt(0)
	ds_write_b64 v104, v[105:106]
	s_waitcnt lgkmcnt(0)
	; wave barrier
	s_and_saveexec_b64 s[4:5], vcc
	s_cbranch_execz .LBB49_155
; %bb.152:
	v_add_u32_e32 v105, -1, v0
	v_add_u32_e32 v106, 0x190, v103
	v_mov_b32_e32 v107, v103
	v_mov_b32_e32 v102, 0
	s_mov_b64 s[8:9], 0
	v_mov_b32_e32 v108, 0
.LBB49_153:                             ; =>This Inner Loop Header: Depth=1
	buffer_load_dword v111, v107, s[0:3], 0 offen offset:4
	buffer_load_dword v112, v107, s[0:3], 0 offen
	ds_read_b64 v[109:110], v106
	v_add_u32_e32 v105, 1, v105
	v_cmp_lt_u32_e32 vcc, 33, v105
	v_add_u32_e32 v106, 8, v106
	v_add_u32_e32 v107, 8, v107
	s_or_b64 s[8:9], vcc, s[8:9]
	s_waitcnt vmcnt(1) lgkmcnt(0)
	v_mul_f32_e32 v113, v110, v111
	v_mul_f32_e32 v111, v109, v111
	s_waitcnt vmcnt(0)
	v_fma_f32 v109, v109, v112, -v113
	v_fmac_f32_e32 v111, v110, v112
	v_add_f32_e32 v108, v108, v109
	v_add_f32_e32 v102, v102, v111
	s_andn2_b64 exec, exec, s[8:9]
	s_cbranch_execnz .LBB49_153
; %bb.154:
	s_or_b64 exec, exec, s[8:9]
	v_mov_b32_e32 v105, 0
	ds_read_b64 v[105:106], v105 offset:280
	s_waitcnt lgkmcnt(0)
	v_mul_f32_e32 v107, v102, v106
	v_mul_f32_e32 v106, v108, v106
	v_fma_f32 v107, v108, v105, -v107
	v_fmac_f32_e32 v106, v102, v105
	buffer_store_dword v107, off, s[0:3], 0 offset:280
	buffer_store_dword v106, off, s[0:3], 0 offset:284
.LBB49_155:
	s_or_b64 exec, exec, s[4:5]
	; wave barrier
	buffer_load_dword v105, off, s[0:3], 0 offset:288
	buffer_load_dword v106, off, s[0:3], 0 offset:292
	v_cmp_gt_u32_e32 vcc, 36, v0
	s_waitcnt vmcnt(0)
	ds_write_b64 v104, v[105:106]
	s_waitcnt lgkmcnt(0)
	; wave barrier
	s_and_saveexec_b64 s[4:5], vcc
	s_cbranch_execz .LBB49_159
; %bb.156:
	v_add_u32_e32 v105, -1, v0
	v_add_u32_e32 v106, 0x190, v103
	v_mov_b32_e32 v107, v103
	v_mov_b32_e32 v102, 0
	s_mov_b64 s[8:9], 0
	v_mov_b32_e32 v108, 0
.LBB49_157:                             ; =>This Inner Loop Header: Depth=1
	buffer_load_dword v111, v107, s[0:3], 0 offen offset:4
	buffer_load_dword v112, v107, s[0:3], 0 offen
	ds_read_b64 v[109:110], v106
	v_add_u32_e32 v105, 1, v105
	v_cmp_lt_u32_e32 vcc, 34, v105
	v_add_u32_e32 v106, 8, v106
	v_add_u32_e32 v107, 8, v107
	s_or_b64 s[8:9], vcc, s[8:9]
	s_waitcnt vmcnt(1) lgkmcnt(0)
	v_mul_f32_e32 v113, v110, v111
	v_mul_f32_e32 v111, v109, v111
	s_waitcnt vmcnt(0)
	v_fma_f32 v109, v109, v112, -v113
	v_fmac_f32_e32 v111, v110, v112
	v_add_f32_e32 v108, v108, v109
	v_add_f32_e32 v102, v102, v111
	s_andn2_b64 exec, exec, s[8:9]
	s_cbranch_execnz .LBB49_157
; %bb.158:
	s_or_b64 exec, exec, s[8:9]
	v_mov_b32_e32 v105, 0
	ds_read_b64 v[105:106], v105 offset:288
	s_waitcnt lgkmcnt(0)
	v_mul_f32_e32 v107, v102, v106
	v_mul_f32_e32 v106, v108, v106
	v_fma_f32 v107, v108, v105, -v107
	v_fmac_f32_e32 v106, v102, v105
	buffer_store_dword v107, off, s[0:3], 0 offset:288
	buffer_store_dword v106, off, s[0:3], 0 offset:292
.LBB49_159:
	s_or_b64 exec, exec, s[4:5]
	; wave barrier
	buffer_load_dword v105, off, s[0:3], 0 offset:296
	buffer_load_dword v106, off, s[0:3], 0 offset:300
	v_cmp_gt_u32_e32 vcc, 37, v0
	s_waitcnt vmcnt(0)
	ds_write_b64 v104, v[105:106]
	s_waitcnt lgkmcnt(0)
	; wave barrier
	s_and_saveexec_b64 s[4:5], vcc
	s_cbranch_execz .LBB49_163
; %bb.160:
	v_add_u32_e32 v105, -1, v0
	v_add_u32_e32 v106, 0x190, v103
	v_mov_b32_e32 v107, v103
	v_mov_b32_e32 v102, 0
	s_mov_b64 s[8:9], 0
	v_mov_b32_e32 v108, 0
.LBB49_161:                             ; =>This Inner Loop Header: Depth=1
	buffer_load_dword v111, v107, s[0:3], 0 offen offset:4
	buffer_load_dword v112, v107, s[0:3], 0 offen
	ds_read_b64 v[109:110], v106
	v_add_u32_e32 v105, 1, v105
	v_cmp_lt_u32_e32 vcc, 35, v105
	v_add_u32_e32 v106, 8, v106
	v_add_u32_e32 v107, 8, v107
	s_or_b64 s[8:9], vcc, s[8:9]
	s_waitcnt vmcnt(1) lgkmcnt(0)
	v_mul_f32_e32 v113, v110, v111
	v_mul_f32_e32 v111, v109, v111
	s_waitcnt vmcnt(0)
	v_fma_f32 v109, v109, v112, -v113
	v_fmac_f32_e32 v111, v110, v112
	v_add_f32_e32 v108, v108, v109
	v_add_f32_e32 v102, v102, v111
	s_andn2_b64 exec, exec, s[8:9]
	s_cbranch_execnz .LBB49_161
; %bb.162:
	s_or_b64 exec, exec, s[8:9]
	v_mov_b32_e32 v105, 0
	ds_read_b64 v[105:106], v105 offset:296
	s_waitcnt lgkmcnt(0)
	v_mul_f32_e32 v107, v102, v106
	v_mul_f32_e32 v106, v108, v106
	v_fma_f32 v107, v108, v105, -v107
	v_fmac_f32_e32 v106, v102, v105
	buffer_store_dword v107, off, s[0:3], 0 offset:296
	buffer_store_dword v106, off, s[0:3], 0 offset:300
.LBB49_163:
	s_or_b64 exec, exec, s[4:5]
	; wave barrier
	buffer_load_dword v105, off, s[0:3], 0 offset:304
	buffer_load_dword v106, off, s[0:3], 0 offset:308
	v_cmp_gt_u32_e32 vcc, 38, v0
	s_waitcnt vmcnt(0)
	ds_write_b64 v104, v[105:106]
	s_waitcnt lgkmcnt(0)
	; wave barrier
	s_and_saveexec_b64 s[4:5], vcc
	s_cbranch_execz .LBB49_167
; %bb.164:
	v_add_u32_e32 v105, -1, v0
	v_add_u32_e32 v106, 0x190, v103
	v_mov_b32_e32 v107, v103
	v_mov_b32_e32 v102, 0
	s_mov_b64 s[8:9], 0
	v_mov_b32_e32 v108, 0
.LBB49_165:                             ; =>This Inner Loop Header: Depth=1
	buffer_load_dword v111, v107, s[0:3], 0 offen offset:4
	buffer_load_dword v112, v107, s[0:3], 0 offen
	ds_read_b64 v[109:110], v106
	v_add_u32_e32 v105, 1, v105
	v_cmp_lt_u32_e32 vcc, 36, v105
	v_add_u32_e32 v106, 8, v106
	v_add_u32_e32 v107, 8, v107
	s_or_b64 s[8:9], vcc, s[8:9]
	s_waitcnt vmcnt(1) lgkmcnt(0)
	v_mul_f32_e32 v113, v110, v111
	v_mul_f32_e32 v111, v109, v111
	s_waitcnt vmcnt(0)
	v_fma_f32 v109, v109, v112, -v113
	v_fmac_f32_e32 v111, v110, v112
	v_add_f32_e32 v108, v108, v109
	v_add_f32_e32 v102, v102, v111
	s_andn2_b64 exec, exec, s[8:9]
	s_cbranch_execnz .LBB49_165
; %bb.166:
	s_or_b64 exec, exec, s[8:9]
	v_mov_b32_e32 v105, 0
	ds_read_b64 v[105:106], v105 offset:304
	s_waitcnt lgkmcnt(0)
	v_mul_f32_e32 v107, v102, v106
	v_mul_f32_e32 v106, v108, v106
	v_fma_f32 v107, v108, v105, -v107
	v_fmac_f32_e32 v106, v102, v105
	buffer_store_dword v107, off, s[0:3], 0 offset:304
	buffer_store_dword v106, off, s[0:3], 0 offset:308
.LBB49_167:
	s_or_b64 exec, exec, s[4:5]
	; wave barrier
	buffer_load_dword v105, off, s[0:3], 0 offset:312
	buffer_load_dword v106, off, s[0:3], 0 offset:316
	v_cmp_gt_u32_e32 vcc, 39, v0
	s_waitcnt vmcnt(0)
	ds_write_b64 v104, v[105:106]
	s_waitcnt lgkmcnt(0)
	; wave barrier
	s_and_saveexec_b64 s[4:5], vcc
	s_cbranch_execz .LBB49_171
; %bb.168:
	v_add_u32_e32 v105, -1, v0
	v_add_u32_e32 v106, 0x190, v103
	v_mov_b32_e32 v107, v103
	v_mov_b32_e32 v102, 0
	s_mov_b64 s[8:9], 0
	v_mov_b32_e32 v108, 0
.LBB49_169:                             ; =>This Inner Loop Header: Depth=1
	buffer_load_dword v111, v107, s[0:3], 0 offen offset:4
	buffer_load_dword v112, v107, s[0:3], 0 offen
	ds_read_b64 v[109:110], v106
	v_add_u32_e32 v105, 1, v105
	v_cmp_lt_u32_e32 vcc, 37, v105
	v_add_u32_e32 v106, 8, v106
	v_add_u32_e32 v107, 8, v107
	s_or_b64 s[8:9], vcc, s[8:9]
	s_waitcnt vmcnt(1) lgkmcnt(0)
	v_mul_f32_e32 v113, v110, v111
	v_mul_f32_e32 v111, v109, v111
	s_waitcnt vmcnt(0)
	v_fma_f32 v109, v109, v112, -v113
	v_fmac_f32_e32 v111, v110, v112
	v_add_f32_e32 v108, v108, v109
	v_add_f32_e32 v102, v102, v111
	s_andn2_b64 exec, exec, s[8:9]
	s_cbranch_execnz .LBB49_169
; %bb.170:
	s_or_b64 exec, exec, s[8:9]
	v_mov_b32_e32 v105, 0
	ds_read_b64 v[105:106], v105 offset:312
	s_waitcnt lgkmcnt(0)
	v_mul_f32_e32 v107, v102, v106
	v_mul_f32_e32 v106, v108, v106
	v_fma_f32 v107, v108, v105, -v107
	v_fmac_f32_e32 v106, v102, v105
	buffer_store_dword v107, off, s[0:3], 0 offset:312
	buffer_store_dword v106, off, s[0:3], 0 offset:316
.LBB49_171:
	s_or_b64 exec, exec, s[4:5]
	; wave barrier
	buffer_load_dword v105, off, s[0:3], 0 offset:320
	buffer_load_dword v106, off, s[0:3], 0 offset:324
	v_cmp_gt_u32_e32 vcc, 40, v0
	s_waitcnt vmcnt(0)
	ds_write_b64 v104, v[105:106]
	s_waitcnt lgkmcnt(0)
	; wave barrier
	s_and_saveexec_b64 s[4:5], vcc
	s_cbranch_execz .LBB49_175
; %bb.172:
	v_add_u32_e32 v105, -1, v0
	v_add_u32_e32 v106, 0x190, v103
	v_mov_b32_e32 v107, v103
	v_mov_b32_e32 v102, 0
	s_mov_b64 s[8:9], 0
	v_mov_b32_e32 v108, 0
.LBB49_173:                             ; =>This Inner Loop Header: Depth=1
	buffer_load_dword v111, v107, s[0:3], 0 offen offset:4
	buffer_load_dword v112, v107, s[0:3], 0 offen
	ds_read_b64 v[109:110], v106
	v_add_u32_e32 v105, 1, v105
	v_cmp_lt_u32_e32 vcc, 38, v105
	v_add_u32_e32 v106, 8, v106
	v_add_u32_e32 v107, 8, v107
	s_or_b64 s[8:9], vcc, s[8:9]
	s_waitcnt vmcnt(1) lgkmcnt(0)
	v_mul_f32_e32 v113, v110, v111
	v_mul_f32_e32 v111, v109, v111
	s_waitcnt vmcnt(0)
	v_fma_f32 v109, v109, v112, -v113
	v_fmac_f32_e32 v111, v110, v112
	v_add_f32_e32 v108, v108, v109
	v_add_f32_e32 v102, v102, v111
	s_andn2_b64 exec, exec, s[8:9]
	s_cbranch_execnz .LBB49_173
; %bb.174:
	s_or_b64 exec, exec, s[8:9]
	v_mov_b32_e32 v105, 0
	ds_read_b64 v[105:106], v105 offset:320
	s_waitcnt lgkmcnt(0)
	v_mul_f32_e32 v107, v102, v106
	v_mul_f32_e32 v106, v108, v106
	v_fma_f32 v107, v108, v105, -v107
	v_fmac_f32_e32 v106, v102, v105
	buffer_store_dword v107, off, s[0:3], 0 offset:320
	buffer_store_dword v106, off, s[0:3], 0 offset:324
.LBB49_175:
	s_or_b64 exec, exec, s[4:5]
	; wave barrier
	buffer_load_dword v105, off, s[0:3], 0 offset:328
	buffer_load_dword v106, off, s[0:3], 0 offset:332
	v_cmp_gt_u32_e32 vcc, 41, v0
	s_waitcnt vmcnt(0)
	ds_write_b64 v104, v[105:106]
	s_waitcnt lgkmcnt(0)
	; wave barrier
	s_and_saveexec_b64 s[4:5], vcc
	s_cbranch_execz .LBB49_179
; %bb.176:
	v_add_u32_e32 v105, -1, v0
	v_add_u32_e32 v106, 0x190, v103
	v_mov_b32_e32 v107, v103
	v_mov_b32_e32 v102, 0
	s_mov_b64 s[8:9], 0
	v_mov_b32_e32 v108, 0
.LBB49_177:                             ; =>This Inner Loop Header: Depth=1
	buffer_load_dword v111, v107, s[0:3], 0 offen offset:4
	buffer_load_dword v112, v107, s[0:3], 0 offen
	ds_read_b64 v[109:110], v106
	v_add_u32_e32 v105, 1, v105
	v_cmp_lt_u32_e32 vcc, 39, v105
	v_add_u32_e32 v106, 8, v106
	v_add_u32_e32 v107, 8, v107
	s_or_b64 s[8:9], vcc, s[8:9]
	s_waitcnt vmcnt(1) lgkmcnt(0)
	v_mul_f32_e32 v113, v110, v111
	v_mul_f32_e32 v111, v109, v111
	s_waitcnt vmcnt(0)
	v_fma_f32 v109, v109, v112, -v113
	v_fmac_f32_e32 v111, v110, v112
	v_add_f32_e32 v108, v108, v109
	v_add_f32_e32 v102, v102, v111
	s_andn2_b64 exec, exec, s[8:9]
	s_cbranch_execnz .LBB49_177
; %bb.178:
	s_or_b64 exec, exec, s[8:9]
	v_mov_b32_e32 v105, 0
	ds_read_b64 v[105:106], v105 offset:328
	s_waitcnt lgkmcnt(0)
	v_mul_f32_e32 v107, v102, v106
	v_mul_f32_e32 v106, v108, v106
	v_fma_f32 v107, v108, v105, -v107
	v_fmac_f32_e32 v106, v102, v105
	buffer_store_dword v107, off, s[0:3], 0 offset:328
	buffer_store_dword v106, off, s[0:3], 0 offset:332
.LBB49_179:
	s_or_b64 exec, exec, s[4:5]
	; wave barrier
	buffer_load_dword v105, off, s[0:3], 0 offset:336
	buffer_load_dword v106, off, s[0:3], 0 offset:340
	v_cmp_gt_u32_e32 vcc, 42, v0
	s_waitcnt vmcnt(0)
	ds_write_b64 v104, v[105:106]
	s_waitcnt lgkmcnt(0)
	; wave barrier
	s_and_saveexec_b64 s[4:5], vcc
	s_cbranch_execz .LBB49_183
; %bb.180:
	v_add_u32_e32 v105, -1, v0
	v_add_u32_e32 v106, 0x190, v103
	v_mov_b32_e32 v107, v103
	v_mov_b32_e32 v102, 0
	s_mov_b64 s[8:9], 0
	v_mov_b32_e32 v108, 0
.LBB49_181:                             ; =>This Inner Loop Header: Depth=1
	buffer_load_dword v111, v107, s[0:3], 0 offen offset:4
	buffer_load_dword v112, v107, s[0:3], 0 offen
	ds_read_b64 v[109:110], v106
	v_add_u32_e32 v105, 1, v105
	v_cmp_lt_u32_e32 vcc, 40, v105
	v_add_u32_e32 v106, 8, v106
	v_add_u32_e32 v107, 8, v107
	s_or_b64 s[8:9], vcc, s[8:9]
	s_waitcnt vmcnt(1) lgkmcnt(0)
	v_mul_f32_e32 v113, v110, v111
	v_mul_f32_e32 v111, v109, v111
	s_waitcnt vmcnt(0)
	v_fma_f32 v109, v109, v112, -v113
	v_fmac_f32_e32 v111, v110, v112
	v_add_f32_e32 v108, v108, v109
	v_add_f32_e32 v102, v102, v111
	s_andn2_b64 exec, exec, s[8:9]
	s_cbranch_execnz .LBB49_181
; %bb.182:
	s_or_b64 exec, exec, s[8:9]
	v_mov_b32_e32 v105, 0
	ds_read_b64 v[105:106], v105 offset:336
	s_waitcnt lgkmcnt(0)
	v_mul_f32_e32 v107, v102, v106
	v_mul_f32_e32 v106, v108, v106
	v_fma_f32 v107, v108, v105, -v107
	v_fmac_f32_e32 v106, v102, v105
	buffer_store_dword v107, off, s[0:3], 0 offset:336
	buffer_store_dword v106, off, s[0:3], 0 offset:340
.LBB49_183:
	s_or_b64 exec, exec, s[4:5]
	; wave barrier
	buffer_load_dword v105, off, s[0:3], 0 offset:344
	buffer_load_dword v106, off, s[0:3], 0 offset:348
	v_cmp_gt_u32_e32 vcc, 43, v0
	s_waitcnt vmcnt(0)
	ds_write_b64 v104, v[105:106]
	s_waitcnt lgkmcnt(0)
	; wave barrier
	s_and_saveexec_b64 s[4:5], vcc
	s_cbranch_execz .LBB49_187
; %bb.184:
	v_add_u32_e32 v105, -1, v0
	v_add_u32_e32 v106, 0x190, v103
	v_mov_b32_e32 v107, v103
	v_mov_b32_e32 v102, 0
	s_mov_b64 s[8:9], 0
	v_mov_b32_e32 v108, 0
.LBB49_185:                             ; =>This Inner Loop Header: Depth=1
	buffer_load_dword v111, v107, s[0:3], 0 offen offset:4
	buffer_load_dword v112, v107, s[0:3], 0 offen
	ds_read_b64 v[109:110], v106
	v_add_u32_e32 v105, 1, v105
	v_cmp_lt_u32_e32 vcc, 41, v105
	v_add_u32_e32 v106, 8, v106
	v_add_u32_e32 v107, 8, v107
	s_or_b64 s[8:9], vcc, s[8:9]
	s_waitcnt vmcnt(1) lgkmcnt(0)
	v_mul_f32_e32 v113, v110, v111
	v_mul_f32_e32 v111, v109, v111
	s_waitcnt vmcnt(0)
	v_fma_f32 v109, v109, v112, -v113
	v_fmac_f32_e32 v111, v110, v112
	v_add_f32_e32 v108, v108, v109
	v_add_f32_e32 v102, v102, v111
	s_andn2_b64 exec, exec, s[8:9]
	s_cbranch_execnz .LBB49_185
; %bb.186:
	s_or_b64 exec, exec, s[8:9]
	v_mov_b32_e32 v105, 0
	ds_read_b64 v[105:106], v105 offset:344
	s_waitcnt lgkmcnt(0)
	v_mul_f32_e32 v107, v102, v106
	v_mul_f32_e32 v106, v108, v106
	v_fma_f32 v107, v108, v105, -v107
	v_fmac_f32_e32 v106, v102, v105
	buffer_store_dword v107, off, s[0:3], 0 offset:344
	buffer_store_dword v106, off, s[0:3], 0 offset:348
.LBB49_187:
	s_or_b64 exec, exec, s[4:5]
	; wave barrier
	buffer_load_dword v105, off, s[0:3], 0 offset:352
	buffer_load_dword v106, off, s[0:3], 0 offset:356
	v_cmp_gt_u32_e32 vcc, 44, v0
	s_waitcnt vmcnt(0)
	ds_write_b64 v104, v[105:106]
	s_waitcnt lgkmcnt(0)
	; wave barrier
	s_and_saveexec_b64 s[4:5], vcc
	s_cbranch_execz .LBB49_191
; %bb.188:
	v_add_u32_e32 v105, -1, v0
	v_add_u32_e32 v106, 0x190, v103
	v_mov_b32_e32 v107, v103
	v_mov_b32_e32 v102, 0
	s_mov_b64 s[8:9], 0
	v_mov_b32_e32 v108, 0
.LBB49_189:                             ; =>This Inner Loop Header: Depth=1
	buffer_load_dword v111, v107, s[0:3], 0 offen offset:4
	buffer_load_dword v112, v107, s[0:3], 0 offen
	ds_read_b64 v[109:110], v106
	v_add_u32_e32 v105, 1, v105
	v_cmp_lt_u32_e32 vcc, 42, v105
	v_add_u32_e32 v106, 8, v106
	v_add_u32_e32 v107, 8, v107
	s_or_b64 s[8:9], vcc, s[8:9]
	s_waitcnt vmcnt(1) lgkmcnt(0)
	v_mul_f32_e32 v113, v110, v111
	v_mul_f32_e32 v111, v109, v111
	s_waitcnt vmcnt(0)
	v_fma_f32 v109, v109, v112, -v113
	v_fmac_f32_e32 v111, v110, v112
	v_add_f32_e32 v108, v108, v109
	v_add_f32_e32 v102, v102, v111
	s_andn2_b64 exec, exec, s[8:9]
	s_cbranch_execnz .LBB49_189
; %bb.190:
	s_or_b64 exec, exec, s[8:9]
	v_mov_b32_e32 v105, 0
	ds_read_b64 v[105:106], v105 offset:352
	s_waitcnt lgkmcnt(0)
	v_mul_f32_e32 v107, v102, v106
	v_mul_f32_e32 v106, v108, v106
	v_fma_f32 v107, v108, v105, -v107
	v_fmac_f32_e32 v106, v102, v105
	buffer_store_dword v107, off, s[0:3], 0 offset:352
	buffer_store_dword v106, off, s[0:3], 0 offset:356
.LBB49_191:
	s_or_b64 exec, exec, s[4:5]
	; wave barrier
	buffer_load_dword v105, off, s[0:3], 0 offset:360
	buffer_load_dword v106, off, s[0:3], 0 offset:364
	v_cmp_gt_u32_e32 vcc, 45, v0
	s_waitcnt vmcnt(0)
	ds_write_b64 v104, v[105:106]
	s_waitcnt lgkmcnt(0)
	; wave barrier
	s_and_saveexec_b64 s[4:5], vcc
	s_cbranch_execz .LBB49_195
; %bb.192:
	v_add_u32_e32 v105, -1, v0
	v_add_u32_e32 v106, 0x190, v103
	v_mov_b32_e32 v107, v103
	v_mov_b32_e32 v102, 0
	s_mov_b64 s[8:9], 0
	v_mov_b32_e32 v108, 0
.LBB49_193:                             ; =>This Inner Loop Header: Depth=1
	buffer_load_dword v111, v107, s[0:3], 0 offen offset:4
	buffer_load_dword v112, v107, s[0:3], 0 offen
	ds_read_b64 v[109:110], v106
	v_add_u32_e32 v105, 1, v105
	v_cmp_lt_u32_e32 vcc, 43, v105
	v_add_u32_e32 v106, 8, v106
	v_add_u32_e32 v107, 8, v107
	s_or_b64 s[8:9], vcc, s[8:9]
	s_waitcnt vmcnt(1) lgkmcnt(0)
	v_mul_f32_e32 v113, v110, v111
	v_mul_f32_e32 v111, v109, v111
	s_waitcnt vmcnt(0)
	v_fma_f32 v109, v109, v112, -v113
	v_fmac_f32_e32 v111, v110, v112
	v_add_f32_e32 v108, v108, v109
	v_add_f32_e32 v102, v102, v111
	s_andn2_b64 exec, exec, s[8:9]
	s_cbranch_execnz .LBB49_193
; %bb.194:
	s_or_b64 exec, exec, s[8:9]
	v_mov_b32_e32 v105, 0
	ds_read_b64 v[105:106], v105 offset:360
	s_waitcnt lgkmcnt(0)
	v_mul_f32_e32 v107, v102, v106
	v_mul_f32_e32 v106, v108, v106
	v_fma_f32 v107, v108, v105, -v107
	v_fmac_f32_e32 v106, v102, v105
	buffer_store_dword v107, off, s[0:3], 0 offset:360
	buffer_store_dword v106, off, s[0:3], 0 offset:364
.LBB49_195:
	s_or_b64 exec, exec, s[4:5]
	; wave barrier
	buffer_load_dword v105, off, s[0:3], 0 offset:368
	buffer_load_dword v106, off, s[0:3], 0 offset:372
	v_cmp_gt_u32_e32 vcc, 46, v0
	s_waitcnt vmcnt(0)
	ds_write_b64 v104, v[105:106]
	s_waitcnt lgkmcnt(0)
	; wave barrier
	s_and_saveexec_b64 s[4:5], vcc
	s_cbranch_execz .LBB49_199
; %bb.196:
	v_add_u32_e32 v105, -1, v0
	v_add_u32_e32 v106, 0x190, v103
	v_mov_b32_e32 v107, v103
	v_mov_b32_e32 v102, 0
	s_mov_b64 s[8:9], 0
	v_mov_b32_e32 v108, 0
.LBB49_197:                             ; =>This Inner Loop Header: Depth=1
	buffer_load_dword v111, v107, s[0:3], 0 offen offset:4
	buffer_load_dword v112, v107, s[0:3], 0 offen
	ds_read_b64 v[109:110], v106
	v_add_u32_e32 v105, 1, v105
	v_cmp_lt_u32_e32 vcc, 44, v105
	v_add_u32_e32 v106, 8, v106
	v_add_u32_e32 v107, 8, v107
	s_or_b64 s[8:9], vcc, s[8:9]
	s_waitcnt vmcnt(1) lgkmcnt(0)
	v_mul_f32_e32 v113, v110, v111
	v_mul_f32_e32 v111, v109, v111
	s_waitcnt vmcnt(0)
	v_fma_f32 v109, v109, v112, -v113
	v_fmac_f32_e32 v111, v110, v112
	v_add_f32_e32 v108, v108, v109
	v_add_f32_e32 v102, v102, v111
	s_andn2_b64 exec, exec, s[8:9]
	s_cbranch_execnz .LBB49_197
; %bb.198:
	s_or_b64 exec, exec, s[8:9]
	v_mov_b32_e32 v105, 0
	ds_read_b64 v[105:106], v105 offset:368
	s_waitcnt lgkmcnt(0)
	v_mul_f32_e32 v107, v102, v106
	v_mul_f32_e32 v106, v108, v106
	v_fma_f32 v107, v108, v105, -v107
	v_fmac_f32_e32 v106, v102, v105
	buffer_store_dword v107, off, s[0:3], 0 offset:368
	buffer_store_dword v106, off, s[0:3], 0 offset:372
.LBB49_199:
	s_or_b64 exec, exec, s[4:5]
	; wave barrier
	buffer_load_dword v105, off, s[0:3], 0 offset:376
	buffer_load_dword v106, off, s[0:3], 0 offset:380
	v_cmp_gt_u32_e32 vcc, 47, v0
	s_waitcnt vmcnt(0)
	ds_write_b64 v104, v[105:106]
	s_waitcnt lgkmcnt(0)
	; wave barrier
	s_and_saveexec_b64 s[4:5], vcc
	s_cbranch_execz .LBB49_203
; %bb.200:
	v_add_u32_e32 v105, -1, v0
	v_add_u32_e32 v106, 0x190, v103
	v_mov_b32_e32 v107, v103
	v_mov_b32_e32 v102, 0
	s_mov_b64 s[8:9], 0
	v_mov_b32_e32 v108, 0
.LBB49_201:                             ; =>This Inner Loop Header: Depth=1
	buffer_load_dword v111, v107, s[0:3], 0 offen offset:4
	buffer_load_dword v112, v107, s[0:3], 0 offen
	ds_read_b64 v[109:110], v106
	v_add_u32_e32 v105, 1, v105
	v_cmp_lt_u32_e32 vcc, 45, v105
	v_add_u32_e32 v106, 8, v106
	v_add_u32_e32 v107, 8, v107
	s_or_b64 s[8:9], vcc, s[8:9]
	s_waitcnt vmcnt(1) lgkmcnt(0)
	v_mul_f32_e32 v113, v110, v111
	v_mul_f32_e32 v111, v109, v111
	s_waitcnt vmcnt(0)
	v_fma_f32 v109, v109, v112, -v113
	v_fmac_f32_e32 v111, v110, v112
	v_add_f32_e32 v108, v108, v109
	v_add_f32_e32 v102, v102, v111
	s_andn2_b64 exec, exec, s[8:9]
	s_cbranch_execnz .LBB49_201
; %bb.202:
	s_or_b64 exec, exec, s[8:9]
	v_mov_b32_e32 v105, 0
	ds_read_b64 v[105:106], v105 offset:376
	s_waitcnt lgkmcnt(0)
	v_mul_f32_e32 v107, v102, v106
	v_mul_f32_e32 v106, v108, v106
	v_fma_f32 v107, v108, v105, -v107
	v_fmac_f32_e32 v106, v102, v105
	buffer_store_dword v107, off, s[0:3], 0 offset:376
	buffer_store_dword v106, off, s[0:3], 0 offset:380
.LBB49_203:
	s_or_b64 exec, exec, s[4:5]
	; wave barrier
	buffer_load_dword v105, off, s[0:3], 0 offset:384
	buffer_load_dword v106, off, s[0:3], 0 offset:388
	v_cmp_gt_u32_e32 vcc, 48, v0
	s_waitcnt vmcnt(0)
	ds_write_b64 v104, v[105:106]
	s_waitcnt lgkmcnt(0)
	; wave barrier
	s_and_saveexec_b64 s[4:5], vcc
	s_cbranch_execz .LBB49_207
; %bb.204:
	v_add_u32_e32 v105, -1, v0
	v_add_u32_e32 v106, 0x190, v103
	v_mov_b32_e32 v107, v103
	v_mov_b32_e32 v102, 0
	s_mov_b64 s[8:9], 0
	v_mov_b32_e32 v108, 0
.LBB49_205:                             ; =>This Inner Loop Header: Depth=1
	buffer_load_dword v111, v107, s[0:3], 0 offen offset:4
	buffer_load_dword v112, v107, s[0:3], 0 offen
	ds_read_b64 v[109:110], v106
	v_add_u32_e32 v105, 1, v105
	v_cmp_lt_u32_e32 vcc, 46, v105
	v_add_u32_e32 v106, 8, v106
	v_add_u32_e32 v107, 8, v107
	s_or_b64 s[8:9], vcc, s[8:9]
	s_waitcnt vmcnt(1) lgkmcnt(0)
	v_mul_f32_e32 v113, v110, v111
	v_mul_f32_e32 v111, v109, v111
	s_waitcnt vmcnt(0)
	v_fma_f32 v109, v109, v112, -v113
	v_fmac_f32_e32 v111, v110, v112
	v_add_f32_e32 v108, v108, v109
	v_add_f32_e32 v102, v102, v111
	s_andn2_b64 exec, exec, s[8:9]
	s_cbranch_execnz .LBB49_205
; %bb.206:
	s_or_b64 exec, exec, s[8:9]
	v_mov_b32_e32 v105, 0
	ds_read_b64 v[105:106], v105 offset:384
	s_waitcnt lgkmcnt(0)
	v_mul_f32_e32 v107, v102, v106
	v_mul_f32_e32 v106, v108, v106
	v_fma_f32 v107, v108, v105, -v107
	v_fmac_f32_e32 v106, v102, v105
	buffer_store_dword v107, off, s[0:3], 0 offset:384
	buffer_store_dword v106, off, s[0:3], 0 offset:388
.LBB49_207:
	s_or_b64 exec, exec, s[4:5]
	; wave barrier
	buffer_load_dword v105, off, s[0:3], 0 offset:392
	buffer_load_dword v106, off, s[0:3], 0 offset:396
	v_cmp_ne_u32_e32 vcc, 49, v0
	s_waitcnt vmcnt(0)
	ds_write_b64 v104, v[105:106]
	s_waitcnt lgkmcnt(0)
	; wave barrier
	s_and_saveexec_b64 s[4:5], vcc
	s_cbranch_execz .LBB49_211
; %bb.208:
	v_add_u32_e32 v104, 0x190, v103
	v_mov_b32_e32 v102, 0
	s_mov_b64 s[8:9], 0
	v_mov_b32_e32 v105, 0
.LBB49_209:                             ; =>This Inner Loop Header: Depth=1
	buffer_load_dword v108, v103, s[0:3], 0 offen offset:4
	buffer_load_dword v109, v103, s[0:3], 0 offen
	ds_read_b64 v[106:107], v104
	v_add_u32_e32 v101, 1, v101
	v_cmp_lt_u32_e32 vcc, 47, v101
	v_add_u32_e32 v104, 8, v104
	v_add_u32_e32 v103, 8, v103
	s_or_b64 s[8:9], vcc, s[8:9]
	s_waitcnt vmcnt(1) lgkmcnt(0)
	v_mul_f32_e32 v110, v107, v108
	v_mul_f32_e32 v108, v106, v108
	s_waitcnt vmcnt(0)
	v_fma_f32 v106, v106, v109, -v110
	v_fmac_f32_e32 v108, v107, v109
	v_add_f32_e32 v105, v105, v106
	v_add_f32_e32 v102, v102, v108
	s_andn2_b64 exec, exec, s[8:9]
	s_cbranch_execnz .LBB49_209
; %bb.210:
	s_or_b64 exec, exec, s[8:9]
	v_mov_b32_e32 v101, 0
	ds_read_b64 v[103:104], v101 offset:392
	s_waitcnt lgkmcnt(0)
	v_mul_f32_e32 v101, v102, v104
	v_mul_f32_e32 v104, v105, v104
	v_fma_f32 v101, v105, v103, -v101
	v_fmac_f32_e32 v104, v102, v103
	buffer_store_dword v101, off, s[0:3], 0 offset:392
	buffer_store_dword v104, off, s[0:3], 0 offset:396
.LBB49_211:
	s_or_b64 exec, exec, s[4:5]
	s_mov_b64 s[8:9], -1
	; wave barrier
.LBB49_212:
	s_and_b64 vcc, exec, s[8:9]
	s_cbranch_vccz .LBB49_214
; %bb.213:
	s_lshl_b64 s[4:5], s[6:7], 2
	s_add_u32 s4, s10, s4
	s_addc_u32 s5, s11, s5
	v_mov_b32_e32 v101, 0
	global_load_dword v101, v101, s[4:5]
	s_waitcnt vmcnt(0)
	v_cmp_ne_u32_e32 vcc, 0, v101
	s_cbranch_vccz .LBB49_215
.LBB49_214:
	s_endpgm
.LBB49_215:
	v_mov_b32_e32 v101, 0x190
	v_lshl_add_u32 v101, v0, 3, v101
	v_cmp_eq_u32_e32 vcc, 49, v0
	s_and_saveexec_b64 s[4:5], vcc
	s_cbranch_execz .LBB49_217
; %bb.216:
	buffer_load_dword v102, off, s[0:3], 0 offset:384
	buffer_load_dword v103, off, s[0:3], 0 offset:388
	v_mov_b32_e32 v104, 0
	buffer_store_dword v104, off, s[0:3], 0 offset:384
	buffer_store_dword v104, off, s[0:3], 0 offset:388
	s_waitcnt vmcnt(2)
	ds_write_b64 v101, v[102:103]
.LBB49_217:
	s_or_b64 exec, exec, s[4:5]
	s_waitcnt lgkmcnt(0)
	; wave barrier
	buffer_load_dword v105, off, s[0:3], 0 offset:396
	buffer_load_dword v106, off, s[0:3], 0 offset:392
	buffer_load_dword v107, off, s[0:3], 0 offset:384
	buffer_load_dword v108, off, s[0:3], 0 offset:388
	v_mov_b32_e32 v102, 0
	ds_read_b64 v[103:104], v102 offset:792
	v_cmp_lt_u32_e32 vcc, 47, v0
	s_waitcnt vmcnt(3) lgkmcnt(0)
	v_mul_f32_e32 v109, v103, v105
	v_mul_f32_e32 v105, v104, v105
	s_waitcnt vmcnt(2)
	v_fma_f32 v103, v103, v106, -v105
	v_fmac_f32_e32 v109, v104, v106
	v_add_f32_e32 v103, 0, v103
	v_add_f32_e32 v104, 0, v109
	s_waitcnt vmcnt(1)
	v_sub_f32_e32 v103, v107, v103
	s_waitcnt vmcnt(0)
	v_sub_f32_e32 v104, v108, v104
	buffer_store_dword v103, off, s[0:3], 0 offset:384
	buffer_store_dword v104, off, s[0:3], 0 offset:388
	s_and_saveexec_b64 s[4:5], vcc
	s_cbranch_execz .LBB49_219
; %bb.218:
	buffer_load_dword v103, off, s[0:3], 0 offset:376
	buffer_load_dword v104, off, s[0:3], 0 offset:380
	s_waitcnt vmcnt(0)
	ds_write_b64 v101, v[103:104]
	buffer_store_dword v102, off, s[0:3], 0 offset:376
	buffer_store_dword v102, off, s[0:3], 0 offset:380
.LBB49_219:
	s_or_b64 exec, exec, s[4:5]
	s_waitcnt lgkmcnt(0)
	; wave barrier
	buffer_load_dword v106, off, s[0:3], 0 offset:388
	buffer_load_dword v107, off, s[0:3], 0 offset:396
	;; [unrolled: 1-line block ×6, first 2 shown]
	ds_read_b128 v[102:105], v102 offset:784
	v_cmp_lt_u32_e32 vcc, 46, v0
	s_waitcnt vmcnt(5) lgkmcnt(0)
	v_mul_f32_e32 v112, v102, v106
	v_mul_f32_e32 v106, v103, v106
	s_waitcnt vmcnt(4)
	v_mul_f32_e32 v113, v104, v107
	v_mul_f32_e32 v107, v105, v107
	s_waitcnt vmcnt(3)
	v_fma_f32 v102, v102, v108, -v106
	v_fmac_f32_e32 v112, v103, v108
	s_waitcnt vmcnt(2)
	v_fma_f32 v103, v104, v109, -v107
	v_add_f32_e32 v102, 0, v102
	v_fmac_f32_e32 v113, v105, v109
	v_add_f32_e32 v104, 0, v112
	v_add_f32_e32 v102, v102, v103
	;; [unrolled: 1-line block ×3, first 2 shown]
	s_waitcnt vmcnt(1)
	v_sub_f32_e32 v102, v110, v102
	s_waitcnt vmcnt(0)
	v_sub_f32_e32 v103, v111, v104
	buffer_store_dword v102, off, s[0:3], 0 offset:376
	buffer_store_dword v103, off, s[0:3], 0 offset:380
	s_and_saveexec_b64 s[4:5], vcc
	s_cbranch_execz .LBB49_221
; %bb.220:
	buffer_load_dword v102, off, s[0:3], 0 offset:368
	buffer_load_dword v103, off, s[0:3], 0 offset:372
	v_mov_b32_e32 v104, 0
	buffer_store_dword v104, off, s[0:3], 0 offset:368
	buffer_store_dword v104, off, s[0:3], 0 offset:372
	s_waitcnt vmcnt(2)
	ds_write_b64 v101, v[102:103]
.LBB49_221:
	s_or_b64 exec, exec, s[4:5]
	s_waitcnt lgkmcnt(0)
	; wave barrier
	buffer_load_dword v109, off, s[0:3], 0 offset:380
	buffer_load_dword v110, off, s[0:3], 0 offset:388
	;; [unrolled: 1-line block ×8, first 2 shown]
	v_mov_b32_e32 v102, 0
	ds_read2_b64 v[103:106], v102 offset0:97 offset1:98
	ds_read_b64 v[107:108], v102 offset:792
	v_cmp_lt_u32_e32 vcc, 45, v0
	s_waitcnt vmcnt(7) lgkmcnt(1)
	v_mul_f32_e32 v117, v103, v109
	v_mul_f32_e32 v109, v104, v109
	s_waitcnt vmcnt(6)
	v_mul_f32_e32 v118, v105, v110
	v_mul_f32_e32 v110, v106, v110
	s_waitcnt vmcnt(4)
	v_fma_f32 v103, v103, v112, -v109
	s_waitcnt lgkmcnt(0)
	v_mul_f32_e32 v119, v107, v111
	v_mul_f32_e32 v111, v108, v111
	v_fmac_f32_e32 v117, v104, v112
	s_waitcnt vmcnt(3)
	v_fma_f32 v104, v105, v113, -v110
	v_add_f32_e32 v103, 0, v103
	v_fmac_f32_e32 v118, v106, v113
	s_waitcnt vmcnt(2)
	v_fma_f32 v105, v107, v114, -v111
	v_add_f32_e32 v106, 0, v117
	v_add_f32_e32 v103, v103, v104
	v_fmac_f32_e32 v119, v108, v114
	v_add_f32_e32 v106, v106, v118
	v_add_f32_e32 v103, v103, v105
	;; [unrolled: 1-line block ×3, first 2 shown]
	s_waitcnt vmcnt(1)
	v_sub_f32_e32 v103, v115, v103
	s_waitcnt vmcnt(0)
	v_sub_f32_e32 v104, v116, v104
	buffer_store_dword v103, off, s[0:3], 0 offset:368
	buffer_store_dword v104, off, s[0:3], 0 offset:372
	s_and_saveexec_b64 s[4:5], vcc
	s_cbranch_execz .LBB49_223
; %bb.222:
	buffer_load_dword v103, off, s[0:3], 0 offset:360
	buffer_load_dword v104, off, s[0:3], 0 offset:364
	s_waitcnt vmcnt(0)
	ds_write_b64 v101, v[103:104]
	buffer_store_dword v102, off, s[0:3], 0 offset:360
	buffer_store_dword v102, off, s[0:3], 0 offset:364
.LBB49_223:
	s_or_b64 exec, exec, s[4:5]
	s_waitcnt lgkmcnt(0)
	; wave barrier
	buffer_load_dword v111, off, s[0:3], 0 offset:372
	buffer_load_dword v112, off, s[0:3], 0 offset:380
	;; [unrolled: 1-line block ×10, first 2 shown]
	ds_read_b128 v[103:106], v102 offset:768
	ds_read_b128 v[107:110], v102 offset:784
	v_cmp_lt_u32_e32 vcc, 44, v0
	s_waitcnt vmcnt(9) lgkmcnt(1)
	v_mul_f32_e32 v102, v103, v111
	v_mul_f32_e32 v111, v104, v111
	s_waitcnt vmcnt(8)
	v_mul_f32_e32 v121, v105, v112
	v_mul_f32_e32 v112, v106, v112
	s_waitcnt vmcnt(5)
	v_fma_f32 v103, v103, v115, -v111
	s_waitcnt lgkmcnt(0)
	v_mul_f32_e32 v122, v107, v113
	v_mul_f32_e32 v113, v108, v113
	v_fmac_f32_e32 v102, v104, v115
	s_waitcnt vmcnt(4)
	v_fma_f32 v104, v105, v116, -v112
	v_add_f32_e32 v103, 0, v103
	v_mul_f32_e32 v123, v109, v114
	v_mul_f32_e32 v114, v110, v114
	v_fmac_f32_e32 v121, v106, v116
	s_waitcnt vmcnt(3)
	v_fma_f32 v105, v107, v117, -v113
	v_add_f32_e32 v102, 0, v102
	v_add_f32_e32 v103, v103, v104
	v_fmac_f32_e32 v122, v108, v117
	s_waitcnt vmcnt(2)
	v_fma_f32 v106, v109, v118, -v114
	v_add_f32_e32 v102, v102, v121
	v_add_f32_e32 v103, v103, v105
	v_fmac_f32_e32 v123, v110, v118
	v_add_f32_e32 v102, v102, v122
	v_add_f32_e32 v103, v103, v106
	;; [unrolled: 1-line block ×3, first 2 shown]
	s_waitcnt vmcnt(1)
	v_sub_f32_e32 v103, v119, v103
	s_waitcnt vmcnt(0)
	v_sub_f32_e32 v102, v120, v102
	buffer_store_dword v103, off, s[0:3], 0 offset:360
	buffer_store_dword v102, off, s[0:3], 0 offset:364
	s_and_saveexec_b64 s[4:5], vcc
	s_cbranch_execz .LBB49_225
; %bb.224:
	buffer_load_dword v102, off, s[0:3], 0 offset:352
	buffer_load_dword v103, off, s[0:3], 0 offset:356
	v_mov_b32_e32 v104, 0
	buffer_store_dword v104, off, s[0:3], 0 offset:352
	buffer_store_dword v104, off, s[0:3], 0 offset:356
	s_waitcnt vmcnt(2)
	ds_write_b64 v101, v[102:103]
.LBB49_225:
	s_or_b64 exec, exec, s[4:5]
	v_mov_b32_e32 v102, 0
	s_waitcnt lgkmcnt(0)
	; wave barrier
	ds_read2_b64 v[103:106], v102 offset0:95 offset1:96
	buffer_load_dword v113, off, s[0:3], 0 offset:352
	buffer_load_dword v114, off, s[0:3], 0 offset:356
	;; [unrolled: 1-line block ×12, first 2 shown]
	v_cmp_lt_u32_e32 vcc, 43, v0
	s_waitcnt vmcnt(8) lgkmcnt(0)
	v_mul_f32_e32 v107, v103, v116
	v_fmac_f32_e32 v107, v104, v115
	s_waitcnt vmcnt(6)
	v_mul_f32_e32 v108, v105, v118
	v_add_f32_e32 v107, 0, v107
	v_fmac_f32_e32 v108, v106, v117
	v_add_f32_e32 v111, v107, v108
	ds_read2_b64 v[107:110], v102 offset0:97 offset1:98
	v_mul_f32_e32 v104, v104, v116
	v_fma_f32 v103, v103, v115, -v104
	v_mul_f32_e32 v104, v106, v118
	v_add_f32_e32 v103, 0, v103
	s_waitcnt vmcnt(4) lgkmcnt(0)
	v_mul_f32_e32 v112, v107, v120
	v_fmac_f32_e32 v112, v108, v119
	v_add_f32_e32 v111, v111, v112
	s_waitcnt vmcnt(2)
	v_mul_f32_e32 v112, v109, v122
	v_fmac_f32_e32 v112, v110, v121
	v_add_f32_e32 v125, v111, v112
	ds_read_b64 v[111:112], v102 offset:792
	v_fma_f32 v104, v105, v117, -v104
	v_add_f32_e32 v103, v103, v104
	v_mul_f32_e32 v104, v108, v120
	v_fma_f32 v104, v107, v119, -v104
	v_add_f32_e32 v103, v103, v104
	v_mul_f32_e32 v104, v110, v122
	v_fma_f32 v104, v109, v121, -v104
	v_add_f32_e32 v103, v103, v104
	s_waitcnt vmcnt(0) lgkmcnt(0)
	v_mul_f32_e32 v104, v112, v124
	v_mul_f32_e32 v126, v111, v124
	v_fma_f32 v104, v111, v123, -v104
	v_fmac_f32_e32 v126, v112, v123
	v_add_f32_e32 v103, v103, v104
	v_add_f32_e32 v125, v125, v126
	v_sub_f32_e32 v103, v113, v103
	v_sub_f32_e32 v104, v114, v125
	buffer_store_dword v103, off, s[0:3], 0 offset:352
	buffer_store_dword v104, off, s[0:3], 0 offset:356
	s_and_saveexec_b64 s[4:5], vcc
	s_cbranch_execz .LBB49_227
; %bb.226:
	buffer_load_dword v103, off, s[0:3], 0 offset:344
	buffer_load_dword v104, off, s[0:3], 0 offset:348
	s_waitcnt vmcnt(0)
	ds_write_b64 v101, v[103:104]
	buffer_store_dword v102, off, s[0:3], 0 offset:344
	buffer_store_dword v102, off, s[0:3], 0 offset:348
.LBB49_227:
	s_or_b64 exec, exec, s[4:5]
	s_waitcnt lgkmcnt(0)
	; wave barrier
	buffer_load_dword v115, off, s[0:3], 0 offset:356
	buffer_load_dword v116, off, s[0:3], 0 offset:364
	;; [unrolled: 1-line block ×14, first 2 shown]
	ds_read_b128 v[103:106], v102 offset:752
	ds_read_b128 v[107:110], v102 offset:768
	;; [unrolled: 1-line block ×3, first 2 shown]
	v_cmp_lt_u32_e32 vcc, 42, v0
	s_waitcnt vmcnt(13) lgkmcnt(2)
	v_mul_f32_e32 v102, v103, v115
	v_mul_f32_e32 v115, v104, v115
	s_waitcnt vmcnt(12)
	v_mul_f32_e32 v129, v105, v116
	v_mul_f32_e32 v116, v106, v116
	s_waitcnt vmcnt(11) lgkmcnt(1)
	v_mul_f32_e32 v130, v107, v117
	v_mul_f32_e32 v117, v108, v117
	s_waitcnt vmcnt(7)
	v_fma_f32 v103, v103, v121, -v115
	v_fmac_f32_e32 v102, v104, v121
	s_waitcnt vmcnt(6)
	v_fma_f32 v104, v105, v122, -v116
	v_add_f32_e32 v103, 0, v103
	v_mul_f32_e32 v131, v109, v118
	v_mul_f32_e32 v118, v110, v118
	v_fmac_f32_e32 v129, v106, v122
	s_waitcnt vmcnt(5)
	v_fma_f32 v105, v107, v123, -v117
	v_add_f32_e32 v102, 0, v102
	v_add_f32_e32 v103, v103, v104
	s_waitcnt lgkmcnt(0)
	v_mul_f32_e32 v132, v111, v119
	v_mul_f32_e32 v119, v112, v119
	v_fmac_f32_e32 v130, v108, v123
	s_waitcnt vmcnt(4)
	v_fma_f32 v106, v109, v124, -v118
	v_add_f32_e32 v102, v102, v129
	v_add_f32_e32 v103, v103, v105
	v_mul_f32_e32 v133, v113, v120
	v_mul_f32_e32 v120, v114, v120
	v_fmac_f32_e32 v131, v110, v124
	s_waitcnt vmcnt(3)
	v_fma_f32 v107, v111, v125, -v119
	v_add_f32_e32 v102, v102, v130
	v_add_f32_e32 v103, v103, v106
	v_fmac_f32_e32 v132, v112, v125
	s_waitcnt vmcnt(2)
	v_fma_f32 v108, v113, v126, -v120
	v_add_f32_e32 v102, v102, v131
	v_add_f32_e32 v103, v103, v107
	v_fmac_f32_e32 v133, v114, v126
	v_add_f32_e32 v102, v102, v132
	v_add_f32_e32 v103, v103, v108
	;; [unrolled: 1-line block ×3, first 2 shown]
	s_waitcnt vmcnt(1)
	v_sub_f32_e32 v103, v127, v103
	s_waitcnt vmcnt(0)
	v_sub_f32_e32 v102, v128, v102
	buffer_store_dword v103, off, s[0:3], 0 offset:344
	buffer_store_dword v102, off, s[0:3], 0 offset:348
	s_and_saveexec_b64 s[4:5], vcc
	s_cbranch_execz .LBB49_229
; %bb.228:
	buffer_load_dword v102, off, s[0:3], 0 offset:336
	buffer_load_dword v103, off, s[0:3], 0 offset:340
	v_mov_b32_e32 v104, 0
	buffer_store_dword v104, off, s[0:3], 0 offset:336
	buffer_store_dword v104, off, s[0:3], 0 offset:340
	s_waitcnt vmcnt(2)
	ds_write_b64 v101, v[102:103]
.LBB49_229:
	s_or_b64 exec, exec, s[4:5]
	s_waitcnt lgkmcnt(0)
	; wave barrier
	buffer_load_dword v117, off, s[0:3], 0 offset:348
	buffer_load_dword v118, off, s[0:3], 0 offset:356
	;; [unrolled: 1-line block ×16, first 2 shown]
	v_mov_b32_e32 v102, 0
	ds_read2_b64 v[103:106], v102 offset0:93 offset1:94
	ds_read2_b64 v[107:110], v102 offset0:95 offset1:96
	;; [unrolled: 1-line block ×3, first 2 shown]
	ds_read_b64 v[115:116], v102 offset:792
	v_cmp_lt_u32_e32 vcc, 41, v0
	s_waitcnt vmcnt(15) lgkmcnt(3)
	v_mul_f32_e32 v133, v103, v117
	v_mul_f32_e32 v117, v104, v117
	s_waitcnt vmcnt(14)
	v_mul_f32_e32 v134, v105, v118
	v_mul_f32_e32 v118, v106, v118
	s_waitcnt vmcnt(13) lgkmcnt(2)
	v_mul_f32_e32 v135, v107, v119
	s_waitcnt vmcnt(12)
	v_mul_f32_e32 v136, v109, v120
	v_mul_f32_e32 v119, v108, v119
	s_waitcnt vmcnt(8)
	v_fma_f32 v103, v103, v124, -v117
	v_fmac_f32_e32 v133, v104, v124
	s_waitcnt vmcnt(7)
	v_fma_f32 v104, v105, v125, -v118
	v_add_f32_e32 v103, 0, v103
	v_mul_f32_e32 v120, v110, v120
	v_fmac_f32_e32 v134, v106, v125
	s_waitcnt vmcnt(5)
	v_fmac_f32_e32 v136, v110, v127
	v_fma_f32 v105, v107, v126, -v119
	v_add_f32_e32 v110, 0, v133
	v_add_f32_e32 v103, v103, v104
	s_waitcnt lgkmcnt(1)
	v_mul_f32_e32 v137, v111, v121
	v_mul_f32_e32 v121, v112, v121
	v_fmac_f32_e32 v135, v108, v126
	v_fma_f32 v106, v109, v127, -v120
	v_add_f32_e32 v110, v110, v134
	v_add_f32_e32 v103, v103, v105
	v_mul_f32_e32 v138, v113, v122
	v_mul_f32_e32 v122, v114, v122
	s_waitcnt vmcnt(4)
	v_fma_f32 v107, v111, v128, -v121
	v_add_f32_e32 v104, v110, v135
	v_add_f32_e32 v103, v103, v106
	s_waitcnt lgkmcnt(0)
	v_mul_f32_e32 v139, v115, v123
	v_mul_f32_e32 v123, v116, v123
	v_fmac_f32_e32 v137, v112, v128
	s_waitcnt vmcnt(3)
	v_fma_f32 v108, v113, v129, -v122
	v_add_f32_e32 v104, v104, v136
	v_add_f32_e32 v103, v103, v107
	v_fmac_f32_e32 v138, v114, v129
	s_waitcnt vmcnt(2)
	v_fma_f32 v109, v115, v130, -v123
	v_add_f32_e32 v104, v104, v137
	v_add_f32_e32 v103, v103, v108
	v_fmac_f32_e32 v139, v116, v130
	v_add_f32_e32 v104, v104, v138
	v_add_f32_e32 v103, v103, v109
	;; [unrolled: 1-line block ×3, first 2 shown]
	s_waitcnt vmcnt(1)
	v_sub_f32_e32 v103, v131, v103
	s_waitcnt vmcnt(0)
	v_sub_f32_e32 v104, v132, v104
	buffer_store_dword v103, off, s[0:3], 0 offset:336
	buffer_store_dword v104, off, s[0:3], 0 offset:340
	s_and_saveexec_b64 s[4:5], vcc
	s_cbranch_execz .LBB49_231
; %bb.230:
	buffer_load_dword v103, off, s[0:3], 0 offset:328
	buffer_load_dword v104, off, s[0:3], 0 offset:332
	s_waitcnt vmcnt(0)
	ds_write_b64 v101, v[103:104]
	buffer_store_dword v102, off, s[0:3], 0 offset:328
	buffer_store_dword v102, off, s[0:3], 0 offset:332
.LBB49_231:
	s_or_b64 exec, exec, s[4:5]
	s_waitcnt lgkmcnt(0)
	; wave barrier
	buffer_load_dword v119, off, s[0:3], 0 offset:340
	buffer_load_dword v120, off, s[0:3], 0 offset:348
	buffer_load_dword v121, off, s[0:3], 0 offset:356
	buffer_load_dword v122, off, s[0:3], 0 offset:364
	buffer_load_dword v123, off, s[0:3], 0 offset:372
	buffer_load_dword v124, off, s[0:3], 0 offset:380
	buffer_load_dword v125, off, s[0:3], 0 offset:388
	buffer_load_dword v126, off, s[0:3], 0 offset:396
	buffer_load_dword v127, off, s[0:3], 0 offset:336
	buffer_load_dword v128, off, s[0:3], 0 offset:344
	buffer_load_dword v129, off, s[0:3], 0 offset:352
	buffer_load_dword v130, off, s[0:3], 0 offset:360
	buffer_load_dword v131, off, s[0:3], 0 offset:368
	buffer_load_dword v132, off, s[0:3], 0 offset:376
	buffer_load_dword v133, off, s[0:3], 0 offset:384
	buffer_load_dword v134, off, s[0:3], 0 offset:392
	buffer_load_dword v135, off, s[0:3], 0 offset:328
	buffer_load_dword v136, off, s[0:3], 0 offset:332
	ds_read_b128 v[103:106], v102 offset:736
	ds_read_b128 v[107:110], v102 offset:752
	;; [unrolled: 1-line block ×4, first 2 shown]
	v_cmp_lt_u32_e32 vcc, 40, v0
	s_waitcnt vmcnt(17) lgkmcnt(3)
	v_mul_f32_e32 v102, v103, v119
	v_mul_f32_e32 v119, v104, v119
	s_waitcnt vmcnt(16)
	v_mul_f32_e32 v137, v105, v120
	v_mul_f32_e32 v120, v106, v120
	s_waitcnt vmcnt(15) lgkmcnt(2)
	v_mul_f32_e32 v138, v107, v121
	v_mul_f32_e32 v121, v108, v121
	s_waitcnt vmcnt(14)
	v_mul_f32_e32 v139, v109, v122
	v_mul_f32_e32 v122, v110, v122
	s_waitcnt vmcnt(9)
	v_fma_f32 v103, v103, v127, -v119
	v_fmac_f32_e32 v102, v104, v127
	s_waitcnt vmcnt(8)
	v_fma_f32 v104, v105, v128, -v120
	v_add_f32_e32 v103, 0, v103
	v_fmac_f32_e32 v137, v106, v128
	s_waitcnt vmcnt(7)
	v_fma_f32 v105, v107, v129, -v121
	v_add_f32_e32 v102, 0, v102
	v_add_f32_e32 v103, v103, v104
	s_waitcnt lgkmcnt(1)
	v_mul_f32_e32 v140, v111, v123
	v_mul_f32_e32 v123, v112, v123
	v_fmac_f32_e32 v138, v108, v129
	s_waitcnt vmcnt(6)
	v_fma_f32 v106, v109, v130, -v122
	v_add_f32_e32 v102, v102, v137
	v_add_f32_e32 v103, v103, v105
	v_mul_f32_e32 v141, v113, v124
	v_mul_f32_e32 v124, v114, v124
	v_fmac_f32_e32 v139, v110, v130
	s_waitcnt vmcnt(5)
	v_fma_f32 v107, v111, v131, -v123
	v_add_f32_e32 v102, v102, v138
	v_add_f32_e32 v103, v103, v106
	s_waitcnt lgkmcnt(0)
	v_mul_f32_e32 v142, v115, v125
	v_mul_f32_e32 v125, v116, v125
	v_fmac_f32_e32 v140, v112, v131
	s_waitcnt vmcnt(4)
	v_fma_f32 v108, v113, v132, -v124
	v_add_f32_e32 v102, v102, v139
	v_add_f32_e32 v103, v103, v107
	v_mul_f32_e32 v143, v117, v126
	v_mul_f32_e32 v126, v118, v126
	v_fmac_f32_e32 v141, v114, v132
	s_waitcnt vmcnt(3)
	v_fma_f32 v109, v115, v133, -v125
	v_add_f32_e32 v102, v102, v140
	v_add_f32_e32 v103, v103, v108
	v_fmac_f32_e32 v142, v116, v133
	s_waitcnt vmcnt(2)
	v_fma_f32 v110, v117, v134, -v126
	v_add_f32_e32 v102, v102, v141
	v_add_f32_e32 v103, v103, v109
	v_fmac_f32_e32 v143, v118, v134
	v_add_f32_e32 v102, v102, v142
	v_add_f32_e32 v103, v103, v110
	;; [unrolled: 1-line block ×3, first 2 shown]
	s_waitcnt vmcnt(1)
	v_sub_f32_e32 v103, v135, v103
	s_waitcnt vmcnt(0)
	v_sub_f32_e32 v102, v136, v102
	buffer_store_dword v103, off, s[0:3], 0 offset:328
	buffer_store_dword v102, off, s[0:3], 0 offset:332
	s_and_saveexec_b64 s[4:5], vcc
	s_cbranch_execz .LBB49_233
; %bb.232:
	buffer_load_dword v102, off, s[0:3], 0 offset:320
	buffer_load_dword v103, off, s[0:3], 0 offset:324
	v_mov_b32_e32 v104, 0
	buffer_store_dword v104, off, s[0:3], 0 offset:320
	buffer_store_dword v104, off, s[0:3], 0 offset:324
	s_waitcnt vmcnt(2)
	ds_write_b64 v101, v[102:103]
.LBB49_233:
	s_or_b64 exec, exec, s[4:5]
	s_waitcnt lgkmcnt(0)
	; wave barrier
	buffer_load_dword v121, off, s[0:3], 0 offset:332
	buffer_load_dword v122, off, s[0:3], 0 offset:340
	;; [unrolled: 1-line block ×20, first 2 shown]
	v_mov_b32_e32 v102, 0
	ds_read2_b64 v[103:106], v102 offset0:91 offset1:92
	ds_read2_b64 v[107:110], v102 offset0:93 offset1:94
	;; [unrolled: 1-line block ×4, first 2 shown]
	ds_read_b64 v[119:120], v102 offset:792
	v_cmp_lt_u32_e32 vcc, 39, v0
	s_waitcnt vmcnt(19) lgkmcnt(4)
	v_mul_f32_e32 v141, v103, v121
	v_mul_f32_e32 v121, v104, v121
	s_waitcnt vmcnt(18)
	v_mul_f32_e32 v142, v105, v122
	v_mul_f32_e32 v122, v106, v122
	s_waitcnt vmcnt(17) lgkmcnt(3)
	v_mul_f32_e32 v143, v107, v123
	s_waitcnt vmcnt(15) lgkmcnt(2)
	v_mul_f32_e32 v145, v111, v125
	v_mul_f32_e32 v123, v108, v123
	;; [unrolled: 1-line block ×4, first 2 shown]
	s_waitcnt vmcnt(10)
	v_fma_f32 v103, v103, v130, -v121
	v_fmac_f32_e32 v141, v104, v130
	s_waitcnt vmcnt(9)
	v_fma_f32 v104, v105, v131, -v122
	v_add_f32_e32 v103, 0, v103
	v_mul_f32_e32 v125, v112, v125
	v_fmac_f32_e32 v142, v106, v131
	s_waitcnt vmcnt(6)
	v_fmac_f32_e32 v145, v112, v134
	v_fma_f32 v105, v107, v132, -v123
	v_add_f32_e32 v112, 0, v141
	v_add_f32_e32 v103, v103, v104
	v_fmac_f32_e32 v143, v108, v132
	v_fma_f32 v106, v109, v133, -v124
	v_add_f32_e32 v112, v112, v142
	v_add_f32_e32 v103, v103, v105
	v_mul_f32_e32 v146, v113, v126
	v_mul_f32_e32 v126, v114, v126
	v_fmac_f32_e32 v144, v110, v133
	v_fma_f32 v107, v111, v134, -v125
	v_add_f32_e32 v104, v112, v143
	v_add_f32_e32 v103, v103, v106
	s_waitcnt lgkmcnt(1)
	v_mul_f32_e32 v147, v115, v127
	v_mul_f32_e32 v127, v116, v127
	s_waitcnt vmcnt(5)
	v_fma_f32 v108, v113, v135, -v126
	v_add_f32_e32 v104, v104, v144
	v_add_f32_e32 v103, v103, v107
	v_mul_f32_e32 v148, v117, v128
	v_mul_f32_e32 v128, v118, v128
	v_fmac_f32_e32 v146, v114, v135
	s_waitcnt vmcnt(4)
	v_fma_f32 v109, v115, v136, -v127
	v_add_f32_e32 v104, v104, v145
	v_add_f32_e32 v103, v103, v108
	s_waitcnt lgkmcnt(0)
	v_mul_f32_e32 v149, v119, v129
	v_mul_f32_e32 v129, v120, v129
	v_fmac_f32_e32 v147, v116, v136
	s_waitcnt vmcnt(3)
	v_fma_f32 v110, v117, v137, -v128
	v_add_f32_e32 v104, v104, v146
	v_add_f32_e32 v103, v103, v109
	v_fmac_f32_e32 v148, v118, v137
	s_waitcnt vmcnt(2)
	v_fma_f32 v111, v119, v138, -v129
	v_add_f32_e32 v104, v104, v147
	v_add_f32_e32 v103, v103, v110
	v_fmac_f32_e32 v149, v120, v138
	v_add_f32_e32 v104, v104, v148
	v_add_f32_e32 v103, v103, v111
	;; [unrolled: 1-line block ×3, first 2 shown]
	s_waitcnt vmcnt(1)
	v_sub_f32_e32 v103, v139, v103
	s_waitcnt vmcnt(0)
	v_sub_f32_e32 v104, v140, v104
	buffer_store_dword v103, off, s[0:3], 0 offset:320
	buffer_store_dword v104, off, s[0:3], 0 offset:324
	s_and_saveexec_b64 s[4:5], vcc
	s_cbranch_execz .LBB49_235
; %bb.234:
	buffer_load_dword v103, off, s[0:3], 0 offset:312
	buffer_load_dword v104, off, s[0:3], 0 offset:316
	s_waitcnt vmcnt(0)
	ds_write_b64 v101, v[103:104]
	buffer_store_dword v102, off, s[0:3], 0 offset:312
	buffer_store_dword v102, off, s[0:3], 0 offset:316
.LBB49_235:
	s_or_b64 exec, exec, s[4:5]
	s_waitcnt lgkmcnt(0)
	; wave barrier
	buffer_load_dword v123, off, s[0:3], 0 offset:324
	buffer_load_dword v124, off, s[0:3], 0 offset:332
	;; [unrolled: 1-line block ×22, first 2 shown]
	ds_read_b128 v[103:106], v102 offset:720
	ds_read_b128 v[107:110], v102 offset:736
	;; [unrolled: 1-line block ×5, first 2 shown]
	v_cmp_lt_u32_e32 vcc, 38, v0
	s_waitcnt vmcnt(21) lgkmcnt(4)
	v_mul_f32_e32 v102, v103, v123
	v_mul_f32_e32 v123, v104, v123
	s_waitcnt vmcnt(20)
	v_mul_f32_e32 v145, v105, v124
	v_mul_f32_e32 v124, v106, v124
	s_waitcnt vmcnt(19) lgkmcnt(3)
	v_mul_f32_e32 v146, v107, v125
	v_mul_f32_e32 v125, v108, v125
	s_waitcnt vmcnt(18)
	v_mul_f32_e32 v147, v109, v126
	v_mul_f32_e32 v126, v110, v126
	s_waitcnt vmcnt(17) lgkmcnt(2)
	v_mul_f32_e32 v148, v111, v127
	v_mul_f32_e32 v127, v112, v127
	s_waitcnt vmcnt(11)
	v_fma_f32 v103, v103, v133, -v123
	v_fmac_f32_e32 v102, v104, v133
	s_waitcnt vmcnt(10)
	v_fma_f32 v104, v105, v134, -v124
	v_add_f32_e32 v103, 0, v103
	v_fmac_f32_e32 v145, v106, v134
	s_waitcnt vmcnt(9)
	v_fma_f32 v105, v107, v135, -v125
	v_add_f32_e32 v102, 0, v102
	v_add_f32_e32 v103, v103, v104
	v_fmac_f32_e32 v146, v108, v135
	s_waitcnt vmcnt(8)
	v_fma_f32 v106, v109, v136, -v126
	v_add_f32_e32 v102, v102, v145
	v_add_f32_e32 v103, v103, v105
	v_mul_f32_e32 v149, v113, v128
	v_mul_f32_e32 v128, v114, v128
	v_fmac_f32_e32 v147, v110, v136
	s_waitcnt vmcnt(7)
	v_fma_f32 v107, v111, v137, -v127
	v_add_f32_e32 v102, v102, v146
	v_add_f32_e32 v103, v103, v106
	s_waitcnt lgkmcnt(1)
	v_mul_f32_e32 v150, v115, v129
	v_mul_f32_e32 v129, v116, v129
	v_fmac_f32_e32 v148, v112, v137
	s_waitcnt vmcnt(6)
	v_fma_f32 v108, v113, v138, -v128
	v_add_f32_e32 v102, v102, v147
	v_add_f32_e32 v103, v103, v107
	v_mul_f32_e32 v151, v117, v130
	v_mul_f32_e32 v130, v118, v130
	v_fmac_f32_e32 v149, v114, v138
	s_waitcnt vmcnt(5)
	v_fma_f32 v109, v115, v139, -v129
	v_add_f32_e32 v102, v102, v148
	v_add_f32_e32 v103, v103, v108
	s_waitcnt lgkmcnt(0)
	v_mul_f32_e32 v152, v119, v131
	v_mul_f32_e32 v131, v120, v131
	v_fmac_f32_e32 v150, v116, v139
	s_waitcnt vmcnt(4)
	v_fma_f32 v110, v117, v140, -v130
	v_add_f32_e32 v102, v102, v149
	v_add_f32_e32 v103, v103, v109
	v_mul_f32_e32 v153, v121, v132
	v_mul_f32_e32 v132, v122, v132
	v_fmac_f32_e32 v151, v118, v140
	s_waitcnt vmcnt(3)
	v_fma_f32 v111, v119, v141, -v131
	v_add_f32_e32 v102, v102, v150
	v_add_f32_e32 v103, v103, v110
	v_fmac_f32_e32 v152, v120, v141
	s_waitcnt vmcnt(2)
	v_fma_f32 v112, v121, v142, -v132
	v_add_f32_e32 v102, v102, v151
	v_add_f32_e32 v103, v103, v111
	v_fmac_f32_e32 v153, v122, v142
	v_add_f32_e32 v102, v102, v152
	v_add_f32_e32 v103, v103, v112
	;; [unrolled: 1-line block ×3, first 2 shown]
	s_waitcnt vmcnt(1)
	v_sub_f32_e32 v103, v143, v103
	s_waitcnt vmcnt(0)
	v_sub_f32_e32 v102, v144, v102
	buffer_store_dword v103, off, s[0:3], 0 offset:312
	buffer_store_dword v102, off, s[0:3], 0 offset:316
	s_and_saveexec_b64 s[4:5], vcc
	s_cbranch_execz .LBB49_237
; %bb.236:
	buffer_load_dword v102, off, s[0:3], 0 offset:304
	buffer_load_dword v103, off, s[0:3], 0 offset:308
	v_mov_b32_e32 v104, 0
	buffer_store_dword v104, off, s[0:3], 0 offset:304
	buffer_store_dword v104, off, s[0:3], 0 offset:308
	s_waitcnt vmcnt(2)
	ds_write_b64 v101, v[102:103]
.LBB49_237:
	s_or_b64 exec, exec, s[4:5]
	s_waitcnt lgkmcnt(0)
	; wave barrier
	buffer_load_dword v125, off, s[0:3], 0 offset:316
	buffer_load_dword v126, off, s[0:3], 0 offset:324
	;; [unrolled: 1-line block ×24, first 2 shown]
	v_mov_b32_e32 v102, 0
	ds_read2_b64 v[103:106], v102 offset0:89 offset1:90
	ds_read2_b64 v[107:110], v102 offset0:91 offset1:92
	;; [unrolled: 1-line block ×5, first 2 shown]
	ds_read_b64 v[123:124], v102 offset:792
	v_cmp_lt_u32_e32 vcc, 37, v0
	s_waitcnt vmcnt(23) lgkmcnt(5)
	v_mul_f32_e32 v149, v103, v125
	v_mul_f32_e32 v125, v104, v125
	s_waitcnt vmcnt(22)
	v_mul_f32_e32 v150, v105, v126
	v_mul_f32_e32 v126, v106, v126
	s_waitcnt vmcnt(21) lgkmcnt(4)
	v_mul_f32_e32 v151, v107, v127
	v_mul_f32_e32 v127, v108, v127
	s_waitcnt vmcnt(20)
	v_mul_f32_e32 v152, v109, v128
	s_waitcnt vmcnt(19) lgkmcnt(3)
	v_mul_f32_e32 v153, v111, v129
	v_mul_f32_e32 v128, v110, v128
	;; [unrolled: 1-line block ×3, first 2 shown]
	s_waitcnt vmcnt(18)
	v_mul_f32_e32 v154, v113, v130
	s_waitcnt vmcnt(12)
	v_fma_f32 v103, v103, v136, -v125
	v_fmac_f32_e32 v149, v104, v136
	s_waitcnt vmcnt(11)
	v_fma_f32 v104, v105, v137, -v126
	v_add_f32_e32 v103, 0, v103
	s_waitcnt vmcnt(10)
	v_fma_f32 v105, v107, v138, -v127
	v_add_f32_e32 v103, v103, v104
	v_fmac_f32_e32 v150, v106, v137
	s_waitcnt vmcnt(8)
	v_fmac_f32_e32 v153, v112, v140
	v_fma_f32 v106, v109, v139, -v128
	v_add_f32_e32 v112, 0, v149
	v_add_f32_e32 v103, v103, v105
	v_mul_f32_e32 v130, v114, v130
	v_fmac_f32_e32 v151, v108, v138
	v_fma_f32 v107, v111, v140, -v129
	v_add_f32_e32 v112, v112, v150
	v_add_f32_e32 v103, v103, v106
	s_waitcnt lgkmcnt(2)
	v_mul_f32_e32 v155, v115, v131
	v_mul_f32_e32 v131, v116, v131
	v_fmac_f32_e32 v152, v110, v139
	s_waitcnt vmcnt(7)
	v_fma_f32 v108, v113, v141, -v130
	v_add_f32_e32 v104, v112, v151
	v_add_f32_e32 v103, v103, v107
	v_mul_f32_e32 v156, v117, v132
	v_mul_f32_e32 v132, v118, v132
	s_waitcnt vmcnt(6)
	v_fma_f32 v109, v115, v142, -v131
	v_add_f32_e32 v104, v104, v152
	v_add_f32_e32 v103, v103, v108
	s_waitcnt lgkmcnt(1)
	v_mul_f32_e32 v157, v119, v133
	v_mul_f32_e32 v133, v120, v133
	v_fmac_f32_e32 v154, v114, v141
	s_waitcnt vmcnt(5)
	v_fma_f32 v110, v117, v143, -v132
	v_add_f32_e32 v104, v104, v153
	v_add_f32_e32 v103, v103, v109
	v_fmac_f32_e32 v155, v116, v142
	s_waitcnt vmcnt(4)
	v_fma_f32 v111, v119, v144, -v133
	v_add_f32_e32 v104, v104, v154
	v_add_f32_e32 v103, v103, v110
	v_mul_f32_e32 v105, v122, v134
	v_fmac_f32_e32 v156, v118, v143
	v_add_f32_e32 v104, v104, v155
	v_add_f32_e32 v103, v103, v111
	s_waitcnt vmcnt(3)
	v_fma_f32 v105, v121, v145, -v105
	v_mul_f32_e32 v158, v121, v134
	v_fmac_f32_e32 v157, v120, v144
	v_add_f32_e32 v104, v104, v156
	v_add_f32_e32 v103, v103, v105
	s_waitcnt lgkmcnt(0)
	v_mul_f32_e32 v105, v124, v135
	v_mul_f32_e32 v159, v123, v135
	v_fmac_f32_e32 v158, v122, v145
	v_add_f32_e32 v104, v104, v157
	s_waitcnt vmcnt(2)
	v_fma_f32 v105, v123, v146, -v105
	v_fmac_f32_e32 v159, v124, v146
	v_add_f32_e32 v104, v104, v158
	v_add_f32_e32 v103, v103, v105
	;; [unrolled: 1-line block ×3, first 2 shown]
	s_waitcnt vmcnt(1)
	v_sub_f32_e32 v103, v147, v103
	s_waitcnt vmcnt(0)
	v_sub_f32_e32 v104, v148, v104
	buffer_store_dword v103, off, s[0:3], 0 offset:304
	buffer_store_dword v104, off, s[0:3], 0 offset:308
	s_and_saveexec_b64 s[4:5], vcc
	s_cbranch_execz .LBB49_239
; %bb.238:
	buffer_load_dword v103, off, s[0:3], 0 offset:296
	buffer_load_dword v104, off, s[0:3], 0 offset:300
	s_waitcnt vmcnt(0)
	ds_write_b64 v101, v[103:104]
	buffer_store_dword v102, off, s[0:3], 0 offset:296
	buffer_store_dword v102, off, s[0:3], 0 offset:300
.LBB49_239:
	s_or_b64 exec, exec, s[4:5]
	s_waitcnt lgkmcnt(0)
	; wave barrier
	buffer_load_dword v127, off, s[0:3], 0 offset:308
	buffer_load_dword v128, off, s[0:3], 0 offset:316
	;; [unrolled: 1-line block ×26, first 2 shown]
	ds_read_b128 v[103:106], v102 offset:704
	ds_read_b128 v[107:110], v102 offset:720
	;; [unrolled: 1-line block ×6, first 2 shown]
	v_cmp_lt_u32_e32 vcc, 36, v0
	s_waitcnt vmcnt(25) lgkmcnt(5)
	v_mul_f32_e32 v102, v103, v127
	v_mul_f32_e32 v127, v104, v127
	s_waitcnt vmcnt(24)
	v_mul_f32_e32 v153, v105, v128
	v_mul_f32_e32 v128, v106, v128
	s_waitcnt vmcnt(23) lgkmcnt(4)
	v_mul_f32_e32 v154, v107, v129
	v_mul_f32_e32 v129, v108, v129
	s_waitcnt vmcnt(22)
	v_mul_f32_e32 v155, v109, v130
	v_mul_f32_e32 v130, v110, v130
	s_waitcnt vmcnt(21) lgkmcnt(3)
	v_mul_f32_e32 v156, v111, v131
	v_mul_f32_e32 v131, v112, v131
	s_waitcnt vmcnt(20)
	v_mul_f32_e32 v157, v113, v132
	v_mul_f32_e32 v132, v114, v132
	s_waitcnt vmcnt(13)
	v_fma_f32 v103, v103, v139, -v127
	v_fmac_f32_e32 v102, v104, v139
	s_waitcnt vmcnt(12)
	v_fma_f32 v104, v105, v140, -v128
	v_add_f32_e32 v103, 0, v103
	s_waitcnt vmcnt(11)
	v_fma_f32 v105, v107, v141, -v129
	v_add_f32_e32 v103, v103, v104
	v_fmac_f32_e32 v153, v106, v140
	s_waitcnt vmcnt(10)
	v_fma_f32 v106, v109, v142, -v130
	v_add_f32_e32 v103, v103, v105
	s_waitcnt vmcnt(9)
	v_fma_f32 v107, v111, v143, -v131
	v_add_f32_e32 v103, v103, v106
	s_waitcnt lgkmcnt(2)
	v_mul_f32_e32 v158, v115, v133
	v_mul_f32_e32 v133, v116, v133
	v_fmac_f32_e32 v154, v108, v141
	s_waitcnt vmcnt(8)
	v_fma_f32 v108, v113, v144, -v132
	v_add_f32_e32 v102, 0, v102
	v_add_f32_e32 v103, v103, v107
	v_mul_f32_e32 v159, v117, v134
	v_mul_f32_e32 v134, v118, v134
	s_waitcnt vmcnt(7)
	v_fma_f32 v109, v115, v145, -v133
	v_add_f32_e32 v102, v102, v153
	v_add_f32_e32 v103, v103, v108
	v_fmac_f32_e32 v155, v110, v142
	s_waitcnt vmcnt(6)
	v_fma_f32 v110, v117, v146, -v134
	v_add_f32_e32 v102, v102, v154
	v_add_f32_e32 v103, v103, v109
	s_waitcnt lgkmcnt(1)
	v_mul_f32_e32 v104, v120, v135
	v_fmac_f32_e32 v156, v112, v143
	v_add_f32_e32 v102, v102, v155
	v_add_f32_e32 v103, v103, v110
	s_waitcnt vmcnt(5)
	v_fma_f32 v104, v119, v147, -v104
	v_fmac_f32_e32 v157, v114, v144
	v_add_f32_e32 v102, v102, v156
	v_add_f32_e32 v103, v103, v104
	v_mul_f32_e32 v104, v122, v136
	v_fmac_f32_e32 v158, v116, v145
	v_add_f32_e32 v102, v102, v157
	s_waitcnt vmcnt(4)
	v_fma_f32 v104, v121, v148, -v104
	v_mul_f32_e32 v160, v119, v135
	v_fmac_f32_e32 v159, v118, v146
	v_add_f32_e32 v102, v102, v158
	v_add_f32_e32 v103, v103, v104
	s_waitcnt lgkmcnt(0)
	v_mul_f32_e32 v104, v124, v137
	v_mul_f32_e32 v161, v121, v136
	v_fmac_f32_e32 v160, v120, v147
	v_add_f32_e32 v102, v102, v159
	s_waitcnt vmcnt(3)
	v_fma_f32 v104, v123, v149, -v104
	v_mul_f32_e32 v162, v123, v137
	v_fmac_f32_e32 v161, v122, v148
	v_add_f32_e32 v102, v102, v160
	v_add_f32_e32 v103, v103, v104
	v_mul_f32_e32 v104, v126, v138
	v_mul_f32_e32 v163, v125, v138
	v_fmac_f32_e32 v162, v124, v149
	v_add_f32_e32 v102, v102, v161
	s_waitcnt vmcnt(2)
	v_fma_f32 v104, v125, v150, -v104
	v_fmac_f32_e32 v163, v126, v150
	v_add_f32_e32 v102, v102, v162
	v_add_f32_e32 v103, v103, v104
	;; [unrolled: 1-line block ×3, first 2 shown]
	s_waitcnt vmcnt(1)
	v_sub_f32_e32 v103, v151, v103
	s_waitcnt vmcnt(0)
	v_sub_f32_e32 v102, v152, v102
	buffer_store_dword v103, off, s[0:3], 0 offset:296
	buffer_store_dword v102, off, s[0:3], 0 offset:300
	s_and_saveexec_b64 s[4:5], vcc
	s_cbranch_execz .LBB49_241
; %bb.240:
	buffer_load_dword v102, off, s[0:3], 0 offset:288
	buffer_load_dword v103, off, s[0:3], 0 offset:292
	v_mov_b32_e32 v104, 0
	buffer_store_dword v104, off, s[0:3], 0 offset:288
	buffer_store_dword v104, off, s[0:3], 0 offset:292
	s_waitcnt vmcnt(2)
	ds_write_b64 v101, v[102:103]
.LBB49_241:
	s_or_b64 exec, exec, s[4:5]
	s_waitcnt lgkmcnt(0)
	; wave barrier
	buffer_load_dword v129, off, s[0:3], 0 offset:300
	buffer_load_dword v130, off, s[0:3], 0 offset:308
	;; [unrolled: 1-line block ×28, first 2 shown]
	v_mov_b32_e32 v102, 0
	ds_read2_b64 v[103:106], v102 offset0:87 offset1:88
	ds_read2_b64 v[107:110], v102 offset0:89 offset1:90
	;; [unrolled: 1-line block ×6, first 2 shown]
	ds_read_b64 v[127:128], v102 offset:792
	v_cmp_lt_u32_e32 vcc, 35, v0
	s_waitcnt vmcnt(27) lgkmcnt(6)
	v_mul_f32_e32 v157, v103, v129
	v_mul_f32_e32 v129, v104, v129
	s_waitcnt vmcnt(26)
	v_mul_f32_e32 v158, v105, v130
	v_mul_f32_e32 v130, v106, v130
	s_waitcnt vmcnt(25) lgkmcnt(5)
	v_mul_f32_e32 v159, v107, v131
	v_mul_f32_e32 v131, v108, v131
	s_waitcnt vmcnt(24)
	v_mul_f32_e32 v160, v109, v132
	v_mul_f32_e32 v132, v110, v132
	;; [unrolled: 6-line block ×3, first 2 shown]
	s_waitcnt vmcnt(21) lgkmcnt(3)
	v_mul_f32_e32 v163, v115, v135
	s_waitcnt vmcnt(14)
	v_fma_f32 v103, v103, v142, -v129
	v_fmac_f32_e32 v157, v104, v142
	s_waitcnt vmcnt(13)
	v_fma_f32 v104, v105, v143, -v130
	v_add_f32_e32 v103, 0, v103
	s_waitcnt vmcnt(12)
	v_fma_f32 v105, v107, v144, -v131
	v_add_f32_e32 v103, v103, v104
	v_fmac_f32_e32 v158, v106, v143
	s_waitcnt vmcnt(11)
	v_fma_f32 v106, v109, v145, -v132
	v_add_f32_e32 v103, v103, v105
	s_waitcnt vmcnt(10)
	v_fma_f32 v107, v111, v146, -v133
	v_add_f32_e32 v103, v103, v106
	v_fmac_f32_e32 v159, v108, v144
	s_waitcnt vmcnt(9)
	v_fma_f32 v108, v113, v147, -v134
	v_add_f32_e32 v103, v103, v107
	v_mul_f32_e32 v105, v116, v135
	v_add_f32_e32 v103, v103, v108
	s_waitcnt vmcnt(8)
	v_fma_f32 v105, v115, v148, -v105
	v_add_f32_e32 v103, v103, v105
	v_mul_f32_e32 v105, v118, v136
	v_add_f32_e32 v109, 0, v157
	s_waitcnt vmcnt(7)
	v_fma_f32 v105, v117, v149, -v105
	v_add_f32_e32 v109, v109, v158
	v_add_f32_e32 v103, v103, v105
	s_waitcnt lgkmcnt(2)
	v_mul_f32_e32 v105, v120, v137
	v_fmac_f32_e32 v160, v110, v145
	v_add_f32_e32 v104, v109, v159
	s_waitcnt vmcnt(6)
	v_fma_f32 v105, v119, v150, -v105
	v_fmac_f32_e32 v161, v112, v146
	v_add_f32_e32 v104, v104, v160
	v_add_f32_e32 v103, v103, v105
	v_mul_f32_e32 v105, v122, v138
	v_fmac_f32_e32 v162, v114, v147
	v_add_f32_e32 v104, v104, v161
	s_waitcnt vmcnt(5)
	v_fma_f32 v105, v121, v151, -v105
	v_mul_f32_e32 v164, v117, v136
	v_fmac_f32_e32 v163, v116, v148
	v_add_f32_e32 v104, v104, v162
	v_add_f32_e32 v103, v103, v105
	s_waitcnt lgkmcnt(1)
	v_mul_f32_e32 v105, v124, v139
	v_mul_f32_e32 v165, v119, v137
	v_fmac_f32_e32 v164, v118, v149
	v_add_f32_e32 v104, v104, v163
	s_waitcnt vmcnt(4)
	v_fma_f32 v105, v123, v152, -v105
	v_mul_f32_e32 v166, v121, v138
	v_fmac_f32_e32 v165, v120, v150
	v_add_f32_e32 v104, v104, v164
	v_add_f32_e32 v103, v103, v105
	v_mul_f32_e32 v105, v126, v140
	v_mul_f32_e32 v167, v123, v139
	v_fmac_f32_e32 v166, v122, v151
	v_add_f32_e32 v104, v104, v165
	s_waitcnt vmcnt(3)
	v_fma_f32 v105, v125, v153, -v105
	v_mul_f32_e32 v168, v125, v140
	v_fmac_f32_e32 v167, v124, v152
	v_add_f32_e32 v104, v104, v166
	v_add_f32_e32 v103, v103, v105
	s_waitcnt lgkmcnt(0)
	v_mul_f32_e32 v105, v128, v141
	v_mul_f32_e32 v169, v127, v141
	v_fmac_f32_e32 v168, v126, v153
	v_add_f32_e32 v104, v104, v167
	s_waitcnt vmcnt(2)
	v_fma_f32 v105, v127, v154, -v105
	v_fmac_f32_e32 v169, v128, v154
	v_add_f32_e32 v104, v104, v168
	v_add_f32_e32 v103, v103, v105
	;; [unrolled: 1-line block ×3, first 2 shown]
	s_waitcnt vmcnt(1)
	v_sub_f32_e32 v103, v155, v103
	s_waitcnt vmcnt(0)
	v_sub_f32_e32 v104, v156, v104
	buffer_store_dword v103, off, s[0:3], 0 offset:288
	buffer_store_dword v104, off, s[0:3], 0 offset:292
	s_and_saveexec_b64 s[4:5], vcc
	s_cbranch_execz .LBB49_243
; %bb.242:
	buffer_load_dword v103, off, s[0:3], 0 offset:280
	buffer_load_dword v104, off, s[0:3], 0 offset:284
	s_waitcnt vmcnt(0)
	ds_write_b64 v101, v[103:104]
	buffer_store_dword v102, off, s[0:3], 0 offset:280
	buffer_store_dword v102, off, s[0:3], 0 offset:284
.LBB49_243:
	s_or_b64 exec, exec, s[4:5]
	s_waitcnt lgkmcnt(0)
	; wave barrier
	buffer_load_dword v131, off, s[0:3], 0 offset:292
	buffer_load_dword v132, off, s[0:3], 0 offset:300
	;; [unrolled: 1-line block ×30, first 2 shown]
	ds_read_b128 v[103:106], v102 offset:688
	ds_read_b128 v[107:110], v102 offset:704
	;; [unrolled: 1-line block ×7, first 2 shown]
	v_cmp_lt_u32_e32 vcc, 34, v0
	s_waitcnt vmcnt(29) lgkmcnt(6)
	v_mul_f32_e32 v102, v103, v131
	v_mul_f32_e32 v131, v104, v131
	s_waitcnt vmcnt(28)
	v_mul_f32_e32 v161, v105, v132
	v_mul_f32_e32 v132, v106, v132
	s_waitcnt vmcnt(27) lgkmcnt(5)
	v_mul_f32_e32 v162, v107, v133
	v_mul_f32_e32 v133, v108, v133
	s_waitcnt vmcnt(26)
	v_mul_f32_e32 v163, v109, v134
	v_mul_f32_e32 v134, v110, v134
	s_waitcnt vmcnt(25) lgkmcnt(4)
	v_mul_f32_e32 v164, v111, v135
	v_mul_f32_e32 v135, v112, v135
	s_waitcnt vmcnt(24)
	v_mul_f32_e32 v165, v113, v136
	s_waitcnt vmcnt(23) lgkmcnt(3)
	v_mul_f32_e32 v166, v115, v137
	s_waitcnt vmcnt(22)
	v_mul_f32_e32 v167, v117, v138
	s_waitcnt vmcnt(21) lgkmcnt(2)
	v_mul_f32_e32 v168, v119, v139
	s_waitcnt vmcnt(15)
	v_fma_f32 v103, v103, v145, -v131
	v_fmac_f32_e32 v102, v104, v145
	s_waitcnt vmcnt(14)
	v_fma_f32 v104, v105, v146, -v132
	v_add_f32_e32 v103, 0, v103
	s_waitcnt vmcnt(13)
	v_fma_f32 v105, v107, v147, -v133
	v_add_f32_e32 v103, v103, v104
	v_fmac_f32_e32 v161, v106, v146
	s_waitcnt vmcnt(12)
	v_fma_f32 v106, v109, v148, -v134
	v_add_f32_e32 v103, v103, v105
	s_waitcnt vmcnt(11)
	v_fma_f32 v107, v111, v149, -v135
	v_add_f32_e32 v103, v103, v106
	v_mul_f32_e32 v104, v114, v136
	v_add_f32_e32 v103, v103, v107
	s_waitcnt vmcnt(10)
	v_fma_f32 v104, v113, v150, -v104
	v_add_f32_e32 v103, v103, v104
	v_mul_f32_e32 v104, v116, v137
	s_waitcnt vmcnt(9)
	v_fma_f32 v104, v115, v151, -v104
	v_add_f32_e32 v103, v103, v104
	v_mul_f32_e32 v104, v118, v138
	s_waitcnt vmcnt(8)
	v_fma_f32 v104, v117, v152, -v104
	v_add_f32_e32 v102, 0, v102
	v_add_f32_e32 v103, v103, v104
	v_mul_f32_e32 v104, v120, v139
	v_fmac_f32_e32 v162, v108, v147
	v_add_f32_e32 v102, v102, v161
	s_waitcnt vmcnt(7)
	v_fma_f32 v104, v119, v153, -v104
	v_fmac_f32_e32 v163, v110, v148
	v_add_f32_e32 v102, v102, v162
	v_add_f32_e32 v103, v103, v104
	v_mul_f32_e32 v104, v122, v140
	v_fmac_f32_e32 v164, v112, v149
	v_add_f32_e32 v102, v102, v163
	s_waitcnt vmcnt(6)
	v_fma_f32 v104, v121, v154, -v104
	v_fmac_f32_e32 v165, v114, v150
	v_add_f32_e32 v102, v102, v164
	v_add_f32_e32 v103, v103, v104
	s_waitcnt lgkmcnt(1)
	v_mul_f32_e32 v104, v124, v141
	v_fmac_f32_e32 v166, v116, v151
	v_add_f32_e32 v102, v102, v165
	s_waitcnt vmcnt(5)
	v_fma_f32 v104, v123, v155, -v104
	v_fmac_f32_e32 v167, v118, v152
	v_add_f32_e32 v102, v102, v166
	v_add_f32_e32 v103, v103, v104
	v_mul_f32_e32 v104, v126, v142
	v_mul_f32_e32 v169, v121, v140
	v_fmac_f32_e32 v168, v120, v153
	v_add_f32_e32 v102, v102, v167
	s_waitcnt vmcnt(4)
	v_fma_f32 v104, v125, v156, -v104
	v_mul_f32_e32 v170, v123, v141
	v_fmac_f32_e32 v169, v122, v154
	v_add_f32_e32 v102, v102, v168
	v_add_f32_e32 v103, v103, v104
	s_waitcnt lgkmcnt(0)
	v_mul_f32_e32 v104, v128, v143
	v_mul_f32_e32 v171, v125, v142
	v_fmac_f32_e32 v170, v124, v155
	v_add_f32_e32 v102, v102, v169
	s_waitcnt vmcnt(3)
	v_fma_f32 v104, v127, v157, -v104
	v_mul_f32_e32 v172, v127, v143
	v_fmac_f32_e32 v171, v126, v156
	v_add_f32_e32 v102, v102, v170
	v_add_f32_e32 v103, v103, v104
	v_mul_f32_e32 v104, v130, v144
	v_mul_f32_e32 v173, v129, v144
	v_fmac_f32_e32 v172, v128, v157
	v_add_f32_e32 v102, v102, v171
	s_waitcnt vmcnt(2)
	v_fma_f32 v104, v129, v158, -v104
	v_fmac_f32_e32 v173, v130, v158
	v_add_f32_e32 v102, v102, v172
	v_add_f32_e32 v103, v103, v104
	;; [unrolled: 1-line block ×3, first 2 shown]
	s_waitcnt vmcnt(1)
	v_sub_f32_e32 v103, v159, v103
	s_waitcnt vmcnt(0)
	v_sub_f32_e32 v102, v160, v102
	buffer_store_dword v103, off, s[0:3], 0 offset:280
	buffer_store_dword v102, off, s[0:3], 0 offset:284
	s_and_saveexec_b64 s[4:5], vcc
	s_cbranch_execz .LBB49_245
; %bb.244:
	buffer_load_dword v102, off, s[0:3], 0 offset:272
	buffer_load_dword v103, off, s[0:3], 0 offset:276
	v_mov_b32_e32 v104, 0
	buffer_store_dword v104, off, s[0:3], 0 offset:272
	buffer_store_dword v104, off, s[0:3], 0 offset:276
	s_waitcnt vmcnt(2)
	ds_write_b64 v101, v[102:103]
.LBB49_245:
	s_or_b64 exec, exec, s[4:5]
	s_waitcnt lgkmcnt(0)
	; wave barrier
	buffer_load_dword v133, off, s[0:3], 0 offset:284
	buffer_load_dword v134, off, s[0:3], 0 offset:292
	;; [unrolled: 1-line block ×32, first 2 shown]
	v_mov_b32_e32 v102, 0
	ds_read2_b64 v[103:106], v102 offset0:85 offset1:86
	ds_read2_b64 v[107:110], v102 offset0:87 offset1:88
	;; [unrolled: 1-line block ×7, first 2 shown]
	ds_read_b64 v[131:132], v102 offset:792
	v_cmp_lt_u32_e32 vcc, 33, v0
	s_waitcnt vmcnt(31) lgkmcnt(7)
	v_mul_f32_e32 v165, v103, v133
	v_mul_f32_e32 v133, v104, v133
	s_waitcnt vmcnt(30)
	v_mul_f32_e32 v166, v105, v134
	v_mul_f32_e32 v134, v106, v134
	s_waitcnt vmcnt(29) lgkmcnt(6)
	v_mul_f32_e32 v167, v107, v135
	v_mul_f32_e32 v135, v108, v135
	s_waitcnt vmcnt(28)
	v_mul_f32_e32 v168, v109, v136
	s_waitcnt vmcnt(27) lgkmcnt(5)
	v_mul_f32_e32 v169, v111, v137
	s_waitcnt vmcnt(26)
	v_mul_f32_e32 v170, v113, v138
	s_waitcnt vmcnt(25) lgkmcnt(4)
	;; [unrolled: 4-line block ×4, first 2 shown]
	v_mul_f32_e32 v175, v123, v143
	s_waitcnt vmcnt(20)
	v_mul_f32_e32 v176, v125, v144
	s_waitcnt vmcnt(16)
	v_fma_f32 v103, v103, v148, -v133
	v_fmac_f32_e32 v165, v104, v148
	s_waitcnt vmcnt(15)
	v_fma_f32 v104, v105, v149, -v134
	v_add_f32_e32 v103, 0, v103
	s_waitcnt vmcnt(14)
	v_fma_f32 v105, v107, v150, -v135
	v_add_f32_e32 v103, v103, v104
	v_add_f32_e32 v103, v103, v105
	v_mul_f32_e32 v105, v110, v136
	s_waitcnt vmcnt(13)
	v_fma_f32 v105, v109, v151, -v105
	v_add_f32_e32 v103, v103, v105
	v_mul_f32_e32 v105, v112, v137
	s_waitcnt vmcnt(12)
	v_fma_f32 v105, v111, v152, -v105
	;; [unrolled: 4-line block ×5, first 2 shown]
	v_add_f32_e32 v103, v103, v105
	v_mul_f32_e32 v105, v120, v141
	v_fmac_f32_e32 v166, v106, v149
	v_add_f32_e32 v106, 0, v165
	s_waitcnt vmcnt(8)
	v_fma_f32 v105, v119, v156, -v105
	v_fmac_f32_e32 v167, v108, v150
	v_add_f32_e32 v106, v106, v166
	v_add_f32_e32 v103, v103, v105
	v_mul_f32_e32 v105, v122, v142
	v_fmac_f32_e32 v168, v110, v151
	v_add_f32_e32 v104, v106, v167
	s_waitcnt vmcnt(7)
	v_fma_f32 v105, v121, v157, -v105
	v_fmac_f32_e32 v169, v112, v152
	v_add_f32_e32 v104, v104, v168
	;; [unrolled: 8-line block ×4, first 2 shown]
	v_add_f32_e32 v103, v103, v105
	s_waitcnt lgkmcnt(1)
	v_mul_f32_e32 v105, v128, v145
	v_fmac_f32_e32 v174, v122, v157
	v_add_f32_e32 v104, v104, v173
	s_waitcnt vmcnt(4)
	v_fma_f32 v105, v127, v160, -v105
	v_fmac_f32_e32 v175, v124, v158
	v_add_f32_e32 v104, v104, v174
	v_add_f32_e32 v103, v103, v105
	v_mul_f32_e32 v105, v130, v146
	v_mul_f32_e32 v177, v127, v145
	v_fmac_f32_e32 v176, v126, v159
	v_add_f32_e32 v104, v104, v175
	s_waitcnt vmcnt(3)
	v_fma_f32 v105, v129, v161, -v105
	v_mul_f32_e32 v178, v129, v146
	v_fmac_f32_e32 v177, v128, v160
	v_add_f32_e32 v104, v104, v176
	v_add_f32_e32 v103, v103, v105
	s_waitcnt lgkmcnt(0)
	v_mul_f32_e32 v105, v132, v147
	v_mul_f32_e32 v179, v131, v147
	v_fmac_f32_e32 v178, v130, v161
	v_add_f32_e32 v104, v104, v177
	s_waitcnt vmcnt(2)
	v_fma_f32 v105, v131, v162, -v105
	v_fmac_f32_e32 v179, v132, v162
	v_add_f32_e32 v104, v104, v178
	v_add_f32_e32 v103, v103, v105
	;; [unrolled: 1-line block ×3, first 2 shown]
	s_waitcnt vmcnt(1)
	v_sub_f32_e32 v103, v163, v103
	s_waitcnt vmcnt(0)
	v_sub_f32_e32 v104, v164, v104
	buffer_store_dword v103, off, s[0:3], 0 offset:272
	buffer_store_dword v104, off, s[0:3], 0 offset:276
	s_and_saveexec_b64 s[4:5], vcc
	s_cbranch_execz .LBB49_247
; %bb.246:
	buffer_load_dword v103, off, s[0:3], 0 offset:264
	buffer_load_dword v104, off, s[0:3], 0 offset:268
	s_waitcnt vmcnt(0)
	ds_write_b64 v101, v[103:104]
	buffer_store_dword v102, off, s[0:3], 0 offset:264
	buffer_store_dword v102, off, s[0:3], 0 offset:268
.LBB49_247:
	s_or_b64 exec, exec, s[4:5]
	s_waitcnt lgkmcnt(0)
	; wave barrier
	buffer_load_dword v135, off, s[0:3], 0 offset:276
	buffer_load_dword v136, off, s[0:3], 0 offset:284
	;; [unrolled: 1-line block ×34, first 2 shown]
	ds_read_b128 v[103:106], v102 offset:672
	ds_read_b128 v[107:110], v102 offset:688
	;; [unrolled: 1-line block ×8, first 2 shown]
	v_cmp_lt_u32_e32 vcc, 32, v0
	s_waitcnt vmcnt(33) lgkmcnt(7)
	v_mul_f32_e32 v102, v103, v135
	v_mul_f32_e32 v135, v104, v135
	s_waitcnt vmcnt(32)
	v_mul_f32_e32 v169, v105, v136
	v_mul_f32_e32 v136, v106, v136
	s_waitcnt vmcnt(31) lgkmcnt(6)
	v_mul_f32_e32 v170, v107, v137
	s_waitcnt vmcnt(30)
	v_mul_f32_e32 v171, v109, v138
	s_waitcnt vmcnt(29) lgkmcnt(5)
	v_mul_f32_e32 v172, v111, v139
	s_waitcnt vmcnt(28)
	v_mul_f32_e32 v173, v113, v140
	s_waitcnt vmcnt(27) lgkmcnt(4)
	v_mul_f32_e32 v174, v115, v141
	s_waitcnt vmcnt(26)
	v_mul_f32_e32 v175, v117, v142
	s_waitcnt vmcnt(25) lgkmcnt(3)
	v_mul_f32_e32 v176, v119, v143
	s_waitcnt vmcnt(24)
	v_mul_f32_e32 v177, v121, v144
	s_waitcnt vmcnt(23) lgkmcnt(2)
	v_mul_f32_e32 v178, v123, v145
	s_waitcnt vmcnt(22)
	v_mul_f32_e32 v179, v125, v146
	s_waitcnt vmcnt(21) lgkmcnt(1)
	v_mul_f32_e32 v180, v127, v147
	s_waitcnt vmcnt(20)
	v_mul_f32_e32 v181, v129, v148
	s_waitcnt vmcnt(17)
	v_fma_f32 v103, v103, v151, -v135
	v_fmac_f32_e32 v102, v104, v151
	s_waitcnt vmcnt(16)
	v_fma_f32 v104, v105, v152, -v136
	v_add_f32_e32 v103, 0, v103
	v_add_f32_e32 v103, v103, v104
	v_mul_f32_e32 v104, v108, v137
	s_waitcnt vmcnt(15)
	v_fma_f32 v104, v107, v153, -v104
	v_add_f32_e32 v103, v103, v104
	v_mul_f32_e32 v104, v110, v138
	s_waitcnt vmcnt(14)
	v_fma_f32 v104, v109, v154, -v104
	v_add_f32_e32 v103, v103, v104
	v_mul_f32_e32 v104, v112, v139
	s_waitcnt vmcnt(13)
	v_fma_f32 v104, v111, v155, -v104
	v_add_f32_e32 v103, v103, v104
	v_mul_f32_e32 v104, v114, v140
	s_waitcnt vmcnt(12)
	v_fma_f32 v104, v113, v156, -v104
	v_add_f32_e32 v103, v103, v104
	v_mul_f32_e32 v104, v116, v141
	s_waitcnt vmcnt(11)
	v_fma_f32 v104, v115, v157, -v104
	v_add_f32_e32 v103, v103, v104
	v_mul_f32_e32 v104, v118, v142
	s_waitcnt vmcnt(10)
	v_fma_f32 v104, v117, v158, -v104
	v_add_f32_e32 v103, v103, v104
	v_mul_f32_e32 v104, v120, v143
	s_waitcnt vmcnt(9)
	v_fma_f32 v104, v119, v159, -v104
	v_fmac_f32_e32 v169, v106, v152
	v_add_f32_e32 v102, 0, v102
	v_add_f32_e32 v103, v103, v104
	v_mul_f32_e32 v104, v122, v144
	v_fmac_f32_e32 v170, v108, v153
	v_add_f32_e32 v102, v102, v169
	s_waitcnt vmcnt(8)
	v_fma_f32 v104, v121, v160, -v104
	v_fmac_f32_e32 v171, v110, v154
	v_add_f32_e32 v102, v102, v170
	v_add_f32_e32 v103, v103, v104
	v_mul_f32_e32 v104, v124, v145
	v_fmac_f32_e32 v172, v112, v155
	v_add_f32_e32 v102, v102, v171
	s_waitcnt vmcnt(7)
	v_fma_f32 v104, v123, v161, -v104
	;; [unrolled: 8-line block ×5, first 2 shown]
	v_fmac_f32_e32 v179, v126, v162
	v_add_f32_e32 v102, v102, v178
	v_add_f32_e32 v103, v103, v104
	s_waitcnt lgkmcnt(0)
	v_mul_f32_e32 v104, v132, v149
	v_fmac_f32_e32 v180, v128, v163
	v_add_f32_e32 v102, v102, v179
	s_waitcnt vmcnt(3)
	v_fma_f32 v104, v131, v165, -v104
	v_mul_f32_e32 v182, v131, v149
	v_fmac_f32_e32 v181, v130, v164
	v_add_f32_e32 v102, v102, v180
	v_add_f32_e32 v103, v103, v104
	v_mul_f32_e32 v104, v134, v150
	v_mul_f32_e32 v183, v133, v150
	v_fmac_f32_e32 v182, v132, v165
	v_add_f32_e32 v102, v102, v181
	s_waitcnt vmcnt(2)
	v_fma_f32 v104, v133, v166, -v104
	v_fmac_f32_e32 v183, v134, v166
	v_add_f32_e32 v102, v102, v182
	v_add_f32_e32 v103, v103, v104
	;; [unrolled: 1-line block ×3, first 2 shown]
	s_waitcnt vmcnt(1)
	v_sub_f32_e32 v103, v167, v103
	s_waitcnt vmcnt(0)
	v_sub_f32_e32 v102, v168, v102
	buffer_store_dword v103, off, s[0:3], 0 offset:264
	buffer_store_dword v102, off, s[0:3], 0 offset:268
	s_and_saveexec_b64 s[4:5], vcc
	s_cbranch_execz .LBB49_249
; %bb.248:
	buffer_load_dword v102, off, s[0:3], 0 offset:256
	buffer_load_dword v103, off, s[0:3], 0 offset:260
	v_mov_b32_e32 v104, 0
	buffer_store_dword v104, off, s[0:3], 0 offset:256
	buffer_store_dword v104, off, s[0:3], 0 offset:260
	s_waitcnt vmcnt(2)
	ds_write_b64 v101, v[102:103]
.LBB49_249:
	s_or_b64 exec, exec, s[4:5]
	s_waitcnt lgkmcnt(0)
	; wave barrier
	buffer_load_dword v137, off, s[0:3], 0 offset:268
	buffer_load_dword v138, off, s[0:3], 0 offset:276
	;; [unrolled: 1-line block ×36, first 2 shown]
	v_mov_b32_e32 v102, 0
	ds_read2_b64 v[103:106], v102 offset0:83 offset1:84
	ds_read2_b64 v[107:110], v102 offset0:85 offset1:86
	;; [unrolled: 1-line block ×8, first 2 shown]
	ds_read_b64 v[135:136], v102 offset:792
	v_cmp_lt_u32_e32 vcc, 31, v0
	s_waitcnt vmcnt(35) lgkmcnt(8)
	v_mul_f32_e32 v173, v103, v137
	s_waitcnt vmcnt(34)
	v_mul_f32_e32 v174, v105, v138
	s_waitcnt vmcnt(33) lgkmcnt(7)
	v_mul_f32_e32 v175, v107, v139
	s_waitcnt vmcnt(32)
	v_mul_f32_e32 v176, v109, v140
	;; [unrolled: 4-line block ×8, first 2 shown]
	s_waitcnt vmcnt(19) lgkmcnt(0)
	v_mul_f32_e32 v189, v135, v153
	s_waitcnt vmcnt(18)
	v_fmac_f32_e32 v173, v104, v154
	v_mul_f32_e32 v104, v104, v137
	v_fma_f32 v103, v103, v154, -v104
	v_mul_f32_e32 v104, v106, v138
	v_add_f32_e32 v103, 0, v103
	s_waitcnt vmcnt(17)
	v_fma_f32 v104, v105, v155, -v104
	v_add_f32_e32 v103, v103, v104
	v_mul_f32_e32 v104, v108, v139
	s_waitcnt vmcnt(16)
	v_fma_f32 v104, v107, v156, -v104
	v_add_f32_e32 v103, v103, v104
	v_mul_f32_e32 v104, v110, v140
	;; [unrolled: 4-line block ×8, first 2 shown]
	v_fmac_f32_e32 v174, v106, v155
	v_add_f32_e32 v173, 0, v173
	s_waitcnt vmcnt(9)
	v_fma_f32 v104, v121, v163, -v104
	v_fmac_f32_e32 v175, v108, v156
	v_add_f32_e32 v173, v173, v174
	v_add_f32_e32 v103, v103, v104
	v_mul_f32_e32 v104, v124, v147
	v_fmac_f32_e32 v176, v110, v157
	v_add_f32_e32 v173, v173, v175
	s_waitcnt vmcnt(8)
	v_fma_f32 v104, v123, v164, -v104
	v_fmac_f32_e32 v177, v112, v158
	v_add_f32_e32 v173, v173, v176
	v_add_f32_e32 v103, v103, v104
	v_mul_f32_e32 v104, v126, v148
	;; [unrolled: 8-line block ×7, first 2 shown]
	v_fmac_f32_e32 v188, v134, v169
	v_add_f32_e32 v173, v173, v187
	s_waitcnt vmcnt(2)
	v_fma_f32 v104, v135, v170, -v104
	v_fmac_f32_e32 v189, v136, v170
	v_add_f32_e32 v173, v173, v188
	v_add_f32_e32 v103, v103, v104
	;; [unrolled: 1-line block ×3, first 2 shown]
	s_waitcnt vmcnt(1)
	v_sub_f32_e32 v103, v171, v103
	s_waitcnt vmcnt(0)
	v_sub_f32_e32 v104, v172, v173
	buffer_store_dword v103, off, s[0:3], 0 offset:256
	buffer_store_dword v104, off, s[0:3], 0 offset:260
	s_and_saveexec_b64 s[4:5], vcc
	s_cbranch_execz .LBB49_251
; %bb.250:
	buffer_load_dword v103, off, s[0:3], 0 offset:248
	buffer_load_dword v104, off, s[0:3], 0 offset:252
	s_waitcnt vmcnt(0)
	ds_write_b64 v101, v[103:104]
	buffer_store_dword v102, off, s[0:3], 0 offset:248
	buffer_store_dword v102, off, s[0:3], 0 offset:252
.LBB49_251:
	s_or_b64 exec, exec, s[4:5]
	s_waitcnt lgkmcnt(0)
	; wave barrier
	buffer_load_dword v139, off, s[0:3], 0 offset:260
	buffer_load_dword v140, off, s[0:3], 0 offset:268
	;; [unrolled: 1-line block ×38, first 2 shown]
	ds_read_b128 v[103:106], v102 offset:656
	ds_read_b128 v[107:110], v102 offset:672
	ds_read_b128 v[111:114], v102 offset:688
	ds_read_b128 v[115:118], v102 offset:704
	ds_read_b128 v[119:122], v102 offset:720
	ds_read_b128 v[123:126], v102 offset:736
	ds_read_b128 v[127:130], v102 offset:752
	ds_read_b128 v[131:134], v102 offset:768
	ds_read_b128 v[135:138], v102 offset:784
	v_cmp_lt_u32_e32 vcc, 30, v0
	s_waitcnt vmcnt(37) lgkmcnt(8)
	v_mul_f32_e32 v102, v103, v139
	s_waitcnt vmcnt(36)
	v_mul_f32_e32 v177, v105, v140
	s_waitcnt vmcnt(35) lgkmcnt(7)
	v_mul_f32_e32 v178, v107, v141
	s_waitcnt vmcnt(34)
	v_mul_f32_e32 v179, v109, v142
	;; [unrolled: 4-line block ×8, first 2 shown]
	s_waitcnt vmcnt(21) lgkmcnt(0)
	v_mul_f32_e32 v192, v135, v155
	s_waitcnt vmcnt(20)
	v_fmac_f32_e32 v102, v104, v156
	v_mul_f32_e32 v104, v104, v139
	v_fma_f32 v103, v103, v156, -v104
	v_mul_f32_e32 v104, v106, v140
	v_add_f32_e32 v103, 0, v103
	s_waitcnt vmcnt(19)
	v_fma_f32 v104, v105, v157, -v104
	v_add_f32_e32 v103, v103, v104
	v_mul_f32_e32 v104, v108, v141
	s_waitcnt vmcnt(18)
	v_fma_f32 v104, v107, v158, -v104
	v_add_f32_e32 v103, v103, v104
	v_mul_f32_e32 v104, v110, v142
	;; [unrolled: 4-line block ×8, first 2 shown]
	s_waitcnt vmcnt(11)
	v_fma_f32 v104, v121, v165, -v104
	v_fmac_f32_e32 v177, v106, v157
	v_add_f32_e32 v102, 0, v102
	v_add_f32_e32 v103, v103, v104
	v_mul_f32_e32 v104, v124, v149
	v_fmac_f32_e32 v178, v108, v158
	v_add_f32_e32 v102, v102, v177
	s_waitcnt vmcnt(10)
	v_fma_f32 v104, v123, v166, -v104
	v_fmac_f32_e32 v179, v110, v159
	v_add_f32_e32 v102, v102, v178
	v_add_f32_e32 v103, v103, v104
	v_mul_f32_e32 v104, v126, v150
	v_fmac_f32_e32 v180, v112, v160
	v_add_f32_e32 v102, v102, v179
	s_waitcnt vmcnt(9)
	v_fma_f32 v104, v125, v167, -v104
	v_fmac_f32_e32 v181, v114, v161
	v_add_f32_e32 v102, v102, v180
	v_add_f32_e32 v103, v103, v104
	v_mul_f32_e32 v104, v128, v151
	v_fmac_f32_e32 v182, v116, v162
	v_add_f32_e32 v102, v102, v181
	s_waitcnt vmcnt(8)
	v_fma_f32 v104, v127, v168, -v104
	v_fmac_f32_e32 v183, v118, v163
	v_add_f32_e32 v102, v102, v182
	v_add_f32_e32 v103, v103, v104
	v_mul_f32_e32 v104, v130, v152
	v_fmac_f32_e32 v184, v120, v164
	v_add_f32_e32 v102, v102, v183
	s_waitcnt vmcnt(7)
	v_fma_f32 v104, v129, v169, -v104
	v_fmac_f32_e32 v185, v122, v165
	v_add_f32_e32 v102, v102, v184
	v_add_f32_e32 v103, v103, v104
	v_mul_f32_e32 v104, v132, v153
	v_fmac_f32_e32 v186, v124, v166
	v_add_f32_e32 v102, v102, v185
	s_waitcnt vmcnt(6)
	v_fma_f32 v104, v131, v170, -v104
	v_fmac_f32_e32 v187, v126, v167
	v_add_f32_e32 v102, v102, v186
	v_add_f32_e32 v103, v103, v104
	v_mul_f32_e32 v104, v134, v154
	v_fmac_f32_e32 v188, v128, v168
	v_add_f32_e32 v102, v102, v187
	s_waitcnt vmcnt(5)
	v_fma_f32 v104, v133, v171, -v104
	v_fmac_f32_e32 v189, v130, v169
	v_add_f32_e32 v102, v102, v188
	v_add_f32_e32 v103, v103, v104
	v_mul_f32_e32 v104, v136, v155
	v_fmac_f32_e32 v190, v132, v170
	v_add_f32_e32 v102, v102, v189
	s_waitcnt vmcnt(4)
	v_fma_f32 v104, v135, v172, -v104
	v_fmac_f32_e32 v191, v134, v171
	v_add_f32_e32 v102, v102, v190
	v_add_f32_e32 v103, v103, v104
	s_waitcnt vmcnt(3)
	v_mul_f32_e32 v104, v138, v173
	v_add_f32_e32 v102, v102, v191
	v_fmac_f32_e32 v192, v136, v172
	v_mul_f32_e32 v177, v137, v173
	s_waitcnt vmcnt(2)
	v_fma_f32 v104, v137, v174, -v104
	v_add_f32_e32 v102, v102, v192
	v_fmac_f32_e32 v177, v138, v174
	v_add_f32_e32 v103, v103, v104
	v_add_f32_e32 v102, v102, v177
	s_waitcnt vmcnt(1)
	v_sub_f32_e32 v103, v175, v103
	s_waitcnt vmcnt(0)
	v_sub_f32_e32 v102, v176, v102
	buffer_store_dword v103, off, s[0:3], 0 offset:248
	buffer_store_dword v102, off, s[0:3], 0 offset:252
	s_and_saveexec_b64 s[4:5], vcc
	s_cbranch_execz .LBB49_253
; %bb.252:
	buffer_load_dword v102, off, s[0:3], 0 offset:240
	buffer_load_dword v103, off, s[0:3], 0 offset:244
	v_mov_b32_e32 v104, 0
	buffer_store_dword v104, off, s[0:3], 0 offset:240
	buffer_store_dword v104, off, s[0:3], 0 offset:244
	s_waitcnt vmcnt(2)
	ds_write_b64 v101, v[102:103]
.LBB49_253:
	s_or_b64 exec, exec, s[4:5]
	s_waitcnt lgkmcnt(0)
	; wave barrier
	buffer_load_dword v141, off, s[0:3], 0 offset:252
	buffer_load_dword v142, off, s[0:3], 0 offset:260
	;; [unrolled: 1-line block ×40, first 2 shown]
	v_mov_b32_e32 v102, 0
	ds_read2_b64 v[103:106], v102 offset0:81 offset1:82
	ds_read2_b64 v[107:110], v102 offset0:83 offset1:84
	;; [unrolled: 1-line block ×9, first 2 shown]
	v_cmp_lt_u32_e32 vcc, 29, v0
	s_waitcnt vmcnt(39) lgkmcnt(8)
	v_mul_f32_e32 v139, v103, v141
	s_waitcnt vmcnt(38)
	v_mul_f32_e32 v140, v105, v142
	s_waitcnt vmcnt(37) lgkmcnt(7)
	v_mul_f32_e32 v181, v107, v143
	s_waitcnt vmcnt(36)
	v_mul_f32_e32 v182, v109, v144
	;; [unrolled: 4-line block ×7, first 2 shown]
	s_waitcnt vmcnt(25) lgkmcnt(1)
	v_mul_f32_e32 v193, v131, v155
	s_waitcnt vmcnt(24)
	v_fmac_f32_e32 v139, v104, v156
	v_mul_f32_e32 v104, v104, v141
	v_fma_f32 v103, v103, v156, -v104
	v_mul_f32_e32 v104, v106, v142
	v_add_f32_e32 v103, 0, v103
	s_waitcnt vmcnt(23)
	v_fma_f32 v104, v105, v157, -v104
	v_add_f32_e32 v103, v103, v104
	v_mul_f32_e32 v104, v108, v143
	s_waitcnt vmcnt(22)
	v_fma_f32 v104, v107, v158, -v104
	v_add_f32_e32 v103, v103, v104
	v_mul_f32_e32 v104, v110, v144
	s_waitcnt vmcnt(21)
	v_fma_f32 v104, v109, v159, -v104
	v_add_f32_e32 v103, v103, v104
	v_mul_f32_e32 v104, v112, v145
	s_waitcnt vmcnt(20)
	v_fma_f32 v104, v111, v160, -v104
	v_add_f32_e32 v103, v103, v104
	v_mul_f32_e32 v104, v114, v146
	s_waitcnt vmcnt(19)
	v_fma_f32 v104, v113, v161, -v104
	v_add_f32_e32 v103, v103, v104
	v_mul_f32_e32 v104, v116, v147
	s_waitcnt vmcnt(18)
	v_fma_f32 v104, v115, v162, -v104
	v_add_f32_e32 v103, v103, v104
	v_mul_f32_e32 v104, v118, v148
	s_waitcnt vmcnt(17)
	v_fma_f32 v104, v117, v163, -v104
	v_fmac_f32_e32 v140, v106, v157
	v_add_f32_e32 v139, 0, v139
	v_add_f32_e32 v103, v103, v104
	v_mul_f32_e32 v104, v120, v149
	v_fmac_f32_e32 v181, v108, v158
	v_add_f32_e32 v139, v139, v140
	s_waitcnt vmcnt(16)
	v_fma_f32 v104, v119, v164, -v104
	v_fmac_f32_e32 v182, v110, v159
	v_add_f32_e32 v139, v139, v181
	v_add_f32_e32 v103, v103, v104
	v_mul_f32_e32 v104, v122, v150
	v_fmac_f32_e32 v183, v112, v160
	v_add_f32_e32 v139, v139, v182
	;; [unrolled: 8-line block ×6, first 2 shown]
	s_waitcnt vmcnt(11)
	v_fma_f32 v104, v129, v169, -v104
	v_fmac_f32_e32 v192, v130, v169
	v_add_f32_e32 v139, v139, v191
	v_add_f32_e32 v103, v103, v104
	v_mul_f32_e32 v104, v132, v155
	s_waitcnt vmcnt(10)
	v_fmac_f32_e32 v193, v132, v170
	v_add_f32_e32 v139, v139, v192
	s_waitcnt vmcnt(9)
	v_mul_f32_e32 v140, v133, v171
	v_fma_f32 v104, v131, v170, -v104
	v_add_f32_e32 v139, v139, v193
	s_waitcnt vmcnt(8)
	v_fmac_f32_e32 v140, v134, v172
	v_add_f32_e32 v103, v103, v104
	v_mul_f32_e32 v104, v134, v171
	v_add_f32_e32 v181, v139, v140
	ds_read_b64 v[139:140], v102 offset:792
	v_fma_f32 v104, v133, v172, -v104
	v_add_f32_e32 v103, v103, v104
	s_waitcnt vmcnt(7) lgkmcnt(1)
	v_mul_f32_e32 v104, v136, v173
	v_mul_f32_e32 v182, v135, v173
	s_waitcnt vmcnt(6)
	v_fma_f32 v104, v135, v174, -v104
	v_fmac_f32_e32 v182, v136, v174
	v_add_f32_e32 v103, v103, v104
	s_waitcnt vmcnt(5)
	v_mul_f32_e32 v104, v138, v175
	v_add_f32_e32 v181, v181, v182
	v_mul_f32_e32 v182, v137, v175
	s_waitcnt vmcnt(4)
	v_fma_f32 v104, v137, v176, -v104
	v_fmac_f32_e32 v182, v138, v176
	v_add_f32_e32 v103, v103, v104
	s_waitcnt vmcnt(3) lgkmcnt(0)
	v_mul_f32_e32 v104, v140, v177
	v_add_f32_e32 v181, v181, v182
	v_mul_f32_e32 v182, v139, v177
	s_waitcnt vmcnt(2)
	v_fma_f32 v104, v139, v178, -v104
	v_fmac_f32_e32 v182, v140, v178
	v_add_f32_e32 v103, v103, v104
	v_add_f32_e32 v181, v181, v182
	s_waitcnt vmcnt(1)
	v_sub_f32_e32 v103, v179, v103
	s_waitcnt vmcnt(0)
	v_sub_f32_e32 v104, v180, v181
	buffer_store_dword v103, off, s[0:3], 0 offset:240
	buffer_store_dword v104, off, s[0:3], 0 offset:244
	s_and_saveexec_b64 s[4:5], vcc
	s_cbranch_execz .LBB49_255
; %bb.254:
	buffer_load_dword v103, off, s[0:3], 0 offset:232
	buffer_load_dword v104, off, s[0:3], 0 offset:236
	s_waitcnt vmcnt(0)
	ds_write_b64 v101, v[103:104]
	buffer_store_dword v102, off, s[0:3], 0 offset:232
	buffer_store_dword v102, off, s[0:3], 0 offset:236
.LBB49_255:
	s_or_b64 exec, exec, s[4:5]
	s_waitcnt lgkmcnt(0)
	; wave barrier
	buffer_load_dword v143, off, s[0:3], 0 offset:244
	buffer_load_dword v144, off, s[0:3], 0 offset:252
	;; [unrolled: 1-line block ×42, first 2 shown]
	ds_read_b128 v[103:106], v102 offset:640
	ds_read_b128 v[107:110], v102 offset:656
	;; [unrolled: 1-line block ×8, first 2 shown]
	v_cmp_lt_u32_e32 vcc, 28, v0
	s_waitcnt vmcnt(41) lgkmcnt(7)
	v_mul_f32_e32 v135, v103, v143
	s_waitcnt vmcnt(40)
	v_mul_f32_e32 v136, v105, v144
	s_waitcnt vmcnt(39) lgkmcnt(6)
	v_mul_f32_e32 v137, v107, v145
	s_waitcnt vmcnt(38)
	v_mul_f32_e32 v138, v109, v146
	;; [unrolled: 4-line block ×7, first 2 shown]
	s_waitcnt vmcnt(27) lgkmcnt(0)
	v_mul_f32_e32 v191, v131, v157
	s_waitcnt vmcnt(26)
	v_fmac_f32_e32 v135, v104, v158
	v_mul_f32_e32 v104, v104, v143
	v_fma_f32 v103, v103, v158, -v104
	v_mul_f32_e32 v104, v106, v144
	v_add_f32_e32 v103, 0, v103
	s_waitcnt vmcnt(25)
	v_fma_f32 v104, v105, v159, -v104
	v_add_f32_e32 v103, v103, v104
	v_mul_f32_e32 v104, v108, v145
	s_waitcnt vmcnt(24)
	v_fma_f32 v104, v107, v160, -v104
	v_add_f32_e32 v103, v103, v104
	v_mul_f32_e32 v104, v110, v146
	;; [unrolled: 4-line block ×5, first 2 shown]
	v_fmac_f32_e32 v136, v106, v159
	v_add_f32_e32 v135, 0, v135
	s_waitcnt vmcnt(20)
	v_fma_f32 v104, v115, v164, -v104
	v_fmac_f32_e32 v137, v108, v160
	v_add_f32_e32 v135, v135, v136
	v_add_f32_e32 v103, v103, v104
	v_mul_f32_e32 v104, v118, v150
	v_fmac_f32_e32 v138, v110, v161
	v_add_f32_e32 v135, v135, v137
	s_waitcnt vmcnt(19)
	v_fma_f32 v104, v117, v165, -v104
	v_fmac_f32_e32 v139, v112, v162
	v_add_f32_e32 v135, v135, v138
	v_add_f32_e32 v103, v103, v104
	v_mul_f32_e32 v104, v120, v151
	;; [unrolled: 8-line block ×5, first 2 shown]
	s_waitcnt vmcnt(15)
	v_fmac_f32_e32 v188, v126, v169
	v_add_f32_e32 v135, v135, v187
	v_fma_f32 v104, v125, v169, -v104
	s_waitcnt vmcnt(14)
	v_fmac_f32_e32 v189, v128, v170
	v_add_f32_e32 v135, v135, v188
	v_add_f32_e32 v103, v103, v104
	v_mul_f32_e32 v104, v128, v155
	s_waitcnt vmcnt(13)
	v_fmac_f32_e32 v190, v130, v171
	v_add_f32_e32 v135, v135, v189
	v_fma_f32 v104, v127, v170, -v104
	s_waitcnt vmcnt(12)
	v_fmac_f32_e32 v191, v132, v172
	v_add_f32_e32 v135, v135, v190
	v_add_f32_e32 v103, v103, v104
	v_mul_f32_e32 v104, v130, v156
	v_add_f32_e32 v139, v135, v191
	ds_read_b128 v[135:138], v102 offset:768
	v_fma_f32 v104, v129, v171, -v104
	v_add_f32_e32 v103, v103, v104
	v_mul_f32_e32 v104, v132, v157
	s_waitcnt vmcnt(11)
	v_mul_f32_e32 v140, v133, v173
	v_fma_f32 v104, v131, v172, -v104
	s_waitcnt vmcnt(10)
	v_fmac_f32_e32 v140, v134, v174
	v_add_f32_e32 v103, v103, v104
	v_mul_f32_e32 v104, v134, v173
	v_add_f32_e32 v185, v139, v140
	ds_read_b128 v[139:142], v102 offset:784
	v_fma_f32 v104, v133, v174, -v104
	v_add_f32_e32 v103, v103, v104
	s_waitcnt vmcnt(9) lgkmcnt(1)
	v_mul_f32_e32 v104, v136, v175
	v_mul_f32_e32 v102, v135, v175
	s_waitcnt vmcnt(8)
	v_fma_f32 v104, v135, v176, -v104
	v_fmac_f32_e32 v102, v136, v176
	v_add_f32_e32 v103, v103, v104
	s_waitcnt vmcnt(7)
	v_mul_f32_e32 v104, v138, v177
	v_add_f32_e32 v102, v185, v102
	v_mul_f32_e32 v185, v137, v177
	s_waitcnt vmcnt(6)
	v_fma_f32 v104, v137, v178, -v104
	v_fmac_f32_e32 v185, v138, v178
	v_add_f32_e32 v103, v103, v104
	s_waitcnt vmcnt(5) lgkmcnt(0)
	v_mul_f32_e32 v104, v140, v179
	v_add_f32_e32 v102, v102, v185
	v_mul_f32_e32 v185, v139, v179
	s_waitcnt vmcnt(4)
	v_fma_f32 v104, v139, v180, -v104
	v_fmac_f32_e32 v185, v140, v180
	v_add_f32_e32 v103, v103, v104
	s_waitcnt vmcnt(3)
	v_mul_f32_e32 v104, v142, v181
	v_add_f32_e32 v102, v102, v185
	v_mul_f32_e32 v185, v141, v181
	s_waitcnt vmcnt(2)
	v_fma_f32 v104, v141, v182, -v104
	v_fmac_f32_e32 v185, v142, v182
	v_add_f32_e32 v103, v103, v104
	v_add_f32_e32 v102, v102, v185
	s_waitcnt vmcnt(1)
	v_sub_f32_e32 v103, v183, v103
	s_waitcnt vmcnt(0)
	v_sub_f32_e32 v102, v184, v102
	buffer_store_dword v103, off, s[0:3], 0 offset:232
	buffer_store_dword v102, off, s[0:3], 0 offset:236
	s_and_saveexec_b64 s[4:5], vcc
	s_cbranch_execz .LBB49_257
; %bb.256:
	buffer_load_dword v102, off, s[0:3], 0 offset:224
	buffer_load_dword v103, off, s[0:3], 0 offset:228
	v_mov_b32_e32 v104, 0
	buffer_store_dword v104, off, s[0:3], 0 offset:224
	buffer_store_dword v104, off, s[0:3], 0 offset:228
	s_waitcnt vmcnt(2)
	ds_write_b64 v101, v[102:103]
.LBB49_257:
	s_or_b64 exec, exec, s[4:5]
	s_waitcnt lgkmcnt(0)
	; wave barrier
	buffer_load_dword v145, off, s[0:3], 0 offset:236
	buffer_load_dword v146, off, s[0:3], 0 offset:244
	;; [unrolled: 1-line block ×44, first 2 shown]
	v_mov_b32_e32 v102, 0
	ds_read2_b64 v[103:106], v102 offset0:79 offset1:80
	ds_read2_b64 v[107:110], v102 offset0:81 offset1:82
	;; [unrolled: 1-line block ×8, first 2 shown]
	v_cmp_lt_u32_e32 vcc, 27, v0
	s_waitcnt vmcnt(43) lgkmcnt(7)
	v_mul_f32_e32 v135, v103, v145
	s_waitcnt vmcnt(42)
	v_mul_f32_e32 v136, v105, v146
	s_waitcnt vmcnt(41) lgkmcnt(6)
	v_mul_f32_e32 v137, v107, v147
	s_waitcnt vmcnt(40)
	v_mul_f32_e32 v138, v109, v148
	;; [unrolled: 4-line block ×7, first 2 shown]
	s_waitcnt vmcnt(29)
	v_fmac_f32_e32 v135, v104, v159
	v_mul_f32_e32 v104, v104, v145
	v_fma_f32 v103, v103, v159, -v104
	v_mul_f32_e32 v104, v106, v146
	v_add_f32_e32 v103, 0, v103
	s_waitcnt vmcnt(28)
	v_fma_f32 v104, v105, v160, -v104
	v_add_f32_e32 v103, v103, v104
	v_mul_f32_e32 v104, v108, v147
	s_waitcnt vmcnt(27)
	v_fma_f32 v104, v107, v161, -v104
	v_add_f32_e32 v103, v103, v104
	v_mul_f32_e32 v104, v110, v148
	;; [unrolled: 4-line block ×4, first 2 shown]
	s_waitcnt vmcnt(24)
	v_fma_f32 v104, v113, v164, -v104
	v_fmac_f32_e32 v136, v106, v160
	v_add_f32_e32 v135, 0, v135
	v_add_f32_e32 v103, v103, v104
	v_mul_f32_e32 v104, v116, v151
	v_fmac_f32_e32 v137, v108, v161
	v_add_f32_e32 v135, v135, v136
	s_waitcnt vmcnt(23)
	v_fma_f32 v104, v115, v165, -v104
	v_fmac_f32_e32 v138, v110, v162
	v_add_f32_e32 v135, v135, v137
	v_add_f32_e32 v103, v103, v104
	v_mul_f32_e32 v104, v118, v152
	v_fmac_f32_e32 v139, v112, v163
	v_add_f32_e32 v135, v135, v138
	s_waitcnt vmcnt(22)
	v_fma_f32 v104, v117, v166, -v104
	v_fmac_f32_e32 v140, v114, v164
	v_add_f32_e32 v135, v135, v139
	v_add_f32_e32 v103, v103, v104
	v_mul_f32_e32 v104, v120, v153
	v_fmac_f32_e32 v141, v116, v165
	v_add_f32_e32 v135, v135, v140
	s_waitcnt vmcnt(21)
	v_fma_f32 v104, v119, v167, -v104
	v_fmac_f32_e32 v142, v118, v166
	v_add_f32_e32 v135, v135, v141
	v_add_f32_e32 v103, v103, v104
	v_mul_f32_e32 v104, v122, v154
	v_fmac_f32_e32 v143, v120, v167
	v_add_f32_e32 v135, v135, v142
	s_waitcnt vmcnt(20)
	v_fma_f32 v104, v121, v168, -v104
	v_fmac_f32_e32 v144, v122, v168
	v_add_f32_e32 v135, v135, v143
	v_add_f32_e32 v103, v103, v104
	v_mul_f32_e32 v104, v124, v155
	s_waitcnt vmcnt(19)
	v_fmac_f32_e32 v189, v124, v169
	v_add_f32_e32 v135, v135, v144
	v_fma_f32 v104, v123, v169, -v104
	s_waitcnt vmcnt(18)
	v_fmac_f32_e32 v190, v126, v170
	v_add_f32_e32 v135, v135, v189
	v_add_f32_e32 v103, v103, v104
	v_mul_f32_e32 v104, v126, v156
	s_waitcnt vmcnt(17)
	v_fmac_f32_e32 v191, v128, v171
	v_add_f32_e32 v135, v135, v190
	v_fma_f32 v104, v125, v170, -v104
	v_add_f32_e32 v135, v135, v191
	s_waitcnt vmcnt(16)
	v_fmac_f32_e32 v192, v130, v172
	s_waitcnt vmcnt(15) lgkmcnt(0)
	v_mul_f32_e32 v136, v131, v173
	v_add_f32_e32 v103, v103, v104
	v_mul_f32_e32 v104, v128, v157
	v_add_f32_e32 v135, v135, v192
	s_waitcnt vmcnt(14)
	v_fmac_f32_e32 v136, v132, v174
	v_fma_f32 v104, v127, v171, -v104
	v_add_f32_e32 v139, v135, v136
	ds_read2_b64 v[135:138], v102 offset0:95 offset1:96
	v_add_f32_e32 v103, v103, v104
	v_mul_f32_e32 v104, v130, v158
	v_fma_f32 v104, v129, v172, -v104
	v_add_f32_e32 v103, v103, v104
	v_mul_f32_e32 v104, v132, v173
	s_waitcnt vmcnt(13)
	v_mul_f32_e32 v140, v133, v175
	v_fma_f32 v104, v131, v174, -v104
	s_waitcnt vmcnt(12)
	v_fmac_f32_e32 v140, v134, v176
	v_add_f32_e32 v103, v103, v104
	v_mul_f32_e32 v104, v134, v175
	v_add_f32_e32 v143, v139, v140
	ds_read2_b64 v[139:142], v102 offset0:97 offset1:98
	s_waitcnt vmcnt(11) lgkmcnt(1)
	v_mul_f32_e32 v144, v135, v177
	v_fma_f32 v104, v133, v176, -v104
	s_waitcnt vmcnt(10)
	v_fmac_f32_e32 v144, v136, v178
	v_add_f32_e32 v103, v103, v104
	v_mul_f32_e32 v104, v136, v177
	v_add_f32_e32 v143, v143, v144
	s_waitcnt vmcnt(9)
	v_mul_f32_e32 v144, v137, v179
	v_fma_f32 v104, v135, v178, -v104
	s_waitcnt vmcnt(8)
	v_fmac_f32_e32 v144, v138, v180
	v_add_f32_e32 v103, v103, v104
	v_mul_f32_e32 v104, v138, v179
	v_add_f32_e32 v189, v143, v144
	ds_read_b64 v[143:144], v102 offset:792
	v_fma_f32 v104, v137, v180, -v104
	v_add_f32_e32 v103, v103, v104
	s_waitcnt vmcnt(7) lgkmcnt(1)
	v_mul_f32_e32 v104, v140, v181
	v_mul_f32_e32 v190, v139, v181
	s_waitcnt vmcnt(6)
	v_fma_f32 v104, v139, v182, -v104
	v_fmac_f32_e32 v190, v140, v182
	v_add_f32_e32 v103, v103, v104
	s_waitcnt vmcnt(5)
	v_mul_f32_e32 v104, v142, v183
	v_add_f32_e32 v189, v189, v190
	v_mul_f32_e32 v190, v141, v183
	s_waitcnt vmcnt(4)
	v_fma_f32 v104, v141, v184, -v104
	v_fmac_f32_e32 v190, v142, v184
	v_add_f32_e32 v103, v103, v104
	s_waitcnt vmcnt(3) lgkmcnt(0)
	v_mul_f32_e32 v104, v144, v185
	v_add_f32_e32 v189, v189, v190
	v_mul_f32_e32 v190, v143, v185
	s_waitcnt vmcnt(2)
	v_fma_f32 v104, v143, v186, -v104
	v_fmac_f32_e32 v190, v144, v186
	v_add_f32_e32 v103, v103, v104
	v_add_f32_e32 v189, v189, v190
	s_waitcnt vmcnt(1)
	v_sub_f32_e32 v103, v187, v103
	s_waitcnt vmcnt(0)
	v_sub_f32_e32 v104, v188, v189
	buffer_store_dword v103, off, s[0:3], 0 offset:224
	buffer_store_dword v104, off, s[0:3], 0 offset:228
	s_and_saveexec_b64 s[4:5], vcc
	s_cbranch_execz .LBB49_259
; %bb.258:
	buffer_load_dword v103, off, s[0:3], 0 offset:216
	buffer_load_dword v104, off, s[0:3], 0 offset:220
	s_waitcnt vmcnt(0)
	ds_write_b64 v101, v[103:104]
	buffer_store_dword v102, off, s[0:3], 0 offset:216
	buffer_store_dword v102, off, s[0:3], 0 offset:220
.LBB49_259:
	s_or_b64 exec, exec, s[4:5]
	s_waitcnt lgkmcnt(0)
	; wave barrier
	buffer_load_dword v147, off, s[0:3], 0 offset:228
	buffer_load_dword v148, off, s[0:3], 0 offset:236
	;; [unrolled: 1-line block ×46, first 2 shown]
	ds_read_b128 v[103:106], v102 offset:624
	ds_read_b128 v[107:110], v102 offset:640
	;; [unrolled: 1-line block ×8, first 2 shown]
	v_cmp_lt_u32_e32 vcc, 26, v0
	s_waitcnt vmcnt(45) lgkmcnt(7)
	v_mul_f32_e32 v135, v103, v147
	s_waitcnt vmcnt(44)
	v_mul_f32_e32 v136, v105, v148
	s_waitcnt vmcnt(43) lgkmcnt(6)
	v_mul_f32_e32 v137, v107, v149
	s_waitcnt vmcnt(42)
	v_mul_f32_e32 v138, v109, v150
	;; [unrolled: 4-line block ×6, first 2 shown]
	s_waitcnt vmcnt(33) lgkmcnt(1)
	v_mul_f32_e32 v193, v127, v159
	s_waitcnt vmcnt(32)
	v_fmac_f32_e32 v135, v104, v160
	v_mul_f32_e32 v104, v104, v147
	v_fma_f32 v103, v103, v160, -v104
	v_mul_f32_e32 v104, v106, v148
	v_add_f32_e32 v103, 0, v103
	s_waitcnt vmcnt(31)
	v_fma_f32 v104, v105, v161, -v104
	v_add_f32_e32 v103, v103, v104
	v_mul_f32_e32 v104, v108, v149
	s_waitcnt vmcnt(30)
	v_fma_f32 v104, v107, v162, -v104
	v_add_f32_e32 v103, v103, v104
	v_mul_f32_e32 v104, v110, v150
	;; [unrolled: 4-line block ×4, first 2 shown]
	v_fmac_f32_e32 v136, v106, v161
	v_add_f32_e32 v135, 0, v135
	s_waitcnt vmcnt(27)
	v_fma_f32 v104, v113, v165, -v104
	v_fmac_f32_e32 v137, v108, v162
	v_add_f32_e32 v135, v135, v136
	v_add_f32_e32 v103, v103, v104
	v_mul_f32_e32 v104, v116, v153
	v_fmac_f32_e32 v138, v110, v163
	v_add_f32_e32 v135, v135, v137
	s_waitcnt vmcnt(26)
	v_fma_f32 v104, v115, v166, -v104
	v_fmac_f32_e32 v139, v112, v164
	v_add_f32_e32 v135, v135, v138
	v_add_f32_e32 v103, v103, v104
	v_mul_f32_e32 v104, v118, v154
	;; [unrolled: 8-line block ×4, first 2 shown]
	s_waitcnt vmcnt(23)
	v_fmac_f32_e32 v144, v122, v169
	v_add_f32_e32 v135, v135, v143
	v_fma_f32 v104, v121, v169, -v104
	s_waitcnt vmcnt(22)
	v_fmac_f32_e32 v145, v124, v170
	v_add_f32_e32 v135, v135, v144
	v_add_f32_e32 v103, v103, v104
	v_mul_f32_e32 v104, v124, v157
	s_waitcnt vmcnt(21)
	v_fmac_f32_e32 v146, v126, v171
	v_add_f32_e32 v135, v135, v145
	v_fma_f32 v104, v123, v170, -v104
	s_waitcnt vmcnt(20)
	v_fmac_f32_e32 v193, v128, v172
	v_add_f32_e32 v135, v135, v146
	s_waitcnt vmcnt(19)
	v_mul_f32_e32 v136, v129, v173
	v_add_f32_e32 v103, v103, v104
	v_mul_f32_e32 v104, v126, v158
	v_add_f32_e32 v135, v135, v193
	s_waitcnt vmcnt(18)
	v_fmac_f32_e32 v136, v130, v174
	v_fma_f32 v104, v125, v171, -v104
	v_add_f32_e32 v135, v135, v136
	s_waitcnt vmcnt(17) lgkmcnt(0)
	v_mul_f32_e32 v136, v131, v175
	v_add_f32_e32 v103, v103, v104
	v_mul_f32_e32 v104, v128, v159
	s_waitcnt vmcnt(16)
	v_fmac_f32_e32 v136, v132, v176
	v_fma_f32 v104, v127, v172, -v104
	v_add_f32_e32 v139, v135, v136
	ds_read_b128 v[135:138], v102 offset:752
	v_add_f32_e32 v103, v103, v104
	v_mul_f32_e32 v104, v130, v173
	v_fma_f32 v104, v129, v174, -v104
	v_add_f32_e32 v103, v103, v104
	v_mul_f32_e32 v104, v132, v175
	s_waitcnt vmcnt(15)
	v_mul_f32_e32 v140, v133, v177
	v_fma_f32 v104, v131, v176, -v104
	s_waitcnt vmcnt(14)
	v_fmac_f32_e32 v140, v134, v178
	v_add_f32_e32 v103, v103, v104
	v_mul_f32_e32 v104, v134, v177
	v_add_f32_e32 v143, v139, v140
	ds_read_b128 v[139:142], v102 offset:768
	s_waitcnt vmcnt(13) lgkmcnt(1)
	v_mul_f32_e32 v144, v135, v179
	v_fma_f32 v104, v133, v178, -v104
	s_waitcnt vmcnt(12)
	v_fmac_f32_e32 v144, v136, v180
	v_add_f32_e32 v103, v103, v104
	v_mul_f32_e32 v104, v136, v179
	v_add_f32_e32 v143, v143, v144
	s_waitcnt vmcnt(11)
	v_mul_f32_e32 v144, v137, v181
	v_fma_f32 v104, v135, v180, -v104
	s_waitcnt vmcnt(10)
	v_fmac_f32_e32 v144, v138, v182
	v_add_f32_e32 v103, v103, v104
	v_mul_f32_e32 v104, v138, v181
	v_add_f32_e32 v193, v143, v144
	ds_read_b128 v[143:146], v102 offset:784
	v_fma_f32 v104, v137, v182, -v104
	v_add_f32_e32 v103, v103, v104
	s_waitcnt vmcnt(9) lgkmcnt(1)
	v_mul_f32_e32 v104, v140, v183
	v_mul_f32_e32 v194, v139, v183
	s_waitcnt vmcnt(8)
	v_fma_f32 v104, v139, v184, -v104
	v_fmac_f32_e32 v194, v140, v184
	v_add_f32_e32 v103, v103, v104
	s_waitcnt vmcnt(7)
	v_mul_f32_e32 v104, v142, v185
	v_add_f32_e32 v102, v193, v194
	v_mul_f32_e32 v193, v141, v185
	s_waitcnt vmcnt(6)
	v_fma_f32 v104, v141, v186, -v104
	v_fmac_f32_e32 v193, v142, v186
	v_add_f32_e32 v103, v103, v104
	s_waitcnt vmcnt(5) lgkmcnt(0)
	v_mul_f32_e32 v104, v144, v187
	v_add_f32_e32 v102, v102, v193
	v_mul_f32_e32 v193, v143, v187
	s_waitcnt vmcnt(4)
	v_fma_f32 v104, v143, v188, -v104
	v_fmac_f32_e32 v193, v144, v188
	v_add_f32_e32 v103, v103, v104
	s_waitcnt vmcnt(3)
	v_mul_f32_e32 v104, v146, v189
	v_add_f32_e32 v102, v102, v193
	v_mul_f32_e32 v193, v145, v189
	s_waitcnt vmcnt(2)
	v_fma_f32 v104, v145, v190, -v104
	v_fmac_f32_e32 v193, v146, v190
	v_add_f32_e32 v103, v103, v104
	v_add_f32_e32 v102, v102, v193
	s_waitcnt vmcnt(1)
	v_sub_f32_e32 v103, v191, v103
	s_waitcnt vmcnt(0)
	v_sub_f32_e32 v102, v192, v102
	buffer_store_dword v103, off, s[0:3], 0 offset:216
	buffer_store_dword v102, off, s[0:3], 0 offset:220
	s_and_saveexec_b64 s[4:5], vcc
	s_cbranch_execz .LBB49_261
; %bb.260:
	buffer_load_dword v102, off, s[0:3], 0 offset:208
	buffer_load_dword v103, off, s[0:3], 0 offset:212
	v_mov_b32_e32 v104, 0
	buffer_store_dword v104, off, s[0:3], 0 offset:208
	buffer_store_dword v104, off, s[0:3], 0 offset:212
	s_waitcnt vmcnt(2)
	ds_write_b64 v101, v[102:103]
.LBB49_261:
	s_or_b64 exec, exec, s[4:5]
	s_waitcnt lgkmcnt(0)
	; wave barrier
	buffer_load_dword v149, off, s[0:3], 0 offset:220
	buffer_load_dword v150, off, s[0:3], 0 offset:228
	;; [unrolled: 1-line block ×48, first 2 shown]
	v_mov_b32_e32 v102, 0
	ds_read2_b64 v[103:106], v102 offset0:77 offset1:78
	ds_read2_b64 v[107:110], v102 offset0:79 offset1:80
	;; [unrolled: 1-line block ×7, first 2 shown]
	v_cmp_lt_u32_e32 vcc, 25, v0
	s_waitcnt vmcnt(47) lgkmcnt(6)
	v_mul_f32_e32 v131, v103, v149
	s_waitcnt vmcnt(46)
	v_mul_f32_e32 v132, v105, v150
	s_waitcnt vmcnt(45) lgkmcnt(5)
	v_mul_f32_e32 v133, v107, v151
	s_waitcnt vmcnt(44)
	v_mul_f32_e32 v134, v109, v152
	;; [unrolled: 4-line block ×6, first 2 shown]
	s_waitcnt vmcnt(35)
	v_fmac_f32_e32 v131, v104, v161
	v_mul_f32_e32 v104, v104, v149
	v_fma_f32 v103, v103, v161, -v104
	v_mul_f32_e32 v104, v106, v150
	v_add_f32_e32 v103, 0, v103
	s_waitcnt vmcnt(34)
	v_fma_f32 v104, v105, v162, -v104
	v_add_f32_e32 v103, v103, v104
	v_mul_f32_e32 v104, v108, v151
	s_waitcnt vmcnt(33)
	v_fma_f32 v104, v107, v163, -v104
	v_fmac_f32_e32 v132, v106, v162
	v_add_f32_e32 v131, 0, v131
	v_add_f32_e32 v103, v103, v104
	v_mul_f32_e32 v104, v110, v152
	v_fmac_f32_e32 v133, v108, v163
	v_add_f32_e32 v131, v131, v132
	s_waitcnt vmcnt(32)
	v_fma_f32 v104, v109, v164, -v104
	v_fmac_f32_e32 v134, v110, v164
	v_add_f32_e32 v131, v131, v133
	v_add_f32_e32 v103, v103, v104
	v_mul_f32_e32 v104, v112, v153
	s_waitcnt vmcnt(31)
	v_fmac_f32_e32 v135, v112, v165
	v_add_f32_e32 v131, v131, v134
	v_fma_f32 v104, v111, v165, -v104
	s_waitcnt vmcnt(30)
	v_fmac_f32_e32 v136, v114, v166
	v_add_f32_e32 v131, v131, v135
	v_add_f32_e32 v103, v103, v104
	v_mul_f32_e32 v104, v114, v154
	s_waitcnt vmcnt(29)
	v_fmac_f32_e32 v137, v116, v167
	v_add_f32_e32 v131, v131, v136
	v_fma_f32 v104, v113, v166, -v104
	s_waitcnt vmcnt(28)
	;; [unrolled: 9-line block ×4, first 2 shown]
	v_fmac_f32_e32 v142, v126, v172
	v_add_f32_e32 v131, v131, v141
	v_add_f32_e32 v103, v103, v104
	v_mul_f32_e32 v104, v120, v157
	v_add_f32_e32 v135, v131, v142
	ds_read2_b64 v[131:134], v102 offset0:91 offset1:92
	v_fma_f32 v104, v119, v169, -v104
	s_waitcnt vmcnt(23) lgkmcnt(1)
	v_mul_f32_e32 v136, v127, v173
	v_add_f32_e32 v103, v103, v104
	v_mul_f32_e32 v104, v122, v158
	s_waitcnt vmcnt(22)
	v_fmac_f32_e32 v136, v128, v174
	v_fma_f32 v104, v121, v170, -v104
	v_add_f32_e32 v135, v135, v136
	s_waitcnt vmcnt(21)
	v_mul_f32_e32 v136, v129, v175
	v_add_f32_e32 v103, v103, v104
	v_mul_f32_e32 v104, v124, v159
	s_waitcnt vmcnt(20)
	v_fmac_f32_e32 v136, v130, v176
	v_fma_f32 v104, v123, v171, -v104
	v_add_f32_e32 v135, v135, v136
	s_waitcnt vmcnt(19) lgkmcnt(0)
	v_mul_f32_e32 v136, v131, v177
	v_add_f32_e32 v103, v103, v104
	v_mul_f32_e32 v104, v126, v160
	s_waitcnt vmcnt(18)
	v_fmac_f32_e32 v136, v132, v178
	v_fma_f32 v104, v125, v172, -v104
	v_add_f32_e32 v139, v135, v136
	ds_read2_b64 v[135:138], v102 offset0:93 offset1:94
	v_add_f32_e32 v103, v103, v104
	v_mul_f32_e32 v104, v128, v173
	v_fma_f32 v104, v127, v174, -v104
	s_waitcnt vmcnt(17)
	v_mul_f32_e32 v140, v133, v179
	v_add_f32_e32 v103, v103, v104
	v_mul_f32_e32 v104, v130, v175
	s_waitcnt vmcnt(16)
	v_fmac_f32_e32 v140, v134, v180
	v_fma_f32 v104, v129, v176, -v104
	v_add_f32_e32 v143, v139, v140
	ds_read2_b64 v[139:142], v102 offset0:95 offset1:96
	v_add_f32_e32 v103, v103, v104
	v_mul_f32_e32 v104, v132, v177
	s_waitcnt vmcnt(15) lgkmcnt(1)
	v_mul_f32_e32 v144, v135, v181
	v_fma_f32 v104, v131, v178, -v104
	s_waitcnt vmcnt(14)
	v_fmac_f32_e32 v144, v136, v182
	v_add_f32_e32 v103, v103, v104
	v_mul_f32_e32 v104, v134, v179
	v_add_f32_e32 v143, v143, v144
	s_waitcnt vmcnt(13)
	v_mul_f32_e32 v144, v137, v183
	v_fma_f32 v104, v133, v180, -v104
	s_waitcnt vmcnt(12)
	v_fmac_f32_e32 v144, v138, v184
	v_add_f32_e32 v103, v103, v104
	v_mul_f32_e32 v104, v136, v181
	v_add_f32_e32 v143, v143, v144
	s_waitcnt vmcnt(11) lgkmcnt(0)
	v_mul_f32_e32 v144, v139, v185
	v_fma_f32 v104, v135, v182, -v104
	s_waitcnt vmcnt(10)
	v_fmac_f32_e32 v144, v140, v186
	v_add_f32_e32 v103, v103, v104
	v_mul_f32_e32 v104, v138, v183
	v_add_f32_e32 v147, v143, v144
	ds_read2_b64 v[143:146], v102 offset0:97 offset1:98
	v_fma_f32 v104, v137, v184, -v104
	v_add_f32_e32 v103, v103, v104
	v_mul_f32_e32 v104, v140, v185
	s_waitcnt vmcnt(9)
	v_mul_f32_e32 v148, v141, v187
	v_fma_f32 v104, v139, v186, -v104
	s_waitcnt vmcnt(8)
	v_fmac_f32_e32 v148, v142, v188
	v_add_f32_e32 v103, v103, v104
	v_mul_f32_e32 v104, v142, v187
	v_add_f32_e32 v197, v147, v148
	ds_read_b64 v[147:148], v102 offset:792
	v_fma_f32 v104, v141, v188, -v104
	v_add_f32_e32 v103, v103, v104
	s_waitcnt vmcnt(6) lgkmcnt(1)
	v_mul_f32_e32 v104, v144, v190
	v_mul_f32_e32 v198, v143, v190
	v_fma_f32 v104, v143, v189, -v104
	v_fmac_f32_e32 v198, v144, v189
	v_add_f32_e32 v103, v103, v104
	s_waitcnt vmcnt(3)
	v_mul_f32_e32 v104, v146, v193
	v_add_f32_e32 v197, v197, v198
	v_mul_f32_e32 v198, v145, v193
	s_waitcnt vmcnt(2)
	v_fma_f32 v104, v145, v194, -v104
	v_fmac_f32_e32 v198, v146, v194
	v_add_f32_e32 v103, v103, v104
	s_waitcnt vmcnt(0) lgkmcnt(0)
	v_mul_f32_e32 v104, v148, v196
	v_add_f32_e32 v197, v197, v198
	v_mul_f32_e32 v198, v147, v196
	v_fma_f32 v104, v147, v195, -v104
	v_fmac_f32_e32 v198, v148, v195
	v_add_f32_e32 v103, v103, v104
	v_add_f32_e32 v197, v197, v198
	v_sub_f32_e32 v103, v191, v103
	v_sub_f32_e32 v104, v192, v197
	buffer_store_dword v103, off, s[0:3], 0 offset:208
	buffer_store_dword v104, off, s[0:3], 0 offset:212
	s_and_saveexec_b64 s[4:5], vcc
	s_cbranch_execz .LBB49_263
; %bb.262:
	buffer_load_dword v103, off, s[0:3], 0 offset:200
	buffer_load_dword v104, off, s[0:3], 0 offset:204
	s_waitcnt vmcnt(0)
	ds_write_b64 v101, v[103:104]
	buffer_store_dword v102, off, s[0:3], 0 offset:200
	buffer_store_dword v102, off, s[0:3], 0 offset:204
.LBB49_263:
	s_or_b64 exec, exec, s[4:5]
	s_waitcnt lgkmcnt(0)
	; wave barrier
	buffer_load_dword v151, off, s[0:3], 0 offset:212
	buffer_load_dword v152, off, s[0:3], 0 offset:220
	;; [unrolled: 1-line block ×48, first 2 shown]
	ds_read_b128 v[103:106], v102 offset:608
	ds_read_b128 v[107:110], v102 offset:624
	buffer_load_dword v199, off, s[0:3], 0 offset:392
	buffer_load_dword v200, off, s[0:3], 0 offset:396
	ds_read_b128 v[111:114], v102 offset:640
	ds_read_b128 v[115:118], v102 offset:656
	;; [unrolled: 1-line block ×5, first 2 shown]
	v_cmp_lt_u32_e32 vcc, 24, v0
	s_waitcnt vmcnt(49) lgkmcnt(6)
	v_mul_f32_e32 v131, v103, v151
	s_waitcnt vmcnt(48)
	v_mul_f32_e32 v132, v105, v152
	s_waitcnt vmcnt(47) lgkmcnt(5)
	v_mul_f32_e32 v133, v107, v153
	s_waitcnt vmcnt(46)
	v_mul_f32_e32 v134, v109, v154
	;; [unrolled: 4-line block ×6, first 2 shown]
	s_waitcnt vmcnt(37)
	v_fmac_f32_e32 v131, v104, v163
	v_mul_f32_e32 v104, v104, v151
	v_fma_f32 v103, v103, v163, -v104
	v_mul_f32_e32 v104, v106, v152
	v_add_f32_e32 v103, 0, v103
	s_waitcnt vmcnt(36)
	v_fma_f32 v104, v105, v164, -v104
	v_add_f32_e32 v103, v103, v104
	v_mul_f32_e32 v104, v108, v153
	s_waitcnt vmcnt(35)
	v_fma_f32 v104, v107, v165, -v104
	v_fmac_f32_e32 v132, v106, v164
	v_add_f32_e32 v131, 0, v131
	v_add_f32_e32 v103, v103, v104
	v_mul_f32_e32 v104, v110, v154
	v_fmac_f32_e32 v133, v108, v165
	v_add_f32_e32 v131, v131, v132
	s_waitcnt vmcnt(34)
	v_fma_f32 v104, v109, v166, -v104
	v_fmac_f32_e32 v134, v110, v166
	v_add_f32_e32 v131, v131, v133
	v_add_f32_e32 v103, v103, v104
	v_mul_f32_e32 v104, v112, v155
	s_waitcnt vmcnt(33)
	v_fmac_f32_e32 v135, v112, v167
	v_add_f32_e32 v131, v131, v134
	v_fma_f32 v104, v111, v167, -v104
	s_waitcnt vmcnt(32)
	v_fmac_f32_e32 v136, v114, v168
	v_add_f32_e32 v131, v131, v135
	v_add_f32_e32 v103, v103, v104
	v_mul_f32_e32 v104, v114, v156
	s_waitcnt vmcnt(31)
	v_fmac_f32_e32 v137, v116, v169
	v_add_f32_e32 v131, v131, v136
	v_fma_f32 v104, v113, v168, -v104
	s_waitcnt vmcnt(30)
	;; [unrolled: 9-line block ×3, first 2 shown]
	v_fmac_f32_e32 v140, v122, v172
	v_add_f32_e32 v131, v131, v139
	v_add_f32_e32 v103, v103, v104
	v_mul_f32_e32 v104, v118, v158
	s_waitcnt vmcnt(27)
	v_fmac_f32_e32 v141, v124, v173
	v_add_f32_e32 v131, v131, v140
	v_fma_f32 v104, v117, v170, -v104
	v_add_f32_e32 v131, v131, v141
	s_waitcnt vmcnt(26)
	v_fmac_f32_e32 v142, v126, v174
	v_add_f32_e32 v103, v103, v104
	v_mul_f32_e32 v104, v120, v159
	v_add_f32_e32 v135, v131, v142
	ds_read_b128 v[131:134], v102 offset:720
	v_fma_f32 v104, v119, v171, -v104
	s_waitcnt vmcnt(25) lgkmcnt(1)
	v_mul_f32_e32 v136, v127, v175
	v_add_f32_e32 v103, v103, v104
	v_mul_f32_e32 v104, v122, v160
	s_waitcnt vmcnt(24)
	v_fmac_f32_e32 v136, v128, v176
	v_fma_f32 v104, v121, v172, -v104
	v_add_f32_e32 v135, v135, v136
	s_waitcnt vmcnt(23)
	v_mul_f32_e32 v136, v129, v177
	v_add_f32_e32 v103, v103, v104
	v_mul_f32_e32 v104, v124, v161
	s_waitcnt vmcnt(22)
	v_fmac_f32_e32 v136, v130, v178
	v_fma_f32 v104, v123, v173, -v104
	v_add_f32_e32 v135, v135, v136
	s_waitcnt vmcnt(21) lgkmcnt(0)
	v_mul_f32_e32 v136, v131, v179
	v_add_f32_e32 v103, v103, v104
	v_mul_f32_e32 v104, v126, v162
	s_waitcnt vmcnt(20)
	v_fmac_f32_e32 v136, v132, v180
	v_fma_f32 v104, v125, v174, -v104
	v_add_f32_e32 v139, v135, v136
	ds_read_b128 v[135:138], v102 offset:736
	v_add_f32_e32 v103, v103, v104
	v_mul_f32_e32 v104, v128, v175
	v_fma_f32 v104, v127, v176, -v104
	s_waitcnt vmcnt(19)
	v_mul_f32_e32 v140, v133, v181
	v_add_f32_e32 v103, v103, v104
	v_mul_f32_e32 v104, v130, v177
	s_waitcnt vmcnt(18)
	v_fmac_f32_e32 v140, v134, v182
	v_fma_f32 v104, v129, v178, -v104
	v_add_f32_e32 v143, v139, v140
	ds_read_b128 v[139:142], v102 offset:752
	v_add_f32_e32 v103, v103, v104
	v_mul_f32_e32 v104, v132, v179
	s_waitcnt vmcnt(17) lgkmcnt(1)
	v_mul_f32_e32 v144, v135, v183
	v_fma_f32 v104, v131, v180, -v104
	s_waitcnt vmcnt(16)
	v_fmac_f32_e32 v144, v136, v184
	v_add_f32_e32 v103, v103, v104
	v_mul_f32_e32 v104, v134, v181
	v_add_f32_e32 v143, v143, v144
	s_waitcnt vmcnt(15)
	v_mul_f32_e32 v144, v137, v185
	v_fma_f32 v104, v133, v182, -v104
	s_waitcnt vmcnt(14)
	v_fmac_f32_e32 v144, v138, v186
	v_add_f32_e32 v103, v103, v104
	v_mul_f32_e32 v104, v136, v183
	v_add_f32_e32 v143, v143, v144
	s_waitcnt vmcnt(13) lgkmcnt(0)
	v_mul_f32_e32 v144, v139, v187
	v_fma_f32 v104, v135, v184, -v104
	s_waitcnt vmcnt(12)
	v_fmac_f32_e32 v144, v140, v188
	v_add_f32_e32 v103, v103, v104
	v_mul_f32_e32 v104, v138, v185
	v_add_f32_e32 v147, v143, v144
	ds_read_b128 v[143:146], v102 offset:768
	v_fma_f32 v104, v137, v186, -v104
	v_add_f32_e32 v103, v103, v104
	v_mul_f32_e32 v104, v140, v187
	s_waitcnt vmcnt(11)
	v_mul_f32_e32 v148, v141, v189
	v_fma_f32 v104, v139, v188, -v104
	s_waitcnt vmcnt(10)
	v_fmac_f32_e32 v148, v142, v190
	v_add_f32_e32 v103, v103, v104
	v_mul_f32_e32 v104, v142, v189
	v_add_f32_e32 v201, v147, v148
	ds_read_b128 v[147:150], v102 offset:784
	v_fma_f32 v104, v141, v190, -v104
	v_add_f32_e32 v103, v103, v104
	s_waitcnt vmcnt(7) lgkmcnt(1)
	v_mul_f32_e32 v104, v144, v193
	v_mul_f32_e32 v102, v143, v193
	s_waitcnt vmcnt(6)
	v_fma_f32 v104, v143, v194, -v104
	v_fmac_f32_e32 v102, v144, v194
	v_add_f32_e32 v103, v103, v104
	s_waitcnt vmcnt(4)
	v_mul_f32_e32 v104, v146, v196
	v_add_f32_e32 v102, v201, v102
	v_mul_f32_e32 v201, v145, v196
	v_fma_f32 v104, v145, v195, -v104
	v_fmac_f32_e32 v201, v146, v195
	v_add_f32_e32 v103, v103, v104
	s_waitcnt vmcnt(2) lgkmcnt(0)
	v_mul_f32_e32 v104, v148, v198
	v_add_f32_e32 v102, v102, v201
	v_mul_f32_e32 v201, v147, v198
	v_fma_f32 v104, v147, v197, -v104
	v_fmac_f32_e32 v201, v148, v197
	v_add_f32_e32 v103, v103, v104
	s_waitcnt vmcnt(0)
	v_mul_f32_e32 v104, v150, v200
	v_add_f32_e32 v102, v102, v201
	v_mul_f32_e32 v201, v149, v200
	v_fma_f32 v104, v149, v199, -v104
	v_fmac_f32_e32 v201, v150, v199
	v_add_f32_e32 v103, v103, v104
	v_add_f32_e32 v102, v102, v201
	v_sub_f32_e32 v103, v191, v103
	v_sub_f32_e32 v102, v192, v102
	buffer_store_dword v103, off, s[0:3], 0 offset:200
	buffer_store_dword v102, off, s[0:3], 0 offset:204
	s_and_saveexec_b64 s[4:5], vcc
	s_cbranch_execz .LBB49_265
; %bb.264:
	buffer_load_dword v102, off, s[0:3], 0 offset:192
	buffer_load_dword v103, off, s[0:3], 0 offset:196
	v_mov_b32_e32 v104, 0
	buffer_store_dword v104, off, s[0:3], 0 offset:192
	buffer_store_dword v104, off, s[0:3], 0 offset:196
	s_waitcnt vmcnt(2)
	ds_write_b64 v101, v[102:103]
.LBB49_265:
	s_or_b64 exec, exec, s[4:5]
	s_waitcnt lgkmcnt(0)
	; wave barrier
	buffer_load_dword v153, off, s[0:3], 0 offset:204
	buffer_load_dword v154, off, s[0:3], 0 offset:212
	;; [unrolled: 1-line block ×52, first 2 shown]
	v_mov_b32_e32 v102, 0
	ds_read2_b64 v[103:106], v102 offset0:75 offset1:76
	ds_read2_b64 v[107:110], v102 offset0:77 offset1:78
	;; [unrolled: 1-line block ×6, first 2 shown]
	v_cmp_lt_u32_e32 vcc, 23, v0
	s_waitcnt vmcnt(51) lgkmcnt(5)
	v_mul_f32_e32 v127, v103, v153
	s_waitcnt vmcnt(50)
	v_mul_f32_e32 v128, v105, v154
	s_waitcnt vmcnt(49) lgkmcnt(4)
	v_mul_f32_e32 v129, v107, v155
	s_waitcnt vmcnt(48)
	v_mul_f32_e32 v130, v109, v156
	;; [unrolled: 4-line block ×5, first 2 shown]
	s_waitcnt vmcnt(41) lgkmcnt(0)
	v_mul_f32_e32 v137, v123, v163
	s_waitcnt vmcnt(40)
	v_fmac_f32_e32 v127, v104, v164
	v_mul_f32_e32 v104, v104, v153
	s_waitcnt vmcnt(39)
	v_fmac_f32_e32 v128, v106, v165
	v_add_f32_e32 v127, 0, v127
	v_fma_f32 v103, v103, v164, -v104
	v_mul_f32_e32 v104, v106, v154
	s_waitcnt vmcnt(38)
	v_fmac_f32_e32 v129, v108, v166
	v_add_f32_e32 v127, v127, v128
	v_add_f32_e32 v103, 0, v103
	v_fma_f32 v104, v105, v165, -v104
	s_waitcnt vmcnt(37)
	v_fmac_f32_e32 v130, v110, v167
	v_add_f32_e32 v127, v127, v129
	v_add_f32_e32 v103, v103, v104
	v_mul_f32_e32 v104, v108, v155
	s_waitcnt vmcnt(36)
	v_fmac_f32_e32 v131, v112, v168
	v_add_f32_e32 v127, v127, v130
	v_fma_f32 v104, v107, v166, -v104
	s_waitcnt vmcnt(35)
	v_fmac_f32_e32 v132, v114, v169
	v_add_f32_e32 v127, v127, v131
	v_add_f32_e32 v103, v103, v104
	v_mul_f32_e32 v104, v110, v156
	s_waitcnt vmcnt(34)
	v_fmac_f32_e32 v133, v116, v170
	;; [unrolled: 9-line block ×3, first 2 shown]
	v_add_f32_e32 v127, v127, v134
	v_fma_f32 v104, v111, v168, -v104
	s_waitcnt vmcnt(31)
	v_fmac_f32_e32 v136, v122, v173
	v_add_f32_e32 v127, v127, v135
	v_add_f32_e32 v103, v103, v104
	v_mul_f32_e32 v104, v114, v158
	v_add_f32_e32 v127, v127, v136
	s_waitcnt vmcnt(30)
	v_fmac_f32_e32 v137, v124, v174
	v_fma_f32 v104, v113, v169, -v104
	v_add_f32_e32 v131, v127, v137
	ds_read2_b64 v[127:130], v102 offset0:87 offset1:88
	v_add_f32_e32 v103, v103, v104
	v_mul_f32_e32 v104, v116, v159
	v_fma_f32 v104, v115, v170, -v104
	s_waitcnt vmcnt(29)
	v_mul_f32_e32 v132, v125, v175
	v_add_f32_e32 v103, v103, v104
	v_mul_f32_e32 v104, v118, v160
	s_waitcnt vmcnt(28)
	v_fmac_f32_e32 v132, v126, v176
	v_fma_f32 v104, v117, v171, -v104
	v_add_f32_e32 v135, v131, v132
	ds_read2_b64 v[131:134], v102 offset0:89 offset1:90
	v_add_f32_e32 v103, v103, v104
	v_mul_f32_e32 v104, v120, v161
	s_waitcnt vmcnt(27) lgkmcnt(1)
	v_mul_f32_e32 v136, v127, v177
	v_fma_f32 v104, v119, v172, -v104
	s_waitcnt vmcnt(26)
	v_fmac_f32_e32 v136, v128, v178
	v_add_f32_e32 v103, v103, v104
	v_mul_f32_e32 v104, v122, v162
	v_add_f32_e32 v135, v135, v136
	s_waitcnt vmcnt(25)
	v_mul_f32_e32 v136, v129, v179
	v_fma_f32 v104, v121, v173, -v104
	s_waitcnt vmcnt(24)
	v_fmac_f32_e32 v136, v130, v180
	v_add_f32_e32 v103, v103, v104
	v_mul_f32_e32 v104, v124, v163
	v_add_f32_e32 v135, v135, v136
	s_waitcnt vmcnt(23) lgkmcnt(0)
	v_mul_f32_e32 v136, v131, v181
	v_fma_f32 v104, v123, v174, -v104
	s_waitcnt vmcnt(22)
	v_fmac_f32_e32 v136, v132, v182
	v_add_f32_e32 v103, v103, v104
	v_mul_f32_e32 v104, v126, v175
	v_add_f32_e32 v139, v135, v136
	ds_read2_b64 v[135:138], v102 offset0:91 offset1:92
	v_fma_f32 v104, v125, v176, -v104
	v_add_f32_e32 v103, v103, v104
	v_mul_f32_e32 v104, v128, v177
	s_waitcnt vmcnt(21)
	v_mul_f32_e32 v140, v133, v183
	v_fma_f32 v104, v127, v178, -v104
	s_waitcnt vmcnt(20)
	v_fmac_f32_e32 v140, v134, v184
	v_add_f32_e32 v103, v103, v104
	v_mul_f32_e32 v104, v130, v179
	v_add_f32_e32 v143, v139, v140
	ds_read2_b64 v[139:142], v102 offset0:93 offset1:94
	v_fma_f32 v104, v129, v180, -v104
	s_waitcnt vmcnt(19) lgkmcnt(1)
	v_mul_f32_e32 v144, v135, v185
	v_add_f32_e32 v103, v103, v104
	v_mul_f32_e32 v104, v132, v181
	s_waitcnt vmcnt(18)
	v_fmac_f32_e32 v144, v136, v186
	v_fma_f32 v104, v131, v182, -v104
	v_add_f32_e32 v143, v143, v144
	s_waitcnt vmcnt(17)
	v_mul_f32_e32 v144, v137, v187
	v_add_f32_e32 v103, v103, v104
	v_mul_f32_e32 v104, v134, v183
	s_waitcnt vmcnt(16)
	v_fmac_f32_e32 v144, v138, v188
	v_fma_f32 v104, v133, v184, -v104
	v_add_f32_e32 v143, v143, v144
	s_waitcnt vmcnt(14) lgkmcnt(0)
	v_mul_f32_e32 v144, v139, v190
	v_add_f32_e32 v103, v103, v104
	v_mul_f32_e32 v104, v136, v185
	v_fmac_f32_e32 v144, v140, v189
	v_fma_f32 v104, v135, v186, -v104
	v_add_f32_e32 v147, v143, v144
	ds_read2_b64 v[143:146], v102 offset0:95 offset1:96
	v_add_f32_e32 v103, v103, v104
	v_mul_f32_e32 v104, v138, v187
	v_fma_f32 v104, v137, v188, -v104
	v_add_f32_e32 v103, v103, v104
	v_mul_f32_e32 v104, v140, v190
	s_waitcnt vmcnt(11)
	v_mul_f32_e32 v148, v141, v193
	v_fma_f32 v104, v139, v189, -v104
	s_waitcnt vmcnt(10)
	v_fmac_f32_e32 v148, v142, v194
	v_add_f32_e32 v103, v103, v104
	v_mul_f32_e32 v104, v142, v193
	v_add_f32_e32 v151, v147, v148
	ds_read2_b64 v[147:150], v102 offset0:97 offset1:98
	s_waitcnt vmcnt(8) lgkmcnt(1)
	v_mul_f32_e32 v152, v143, v196
	v_fma_f32 v104, v141, v194, -v104
	v_fmac_f32_e32 v152, v144, v195
	v_add_f32_e32 v103, v103, v104
	v_mul_f32_e32 v104, v144, v196
	v_add_f32_e32 v151, v151, v152
	s_waitcnt vmcnt(6)
	v_mul_f32_e32 v152, v145, v198
	v_fma_f32 v104, v143, v195, -v104
	v_fmac_f32_e32 v152, v146, v197
	v_add_f32_e32 v103, v103, v104
	v_mul_f32_e32 v104, v146, v198
	v_add_f32_e32 v205, v151, v152
	ds_read_b64 v[151:152], v102 offset:792
	v_fma_f32 v104, v145, v197, -v104
	v_add_f32_e32 v103, v103, v104
	s_waitcnt vmcnt(4) lgkmcnt(1)
	v_mul_f32_e32 v104, v148, v200
	v_mul_f32_e32 v206, v147, v200
	v_fma_f32 v104, v147, v199, -v104
	v_fmac_f32_e32 v206, v148, v199
	v_add_f32_e32 v103, v103, v104
	s_waitcnt vmcnt(2)
	v_mul_f32_e32 v104, v150, v202
	v_add_f32_e32 v205, v205, v206
	v_mul_f32_e32 v206, v149, v202
	v_fma_f32 v104, v149, v201, -v104
	v_fmac_f32_e32 v206, v150, v201
	v_add_f32_e32 v103, v103, v104
	s_waitcnt vmcnt(0) lgkmcnt(0)
	v_mul_f32_e32 v104, v152, v204
	v_add_f32_e32 v205, v205, v206
	v_mul_f32_e32 v206, v151, v204
	v_fma_f32 v104, v151, v203, -v104
	v_fmac_f32_e32 v206, v152, v203
	v_add_f32_e32 v103, v103, v104
	v_add_f32_e32 v205, v205, v206
	v_sub_f32_e32 v103, v191, v103
	v_sub_f32_e32 v104, v192, v205
	buffer_store_dword v103, off, s[0:3], 0 offset:192
	buffer_store_dword v104, off, s[0:3], 0 offset:196
	s_and_saveexec_b64 s[4:5], vcc
	s_cbranch_execz .LBB49_267
; %bb.266:
	buffer_load_dword v103, off, s[0:3], 0 offset:184
	buffer_load_dword v104, off, s[0:3], 0 offset:188
	s_waitcnt vmcnt(0)
	ds_write_b64 v101, v[103:104]
	buffer_store_dword v102, off, s[0:3], 0 offset:184
	buffer_store_dword v102, off, s[0:3], 0 offset:188
.LBB49_267:
	s_or_b64 exec, exec, s[4:5]
	s_waitcnt lgkmcnt(0)
	; wave barrier
	buffer_load_dword v155, off, s[0:3], 0 offset:196
	buffer_load_dword v156, off, s[0:3], 0 offset:204
	;; [unrolled: 1-line block ×42, first 2 shown]
	ds_read_b128 v[103:106], v102 offset:592
	ds_read_b128 v[107:110], v102 offset:608
	;; [unrolled: 1-line block ×4, first 2 shown]
	buffer_load_dword v197, off, s[0:3], 0 offset:356
	buffer_load_dword v198, off, s[0:3], 0 offset:352
	;; [unrolled: 1-line block ×6, first 2 shown]
	ds_read_b128 v[119:122], v102 offset:656
	ds_read_b128 v[123:126], v102 offset:672
	buffer_load_dword v203, off, s[0:3], 0 offset:376
	buffer_load_dword v204, off, s[0:3], 0 offset:380
	;; [unrolled: 1-line block ×6, first 2 shown]
	v_cmp_lt_u32_e32 vcc, 22, v0
	s_waitcnt vmcnt(53) lgkmcnt(5)
	v_mul_f32_e32 v127, v103, v155
	s_waitcnt vmcnt(52)
	v_mul_f32_e32 v128, v105, v156
	s_waitcnt vmcnt(51) lgkmcnt(4)
	v_mul_f32_e32 v129, v107, v157
	s_waitcnt vmcnt(50)
	v_mul_f32_e32 v130, v109, v158
	;; [unrolled: 4-line block ×5, first 2 shown]
	s_waitcnt vmcnt(43)
	v_fmac_f32_e32 v127, v104, v165
	v_mul_f32_e32 v104, v104, v155
	s_waitcnt vmcnt(42)
	v_fmac_f32_e32 v128, v106, v166
	v_add_f32_e32 v127, 0, v127
	v_fma_f32 v103, v103, v165, -v104
	v_mul_f32_e32 v104, v106, v156
	s_waitcnt vmcnt(41)
	v_fmac_f32_e32 v129, v108, v167
	v_add_f32_e32 v127, v127, v128
	v_add_f32_e32 v103, 0, v103
	v_fma_f32 v104, v105, v166, -v104
	s_waitcnt vmcnt(40)
	v_fmac_f32_e32 v130, v110, v168
	v_add_f32_e32 v127, v127, v129
	v_add_f32_e32 v103, v103, v104
	v_mul_f32_e32 v104, v108, v157
	s_waitcnt vmcnt(39)
	v_fmac_f32_e32 v131, v112, v169
	v_add_f32_e32 v127, v127, v130
	v_fma_f32 v104, v107, v167, -v104
	s_waitcnt vmcnt(38)
	v_fmac_f32_e32 v132, v114, v170
	v_add_f32_e32 v127, v127, v131
	v_add_f32_e32 v103, v103, v104
	v_mul_f32_e32 v104, v110, v158
	s_waitcnt vmcnt(37)
	v_fmac_f32_e32 v133, v116, v171
	;; [unrolled: 9-line block ×3, first 2 shown]
	v_add_f32_e32 v127, v127, v134
	v_fma_f32 v104, v111, v169, -v104
	s_waitcnt vmcnt(34)
	v_fmac_f32_e32 v136, v122, v174
	v_add_f32_e32 v127, v127, v135
	s_waitcnt vmcnt(33) lgkmcnt(0)
	v_mul_f32_e32 v128, v123, v175
	v_add_f32_e32 v103, v103, v104
	v_mul_f32_e32 v104, v114, v160
	v_add_f32_e32 v127, v127, v136
	s_waitcnt vmcnt(32)
	v_fmac_f32_e32 v128, v124, v176
	v_fma_f32 v104, v113, v170, -v104
	v_add_f32_e32 v131, v127, v128
	ds_read_b128 v[127:130], v102 offset:688
	v_add_f32_e32 v103, v103, v104
	v_mul_f32_e32 v104, v116, v161
	v_fma_f32 v104, v115, v171, -v104
	s_waitcnt vmcnt(31)
	v_mul_f32_e32 v132, v125, v177
	v_add_f32_e32 v103, v103, v104
	v_mul_f32_e32 v104, v118, v162
	s_waitcnt vmcnt(30)
	v_fmac_f32_e32 v132, v126, v178
	v_fma_f32 v104, v117, v172, -v104
	v_add_f32_e32 v135, v131, v132
	ds_read_b128 v[131:134], v102 offset:704
	v_add_f32_e32 v103, v103, v104
	v_mul_f32_e32 v104, v120, v163
	s_waitcnt vmcnt(29) lgkmcnt(1)
	v_mul_f32_e32 v136, v127, v179
	v_fma_f32 v104, v119, v173, -v104
	s_waitcnt vmcnt(28)
	v_fmac_f32_e32 v136, v128, v180
	v_add_f32_e32 v103, v103, v104
	v_mul_f32_e32 v104, v122, v164
	v_add_f32_e32 v135, v135, v136
	s_waitcnt vmcnt(27)
	v_mul_f32_e32 v136, v129, v181
	v_fma_f32 v104, v121, v174, -v104
	s_waitcnt vmcnt(26)
	v_fmac_f32_e32 v136, v130, v182
	v_add_f32_e32 v103, v103, v104
	v_mul_f32_e32 v104, v124, v175
	v_add_f32_e32 v135, v135, v136
	s_waitcnt vmcnt(25) lgkmcnt(0)
	v_mul_f32_e32 v136, v131, v183
	v_fma_f32 v104, v123, v176, -v104
	s_waitcnt vmcnt(24)
	v_fmac_f32_e32 v136, v132, v184
	v_add_f32_e32 v103, v103, v104
	v_mul_f32_e32 v104, v126, v177
	v_add_f32_e32 v139, v135, v136
	ds_read_b128 v[135:138], v102 offset:720
	v_fma_f32 v104, v125, v178, -v104
	v_add_f32_e32 v103, v103, v104
	v_mul_f32_e32 v104, v128, v179
	s_waitcnt vmcnt(23)
	v_mul_f32_e32 v140, v133, v185
	v_fma_f32 v104, v127, v180, -v104
	s_waitcnt vmcnt(22)
	v_fmac_f32_e32 v140, v134, v186
	v_add_f32_e32 v103, v103, v104
	v_mul_f32_e32 v104, v130, v181
	v_add_f32_e32 v143, v139, v140
	ds_read_b128 v[139:142], v102 offset:736
	v_fma_f32 v104, v129, v182, -v104
	s_waitcnt vmcnt(21) lgkmcnt(1)
	v_mul_f32_e32 v144, v135, v187
	v_add_f32_e32 v103, v103, v104
	v_mul_f32_e32 v104, v132, v183
	s_waitcnt vmcnt(20)
	v_fmac_f32_e32 v144, v136, v188
	v_fma_f32 v104, v131, v184, -v104
	v_add_f32_e32 v143, v143, v144
	s_waitcnt vmcnt(18)
	v_mul_f32_e32 v144, v137, v190
	v_add_f32_e32 v103, v103, v104
	v_mul_f32_e32 v104, v134, v185
	v_fmac_f32_e32 v144, v138, v189
	v_fma_f32 v104, v133, v186, -v104
	v_add_f32_e32 v143, v143, v144
	s_waitcnt vmcnt(15) lgkmcnt(0)
	v_mul_f32_e32 v144, v139, v193
	v_add_f32_e32 v103, v103, v104
	v_mul_f32_e32 v104, v136, v187
	s_waitcnt vmcnt(14)
	v_fmac_f32_e32 v144, v140, v194
	v_fma_f32 v104, v135, v188, -v104
	v_add_f32_e32 v147, v143, v144
	ds_read_b128 v[143:146], v102 offset:752
	v_add_f32_e32 v103, v103, v104
	v_mul_f32_e32 v104, v138, v190
	v_fma_f32 v104, v137, v189, -v104
	v_add_f32_e32 v103, v103, v104
	v_mul_f32_e32 v104, v140, v193
	s_waitcnt vmcnt(12)
	v_mul_f32_e32 v148, v141, v196
	v_fma_f32 v104, v139, v194, -v104
	v_fmac_f32_e32 v148, v142, v195
	v_add_f32_e32 v103, v103, v104
	v_mul_f32_e32 v104, v142, v196
	v_add_f32_e32 v151, v147, v148
	ds_read_b128 v[147:150], v102 offset:768
	s_waitcnt vmcnt(11) lgkmcnt(1)
	v_mul_f32_e32 v152, v143, v197
	v_fma_f32 v104, v141, v195, -v104
	s_waitcnt vmcnt(10)
	v_fmac_f32_e32 v152, v144, v198
	v_add_f32_e32 v103, v103, v104
	v_mul_f32_e32 v104, v144, v197
	v_add_f32_e32 v151, v151, v152
	s_waitcnt vmcnt(8)
	v_mul_f32_e32 v152, v145, v200
	v_fma_f32 v104, v143, v198, -v104
	v_fmac_f32_e32 v152, v146, v199
	v_add_f32_e32 v103, v103, v104
	v_mul_f32_e32 v104, v146, v200
	v_add_f32_e32 v209, v151, v152
	ds_read_b128 v[151:154], v102 offset:784
	v_fma_f32 v104, v145, v199, -v104
	v_add_f32_e32 v103, v103, v104
	s_waitcnt vmcnt(6) lgkmcnt(1)
	v_mul_f32_e32 v104, v148, v202
	v_mul_f32_e32 v210, v147, v202
	v_fma_f32 v104, v147, v201, -v104
	v_fmac_f32_e32 v210, v148, v201
	v_add_f32_e32 v103, v103, v104
	s_waitcnt vmcnt(4)
	v_mul_f32_e32 v104, v150, v204
	v_add_f32_e32 v102, v209, v210
	v_mul_f32_e32 v209, v149, v204
	v_fma_f32 v104, v149, v203, -v104
	v_fmac_f32_e32 v209, v150, v203
	v_add_f32_e32 v103, v103, v104
	s_waitcnt vmcnt(2) lgkmcnt(0)
	v_mul_f32_e32 v104, v152, v206
	v_add_f32_e32 v102, v102, v209
	v_mul_f32_e32 v209, v151, v206
	v_fma_f32 v104, v151, v205, -v104
	v_fmac_f32_e32 v209, v152, v205
	v_add_f32_e32 v103, v103, v104
	s_waitcnt vmcnt(0)
	v_mul_f32_e32 v104, v154, v208
	v_add_f32_e32 v102, v102, v209
	v_mul_f32_e32 v209, v153, v208
	v_fma_f32 v104, v153, v207, -v104
	v_fmac_f32_e32 v209, v154, v207
	v_add_f32_e32 v103, v103, v104
	v_add_f32_e32 v102, v102, v209
	v_sub_f32_e32 v103, v191, v103
	v_sub_f32_e32 v102, v192, v102
	buffer_store_dword v103, off, s[0:3], 0 offset:184
	buffer_store_dword v102, off, s[0:3], 0 offset:188
	s_and_saveexec_b64 s[4:5], vcc
	s_cbranch_execz .LBB49_269
; %bb.268:
	buffer_load_dword v102, off, s[0:3], 0 offset:176
	buffer_load_dword v103, off, s[0:3], 0 offset:180
	v_mov_b32_e32 v104, 0
	buffer_store_dword v104, off, s[0:3], 0 offset:176
	buffer_store_dword v104, off, s[0:3], 0 offset:180
	s_waitcnt vmcnt(2)
	ds_write_b64 v101, v[102:103]
.LBB49_269:
	s_or_b64 exec, exec, s[4:5]
	s_waitcnt lgkmcnt(0)
	; wave barrier
	buffer_load_dword v157, off, s[0:3], 0 offset:188
	buffer_load_dword v158, off, s[0:3], 0 offset:196
	;; [unrolled: 1-line block ×56, first 2 shown]
	v_mov_b32_e32 v102, 0
	ds_read2_b64 v[103:106], v102 offset0:73 offset1:74
	ds_read2_b64 v[107:110], v102 offset0:75 offset1:76
	;; [unrolled: 1-line block ×6, first 2 shown]
	v_cmp_lt_u32_e32 vcc, 21, v0
	s_waitcnt vmcnt(55) lgkmcnt(5)
	v_mul_f32_e32 v127, v103, v157
	s_waitcnt vmcnt(54)
	v_mul_f32_e32 v128, v105, v158
	s_waitcnt vmcnt(53) lgkmcnt(4)
	v_mul_f32_e32 v129, v107, v159
	s_waitcnt vmcnt(52)
	v_mul_f32_e32 v130, v109, v160
	;; [unrolled: 4-line block ×4, first 2 shown]
	s_waitcnt vmcnt(47) lgkmcnt(1)
	v_mul_f32_e32 v135, v119, v165
	s_waitcnt vmcnt(46)
	v_fmac_f32_e32 v127, v104, v166
	s_waitcnt vmcnt(45)
	v_fmac_f32_e32 v128, v106, v167
	v_add_f32_e32 v127, 0, v127
	s_waitcnt vmcnt(44)
	v_fmac_f32_e32 v129, v108, v168
	v_add_f32_e32 v127, v127, v128
	;; [unrolled: 3-line block ×3, first 2 shown]
	v_mul_f32_e32 v104, v104, v157
	s_waitcnt vmcnt(42)
	v_fmac_f32_e32 v131, v112, v170
	v_add_f32_e32 v127, v127, v130
	v_fma_f32 v103, v103, v166, -v104
	v_mul_f32_e32 v104, v106, v158
	s_waitcnt vmcnt(41)
	v_fmac_f32_e32 v132, v114, v171
	v_add_f32_e32 v127, v127, v131
	v_add_f32_e32 v103, 0, v103
	v_fma_f32 v104, v105, v167, -v104
	s_waitcnt vmcnt(40)
	v_fmac_f32_e32 v133, v116, v172
	v_add_f32_e32 v127, v127, v132
	v_add_f32_e32 v103, v103, v104
	v_mul_f32_e32 v104, v108, v159
	s_waitcnt vmcnt(39)
	v_fmac_f32_e32 v134, v118, v173
	v_add_f32_e32 v127, v127, v133
	v_fma_f32 v104, v107, v168, -v104
	v_add_f32_e32 v127, v127, v134
	s_waitcnt vmcnt(38)
	v_fmac_f32_e32 v135, v120, v174
	s_waitcnt vmcnt(37)
	v_mul_f32_e32 v128, v121, v175
	v_add_f32_e32 v103, v103, v104
	v_mul_f32_e32 v104, v110, v160
	v_add_f32_e32 v127, v127, v135
	s_waitcnt vmcnt(36)
	v_fmac_f32_e32 v128, v122, v176
	v_fma_f32 v104, v109, v169, -v104
	v_add_f32_e32 v127, v127, v128
	s_waitcnt vmcnt(35) lgkmcnt(0)
	v_mul_f32_e32 v128, v123, v177
	v_add_f32_e32 v103, v103, v104
	v_mul_f32_e32 v104, v112, v161
	s_waitcnt vmcnt(34)
	v_fmac_f32_e32 v128, v124, v178
	v_fma_f32 v104, v111, v170, -v104
	v_add_f32_e32 v131, v127, v128
	ds_read2_b64 v[127:130], v102 offset0:85 offset1:86
	v_add_f32_e32 v103, v103, v104
	v_mul_f32_e32 v104, v114, v162
	v_fma_f32 v104, v113, v171, -v104
	s_waitcnt vmcnt(33)
	v_mul_f32_e32 v132, v125, v179
	v_add_f32_e32 v103, v103, v104
	v_mul_f32_e32 v104, v116, v163
	s_waitcnt vmcnt(32)
	v_fmac_f32_e32 v132, v126, v180
	v_fma_f32 v104, v115, v172, -v104
	v_add_f32_e32 v135, v131, v132
	ds_read2_b64 v[131:134], v102 offset0:87 offset1:88
	v_add_f32_e32 v103, v103, v104
	v_mul_f32_e32 v104, v118, v164
	s_waitcnt vmcnt(31) lgkmcnt(1)
	v_mul_f32_e32 v136, v127, v181
	v_fma_f32 v104, v117, v173, -v104
	s_waitcnt vmcnt(30)
	v_fmac_f32_e32 v136, v128, v182
	v_add_f32_e32 v103, v103, v104
	v_mul_f32_e32 v104, v120, v165
	v_add_f32_e32 v135, v135, v136
	s_waitcnt vmcnt(29)
	v_mul_f32_e32 v136, v129, v183
	v_fma_f32 v104, v119, v174, -v104
	s_waitcnt vmcnt(28)
	v_fmac_f32_e32 v136, v130, v184
	v_add_f32_e32 v103, v103, v104
	v_mul_f32_e32 v104, v122, v175
	v_add_f32_e32 v135, v135, v136
	s_waitcnt vmcnt(27) lgkmcnt(0)
	v_mul_f32_e32 v136, v131, v185
	v_fma_f32 v104, v121, v176, -v104
	s_waitcnt vmcnt(26)
	v_fmac_f32_e32 v136, v132, v186
	v_add_f32_e32 v103, v103, v104
	v_mul_f32_e32 v104, v124, v177
	v_add_f32_e32 v139, v135, v136
	ds_read2_b64 v[135:138], v102 offset0:89 offset1:90
	v_fma_f32 v104, v123, v178, -v104
	v_add_f32_e32 v103, v103, v104
	v_mul_f32_e32 v104, v126, v179
	s_waitcnt vmcnt(24)
	v_mul_f32_e32 v140, v133, v188
	v_fma_f32 v104, v125, v180, -v104
	v_fmac_f32_e32 v140, v134, v187
	v_add_f32_e32 v103, v103, v104
	v_mul_f32_e32 v104, v128, v181
	v_add_f32_e32 v143, v139, v140
	ds_read2_b64 v[139:142], v102 offset0:91 offset1:92
	v_fma_f32 v104, v127, v182, -v104
	s_waitcnt vmcnt(21) lgkmcnt(1)
	v_mul_f32_e32 v144, v135, v191
	v_add_f32_e32 v103, v103, v104
	v_mul_f32_e32 v104, v130, v183
	s_waitcnt vmcnt(20)
	v_fmac_f32_e32 v144, v136, v192
	v_fma_f32 v104, v129, v184, -v104
	v_add_f32_e32 v143, v143, v144
	s_waitcnt vmcnt(18)
	v_mul_f32_e32 v144, v137, v194
	v_add_f32_e32 v103, v103, v104
	v_mul_f32_e32 v104, v132, v185
	v_fmac_f32_e32 v144, v138, v193
	v_fma_f32 v104, v131, v186, -v104
	v_add_f32_e32 v143, v143, v144
	s_waitcnt vmcnt(16) lgkmcnt(0)
	v_mul_f32_e32 v144, v139, v196
	v_add_f32_e32 v103, v103, v104
	v_mul_f32_e32 v104, v134, v188
	v_fmac_f32_e32 v144, v140, v195
	v_fma_f32 v104, v133, v187, -v104
	v_add_f32_e32 v147, v143, v144
	ds_read2_b64 v[143:146], v102 offset0:93 offset1:94
	v_add_f32_e32 v103, v103, v104
	v_mul_f32_e32 v104, v136, v191
	v_fma_f32 v104, v135, v192, -v104
	s_waitcnt vmcnt(14)
	v_mul_f32_e32 v148, v141, v198
	v_add_f32_e32 v103, v103, v104
	v_mul_f32_e32 v104, v138, v194
	v_fmac_f32_e32 v148, v142, v197
	v_fma_f32 v104, v137, v193, -v104
	v_add_f32_e32 v151, v147, v148
	ds_read2_b64 v[147:150], v102 offset0:95 offset1:96
	v_add_f32_e32 v103, v103, v104
	v_mul_f32_e32 v104, v140, v196
	s_waitcnt vmcnt(12) lgkmcnt(1)
	v_mul_f32_e32 v152, v143, v200
	v_fma_f32 v104, v139, v195, -v104
	v_fmac_f32_e32 v152, v144, v199
	v_add_f32_e32 v103, v103, v104
	v_mul_f32_e32 v104, v142, v198
	v_add_f32_e32 v151, v151, v152
	s_waitcnt vmcnt(10)
	v_mul_f32_e32 v152, v145, v202
	v_fma_f32 v104, v141, v197, -v104
	v_fmac_f32_e32 v152, v146, v201
	v_add_f32_e32 v103, v103, v104
	v_mul_f32_e32 v104, v144, v200
	v_add_f32_e32 v151, v151, v152
	s_waitcnt vmcnt(8) lgkmcnt(0)
	v_mul_f32_e32 v152, v147, v204
	v_fma_f32 v104, v143, v199, -v104
	v_fmac_f32_e32 v152, v148, v203
	v_add_f32_e32 v103, v103, v104
	v_mul_f32_e32 v104, v146, v202
	v_add_f32_e32 v155, v151, v152
	ds_read2_b64 v[151:154], v102 offset0:97 offset1:98
	v_fma_f32 v104, v145, v201, -v104
	v_add_f32_e32 v103, v103, v104
	v_mul_f32_e32 v104, v148, v204
	s_waitcnt vmcnt(6)
	v_mul_f32_e32 v156, v149, v206
	v_fma_f32 v104, v147, v203, -v104
	v_fmac_f32_e32 v156, v150, v205
	v_add_f32_e32 v103, v103, v104
	v_mul_f32_e32 v104, v150, v206
	v_add_f32_e32 v213, v155, v156
	ds_read_b64 v[155:156], v102 offset:792
	v_fma_f32 v104, v149, v205, -v104
	v_add_f32_e32 v103, v103, v104
	s_waitcnt vmcnt(4) lgkmcnt(1)
	v_mul_f32_e32 v104, v152, v208
	v_mul_f32_e32 v214, v151, v208
	v_fma_f32 v104, v151, v207, -v104
	v_fmac_f32_e32 v214, v152, v207
	v_add_f32_e32 v103, v103, v104
	s_waitcnt vmcnt(2)
	v_mul_f32_e32 v104, v154, v210
	v_add_f32_e32 v213, v213, v214
	v_mul_f32_e32 v214, v153, v210
	v_fma_f32 v104, v153, v209, -v104
	v_fmac_f32_e32 v214, v154, v209
	v_add_f32_e32 v103, v103, v104
	s_waitcnt vmcnt(0) lgkmcnt(0)
	v_mul_f32_e32 v104, v156, v212
	v_add_f32_e32 v213, v213, v214
	v_mul_f32_e32 v214, v155, v212
	v_fma_f32 v104, v155, v211, -v104
	v_fmac_f32_e32 v214, v156, v211
	v_add_f32_e32 v103, v103, v104
	v_add_f32_e32 v213, v213, v214
	v_sub_f32_e32 v103, v189, v103
	v_sub_f32_e32 v104, v190, v213
	buffer_store_dword v103, off, s[0:3], 0 offset:176
	buffer_store_dword v104, off, s[0:3], 0 offset:180
	s_and_saveexec_b64 s[4:5], vcc
	s_cbranch_execz .LBB49_271
; %bb.270:
	buffer_load_dword v103, off, s[0:3], 0 offset:168
	buffer_load_dword v104, off, s[0:3], 0 offset:172
	s_waitcnt vmcnt(0)
	ds_write_b64 v101, v[103:104]
	buffer_store_dword v102, off, s[0:3], 0 offset:168
	buffer_store_dword v102, off, s[0:3], 0 offset:172
.LBB49_271:
	s_or_b64 exec, exec, s[4:5]
	s_waitcnt lgkmcnt(0)
	; wave barrier
	buffer_load_dword v159, off, s[0:3], 0 offset:180
	buffer_load_dword v160, off, s[0:3], 0 offset:188
	;; [unrolled: 1-line block ×34, first 2 shown]
	ds_read_b128 v[103:106], v102 offset:576
	ds_read_b128 v[107:110], v102 offset:592
	buffer_load_dword v193, off, s[0:3], 0 offset:308
	buffer_load_dword v194, off, s[0:3], 0 offset:304
	;; [unrolled: 1-line block ×6, first 2 shown]
	ds_read_b128 v[111:114], v102 offset:608
	ds_read_b128 v[115:118], v102 offset:624
	;; [unrolled: 1-line block ×4, first 2 shown]
	buffer_load_dword v199, off, s[0:3], 0 offset:332
	buffer_load_dword v200, off, s[0:3], 0 offset:328
	;; [unrolled: 1-line block ×18, first 2 shown]
	v_cmp_lt_u32_e32 vcc, 20, v0
	s_waitcnt vmcnt(57) lgkmcnt(5)
	v_mul_f32_e32 v127, v103, v159
	s_waitcnt vmcnt(56)
	v_mul_f32_e32 v128, v105, v160
	s_waitcnt vmcnt(55) lgkmcnt(4)
	v_mul_f32_e32 v129, v107, v161
	s_waitcnt vmcnt(54)
	v_mul_f32_e32 v130, v109, v162
	;; [unrolled: 4-line block ×4, first 2 shown]
	s_waitcnt vmcnt(49)
	v_fmac_f32_e32 v127, v104, v167
	s_waitcnt vmcnt(48)
	v_fmac_f32_e32 v128, v106, v168
	v_add_f32_e32 v127, 0, v127
	s_waitcnt vmcnt(47)
	v_fmac_f32_e32 v129, v108, v169
	v_add_f32_e32 v127, v127, v128
	;; [unrolled: 3-line block ×4, first 2 shown]
	v_mul_f32_e32 v104, v104, v159
	s_waitcnt vmcnt(44)
	v_fmac_f32_e32 v132, v114, v172
	v_add_f32_e32 v127, v127, v131
	v_fma_f32 v103, v103, v167, -v104
	v_mul_f32_e32 v104, v106, v160
	s_waitcnt vmcnt(43)
	v_fmac_f32_e32 v133, v116, v173
	v_add_f32_e32 v127, v127, v132
	v_add_f32_e32 v103, 0, v103
	v_fma_f32 v104, v105, v168, -v104
	s_waitcnt vmcnt(42)
	v_fmac_f32_e32 v134, v118, v174
	v_add_f32_e32 v127, v127, v133
	s_waitcnt vmcnt(41) lgkmcnt(1)
	v_mul_f32_e32 v128, v119, v175
	v_add_f32_e32 v103, v103, v104
	v_mul_f32_e32 v104, v108, v161
	v_add_f32_e32 v127, v127, v134
	s_waitcnt vmcnt(40)
	v_fmac_f32_e32 v128, v120, v176
	v_fma_f32 v104, v107, v169, -v104
	v_add_f32_e32 v127, v127, v128
	s_waitcnt vmcnt(39)
	v_mul_f32_e32 v128, v121, v177
	v_add_f32_e32 v103, v103, v104
	v_mul_f32_e32 v104, v110, v162
	s_waitcnt vmcnt(38)
	v_fmac_f32_e32 v128, v122, v178
	v_fma_f32 v104, v109, v170, -v104
	v_add_f32_e32 v127, v127, v128
	s_waitcnt vmcnt(37) lgkmcnt(0)
	v_mul_f32_e32 v128, v123, v179
	v_add_f32_e32 v103, v103, v104
	v_mul_f32_e32 v104, v112, v163
	s_waitcnt vmcnt(36)
	v_fmac_f32_e32 v128, v124, v180
	v_fma_f32 v104, v111, v171, -v104
	v_add_f32_e32 v131, v127, v128
	ds_read_b128 v[127:130], v102 offset:672
	v_add_f32_e32 v103, v103, v104
	v_mul_f32_e32 v104, v114, v164
	v_fma_f32 v104, v113, v172, -v104
	s_waitcnt vmcnt(35)
	v_mul_f32_e32 v132, v125, v181
	v_add_f32_e32 v103, v103, v104
	v_mul_f32_e32 v104, v116, v165
	s_waitcnt vmcnt(34)
	v_fmac_f32_e32 v132, v126, v182
	v_fma_f32 v104, v115, v173, -v104
	v_add_f32_e32 v135, v131, v132
	ds_read_b128 v[131:134], v102 offset:688
	v_add_f32_e32 v103, v103, v104
	v_mul_f32_e32 v104, v118, v166
	s_waitcnt vmcnt(33) lgkmcnt(1)
	v_mul_f32_e32 v136, v127, v183
	v_fma_f32 v104, v117, v174, -v104
	s_waitcnt vmcnt(32)
	v_fmac_f32_e32 v136, v128, v184
	v_add_f32_e32 v103, v103, v104
	v_mul_f32_e32 v104, v120, v175
	v_add_f32_e32 v135, v135, v136
	s_waitcnt vmcnt(31)
	v_mul_f32_e32 v136, v129, v185
	v_fma_f32 v104, v119, v176, -v104
	s_waitcnt vmcnt(30)
	v_fmac_f32_e32 v136, v130, v186
	v_add_f32_e32 v103, v103, v104
	v_mul_f32_e32 v104, v122, v177
	v_add_f32_e32 v135, v135, v136
	s_waitcnt vmcnt(29) lgkmcnt(0)
	v_mul_f32_e32 v136, v131, v187
	v_fma_f32 v104, v121, v178, -v104
	s_waitcnt vmcnt(28)
	v_fmac_f32_e32 v136, v132, v188
	v_add_f32_e32 v103, v103, v104
	v_mul_f32_e32 v104, v124, v179
	v_add_f32_e32 v139, v135, v136
	ds_read_b128 v[135:138], v102 offset:704
	v_fma_f32 v104, v123, v180, -v104
	v_add_f32_e32 v103, v103, v104
	v_mul_f32_e32 v104, v126, v181
	s_waitcnt vmcnt(25)
	v_mul_f32_e32 v140, v133, v191
	v_fma_f32 v104, v125, v182, -v104
	s_waitcnt vmcnt(24)
	v_fmac_f32_e32 v140, v134, v192
	v_add_f32_e32 v103, v103, v104
	v_mul_f32_e32 v104, v128, v183
	v_add_f32_e32 v143, v139, v140
	ds_read_b128 v[139:142], v102 offset:720
	v_fma_f32 v104, v127, v184, -v104
	s_waitcnt vmcnt(23) lgkmcnt(1)
	v_mul_f32_e32 v144, v135, v193
	v_add_f32_e32 v103, v103, v104
	v_mul_f32_e32 v104, v130, v185
	s_waitcnt vmcnt(22)
	v_fmac_f32_e32 v144, v136, v194
	v_fma_f32 v104, v129, v186, -v104
	v_add_f32_e32 v143, v143, v144
	s_waitcnt vmcnt(20)
	v_mul_f32_e32 v144, v137, v196
	v_add_f32_e32 v103, v103, v104
	v_mul_f32_e32 v104, v132, v187
	v_fmac_f32_e32 v144, v138, v195
	v_fma_f32 v104, v131, v188, -v104
	v_add_f32_e32 v143, v143, v144
	s_waitcnt vmcnt(18) lgkmcnt(0)
	v_mul_f32_e32 v144, v139, v198
	v_add_f32_e32 v103, v103, v104
	v_mul_f32_e32 v104, v134, v191
	v_fmac_f32_e32 v144, v140, v197
	v_fma_f32 v104, v133, v192, -v104
	v_add_f32_e32 v147, v143, v144
	ds_read_b128 v[143:146], v102 offset:736
	v_add_f32_e32 v103, v103, v104
	v_mul_f32_e32 v104, v136, v193
	v_fma_f32 v104, v135, v194, -v104
	s_waitcnt vmcnt(17)
	v_mul_f32_e32 v148, v141, v199
	v_add_f32_e32 v103, v103, v104
	v_mul_f32_e32 v104, v138, v196
	s_waitcnt vmcnt(16)
	v_fmac_f32_e32 v148, v142, v200
	v_fma_f32 v104, v137, v195, -v104
	v_add_f32_e32 v151, v147, v148
	ds_read_b128 v[147:150], v102 offset:752
	v_add_f32_e32 v103, v103, v104
	v_mul_f32_e32 v104, v140, v198
	s_waitcnt vmcnt(14) lgkmcnt(1)
	v_mul_f32_e32 v152, v143, v202
	v_fma_f32 v104, v139, v197, -v104
	v_fmac_f32_e32 v152, v144, v201
	v_add_f32_e32 v103, v103, v104
	v_mul_f32_e32 v104, v142, v199
	v_add_f32_e32 v151, v151, v152
	s_waitcnt vmcnt(12)
	v_mul_f32_e32 v152, v145, v204
	v_fma_f32 v104, v141, v200, -v104
	v_fmac_f32_e32 v152, v146, v203
	v_add_f32_e32 v103, v103, v104
	v_mul_f32_e32 v104, v144, v202
	v_add_f32_e32 v151, v151, v152
	s_waitcnt vmcnt(10) lgkmcnt(0)
	v_mul_f32_e32 v152, v147, v206
	v_fma_f32 v104, v143, v201, -v104
	v_fmac_f32_e32 v152, v148, v205
	v_add_f32_e32 v103, v103, v104
	v_mul_f32_e32 v104, v146, v204
	v_add_f32_e32 v155, v151, v152
	ds_read_b128 v[151:154], v102 offset:768
	v_fma_f32 v104, v145, v203, -v104
	v_add_f32_e32 v103, v103, v104
	v_mul_f32_e32 v104, v148, v206
	s_waitcnt vmcnt(8)
	v_mul_f32_e32 v156, v149, v208
	v_fma_f32 v104, v147, v205, -v104
	v_fmac_f32_e32 v156, v150, v207
	v_add_f32_e32 v103, v103, v104
	v_mul_f32_e32 v104, v150, v208
	v_add_f32_e32 v217, v155, v156
	ds_read_b128 v[155:158], v102 offset:784
	v_fma_f32 v104, v149, v207, -v104
	v_add_f32_e32 v103, v103, v104
	s_waitcnt vmcnt(6) lgkmcnt(1)
	v_mul_f32_e32 v104, v152, v210
	v_mul_f32_e32 v102, v151, v210
	v_fma_f32 v104, v151, v209, -v104
	v_fmac_f32_e32 v102, v152, v209
	v_add_f32_e32 v103, v103, v104
	s_waitcnt vmcnt(4)
	v_mul_f32_e32 v104, v154, v212
	v_add_f32_e32 v102, v217, v102
	v_mul_f32_e32 v217, v153, v212
	v_fma_f32 v104, v153, v211, -v104
	v_fmac_f32_e32 v217, v154, v211
	v_add_f32_e32 v103, v103, v104
	s_waitcnt vmcnt(2) lgkmcnt(0)
	v_mul_f32_e32 v104, v156, v214
	v_add_f32_e32 v102, v102, v217
	v_mul_f32_e32 v217, v155, v214
	v_fma_f32 v104, v155, v213, -v104
	v_fmac_f32_e32 v217, v156, v213
	v_add_f32_e32 v103, v103, v104
	s_waitcnt vmcnt(0)
	v_mul_f32_e32 v104, v158, v216
	v_add_f32_e32 v102, v102, v217
	v_mul_f32_e32 v217, v157, v216
	v_fma_f32 v104, v157, v215, -v104
	v_fmac_f32_e32 v217, v158, v215
	v_add_f32_e32 v103, v103, v104
	v_add_f32_e32 v102, v102, v217
	v_sub_f32_e32 v103, v189, v103
	v_sub_f32_e32 v102, v190, v102
	buffer_store_dword v103, off, s[0:3], 0 offset:168
	buffer_store_dword v102, off, s[0:3], 0 offset:172
	s_and_saveexec_b64 s[4:5], vcc
	s_cbranch_execz .LBB49_273
; %bb.272:
	buffer_load_dword v102, off, s[0:3], 0 offset:160
	buffer_load_dword v103, off, s[0:3], 0 offset:164
	v_mov_b32_e32 v104, 0
	buffer_store_dword v104, off, s[0:3], 0 offset:160
	buffer_store_dword v104, off, s[0:3], 0 offset:164
	s_waitcnt vmcnt(2)
	ds_write_b64 v101, v[102:103]
.LBB49_273:
	s_or_b64 exec, exec, s[4:5]
	s_waitcnt lgkmcnt(0)
	; wave barrier
	buffer_load_dword v161, off, s[0:3], 0 offset:172
	buffer_load_dword v162, off, s[0:3], 0 offset:180
	;; [unrolled: 1-line block ×60, first 2 shown]
	v_mov_b32_e32 v102, 0
	ds_read2_b64 v[103:106], v102 offset0:71 offset1:72
	ds_read2_b64 v[107:110], v102 offset0:73 offset1:74
	;; [unrolled: 1-line block ×5, first 2 shown]
	v_cmp_lt_u32_e32 vcc, 19, v0
	s_waitcnt vmcnt(59) lgkmcnt(4)
	v_mul_f32_e32 v123, v103, v161
	s_waitcnt vmcnt(58)
	v_mul_f32_e32 v124, v105, v162
	s_waitcnt vmcnt(57) lgkmcnt(3)
	v_mul_f32_e32 v125, v107, v163
	s_waitcnt vmcnt(56)
	v_mul_f32_e32 v126, v109, v164
	s_waitcnt vmcnt(55) lgkmcnt(2)
	v_mul_f32_e32 v127, v111, v165
	s_waitcnt vmcnt(54)
	v_mul_f32_e32 v128, v113, v166
	s_waitcnt vmcnt(53) lgkmcnt(1)
	v_mul_f32_e32 v129, v115, v167
	s_waitcnt vmcnt(52)
	v_fmac_f32_e32 v123, v104, v168
	s_waitcnt vmcnt(51)
	v_fmac_f32_e32 v124, v106, v169
	v_add_f32_e32 v123, 0, v123
	s_waitcnt vmcnt(50)
	v_fmac_f32_e32 v125, v108, v170
	v_add_f32_e32 v123, v123, v124
	;; [unrolled: 3-line block ×6, first 2 shown]
	s_waitcnt vmcnt(45)
	v_mul_f32_e32 v124, v117, v175
	v_add_f32_e32 v123, v123, v129
	s_waitcnt vmcnt(44)
	v_fmac_f32_e32 v124, v118, v176
	v_mul_f32_e32 v104, v104, v161
	v_add_f32_e32 v127, v123, v124
	ds_read2_b64 v[123:126], v102 offset0:81 offset1:82
	v_fma_f32 v103, v103, v168, -v104
	v_mul_f32_e32 v104, v106, v162
	s_waitcnt vmcnt(43) lgkmcnt(1)
	v_mul_f32_e32 v128, v119, v177
	v_add_f32_e32 v103, 0, v103
	v_fma_f32 v104, v105, v169, -v104
	s_waitcnt vmcnt(42)
	v_fmac_f32_e32 v128, v120, v178
	v_add_f32_e32 v103, v103, v104
	v_mul_f32_e32 v104, v108, v163
	v_add_f32_e32 v127, v127, v128
	s_waitcnt vmcnt(41)
	v_mul_f32_e32 v128, v121, v179
	v_fma_f32 v104, v107, v170, -v104
	s_waitcnt vmcnt(40)
	v_fmac_f32_e32 v128, v122, v180
	v_add_f32_e32 v103, v103, v104
	v_mul_f32_e32 v104, v110, v164
	v_add_f32_e32 v127, v127, v128
	s_waitcnt vmcnt(39) lgkmcnt(0)
	v_mul_f32_e32 v128, v123, v181
	v_fma_f32 v104, v109, v171, -v104
	s_waitcnt vmcnt(38)
	v_fmac_f32_e32 v128, v124, v182
	v_add_f32_e32 v103, v103, v104
	v_mul_f32_e32 v104, v112, v165
	v_add_f32_e32 v131, v127, v128
	ds_read2_b64 v[127:130], v102 offset0:83 offset1:84
	v_fma_f32 v104, v111, v172, -v104
	v_add_f32_e32 v103, v103, v104
	v_mul_f32_e32 v104, v114, v166
	s_waitcnt vmcnt(37)
	v_mul_f32_e32 v132, v125, v183
	v_fma_f32 v104, v113, v173, -v104
	s_waitcnt vmcnt(36)
	v_fmac_f32_e32 v132, v126, v184
	v_add_f32_e32 v103, v103, v104
	v_mul_f32_e32 v104, v116, v167
	v_add_f32_e32 v135, v131, v132
	ds_read2_b64 v[131:134], v102 offset0:85 offset1:86
	v_fma_f32 v104, v115, v174, -v104
	s_waitcnt vmcnt(34) lgkmcnt(1)
	v_mul_f32_e32 v136, v127, v186
	v_add_f32_e32 v103, v103, v104
	v_mul_f32_e32 v104, v118, v175
	v_fmac_f32_e32 v136, v128, v185
	v_fma_f32 v104, v117, v176, -v104
	v_add_f32_e32 v135, v135, v136
	s_waitcnt vmcnt(31)
	v_mul_f32_e32 v136, v129, v189
	v_add_f32_e32 v103, v103, v104
	v_mul_f32_e32 v104, v120, v177
	s_waitcnt vmcnt(30)
	v_fmac_f32_e32 v136, v130, v190
	v_fma_f32 v104, v119, v178, -v104
	v_add_f32_e32 v135, v135, v136
	s_waitcnt vmcnt(28) lgkmcnt(0)
	v_mul_f32_e32 v136, v131, v192
	v_add_f32_e32 v103, v103, v104
	v_mul_f32_e32 v104, v122, v179
	v_fmac_f32_e32 v136, v132, v191
	v_fma_f32 v104, v121, v180, -v104
	v_add_f32_e32 v139, v135, v136
	ds_read2_b64 v[135:138], v102 offset0:87 offset1:88
	v_add_f32_e32 v103, v103, v104
	v_mul_f32_e32 v104, v124, v181
	v_fma_f32 v104, v123, v182, -v104
	s_waitcnt vmcnt(26)
	v_mul_f32_e32 v140, v133, v194
	v_add_f32_e32 v103, v103, v104
	v_mul_f32_e32 v104, v126, v183
	v_fmac_f32_e32 v140, v134, v193
	v_fma_f32 v104, v125, v184, -v104
	v_add_f32_e32 v143, v139, v140
	ds_read2_b64 v[139:142], v102 offset0:89 offset1:90
	v_add_f32_e32 v103, v103, v104
	v_mul_f32_e32 v104, v128, v186
	s_waitcnt vmcnt(24) lgkmcnt(1)
	v_mul_f32_e32 v144, v135, v196
	v_fma_f32 v104, v127, v185, -v104
	v_fmac_f32_e32 v144, v136, v195
	v_add_f32_e32 v103, v103, v104
	v_mul_f32_e32 v104, v130, v189
	v_add_f32_e32 v143, v143, v144
	s_waitcnt vmcnt(22)
	v_mul_f32_e32 v144, v137, v198
	v_fma_f32 v104, v129, v190, -v104
	v_fmac_f32_e32 v144, v138, v197
	v_add_f32_e32 v103, v103, v104
	v_mul_f32_e32 v104, v132, v192
	v_add_f32_e32 v143, v143, v144
	s_waitcnt vmcnt(20) lgkmcnt(0)
	v_mul_f32_e32 v144, v139, v200
	v_fma_f32 v104, v131, v191, -v104
	v_fmac_f32_e32 v144, v140, v199
	v_add_f32_e32 v103, v103, v104
	v_mul_f32_e32 v104, v134, v194
	v_add_f32_e32 v147, v143, v144
	ds_read2_b64 v[143:146], v102 offset0:91 offset1:92
	v_fma_f32 v104, v133, v193, -v104
	v_add_f32_e32 v103, v103, v104
	v_mul_f32_e32 v104, v136, v196
	s_waitcnt vmcnt(18)
	v_mul_f32_e32 v148, v141, v202
	v_fma_f32 v104, v135, v195, -v104
	v_fmac_f32_e32 v148, v142, v201
	v_add_f32_e32 v103, v103, v104
	v_mul_f32_e32 v104, v138, v198
	v_add_f32_e32 v151, v147, v148
	ds_read2_b64 v[147:150], v102 offset0:93 offset1:94
	v_fma_f32 v104, v137, v197, -v104
	s_waitcnt vmcnt(16) lgkmcnt(1)
	v_mul_f32_e32 v152, v143, v204
	v_add_f32_e32 v103, v103, v104
	v_mul_f32_e32 v104, v140, v200
	v_fmac_f32_e32 v152, v144, v203
	v_fma_f32 v104, v139, v199, -v104
	v_add_f32_e32 v151, v151, v152
	s_waitcnt vmcnt(14)
	v_mul_f32_e32 v152, v145, v206
	v_add_f32_e32 v103, v103, v104
	v_mul_f32_e32 v104, v142, v202
	v_fmac_f32_e32 v152, v146, v205
	v_fma_f32 v104, v141, v201, -v104
	v_add_f32_e32 v151, v151, v152
	s_waitcnt vmcnt(12) lgkmcnt(0)
	v_mul_f32_e32 v152, v147, v208
	v_add_f32_e32 v103, v103, v104
	v_mul_f32_e32 v104, v144, v204
	v_fmac_f32_e32 v152, v148, v207
	v_fma_f32 v104, v143, v203, -v104
	v_add_f32_e32 v155, v151, v152
	ds_read2_b64 v[151:154], v102 offset0:95 offset1:96
	v_add_f32_e32 v103, v103, v104
	v_mul_f32_e32 v104, v146, v206
	v_fma_f32 v104, v145, v205, -v104
	v_add_f32_e32 v103, v103, v104
	v_mul_f32_e32 v104, v148, v208
	s_waitcnt vmcnt(10)
	v_mul_f32_e32 v156, v149, v210
	v_fma_f32 v104, v147, v207, -v104
	v_fmac_f32_e32 v156, v150, v209
	v_add_f32_e32 v103, v103, v104
	v_mul_f32_e32 v104, v150, v210
	v_add_f32_e32 v159, v155, v156
	ds_read2_b64 v[155:158], v102 offset0:97 offset1:98
	s_waitcnt vmcnt(8) lgkmcnt(1)
	v_mul_f32_e32 v160, v151, v212
	v_fma_f32 v104, v149, v209, -v104
	v_fmac_f32_e32 v160, v152, v211
	v_add_f32_e32 v103, v103, v104
	v_mul_f32_e32 v104, v152, v212
	v_add_f32_e32 v159, v159, v160
	s_waitcnt vmcnt(6)
	v_mul_f32_e32 v160, v153, v214
	v_fma_f32 v104, v151, v211, -v104
	v_fmac_f32_e32 v160, v154, v213
	v_add_f32_e32 v103, v103, v104
	v_mul_f32_e32 v104, v154, v214
	v_add_f32_e32 v221, v159, v160
	ds_read_b64 v[159:160], v102 offset:792
	v_fma_f32 v104, v153, v213, -v104
	v_add_f32_e32 v103, v103, v104
	s_waitcnt vmcnt(4) lgkmcnt(1)
	v_mul_f32_e32 v104, v156, v216
	v_mul_f32_e32 v222, v155, v216
	v_fma_f32 v104, v155, v215, -v104
	v_fmac_f32_e32 v222, v156, v215
	v_add_f32_e32 v103, v103, v104
	s_waitcnt vmcnt(2)
	v_mul_f32_e32 v104, v158, v218
	v_add_f32_e32 v221, v221, v222
	v_mul_f32_e32 v222, v157, v218
	v_fma_f32 v104, v157, v217, -v104
	v_fmac_f32_e32 v222, v158, v217
	v_add_f32_e32 v103, v103, v104
	s_waitcnt vmcnt(0) lgkmcnt(0)
	v_mul_f32_e32 v104, v160, v220
	v_add_f32_e32 v221, v221, v222
	v_mul_f32_e32 v222, v159, v220
	v_fma_f32 v104, v159, v219, -v104
	v_fmac_f32_e32 v222, v160, v219
	v_add_f32_e32 v103, v103, v104
	v_add_f32_e32 v221, v221, v222
	v_sub_f32_e32 v103, v187, v103
	v_sub_f32_e32 v104, v188, v221
	buffer_store_dword v103, off, s[0:3], 0 offset:160
	buffer_store_dword v104, off, s[0:3], 0 offset:164
	s_and_saveexec_b64 s[4:5], vcc
	s_cbranch_execz .LBB49_275
; %bb.274:
	buffer_load_dword v103, off, s[0:3], 0 offset:152
	buffer_load_dword v104, off, s[0:3], 0 offset:156
	s_waitcnt vmcnt(0)
	ds_write_b64 v101, v[103:104]
	buffer_store_dword v102, off, s[0:3], 0 offset:152
	buffer_store_dword v102, off, s[0:3], 0 offset:156
.LBB49_275:
	s_or_b64 exec, exec, s[4:5]
	s_waitcnt lgkmcnt(0)
	; wave barrier
	buffer_load_dword v163, off, s[0:3], 0 offset:164
	buffer_load_dword v164, off, s[0:3], 0 offset:172
	;; [unrolled: 1-line block ×32, first 2 shown]
	ds_read_b128 v[103:106], v102 offset:560
	ds_read_b128 v[107:110], v102 offset:576
	ds_read_b128 v[111:114], v102 offset:592
	ds_read_b128 v[115:118], v102 offset:608
	buffer_load_dword v195, off, s[0:3], 0 offset:284
	buffer_load_dword v196, off, s[0:3], 0 offset:280
	;; [unrolled: 1-line block ×30, first 2 shown]
	v_cmp_lt_u32_e32 vcc, 18, v0
	s_waitcnt vmcnt(61) lgkmcnt(3)
	v_mul_f32_e32 v119, v103, v163
	s_waitcnt vmcnt(60)
	v_mul_f32_e32 v120, v105, v164
	s_waitcnt vmcnt(59) lgkmcnt(2)
	v_mul_f32_e32 v121, v107, v165
	s_waitcnt vmcnt(58)
	v_mul_f32_e32 v122, v109, v166
	;; [unrolled: 4-line block ×3, first 2 shown]
	s_waitcnt vmcnt(55) lgkmcnt(0)
	v_mul_f32_e32 v125, v115, v169
	s_waitcnt vmcnt(54)
	v_fmac_f32_e32 v119, v104, v170
	s_waitcnt vmcnt(53)
	v_fmac_f32_e32 v120, v106, v171
	v_add_f32_e32 v119, 0, v119
	s_waitcnt vmcnt(52)
	v_fmac_f32_e32 v121, v108, v172
	v_add_f32_e32 v119, v119, v120
	;; [unrolled: 3-line block ×6, first 2 shown]
	v_add_f32_e32 v123, v119, v125
	ds_read_b128 v[119:122], v102 offset:624
	s_waitcnt vmcnt(47)
	v_mul_f32_e32 v124, v117, v177
	s_waitcnt vmcnt(46)
	v_fmac_f32_e32 v124, v118, v178
	v_mul_f32_e32 v104, v104, v163
	v_add_f32_e32 v127, v123, v124
	ds_read_b128 v[123:126], v102 offset:640
	v_fma_f32 v103, v103, v170, -v104
	v_mul_f32_e32 v104, v106, v164
	s_waitcnt vmcnt(45) lgkmcnt(1)
	v_mul_f32_e32 v128, v119, v179
	v_add_f32_e32 v103, 0, v103
	v_fma_f32 v104, v105, v171, -v104
	s_waitcnt vmcnt(44)
	v_fmac_f32_e32 v128, v120, v180
	v_add_f32_e32 v103, v103, v104
	v_mul_f32_e32 v104, v108, v165
	v_add_f32_e32 v127, v127, v128
	s_waitcnt vmcnt(43)
	v_mul_f32_e32 v128, v121, v181
	v_fma_f32 v104, v107, v172, -v104
	s_waitcnt vmcnt(42)
	v_fmac_f32_e32 v128, v122, v182
	v_add_f32_e32 v103, v103, v104
	v_mul_f32_e32 v104, v110, v166
	v_add_f32_e32 v127, v127, v128
	s_waitcnt vmcnt(41) lgkmcnt(0)
	v_mul_f32_e32 v128, v123, v183
	v_fma_f32 v104, v109, v173, -v104
	s_waitcnt vmcnt(40)
	v_fmac_f32_e32 v128, v124, v184
	v_add_f32_e32 v103, v103, v104
	v_mul_f32_e32 v104, v112, v167
	v_add_f32_e32 v131, v127, v128
	ds_read_b128 v[127:130], v102 offset:656
	v_fma_f32 v104, v111, v174, -v104
	v_add_f32_e32 v103, v103, v104
	v_mul_f32_e32 v104, v114, v168
	s_waitcnt vmcnt(39)
	v_mul_f32_e32 v132, v125, v185
	v_fma_f32 v104, v113, v175, -v104
	s_waitcnt vmcnt(38)
	v_fmac_f32_e32 v132, v126, v186
	v_add_f32_e32 v103, v103, v104
	v_mul_f32_e32 v104, v116, v169
	v_add_f32_e32 v135, v131, v132
	ds_read_b128 v[131:134], v102 offset:672
	v_fma_f32 v104, v115, v176, -v104
	s_waitcnt vmcnt(35) lgkmcnt(1)
	v_mul_f32_e32 v136, v127, v189
	v_add_f32_e32 v103, v103, v104
	v_mul_f32_e32 v104, v118, v177
	s_waitcnt vmcnt(34)
	v_fmac_f32_e32 v136, v128, v190
	v_fma_f32 v104, v117, v178, -v104
	v_add_f32_e32 v135, v135, v136
	s_waitcnt vmcnt(32)
	v_mul_f32_e32 v136, v129, v192
	v_add_f32_e32 v103, v103, v104
	v_mul_f32_e32 v104, v120, v179
	v_fmac_f32_e32 v136, v130, v191
	v_fma_f32 v104, v119, v180, -v104
	v_add_f32_e32 v135, v135, v136
	s_waitcnt vmcnt(30) lgkmcnt(0)
	v_mul_f32_e32 v136, v131, v194
	v_add_f32_e32 v103, v103, v104
	v_mul_f32_e32 v104, v122, v181
	v_fmac_f32_e32 v136, v132, v193
	v_fma_f32 v104, v121, v182, -v104
	v_add_f32_e32 v139, v135, v136
	ds_read_b128 v[135:138], v102 offset:688
	v_add_f32_e32 v103, v103, v104
	v_mul_f32_e32 v104, v124, v183
	v_fma_f32 v104, v123, v184, -v104
	s_waitcnt vmcnt(29)
	v_mul_f32_e32 v140, v133, v195
	v_add_f32_e32 v103, v103, v104
	v_mul_f32_e32 v104, v126, v185
	s_waitcnt vmcnt(28)
	v_fmac_f32_e32 v140, v134, v196
	v_fma_f32 v104, v125, v186, -v104
	v_add_f32_e32 v143, v139, v140
	ds_read_b128 v[139:142], v102 offset:704
	v_add_f32_e32 v103, v103, v104
	v_mul_f32_e32 v104, v128, v189
	s_waitcnt vmcnt(26) lgkmcnt(1)
	v_mul_f32_e32 v144, v135, v198
	v_fma_f32 v104, v127, v190, -v104
	v_fmac_f32_e32 v144, v136, v197
	v_add_f32_e32 v103, v103, v104
	v_mul_f32_e32 v104, v130, v192
	v_add_f32_e32 v143, v143, v144
	s_waitcnt vmcnt(24)
	v_mul_f32_e32 v144, v137, v200
	v_fma_f32 v104, v129, v191, -v104
	v_fmac_f32_e32 v144, v138, v199
	v_add_f32_e32 v103, v103, v104
	v_mul_f32_e32 v104, v132, v194
	v_add_f32_e32 v143, v143, v144
	s_waitcnt vmcnt(22) lgkmcnt(0)
	v_mul_f32_e32 v144, v139, v202
	v_fma_f32 v104, v131, v193, -v104
	v_fmac_f32_e32 v144, v140, v201
	v_add_f32_e32 v103, v103, v104
	v_mul_f32_e32 v104, v134, v195
	v_add_f32_e32 v147, v143, v144
	ds_read_b128 v[143:146], v102 offset:720
	v_fma_f32 v104, v133, v196, -v104
	v_add_f32_e32 v103, v103, v104
	v_mul_f32_e32 v104, v136, v198
	s_waitcnt vmcnt(20)
	v_mul_f32_e32 v148, v141, v204
	v_fma_f32 v104, v135, v197, -v104
	v_fmac_f32_e32 v148, v142, v203
	v_add_f32_e32 v103, v103, v104
	v_mul_f32_e32 v104, v138, v200
	v_add_f32_e32 v151, v147, v148
	ds_read_b128 v[147:150], v102 offset:736
	v_fma_f32 v104, v137, v199, -v104
	s_waitcnt vmcnt(18) lgkmcnt(1)
	v_mul_f32_e32 v152, v143, v206
	v_add_f32_e32 v103, v103, v104
	v_mul_f32_e32 v104, v140, v202
	v_fmac_f32_e32 v152, v144, v205
	v_fma_f32 v104, v139, v201, -v104
	v_add_f32_e32 v151, v151, v152
	s_waitcnt vmcnt(16)
	v_mul_f32_e32 v152, v145, v208
	v_add_f32_e32 v103, v103, v104
	v_mul_f32_e32 v104, v142, v204
	v_fmac_f32_e32 v152, v146, v207
	v_fma_f32 v104, v141, v203, -v104
	v_add_f32_e32 v151, v151, v152
	s_waitcnt vmcnt(14) lgkmcnt(0)
	v_mul_f32_e32 v152, v147, v210
	v_add_f32_e32 v103, v103, v104
	v_mul_f32_e32 v104, v144, v206
	v_fmac_f32_e32 v152, v148, v209
	v_fma_f32 v104, v143, v205, -v104
	v_add_f32_e32 v155, v151, v152
	ds_read_b128 v[151:154], v102 offset:752
	v_add_f32_e32 v103, v103, v104
	v_mul_f32_e32 v104, v146, v208
	v_fma_f32 v104, v145, v207, -v104
	v_add_f32_e32 v103, v103, v104
	v_mul_f32_e32 v104, v148, v210
	s_waitcnt vmcnt(12)
	v_mul_f32_e32 v156, v149, v212
	v_fma_f32 v104, v147, v209, -v104
	v_fmac_f32_e32 v156, v150, v211
	v_add_f32_e32 v103, v103, v104
	v_mul_f32_e32 v104, v150, v212
	v_add_f32_e32 v159, v155, v156
	ds_read_b128 v[155:158], v102 offset:768
	s_waitcnt vmcnt(10) lgkmcnt(1)
	v_mul_f32_e32 v160, v151, v214
	v_fma_f32 v104, v149, v211, -v104
	v_fmac_f32_e32 v160, v152, v213
	v_add_f32_e32 v103, v103, v104
	v_mul_f32_e32 v104, v152, v214
	v_add_f32_e32 v159, v159, v160
	s_waitcnt vmcnt(8)
	v_mul_f32_e32 v160, v153, v216
	v_fma_f32 v104, v151, v213, -v104
	v_fmac_f32_e32 v160, v154, v215
	v_add_f32_e32 v103, v103, v104
	v_mul_f32_e32 v104, v154, v216
	v_add_f32_e32 v225, v159, v160
	ds_read_b128 v[159:162], v102 offset:784
	v_fma_f32 v104, v153, v215, -v104
	v_add_f32_e32 v103, v103, v104
	s_waitcnt vmcnt(6) lgkmcnt(1)
	v_mul_f32_e32 v104, v156, v218
	v_mul_f32_e32 v226, v155, v218
	v_fma_f32 v104, v155, v217, -v104
	v_fmac_f32_e32 v226, v156, v217
	v_add_f32_e32 v103, v103, v104
	s_waitcnt vmcnt(4)
	v_mul_f32_e32 v104, v158, v220
	v_add_f32_e32 v102, v225, v226
	v_mul_f32_e32 v225, v157, v220
	v_fma_f32 v104, v157, v219, -v104
	v_fmac_f32_e32 v225, v158, v219
	v_add_f32_e32 v103, v103, v104
	s_waitcnt vmcnt(2) lgkmcnt(0)
	v_mul_f32_e32 v104, v160, v222
	v_add_f32_e32 v102, v102, v225
	v_mul_f32_e32 v225, v159, v222
	v_fma_f32 v104, v159, v221, -v104
	v_fmac_f32_e32 v225, v160, v221
	v_add_f32_e32 v103, v103, v104
	s_waitcnt vmcnt(0)
	v_mul_f32_e32 v104, v162, v224
	v_add_f32_e32 v102, v102, v225
	v_mul_f32_e32 v225, v161, v224
	v_fma_f32 v104, v161, v223, -v104
	v_fmac_f32_e32 v225, v162, v223
	v_add_f32_e32 v103, v103, v104
	v_add_f32_e32 v102, v102, v225
	v_sub_f32_e32 v103, v187, v103
	v_sub_f32_e32 v102, v188, v102
	buffer_store_dword v103, off, s[0:3], 0 offset:152
	buffer_store_dword v102, off, s[0:3], 0 offset:156
	s_and_saveexec_b64 s[4:5], vcc
	s_cbranch_execz .LBB49_277
; %bb.276:
	buffer_load_dword v102, off, s[0:3], 0 offset:144
	buffer_load_dword v103, off, s[0:3], 0 offset:148
	v_mov_b32_e32 v104, 0
	buffer_store_dword v104, off, s[0:3], 0 offset:144
	buffer_store_dword v104, off, s[0:3], 0 offset:148
	s_waitcnt vmcnt(2)
	ds_write_b64 v101, v[102:103]
.LBB49_277:
	s_or_b64 exec, exec, s[4:5]
	s_waitcnt lgkmcnt(0)
	; wave barrier
	buffer_load_dword v165, off, s[0:3], 0 offset:156
	buffer_load_dword v166, off, s[0:3], 0 offset:164
	;; [unrolled: 1-line block ×56, first 2 shown]
	v_mov_b32_e32 v102, 0
	ds_read2_b64 v[103:106], v102 offset0:69 offset1:70
	buffer_load_dword v221, off, s[0:3], 0 offset:368
	buffer_load_dword v222, off, s[0:3], 0 offset:372
	;; [unrolled: 1-line block ×4, first 2 shown]
	ds_read2_b64 v[107:110], v102 offset0:71 offset1:72
	ds_read2_b64 v[111:114], v102 offset0:73 offset1:74
	;; [unrolled: 1-line block ×3, first 2 shown]
	v_cmp_lt_u32_e32 vcc, 17, v0
	s_waitcnt vmcnt(59) lgkmcnt(3)
	v_mul_f32_e32 v119, v103, v165
	s_waitcnt vmcnt(58)
	v_mul_f32_e32 v120, v105, v166
	s_waitcnt vmcnt(57) lgkmcnt(2)
	v_mul_f32_e32 v121, v107, v167
	s_waitcnt vmcnt(56)
	v_mul_f32_e32 v122, v109, v168
	;; [unrolled: 4-line block ×4, first 2 shown]
	s_waitcnt vmcnt(51)
	v_fmac_f32_e32 v119, v104, v173
	s_waitcnt vmcnt(50)
	v_fmac_f32_e32 v120, v106, v174
	v_add_f32_e32 v119, 0, v119
	s_waitcnt vmcnt(49)
	v_fmac_f32_e32 v121, v108, v175
	v_add_f32_e32 v119, v119, v120
	;; [unrolled: 3-line block ×6, first 2 shown]
	v_add_f32_e32 v123, v119, v125
	ds_read2_b64 v[119:122], v102 offset0:77 offset1:78
	buffer_load_dword v225, off, s[0:3], 0 offset:388
	buffer_load_dword v226, off, s[0:3], 0 offset:384
	;; [unrolled: 1-line block ×4, first 2 shown]
	s_waitcnt vmcnt(48)
	v_fmac_f32_e32 v126, v118, v180
	v_add_f32_e32 v127, v123, v126
	ds_read2_b64 v[123:126], v102 offset0:79 offset1:80
	s_waitcnt vmcnt(47) lgkmcnt(1)
	v_mul_f32_e32 v128, v119, v181
	v_mul_f32_e32 v104, v104, v165
	s_waitcnt vmcnt(46)
	v_fmac_f32_e32 v128, v120, v182
	v_fma_f32 v103, v103, v173, -v104
	v_mul_f32_e32 v104, v106, v166
	v_add_f32_e32 v127, v127, v128
	s_waitcnt vmcnt(45)
	v_mul_f32_e32 v128, v121, v183
	v_add_f32_e32 v103, 0, v103
	v_fma_f32 v104, v105, v174, -v104
	s_waitcnt vmcnt(44)
	v_fmac_f32_e32 v128, v122, v184
	v_add_f32_e32 v103, v103, v104
	v_mul_f32_e32 v104, v108, v167
	v_add_f32_e32 v127, v127, v128
	s_waitcnt vmcnt(42) lgkmcnt(0)
	v_mul_f32_e32 v128, v123, v186
	v_fma_f32 v104, v107, v175, -v104
	v_fmac_f32_e32 v128, v124, v185
	v_add_f32_e32 v103, v103, v104
	v_mul_f32_e32 v104, v110, v168
	v_add_f32_e32 v131, v127, v128
	ds_read2_b64 v[127:130], v102 offset0:81 offset1:82
	v_fma_f32 v104, v109, v176, -v104
	v_add_f32_e32 v103, v103, v104
	v_mul_f32_e32 v104, v112, v169
	s_waitcnt vmcnt(39)
	v_mul_f32_e32 v132, v125, v189
	v_fma_f32 v104, v111, v177, -v104
	s_waitcnt vmcnt(38)
	v_fmac_f32_e32 v132, v126, v190
	v_add_f32_e32 v103, v103, v104
	v_mul_f32_e32 v104, v114, v170
	v_add_f32_e32 v135, v131, v132
	ds_read2_b64 v[131:134], v102 offset0:83 offset1:84
	v_fma_f32 v104, v113, v178, -v104
	s_waitcnt vmcnt(36) lgkmcnt(1)
	v_mul_f32_e32 v136, v127, v192
	v_add_f32_e32 v103, v103, v104
	v_mul_f32_e32 v104, v116, v171
	v_fmac_f32_e32 v136, v128, v191
	v_fma_f32 v104, v115, v179, -v104
	v_add_f32_e32 v135, v135, v136
	s_waitcnt vmcnt(34)
	v_mul_f32_e32 v136, v129, v194
	v_add_f32_e32 v103, v103, v104
	v_mul_f32_e32 v104, v118, v172
	v_fmac_f32_e32 v136, v130, v193
	v_fma_f32 v104, v117, v180, -v104
	v_add_f32_e32 v135, v135, v136
	s_waitcnt vmcnt(32) lgkmcnt(0)
	v_mul_f32_e32 v136, v131, v196
	v_add_f32_e32 v103, v103, v104
	v_mul_f32_e32 v104, v120, v181
	v_fmac_f32_e32 v136, v132, v195
	v_fma_f32 v104, v119, v182, -v104
	v_add_f32_e32 v139, v135, v136
	ds_read2_b64 v[135:138], v102 offset0:85 offset1:86
	v_add_f32_e32 v103, v103, v104
	v_mul_f32_e32 v104, v122, v183
	v_fma_f32 v104, v121, v184, -v104
	s_waitcnt vmcnt(30)
	v_mul_f32_e32 v140, v133, v198
	v_add_f32_e32 v103, v103, v104
	v_mul_f32_e32 v104, v124, v186
	v_fmac_f32_e32 v140, v134, v197
	v_fma_f32 v104, v123, v185, -v104
	v_add_f32_e32 v143, v139, v140
	ds_read2_b64 v[139:142], v102 offset0:87 offset1:88
	v_add_f32_e32 v103, v103, v104
	v_mul_f32_e32 v104, v126, v189
	s_waitcnt vmcnt(28) lgkmcnt(1)
	v_mul_f32_e32 v144, v135, v200
	v_fma_f32 v104, v125, v190, -v104
	v_fmac_f32_e32 v144, v136, v199
	v_add_f32_e32 v103, v103, v104
	v_mul_f32_e32 v104, v128, v192
	v_add_f32_e32 v143, v143, v144
	s_waitcnt vmcnt(26)
	v_mul_f32_e32 v144, v137, v202
	v_fma_f32 v104, v127, v191, -v104
	v_fmac_f32_e32 v144, v138, v201
	v_add_f32_e32 v103, v103, v104
	v_mul_f32_e32 v104, v130, v194
	v_add_f32_e32 v143, v143, v144
	s_waitcnt vmcnt(24) lgkmcnt(0)
	v_mul_f32_e32 v144, v139, v204
	v_fma_f32 v104, v129, v193, -v104
	v_fmac_f32_e32 v144, v140, v203
	v_add_f32_e32 v103, v103, v104
	v_mul_f32_e32 v104, v132, v196
	v_add_f32_e32 v147, v143, v144
	ds_read2_b64 v[143:146], v102 offset0:89 offset1:90
	v_fma_f32 v104, v131, v195, -v104
	v_add_f32_e32 v103, v103, v104
	v_mul_f32_e32 v104, v134, v198
	s_waitcnt vmcnt(22)
	v_mul_f32_e32 v148, v141, v206
	v_fma_f32 v104, v133, v197, -v104
	v_fmac_f32_e32 v148, v142, v205
	v_add_f32_e32 v103, v103, v104
	v_mul_f32_e32 v104, v136, v200
	v_add_f32_e32 v151, v147, v148
	ds_read2_b64 v[147:150], v102 offset0:91 offset1:92
	v_fma_f32 v104, v135, v199, -v104
	s_waitcnt vmcnt(20) lgkmcnt(1)
	v_mul_f32_e32 v152, v143, v208
	v_add_f32_e32 v103, v103, v104
	v_mul_f32_e32 v104, v138, v202
	v_fmac_f32_e32 v152, v144, v207
	v_fma_f32 v104, v137, v201, -v104
	v_add_f32_e32 v151, v151, v152
	s_waitcnt vmcnt(18)
	v_mul_f32_e32 v152, v145, v210
	v_add_f32_e32 v103, v103, v104
	v_mul_f32_e32 v104, v140, v204
	v_fmac_f32_e32 v152, v146, v209
	v_fma_f32 v104, v139, v203, -v104
	v_add_f32_e32 v151, v151, v152
	s_waitcnt vmcnt(16) lgkmcnt(0)
	v_mul_f32_e32 v152, v147, v212
	v_add_f32_e32 v103, v103, v104
	v_mul_f32_e32 v104, v142, v206
	v_fmac_f32_e32 v152, v148, v211
	v_fma_f32 v104, v141, v205, -v104
	v_add_f32_e32 v155, v151, v152
	ds_read2_b64 v[151:154], v102 offset0:93 offset1:94
	v_add_f32_e32 v103, v103, v104
	v_mul_f32_e32 v104, v144, v208
	v_fma_f32 v104, v143, v207, -v104
	s_waitcnt vmcnt(14)
	v_mul_f32_e32 v156, v149, v214
	v_add_f32_e32 v103, v103, v104
	v_mul_f32_e32 v104, v146, v210
	v_fmac_f32_e32 v156, v150, v213
	v_fma_f32 v104, v145, v209, -v104
	v_add_f32_e32 v159, v155, v156
	ds_read2_b64 v[155:158], v102 offset0:95 offset1:96
	v_add_f32_e32 v103, v103, v104
	v_mul_f32_e32 v104, v148, v212
	s_waitcnt vmcnt(12) lgkmcnt(1)
	v_mul_f32_e32 v160, v151, v216
	v_fma_f32 v104, v147, v211, -v104
	v_fmac_f32_e32 v160, v152, v215
	v_add_f32_e32 v103, v103, v104
	v_mul_f32_e32 v104, v150, v214
	v_add_f32_e32 v159, v159, v160
	s_waitcnt vmcnt(10)
	v_mul_f32_e32 v160, v153, v218
	v_fma_f32 v104, v149, v213, -v104
	v_fmac_f32_e32 v160, v154, v217
	v_add_f32_e32 v103, v103, v104
	v_mul_f32_e32 v104, v152, v216
	v_add_f32_e32 v159, v159, v160
	s_waitcnt vmcnt(8) lgkmcnt(0)
	v_mul_f32_e32 v160, v155, v220
	v_fma_f32 v104, v151, v215, -v104
	v_fmac_f32_e32 v160, v156, v219
	v_add_f32_e32 v103, v103, v104
	v_mul_f32_e32 v104, v154, v218
	v_add_f32_e32 v163, v159, v160
	ds_read2_b64 v[159:162], v102 offset0:97 offset1:98
	v_fma_f32 v104, v153, v217, -v104
	v_add_f32_e32 v103, v103, v104
	v_mul_f32_e32 v104, v156, v220
	s_waitcnt vmcnt(6)
	v_mul_f32_e32 v164, v157, v222
	v_fma_f32 v104, v155, v219, -v104
	v_fmac_f32_e32 v164, v158, v221
	v_add_f32_e32 v103, v103, v104
	v_mul_f32_e32 v104, v158, v222
	v_add_f32_e32 v229, v163, v164
	ds_read_b64 v[163:164], v102 offset:792
	v_fma_f32 v104, v157, v221, -v104
	v_add_f32_e32 v103, v103, v104
	s_waitcnt vmcnt(4) lgkmcnt(1)
	v_mul_f32_e32 v104, v160, v224
	v_mul_f32_e32 v230, v159, v224
	v_fma_f32 v104, v159, v223, -v104
	v_fmac_f32_e32 v230, v160, v223
	v_add_f32_e32 v103, v103, v104
	s_waitcnt vmcnt(3)
	v_mul_f32_e32 v104, v162, v225
	v_add_f32_e32 v229, v229, v230
	v_mul_f32_e32 v230, v161, v225
	s_waitcnt vmcnt(2)
	v_fma_f32 v104, v161, v226, -v104
	v_fmac_f32_e32 v230, v162, v226
	v_add_f32_e32 v103, v103, v104
	s_waitcnt vmcnt(0) lgkmcnt(0)
	v_mul_f32_e32 v104, v164, v228
	v_add_f32_e32 v229, v229, v230
	v_mul_f32_e32 v230, v163, v228
	v_fma_f32 v104, v163, v227, -v104
	v_fmac_f32_e32 v230, v164, v227
	v_add_f32_e32 v103, v103, v104
	v_add_f32_e32 v229, v229, v230
	v_sub_f32_e32 v103, v187, v103
	v_sub_f32_e32 v104, v188, v229
	buffer_store_dword v103, off, s[0:3], 0 offset:144
	buffer_store_dword v104, off, s[0:3], 0 offset:148
	s_and_saveexec_b64 s[4:5], vcc
	s_cbranch_execz .LBB49_279
; %bb.278:
	buffer_load_dword v103, off, s[0:3], 0 offset:136
	buffer_load_dword v104, off, s[0:3], 0 offset:140
	s_waitcnt vmcnt(0)
	ds_write_b64 v101, v[103:104]
	buffer_store_dword v102, off, s[0:3], 0 offset:136
	buffer_store_dword v102, off, s[0:3], 0 offset:140
.LBB49_279:
	s_or_b64 exec, exec, s[4:5]
	s_waitcnt lgkmcnt(0)
	; wave barrier
	buffer_load_dword v167, off, s[0:3], 0 offset:148
	buffer_load_dword v168, off, s[0:3], 0 offset:156
	;; [unrolled: 1-line block ×26, first 2 shown]
	ds_read_b128 v[103:106], v102 offset:544
	ds_read_b128 v[107:110], v102 offset:560
	ds_read_b128 v[111:114], v102 offset:576
	ds_read_b128 v[115:118], v102 offset:592
	buffer_load_dword v193, off, s[0:3], 0 offset:244
	buffer_load_dword v194, off, s[0:3], 0 offset:240
	;; [unrolled: 1-line block ×34, first 2 shown]
	v_cmp_lt_u32_e32 vcc, 16, v0
	s_waitcnt vmcnt(59) lgkmcnt(3)
	v_mul_f32_e32 v119, v103, v167
	s_waitcnt vmcnt(58)
	v_mul_f32_e32 v120, v105, v168
	s_waitcnt vmcnt(57) lgkmcnt(2)
	v_mul_f32_e32 v121, v107, v169
	s_waitcnt vmcnt(56)
	v_mul_f32_e32 v122, v109, v170
	s_waitcnt vmcnt(55) lgkmcnt(1)
	v_mul_f32_e32 v123, v111, v171
	s_waitcnt vmcnt(54)
	v_mul_f32_e32 v124, v113, v172
	s_waitcnt vmcnt(53) lgkmcnt(0)
	v_mul_f32_e32 v125, v115, v173
	s_waitcnt vmcnt(52)
	v_mul_f32_e32 v126, v117, v174
	s_waitcnt vmcnt(51)
	v_fmac_f32_e32 v119, v104, v175
	s_waitcnt vmcnt(50)
	v_fmac_f32_e32 v120, v106, v176
	v_add_f32_e32 v119, 0, v119
	s_waitcnt vmcnt(49)
	v_fmac_f32_e32 v121, v108, v177
	v_add_f32_e32 v119, v119, v120
	;; [unrolled: 3-line block ×7, first 2 shown]
	v_add_f32_e32 v127, v119, v126
	ds_read_b128 v[119:122], v102 offset:608
	buffer_load_dword v227, off, s[0:3], 0 offset:380
	buffer_load_dword v228, off, s[0:3], 0 offset:376
	;; [unrolled: 1-line block ×4, first 2 shown]
	ds_read_b128 v[123:126], v102 offset:624
	buffer_load_dword v231, off, s[0:3], 0 offset:392
	buffer_load_dword v232, off, s[0:3], 0 offset:396
	v_mul_f32_e32 v104, v104, v167
	s_waitcnt vmcnt(49) lgkmcnt(1)
	v_mul_f32_e32 v128, v119, v183
	s_waitcnt vmcnt(48)
	v_fmac_f32_e32 v128, v120, v184
	v_fma_f32 v103, v103, v175, -v104
	v_mul_f32_e32 v104, v106, v168
	v_add_f32_e32 v127, v127, v128
	s_waitcnt vmcnt(46)
	v_mul_f32_e32 v128, v121, v186
	v_add_f32_e32 v103, 0, v103
	v_fma_f32 v104, v105, v176, -v104
	v_fmac_f32_e32 v128, v122, v185
	v_add_f32_e32 v103, v103, v104
	v_mul_f32_e32 v104, v108, v169
	v_add_f32_e32 v127, v127, v128
	s_waitcnt vmcnt(43) lgkmcnt(0)
	v_mul_f32_e32 v128, v123, v189
	v_fma_f32 v104, v107, v177, -v104
	s_waitcnt vmcnt(42)
	v_fmac_f32_e32 v128, v124, v190
	v_add_f32_e32 v103, v103, v104
	v_mul_f32_e32 v104, v110, v170
	v_add_f32_e32 v131, v127, v128
	ds_read_b128 v[127:130], v102 offset:640
	v_fma_f32 v104, v109, v178, -v104
	v_add_f32_e32 v103, v103, v104
	v_mul_f32_e32 v104, v112, v171
	s_waitcnt vmcnt(40)
	v_mul_f32_e32 v132, v125, v192
	v_fma_f32 v104, v111, v179, -v104
	v_fmac_f32_e32 v132, v126, v191
	v_add_f32_e32 v103, v103, v104
	v_mul_f32_e32 v104, v114, v172
	v_add_f32_e32 v135, v131, v132
	ds_read_b128 v[131:134], v102 offset:656
	v_fma_f32 v104, v113, v180, -v104
	s_waitcnt vmcnt(39) lgkmcnt(1)
	v_mul_f32_e32 v136, v127, v193
	v_add_f32_e32 v103, v103, v104
	v_mul_f32_e32 v104, v116, v173
	s_waitcnt vmcnt(38)
	v_fmac_f32_e32 v136, v128, v194
	v_fma_f32 v104, v115, v181, -v104
	v_add_f32_e32 v135, v135, v136
	s_waitcnt vmcnt(36)
	v_mul_f32_e32 v136, v129, v196
	v_add_f32_e32 v103, v103, v104
	v_mul_f32_e32 v104, v118, v174
	v_fmac_f32_e32 v136, v130, v195
	v_fma_f32 v104, v117, v182, -v104
	v_add_f32_e32 v135, v135, v136
	s_waitcnt vmcnt(34) lgkmcnt(0)
	v_mul_f32_e32 v136, v131, v198
	v_add_f32_e32 v103, v103, v104
	v_mul_f32_e32 v104, v120, v183
	v_fmac_f32_e32 v136, v132, v197
	v_fma_f32 v104, v119, v184, -v104
	v_add_f32_e32 v139, v135, v136
	ds_read_b128 v[135:138], v102 offset:672
	v_add_f32_e32 v103, v103, v104
	v_mul_f32_e32 v104, v122, v186
	v_fma_f32 v104, v121, v185, -v104
	s_waitcnt vmcnt(32)
	v_mul_f32_e32 v140, v133, v200
	v_add_f32_e32 v103, v103, v104
	v_mul_f32_e32 v104, v124, v189
	v_fmac_f32_e32 v140, v134, v199
	v_fma_f32 v104, v123, v190, -v104
	v_add_f32_e32 v143, v139, v140
	ds_read_b128 v[139:142], v102 offset:688
	v_add_f32_e32 v103, v103, v104
	v_mul_f32_e32 v104, v126, v192
	s_waitcnt vmcnt(30) lgkmcnt(1)
	v_mul_f32_e32 v144, v135, v202
	v_fma_f32 v104, v125, v191, -v104
	v_fmac_f32_e32 v144, v136, v201
	v_add_f32_e32 v103, v103, v104
	v_mul_f32_e32 v104, v128, v193
	v_add_f32_e32 v143, v143, v144
	s_waitcnt vmcnt(28)
	v_mul_f32_e32 v144, v137, v204
	v_fma_f32 v104, v127, v194, -v104
	v_fmac_f32_e32 v144, v138, v203
	v_add_f32_e32 v103, v103, v104
	v_mul_f32_e32 v104, v130, v196
	v_add_f32_e32 v143, v143, v144
	s_waitcnt vmcnt(26) lgkmcnt(0)
	v_mul_f32_e32 v144, v139, v206
	v_fma_f32 v104, v129, v195, -v104
	v_fmac_f32_e32 v144, v140, v205
	v_add_f32_e32 v103, v103, v104
	v_mul_f32_e32 v104, v132, v198
	v_add_f32_e32 v147, v143, v144
	ds_read_b128 v[143:146], v102 offset:704
	v_fma_f32 v104, v131, v197, -v104
	v_add_f32_e32 v103, v103, v104
	v_mul_f32_e32 v104, v134, v200
	s_waitcnt vmcnt(24)
	v_mul_f32_e32 v148, v141, v208
	v_fma_f32 v104, v133, v199, -v104
	v_fmac_f32_e32 v148, v142, v207
	v_add_f32_e32 v103, v103, v104
	v_mul_f32_e32 v104, v136, v202
	v_add_f32_e32 v151, v147, v148
	ds_read_b128 v[147:150], v102 offset:720
	v_fma_f32 v104, v135, v201, -v104
	s_waitcnt vmcnt(22) lgkmcnt(1)
	v_mul_f32_e32 v152, v143, v210
	v_add_f32_e32 v103, v103, v104
	v_mul_f32_e32 v104, v138, v204
	v_fmac_f32_e32 v152, v144, v209
	v_fma_f32 v104, v137, v203, -v104
	v_add_f32_e32 v151, v151, v152
	s_waitcnt vmcnt(20)
	v_mul_f32_e32 v152, v145, v212
	v_add_f32_e32 v103, v103, v104
	v_mul_f32_e32 v104, v140, v206
	v_fmac_f32_e32 v152, v146, v211
	v_fma_f32 v104, v139, v205, -v104
	v_add_f32_e32 v151, v151, v152
	s_waitcnt vmcnt(18) lgkmcnt(0)
	v_mul_f32_e32 v152, v147, v214
	v_add_f32_e32 v103, v103, v104
	v_mul_f32_e32 v104, v142, v208
	v_fmac_f32_e32 v152, v148, v213
	v_fma_f32 v104, v141, v207, -v104
	v_add_f32_e32 v155, v151, v152
	ds_read_b128 v[151:154], v102 offset:736
	v_add_f32_e32 v103, v103, v104
	v_mul_f32_e32 v104, v144, v210
	v_fma_f32 v104, v143, v209, -v104
	s_waitcnt vmcnt(16)
	v_mul_f32_e32 v156, v149, v216
	v_add_f32_e32 v103, v103, v104
	v_mul_f32_e32 v104, v146, v212
	v_fmac_f32_e32 v156, v150, v215
	v_fma_f32 v104, v145, v211, -v104
	v_add_f32_e32 v159, v155, v156
	ds_read_b128 v[155:158], v102 offset:752
	v_add_f32_e32 v103, v103, v104
	v_mul_f32_e32 v104, v148, v214
	s_waitcnt vmcnt(14) lgkmcnt(1)
	v_mul_f32_e32 v160, v151, v218
	v_fma_f32 v104, v147, v213, -v104
	v_fmac_f32_e32 v160, v152, v217
	v_add_f32_e32 v103, v103, v104
	v_mul_f32_e32 v104, v150, v216
	v_add_f32_e32 v159, v159, v160
	s_waitcnt vmcnt(12)
	v_mul_f32_e32 v160, v153, v220
	v_fma_f32 v104, v149, v215, -v104
	v_fmac_f32_e32 v160, v154, v219
	v_add_f32_e32 v103, v103, v104
	v_mul_f32_e32 v104, v152, v218
	v_add_f32_e32 v159, v159, v160
	s_waitcnt vmcnt(10) lgkmcnt(0)
	v_mul_f32_e32 v160, v155, v222
	v_fma_f32 v104, v151, v217, -v104
	v_fmac_f32_e32 v160, v156, v221
	v_add_f32_e32 v103, v103, v104
	v_mul_f32_e32 v104, v154, v220
	v_add_f32_e32 v163, v159, v160
	ds_read_b128 v[159:162], v102 offset:768
	v_fma_f32 v104, v153, v219, -v104
	v_add_f32_e32 v103, v103, v104
	v_mul_f32_e32 v104, v156, v222
	s_waitcnt vmcnt(8)
	v_mul_f32_e32 v164, v157, v224
	v_fma_f32 v104, v155, v221, -v104
	v_fmac_f32_e32 v164, v158, v223
	v_add_f32_e32 v103, v103, v104
	v_mul_f32_e32 v104, v158, v224
	v_add_f32_e32 v233, v163, v164
	ds_read_b128 v[163:166], v102 offset:784
	v_fma_f32 v104, v157, v223, -v104
	v_add_f32_e32 v103, v103, v104
	s_waitcnt vmcnt(6) lgkmcnt(1)
	v_mul_f32_e32 v104, v160, v226
	v_mul_f32_e32 v102, v159, v226
	v_fma_f32 v104, v159, v225, -v104
	v_fmac_f32_e32 v102, v160, v225
	v_add_f32_e32 v103, v103, v104
	s_waitcnt vmcnt(5)
	v_mul_f32_e32 v104, v162, v227
	v_add_f32_e32 v102, v233, v102
	v_mul_f32_e32 v233, v161, v227
	s_waitcnt vmcnt(4)
	v_fma_f32 v104, v161, v228, -v104
	v_fmac_f32_e32 v233, v162, v228
	v_add_f32_e32 v103, v103, v104
	s_waitcnt vmcnt(2) lgkmcnt(0)
	v_mul_f32_e32 v104, v164, v230
	v_add_f32_e32 v102, v102, v233
	v_mul_f32_e32 v233, v163, v230
	v_fma_f32 v104, v163, v229, -v104
	v_fmac_f32_e32 v233, v164, v229
	v_add_f32_e32 v103, v103, v104
	s_waitcnt vmcnt(0)
	v_mul_f32_e32 v104, v166, v232
	v_add_f32_e32 v102, v102, v233
	v_mul_f32_e32 v233, v165, v232
	v_fma_f32 v104, v165, v231, -v104
	v_fmac_f32_e32 v233, v166, v231
	v_add_f32_e32 v103, v103, v104
	v_add_f32_e32 v102, v102, v233
	v_sub_f32_e32 v103, v187, v103
	v_sub_f32_e32 v102, v188, v102
	buffer_store_dword v103, off, s[0:3], 0 offset:136
	buffer_store_dword v102, off, s[0:3], 0 offset:140
	s_and_saveexec_b64 s[4:5], vcc
	s_cbranch_execz .LBB49_281
; %bb.280:
	buffer_load_dword v102, off, s[0:3], 0 offset:128
	buffer_load_dword v103, off, s[0:3], 0 offset:132
	v_mov_b32_e32 v104, 0
	buffer_store_dword v104, off, s[0:3], 0 offset:128
	buffer_store_dword v104, off, s[0:3], 0 offset:132
	s_waitcnt vmcnt(2)
	ds_write_b64 v101, v[102:103]
.LBB49_281:
	s_or_b64 exec, exec, s[4:5]
	s_waitcnt lgkmcnt(0)
	; wave barrier
	buffer_load_dword v169, off, s[0:3], 0 offset:140
	buffer_load_dword v170, off, s[0:3], 0 offset:148
	;; [unrolled: 1-line block ×58, first 2 shown]
	v_mov_b32_e32 v102, 0
	ds_read2_b64 v[103:106], v102 offset0:67 offset1:68
	ds_read2_b64 v[107:110], v102 offset0:69 offset1:70
	;; [unrolled: 1-line block ×5, first 2 shown]
	buffer_load_dword v227, off, s[0:3], 0 offset:360
	buffer_load_dword v228, off, s[0:3], 0 offset:364
	v_cmp_lt_u32_e32 vcc, 15, v0
	s_waitcnt vmcnt(59) lgkmcnt(4)
	v_mul_f32_e32 v123, v103, v169
	s_waitcnt vmcnt(58)
	v_mul_f32_e32 v124, v105, v170
	s_waitcnt vmcnt(57) lgkmcnt(3)
	v_mul_f32_e32 v125, v107, v171
	s_waitcnt vmcnt(56)
	v_mul_f32_e32 v126, v109, v172
	;; [unrolled: 4-line block ×4, first 2 shown]
	s_waitcnt vmcnt(51)
	v_fmac_f32_e32 v123, v104, v177
	s_waitcnt vmcnt(50)
	v_fmac_f32_e32 v124, v106, v178
	v_add_f32_e32 v123, 0, v123
	s_waitcnt vmcnt(49)
	v_fmac_f32_e32 v125, v108, v179
	v_add_f32_e32 v123, v123, v124
	;; [unrolled: 3-line block ×7, first 2 shown]
	v_add_f32_e32 v127, v123, v130
	ds_read2_b64 v[123:126], v102 offset0:77 offset1:78
	buffer_load_dword v229, off, s[0:3], 0 offset:372
	buffer_load_dword v230, off, s[0:3], 0 offset:368
	;; [unrolled: 1-line block ×8, first 2 shown]
	s_waitcnt vmcnt(51) lgkmcnt(1)
	v_mul_f32_e32 v128, v119, v185
	s_waitcnt vmcnt(50)
	v_fmac_f32_e32 v128, v120, v186
	v_mul_f32_e32 v104, v104, v169
	v_add_f32_e32 v127, v127, v128
	s_waitcnt vmcnt(49)
	v_mul_f32_e32 v128, v121, v187
	v_fma_f32 v103, v103, v177, -v104
	v_mul_f32_e32 v104, v106, v170
	s_waitcnt vmcnt(46)
	v_fmac_f32_e32 v128, v122, v190
	v_add_f32_e32 v103, 0, v103
	v_fma_f32 v104, v105, v178, -v104
	v_add_f32_e32 v127, v127, v128
	s_waitcnt vmcnt(44) lgkmcnt(0)
	v_mul_f32_e32 v128, v123, v192
	v_add_f32_e32 v103, v103, v104
	v_mul_f32_e32 v104, v108, v171
	v_fmac_f32_e32 v128, v124, v191
	v_fma_f32 v104, v107, v179, -v104
	v_add_f32_e32 v131, v127, v128
	ds_read2_b64 v[127:130], v102 offset0:79 offset1:80
	v_add_f32_e32 v103, v103, v104
	v_mul_f32_e32 v104, v110, v172
	v_fma_f32 v104, v109, v180, -v104
	s_waitcnt vmcnt(42)
	v_mul_f32_e32 v132, v125, v194
	v_add_f32_e32 v103, v103, v104
	v_mul_f32_e32 v104, v112, v173
	v_fmac_f32_e32 v132, v126, v193
	v_fma_f32 v104, v111, v181, -v104
	v_add_f32_e32 v135, v131, v132
	ds_read2_b64 v[131:134], v102 offset0:81 offset1:82
	v_add_f32_e32 v103, v103, v104
	v_mul_f32_e32 v104, v114, v174
	s_waitcnt vmcnt(40) lgkmcnt(1)
	v_mul_f32_e32 v136, v127, v196
	v_fma_f32 v104, v113, v182, -v104
	v_fmac_f32_e32 v136, v128, v195
	v_add_f32_e32 v103, v103, v104
	v_mul_f32_e32 v104, v116, v175
	v_add_f32_e32 v135, v135, v136
	s_waitcnt vmcnt(38)
	v_mul_f32_e32 v136, v129, v198
	v_fma_f32 v104, v115, v183, -v104
	v_fmac_f32_e32 v136, v130, v197
	v_add_f32_e32 v103, v103, v104
	v_mul_f32_e32 v104, v118, v176
	v_add_f32_e32 v135, v135, v136
	s_waitcnt vmcnt(36) lgkmcnt(0)
	v_mul_f32_e32 v136, v131, v200
	v_fma_f32 v104, v117, v184, -v104
	v_fmac_f32_e32 v136, v132, v199
	v_add_f32_e32 v103, v103, v104
	v_mul_f32_e32 v104, v120, v185
	v_add_f32_e32 v139, v135, v136
	ds_read2_b64 v[135:138], v102 offset0:83 offset1:84
	v_fma_f32 v104, v119, v186, -v104
	v_add_f32_e32 v103, v103, v104
	v_mul_f32_e32 v104, v122, v187
	s_waitcnt vmcnt(34)
	v_mul_f32_e32 v140, v133, v202
	v_fma_f32 v104, v121, v190, -v104
	v_fmac_f32_e32 v140, v134, v201
	v_add_f32_e32 v103, v103, v104
	v_mul_f32_e32 v104, v124, v192
	v_add_f32_e32 v143, v139, v140
	ds_read2_b64 v[139:142], v102 offset0:85 offset1:86
	v_fma_f32 v104, v123, v191, -v104
	s_waitcnt vmcnt(32) lgkmcnt(1)
	v_mul_f32_e32 v144, v135, v204
	v_add_f32_e32 v103, v103, v104
	v_mul_f32_e32 v104, v126, v194
	v_fmac_f32_e32 v144, v136, v203
	v_fma_f32 v104, v125, v193, -v104
	v_add_f32_e32 v143, v143, v144
	s_waitcnt vmcnt(30)
	v_mul_f32_e32 v144, v137, v206
	v_add_f32_e32 v103, v103, v104
	v_mul_f32_e32 v104, v128, v196
	v_fmac_f32_e32 v144, v138, v205
	v_fma_f32 v104, v127, v195, -v104
	v_add_f32_e32 v143, v143, v144
	s_waitcnt vmcnt(28) lgkmcnt(0)
	v_mul_f32_e32 v144, v139, v208
	v_add_f32_e32 v103, v103, v104
	v_mul_f32_e32 v104, v130, v198
	v_fmac_f32_e32 v144, v140, v207
	v_fma_f32 v104, v129, v197, -v104
	v_add_f32_e32 v147, v143, v144
	ds_read2_b64 v[143:146], v102 offset0:87 offset1:88
	v_add_f32_e32 v103, v103, v104
	v_mul_f32_e32 v104, v132, v200
	v_fma_f32 v104, v131, v199, -v104
	s_waitcnt vmcnt(26)
	v_mul_f32_e32 v148, v141, v210
	v_add_f32_e32 v103, v103, v104
	v_mul_f32_e32 v104, v134, v202
	v_fmac_f32_e32 v148, v142, v209
	v_fma_f32 v104, v133, v201, -v104
	v_add_f32_e32 v151, v147, v148
	ds_read2_b64 v[147:150], v102 offset0:89 offset1:90
	v_add_f32_e32 v103, v103, v104
	v_mul_f32_e32 v104, v136, v204
	s_waitcnt vmcnt(24) lgkmcnt(1)
	v_mul_f32_e32 v152, v143, v212
	v_fma_f32 v104, v135, v203, -v104
	v_fmac_f32_e32 v152, v144, v211
	v_add_f32_e32 v103, v103, v104
	v_mul_f32_e32 v104, v138, v206
	v_add_f32_e32 v151, v151, v152
	s_waitcnt vmcnt(22)
	v_mul_f32_e32 v152, v145, v214
	v_fma_f32 v104, v137, v205, -v104
	v_fmac_f32_e32 v152, v146, v213
	v_add_f32_e32 v103, v103, v104
	v_mul_f32_e32 v104, v140, v208
	v_add_f32_e32 v151, v151, v152
	s_waitcnt vmcnt(20) lgkmcnt(0)
	v_mul_f32_e32 v152, v147, v216
	v_fma_f32 v104, v139, v207, -v104
	v_fmac_f32_e32 v152, v148, v215
	v_add_f32_e32 v103, v103, v104
	v_mul_f32_e32 v104, v142, v210
	v_add_f32_e32 v155, v151, v152
	ds_read2_b64 v[151:154], v102 offset0:91 offset1:92
	v_fma_f32 v104, v141, v209, -v104
	v_add_f32_e32 v103, v103, v104
	v_mul_f32_e32 v104, v144, v212
	s_waitcnt vmcnt(18)
	v_mul_f32_e32 v156, v149, v218
	v_fma_f32 v104, v143, v211, -v104
	v_fmac_f32_e32 v156, v150, v217
	v_add_f32_e32 v103, v103, v104
	v_mul_f32_e32 v104, v146, v214
	v_add_f32_e32 v159, v155, v156
	ds_read2_b64 v[155:158], v102 offset0:93 offset1:94
	v_fma_f32 v104, v145, v213, -v104
	s_waitcnt vmcnt(16) lgkmcnt(1)
	v_mul_f32_e32 v160, v151, v220
	v_add_f32_e32 v103, v103, v104
	v_mul_f32_e32 v104, v148, v216
	v_fmac_f32_e32 v160, v152, v219
	v_fma_f32 v104, v147, v215, -v104
	v_add_f32_e32 v159, v159, v160
	s_waitcnt vmcnt(14)
	v_mul_f32_e32 v160, v153, v222
	v_add_f32_e32 v103, v103, v104
	v_mul_f32_e32 v104, v150, v218
	v_fmac_f32_e32 v160, v154, v221
	v_fma_f32 v104, v149, v217, -v104
	v_add_f32_e32 v159, v159, v160
	s_waitcnt vmcnt(12) lgkmcnt(0)
	v_mul_f32_e32 v160, v155, v224
	v_add_f32_e32 v103, v103, v104
	v_mul_f32_e32 v104, v152, v220
	v_fmac_f32_e32 v160, v156, v223
	v_fma_f32 v104, v151, v219, -v104
	v_add_f32_e32 v163, v159, v160
	ds_read2_b64 v[159:162], v102 offset0:95 offset1:96
	v_add_f32_e32 v103, v103, v104
	v_mul_f32_e32 v104, v154, v222
	v_fma_f32 v104, v153, v221, -v104
	v_add_f32_e32 v103, v103, v104
	v_mul_f32_e32 v104, v156, v224
	s_waitcnt vmcnt(10)
	v_mul_f32_e32 v164, v157, v226
	v_fma_f32 v104, v155, v223, -v104
	v_fmac_f32_e32 v164, v158, v225
	v_add_f32_e32 v103, v103, v104
	v_mul_f32_e32 v104, v158, v226
	v_add_f32_e32 v167, v163, v164
	ds_read2_b64 v[163:166], v102 offset0:97 offset1:98
	s_waitcnt vmcnt(8) lgkmcnt(1)
	v_mul_f32_e32 v168, v159, v228
	v_fma_f32 v104, v157, v225, -v104
	v_fmac_f32_e32 v168, v160, v227
	v_add_f32_e32 v103, v103, v104
	v_mul_f32_e32 v104, v160, v228
	v_add_f32_e32 v167, v167, v168
	s_waitcnt vmcnt(7)
	v_mul_f32_e32 v168, v161, v229
	v_fma_f32 v104, v159, v227, -v104
	s_waitcnt vmcnt(6)
	v_fmac_f32_e32 v168, v162, v230
	v_add_f32_e32 v103, v103, v104
	v_mul_f32_e32 v104, v162, v229
	v_add_f32_e32 v237, v167, v168
	ds_read_b64 v[167:168], v102 offset:792
	v_fma_f32 v104, v161, v230, -v104
	v_add_f32_e32 v103, v103, v104
	s_waitcnt vmcnt(4) lgkmcnt(1)
	v_mul_f32_e32 v104, v164, v232
	v_mul_f32_e32 v238, v163, v232
	v_fma_f32 v104, v163, v231, -v104
	v_fmac_f32_e32 v238, v164, v231
	v_add_f32_e32 v103, v103, v104
	s_waitcnt vmcnt(3)
	v_mul_f32_e32 v104, v166, v233
	v_add_f32_e32 v237, v237, v238
	v_mul_f32_e32 v238, v165, v233
	s_waitcnt vmcnt(2)
	v_fma_f32 v104, v165, v234, -v104
	v_fmac_f32_e32 v238, v166, v234
	v_add_f32_e32 v103, v103, v104
	s_waitcnt vmcnt(0) lgkmcnt(0)
	v_mul_f32_e32 v104, v168, v236
	v_add_f32_e32 v237, v237, v238
	v_mul_f32_e32 v238, v167, v236
	v_fma_f32 v104, v167, v235, -v104
	v_fmac_f32_e32 v238, v168, v235
	v_add_f32_e32 v103, v103, v104
	v_add_f32_e32 v237, v237, v238
	v_sub_f32_e32 v103, v188, v103
	v_sub_f32_e32 v104, v189, v237
	buffer_store_dword v103, off, s[0:3], 0 offset:128
	buffer_store_dword v104, off, s[0:3], 0 offset:132
	s_and_saveexec_b64 s[4:5], vcc
	s_cbranch_execz .LBB49_283
; %bb.282:
	buffer_load_dword v103, off, s[0:3], 0 offset:120
	buffer_load_dword v104, off, s[0:3], 0 offset:124
	s_waitcnt vmcnt(0)
	ds_write_b64 v101, v[103:104]
	buffer_store_dword v102, off, s[0:3], 0 offset:120
	buffer_store_dword v102, off, s[0:3], 0 offset:124
.LBB49_283:
	s_or_b64 exec, exec, s[4:5]
	s_waitcnt lgkmcnt(0)
	; wave barrier
	buffer_load_dword v171, off, s[0:3], 0 offset:132
	buffer_load_dword v172, off, s[0:3], 0 offset:140
	;; [unrolled: 1-line block ×24, first 2 shown]
	ds_read_b128 v[103:106], v102 offset:528
	ds_read_b128 v[107:110], v102 offset:544
	;; [unrolled: 1-line block ×6, first 2 shown]
	buffer_load_dword v195, off, s[0:3], 0 offset:220
	buffer_load_dword v196, off, s[0:3], 0 offset:216
	;; [unrolled: 1-line block ×46, first 2 shown]
	v_cmp_lt_u32_e32 vcc, 14, v0
	s_waitcnt vmcnt(62) lgkmcnt(5)
	v_mul_f32_e32 v127, v103, v171
	v_mul_f32_e32 v128, v105, v172
	s_waitcnt lgkmcnt(4)
	v_mul_f32_e32 v129, v107, v173
	v_mul_f32_e32 v130, v109, v174
	s_waitcnt lgkmcnt(3)
	;; [unrolled: 3-line block ×3, first 2 shown]
	v_mul_f32_e32 v133, v115, v177
	v_mul_f32_e32 v134, v117, v178
	s_waitcnt vmcnt(61)
	v_fmac_f32_e32 v127, v104, v179
	s_waitcnt vmcnt(60)
	v_fmac_f32_e32 v128, v106, v180
	v_add_f32_e32 v127, 0, v127
	s_waitcnt vmcnt(59)
	v_fmac_f32_e32 v129, v108, v181
	v_add_f32_e32 v127, v127, v128
	;; [unrolled: 3-line block ×7, first 2 shown]
	s_waitcnt vmcnt(53) lgkmcnt(1)
	v_mul_f32_e32 v128, v119, v187
	v_add_f32_e32 v127, v127, v134
	s_waitcnt vmcnt(52)
	v_fmac_f32_e32 v128, v120, v188
	v_mul_f32_e32 v104, v104, v171
	v_add_f32_e32 v127, v127, v128
	s_waitcnt vmcnt(51)
	v_mul_f32_e32 v128, v121, v189
	v_fma_f32 v103, v103, v179, -v104
	v_mul_f32_e32 v104, v106, v172
	s_waitcnt vmcnt(50)
	v_fmac_f32_e32 v128, v122, v190
	v_add_f32_e32 v103, 0, v103
	v_fma_f32 v104, v105, v180, -v104
	v_add_f32_e32 v127, v127, v128
	s_waitcnt vmcnt(47) lgkmcnt(0)
	v_mul_f32_e32 v128, v123, v193
	v_add_f32_e32 v103, v103, v104
	v_mul_f32_e32 v104, v108, v173
	s_waitcnt vmcnt(46)
	v_fmac_f32_e32 v128, v124, v194
	v_fma_f32 v104, v107, v181, -v104
	v_add_f32_e32 v131, v127, v128
	ds_read_b128 v[127:130], v102 offset:624
	v_add_f32_e32 v103, v103, v104
	v_mul_f32_e32 v104, v110, v174
	v_fma_f32 v104, v109, v182, -v104
	s_waitcnt vmcnt(45)
	v_mul_f32_e32 v132, v125, v195
	v_add_f32_e32 v103, v103, v104
	v_mul_f32_e32 v104, v112, v175
	s_waitcnt vmcnt(44)
	v_fmac_f32_e32 v132, v126, v196
	v_fma_f32 v104, v111, v183, -v104
	v_add_f32_e32 v135, v131, v132
	ds_read_b128 v[131:134], v102 offset:640
	v_add_f32_e32 v103, v103, v104
	v_mul_f32_e32 v104, v114, v176
	s_waitcnt vmcnt(42) lgkmcnt(1)
	v_mul_f32_e32 v136, v127, v198
	v_fma_f32 v104, v113, v184, -v104
	v_fmac_f32_e32 v136, v128, v197
	v_add_f32_e32 v103, v103, v104
	v_mul_f32_e32 v104, v116, v177
	v_add_f32_e32 v135, v135, v136
	s_waitcnt vmcnt(40)
	v_mul_f32_e32 v136, v129, v200
	v_fma_f32 v104, v115, v185, -v104
	v_fmac_f32_e32 v136, v130, v199
	v_add_f32_e32 v103, v103, v104
	v_mul_f32_e32 v104, v118, v178
	v_add_f32_e32 v135, v135, v136
	s_waitcnt vmcnt(38) lgkmcnt(0)
	v_mul_f32_e32 v136, v131, v202
	v_fma_f32 v104, v117, v186, -v104
	v_fmac_f32_e32 v136, v132, v201
	v_add_f32_e32 v103, v103, v104
	v_mul_f32_e32 v104, v120, v187
	v_add_f32_e32 v139, v135, v136
	ds_read_b128 v[135:138], v102 offset:656
	v_fma_f32 v104, v119, v188, -v104
	v_add_f32_e32 v103, v103, v104
	v_mul_f32_e32 v104, v122, v189
	s_waitcnt vmcnt(36)
	v_mul_f32_e32 v140, v133, v204
	v_fma_f32 v104, v121, v190, -v104
	v_fmac_f32_e32 v140, v134, v203
	v_add_f32_e32 v103, v103, v104
	v_mul_f32_e32 v104, v124, v193
	v_add_f32_e32 v143, v139, v140
	ds_read_b128 v[139:142], v102 offset:672
	v_fma_f32 v104, v123, v194, -v104
	s_waitcnt vmcnt(34) lgkmcnt(1)
	v_mul_f32_e32 v144, v135, v206
	v_add_f32_e32 v103, v103, v104
	v_mul_f32_e32 v104, v126, v195
	v_fmac_f32_e32 v144, v136, v205
	v_fma_f32 v104, v125, v196, -v104
	v_add_f32_e32 v143, v143, v144
	s_waitcnt vmcnt(32)
	v_mul_f32_e32 v144, v137, v208
	v_add_f32_e32 v103, v103, v104
	v_mul_f32_e32 v104, v128, v198
	v_fmac_f32_e32 v144, v138, v207
	v_fma_f32 v104, v127, v197, -v104
	v_add_f32_e32 v143, v143, v144
	s_waitcnt vmcnt(30) lgkmcnt(0)
	v_mul_f32_e32 v144, v139, v210
	v_add_f32_e32 v103, v103, v104
	v_mul_f32_e32 v104, v130, v200
	v_fmac_f32_e32 v144, v140, v209
	v_fma_f32 v104, v129, v199, -v104
	v_add_f32_e32 v147, v143, v144
	ds_read_b128 v[143:146], v102 offset:688
	v_add_f32_e32 v103, v103, v104
	v_mul_f32_e32 v104, v132, v202
	v_fma_f32 v104, v131, v201, -v104
	s_waitcnt vmcnt(28)
	v_mul_f32_e32 v148, v141, v212
	v_add_f32_e32 v103, v103, v104
	v_mul_f32_e32 v104, v134, v204
	v_fmac_f32_e32 v148, v142, v211
	v_fma_f32 v104, v133, v203, -v104
	v_add_f32_e32 v151, v147, v148
	ds_read_b128 v[147:150], v102 offset:704
	v_add_f32_e32 v103, v103, v104
	v_mul_f32_e32 v104, v136, v206
	s_waitcnt vmcnt(26) lgkmcnt(1)
	v_mul_f32_e32 v152, v143, v214
	v_fma_f32 v104, v135, v205, -v104
	v_fmac_f32_e32 v152, v144, v213
	v_add_f32_e32 v103, v103, v104
	v_mul_f32_e32 v104, v138, v208
	v_add_f32_e32 v151, v151, v152
	s_waitcnt vmcnt(24)
	v_mul_f32_e32 v152, v145, v216
	v_fma_f32 v104, v137, v207, -v104
	v_fmac_f32_e32 v152, v146, v215
	v_add_f32_e32 v103, v103, v104
	v_mul_f32_e32 v104, v140, v210
	v_add_f32_e32 v151, v151, v152
	s_waitcnt vmcnt(22) lgkmcnt(0)
	v_mul_f32_e32 v152, v147, v218
	v_fma_f32 v104, v139, v209, -v104
	v_fmac_f32_e32 v152, v148, v217
	v_add_f32_e32 v103, v103, v104
	v_mul_f32_e32 v104, v142, v212
	v_add_f32_e32 v155, v151, v152
	ds_read_b128 v[151:154], v102 offset:720
	v_fma_f32 v104, v141, v211, -v104
	v_add_f32_e32 v103, v103, v104
	v_mul_f32_e32 v104, v144, v214
	s_waitcnt vmcnt(20)
	v_mul_f32_e32 v156, v149, v220
	v_fma_f32 v104, v143, v213, -v104
	v_fmac_f32_e32 v156, v150, v219
	v_add_f32_e32 v103, v103, v104
	v_mul_f32_e32 v104, v146, v216
	v_add_f32_e32 v159, v155, v156
	ds_read_b128 v[155:158], v102 offset:736
	v_fma_f32 v104, v145, v215, -v104
	s_waitcnt vmcnt(18) lgkmcnt(1)
	v_mul_f32_e32 v160, v151, v222
	v_add_f32_e32 v103, v103, v104
	v_mul_f32_e32 v104, v148, v218
	v_fmac_f32_e32 v160, v152, v221
	v_fma_f32 v104, v147, v217, -v104
	v_add_f32_e32 v159, v159, v160
	s_waitcnt vmcnt(16)
	v_mul_f32_e32 v160, v153, v224
	v_add_f32_e32 v103, v103, v104
	v_mul_f32_e32 v104, v150, v220
	v_fmac_f32_e32 v160, v154, v223
	v_fma_f32 v104, v149, v219, -v104
	v_add_f32_e32 v159, v159, v160
	s_waitcnt vmcnt(14) lgkmcnt(0)
	v_mul_f32_e32 v160, v155, v226
	v_add_f32_e32 v103, v103, v104
	v_mul_f32_e32 v104, v152, v222
	v_fmac_f32_e32 v160, v156, v225
	v_fma_f32 v104, v151, v221, -v104
	v_add_f32_e32 v163, v159, v160
	ds_read_b128 v[159:162], v102 offset:752
	v_add_f32_e32 v103, v103, v104
	v_mul_f32_e32 v104, v154, v224
	v_fma_f32 v104, v153, v223, -v104
	v_add_f32_e32 v103, v103, v104
	v_mul_f32_e32 v104, v156, v226
	s_waitcnt vmcnt(12)
	v_mul_f32_e32 v164, v157, v228
	v_fma_f32 v104, v155, v225, -v104
	v_fmac_f32_e32 v164, v158, v227
	v_add_f32_e32 v103, v103, v104
	v_mul_f32_e32 v104, v158, v228
	v_add_f32_e32 v167, v163, v164
	ds_read_b128 v[163:166], v102 offset:768
	s_waitcnt vmcnt(10) lgkmcnt(1)
	v_mul_f32_e32 v168, v159, v230
	v_fma_f32 v104, v157, v227, -v104
	v_fmac_f32_e32 v168, v160, v229
	v_add_f32_e32 v103, v103, v104
	v_mul_f32_e32 v104, v160, v230
	v_add_f32_e32 v167, v167, v168
	s_waitcnt vmcnt(9)
	v_mul_f32_e32 v168, v161, v231
	v_fma_f32 v104, v159, v229, -v104
	s_waitcnt vmcnt(8)
	v_fmac_f32_e32 v168, v162, v232
	v_add_f32_e32 v103, v103, v104
	v_mul_f32_e32 v104, v162, v231
	v_add_f32_e32 v241, v167, v168
	ds_read_b128 v[167:170], v102 offset:784
	v_fma_f32 v104, v161, v232, -v104
	v_add_f32_e32 v103, v103, v104
	s_waitcnt vmcnt(6) lgkmcnt(1)
	v_mul_f32_e32 v104, v164, v234
	v_mul_f32_e32 v242, v163, v234
	v_fma_f32 v104, v163, v233, -v104
	v_fmac_f32_e32 v242, v164, v233
	v_add_f32_e32 v103, v103, v104
	s_waitcnt vmcnt(4)
	v_mul_f32_e32 v104, v166, v236
	v_add_f32_e32 v102, v241, v242
	v_mul_f32_e32 v241, v165, v236
	v_fma_f32 v104, v165, v235, -v104
	v_fmac_f32_e32 v241, v166, v235
	v_add_f32_e32 v103, v103, v104
	s_waitcnt vmcnt(3) lgkmcnt(0)
	v_mul_f32_e32 v104, v168, v237
	v_add_f32_e32 v102, v102, v241
	v_mul_f32_e32 v241, v167, v237
	s_waitcnt vmcnt(2)
	v_fma_f32 v104, v167, v238, -v104
	v_fmac_f32_e32 v241, v168, v238
	v_add_f32_e32 v103, v103, v104
	s_waitcnt vmcnt(0)
	v_mul_f32_e32 v104, v170, v240
	v_add_f32_e32 v102, v102, v241
	v_mul_f32_e32 v241, v169, v240
	v_fma_f32 v104, v169, v239, -v104
	v_fmac_f32_e32 v241, v170, v239
	v_add_f32_e32 v103, v103, v104
	v_add_f32_e32 v102, v102, v241
	v_sub_f32_e32 v103, v191, v103
	v_sub_f32_e32 v102, v192, v102
	buffer_store_dword v103, off, s[0:3], 0 offset:120
	buffer_store_dword v102, off, s[0:3], 0 offset:124
	s_and_saveexec_b64 s[4:5], vcc
	s_cbranch_execz .LBB49_285
; %bb.284:
	buffer_load_dword v102, off, s[0:3], 0 offset:112
	buffer_load_dword v103, off, s[0:3], 0 offset:116
	v_mov_b32_e32 v104, 0
	buffer_store_dword v104, off, s[0:3], 0 offset:112
	buffer_store_dword v104, off, s[0:3], 0 offset:116
	s_waitcnt vmcnt(2)
	ds_write_b64 v101, v[102:103]
.LBB49_285:
	s_or_b64 exec, exec, s[4:5]
	s_waitcnt lgkmcnt(0)
	; wave barrier
	buffer_load_dword v173, off, s[0:3], 0 offset:124
	buffer_load_dword v174, off, s[0:3], 0 offset:132
	;; [unrolled: 1-line block ×56, first 2 shown]
	v_mov_b32_e32 v102, 0
	ds_read2_b64 v[103:106], v102 offset0:65 offset1:66
	ds_read2_b64 v[107:110], v102 offset0:67 offset1:68
	;; [unrolled: 1-line block ×6, first 2 shown]
	buffer_load_dword v229, off, s[0:3], 0 offset:336
	buffer_load_dword v230, off, s[0:3], 0 offset:340
	;; [unrolled: 1-line block ×12, first 2 shown]
	v_cmp_lt_u32_e32 vcc, 13, v0
	s_waitcnt vmcnt(62) lgkmcnt(5)
	v_mul_f32_e32 v127, v103, v173
	v_mul_f32_e32 v128, v105, v174
	s_waitcnt lgkmcnt(4)
	v_mul_f32_e32 v129, v107, v175
	v_mul_f32_e32 v130, v109, v176
	s_waitcnt lgkmcnt(3)
	v_mul_f32_e32 v131, v111, v177
	v_mul_f32_e32 v132, v113, v178
	s_waitcnt vmcnt(61) lgkmcnt(2)
	v_mul_f32_e32 v133, v115, v179
	s_waitcnt vmcnt(60)
	v_mul_f32_e32 v134, v117, v180
	s_waitcnt vmcnt(59) lgkmcnt(1)
	v_mul_f32_e32 v135, v119, v181
	s_waitcnt vmcnt(58)
	v_fmac_f32_e32 v127, v104, v182
	s_waitcnt vmcnt(57)
	v_fmac_f32_e32 v128, v106, v183
	v_add_f32_e32 v127, 0, v127
	s_waitcnt vmcnt(56)
	v_fmac_f32_e32 v129, v108, v184
	v_add_f32_e32 v127, v127, v128
	;; [unrolled: 3-line block ×7, first 2 shown]
	v_add_f32_e32 v127, v127, v134
	s_waitcnt vmcnt(50)
	v_fmac_f32_e32 v135, v120, v190
	s_waitcnt vmcnt(49)
	v_mul_f32_e32 v128, v121, v191
	v_add_f32_e32 v127, v127, v135
	s_waitcnt vmcnt(48)
	v_fmac_f32_e32 v128, v122, v192
	v_add_f32_e32 v127, v127, v128
	s_waitcnt vmcnt(47) lgkmcnt(0)
	v_mul_f32_e32 v128, v123, v193
	s_waitcnt vmcnt(44)
	v_fmac_f32_e32 v128, v124, v196
	v_add_f32_e32 v131, v127, v128
	ds_read2_b64 v[127:130], v102 offset0:77 offset1:78
	buffer_load_dword v241, off, s[0:3], 0 offset:388
	buffer_load_dword v242, off, s[0:3], 0 offset:384
	;; [unrolled: 1-line block ×4, first 2 shown]
	v_mul_f32_e32 v104, v104, v173
	v_fma_f32 v103, v103, v182, -v104
	v_mul_f32_e32 v104, v106, v174
	v_add_f32_e32 v103, 0, v103
	v_fma_f32 v104, v105, v183, -v104
	v_add_f32_e32 v103, v103, v104
	v_mul_f32_e32 v104, v108, v175
	v_fma_f32 v104, v107, v184, -v104
	s_waitcnt vmcnt(46)
	v_mul_f32_e32 v132, v125, v198
	v_add_f32_e32 v103, v103, v104
	v_mul_f32_e32 v104, v110, v176
	v_fmac_f32_e32 v132, v126, v197
	v_fma_f32 v104, v109, v185, -v104
	v_add_f32_e32 v135, v131, v132
	ds_read2_b64 v[131:134], v102 offset0:79 offset1:80
	v_add_f32_e32 v103, v103, v104
	v_mul_f32_e32 v104, v112, v177
	s_waitcnt vmcnt(44) lgkmcnt(1)
	v_mul_f32_e32 v136, v127, v200
	v_fma_f32 v104, v111, v186, -v104
	v_fmac_f32_e32 v136, v128, v199
	v_add_f32_e32 v103, v103, v104
	v_mul_f32_e32 v104, v114, v178
	v_add_f32_e32 v135, v135, v136
	s_waitcnt vmcnt(42)
	v_mul_f32_e32 v136, v129, v202
	v_fma_f32 v104, v113, v187, -v104
	v_fmac_f32_e32 v136, v130, v201
	v_add_f32_e32 v103, v103, v104
	v_mul_f32_e32 v104, v116, v179
	v_add_f32_e32 v135, v135, v136
	s_waitcnt vmcnt(40) lgkmcnt(0)
	v_mul_f32_e32 v136, v131, v204
	v_fma_f32 v104, v115, v188, -v104
	v_fmac_f32_e32 v136, v132, v203
	v_add_f32_e32 v103, v103, v104
	v_mul_f32_e32 v104, v118, v180
	v_add_f32_e32 v139, v135, v136
	ds_read2_b64 v[135:138], v102 offset0:81 offset1:82
	v_fma_f32 v104, v117, v189, -v104
	v_add_f32_e32 v103, v103, v104
	v_mul_f32_e32 v104, v120, v181
	s_waitcnt vmcnt(38)
	v_mul_f32_e32 v140, v133, v206
	v_fma_f32 v104, v119, v190, -v104
	v_fmac_f32_e32 v140, v134, v205
	v_add_f32_e32 v103, v103, v104
	v_mul_f32_e32 v104, v122, v191
	v_add_f32_e32 v143, v139, v140
	ds_read2_b64 v[139:142], v102 offset0:83 offset1:84
	v_fma_f32 v104, v121, v192, -v104
	s_waitcnt vmcnt(36) lgkmcnt(1)
	v_mul_f32_e32 v144, v135, v208
	v_add_f32_e32 v103, v103, v104
	v_mul_f32_e32 v104, v124, v193
	v_fmac_f32_e32 v144, v136, v207
	v_fma_f32 v104, v123, v196, -v104
	v_add_f32_e32 v143, v143, v144
	s_waitcnt vmcnt(34)
	v_mul_f32_e32 v144, v137, v210
	v_add_f32_e32 v103, v103, v104
	v_mul_f32_e32 v104, v126, v198
	v_fmac_f32_e32 v144, v138, v209
	v_fma_f32 v104, v125, v197, -v104
	v_add_f32_e32 v143, v143, v144
	s_waitcnt vmcnt(32) lgkmcnt(0)
	v_mul_f32_e32 v144, v139, v212
	v_add_f32_e32 v103, v103, v104
	v_mul_f32_e32 v104, v128, v200
	v_fmac_f32_e32 v144, v140, v211
	v_fma_f32 v104, v127, v199, -v104
	v_add_f32_e32 v147, v143, v144
	ds_read2_b64 v[143:146], v102 offset0:85 offset1:86
	v_add_f32_e32 v103, v103, v104
	v_mul_f32_e32 v104, v130, v202
	v_fma_f32 v104, v129, v201, -v104
	s_waitcnt vmcnt(30)
	v_mul_f32_e32 v148, v141, v214
	v_add_f32_e32 v103, v103, v104
	v_mul_f32_e32 v104, v132, v204
	v_fmac_f32_e32 v148, v142, v213
	v_fma_f32 v104, v131, v203, -v104
	v_add_f32_e32 v151, v147, v148
	ds_read2_b64 v[147:150], v102 offset0:87 offset1:88
	v_add_f32_e32 v103, v103, v104
	v_mul_f32_e32 v104, v134, v206
	s_waitcnt vmcnt(28) lgkmcnt(1)
	v_mul_f32_e32 v152, v143, v216
	v_fma_f32 v104, v133, v205, -v104
	v_fmac_f32_e32 v152, v144, v215
	v_add_f32_e32 v103, v103, v104
	v_mul_f32_e32 v104, v136, v208
	v_add_f32_e32 v151, v151, v152
	s_waitcnt vmcnt(26)
	v_mul_f32_e32 v152, v145, v218
	v_fma_f32 v104, v135, v207, -v104
	v_fmac_f32_e32 v152, v146, v217
	v_add_f32_e32 v103, v103, v104
	v_mul_f32_e32 v104, v138, v210
	v_add_f32_e32 v151, v151, v152
	s_waitcnt vmcnt(24) lgkmcnt(0)
	v_mul_f32_e32 v152, v147, v220
	v_fma_f32 v104, v137, v209, -v104
	v_fmac_f32_e32 v152, v148, v219
	v_add_f32_e32 v103, v103, v104
	v_mul_f32_e32 v104, v140, v212
	v_add_f32_e32 v155, v151, v152
	ds_read2_b64 v[151:154], v102 offset0:89 offset1:90
	v_fma_f32 v104, v139, v211, -v104
	v_add_f32_e32 v103, v103, v104
	v_mul_f32_e32 v104, v142, v214
	s_waitcnt vmcnt(22)
	v_mul_f32_e32 v156, v149, v222
	v_fma_f32 v104, v141, v213, -v104
	v_fmac_f32_e32 v156, v150, v221
	v_add_f32_e32 v103, v103, v104
	v_mul_f32_e32 v104, v144, v216
	v_add_f32_e32 v159, v155, v156
	ds_read2_b64 v[155:158], v102 offset0:91 offset1:92
	v_fma_f32 v104, v143, v215, -v104
	s_waitcnt vmcnt(20) lgkmcnt(1)
	v_mul_f32_e32 v160, v151, v224
	v_add_f32_e32 v103, v103, v104
	v_mul_f32_e32 v104, v146, v218
	v_fmac_f32_e32 v160, v152, v223
	v_fma_f32 v104, v145, v217, -v104
	v_add_f32_e32 v159, v159, v160
	s_waitcnt vmcnt(18)
	v_mul_f32_e32 v160, v153, v226
	v_add_f32_e32 v103, v103, v104
	v_mul_f32_e32 v104, v148, v220
	v_fmac_f32_e32 v160, v154, v225
	v_fma_f32 v104, v147, v219, -v104
	v_add_f32_e32 v159, v159, v160
	s_waitcnt vmcnt(16) lgkmcnt(0)
	v_mul_f32_e32 v160, v155, v228
	v_add_f32_e32 v103, v103, v104
	v_mul_f32_e32 v104, v150, v222
	v_fmac_f32_e32 v160, v156, v227
	v_fma_f32 v104, v149, v221, -v104
	v_add_f32_e32 v163, v159, v160
	ds_read2_b64 v[159:162], v102 offset0:93 offset1:94
	v_add_f32_e32 v103, v103, v104
	v_mul_f32_e32 v104, v152, v224
	v_fma_f32 v104, v151, v223, -v104
	s_waitcnt vmcnt(14)
	v_mul_f32_e32 v164, v157, v230
	v_add_f32_e32 v103, v103, v104
	v_mul_f32_e32 v104, v154, v226
	v_fmac_f32_e32 v164, v158, v229
	v_fma_f32 v104, v153, v225, -v104
	v_add_f32_e32 v167, v163, v164
	ds_read2_b64 v[163:166], v102 offset0:95 offset1:96
	v_add_f32_e32 v103, v103, v104
	v_mul_f32_e32 v104, v156, v228
	s_waitcnt vmcnt(12) lgkmcnt(1)
	v_mul_f32_e32 v168, v159, v232
	v_fma_f32 v104, v155, v227, -v104
	v_fmac_f32_e32 v168, v160, v231
	v_add_f32_e32 v103, v103, v104
	v_mul_f32_e32 v104, v158, v230
	v_add_f32_e32 v167, v167, v168
	s_waitcnt vmcnt(11)
	v_mul_f32_e32 v168, v161, v233
	v_fma_f32 v104, v157, v229, -v104
	s_waitcnt vmcnt(10)
	v_fmac_f32_e32 v168, v162, v234
	v_add_f32_e32 v103, v103, v104
	v_mul_f32_e32 v104, v160, v232
	v_add_f32_e32 v167, v167, v168
	s_waitcnt vmcnt(8) lgkmcnt(0)
	v_mul_f32_e32 v168, v163, v236
	v_fma_f32 v104, v159, v231, -v104
	v_fmac_f32_e32 v168, v164, v235
	v_add_f32_e32 v103, v103, v104
	v_mul_f32_e32 v104, v162, v233
	v_add_f32_e32 v171, v167, v168
	ds_read2_b64 v[167:170], v102 offset0:97 offset1:98
	v_fma_f32 v104, v161, v234, -v104
	v_add_f32_e32 v103, v103, v104
	v_mul_f32_e32 v104, v164, v236
	s_waitcnt vmcnt(6)
	v_mul_f32_e32 v172, v165, v238
	v_fma_f32 v104, v163, v235, -v104
	v_fmac_f32_e32 v172, v166, v237
	v_add_f32_e32 v103, v103, v104
	v_mul_f32_e32 v104, v166, v238
	v_add_f32_e32 v245, v171, v172
	ds_read_b64 v[171:172], v102 offset:792
	v_fma_f32 v104, v165, v237, -v104
	v_add_f32_e32 v103, v103, v104
	s_waitcnt vmcnt(4) lgkmcnt(1)
	v_mul_f32_e32 v104, v168, v240
	v_mul_f32_e32 v246, v167, v240
	v_fma_f32 v104, v167, v239, -v104
	v_fmac_f32_e32 v246, v168, v239
	v_add_f32_e32 v103, v103, v104
	s_waitcnt vmcnt(3)
	v_mul_f32_e32 v104, v170, v241
	v_add_f32_e32 v245, v245, v246
	v_mul_f32_e32 v246, v169, v241
	s_waitcnt vmcnt(2)
	v_fma_f32 v104, v169, v242, -v104
	v_fmac_f32_e32 v246, v170, v242
	v_add_f32_e32 v103, v103, v104
	s_waitcnt vmcnt(0) lgkmcnt(0)
	v_mul_f32_e32 v104, v172, v244
	v_add_f32_e32 v245, v245, v246
	v_mul_f32_e32 v246, v171, v244
	v_fma_f32 v104, v171, v243, -v104
	v_fmac_f32_e32 v246, v172, v243
	v_add_f32_e32 v103, v103, v104
	v_add_f32_e32 v245, v245, v246
	v_sub_f32_e32 v103, v194, v103
	v_sub_f32_e32 v104, v195, v245
	buffer_store_dword v103, off, s[0:3], 0 offset:112
	buffer_store_dword v104, off, s[0:3], 0 offset:116
	s_and_saveexec_b64 s[4:5], vcc
	s_cbranch_execz .LBB49_287
; %bb.286:
	buffer_load_dword v103, off, s[0:3], 0 offset:104
	buffer_load_dword v104, off, s[0:3], 0 offset:108
	s_waitcnt vmcnt(0)
	ds_write_b64 v101, v[103:104]
	buffer_store_dword v102, off, s[0:3], 0 offset:104
	buffer_store_dword v102, off, s[0:3], 0 offset:108
.LBB49_287:
	s_or_b64 exec, exec, s[4:5]
	s_waitcnt lgkmcnt(0)
	; wave barrier
	buffer_load_dword v175, off, s[0:3], 0 offset:116
	buffer_load_dword v176, off, s[0:3], 0 offset:124
	;; [unrolled: 1-line block ×26, first 2 shown]
	ds_read_b128 v[103:106], v102 offset:512
	ds_read_b128 v[107:110], v102 offset:528
	;; [unrolled: 1-line block ×6, first 2 shown]
	buffer_load_dword v201, off, s[0:3], 0 offset:208
	buffer_load_dword v202, off, s[0:3], 0 offset:212
	;; [unrolled: 1-line block ×42, first 2 shown]
	v_cmp_lt_u32_e32 vcc, 12, v0
	s_waitcnt vmcnt(62) lgkmcnt(5)
	v_mul_f32_e32 v127, v103, v175
	v_mul_f32_e32 v128, v105, v176
	s_waitcnt lgkmcnt(4)
	v_mul_f32_e32 v129, v107, v177
	v_mul_f32_e32 v130, v109, v178
	s_waitcnt lgkmcnt(3)
	v_mul_f32_e32 v131, v111, v179
	v_mul_f32_e32 v132, v113, v180
	s_waitcnt vmcnt(61) lgkmcnt(2)
	v_mul_f32_e32 v133, v115, v181
	s_waitcnt vmcnt(60)
	v_mul_f32_e32 v134, v117, v182
	s_waitcnt vmcnt(59) lgkmcnt(1)
	v_mul_f32_e32 v135, v119, v183
	s_waitcnt vmcnt(58)
	v_fmac_f32_e32 v127, v104, v184
	s_waitcnt vmcnt(57)
	v_fmac_f32_e32 v128, v106, v185
	v_add_f32_e32 v127, 0, v127
	s_waitcnt vmcnt(56)
	v_fmac_f32_e32 v129, v108, v186
	v_add_f32_e32 v127, v127, v128
	;; [unrolled: 3-line block ×8, first 2 shown]
	s_waitcnt vmcnt(49)
	v_mul_f32_e32 v128, v121, v193
	v_add_f32_e32 v127, v127, v135
	s_waitcnt vmcnt(48)
	v_fmac_f32_e32 v128, v122, v194
	v_add_f32_e32 v127, v127, v128
	s_waitcnt vmcnt(47) lgkmcnt(0)
	v_mul_f32_e32 v128, v123, v195
	s_waitcnt vmcnt(46)
	v_fmac_f32_e32 v128, v124, v196
	v_add_f32_e32 v127, v127, v128
	s_waitcnt vmcnt(42)
	v_mul_f32_e32 v128, v125, v200
	v_fmac_f32_e32 v128, v126, v199
	v_add_f32_e32 v135, v127, v128
	ds_read_b128 v[127:130], v102 offset:608
	buffer_load_dword v243, off, s[0:3], 0 offset:380
	buffer_load_dword v244, off, s[0:3], 0 offset:376
	;; [unrolled: 1-line block ×4, first 2 shown]
	ds_read_b128 v[131:134], v102 offset:624
	buffer_load_dword v247, off, s[0:3], 0 offset:392
	buffer_load_dword v248, off, s[0:3], 0 offset:396
	v_mul_f32_e32 v104, v104, v175
	v_fma_f32 v103, v103, v184, -v104
	v_mul_f32_e32 v104, v106, v176
	v_add_f32_e32 v103, 0, v103
	v_fma_f32 v104, v105, v185, -v104
	v_add_f32_e32 v103, v103, v104
	v_mul_f32_e32 v104, v108, v177
	v_fma_f32 v104, v107, v186, -v104
	v_add_f32_e32 v103, v103, v104
	v_mul_f32_e32 v104, v110, v178
	;; [unrolled: 3-line block ×3, first 2 shown]
	s_waitcnt vmcnt(46) lgkmcnt(1)
	v_mul_f32_e32 v136, v127, v202
	v_fma_f32 v104, v111, v188, -v104
	v_fmac_f32_e32 v136, v128, v201
	v_add_f32_e32 v103, v103, v104
	v_mul_f32_e32 v104, v114, v180
	v_add_f32_e32 v135, v135, v136
	s_waitcnt vmcnt(44)
	v_mul_f32_e32 v136, v129, v204
	v_fma_f32 v104, v113, v189, -v104
	v_fmac_f32_e32 v136, v130, v203
	v_add_f32_e32 v103, v103, v104
	v_mul_f32_e32 v104, v116, v181
	v_add_f32_e32 v135, v135, v136
	s_waitcnt vmcnt(42) lgkmcnt(0)
	v_mul_f32_e32 v136, v131, v206
	v_fma_f32 v104, v115, v190, -v104
	v_fmac_f32_e32 v136, v132, v205
	v_add_f32_e32 v103, v103, v104
	v_mul_f32_e32 v104, v118, v182
	v_add_f32_e32 v139, v135, v136
	ds_read_b128 v[135:138], v102 offset:640
	v_fma_f32 v104, v117, v191, -v104
	v_add_f32_e32 v103, v103, v104
	v_mul_f32_e32 v104, v120, v183
	s_waitcnt vmcnt(40)
	v_mul_f32_e32 v140, v133, v208
	v_fma_f32 v104, v119, v192, -v104
	v_fmac_f32_e32 v140, v134, v207
	v_add_f32_e32 v103, v103, v104
	v_mul_f32_e32 v104, v122, v193
	v_add_f32_e32 v143, v139, v140
	ds_read_b128 v[139:142], v102 offset:656
	v_fma_f32 v104, v121, v194, -v104
	s_waitcnt vmcnt(38) lgkmcnt(1)
	v_mul_f32_e32 v144, v135, v210
	v_add_f32_e32 v103, v103, v104
	v_mul_f32_e32 v104, v124, v195
	v_fmac_f32_e32 v144, v136, v209
	v_fma_f32 v104, v123, v196, -v104
	v_add_f32_e32 v143, v143, v144
	s_waitcnt vmcnt(36)
	v_mul_f32_e32 v144, v137, v212
	v_add_f32_e32 v103, v103, v104
	v_mul_f32_e32 v104, v126, v200
	v_fmac_f32_e32 v144, v138, v211
	v_fma_f32 v104, v125, v199, -v104
	v_add_f32_e32 v143, v143, v144
	s_waitcnt vmcnt(34) lgkmcnt(0)
	v_mul_f32_e32 v144, v139, v214
	v_add_f32_e32 v103, v103, v104
	v_mul_f32_e32 v104, v128, v202
	v_fmac_f32_e32 v144, v140, v213
	v_fma_f32 v104, v127, v201, -v104
	v_add_f32_e32 v147, v143, v144
	ds_read_b128 v[143:146], v102 offset:672
	v_add_f32_e32 v103, v103, v104
	v_mul_f32_e32 v104, v130, v204
	v_fma_f32 v104, v129, v203, -v104
	s_waitcnt vmcnt(32)
	v_mul_f32_e32 v148, v141, v216
	v_add_f32_e32 v103, v103, v104
	v_mul_f32_e32 v104, v132, v206
	v_fmac_f32_e32 v148, v142, v215
	v_fma_f32 v104, v131, v205, -v104
	v_add_f32_e32 v151, v147, v148
	ds_read_b128 v[147:150], v102 offset:688
	v_add_f32_e32 v103, v103, v104
	v_mul_f32_e32 v104, v134, v208
	s_waitcnt vmcnt(30) lgkmcnt(1)
	v_mul_f32_e32 v152, v143, v218
	v_fma_f32 v104, v133, v207, -v104
	v_fmac_f32_e32 v152, v144, v217
	v_add_f32_e32 v103, v103, v104
	v_mul_f32_e32 v104, v136, v210
	v_add_f32_e32 v151, v151, v152
	s_waitcnt vmcnt(28)
	v_mul_f32_e32 v152, v145, v220
	v_fma_f32 v104, v135, v209, -v104
	v_fmac_f32_e32 v152, v146, v219
	v_add_f32_e32 v103, v103, v104
	v_mul_f32_e32 v104, v138, v212
	v_add_f32_e32 v151, v151, v152
	s_waitcnt vmcnt(26) lgkmcnt(0)
	v_mul_f32_e32 v152, v147, v222
	v_fma_f32 v104, v137, v211, -v104
	v_fmac_f32_e32 v152, v148, v221
	v_add_f32_e32 v103, v103, v104
	v_mul_f32_e32 v104, v140, v214
	v_add_f32_e32 v155, v151, v152
	ds_read_b128 v[151:154], v102 offset:704
	v_fma_f32 v104, v139, v213, -v104
	v_add_f32_e32 v103, v103, v104
	v_mul_f32_e32 v104, v142, v216
	s_waitcnt vmcnt(24)
	v_mul_f32_e32 v156, v149, v224
	v_fma_f32 v104, v141, v215, -v104
	v_fmac_f32_e32 v156, v150, v223
	v_add_f32_e32 v103, v103, v104
	v_mul_f32_e32 v104, v144, v218
	v_add_f32_e32 v159, v155, v156
	ds_read_b128 v[155:158], v102 offset:720
	v_fma_f32 v104, v143, v217, -v104
	s_waitcnt vmcnt(22) lgkmcnt(1)
	v_mul_f32_e32 v160, v151, v226
	v_add_f32_e32 v103, v103, v104
	v_mul_f32_e32 v104, v146, v220
	v_fmac_f32_e32 v160, v152, v225
	v_fma_f32 v104, v145, v219, -v104
	v_add_f32_e32 v159, v159, v160
	s_waitcnt vmcnt(20)
	v_mul_f32_e32 v160, v153, v228
	v_add_f32_e32 v103, v103, v104
	v_mul_f32_e32 v104, v148, v222
	v_fmac_f32_e32 v160, v154, v227
	v_fma_f32 v104, v147, v221, -v104
	v_add_f32_e32 v159, v159, v160
	s_waitcnt vmcnt(18) lgkmcnt(0)
	v_mul_f32_e32 v160, v155, v230
	v_add_f32_e32 v103, v103, v104
	v_mul_f32_e32 v104, v150, v224
	v_fmac_f32_e32 v160, v156, v229
	v_fma_f32 v104, v149, v223, -v104
	v_add_f32_e32 v163, v159, v160
	ds_read_b128 v[159:162], v102 offset:736
	v_add_f32_e32 v103, v103, v104
	v_mul_f32_e32 v104, v152, v226
	v_fma_f32 v104, v151, v225, -v104
	s_waitcnt vmcnt(16)
	v_mul_f32_e32 v164, v157, v232
	v_add_f32_e32 v103, v103, v104
	v_mul_f32_e32 v104, v154, v228
	v_fmac_f32_e32 v164, v158, v231
	v_fma_f32 v104, v153, v227, -v104
	v_add_f32_e32 v167, v163, v164
	ds_read_b128 v[163:166], v102 offset:752
	v_add_f32_e32 v103, v103, v104
	v_mul_f32_e32 v104, v156, v230
	s_waitcnt vmcnt(14) lgkmcnt(1)
	v_mul_f32_e32 v168, v159, v234
	v_fma_f32 v104, v155, v229, -v104
	v_fmac_f32_e32 v168, v160, v233
	v_add_f32_e32 v103, v103, v104
	v_mul_f32_e32 v104, v158, v232
	v_add_f32_e32 v167, v167, v168
	s_waitcnt vmcnt(13)
	v_mul_f32_e32 v168, v161, v235
	v_fma_f32 v104, v157, v231, -v104
	s_waitcnt vmcnt(12)
	v_fmac_f32_e32 v168, v162, v236
	v_add_f32_e32 v103, v103, v104
	v_mul_f32_e32 v104, v160, v234
	v_add_f32_e32 v167, v167, v168
	s_waitcnt vmcnt(10) lgkmcnt(0)
	v_mul_f32_e32 v168, v163, v238
	v_fma_f32 v104, v159, v233, -v104
	v_fmac_f32_e32 v168, v164, v237
	v_add_f32_e32 v103, v103, v104
	v_mul_f32_e32 v104, v162, v235
	v_add_f32_e32 v171, v167, v168
	ds_read_b128 v[167:170], v102 offset:768
	v_fma_f32 v104, v161, v236, -v104
	v_add_f32_e32 v103, v103, v104
	v_mul_f32_e32 v104, v164, v238
	s_waitcnt vmcnt(8)
	v_mul_f32_e32 v172, v165, v240
	v_fma_f32 v104, v163, v237, -v104
	v_fmac_f32_e32 v172, v166, v239
	v_add_f32_e32 v103, v103, v104
	v_mul_f32_e32 v104, v166, v240
	v_add_f32_e32 v249, v171, v172
	ds_read_b128 v[171:174], v102 offset:784
	v_fma_f32 v104, v165, v239, -v104
	v_add_f32_e32 v103, v103, v104
	s_waitcnt vmcnt(6) lgkmcnt(1)
	v_mul_f32_e32 v104, v168, v242
	v_mul_f32_e32 v102, v167, v242
	v_fma_f32 v104, v167, v241, -v104
	v_fmac_f32_e32 v102, v168, v241
	v_add_f32_e32 v103, v103, v104
	s_waitcnt vmcnt(5)
	v_mul_f32_e32 v104, v170, v243
	v_add_f32_e32 v102, v249, v102
	v_mul_f32_e32 v249, v169, v243
	s_waitcnt vmcnt(4)
	v_fma_f32 v104, v169, v244, -v104
	v_fmac_f32_e32 v249, v170, v244
	v_add_f32_e32 v103, v103, v104
	s_waitcnt vmcnt(2) lgkmcnt(0)
	v_mul_f32_e32 v104, v172, v246
	v_add_f32_e32 v102, v102, v249
	v_mul_f32_e32 v249, v171, v246
	v_fma_f32 v104, v171, v245, -v104
	v_fmac_f32_e32 v249, v172, v245
	v_add_f32_e32 v103, v103, v104
	s_waitcnt vmcnt(0)
	v_mul_f32_e32 v104, v174, v248
	v_add_f32_e32 v102, v102, v249
	v_mul_f32_e32 v249, v173, v248
	v_fma_f32 v104, v173, v247, -v104
	v_fmac_f32_e32 v249, v174, v247
	v_add_f32_e32 v103, v103, v104
	v_add_f32_e32 v102, v102, v249
	v_sub_f32_e32 v103, v197, v103
	v_sub_f32_e32 v102, v198, v102
	buffer_store_dword v103, off, s[0:3], 0 offset:104
	buffer_store_dword v102, off, s[0:3], 0 offset:108
	s_and_saveexec_b64 s[4:5], vcc
	s_cbranch_execz .LBB49_289
; %bb.288:
	buffer_load_dword v102, off, s[0:3], 0 offset:96
	buffer_load_dword v103, off, s[0:3], 0 offset:100
	v_mov_b32_e32 v104, 0
	buffer_store_dword v104, off, s[0:3], 0 offset:96
	buffer_store_dword v104, off, s[0:3], 0 offset:100
	s_waitcnt vmcnt(2)
	ds_write_b64 v101, v[102:103]
.LBB49_289:
	s_or_b64 exec, exec, s[4:5]
	s_waitcnt lgkmcnt(0)
	; wave barrier
	buffer_load_dword v177, off, s[0:3], 0 offset:108
	buffer_load_dword v178, off, s[0:3], 0 offset:116
	;; [unrolled: 1-line block ×52, first 2 shown]
	v_mov_b32_e32 v102, 0
	ds_read2_b64 v[103:106], v102 offset0:63 offset1:64
	ds_read2_b64 v[107:110], v102 offset0:65 offset1:66
	ds_read2_b64 v[111:114], v102 offset0:67 offset1:68
	ds_read2_b64 v[115:118], v102 offset0:69 offset1:70
	ds_read2_b64 v[119:122], v102 offset0:71 offset1:72
	ds_read2_b64 v[123:126], v102 offset0:73 offset1:74
	buffer_load_dword v229, off, s[0:3], 0 offset:308
	buffer_load_dword v230, off, s[0:3], 0 offset:304
	;; [unrolled: 1-line block ×14, first 2 shown]
	v_cmp_lt_u32_e32 vcc, 11, v0
	s_waitcnt vmcnt(62) lgkmcnt(5)
	v_mul_f32_e32 v127, v103, v177
	v_mul_f32_e32 v128, v105, v178
	s_waitcnt lgkmcnt(4)
	v_mul_f32_e32 v129, v107, v179
	v_mul_f32_e32 v130, v109, v180
	s_waitcnt vmcnt(61) lgkmcnt(3)
	v_mul_f32_e32 v131, v111, v181
	s_waitcnt vmcnt(60)
	v_mul_f32_e32 v132, v113, v182
	s_waitcnt vmcnt(59) lgkmcnt(2)
	v_mul_f32_e32 v133, v115, v183
	s_waitcnt vmcnt(58)
	;; [unrolled: 4-line block ×3, first 2 shown]
	v_fmac_f32_e32 v127, v104, v186
	s_waitcnt vmcnt(55)
	v_fmac_f32_e32 v128, v106, v187
	v_add_f32_e32 v127, 0, v127
	s_waitcnt vmcnt(54)
	v_fmac_f32_e32 v129, v108, v188
	v_add_f32_e32 v127, v127, v128
	;; [unrolled: 3-line block ×8, first 2 shown]
	s_waitcnt vmcnt(47)
	v_mul_f32_e32 v128, v121, v195
	v_add_f32_e32 v127, v127, v135
	s_waitcnt vmcnt(46)
	v_fmac_f32_e32 v128, v122, v196
	v_add_f32_e32 v127, v127, v128
	s_waitcnt vmcnt(45) lgkmcnt(0)
	v_mul_f32_e32 v128, v123, v197
	s_waitcnt vmcnt(44)
	v_fmac_f32_e32 v128, v124, v198
	v_add_f32_e32 v131, v127, v128
	ds_read2_b64 v[127:130], v102 offset0:75 offset1:76
	buffer_load_dword v243, off, s[0:3], 0 offset:360
	buffer_load_dword v244, off, s[0:3], 0 offset:364
	s_waitcnt vmcnt(43)
	v_mul_f32_e32 v132, v125, v201
	s_waitcnt vmcnt(42)
	v_fmac_f32_e32 v132, v126, v202
	v_add_f32_e32 v135, v131, v132
	ds_read2_b64 v[131:134], v102 offset0:77 offset1:78
	buffer_load_dword v245, off, s[0:3], 0 offset:372
	buffer_load_dword v246, off, s[0:3], 0 offset:368
	;; [unrolled: 1-line block ×8, first 2 shown]
	v_mul_f32_e32 v104, v104, v177
	v_fma_f32 v103, v103, v186, -v104
	v_mul_f32_e32 v104, v106, v178
	v_add_f32_e32 v103, 0, v103
	v_fma_f32 v104, v105, v187, -v104
	v_add_f32_e32 v103, v103, v104
	v_mul_f32_e32 v104, v108, v179
	v_fma_f32 v104, v107, v188, -v104
	v_add_f32_e32 v103, v103, v104
	v_mul_f32_e32 v104, v110, v180
	v_fma_f32 v104, v109, v189, -v104
	s_waitcnt vmcnt(48) lgkmcnt(1)
	v_mul_f32_e32 v136, v127, v204
	v_add_f32_e32 v103, v103, v104
	v_mul_f32_e32 v104, v112, v181
	v_fmac_f32_e32 v136, v128, v203
	v_fma_f32 v104, v111, v190, -v104
	v_add_f32_e32 v135, v135, v136
	s_waitcnt vmcnt(46)
	v_mul_f32_e32 v136, v129, v206
	v_add_f32_e32 v103, v103, v104
	v_mul_f32_e32 v104, v114, v182
	v_fmac_f32_e32 v136, v130, v205
	v_fma_f32 v104, v113, v191, -v104
	v_add_f32_e32 v135, v135, v136
	s_waitcnt vmcnt(44) lgkmcnt(0)
	v_mul_f32_e32 v136, v131, v208
	v_add_f32_e32 v103, v103, v104
	v_mul_f32_e32 v104, v116, v183
	v_fmac_f32_e32 v136, v132, v207
	v_fma_f32 v104, v115, v192, -v104
	v_add_f32_e32 v139, v135, v136
	ds_read2_b64 v[135:138], v102 offset0:79 offset1:80
	v_add_f32_e32 v103, v103, v104
	v_mul_f32_e32 v104, v118, v184
	v_fma_f32 v104, v117, v193, -v104
	s_waitcnt vmcnt(42)
	v_mul_f32_e32 v140, v133, v210
	v_add_f32_e32 v103, v103, v104
	v_mul_f32_e32 v104, v120, v185
	v_fmac_f32_e32 v140, v134, v209
	v_fma_f32 v104, v119, v194, -v104
	v_add_f32_e32 v143, v139, v140
	ds_read2_b64 v[139:142], v102 offset0:81 offset1:82
	v_add_f32_e32 v103, v103, v104
	v_mul_f32_e32 v104, v122, v195
	s_waitcnt vmcnt(40) lgkmcnt(1)
	v_mul_f32_e32 v144, v135, v212
	v_fma_f32 v104, v121, v196, -v104
	v_fmac_f32_e32 v144, v136, v211
	v_add_f32_e32 v103, v103, v104
	v_mul_f32_e32 v104, v124, v197
	v_add_f32_e32 v143, v143, v144
	s_waitcnt vmcnt(38)
	v_mul_f32_e32 v144, v137, v214
	v_fma_f32 v104, v123, v198, -v104
	v_fmac_f32_e32 v144, v138, v213
	v_add_f32_e32 v103, v103, v104
	v_mul_f32_e32 v104, v126, v201
	v_add_f32_e32 v143, v143, v144
	s_waitcnt vmcnt(36) lgkmcnt(0)
	v_mul_f32_e32 v144, v139, v216
	v_fma_f32 v104, v125, v202, -v104
	v_fmac_f32_e32 v144, v140, v215
	v_add_f32_e32 v103, v103, v104
	v_mul_f32_e32 v104, v128, v204
	v_add_f32_e32 v147, v143, v144
	ds_read2_b64 v[143:146], v102 offset0:83 offset1:84
	v_fma_f32 v104, v127, v203, -v104
	v_add_f32_e32 v103, v103, v104
	v_mul_f32_e32 v104, v130, v206
	s_waitcnt vmcnt(34)
	v_mul_f32_e32 v148, v141, v218
	v_fma_f32 v104, v129, v205, -v104
	v_fmac_f32_e32 v148, v142, v217
	v_add_f32_e32 v103, v103, v104
	v_mul_f32_e32 v104, v132, v208
	v_add_f32_e32 v151, v147, v148
	ds_read2_b64 v[147:150], v102 offset0:85 offset1:86
	v_fma_f32 v104, v131, v207, -v104
	s_waitcnt vmcnt(32) lgkmcnt(1)
	v_mul_f32_e32 v152, v143, v220
	v_add_f32_e32 v103, v103, v104
	v_mul_f32_e32 v104, v134, v210
	v_fmac_f32_e32 v152, v144, v219
	v_fma_f32 v104, v133, v209, -v104
	v_add_f32_e32 v151, v151, v152
	s_waitcnt vmcnt(30)
	v_mul_f32_e32 v152, v145, v222
	v_add_f32_e32 v103, v103, v104
	v_mul_f32_e32 v104, v136, v212
	v_fmac_f32_e32 v152, v146, v221
	v_fma_f32 v104, v135, v211, -v104
	v_add_f32_e32 v151, v151, v152
	s_waitcnt vmcnt(28) lgkmcnt(0)
	v_mul_f32_e32 v152, v147, v224
	v_add_f32_e32 v103, v103, v104
	v_mul_f32_e32 v104, v138, v214
	v_fmac_f32_e32 v152, v148, v223
	v_fma_f32 v104, v137, v213, -v104
	v_add_f32_e32 v155, v151, v152
	ds_read2_b64 v[151:154], v102 offset0:87 offset1:88
	v_add_f32_e32 v103, v103, v104
	v_mul_f32_e32 v104, v140, v216
	v_fma_f32 v104, v139, v215, -v104
	s_waitcnt vmcnt(26)
	v_mul_f32_e32 v156, v149, v226
	v_add_f32_e32 v103, v103, v104
	v_mul_f32_e32 v104, v142, v218
	v_fmac_f32_e32 v156, v150, v225
	v_fma_f32 v104, v141, v217, -v104
	v_add_f32_e32 v159, v155, v156
	ds_read2_b64 v[155:158], v102 offset0:89 offset1:90
	v_add_f32_e32 v103, v103, v104
	v_mul_f32_e32 v104, v144, v220
	s_waitcnt vmcnt(24) lgkmcnt(1)
	v_mul_f32_e32 v160, v151, v228
	v_fma_f32 v104, v143, v219, -v104
	v_fmac_f32_e32 v160, v152, v227
	v_add_f32_e32 v103, v103, v104
	v_mul_f32_e32 v104, v146, v222
	v_add_f32_e32 v159, v159, v160
	s_waitcnt vmcnt(23)
	v_mul_f32_e32 v160, v153, v229
	v_fma_f32 v104, v145, v221, -v104
	s_waitcnt vmcnt(22)
	v_fmac_f32_e32 v160, v154, v230
	v_add_f32_e32 v103, v103, v104
	v_mul_f32_e32 v104, v148, v224
	v_add_f32_e32 v159, v159, v160
	s_waitcnt vmcnt(20) lgkmcnt(0)
	v_mul_f32_e32 v160, v155, v232
	v_fma_f32 v104, v147, v223, -v104
	v_fmac_f32_e32 v160, v156, v231
	v_add_f32_e32 v103, v103, v104
	v_mul_f32_e32 v104, v150, v226
	v_add_f32_e32 v163, v159, v160
	ds_read2_b64 v[159:162], v102 offset0:91 offset1:92
	v_fma_f32 v104, v149, v225, -v104
	v_add_f32_e32 v103, v103, v104
	v_mul_f32_e32 v104, v152, v228
	s_waitcnt vmcnt(18)
	v_mul_f32_e32 v164, v157, v234
	v_fma_f32 v104, v151, v227, -v104
	v_fmac_f32_e32 v164, v158, v233
	v_add_f32_e32 v103, v103, v104
	v_mul_f32_e32 v104, v154, v229
	v_add_f32_e32 v167, v163, v164
	ds_read2_b64 v[163:166], v102 offset0:93 offset1:94
	v_fma_f32 v104, v153, v230, -v104
	s_waitcnt vmcnt(16) lgkmcnt(1)
	v_mul_f32_e32 v168, v159, v236
	v_add_f32_e32 v103, v103, v104
	v_mul_f32_e32 v104, v156, v232
	v_fmac_f32_e32 v168, v160, v235
	v_fma_f32 v104, v155, v231, -v104
	v_add_f32_e32 v167, v167, v168
	s_waitcnt vmcnt(15)
	v_mul_f32_e32 v168, v161, v237
	v_add_f32_e32 v103, v103, v104
	v_mul_f32_e32 v104, v158, v234
	s_waitcnt vmcnt(14)
	v_fmac_f32_e32 v168, v162, v238
	v_fma_f32 v104, v157, v233, -v104
	v_add_f32_e32 v167, v167, v168
	s_waitcnt vmcnt(12) lgkmcnt(0)
	v_mul_f32_e32 v168, v163, v240
	v_add_f32_e32 v103, v103, v104
	v_mul_f32_e32 v104, v160, v236
	v_fmac_f32_e32 v168, v164, v239
	v_fma_f32 v104, v159, v235, -v104
	v_add_f32_e32 v171, v167, v168
	ds_read2_b64 v[167:170], v102 offset0:95 offset1:96
	v_add_f32_e32 v103, v103, v104
	v_mul_f32_e32 v104, v162, v237
	v_fma_f32 v104, v161, v238, -v104
	v_add_f32_e32 v103, v103, v104
	v_mul_f32_e32 v104, v164, v240
	s_waitcnt vmcnt(10)
	v_mul_f32_e32 v172, v165, v242
	v_fma_f32 v104, v163, v239, -v104
	v_fmac_f32_e32 v172, v166, v241
	v_add_f32_e32 v103, v103, v104
	v_mul_f32_e32 v104, v166, v242
	v_add_f32_e32 v175, v171, v172
	ds_read2_b64 v[171:174], v102 offset0:97 offset1:98
	s_waitcnt vmcnt(8) lgkmcnt(1)
	v_mul_f32_e32 v176, v167, v244
	v_fma_f32 v104, v165, v241, -v104
	v_fmac_f32_e32 v176, v168, v243
	v_add_f32_e32 v103, v103, v104
	v_mul_f32_e32 v104, v168, v244
	v_add_f32_e32 v175, v175, v176
	s_waitcnt vmcnt(7)
	v_mul_f32_e32 v176, v169, v245
	v_fma_f32 v104, v167, v243, -v104
	s_waitcnt vmcnt(6)
	v_fmac_f32_e32 v176, v170, v246
	v_add_f32_e32 v103, v103, v104
	v_mul_f32_e32 v104, v170, v245
	v_add_f32_e32 v253, v175, v176
	ds_read_b64 v[175:176], v102 offset:792
	v_fma_f32 v104, v169, v246, -v104
	v_add_f32_e32 v103, v103, v104
	s_waitcnt vmcnt(4) lgkmcnt(1)
	v_mul_f32_e32 v104, v172, v248
	v_mul_f32_e32 v254, v171, v248
	v_fma_f32 v104, v171, v247, -v104
	v_fmac_f32_e32 v254, v172, v247
	v_add_f32_e32 v103, v103, v104
	s_waitcnt vmcnt(3)
	v_mul_f32_e32 v104, v174, v249
	v_add_f32_e32 v253, v253, v254
	v_mul_f32_e32 v254, v173, v249
	s_waitcnt vmcnt(2)
	v_fma_f32 v104, v173, v250, -v104
	v_fmac_f32_e32 v254, v174, v250
	v_add_f32_e32 v103, v103, v104
	s_waitcnt vmcnt(0) lgkmcnt(0)
	v_mul_f32_e32 v104, v176, v252
	v_add_f32_e32 v253, v253, v254
	v_mul_f32_e32 v254, v175, v252
	v_fma_f32 v104, v175, v251, -v104
	v_fmac_f32_e32 v254, v176, v251
	v_add_f32_e32 v103, v103, v104
	v_add_f32_e32 v253, v253, v254
	v_sub_f32_e32 v103, v199, v103
	v_sub_f32_e32 v104, v200, v253
	buffer_store_dword v103, off, s[0:3], 0 offset:96
	buffer_store_dword v104, off, s[0:3], 0 offset:100
	s_and_saveexec_b64 s[4:5], vcc
	s_cbranch_execz .LBB49_291
; %bb.290:
	buffer_load_dword v103, off, s[0:3], 0 offset:88
	buffer_load_dword v104, off, s[0:3], 0 offset:92
	s_waitcnt vmcnt(0)
	ds_write_b64 v101, v[103:104]
	buffer_store_dword v102, off, s[0:3], 0 offset:88
	buffer_store_dword v102, off, s[0:3], 0 offset:92
.LBB49_291:
	s_or_b64 exec, exec, s[4:5]
	s_waitcnt lgkmcnt(0)
	; wave barrier
	buffer_load_dword v179, off, s[0:3], 0 offset:100
	buffer_load_dword v180, off, s[0:3], 0 offset:108
	;; [unrolled: 1-line block ×32, first 2 shown]
	ds_read_b128 v[103:106], v102 offset:496
	ds_read_b128 v[107:110], v102 offset:512
	;; [unrolled: 1-line block ×6, first 2 shown]
	buffer_load_dword v211, off, s[0:3], 0 offset:216
	buffer_load_dword v212, off, s[0:3], 0 offset:220
	;; [unrolled: 1-line block ×32, first 2 shown]
	v_cmp_lt_u32_e32 vcc, 10, v0
	s_waitcnt vmcnt(62) lgkmcnt(5)
	v_mul_f32_e32 v127, v103, v179
	v_mul_f32_e32 v128, v105, v180
	s_waitcnt vmcnt(61) lgkmcnt(4)
	v_mul_f32_e32 v129, v107, v181
	s_waitcnt vmcnt(60)
	v_mul_f32_e32 v130, v109, v182
	s_waitcnt vmcnt(59) lgkmcnt(3)
	v_mul_f32_e32 v131, v111, v183
	s_waitcnt vmcnt(58)
	;; [unrolled: 4-line block ×4, first 2 shown]
	v_mul_f32_e32 v136, v121, v188
	s_waitcnt vmcnt(53)
	v_fmac_f32_e32 v129, v108, v189
	s_waitcnt vmcnt(52)
	v_fmac_f32_e32 v128, v106, v190
	s_waitcnt vmcnt(51)
	v_fmac_f32_e32 v127, v104, v191
	v_add_f32_e32 v127, 0, v127
	v_add_f32_e32 v127, v127, v128
	;; [unrolled: 1-line block ×3, first 2 shown]
	s_waitcnt vmcnt(47)
	v_fmac_f32_e32 v130, v110, v195
	v_fmac_f32_e32 v131, v112, v194
	v_add_f32_e32 v127, v127, v130
	v_fmac_f32_e32 v132, v114, v193
	v_add_f32_e32 v127, v127, v131
	;; [unrolled: 2-line block ×3, first 2 shown]
	s_waitcnt vmcnt(43)
	v_fmac_f32_e32 v134, v118, v199
	v_add_f32_e32 v127, v127, v133
	v_fmac_f32_e32 v135, v120, v198
	v_add_f32_e32 v127, v127, v134
	v_fmac_f32_e32 v136, v122, v197
	v_add_f32_e32 v127, v127, v135
	s_waitcnt vmcnt(42) lgkmcnt(0)
	v_mul_f32_e32 v128, v123, v200
	v_add_f32_e32 v127, v127, v136
	v_fmac_f32_e32 v128, v124, v196
	v_add_f32_e32 v131, v127, v128
	ds_read_b128 v[127:130], v102 offset:592
	buffer_load_dword v243, off, s[0:3], 0 offset:344
	buffer_load_dword v244, off, s[0:3], 0 offset:348
	s_waitcnt vmcnt(43)
	v_mul_f32_e32 v132, v125, v201
	s_waitcnt vmcnt(37)
	v_fmac_f32_e32 v132, v126, v207
	v_add_f32_e32 v135, v131, v132
	ds_read_b128 v[131:134], v102 offset:608
	buffer_load_dword v245, off, s[0:3], 0 offset:352
	buffer_load_dword v246, off, s[0:3], 0 offset:356
	;; [unrolled: 1-line block ×12, first 2 shown]
	s_waitcnt vmcnt(48) lgkmcnt(1)
	v_mul_f32_e32 v136, v127, v208
	v_fmac_f32_e32 v136, v128, v206
	v_add_f32_e32 v135, v135, v136
	v_mul_f32_e32 v136, v129, v203
	v_fmac_f32_e32 v136, v130, v202
	v_add_f32_e32 v2, v135, v136
	s_waitcnt lgkmcnt(0)
	v_mul_f32_e32 v135, v131, v205
	v_fmac_f32_e32 v135, v132, v204
	v_add_f32_e32 v2, v2, v135
	ds_read_b128 v[135:138], v102 offset:624
	s_waitcnt vmcnt(44)
	v_mul_f32_e32 v139, v133, v212
	v_fmac_f32_e32 v139, v134, v211
	v_add_f32_e32 v2, v2, v139
	ds_read_b128 v[139:142], v102 offset:640
	s_waitcnt vmcnt(42) lgkmcnt(1)
	v_mul_f32_e32 v143, v135, v214
	v_fmac_f32_e32 v143, v136, v213
	v_add_f32_e32 v2, v2, v143
	s_waitcnt vmcnt(40)
	v_mul_f32_e32 v143, v137, v216
	v_fmac_f32_e32 v143, v138, v215
	v_add_f32_e32 v2, v2, v143
	s_waitcnt vmcnt(38) lgkmcnt(0)
	v_mul_f32_e32 v143, v139, v218
	v_fmac_f32_e32 v143, v140, v217
	v_add_f32_e32 v2, v2, v143
	ds_read_b128 v[143:146], v102 offset:656
	s_waitcnt vmcnt(36)
	v_mul_f32_e32 v147, v141, v220
	v_fmac_f32_e32 v147, v142, v219
	v_add_f32_e32 v2, v2, v147
	ds_read_b128 v[147:150], v102 offset:672
	s_waitcnt vmcnt(34) lgkmcnt(1)
	v_mul_f32_e32 v151, v143, v222
	v_fmac_f32_e32 v151, v144, v221
	v_add_f32_e32 v2, v2, v151
	s_waitcnt vmcnt(32)
	v_mul_f32_e32 v151, v145, v224
	v_fmac_f32_e32 v151, v146, v223
	v_add_f32_e32 v2, v2, v151
	s_waitcnt vmcnt(30) lgkmcnt(0)
	v_mul_f32_e32 v151, v147, v226
	v_fmac_f32_e32 v151, v148, v225
	v_add_f32_e32 v2, v2, v151
	ds_read_b128 v[151:154], v102 offset:688
	s_waitcnt vmcnt(28)
	v_mul_f32_e32 v155, v149, v228
	v_fmac_f32_e32 v155, v150, v227
	v_add_f32_e32 v2, v2, v155
	ds_read_b128 v[155:158], v102 offset:704
	s_waitcnt vmcnt(26) lgkmcnt(1)
	v_mul_f32_e32 v159, v151, v230
	v_fmac_f32_e32 v159, v152, v229
	v_add_f32_e32 v2, v2, v159
	s_waitcnt vmcnt(25)
	v_mul_f32_e32 v159, v153, v231
	s_waitcnt vmcnt(22)
	v_fmac_f32_e32 v159, v154, v234
	v_add_f32_e32 v2, v2, v159
	s_waitcnt lgkmcnt(0)
	v_mul_f32_e32 v159, v155, v233
	v_fmac_f32_e32 v159, v156, v232
	v_add_f32_e32 v2, v2, v159
	ds_read_b128 v[159:162], v102 offset:720
	s_waitcnt vmcnt(20)
	v_mul_f32_e32 v163, v157, v236
	v_fmac_f32_e32 v163, v158, v235
	v_add_f32_e32 v2, v2, v163
	ds_read_b128 v[163:166], v102 offset:736
	s_waitcnt vmcnt(18) lgkmcnt(1)
	v_mul_f32_e32 v167, v159, v238
	v_fmac_f32_e32 v167, v160, v237
	v_add_f32_e32 v2, v2, v167
	s_waitcnt vmcnt(17)
	v_mul_f32_e32 v167, v161, v239
	s_waitcnt vmcnt(14)
	v_fmac_f32_e32 v167, v162, v242
	v_add_f32_e32 v2, v2, v167
	s_waitcnt lgkmcnt(0)
	v_mul_f32_e32 v167, v163, v241
	v_fmac_f32_e32 v167, v164, v240
	v_add_f32_e32 v2, v2, v167
	ds_read_b128 v[167:170], v102 offset:752
	v_mul_f32_e32 v4, v106, v180
	v_fma_f32 v4, v105, v190, -v4
	s_waitcnt vmcnt(12)
	v_mul_f32_e32 v171, v165, v244
	v_fmac_f32_e32 v171, v166, v243
	v_add_f32_e32 v2, v2, v171
	ds_read_b128 v[171:174], v102 offset:768
	s_waitcnt vmcnt(10) lgkmcnt(1)
	v_mul_f32_e32 v175, v167, v246
	v_fmac_f32_e32 v175, v168, v245
	v_add_f32_e32 v2, v2, v175
	s_waitcnt vmcnt(9)
	v_mul_f32_e32 v175, v169, v247
	s_waitcnt vmcnt(6)
	v_fmac_f32_e32 v175, v170, v250
	v_add_f32_e32 v2, v2, v175
	ds_read_b128 v[175:178], v102 offset:784
	s_waitcnt lgkmcnt(1)
	v_mul_f32_e32 v3, v171, v249
	v_fmac_f32_e32 v3, v172, v248
	v_add_f32_e32 v2, v2, v3
	s_waitcnt vmcnt(4)
	v_mul_f32_e32 v3, v173, v252
	v_fmac_f32_e32 v3, v174, v251
	v_add_f32_e32 v2, v2, v3
	s_waitcnt vmcnt(3) lgkmcnt(0)
	v_mul_f32_e32 v3, v175, v253
	s_waitcnt vmcnt(0)
	v_fmac_f32_e32 v3, v176, v1
	v_add_f32_e32 v2, v2, v3
	v_mul_f32_e32 v3, v177, v255
	v_fmac_f32_e32 v3, v178, v254
	v_add_f32_e32 v2, v2, v3
	v_mul_f32_e32 v3, v104, v179
	v_fma_f32 v3, v103, v191, -v3
	v_add_f32_e32 v3, 0, v3
	v_add_f32_e32 v3, v3, v4
	v_mul_f32_e32 v4, v108, v181
	v_fma_f32 v4, v107, v189, -v4
	v_add_f32_e32 v3, v3, v4
	v_mul_f32_e32 v4, v110, v182
	v_fma_f32 v4, v109, v195, -v4
	;; [unrolled: 3-line block ×36, first 2 shown]
	v_add_f32_e32 v1, v1, v3
	v_sub_f32_e32 v1, v209, v1
	v_sub_f32_e32 v2, v210, v2
	buffer_store_dword v1, off, s[0:3], 0 offset:88
	buffer_store_dword v2, off, s[0:3], 0 offset:92
	s_and_saveexec_b64 s[4:5], vcc
	s_cbranch_execz .LBB49_293
; %bb.292:
	buffer_load_dword v102, off, s[0:3], 0 offset:80
	buffer_load_dword v103, off, s[0:3], 0 offset:84
	v_mov_b32_e32 v1, 0
	buffer_store_dword v1, off, s[0:3], 0 offset:80
	buffer_store_dword v1, off, s[0:3], 0 offset:84
	s_waitcnt vmcnt(2)
	ds_write_b64 v101, v[102:103]
.LBB49_293:
	s_or_b64 exec, exec, s[4:5]
	s_waitcnt lgkmcnt(0)
	; wave barrier
	buffer_load_dword v1, off, s[0:3], 0 offset:92
	buffer_load_dword v2, off, s[0:3], 0 offset:100
	;; [unrolled: 1-line block ×50, first 2 shown]
	v_mov_b32_e32 v102, 0
	ds_read2_b64 v[103:106], v102 offset0:61 offset1:62
	ds_read2_b64 v[107:110], v102 offset0:63 offset1:64
	;; [unrolled: 1-line block ×6, first 2 shown]
	buffer_load_dword v227, off, s[0:3], 0 offset:280
	buffer_load_dword v228, off, s[0:3], 0 offset:284
	;; [unrolled: 1-line block ×8, first 2 shown]
	v_cmp_lt_u32_e32 vcc, 9, v0
	s_waitcnt vmcnt(57) lgkmcnt(5)
	v_mul_f32_e32 v127, v103, v1
	s_waitcnt vmcnt(56)
	v_mul_f32_e32 v128, v105, v2
	s_waitcnt vmcnt(55) lgkmcnt(4)
	v_mul_f32_e32 v129, v107, v3
	s_waitcnt vmcnt(54)
	v_mul_f32_e32 v130, v109, v4
	;; [unrolled: 4-line block ×5, first 2 shown]
	s_waitcnt vmcnt(47) lgkmcnt(0)
	v_mul_f32_e32 v137, v123, v187
	s_waitcnt vmcnt(46)
	v_fmac_f32_e32 v129, v108, v188
	s_waitcnt vmcnt(45)
	v_fmac_f32_e32 v128, v106, v189
	;; [unrolled: 2-line block ×3, first 2 shown]
	v_add_f32_e32 v127, 0, v127
	v_add_f32_e32 v127, v127, v128
	;; [unrolled: 1-line block ×3, first 2 shown]
	s_waitcnt vmcnt(40)
	v_fmac_f32_e32 v130, v110, v194
	v_fmac_f32_e32 v131, v112, v193
	v_add_f32_e32 v127, v127, v130
	v_fmac_f32_e32 v132, v114, v192
	v_add_f32_e32 v127, v127, v131
	v_fmac_f32_e32 v133, v116, v191
	v_add_f32_e32 v127, v127, v132
	s_waitcnt vmcnt(36)
	v_fmac_f32_e32 v134, v118, v198
	v_add_f32_e32 v127, v127, v133
	v_fmac_f32_e32 v135, v120, v197
	v_add_f32_e32 v127, v127, v134
	;; [unrolled: 2-line block ×3, first 2 shown]
	v_add_f32_e32 v127, v127, v136
	v_fmac_f32_e32 v137, v124, v195
	v_add_f32_e32 v131, v127, v137
	ds_read2_b64 v[127:130], v102 offset0:73 offset1:74
	buffer_load_dword v235, off, s[0:3], 0 offset:312
	buffer_load_dword v236, off, s[0:3], 0 offset:316
	;; [unrolled: 1-line block ×6, first 2 shown]
	s_waitcnt vmcnt(41)
	v_mul_f32_e32 v132, v125, v199
	s_waitcnt vmcnt(34)
	v_fmac_f32_e32 v132, v126, v206
	v_add_f32_e32 v135, v131, v132
	ds_read2_b64 v[131:134], v102 offset0:75 offset1:76
	buffer_load_dword v241, off, s[0:3], 0 offset:336
	buffer_load_dword v242, off, s[0:3], 0 offset:340
	;; [unrolled: 1-line block ×16, first 2 shown]
	v_mul_f32_e32 v1, v104, v1
	v_fma_f32 v1, v103, v190, -v1
	v_mul_f32_e32 v2, v106, v2
	v_add_f32_e32 v1, 0, v1
	v_fma_f32 v2, v105, v189, -v2
	v_add_f32_e32 v1, v1, v2
	v_mul_f32_e32 v2, v108, v3
	v_fma_f32 v2, v107, v188, -v2
	s_waitcnt lgkmcnt(1)
	v_mul_f32_e32 v136, v127, v201
	v_add_f32_e32 v1, v1, v2
	v_mul_f32_e32 v2, v110, v4
	v_fmac_f32_e32 v136, v128, v200
	v_fma_f32 v2, v109, v194, -v2
	v_add_f32_e32 v135, v135, v136
	v_mul_f32_e32 v136, v129, v203
	v_add_f32_e32 v1, v1, v2
	v_mul_f32_e32 v2, v112, v181
	v_fmac_f32_e32 v136, v130, v202
	v_fma_f32 v2, v111, v193, -v2
	v_add_f32_e32 v135, v135, v136
	s_waitcnt lgkmcnt(0)
	v_mul_f32_e32 v136, v131, v205
	v_add_f32_e32 v1, v1, v2
	v_mul_f32_e32 v2, v114, v182
	v_fmac_f32_e32 v136, v132, v204
	v_fma_f32 v2, v113, v192, -v2
	v_add_f32_e32 v139, v135, v136
	ds_read2_b64 v[135:138], v102 offset0:77 offset1:78
	v_add_f32_e32 v1, v1, v2
	v_mul_f32_e32 v2, v116, v183
	v_fma_f32 v2, v115, v191, -v2
	s_waitcnt vmcnt(46)
	v_mul_f32_e32 v6, v133, v210
	v_add_f32_e32 v1, v1, v2
	v_mul_f32_e32 v2, v118, v184
	v_fmac_f32_e32 v6, v134, v209
	v_fma_f32 v2, v117, v198, -v2
	v_add_f32_e32 v6, v139, v6
	ds_read2_b64 v[139:142], v102 offset0:79 offset1:80
	v_add_f32_e32 v1, v1, v2
	v_mul_f32_e32 v2, v120, v185
	s_waitcnt vmcnt(44) lgkmcnt(1)
	v_mul_f32_e32 v143, v135, v212
	v_fma_f32 v2, v119, v197, -v2
	v_fmac_f32_e32 v143, v136, v211
	v_add_f32_e32 v1, v1, v2
	v_mul_f32_e32 v2, v122, v186
	v_add_f32_e32 v6, v6, v143
	s_waitcnt vmcnt(42)
	v_mul_f32_e32 v143, v137, v214
	v_fma_f32 v2, v121, v196, -v2
	v_fmac_f32_e32 v143, v138, v213
	v_add_f32_e32 v1, v1, v2
	v_mul_f32_e32 v2, v124, v187
	v_add_f32_e32 v6, v6, v143
	s_waitcnt vmcnt(40) lgkmcnt(0)
	v_mul_f32_e32 v143, v139, v216
	v_fma_f32 v2, v123, v195, -v2
	v_fmac_f32_e32 v143, v140, v215
	v_add_f32_e32 v1, v1, v2
	v_mul_f32_e32 v2, v126, v199
	v_add_f32_e32 v6, v6, v143
	ds_read2_b64 v[143:146], v102 offset0:81 offset1:82
	v_fma_f32 v2, v125, v206, -v2
	v_add_f32_e32 v1, v1, v2
	v_mul_f32_e32 v2, v128, v201
	s_waitcnt vmcnt(38)
	v_mul_f32_e32 v147, v141, v218
	v_fma_f32 v2, v127, v200, -v2
	v_fmac_f32_e32 v147, v142, v217
	v_add_f32_e32 v1, v1, v2
	v_mul_f32_e32 v2, v130, v203
	v_add_f32_e32 v6, v6, v147
	ds_read2_b64 v[147:150], v102 offset0:83 offset1:84
	v_fma_f32 v2, v129, v202, -v2
	s_waitcnt vmcnt(36) lgkmcnt(1)
	v_mul_f32_e32 v151, v143, v220
	v_add_f32_e32 v1, v1, v2
	v_mul_f32_e32 v2, v132, v205
	v_fmac_f32_e32 v151, v144, v219
	v_fma_f32 v2, v131, v204, -v2
	v_add_f32_e32 v6, v6, v151
	s_waitcnt vmcnt(34)
	v_mul_f32_e32 v151, v145, v222
	v_add_f32_e32 v1, v1, v2
	v_mul_f32_e32 v2, v134, v210
	v_fmac_f32_e32 v151, v146, v221
	v_fma_f32 v2, v133, v209, -v2
	v_add_f32_e32 v6, v6, v151
	s_waitcnt vmcnt(32) lgkmcnt(0)
	v_mul_f32_e32 v151, v147, v224
	v_add_f32_e32 v1, v1, v2
	v_mul_f32_e32 v2, v136, v212
	v_fmac_f32_e32 v151, v148, v223
	v_fma_f32 v2, v135, v211, -v2
	v_add_f32_e32 v6, v6, v151
	ds_read2_b64 v[151:154], v102 offset0:85 offset1:86
	v_add_f32_e32 v1, v1, v2
	v_mul_f32_e32 v2, v138, v214
	v_fma_f32 v2, v137, v213, -v2
	s_waitcnt vmcnt(30)
	v_mul_f32_e32 v155, v149, v226
	v_add_f32_e32 v1, v1, v2
	v_mul_f32_e32 v2, v140, v216
	v_fmac_f32_e32 v155, v150, v225
	v_fma_f32 v2, v139, v215, -v2
	v_add_f32_e32 v6, v6, v155
	ds_read2_b64 v[155:158], v102 offset0:87 offset1:88
	v_add_f32_e32 v1, v1, v2
	v_mul_f32_e32 v2, v142, v218
	s_waitcnt vmcnt(28) lgkmcnt(1)
	v_mul_f32_e32 v159, v151, v228
	v_fma_f32 v2, v141, v217, -v2
	v_fmac_f32_e32 v159, v152, v227
	v_add_f32_e32 v1, v1, v2
	v_mul_f32_e32 v2, v144, v220
	v_add_f32_e32 v6, v6, v159
	s_waitcnt vmcnt(27)
	v_mul_f32_e32 v159, v153, v229
	v_fma_f32 v2, v143, v219, -v2
	s_waitcnt vmcnt(24)
	v_fmac_f32_e32 v159, v154, v232
	v_add_f32_e32 v1, v1, v2
	v_mul_f32_e32 v2, v146, v222
	v_add_f32_e32 v6, v6, v159
	s_waitcnt lgkmcnt(0)
	v_mul_f32_e32 v159, v155, v231
	v_fma_f32 v2, v145, v221, -v2
	v_fmac_f32_e32 v159, v156, v230
	v_add_f32_e32 v1, v1, v2
	v_mul_f32_e32 v2, v148, v224
	v_add_f32_e32 v6, v6, v159
	ds_read2_b64 v[159:162], v102 offset0:89 offset1:90
	v_fma_f32 v2, v147, v223, -v2
	v_add_f32_e32 v1, v1, v2
	v_mul_f32_e32 v2, v150, v226
	s_waitcnt vmcnt(22)
	v_mul_f32_e32 v163, v157, v234
	v_fma_f32 v2, v149, v225, -v2
	v_fmac_f32_e32 v163, v158, v233
	v_add_f32_e32 v1, v1, v2
	v_mul_f32_e32 v2, v152, v228
	v_add_f32_e32 v6, v6, v163
	ds_read2_b64 v[163:166], v102 offset0:91 offset1:92
	v_fma_f32 v2, v151, v227, -v2
	s_waitcnt vmcnt(20) lgkmcnt(1)
	v_mul_f32_e32 v167, v159, v236
	v_add_f32_e32 v1, v1, v2
	v_mul_f32_e32 v2, v154, v229
	v_fmac_f32_e32 v167, v160, v235
	v_fma_f32 v2, v153, v232, -v2
	v_add_f32_e32 v6, v6, v167
	s_waitcnt vmcnt(19)
	v_mul_f32_e32 v167, v161, v237
	v_add_f32_e32 v1, v1, v2
	v_mul_f32_e32 v2, v156, v231
	s_waitcnt vmcnt(16)
	v_fmac_f32_e32 v167, v162, v240
	v_fma_f32 v2, v155, v230, -v2
	v_add_f32_e32 v6, v6, v167
	s_waitcnt lgkmcnt(0)
	v_mul_f32_e32 v167, v163, v239
	v_add_f32_e32 v1, v1, v2
	v_mul_f32_e32 v2, v158, v234
	v_fmac_f32_e32 v167, v164, v238
	v_fma_f32 v2, v157, v233, -v2
	v_add_f32_e32 v6, v6, v167
	ds_read2_b64 v[167:170], v102 offset0:93 offset1:94
	v_add_f32_e32 v1, v1, v2
	v_mul_f32_e32 v2, v160, v236
	v_fma_f32 v2, v159, v235, -v2
	s_waitcnt vmcnt(14)
	v_mul_f32_e32 v171, v165, v242
	v_add_f32_e32 v1, v1, v2
	v_mul_f32_e32 v2, v162, v237
	v_fmac_f32_e32 v171, v166, v241
	v_fma_f32 v2, v161, v240, -v2
	v_add_f32_e32 v6, v6, v171
	ds_read2_b64 v[171:174], v102 offset0:95 offset1:96
	v_add_f32_e32 v1, v1, v2
	v_mul_f32_e32 v2, v164, v239
	s_waitcnt vmcnt(12) lgkmcnt(1)
	v_mul_f32_e32 v175, v167, v244
	v_fma_f32 v2, v163, v238, -v2
	v_fmac_f32_e32 v175, v168, v243
	v_add_f32_e32 v1, v1, v2
	v_mul_f32_e32 v2, v166, v242
	v_add_f32_e32 v6, v6, v175
	s_waitcnt vmcnt(11)
	v_mul_f32_e32 v175, v169, v245
	v_fma_f32 v2, v165, v241, -v2
	s_waitcnt vmcnt(8)
	v_fmac_f32_e32 v175, v170, v248
	v_add_f32_e32 v1, v1, v2
	v_mul_f32_e32 v2, v168, v244
	v_add_f32_e32 v6, v6, v175
	s_waitcnt lgkmcnt(0)
	v_mul_f32_e32 v175, v171, v247
	v_fma_f32 v2, v167, v243, -v2
	v_fmac_f32_e32 v175, v172, v246
	v_add_f32_e32 v1, v1, v2
	v_mul_f32_e32 v2, v170, v245
	v_add_f32_e32 v6, v6, v175
	ds_read2_b64 v[175:178], v102 offset0:97 offset1:98
	v_fma_f32 v2, v169, v248, -v2
	v_add_f32_e32 v1, v1, v2
	v_mul_f32_e32 v2, v172, v247
	s_waitcnt vmcnt(6)
	v_mul_f32_e32 v179, v173, v250
	v_fma_f32 v2, v171, v246, -v2
	v_fmac_f32_e32 v179, v174, v249
	v_add_f32_e32 v1, v1, v2
	v_mul_f32_e32 v2, v174, v250
	v_add_f32_e32 v6, v6, v179
	ds_read_b64 v[179:180], v102 offset:792
	v_fma_f32 v2, v173, v249, -v2
	v_add_f32_e32 v1, v1, v2
	s_waitcnt vmcnt(4) lgkmcnt(1)
	v_mul_f32_e32 v2, v176, v252
	v_mul_f32_e32 v7, v175, v252
	v_fma_f32 v2, v175, v251, -v2
	v_fmac_f32_e32 v7, v176, v251
	v_add_f32_e32 v1, v1, v2
	s_waitcnt vmcnt(3)
	v_mul_f32_e32 v2, v178, v253
	v_add_f32_e32 v6, v6, v7
	v_mul_f32_e32 v7, v177, v253
	s_waitcnt vmcnt(0)
	v_fma_f32 v2, v177, v5, -v2
	v_fmac_f32_e32 v7, v178, v5
	v_add_f32_e32 v1, v1, v2
	s_waitcnt lgkmcnt(0)
	v_mul_f32_e32 v2, v180, v255
	v_add_f32_e32 v6, v6, v7
	v_mul_f32_e32 v7, v179, v255
	v_fma_f32 v2, v179, v254, -v2
	v_fmac_f32_e32 v7, v180, v254
	v_add_f32_e32 v1, v1, v2
	v_add_f32_e32 v6, v6, v7
	v_sub_f32_e32 v1, v207, v1
	v_sub_f32_e32 v2, v208, v6
	buffer_store_dword v1, off, s[0:3], 0 offset:80
	buffer_store_dword v2, off, s[0:3], 0 offset:84
	s_and_saveexec_b64 s[4:5], vcc
	s_cbranch_execz .LBB49_295
; %bb.294:
	buffer_load_dword v103, off, s[0:3], 0 offset:72
	buffer_load_dword v104, off, s[0:3], 0 offset:76
	s_waitcnt vmcnt(0)
	ds_write_b64 v101, v[103:104]
	buffer_store_dword v102, off, s[0:3], 0 offset:72
	buffer_store_dword v102, off, s[0:3], 0 offset:76
.LBB49_295:
	s_or_b64 exec, exec, s[4:5]
	s_waitcnt lgkmcnt(0)
	; wave barrier
	buffer_load_dword v1, off, s[0:3], 0 offset:84
	buffer_load_dword v2, off, s[0:3], 0 offset:92
	;; [unrolled: 1-line block ×32, first 2 shown]
	ds_read_b128 v[103:106], v102 offset:480
	ds_read_b128 v[107:110], v102 offset:496
	;; [unrolled: 1-line block ×6, first 2 shown]
	buffer_load_dword v207, off, s[0:3], 0 offset:200
	buffer_load_dword v208, off, s[0:3], 0 offset:204
	;; [unrolled: 1-line block ×26, first 2 shown]
	v_cmp_lt_u32_e32 vcc, 8, v0
	s_waitcnt vmcnt(57) lgkmcnt(5)
	v_mul_f32_e32 v127, v103, v1
	s_waitcnt vmcnt(56)
	v_mul_f32_e32 v128, v105, v2
	s_waitcnt vmcnt(55) lgkmcnt(4)
	v_mul_f32_e32 v129, v107, v3
	s_waitcnt vmcnt(54)
	v_mul_f32_e32 v130, v109, v4
	s_waitcnt vmcnt(53) lgkmcnt(3)
	v_mul_f32_e32 v131, v111, v5
	s_waitcnt vmcnt(52)
	v_mul_f32_e32 v132, v113, v6
	s_waitcnt vmcnt(51) lgkmcnt(2)
	v_mul_f32_e32 v133, v115, v7
	s_waitcnt vmcnt(50)
	v_mul_f32_e32 v134, v117, v8
	s_waitcnt vmcnt(49) lgkmcnt(1)
	v_mul_f32_e32 v135, v119, v183
	s_waitcnt vmcnt(48)
	v_mul_f32_e32 v136, v121, v184
	s_waitcnt vmcnt(47) lgkmcnt(0)
	v_mul_f32_e32 v137, v123, v185
	s_waitcnt vmcnt(46)
	v_fmac_f32_e32 v129, v108, v186
	s_waitcnt vmcnt(45)
	v_fmac_f32_e32 v128, v106, v187
	;; [unrolled: 2-line block ×3, first 2 shown]
	v_add_f32_e32 v127, 0, v127
	v_add_f32_e32 v127, v127, v128
	;; [unrolled: 1-line block ×3, first 2 shown]
	s_waitcnt vmcnt(40)
	v_fmac_f32_e32 v130, v110, v192
	v_fmac_f32_e32 v131, v112, v191
	v_add_f32_e32 v127, v127, v130
	v_fmac_f32_e32 v132, v114, v190
	v_add_f32_e32 v127, v127, v131
	;; [unrolled: 2-line block ×3, first 2 shown]
	s_waitcnt vmcnt(36)
	v_fmac_f32_e32 v134, v118, v196
	v_add_f32_e32 v127, v127, v133
	v_fmac_f32_e32 v135, v120, v195
	v_add_f32_e32 v127, v127, v134
	;; [unrolled: 2-line block ×4, first 2 shown]
	v_add_f32_e32 v131, v127, v137
	ds_read_b128 v[127:130], v102 offset:576
	buffer_load_dword v233, off, s[0:3], 0 offset:304
	buffer_load_dword v234, off, s[0:3], 0 offset:308
	;; [unrolled: 1-line block ×6, first 2 shown]
	s_waitcnt vmcnt(41)
	v_mul_f32_e32 v132, v125, v197
	s_waitcnt vmcnt(35)
	v_fmac_f32_e32 v132, v126, v203
	v_add_f32_e32 v135, v131, v132
	ds_read_b128 v[131:134], v102 offset:592
	buffer_load_dword v239, off, s[0:3], 0 offset:328
	buffer_load_dword v240, off, s[0:3], 0 offset:332
	;; [unrolled: 1-line block ×10, first 2 shown]
	s_waitcnt vmcnt(44) lgkmcnt(1)
	v_mul_f32_e32 v136, v127, v204
	v_fmac_f32_e32 v136, v128, v202
	v_add_f32_e32 v135, v135, v136
	v_mul_f32_e32 v136, v129, v199
	v_fmac_f32_e32 v136, v130, v198
	v_add_f32_e32 v135, v135, v136
	s_waitcnt lgkmcnt(0)
	v_mul_f32_e32 v136, v131, v201
	buffer_load_dword v249, off, s[0:3], 0 offset:368
	buffer_load_dword v250, off, s[0:3], 0 offset:372
	;; [unrolled: 1-line block ×6, first 2 shown]
	v_fmac_f32_e32 v136, v132, v200
	s_waitcnt vmcnt(46)
	v_mul_f32_e32 v140, v133, v208
	v_add_f32_e32 v139, v135, v136
	v_fmac_f32_e32 v140, v134, v207
	ds_read_b128 v[135:138], v102 offset:608
	v_add_f32_e32 v143, v139, v140
	ds_read_b128 v[139:142], v102 offset:624
	buffer_load_dword v255, off, s[0:3], 0 offset:392
	buffer_load_dword v9, off, s[0:3], 0 offset:396
	v_mul_f32_e32 v1, v104, v1
	v_fma_f32 v1, v103, v188, -v1
	v_mul_f32_e32 v2, v106, v2
	v_add_f32_e32 v1, 0, v1
	v_fma_f32 v2, v105, v187, -v2
	v_add_f32_e32 v1, v1, v2
	v_mul_f32_e32 v2, v108, v3
	v_fma_f32 v2, v107, v186, -v2
	v_add_f32_e32 v1, v1, v2
	v_mul_f32_e32 v2, v110, v4
	v_fma_f32 v2, v109, v192, -v2
	v_add_f32_e32 v1, v1, v2
	v_mul_f32_e32 v2, v112, v5
	v_fma_f32 v2, v111, v191, -v2
	v_add_f32_e32 v1, v1, v2
	v_mul_f32_e32 v2, v114, v6
	v_fma_f32 v2, v113, v190, -v2
	v_add_f32_e32 v1, v1, v2
	v_mul_f32_e32 v2, v116, v7
	v_fma_f32 v2, v115, v189, -v2
	v_add_f32_e32 v1, v1, v2
	v_mul_f32_e32 v2, v118, v8
	v_fma_f32 v2, v117, v196, -v2
	v_add_f32_e32 v1, v1, v2
	v_mul_f32_e32 v2, v120, v183
	s_waitcnt vmcnt(46) lgkmcnt(1)
	v_mul_f32_e32 v10, v135, v210
	v_fma_f32 v2, v119, v195, -v2
	v_fmac_f32_e32 v10, v136, v209
	v_add_f32_e32 v1, v1, v2
	v_mul_f32_e32 v2, v122, v184
	v_add_f32_e32 v10, v143, v10
	s_waitcnt vmcnt(44)
	v_mul_f32_e32 v143, v137, v212
	v_fma_f32 v2, v121, v194, -v2
	v_fmac_f32_e32 v143, v138, v211
	v_add_f32_e32 v1, v1, v2
	v_mul_f32_e32 v2, v124, v185
	v_add_f32_e32 v10, v10, v143
	s_waitcnt vmcnt(42) lgkmcnt(0)
	v_mul_f32_e32 v143, v139, v214
	v_fma_f32 v2, v123, v193, -v2
	v_fmac_f32_e32 v143, v140, v213
	v_add_f32_e32 v1, v1, v2
	v_mul_f32_e32 v2, v126, v197
	v_add_f32_e32 v10, v10, v143
	ds_read_b128 v[143:146], v102 offset:640
	v_fma_f32 v2, v125, v203, -v2
	v_add_f32_e32 v1, v1, v2
	v_mul_f32_e32 v2, v128, v204
	s_waitcnt vmcnt(40)
	v_mul_f32_e32 v147, v141, v216
	v_fma_f32 v2, v127, v202, -v2
	v_fmac_f32_e32 v147, v142, v215
	v_add_f32_e32 v1, v1, v2
	v_mul_f32_e32 v2, v130, v199
	v_add_f32_e32 v10, v10, v147
	ds_read_b128 v[147:150], v102 offset:656
	v_fma_f32 v2, v129, v198, -v2
	s_waitcnt vmcnt(38) lgkmcnt(1)
	v_mul_f32_e32 v151, v143, v218
	v_add_f32_e32 v1, v1, v2
	v_mul_f32_e32 v2, v132, v201
	v_fmac_f32_e32 v151, v144, v217
	v_fma_f32 v2, v131, v200, -v2
	v_add_f32_e32 v10, v10, v151
	s_waitcnt vmcnt(36)
	v_mul_f32_e32 v151, v145, v220
	v_add_f32_e32 v1, v1, v2
	v_mul_f32_e32 v2, v134, v208
	v_fmac_f32_e32 v151, v146, v219
	v_fma_f32 v2, v133, v207, -v2
	v_add_f32_e32 v10, v10, v151
	s_waitcnt vmcnt(34) lgkmcnt(0)
	v_mul_f32_e32 v151, v147, v222
	v_add_f32_e32 v1, v1, v2
	v_mul_f32_e32 v2, v136, v210
	v_fmac_f32_e32 v151, v148, v221
	v_fma_f32 v2, v135, v209, -v2
	v_add_f32_e32 v10, v10, v151
	ds_read_b128 v[151:154], v102 offset:672
	v_add_f32_e32 v1, v1, v2
	v_mul_f32_e32 v2, v138, v212
	v_fma_f32 v2, v137, v211, -v2
	s_waitcnt vmcnt(32)
	v_mul_f32_e32 v155, v149, v224
	v_add_f32_e32 v1, v1, v2
	v_mul_f32_e32 v2, v140, v214
	v_fmac_f32_e32 v155, v150, v223
	v_fma_f32 v2, v139, v213, -v2
	v_add_f32_e32 v10, v10, v155
	ds_read_b128 v[155:158], v102 offset:688
	v_add_f32_e32 v1, v1, v2
	v_mul_f32_e32 v2, v142, v216
	s_waitcnt vmcnt(30) lgkmcnt(1)
	v_mul_f32_e32 v159, v151, v226
	v_fma_f32 v2, v141, v215, -v2
	v_fmac_f32_e32 v159, v152, v225
	v_add_f32_e32 v1, v1, v2
	v_mul_f32_e32 v2, v144, v218
	v_add_f32_e32 v10, v10, v159
	s_waitcnt vmcnt(29)
	v_mul_f32_e32 v159, v153, v227
	v_fma_f32 v2, v143, v217, -v2
	s_waitcnt vmcnt(26)
	v_fmac_f32_e32 v159, v154, v230
	v_add_f32_e32 v1, v1, v2
	v_mul_f32_e32 v2, v146, v220
	v_add_f32_e32 v10, v10, v159
	s_waitcnt lgkmcnt(0)
	v_mul_f32_e32 v159, v155, v229
	v_fma_f32 v2, v145, v219, -v2
	v_fmac_f32_e32 v159, v156, v228
	v_add_f32_e32 v1, v1, v2
	v_mul_f32_e32 v2, v148, v222
	v_add_f32_e32 v10, v10, v159
	ds_read_b128 v[159:162], v102 offset:704
	v_fma_f32 v2, v147, v221, -v2
	v_add_f32_e32 v1, v1, v2
	v_mul_f32_e32 v2, v150, v224
	s_waitcnt vmcnt(24)
	v_mul_f32_e32 v163, v157, v232
	v_fma_f32 v2, v149, v223, -v2
	v_fmac_f32_e32 v163, v158, v231
	v_add_f32_e32 v1, v1, v2
	v_mul_f32_e32 v2, v152, v226
	v_add_f32_e32 v10, v10, v163
	ds_read_b128 v[163:166], v102 offset:720
	v_fma_f32 v2, v151, v225, -v2
	s_waitcnt vmcnt(22) lgkmcnt(1)
	v_mul_f32_e32 v167, v159, v234
	v_add_f32_e32 v1, v1, v2
	v_mul_f32_e32 v2, v154, v227
	v_fmac_f32_e32 v167, v160, v233
	v_fma_f32 v2, v153, v230, -v2
	v_add_f32_e32 v10, v10, v167
	s_waitcnt vmcnt(21)
	v_mul_f32_e32 v167, v161, v235
	v_add_f32_e32 v1, v1, v2
	v_mul_f32_e32 v2, v156, v229
	s_waitcnt vmcnt(18)
	v_fmac_f32_e32 v167, v162, v238
	v_fma_f32 v2, v155, v228, -v2
	v_add_f32_e32 v10, v10, v167
	s_waitcnt lgkmcnt(0)
	v_mul_f32_e32 v167, v163, v237
	v_add_f32_e32 v1, v1, v2
	v_mul_f32_e32 v2, v158, v232
	v_fmac_f32_e32 v167, v164, v236
	v_fma_f32 v2, v157, v231, -v2
	v_add_f32_e32 v10, v10, v167
	ds_read_b128 v[167:170], v102 offset:736
	v_add_f32_e32 v1, v1, v2
	v_mul_f32_e32 v2, v160, v234
	v_fma_f32 v2, v159, v233, -v2
	s_waitcnt vmcnt(16)
	v_mul_f32_e32 v171, v165, v240
	v_add_f32_e32 v1, v1, v2
	v_mul_f32_e32 v2, v162, v235
	v_fmac_f32_e32 v171, v166, v239
	v_fma_f32 v2, v161, v238, -v2
	v_add_f32_e32 v10, v10, v171
	ds_read_b128 v[171:174], v102 offset:752
	v_add_f32_e32 v1, v1, v2
	v_mul_f32_e32 v2, v164, v237
	s_waitcnt vmcnt(14) lgkmcnt(1)
	v_mul_f32_e32 v175, v167, v242
	v_fma_f32 v2, v163, v236, -v2
	v_fmac_f32_e32 v175, v168, v241
	v_add_f32_e32 v1, v1, v2
	v_mul_f32_e32 v2, v166, v240
	v_add_f32_e32 v10, v10, v175
	s_waitcnt vmcnt(13)
	v_mul_f32_e32 v175, v169, v243
	v_fma_f32 v2, v165, v239, -v2
	s_waitcnt vmcnt(10)
	v_fmac_f32_e32 v175, v170, v246
	v_add_f32_e32 v1, v1, v2
	v_mul_f32_e32 v2, v168, v242
	v_add_f32_e32 v10, v10, v175
	s_waitcnt lgkmcnt(0)
	v_mul_f32_e32 v175, v171, v245
	v_fma_f32 v2, v167, v241, -v2
	v_fmac_f32_e32 v175, v172, v244
	v_add_f32_e32 v1, v1, v2
	v_mul_f32_e32 v2, v170, v243
	v_add_f32_e32 v10, v10, v175
	ds_read_b128 v[175:178], v102 offset:768
	v_fma_f32 v2, v169, v246, -v2
	v_add_f32_e32 v1, v1, v2
	v_mul_f32_e32 v2, v172, v245
	s_waitcnt vmcnt(8)
	v_mul_f32_e32 v179, v173, v248
	v_fma_f32 v2, v171, v244, -v2
	v_fmac_f32_e32 v179, v174, v247
	v_add_f32_e32 v1, v1, v2
	v_mul_f32_e32 v2, v174, v248
	v_add_f32_e32 v10, v10, v179
	ds_read_b128 v[179:182], v102 offset:784
	v_fma_f32 v2, v173, v247, -v2
	v_add_f32_e32 v1, v1, v2
	s_waitcnt vmcnt(6) lgkmcnt(1)
	v_mul_f32_e32 v2, v176, v250
	v_mul_f32_e32 v102, v175, v250
	v_fma_f32 v2, v175, v249, -v2
	v_fmac_f32_e32 v102, v176, v249
	v_add_f32_e32 v1, v1, v2
	s_waitcnt vmcnt(5)
	v_mul_f32_e32 v2, v178, v251
	v_add_f32_e32 v10, v10, v102
	v_mul_f32_e32 v102, v177, v251
	s_waitcnt vmcnt(2)
	v_fma_f32 v2, v177, v254, -v2
	v_fmac_f32_e32 v102, v178, v254
	v_add_f32_e32 v1, v1, v2
	s_waitcnt lgkmcnt(0)
	v_mul_f32_e32 v2, v180, v253
	v_add_f32_e32 v10, v10, v102
	v_mul_f32_e32 v102, v179, v253
	v_fma_f32 v2, v179, v252, -v2
	v_fmac_f32_e32 v102, v180, v252
	v_add_f32_e32 v1, v1, v2
	s_waitcnt vmcnt(0)
	v_mul_f32_e32 v2, v182, v9
	v_add_f32_e32 v10, v10, v102
	v_mul_f32_e32 v102, v181, v9
	v_fma_f32 v2, v181, v255, -v2
	v_fmac_f32_e32 v102, v182, v255
	v_add_f32_e32 v1, v1, v2
	v_add_f32_e32 v10, v10, v102
	v_sub_f32_e32 v1, v205, v1
	v_sub_f32_e32 v2, v206, v10
	buffer_store_dword v1, off, s[0:3], 0 offset:72
	buffer_store_dword v2, off, s[0:3], 0 offset:76
	s_and_saveexec_b64 s[4:5], vcc
	s_cbranch_execz .LBB49_297
; %bb.296:
	buffer_load_dword v102, off, s[0:3], 0 offset:64
	buffer_load_dword v103, off, s[0:3], 0 offset:68
	v_mov_b32_e32 v1, 0
	buffer_store_dword v1, off, s[0:3], 0 offset:64
	buffer_store_dword v1, off, s[0:3], 0 offset:68
	s_waitcnt vmcnt(2)
	ds_write_b64 v101, v[102:103]
.LBB49_297:
	s_or_b64 exec, exec, s[4:5]
	s_waitcnt lgkmcnt(0)
	; wave barrier
	buffer_load_dword v111, off, s[0:3], 0 offset:76
	buffer_load_dword v110, off, s[0:3], 0 offset:84
	;; [unrolled: 1-line block ×50, first 2 shown]
	v_mov_b32_e32 v102, 0
	ds_read2_b64 v[112:115], v102 offset0:59 offset1:60
	ds_read2_b64 v[116:119], v102 offset0:61 offset1:62
	;; [unrolled: 1-line block ×6, first 2 shown]
	buffer_load_dword v225, off, s[0:3], 0 offset:264
	buffer_load_dword v226, off, s[0:3], 0 offset:268
	buffer_load_dword v227, off, s[0:3], 0 offset:276
	buffer_load_dword v228, off, s[0:3], 0 offset:280
	buffer_load_dword v229, off, s[0:3], 0 offset:284
	buffer_load_dword v230, off, s[0:3], 0 offset:272
	v_cmp_lt_u32_e32 vcc, 7, v0
	s_waitcnt vmcnt(55) lgkmcnt(5)
	v_mul_f32_e32 v136, v112, v111
	s_waitcnt vmcnt(54)
	v_mul_f32_e32 v137, v114, v110
	s_waitcnt vmcnt(53) lgkmcnt(4)
	v_mul_f32_e32 v138, v116, v109
	s_waitcnt vmcnt(52)
	v_mul_f32_e32 v139, v118, v108
	;; [unrolled: 4-line block ×5, first 2 shown]
	s_waitcnt vmcnt(45) lgkmcnt(0)
	v_mul_f32_e32 v146, v132, v4
	s_waitcnt vmcnt(44)
	v_fmac_f32_e32 v138, v117, v5
	s_waitcnt vmcnt(43)
	v_fmac_f32_e32 v137, v115, v6
	s_waitcnt vmcnt(42)
	v_fmac_f32_e32 v136, v113, v7
	v_add_f32_e32 v136, 0, v136
	v_add_f32_e32 v136, v136, v137
	;; [unrolled: 1-line block ×3, first 2 shown]
	s_waitcnt vmcnt(38)
	v_fmac_f32_e32 v139, v119, v194
	v_fmac_f32_e32 v140, v121, v10
	v_add_f32_e32 v136, v136, v139
	v_fmac_f32_e32 v141, v123, v9
	v_add_f32_e32 v136, v136, v140
	;; [unrolled: 2-line block ×3, first 2 shown]
	s_waitcnt vmcnt(34)
	v_fmac_f32_e32 v143, v127, v198
	v_add_f32_e32 v136, v136, v142
	v_fmac_f32_e32 v144, v129, v197
	v_add_f32_e32 v136, v136, v143
	;; [unrolled: 2-line block ×4, first 2 shown]
	v_add_f32_e32 v140, v136, v146
	ds_read2_b64 v[136:139], v102 offset0:71 offset1:72
	buffer_load_dword v231, off, s[0:3], 0 offset:288
	buffer_load_dword v232, off, s[0:3], 0 offset:292
	s_waitcnt vmcnt(35)
	v_mul_f32_e32 v141, v134, v199
	s_waitcnt vmcnt(29)
	v_fmac_f32_e32 v141, v135, v205
	v_add_f32_e32 v144, v140, v141
	ds_read2_b64 v[140:143], v102 offset0:73 offset1:74
	buffer_load_dword v233, off, s[0:3], 0 offset:296
	buffer_load_dword v234, off, s[0:3], 0 offset:300
	;; [unrolled: 1-line block ×14, first 2 shown]
	s_waitcnt vmcnt(42) lgkmcnt(1)
	v_mul_f32_e32 v145, v136, v206
	v_fmac_f32_e32 v145, v137, v204
	buffer_load_dword v247, off, s[0:3], 0 offset:352
	buffer_load_dword v248, off, s[0:3], 0 offset:356
	v_add_f32_e32 v144, v144, v145
	v_mul_f32_e32 v145, v138, v201
	v_fmac_f32_e32 v145, v139, v200
	v_add_f32_e32 v144, v144, v145
	s_waitcnt lgkmcnt(0)
	v_mul_f32_e32 v145, v140, v203
	v_fmac_f32_e32 v145, v141, v202
	v_add_f32_e32 v148, v144, v145
	ds_read2_b64 v[144:147], v102 offset0:75 offset1:76
	buffer_load_dword v249, off, s[0:3], 0 offset:360
	buffer_load_dword v250, off, s[0:3], 0 offset:364
	;; [unrolled: 1-line block ×6, first 2 shown]
	s_waitcnt vmcnt(46)
	v_mul_f32_e32 v149, v142, v208
	v_fmac_f32_e32 v149, v143, v207
	v_add_f32_e32 v152, v148, v149
	ds_read2_b64 v[148:151], v102 offset0:77 offset1:78
	buffer_load_dword v255, off, s[0:3], 0 offset:388
	buffer_load_dword v11, off, s[0:3], 0 offset:392
	;; [unrolled: 1-line block ×4, first 2 shown]
	s_waitcnt vmcnt(48) lgkmcnt(1)
	v_mul_f32_e32 v153, v144, v210
	v_fmac_f32_e32 v153, v145, v209
	v_add_f32_e32 v14, v152, v153
	s_waitcnt vmcnt(46)
	v_mul_f32_e32 v152, v146, v212
	v_fmac_f32_e32 v152, v147, v211
	v_add_f32_e32 v14, v14, v152
	s_waitcnt vmcnt(44) lgkmcnt(0)
	v_mul_f32_e32 v152, v148, v214
	v_fmac_f32_e32 v152, v149, v213
	v_add_f32_e32 v14, v14, v152
	ds_read2_b64 v[152:155], v102 offset0:79 offset1:80
	s_waitcnt vmcnt(42)
	v_mul_f32_e32 v156, v150, v216
	v_fmac_f32_e32 v156, v151, v215
	v_add_f32_e32 v14, v14, v156
	ds_read2_b64 v[156:159], v102 offset0:81 offset1:82
	s_waitcnt vmcnt(40) lgkmcnt(1)
	v_mul_f32_e32 v160, v152, v218
	v_fmac_f32_e32 v160, v153, v217
	v_add_f32_e32 v14, v14, v160
	s_waitcnt vmcnt(38)
	v_mul_f32_e32 v160, v154, v220
	v_fmac_f32_e32 v160, v155, v219
	v_add_f32_e32 v14, v14, v160
	s_waitcnt vmcnt(36) lgkmcnt(0)
	v_mul_f32_e32 v160, v156, v222
	v_fmac_f32_e32 v160, v157, v221
	v_add_f32_e32 v14, v14, v160
	ds_read2_b64 v[160:163], v102 offset0:83 offset1:84
	s_waitcnt vmcnt(34)
	v_mul_f32_e32 v164, v158, v224
	v_fmac_f32_e32 v164, v159, v223
	v_add_f32_e32 v14, v14, v164
	ds_read2_b64 v[164:167], v102 offset0:85 offset1:86
	s_waitcnt vmcnt(32) lgkmcnt(1)
	v_mul_f32_e32 v168, v160, v226
	v_fmac_f32_e32 v168, v161, v225
	v_add_f32_e32 v14, v14, v168
	s_waitcnt vmcnt(31)
	v_mul_f32_e32 v168, v162, v227
	s_waitcnt vmcnt(28)
	v_fmac_f32_e32 v168, v163, v230
	v_add_f32_e32 v14, v14, v168
	s_waitcnt lgkmcnt(0)
	v_mul_f32_e32 v168, v164, v229
	v_fmac_f32_e32 v168, v165, v228
	v_add_f32_e32 v14, v14, v168
	ds_read2_b64 v[168:171], v102 offset0:87 offset1:88
	v_mul_f32_e32 v1, v127, v1
	v_fma_f32 v1, v126, v198, -v1
	v_mul_f32_e32 v2, v129, v2
	v_fma_f32 v2, v128, v197, -v2
	s_waitcnt vmcnt(26)
	v_mul_f32_e32 v172, v166, v232
	v_fmac_f32_e32 v172, v167, v231
	v_add_f32_e32 v14, v14, v172
	ds_read2_b64 v[172:175], v102 offset0:89 offset1:90
	s_waitcnt vmcnt(24) lgkmcnt(1)
	v_mul_f32_e32 v176, v168, v234
	v_fmac_f32_e32 v176, v169, v233
	v_add_f32_e32 v14, v14, v176
	s_waitcnt vmcnt(23)
	v_mul_f32_e32 v176, v170, v235
	s_waitcnt vmcnt(20)
	v_fmac_f32_e32 v176, v171, v238
	v_add_f32_e32 v14, v14, v176
	s_waitcnt lgkmcnt(0)
	v_mul_f32_e32 v176, v172, v237
	v_fmac_f32_e32 v176, v173, v236
	v_add_f32_e32 v14, v14, v176
	ds_read2_b64 v[176:179], v102 offset0:91 offset1:92
	s_waitcnt vmcnt(18)
	v_mul_f32_e32 v180, v174, v240
	v_fmac_f32_e32 v180, v175, v239
	v_add_f32_e32 v14, v14, v180
	ds_read2_b64 v[180:183], v102 offset0:93 offset1:94
	s_waitcnt vmcnt(16) lgkmcnt(1)
	v_mul_f32_e32 v184, v176, v242
	v_fmac_f32_e32 v184, v177, v241
	v_add_f32_e32 v14, v14, v184
	s_waitcnt vmcnt(15)
	v_mul_f32_e32 v184, v178, v243
	s_waitcnt vmcnt(12)
	v_fmac_f32_e32 v184, v179, v246
	v_add_f32_e32 v14, v14, v184
	s_waitcnt lgkmcnt(0)
	v_mul_f32_e32 v184, v180, v245
	v_fmac_f32_e32 v184, v181, v244
	v_add_f32_e32 v14, v14, v184
	ds_read2_b64 v[184:187], v102 offset0:95 offset1:96
	s_waitcnt vmcnt(10)
	v_mul_f32_e32 v188, v182, v248
	v_fmac_f32_e32 v188, v183, v247
	v_add_f32_e32 v14, v14, v188
	ds_read2_b64 v[188:191], v102 offset0:97 offset1:98
	s_waitcnt vmcnt(8) lgkmcnt(1)
	v_mul_f32_e32 v192, v184, v250
	v_fmac_f32_e32 v192, v185, v249
	v_add_f32_e32 v14, v14, v192
	s_waitcnt vmcnt(7)
	v_mul_f32_e32 v192, v186, v251
	s_waitcnt vmcnt(4)
	v_fmac_f32_e32 v192, v187, v254
	v_add_f32_e32 v14, v14, v192
	ds_read_b64 v[192:193], v102 offset:792
	s_waitcnt lgkmcnt(1)
	v_mul_f32_e32 v15, v188, v253
	v_fmac_f32_e32 v15, v189, v252
	v_add_f32_e32 v14, v14, v15
	s_waitcnt vmcnt(3)
	v_mul_f32_e32 v15, v190, v255
	s_waitcnt vmcnt(0)
	v_fmac_f32_e32 v15, v191, v13
	v_add_f32_e32 v14, v14, v15
	s_waitcnt lgkmcnt(0)
	v_mul_f32_e32 v15, v192, v12
	v_fmac_f32_e32 v15, v193, v11
	v_add_f32_e32 v14, v14, v15
	v_mul_f32_e32 v15, v113, v111
	v_fma_f32 v7, v112, v7, -v15
	v_mul_f32_e32 v15, v115, v110
	v_add_f32_e32 v7, 0, v7
	v_fma_f32 v6, v114, v6, -v15
	v_add_f32_e32 v6, v7, v6
	v_mul_f32_e32 v7, v117, v109
	v_fma_f32 v5, v116, v5, -v7
	v_add_f32_e32 v5, v6, v5
	v_mul_f32_e32 v6, v119, v108
	;; [unrolled: 3-line block ×5, first 2 shown]
	v_fma_f32 v6, v124, v8, -v6
	v_add_f32_e32 v5, v5, v6
	v_add_f32_e32 v1, v5, v1
	;; [unrolled: 1-line block ×3, first 2 shown]
	v_mul_f32_e32 v2, v131, v3
	v_fma_f32 v2, v130, v196, -v2
	v_add_f32_e32 v1, v1, v2
	v_mul_f32_e32 v2, v133, v4
	v_fma_f32 v2, v132, v195, -v2
	v_add_f32_e32 v1, v1, v2
	;; [unrolled: 3-line block ×32, first 2 shown]
	v_sub_f32_e32 v1, v105, v1
	v_sub_f32_e32 v2, v106, v14
	buffer_store_dword v1, off, s[0:3], 0 offset:64
	buffer_store_dword v2, off, s[0:3], 0 offset:68
	s_and_saveexec_b64 s[4:5], vcc
	s_cbranch_execz .LBB49_299
; %bb.298:
	buffer_load_dword v103, off, s[0:3], 0 offset:56
	buffer_load_dword v104, off, s[0:3], 0 offset:60
	s_waitcnt vmcnt(0)
	ds_write_b64 v101, v[103:104]
	buffer_store_dword v102, off, s[0:3], 0 offset:56
	buffer_store_dword v102, off, s[0:3], 0 offset:60
.LBB49_299:
	s_or_b64 exec, exec, s[4:5]
	s_waitcnt lgkmcnt(0)
	; wave barrier
	buffer_load_dword v1, off, s[0:3], 0 offset:68
	buffer_load_dword v2, off, s[0:3], 0 offset:76
	;; [unrolled: 1-line block ×32, first 2 shown]
	ds_read_b128 v[103:106], v102 offset:464
	ds_read_b128 v[107:110], v102 offset:480
	;; [unrolled: 1-line block ×6, first 2 shown]
	buffer_load_dword v203, off, s[0:3], 0 offset:184
	buffer_load_dword v204, off, s[0:3], 0 offset:188
	;; [unrolled: 1-line block ×18, first 2 shown]
	v_cmp_lt_u32_e32 vcc, 6, v0
	s_waitcnt vmcnt(49) lgkmcnt(5)
	v_mul_f32_e32 v127, v103, v1
	s_waitcnt vmcnt(48)
	v_mul_f32_e32 v128, v105, v2
	s_waitcnt vmcnt(47) lgkmcnt(4)
	v_mul_f32_e32 v129, v107, v3
	s_waitcnt vmcnt(46)
	v_mul_f32_e32 v130, v109, v4
	;; [unrolled: 4-line block ×6, first 2 shown]
	s_waitcnt vmcnt(37)
	v_fmac_f32_e32 v129, v108, v13
	s_waitcnt vmcnt(36)
	v_fmac_f32_e32 v128, v106, v14
	;; [unrolled: 2-line block ×3, first 2 shown]
	v_add_f32_e32 v127, 0, v127
	v_add_f32_e32 v127, v127, v128
	;; [unrolled: 1-line block ×3, first 2 shown]
	s_waitcnt vmcnt(31)
	v_fmac_f32_e32 v130, v110, v189
	v_fmac_f32_e32 v131, v112, v188
	v_add_f32_e32 v127, v127, v130
	v_fmac_f32_e32 v132, v114, v187
	v_add_f32_e32 v127, v127, v131
	;; [unrolled: 2-line block ×3, first 2 shown]
	s_waitcnt vmcnt(27)
	v_fmac_f32_e32 v134, v118, v193
	v_add_f32_e32 v127, v127, v133
	v_fmac_f32_e32 v135, v120, v192
	v_add_f32_e32 v127, v127, v134
	;; [unrolled: 2-line block ×3, first 2 shown]
	v_add_f32_e32 v131, v127, v136
	ds_read_b128 v[127:130], v102 offset:560
	buffer_load_dword v221, off, s[0:3], 0 offset:256
	buffer_load_dword v222, off, s[0:3], 0 offset:260
	;; [unrolled: 1-line block ×6, first 2 shown]
	v_fmac_f32_e32 v137, v124, v190
	s_waitcnt vmcnt(27)
	v_fmac_f32_e32 v138, v126, v199
	v_add_f32_e32 v131, v131, v137
	v_add_f32_e32 v135, v131, v138
	ds_read_b128 v[131:134], v102 offset:576
	buffer_load_dword v227, off, s[0:3], 0 offset:280
	buffer_load_dword v228, off, s[0:3], 0 offset:284
	;; [unrolled: 1-line block ×10, first 2 shown]
	s_waitcnt vmcnt(36) lgkmcnt(1)
	v_mul_f32_e32 v136, v127, v200
	buffer_load_dword v237, off, s[0:3], 0 offset:320
	buffer_load_dword v238, off, s[0:3], 0 offset:324
	;; [unrolled: 1-line block ×6, first 2 shown]
	v_fmac_f32_e32 v136, v128, v198
	v_add_f32_e32 v135, v135, v136
	v_mul_f32_e32 v136, v129, v195
	v_fmac_f32_e32 v136, v130, v194
	v_add_f32_e32 v135, v135, v136
	s_waitcnt lgkmcnt(0)
	v_mul_f32_e32 v136, v131, v197
	v_fmac_f32_e32 v136, v132, v196
	v_add_f32_e32 v139, v135, v136
	ds_read_b128 v[135:138], v102 offset:592
	buffer_load_dword v243, off, s[0:3], 0 offset:344
	buffer_load_dword v244, off, s[0:3], 0 offset:348
	s_waitcnt vmcnt(40)
	v_mul_f32_e32 v140, v133, v204
	v_fmac_f32_e32 v140, v134, v203
	v_add_f32_e32 v143, v139, v140
	ds_read_b128 v[139:142], v102 offset:608
	buffer_load_dword v245, off, s[0:3], 0 offset:352
	buffer_load_dword v246, off, s[0:3], 0 offset:356
	;; [unrolled: 1-line block ×12, first 2 shown]
	v_mul_f32_e32 v1, v104, v1
	v_fma_f32 v1, v103, v15, -v1
	v_mul_f32_e32 v2, v106, v2
	v_add_f32_e32 v1, 0, v1
	v_fma_f32 v2, v105, v14, -v2
	v_add_f32_e32 v1, v1, v2
	v_mul_f32_e32 v2, v108, v3
	v_fma_f32 v2, v107, v13, -v2
	v_add_f32_e32 v1, v1, v2
	v_mul_f32_e32 v2, v110, v4
	;; [unrolled: 3-line block ×6, first 2 shown]
	v_fma_f32 v2, v117, v193, -v2
	s_waitcnt vmcnt(50) lgkmcnt(1)
	v_mul_f32_e32 v144, v135, v206
	v_add_f32_e32 v1, v1, v2
	v_mul_f32_e32 v2, v120, v9
	v_fmac_f32_e32 v144, v136, v205
	v_fma_f32 v2, v119, v192, -v2
	v_add_f32_e32 v143, v143, v144
	s_waitcnt vmcnt(48)
	v_mul_f32_e32 v144, v137, v208
	v_add_f32_e32 v1, v1, v2
	v_mul_f32_e32 v2, v122, v10
	v_fmac_f32_e32 v144, v138, v207
	v_fma_f32 v2, v121, v191, -v2
	v_add_f32_e32 v18, v143, v144
	s_waitcnt vmcnt(46) lgkmcnt(0)
	v_mul_f32_e32 v143, v139, v210
	v_add_f32_e32 v1, v1, v2
	v_mul_f32_e32 v2, v124, v11
	v_fmac_f32_e32 v143, v140, v209
	v_fma_f32 v2, v123, v190, -v2
	v_add_f32_e32 v18, v18, v143
	ds_read_b128 v[143:146], v102 offset:624
	v_add_f32_e32 v1, v1, v2
	v_mul_f32_e32 v2, v126, v12
	v_fma_f32 v2, v125, v199, -v2
	s_waitcnt vmcnt(44)
	v_mul_f32_e32 v147, v141, v212
	v_add_f32_e32 v1, v1, v2
	v_mul_f32_e32 v2, v128, v200
	v_fmac_f32_e32 v147, v142, v211
	v_fma_f32 v2, v127, v198, -v2
	v_add_f32_e32 v18, v18, v147
	ds_read_b128 v[147:150], v102 offset:640
	v_add_f32_e32 v1, v1, v2
	v_mul_f32_e32 v2, v130, v195
	s_waitcnt vmcnt(42) lgkmcnt(1)
	v_mul_f32_e32 v151, v143, v214
	v_fma_f32 v2, v129, v194, -v2
	v_fmac_f32_e32 v151, v144, v213
	v_add_f32_e32 v1, v1, v2
	v_mul_f32_e32 v2, v132, v197
	v_add_f32_e32 v18, v18, v151
	s_waitcnt vmcnt(40)
	v_mul_f32_e32 v151, v145, v216
	v_fma_f32 v2, v131, v196, -v2
	v_fmac_f32_e32 v151, v146, v215
	v_add_f32_e32 v1, v1, v2
	v_mul_f32_e32 v2, v134, v204
	v_add_f32_e32 v18, v18, v151
	s_waitcnt vmcnt(38) lgkmcnt(0)
	v_mul_f32_e32 v151, v147, v218
	v_fma_f32 v2, v133, v203, -v2
	v_fmac_f32_e32 v151, v148, v217
	v_add_f32_e32 v1, v1, v2
	v_mul_f32_e32 v2, v136, v206
	v_add_f32_e32 v18, v18, v151
	ds_read_b128 v[151:154], v102 offset:656
	v_fma_f32 v2, v135, v205, -v2
	v_add_f32_e32 v1, v1, v2
	v_mul_f32_e32 v2, v138, v208
	s_waitcnt vmcnt(36)
	v_mul_f32_e32 v155, v149, v220
	v_fma_f32 v2, v137, v207, -v2
	v_fmac_f32_e32 v155, v150, v219
	v_add_f32_e32 v1, v1, v2
	v_mul_f32_e32 v2, v140, v210
	v_add_f32_e32 v18, v18, v155
	ds_read_b128 v[155:158], v102 offset:672
	v_fma_f32 v2, v139, v209, -v2
	s_waitcnt vmcnt(34) lgkmcnt(1)
	v_mul_f32_e32 v159, v151, v222
	v_add_f32_e32 v1, v1, v2
	v_mul_f32_e32 v2, v142, v212
	v_fmac_f32_e32 v159, v152, v221
	v_fma_f32 v2, v141, v211, -v2
	v_add_f32_e32 v18, v18, v159
	s_waitcnt vmcnt(33)
	v_mul_f32_e32 v159, v153, v223
	v_add_f32_e32 v1, v1, v2
	v_mul_f32_e32 v2, v144, v214
	s_waitcnt vmcnt(30)
	v_fmac_f32_e32 v159, v154, v226
	v_fma_f32 v2, v143, v213, -v2
	v_add_f32_e32 v18, v18, v159
	s_waitcnt lgkmcnt(0)
	v_mul_f32_e32 v159, v155, v225
	v_add_f32_e32 v1, v1, v2
	v_mul_f32_e32 v2, v146, v216
	v_fmac_f32_e32 v159, v156, v224
	v_fma_f32 v2, v145, v215, -v2
	v_add_f32_e32 v18, v18, v159
	ds_read_b128 v[159:162], v102 offset:688
	v_add_f32_e32 v1, v1, v2
	v_mul_f32_e32 v2, v148, v218
	v_fma_f32 v2, v147, v217, -v2
	s_waitcnt vmcnt(28)
	v_mul_f32_e32 v163, v157, v228
	v_add_f32_e32 v1, v1, v2
	v_mul_f32_e32 v2, v150, v220
	v_fmac_f32_e32 v163, v158, v227
	v_fma_f32 v2, v149, v219, -v2
	v_add_f32_e32 v18, v18, v163
	ds_read_b128 v[163:166], v102 offset:704
	v_add_f32_e32 v1, v1, v2
	v_mul_f32_e32 v2, v152, v222
	s_waitcnt vmcnt(26) lgkmcnt(1)
	v_mul_f32_e32 v167, v159, v230
	v_fma_f32 v2, v151, v221, -v2
	v_fmac_f32_e32 v167, v160, v229
	v_add_f32_e32 v1, v1, v2
	v_mul_f32_e32 v2, v154, v223
	v_add_f32_e32 v18, v18, v167
	s_waitcnt vmcnt(25)
	v_mul_f32_e32 v167, v161, v231
	v_fma_f32 v2, v153, v226, -v2
	s_waitcnt vmcnt(22)
	v_fmac_f32_e32 v167, v162, v234
	v_add_f32_e32 v1, v1, v2
	v_mul_f32_e32 v2, v156, v225
	v_add_f32_e32 v18, v18, v167
	s_waitcnt lgkmcnt(0)
	v_mul_f32_e32 v167, v163, v233
	v_fma_f32 v2, v155, v224, -v2
	v_fmac_f32_e32 v167, v164, v232
	v_add_f32_e32 v1, v1, v2
	v_mul_f32_e32 v2, v158, v228
	v_add_f32_e32 v18, v18, v167
	ds_read_b128 v[167:170], v102 offset:720
	v_fma_f32 v2, v157, v227, -v2
	v_add_f32_e32 v1, v1, v2
	v_mul_f32_e32 v2, v160, v230
	s_waitcnt vmcnt(20)
	v_mul_f32_e32 v171, v165, v236
	v_fma_f32 v2, v159, v229, -v2
	v_fmac_f32_e32 v171, v166, v235
	v_add_f32_e32 v1, v1, v2
	v_mul_f32_e32 v2, v162, v231
	v_add_f32_e32 v18, v18, v171
	ds_read_b128 v[171:174], v102 offset:736
	v_fma_f32 v2, v161, v234, -v2
	s_waitcnt vmcnt(18) lgkmcnt(1)
	v_mul_f32_e32 v175, v167, v238
	v_add_f32_e32 v1, v1, v2
	v_mul_f32_e32 v2, v164, v233
	v_fmac_f32_e32 v175, v168, v237
	v_fma_f32 v2, v163, v232, -v2
	v_add_f32_e32 v18, v18, v175
	s_waitcnt vmcnt(17)
	v_mul_f32_e32 v175, v169, v239
	v_add_f32_e32 v1, v1, v2
	v_mul_f32_e32 v2, v166, v236
	s_waitcnt vmcnt(14)
	v_fmac_f32_e32 v175, v170, v242
	v_fma_f32 v2, v165, v235, -v2
	v_add_f32_e32 v18, v18, v175
	s_waitcnt lgkmcnt(0)
	v_mul_f32_e32 v175, v171, v241
	v_add_f32_e32 v1, v1, v2
	v_mul_f32_e32 v2, v168, v238
	v_fmac_f32_e32 v175, v172, v240
	v_fma_f32 v2, v167, v237, -v2
	v_add_f32_e32 v18, v18, v175
	ds_read_b128 v[175:178], v102 offset:752
	v_add_f32_e32 v1, v1, v2
	v_mul_f32_e32 v2, v170, v239
	v_fma_f32 v2, v169, v242, -v2
	v_add_f32_e32 v1, v1, v2
	v_mul_f32_e32 v2, v172, v241
	s_waitcnt vmcnt(12)
	v_mul_f32_e32 v179, v173, v244
	v_fma_f32 v2, v171, v240, -v2
	v_fmac_f32_e32 v179, v174, v243
	v_add_f32_e32 v1, v1, v2
	v_mul_f32_e32 v2, v174, v244
	v_add_f32_e32 v18, v18, v179
	ds_read_b128 v[179:182], v102 offset:768
	s_waitcnt vmcnt(10) lgkmcnt(1)
	v_mul_f32_e32 v183, v175, v246
	v_fma_f32 v2, v173, v243, -v2
	v_fmac_f32_e32 v183, v176, v245
	v_add_f32_e32 v1, v1, v2
	v_mul_f32_e32 v2, v176, v246
	v_add_f32_e32 v18, v18, v183
	s_waitcnt vmcnt(9)
	v_mul_f32_e32 v183, v177, v247
	v_fma_f32 v2, v175, v245, -v2
	s_waitcnt vmcnt(6)
	v_fmac_f32_e32 v183, v178, v250
	v_add_f32_e32 v1, v1, v2
	v_mul_f32_e32 v2, v178, v247
	v_add_f32_e32 v18, v18, v183
	ds_read_b128 v[183:186], v102 offset:784
	v_fma_f32 v2, v177, v250, -v2
	v_add_f32_e32 v1, v1, v2
	s_waitcnt lgkmcnt(1)
	v_mul_f32_e32 v2, v180, v249
	v_mul_f32_e32 v19, v179, v249
	v_fma_f32 v2, v179, v248, -v2
	v_fmac_f32_e32 v19, v180, v248
	v_add_f32_e32 v1, v1, v2
	s_waitcnt vmcnt(4)
	v_mul_f32_e32 v2, v182, v252
	v_add_f32_e32 v18, v18, v19
	v_mul_f32_e32 v19, v181, v252
	v_fma_f32 v2, v181, v251, -v2
	v_fmac_f32_e32 v19, v182, v251
	v_add_f32_e32 v1, v1, v2
	s_waitcnt vmcnt(3) lgkmcnt(0)
	v_mul_f32_e32 v2, v184, v253
	v_add_f32_e32 v18, v18, v19
	v_mul_f32_e32 v19, v183, v253
	s_waitcnt vmcnt(0)
	v_fma_f32 v2, v183, v17, -v2
	v_fmac_f32_e32 v19, v184, v17
	v_add_f32_e32 v1, v1, v2
	v_mul_f32_e32 v2, v186, v255
	v_add_f32_e32 v18, v18, v19
	v_mul_f32_e32 v19, v185, v255
	v_fma_f32 v2, v185, v254, -v2
	v_fmac_f32_e32 v19, v186, v254
	v_add_f32_e32 v1, v1, v2
	v_add_f32_e32 v18, v18, v19
	v_sub_f32_e32 v1, v201, v1
	v_sub_f32_e32 v2, v202, v18
	buffer_store_dword v1, off, s[0:3], 0 offset:56
	buffer_store_dword v2, off, s[0:3], 0 offset:60
	s_and_saveexec_b64 s[4:5], vcc
	s_cbranch_execz .LBB49_301
; %bb.300:
	buffer_load_dword v102, off, s[0:3], 0 offset:48
	buffer_load_dword v103, off, s[0:3], 0 offset:52
	v_mov_b32_e32 v1, 0
	buffer_store_dword v1, off, s[0:3], 0 offset:48
	buffer_store_dword v1, off, s[0:3], 0 offset:52
	s_waitcnt vmcnt(2)
	ds_write_b64 v101, v[102:103]
.LBB49_301:
	s_or_b64 exec, exec, s[4:5]
	s_waitcnt lgkmcnt(0)
	; wave barrier
	buffer_load_dword v111, off, s[0:3], 0 offset:60
	buffer_load_dword v110, off, s[0:3], 0 offset:68
	;; [unrolled: 1-line block ×48, first 2 shown]
	v_mov_b32_e32 v102, 0
	ds_read2_b64 v[117:120], v102 offset0:57 offset1:58
	ds_read2_b64 v[121:124], v102 offset0:59 offset1:60
	ds_read2_b64 v[125:128], v102 offset0:61 offset1:62
	ds_read2_b64 v[129:132], v102 offset0:63 offset1:64
	ds_read2_b64 v[133:136], v102 offset0:65 offset1:66
	ds_read2_b64 v[137:140], v102 offset0:67 offset1:68
	buffer_load_dword v217, off, s[0:3], 0 offset:240
	buffer_load_dword v218, off, s[0:3], 0 offset:244
	v_cmp_lt_u32_e32 vcc, 5, v0
	s_waitcnt vmcnt(49) lgkmcnt(5)
	v_mul_f32_e32 v141, v117, v111
	s_waitcnt vmcnt(48)
	v_mul_f32_e32 v142, v119, v110
	s_waitcnt vmcnt(47) lgkmcnt(4)
	v_mul_f32_e32 v143, v121, v109
	s_waitcnt vmcnt(46)
	v_mul_f32_e32 v144, v123, v108
	;; [unrolled: 4-line block ×6, first 2 shown]
	s_waitcnt vmcnt(37)
	v_fmac_f32_e32 v143, v122, v1
	s_waitcnt vmcnt(36)
	v_fmac_f32_e32 v142, v120, v2
	;; [unrolled: 2-line block ×3, first 2 shown]
	v_add_f32_e32 v141, 0, v141
	v_add_f32_e32 v141, v141, v142
	;; [unrolled: 1-line block ×3, first 2 shown]
	s_waitcnt vmcnt(31)
	v_fmac_f32_e32 v144, v124, v7
	v_fmac_f32_e32 v145, v126, v6
	v_add_f32_e32 v141, v141, v144
	v_fmac_f32_e32 v146, v128, v5
	v_add_f32_e32 v141, v141, v145
	v_fmac_f32_e32 v147, v130, v4
	v_add_f32_e32 v141, v141, v146
	s_waitcnt vmcnt(27)
	v_fmac_f32_e32 v148, v132, v11
	v_add_f32_e32 v141, v141, v147
	v_fmac_f32_e32 v149, v134, v10
	v_add_f32_e32 v141, v141, v148
	;; [unrolled: 2-line block ×4, first 2 shown]
	v_add_f32_e32 v145, v141, v151
	ds_read2_b64 v[141:144], v102 offset0:69 offset1:70
	buffer_load_dword v219, off, s[0:3], 0 offset:248
	buffer_load_dword v220, off, s[0:3], 0 offset:252
	;; [unrolled: 1-line block ×6, first 2 shown]
	s_waitcnt vmcnt(28)
	v_fmac_f32_e32 v152, v140, v16
	v_add_f32_e32 v149, v145, v152
	ds_read2_b64 v[145:148], v102 offset0:71 offset1:72
	buffer_load_dword v225, off, s[0:3], 0 offset:272
	buffer_load_dword v226, off, s[0:3], 0 offset:276
	;; [unrolled: 1-line block ×8, first 2 shown]
	s_waitcnt vmcnt(35) lgkmcnt(1)
	v_mul_f32_e32 v150, v141, v17
	buffer_load_dword v233, off, s[0:3], 0 offset:304
	buffer_load_dword v234, off, s[0:3], 0 offset:308
	v_fmac_f32_e32 v150, v142, v15
	v_add_f32_e32 v149, v149, v150
	s_waitcnt vmcnt(36)
	v_mul_f32_e32 v150, v143, v18
	v_fmac_f32_e32 v150, v144, v14
	v_add_f32_e32 v149, v149, v150
	s_waitcnt lgkmcnt(0)
	v_mul_f32_e32 v150, v145, v13
	v_fmac_f32_e32 v150, v146, v12
	v_add_f32_e32 v153, v149, v150
	ds_read2_b64 v[149:152], v102 offset0:73 offset1:74
	buffer_load_dword v235, off, s[0:3], 0 offset:312
	buffer_load_dword v236, off, s[0:3], 0 offset:316
	;; [unrolled: 1-line block ×6, first 2 shown]
	s_waitcnt vmcnt(38)
	v_mul_f32_e32 v154, v147, v20
	v_fmac_f32_e32 v154, v148, v19
	v_add_f32_e32 v157, v153, v154
	ds_read2_b64 v[153:156], v102 offset0:75 offset1:76
	buffer_load_dword v241, off, s[0:3], 0 offset:336
	buffer_load_dword v242, off, s[0:3], 0 offset:340
	;; [unrolled: 1-line block ×16, first 2 shown]
	s_waitcnt vmcnt(52) lgkmcnt(1)
	v_mul_f32_e32 v158, v149, v204
	v_fmac_f32_e32 v158, v150, v203
	v_add_f32_e32 v157, v157, v158
	s_waitcnt vmcnt(50)
	v_mul_f32_e32 v158, v151, v206
	v_fmac_f32_e32 v158, v152, v205
	v_add_f32_e32 v157, v157, v158
	s_waitcnt vmcnt(48) lgkmcnt(0)
	v_mul_f32_e32 v158, v153, v208
	v_fmac_f32_e32 v158, v154, v207
	v_add_f32_e32 v161, v157, v158
	ds_read2_b64 v[157:160], v102 offset0:77 offset1:78
	s_waitcnt vmcnt(46)
	v_mul_f32_e32 v22, v155, v210
	v_fmac_f32_e32 v22, v156, v209
	v_add_f32_e32 v22, v161, v22
	ds_read2_b64 v[161:164], v102 offset0:79 offset1:80
	s_waitcnt vmcnt(44) lgkmcnt(1)
	v_mul_f32_e32 v165, v157, v212
	v_fmac_f32_e32 v165, v158, v211
	v_add_f32_e32 v22, v22, v165
	s_waitcnt vmcnt(42)
	v_mul_f32_e32 v165, v159, v214
	v_fmac_f32_e32 v165, v160, v213
	v_add_f32_e32 v22, v22, v165
	s_waitcnt vmcnt(40) lgkmcnt(0)
	v_mul_f32_e32 v165, v161, v216
	v_fmac_f32_e32 v165, v162, v215
	v_add_f32_e32 v22, v22, v165
	ds_read2_b64 v[165:168], v102 offset0:81 offset1:82
	s_waitcnt vmcnt(38)
	v_mul_f32_e32 v169, v163, v218
	v_fmac_f32_e32 v169, v164, v217
	v_add_f32_e32 v22, v22, v169
	ds_read2_b64 v[169:172], v102 offset0:83 offset1:84
	s_waitcnt vmcnt(36) lgkmcnt(1)
	v_mul_f32_e32 v173, v165, v220
	v_fmac_f32_e32 v173, v166, v219
	v_add_f32_e32 v22, v22, v173
	s_waitcnt vmcnt(35)
	v_mul_f32_e32 v173, v167, v221
	s_waitcnt vmcnt(32)
	v_fmac_f32_e32 v173, v168, v224
	v_add_f32_e32 v22, v22, v173
	s_waitcnt lgkmcnt(0)
	v_mul_f32_e32 v173, v169, v223
	v_fmac_f32_e32 v173, v170, v222
	v_add_f32_e32 v22, v22, v173
	ds_read2_b64 v[173:176], v102 offset0:85 offset1:86
	s_waitcnt vmcnt(30)
	v_mul_f32_e32 v177, v171, v226
	v_fmac_f32_e32 v177, v172, v225
	v_add_f32_e32 v22, v22, v177
	ds_read2_b64 v[177:180], v102 offset0:87 offset1:88
	s_waitcnt vmcnt(28) lgkmcnt(1)
	v_mul_f32_e32 v181, v173, v228
	v_fmac_f32_e32 v181, v174, v227
	v_add_f32_e32 v22, v22, v181
	s_waitcnt vmcnt(27)
	v_mul_f32_e32 v181, v175, v229
	s_waitcnt vmcnt(24)
	v_fmac_f32_e32 v181, v176, v232
	v_add_f32_e32 v22, v22, v181
	s_waitcnt lgkmcnt(0)
	;; [unrolled: 19-line block ×4, first 2 shown]
	v_mul_f32_e32 v197, v193, v247
	v_fmac_f32_e32 v197, v194, v246
	v_add_f32_e32 v22, v22, v197
	ds_read2_b64 v[197:200], v102 offset0:97 offset1:98
	s_waitcnt vmcnt(6)
	v_mul_f32_e32 v201, v195, v250
	v_fmac_f32_e32 v201, v196, v249
	v_add_f32_e32 v22, v22, v201
	ds_read_b64 v[201:202], v102 offset:792
	s_waitcnt vmcnt(4) lgkmcnt(1)
	v_mul_f32_e32 v23, v197, v252
	v_fmac_f32_e32 v23, v198, v251
	v_add_f32_e32 v22, v22, v23
	s_waitcnt vmcnt(3)
	v_mul_f32_e32 v23, v199, v253
	s_waitcnt vmcnt(0)
	v_fmac_f32_e32 v23, v200, v21
	v_add_f32_e32 v22, v22, v23
	s_waitcnt lgkmcnt(0)
	v_mul_f32_e32 v23, v201, v255
	v_fmac_f32_e32 v23, v202, v254
	v_add_f32_e32 v22, v22, v23
	v_mul_f32_e32 v23, v118, v111
	v_fma_f32 v3, v117, v3, -v23
	v_mul_f32_e32 v23, v120, v110
	v_add_f32_e32 v3, 0, v3
	v_fma_f32 v2, v119, v2, -v23
	v_add_f32_e32 v2, v3, v2
	v_mul_f32_e32 v3, v122, v109
	v_fma_f32 v1, v121, v1, -v3
	v_add_f32_e32 v1, v2, v1
	v_mul_f32_e32 v2, v124, v108
	;; [unrolled: 3-line block ×41, first 2 shown]
	v_fma_f32 v2, v201, v254, -v2
	v_add_f32_e32 v1, v1, v2
	v_sub_f32_e32 v1, v103, v1
	v_sub_f32_e32 v2, v104, v22
	buffer_store_dword v1, off, s[0:3], 0 offset:48
	buffer_store_dword v2, off, s[0:3], 0 offset:52
	s_and_saveexec_b64 s[4:5], vcc
	s_cbranch_execz .LBB49_303
; %bb.302:
	buffer_load_dword v103, off, s[0:3], 0 offset:40
	buffer_load_dword v104, off, s[0:3], 0 offset:44
	s_waitcnt vmcnt(0)
	ds_write_b64 v101, v[103:104]
	buffer_store_dword v102, off, s[0:3], 0 offset:40
	buffer_store_dword v102, off, s[0:3], 0 offset:44
.LBB49_303:
	s_or_b64 exec, exec, s[4:5]
	s_waitcnt lgkmcnt(0)
	; wave barrier
	buffer_load_dword v111, off, s[0:3], 0 offset:52
	buffer_load_dword v110, off, s[0:3], 0 offset:60
	;; [unrolled: 1-line block ×32, first 2 shown]
	ds_read_b128 v[117:120], v102 offset:448
	ds_read_b128 v[121:124], v102 offset:464
	ds_read_b128 v[125:128], v102 offset:480
	ds_read_b128 v[129:132], v102 offset:496
	buffer_load_dword v19, off, s[0:3], 0 offset:168
	buffer_load_dword v20, off, s[0:3], 0 offset:172
	ds_read_b128 v[133:136], v102 offset:512
	ds_read_b128 v[137:140], v102 offset:528
	;; [unrolled: 1-line block ×3, first 2 shown]
	buffer_load_dword v21, off, s[0:3], 0 offset:176
	buffer_load_dword v22, off, s[0:3], 0 offset:180
	;; [unrolled: 1-line block ×16, first 2 shown]
	v_cmp_lt_u32_e32 vcc, 4, v0
	s_waitcnt vmcnt(49) lgkmcnt(6)
	v_mul_f32_e32 v145, v117, v111
	s_waitcnt vmcnt(48)
	v_mul_f32_e32 v146, v119, v110
	s_waitcnt vmcnt(47) lgkmcnt(5)
	v_mul_f32_e32 v147, v121, v109
	s_waitcnt vmcnt(46)
	v_mul_f32_e32 v148, v123, v108
	;; [unrolled: 4-line block ×6, first 2 shown]
	s_waitcnt vmcnt(37)
	v_fmac_f32_e32 v147, v122, v1
	s_waitcnt vmcnt(36)
	v_fmac_f32_e32 v146, v120, v2
	;; [unrolled: 2-line block ×3, first 2 shown]
	v_add_f32_e32 v145, 0, v145
	v_add_f32_e32 v145, v145, v146
	;; [unrolled: 1-line block ×3, first 2 shown]
	s_waitcnt vmcnt(31)
	v_fmac_f32_e32 v148, v124, v7
	v_fmac_f32_e32 v149, v126, v6
	v_add_f32_e32 v145, v145, v148
	v_fmac_f32_e32 v150, v128, v5
	v_add_f32_e32 v145, v145, v149
	;; [unrolled: 2-line block ×3, first 2 shown]
	s_waitcnt vmcnt(27)
	v_fmac_f32_e32 v152, v132, v11
	v_add_f32_e32 v145, v145, v151
	v_fmac_f32_e32 v153, v134, v10
	v_add_f32_e32 v145, v145, v152
	;; [unrolled: 2-line block ×4, first 2 shown]
	s_waitcnt vmcnt(23)
	v_fmac_f32_e32 v156, v140, v15
	v_add_f32_e32 v145, v145, v155
	v_add_f32_e32 v149, v145, v156
	ds_read_b128 v[145:148], v102 offset:560
	buffer_load_dword v217, off, s[0:3], 0 offset:240
	buffer_load_dword v218, off, s[0:3], 0 offset:244
	;; [unrolled: 1-line block ×14, first 2 shown]
	s_waitcnt vmcnt(36) lgkmcnt(1)
	v_mul_f32_e32 v150, v141, v16
	buffer_load_dword v231, off, s[0:3], 0 offset:296
	buffer_load_dword v232, off, s[0:3], 0 offset:300
	v_fmac_f32_e32 v150, v142, v14
	v_add_f32_e32 v149, v149, v150
	s_waitcnt vmcnt(37)
	v_mul_f32_e32 v150, v143, v17
	v_fmac_f32_e32 v150, v144, v13
	v_add_f32_e32 v149, v149, v150
	s_waitcnt vmcnt(36) lgkmcnt(0)
	v_mul_f32_e32 v150, v145, v18
	v_fmac_f32_e32 v150, v146, v12
	v_add_f32_e32 v153, v149, v150
	ds_read_b128 v[149:152], v102 offset:576
	buffer_load_dword v233, off, s[0:3], 0 offset:304
	buffer_load_dword v234, off, s[0:3], 0 offset:308
	;; [unrolled: 1-line block ×6, first 2 shown]
	s_waitcnt vmcnt(38)
	v_mul_f32_e32 v154, v147, v20
	v_fmac_f32_e32 v154, v148, v19
	v_add_f32_e32 v157, v153, v154
	ds_read_b128 v[153:156], v102 offset:592
	buffer_load_dword v239, off, s[0:3], 0 offset:328
	buffer_load_dword v240, off, s[0:3], 0 offset:332
	;; [unrolled: 1-line block ×10, first 2 shown]
	s_waitcnt vmcnt(46) lgkmcnt(1)
	v_mul_f32_e32 v158, v149, v22
	v_fmac_f32_e32 v158, v150, v21
	v_add_f32_e32 v157, v157, v158
	s_waitcnt vmcnt(44)
	v_mul_f32_e32 v158, v151, v24
	v_fmac_f32_e32 v158, v152, v23
	v_add_f32_e32 v157, v157, v158
	s_waitcnt vmcnt(42) lgkmcnt(0)
	v_mul_f32_e32 v158, v153, v206
	buffer_load_dword v249, off, s[0:3], 0 offset:368
	buffer_load_dword v250, off, s[0:3], 0 offset:372
	;; [unrolled: 1-line block ×6, first 2 shown]
	v_fmac_f32_e32 v158, v154, v205
	s_waitcnt vmcnt(46)
	v_mul_f32_e32 v162, v155, v208
	v_add_f32_e32 v161, v157, v158
	v_fmac_f32_e32 v162, v156, v207
	ds_read_b128 v[157:160], v102 offset:608
	v_add_f32_e32 v165, v161, v162
	ds_read_b128 v[161:164], v102 offset:624
	buffer_load_dword v255, off, s[0:3], 0 offset:392
	buffer_load_dword v25, off, s[0:3], 0 offset:396
	s_waitcnt vmcnt(46) lgkmcnt(1)
	v_mul_f32_e32 v26, v157, v210
	v_fmac_f32_e32 v26, v158, v209
	v_add_f32_e32 v26, v165, v26
	s_waitcnt vmcnt(44)
	v_mul_f32_e32 v165, v159, v212
	v_fmac_f32_e32 v165, v160, v211
	v_add_f32_e32 v26, v26, v165
	s_waitcnt vmcnt(42) lgkmcnt(0)
	v_mul_f32_e32 v165, v161, v214
	v_fmac_f32_e32 v165, v162, v213
	v_add_f32_e32 v26, v26, v165
	ds_read_b128 v[165:168], v102 offset:640
	s_waitcnt vmcnt(40)
	v_mul_f32_e32 v169, v163, v216
	v_fmac_f32_e32 v169, v164, v215
	v_add_f32_e32 v26, v26, v169
	ds_read_b128 v[169:172], v102 offset:656
	s_waitcnt vmcnt(38) lgkmcnt(1)
	v_mul_f32_e32 v173, v165, v218
	v_fmac_f32_e32 v173, v166, v217
	v_add_f32_e32 v26, v26, v173
	s_waitcnt vmcnt(37)
	v_mul_f32_e32 v173, v167, v219
	s_waitcnt vmcnt(34)
	v_fmac_f32_e32 v173, v168, v222
	v_add_f32_e32 v26, v26, v173
	s_waitcnt lgkmcnt(0)
	v_mul_f32_e32 v173, v169, v221
	v_fmac_f32_e32 v173, v170, v220
	v_add_f32_e32 v26, v26, v173
	ds_read_b128 v[173:176], v102 offset:672
	s_waitcnt vmcnt(32)
	v_mul_f32_e32 v177, v171, v224
	v_fmac_f32_e32 v177, v172, v223
	v_add_f32_e32 v26, v26, v177
	ds_read_b128 v[177:180], v102 offset:688
	s_waitcnt vmcnt(30) lgkmcnt(1)
	v_mul_f32_e32 v181, v173, v226
	v_fmac_f32_e32 v181, v174, v225
	v_add_f32_e32 v26, v26, v181
	s_waitcnt vmcnt(29)
	v_mul_f32_e32 v181, v175, v227
	s_waitcnt vmcnt(26)
	v_fmac_f32_e32 v181, v176, v230
	v_add_f32_e32 v26, v26, v181
	s_waitcnt lgkmcnt(0)
	;; [unrolled: 19-line block ×5, first 2 shown]
	v_mul_f32_e32 v102, v201, v253
	v_fmac_f32_e32 v102, v202, v252
	v_add_f32_e32 v26, v26, v102
	s_waitcnt vmcnt(0)
	v_mul_f32_e32 v102, v203, v25
	v_fmac_f32_e32 v102, v204, v255
	v_add_f32_e32 v26, v26, v102
	v_mul_f32_e32 v102, v118, v111
	v_fma_f32 v3, v117, v3, -v102
	v_mul_f32_e32 v102, v120, v110
	v_add_f32_e32 v3, 0, v3
	v_fma_f32 v2, v119, v2, -v102
	v_add_f32_e32 v2, v3, v2
	v_mul_f32_e32 v3, v122, v109
	v_fma_f32 v1, v121, v1, -v3
	v_add_f32_e32 v1, v2, v1
	v_mul_f32_e32 v2, v124, v108
	v_fma_f32 v2, v123, v7, -v2
	v_add_f32_e32 v1, v1, v2
	v_mul_f32_e32 v2, v126, v107
	v_fma_f32 v2, v125, v6, -v2
	v_add_f32_e32 v1, v1, v2
	v_mul_f32_e32 v2, v128, v106
	v_fma_f32 v2, v127, v5, -v2
	v_add_f32_e32 v1, v1, v2
	v_mul_f32_e32 v2, v130, v105
	v_fma_f32 v2, v129, v4, -v2
	v_add_f32_e32 v1, v1, v2
	v_mul_f32_e32 v2, v132, v112
	v_fma_f32 v2, v131, v11, -v2
	v_add_f32_e32 v1, v1, v2
	v_mul_f32_e32 v2, v134, v113
	v_fma_f32 v2, v133, v10, -v2
	v_add_f32_e32 v1, v1, v2
	v_mul_f32_e32 v2, v136, v114
	v_fma_f32 v2, v135, v9, -v2
	v_add_f32_e32 v1, v1, v2
	v_mul_f32_e32 v2, v138, v115
	v_fma_f32 v2, v137, v8, -v2
	v_add_f32_e32 v1, v1, v2
	v_mul_f32_e32 v2, v140, v116
	v_fma_f32 v2, v139, v15, -v2
	v_add_f32_e32 v1, v1, v2
	v_mul_f32_e32 v2, v142, v16
	v_fma_f32 v2, v141, v14, -v2
	v_add_f32_e32 v1, v1, v2
	v_mul_f32_e32 v2, v144, v17
	v_fma_f32 v2, v143, v13, -v2
	v_add_f32_e32 v1, v1, v2
	v_mul_f32_e32 v2, v146, v18
	v_fma_f32 v2, v145, v12, -v2
	v_add_f32_e32 v1, v1, v2
	v_mul_f32_e32 v2, v148, v20
	v_fma_f32 v2, v147, v19, -v2
	v_add_f32_e32 v1, v1, v2
	v_mul_f32_e32 v2, v150, v22
	v_fma_f32 v2, v149, v21, -v2
	v_add_f32_e32 v1, v1, v2
	v_mul_f32_e32 v2, v152, v24
	v_fma_f32 v2, v151, v23, -v2
	v_add_f32_e32 v1, v1, v2
	v_mul_f32_e32 v2, v154, v206
	v_fma_f32 v2, v153, v205, -v2
	v_add_f32_e32 v1, v1, v2
	v_mul_f32_e32 v2, v156, v208
	v_fma_f32 v2, v155, v207, -v2
	v_add_f32_e32 v1, v1, v2
	v_mul_f32_e32 v2, v158, v210
	v_fma_f32 v2, v157, v209, -v2
	v_add_f32_e32 v1, v1, v2
	v_mul_f32_e32 v2, v160, v212
	v_fma_f32 v2, v159, v211, -v2
	v_add_f32_e32 v1, v1, v2
	v_mul_f32_e32 v2, v162, v214
	v_fma_f32 v2, v161, v213, -v2
	v_add_f32_e32 v1, v1, v2
	v_mul_f32_e32 v2, v164, v216
	v_fma_f32 v2, v163, v215, -v2
	v_add_f32_e32 v1, v1, v2
	v_mul_f32_e32 v2, v166, v218
	v_fma_f32 v2, v165, v217, -v2
	v_add_f32_e32 v1, v1, v2
	v_mul_f32_e32 v2, v168, v219
	v_fma_f32 v2, v167, v222, -v2
	v_add_f32_e32 v1, v1, v2
	v_mul_f32_e32 v2, v170, v221
	v_fma_f32 v2, v169, v220, -v2
	v_add_f32_e32 v1, v1, v2
	v_mul_f32_e32 v2, v172, v224
	v_fma_f32 v2, v171, v223, -v2
	v_add_f32_e32 v1, v1, v2
	v_mul_f32_e32 v2, v174, v226
	v_fma_f32 v2, v173, v225, -v2
	v_add_f32_e32 v1, v1, v2
	v_mul_f32_e32 v2, v176, v227
	v_fma_f32 v2, v175, v230, -v2
	v_add_f32_e32 v1, v1, v2
	v_mul_f32_e32 v2, v178, v229
	v_fma_f32 v2, v177, v228, -v2
	v_add_f32_e32 v1, v1, v2
	v_mul_f32_e32 v2, v180, v232
	v_fma_f32 v2, v179, v231, -v2
	v_add_f32_e32 v1, v1, v2
	v_mul_f32_e32 v2, v182, v234
	v_fma_f32 v2, v181, v233, -v2
	v_add_f32_e32 v1, v1, v2
	v_mul_f32_e32 v2, v184, v235
	v_fma_f32 v2, v183, v238, -v2
	v_add_f32_e32 v1, v1, v2
	v_mul_f32_e32 v2, v186, v237
	v_fma_f32 v2, v185, v236, -v2
	v_add_f32_e32 v1, v1, v2
	v_mul_f32_e32 v2, v188, v240
	v_fma_f32 v2, v187, v239, -v2
	v_add_f32_e32 v1, v1, v2
	v_mul_f32_e32 v2, v190, v242
	v_fma_f32 v2, v189, v241, -v2
	v_add_f32_e32 v1, v1, v2
	v_mul_f32_e32 v2, v192, v243
	v_fma_f32 v2, v191, v246, -v2
	v_add_f32_e32 v1, v1, v2
	v_mul_f32_e32 v2, v194, v245
	v_fma_f32 v2, v193, v244, -v2
	v_add_f32_e32 v1, v1, v2
	v_mul_f32_e32 v2, v196, v248
	v_fma_f32 v2, v195, v247, -v2
	v_add_f32_e32 v1, v1, v2
	v_mul_f32_e32 v2, v198, v250
	v_fma_f32 v2, v197, v249, -v2
	v_add_f32_e32 v1, v1, v2
	v_mul_f32_e32 v2, v200, v251
	v_fma_f32 v2, v199, v254, -v2
	v_add_f32_e32 v1, v1, v2
	v_mul_f32_e32 v2, v202, v253
	v_fma_f32 v2, v201, v252, -v2
	v_add_f32_e32 v1, v1, v2
	v_mul_f32_e32 v2, v204, v25
	v_fma_f32 v2, v203, v255, -v2
	v_add_f32_e32 v1, v1, v2
	v_sub_f32_e32 v1, v103, v1
	v_sub_f32_e32 v2, v104, v26
	buffer_store_dword v1, off, s[0:3], 0 offset:40
	buffer_store_dword v2, off, s[0:3], 0 offset:44
	s_and_saveexec_b64 s[4:5], vcc
	s_cbranch_execz .LBB49_305
; %bb.304:
	buffer_load_dword v102, off, s[0:3], 0 offset:32
	buffer_load_dword v103, off, s[0:3], 0 offset:36
	v_mov_b32_e32 v1, 0
	buffer_store_dword v1, off, s[0:3], 0 offset:32
	buffer_store_dword v1, off, s[0:3], 0 offset:36
	s_waitcnt vmcnt(2)
	ds_write_b64 v101, v[102:103]
.LBB49_305:
	s_or_b64 exec, exec, s[4:5]
	s_waitcnt lgkmcnt(0)
	; wave barrier
	buffer_load_dword v1, off, s[0:3], 0 offset:44
	buffer_load_dword v2, off, s[0:3], 0 offset:52
	;; [unrolled: 1-line block ×48, first 2 shown]
	v_mov_b32_e32 v102, 0
	ds_read2_b64 v[105:108], v102 offset0:55 offset1:56
	ds_read2_b64 v[109:112], v102 offset0:57 offset1:58
	;; [unrolled: 1-line block ×7, first 2 shown]
	v_cmp_lt_u32_e32 vcc, 3, v0
	s_waitcnt vmcnt(47) lgkmcnt(6)
	v_mul_f32_e32 v133, v105, v1
	s_waitcnt vmcnt(46)
	v_mul_f32_e32 v134, v107, v2
	s_waitcnt vmcnt(45) lgkmcnt(5)
	v_mul_f32_e32 v135, v109, v3
	s_waitcnt vmcnt(44)
	v_mul_f32_e32 v136, v111, v4
	;; [unrolled: 4-line block ×6, first 2 shown]
	s_waitcnt vmcnt(35)
	v_fmac_f32_e32 v135, v110, v13
	s_waitcnt vmcnt(34)
	v_fmac_f32_e32 v134, v108, v14
	;; [unrolled: 2-line block ×3, first 2 shown]
	v_add_f32_e32 v133, 0, v133
	v_add_f32_e32 v133, v133, v134
	;; [unrolled: 1-line block ×3, first 2 shown]
	s_waitcnt vmcnt(29)
	v_fmac_f32_e32 v136, v112, v19
	v_fmac_f32_e32 v137, v114, v18
	v_add_f32_e32 v133, v133, v136
	v_fmac_f32_e32 v138, v116, v17
	v_add_f32_e32 v133, v133, v137
	;; [unrolled: 2-line block ×3, first 2 shown]
	s_waitcnt vmcnt(25)
	v_fmac_f32_e32 v140, v120, v23
	v_add_f32_e32 v133, v133, v139
	v_fmac_f32_e32 v141, v122, v22
	v_add_f32_e32 v133, v133, v140
	;; [unrolled: 2-line block ×4, first 2 shown]
	s_waitcnt vmcnt(21)
	v_fmac_f32_e32 v144, v128, v195
	v_add_f32_e32 v133, v133, v143
	v_add_f32_e32 v137, v133, v144
	ds_read2_b64 v[133:136], v102 offset0:69 offset1:70
	buffer_load_dword v215, off, s[0:3], 0 offset:224
	buffer_load_dword v216, off, s[0:3], 0 offset:228
	;; [unrolled: 1-line block ×10, first 2 shown]
	s_waitcnt vmcnt(30) lgkmcnt(1)
	v_mul_f32_e32 v138, v129, v196
	v_fmac_f32_e32 v138, v130, v26
	buffer_load_dword v225, off, s[0:3], 0 offset:264
	buffer_load_dword v226, off, s[0:3], 0 offset:268
	;; [unrolled: 1-line block ×6, first 2 shown]
	v_add_f32_e32 v137, v137, v138
	s_waitcnt vmcnt(35)
	v_mul_f32_e32 v138, v131, v197
	v_fmac_f32_e32 v138, v132, v25
	v_add_f32_e32 v137, v137, v138
	s_waitcnt vmcnt(34) lgkmcnt(0)
	v_mul_f32_e32 v138, v133, v198
	v_fmac_f32_e32 v138, v134, v24
	v_add_f32_e32 v141, v137, v138
	ds_read2_b64 v[137:140], v102 offset0:71 offset1:72
	buffer_load_dword v231, off, s[0:3], 0 offset:288
	buffer_load_dword v232, off, s[0:3], 0 offset:292
	s_waitcnt vmcnt(32)
	v_mul_f32_e32 v142, v135, v200
	v_fmac_f32_e32 v142, v136, v199
	v_add_f32_e32 v145, v141, v142
	ds_read2_b64 v[141:144], v102 offset0:73 offset1:74
	buffer_load_dword v233, off, s[0:3], 0 offset:296
	buffer_load_dword v234, off, s[0:3], 0 offset:300
	;; [unrolled: 1-line block ×14, first 2 shown]
	s_waitcnt vmcnt(44) lgkmcnt(1)
	v_mul_f32_e32 v146, v137, v202
	v_fmac_f32_e32 v146, v138, v201
	buffer_load_dword v247, off, s[0:3], 0 offset:352
	buffer_load_dword v248, off, s[0:3], 0 offset:356
	v_add_f32_e32 v145, v145, v146
	s_waitcnt vmcnt(44)
	v_mul_f32_e32 v146, v139, v204
	v_fmac_f32_e32 v146, v140, v203
	v_add_f32_e32 v145, v145, v146
	s_waitcnt vmcnt(42) lgkmcnt(0)
	v_mul_f32_e32 v146, v141, v206
	v_fmac_f32_e32 v146, v142, v205
	v_mul_f32_e32 v1, v106, v1
	v_add_f32_e32 v149, v145, v146
	ds_read2_b64 v[145:148], v102 offset0:75 offset1:76
	buffer_load_dword v249, off, s[0:3], 0 offset:360
	buffer_load_dword v250, off, s[0:3], 0 offset:364
	buffer_load_dword v251, off, s[0:3], 0 offset:372
	buffer_load_dword v252, off, s[0:3], 0 offset:376
	buffer_load_dword v253, off, s[0:3], 0 offset:380
	buffer_load_dword v254, off, s[0:3], 0 offset:368
	v_fma_f32 v1, v105, v15, -v1
	v_mul_f32_e32 v2, v108, v2
	v_add_f32_e32 v1, 0, v1
	v_fma_f32 v2, v107, v14, -v2
	v_add_f32_e32 v1, v1, v2
	v_mul_f32_e32 v2, v110, v3
	s_waitcnt vmcnt(46)
	v_mul_f32_e32 v150, v143, v208
	v_fma_f32 v2, v109, v13, -v2
	v_fmac_f32_e32 v150, v144, v207
	v_add_f32_e32 v1, v1, v2
	v_mul_f32_e32 v2, v112, v4
	v_add_f32_e32 v153, v149, v150
	ds_read2_b64 v[149:152], v102 offset0:77 offset1:78
	buffer_load_dword v255, off, s[0:3], 0 offset:388
	buffer_load_dword v27, off, s[0:3], 0 offset:392
	;; [unrolled: 1-line block ×4, first 2 shown]
	v_fma_f32 v2, v111, v19, -v2
	v_add_f32_e32 v1, v1, v2
	v_mul_f32_e32 v2, v114, v5
	v_fma_f32 v2, v113, v18, -v2
	v_add_f32_e32 v1, v1, v2
	v_mul_f32_e32 v2, v116, v6
	;; [unrolled: 3-line block ×8, first 2 shown]
	v_fma_f32 v2, v127, v195, -v2
	s_waitcnt vmcnt(48) lgkmcnt(1)
	v_mul_f32_e32 v154, v145, v210
	v_add_f32_e32 v1, v1, v2
	v_mul_f32_e32 v2, v130, v196
	v_fmac_f32_e32 v154, v146, v209
	v_fma_f32 v2, v129, v26, -v2
	v_add_f32_e32 v30, v153, v154
	s_waitcnt vmcnt(46)
	v_mul_f32_e32 v153, v147, v212
	v_add_f32_e32 v1, v1, v2
	v_mul_f32_e32 v2, v132, v197
	v_fmac_f32_e32 v153, v148, v211
	v_fma_f32 v2, v131, v25, -v2
	v_add_f32_e32 v30, v30, v153
	s_waitcnt vmcnt(44) lgkmcnt(0)
	v_mul_f32_e32 v153, v149, v214
	v_add_f32_e32 v1, v1, v2
	v_mul_f32_e32 v2, v134, v198
	v_fmac_f32_e32 v153, v150, v213
	v_fma_f32 v2, v133, v24, -v2
	v_add_f32_e32 v30, v30, v153
	ds_read2_b64 v[153:156], v102 offset0:79 offset1:80
	v_add_f32_e32 v1, v1, v2
	v_mul_f32_e32 v2, v136, v200
	v_fma_f32 v2, v135, v199, -v2
	s_waitcnt vmcnt(42)
	v_mul_f32_e32 v157, v151, v216
	v_add_f32_e32 v1, v1, v2
	v_mul_f32_e32 v2, v138, v202
	v_fmac_f32_e32 v157, v152, v215
	v_fma_f32 v2, v137, v201, -v2
	v_add_f32_e32 v30, v30, v157
	ds_read2_b64 v[157:160], v102 offset0:81 offset1:82
	v_add_f32_e32 v1, v1, v2
	v_mul_f32_e32 v2, v140, v204
	s_waitcnt vmcnt(40) lgkmcnt(1)
	v_mul_f32_e32 v161, v153, v218
	v_fma_f32 v2, v139, v203, -v2
	v_fmac_f32_e32 v161, v154, v217
	v_add_f32_e32 v1, v1, v2
	v_mul_f32_e32 v2, v142, v206
	v_add_f32_e32 v30, v30, v161
	s_waitcnt vmcnt(39)
	v_mul_f32_e32 v161, v155, v219
	v_fma_f32 v2, v141, v205, -v2
	s_waitcnt vmcnt(36)
	v_fmac_f32_e32 v161, v156, v222
	v_add_f32_e32 v1, v1, v2
	v_mul_f32_e32 v2, v144, v208
	v_add_f32_e32 v30, v30, v161
	s_waitcnt lgkmcnt(0)
	v_mul_f32_e32 v161, v157, v221
	v_fma_f32 v2, v143, v207, -v2
	v_fmac_f32_e32 v161, v158, v220
	v_add_f32_e32 v1, v1, v2
	v_mul_f32_e32 v2, v146, v210
	v_add_f32_e32 v30, v30, v161
	ds_read2_b64 v[161:164], v102 offset0:83 offset1:84
	v_fma_f32 v2, v145, v209, -v2
	v_add_f32_e32 v1, v1, v2
	v_mul_f32_e32 v2, v148, v212
	s_waitcnt vmcnt(34)
	v_mul_f32_e32 v165, v159, v224
	v_fma_f32 v2, v147, v211, -v2
	v_fmac_f32_e32 v165, v160, v223
	v_add_f32_e32 v1, v1, v2
	v_mul_f32_e32 v2, v150, v214
	v_add_f32_e32 v30, v30, v165
	ds_read2_b64 v[165:168], v102 offset0:85 offset1:86
	v_fma_f32 v2, v149, v213, -v2
	s_waitcnt vmcnt(32) lgkmcnt(1)
	v_mul_f32_e32 v169, v161, v226
	v_add_f32_e32 v1, v1, v2
	v_mul_f32_e32 v2, v152, v216
	v_fmac_f32_e32 v169, v162, v225
	v_fma_f32 v2, v151, v215, -v2
	v_add_f32_e32 v30, v30, v169
	s_waitcnt vmcnt(31)
	v_mul_f32_e32 v169, v163, v227
	v_add_f32_e32 v1, v1, v2
	v_mul_f32_e32 v2, v154, v218
	s_waitcnt vmcnt(28)
	v_fmac_f32_e32 v169, v164, v230
	v_fma_f32 v2, v153, v217, -v2
	v_add_f32_e32 v30, v30, v169
	s_waitcnt lgkmcnt(0)
	v_mul_f32_e32 v169, v165, v229
	v_add_f32_e32 v1, v1, v2
	v_mul_f32_e32 v2, v156, v219
	v_fmac_f32_e32 v169, v166, v228
	v_fma_f32 v2, v155, v222, -v2
	v_add_f32_e32 v30, v30, v169
	ds_read2_b64 v[169:172], v102 offset0:87 offset1:88
	v_add_f32_e32 v1, v1, v2
	v_mul_f32_e32 v2, v158, v221
	v_fma_f32 v2, v157, v220, -v2
	s_waitcnt vmcnt(26)
	v_mul_f32_e32 v173, v167, v232
	v_add_f32_e32 v1, v1, v2
	v_mul_f32_e32 v2, v160, v224
	v_fmac_f32_e32 v173, v168, v231
	v_fma_f32 v2, v159, v223, -v2
	v_add_f32_e32 v30, v30, v173
	ds_read2_b64 v[173:176], v102 offset0:89 offset1:90
	v_add_f32_e32 v1, v1, v2
	v_mul_f32_e32 v2, v162, v226
	s_waitcnt vmcnt(24) lgkmcnt(1)
	v_mul_f32_e32 v177, v169, v234
	v_fma_f32 v2, v161, v225, -v2
	v_fmac_f32_e32 v177, v170, v233
	v_add_f32_e32 v1, v1, v2
	v_mul_f32_e32 v2, v164, v227
	v_add_f32_e32 v30, v30, v177
	s_waitcnt vmcnt(23)
	v_mul_f32_e32 v177, v171, v235
	v_fma_f32 v2, v163, v230, -v2
	s_waitcnt vmcnt(20)
	v_fmac_f32_e32 v177, v172, v238
	v_add_f32_e32 v1, v1, v2
	v_mul_f32_e32 v2, v166, v229
	v_add_f32_e32 v30, v30, v177
	s_waitcnt lgkmcnt(0)
	v_mul_f32_e32 v177, v173, v237
	v_fma_f32 v2, v165, v228, -v2
	v_fmac_f32_e32 v177, v174, v236
	v_add_f32_e32 v1, v1, v2
	v_mul_f32_e32 v2, v168, v232
	v_add_f32_e32 v30, v30, v177
	ds_read2_b64 v[177:180], v102 offset0:91 offset1:92
	v_fma_f32 v2, v167, v231, -v2
	v_add_f32_e32 v1, v1, v2
	v_mul_f32_e32 v2, v170, v234
	s_waitcnt vmcnt(18)
	v_mul_f32_e32 v181, v175, v240
	v_fma_f32 v2, v169, v233, -v2
	v_fmac_f32_e32 v181, v176, v239
	v_add_f32_e32 v1, v1, v2
	v_mul_f32_e32 v2, v172, v235
	v_add_f32_e32 v30, v30, v181
	ds_read2_b64 v[181:184], v102 offset0:93 offset1:94
	v_fma_f32 v2, v171, v238, -v2
	s_waitcnt vmcnt(16) lgkmcnt(1)
	v_mul_f32_e32 v185, v177, v242
	v_add_f32_e32 v1, v1, v2
	v_mul_f32_e32 v2, v174, v237
	v_fmac_f32_e32 v185, v178, v241
	v_fma_f32 v2, v173, v236, -v2
	v_add_f32_e32 v30, v30, v185
	s_waitcnt vmcnt(15)
	v_mul_f32_e32 v185, v179, v243
	v_add_f32_e32 v1, v1, v2
	v_mul_f32_e32 v2, v176, v240
	s_waitcnt vmcnt(12)
	v_fmac_f32_e32 v185, v180, v246
	v_fma_f32 v2, v175, v239, -v2
	v_add_f32_e32 v30, v30, v185
	s_waitcnt lgkmcnt(0)
	v_mul_f32_e32 v185, v181, v245
	v_add_f32_e32 v1, v1, v2
	v_mul_f32_e32 v2, v178, v242
	v_fmac_f32_e32 v185, v182, v244
	v_fma_f32 v2, v177, v241, -v2
	v_add_f32_e32 v30, v30, v185
	ds_read2_b64 v[185:188], v102 offset0:95 offset1:96
	v_add_f32_e32 v1, v1, v2
	v_mul_f32_e32 v2, v180, v243
	v_fma_f32 v2, v179, v246, -v2
	v_add_f32_e32 v1, v1, v2
	v_mul_f32_e32 v2, v182, v245
	s_waitcnt vmcnt(10)
	v_mul_f32_e32 v189, v183, v248
	v_fma_f32 v2, v181, v244, -v2
	v_fmac_f32_e32 v189, v184, v247
	v_add_f32_e32 v1, v1, v2
	v_mul_f32_e32 v2, v184, v248
	v_add_f32_e32 v30, v30, v189
	ds_read2_b64 v[189:192], v102 offset0:97 offset1:98
	s_waitcnt vmcnt(8) lgkmcnt(1)
	v_mul_f32_e32 v193, v185, v250
	v_fma_f32 v2, v183, v247, -v2
	v_fmac_f32_e32 v193, v186, v249
	v_add_f32_e32 v1, v1, v2
	v_mul_f32_e32 v2, v186, v250
	v_add_f32_e32 v30, v30, v193
	s_waitcnt vmcnt(7)
	v_mul_f32_e32 v193, v187, v251
	v_fma_f32 v2, v185, v249, -v2
	s_waitcnt vmcnt(4)
	v_fmac_f32_e32 v193, v188, v254
	v_add_f32_e32 v1, v1, v2
	v_mul_f32_e32 v2, v188, v251
	v_add_f32_e32 v30, v30, v193
	ds_read_b64 v[193:194], v102 offset:792
	v_fma_f32 v2, v187, v254, -v2
	v_add_f32_e32 v1, v1, v2
	s_waitcnt lgkmcnt(1)
	v_mul_f32_e32 v2, v190, v253
	v_mul_f32_e32 v31, v189, v253
	v_fma_f32 v2, v189, v252, -v2
	v_fmac_f32_e32 v31, v190, v252
	v_add_f32_e32 v1, v1, v2
	s_waitcnt vmcnt(3)
	v_mul_f32_e32 v2, v192, v255
	v_add_f32_e32 v30, v30, v31
	v_mul_f32_e32 v31, v191, v255
	s_waitcnt vmcnt(0)
	v_fma_f32 v2, v191, v29, -v2
	v_fmac_f32_e32 v31, v192, v29
	v_add_f32_e32 v1, v1, v2
	s_waitcnt lgkmcnt(0)
	v_mul_f32_e32 v2, v194, v28
	v_add_f32_e32 v30, v30, v31
	v_mul_f32_e32 v31, v193, v28
	v_fma_f32 v2, v193, v27, -v2
	v_fmac_f32_e32 v31, v194, v27
	v_add_f32_e32 v1, v1, v2
	v_add_f32_e32 v30, v30, v31
	v_sub_f32_e32 v1, v103, v1
	v_sub_f32_e32 v2, v104, v30
	buffer_store_dword v1, off, s[0:3], 0 offset:32
	buffer_store_dword v2, off, s[0:3], 0 offset:36
	s_and_saveexec_b64 s[4:5], vcc
	s_cbranch_execz .LBB49_307
; %bb.306:
	buffer_load_dword v103, off, s[0:3], 0 offset:24
	buffer_load_dword v104, off, s[0:3], 0 offset:28
	s_waitcnt vmcnt(0)
	ds_write_b64 v101, v[103:104]
	buffer_store_dword v102, off, s[0:3], 0 offset:24
	buffer_store_dword v102, off, s[0:3], 0 offset:28
.LBB49_307:
	s_or_b64 exec, exec, s[4:5]
	s_waitcnt lgkmcnt(0)
	; wave barrier
	buffer_load_dword v111, off, s[0:3], 0 offset:36
	buffer_load_dword v110, off, s[0:3], 0 offset:44
	;; [unrolled: 1-line block ×33, first 2 shown]
	ds_read_b128 v[112:115], v102 offset:432
	ds_read_b128 v[116:119], v102 offset:448
	;; [unrolled: 1-line block ×6, first 2 shown]
	buffer_load_dword v25, off, s[0:3], 0 offset:152
	buffer_load_dword v26, off, s[0:3], 0 offset:164
	;; [unrolled: 1-line block ×7, first 2 shown]
	ds_read_b128 v[136:139], v102 offset:528
	ds_read_b128 v[140:143], v102 offset:544
	buffer_load_dword v32, off, s[0:3], 0 offset:184
	buffer_load_dword v204, off, s[0:3], 0 offset:188
	;; [unrolled: 1-line block ×18, first 2 shown]
	v_cmp_lt_u32_e32 vcc, 2, v0
	s_waitcnt vmcnt(57) lgkmcnt(7)
	v_mul_f32_e32 v144, v112, v111
	s_waitcnt vmcnt(56)
	v_mul_f32_e32 v145, v114, v110
	s_waitcnt vmcnt(55) lgkmcnt(6)
	v_mul_f32_e32 v146, v116, v109
	s_waitcnt vmcnt(54)
	v_mul_f32_e32 v147, v118, v108
	;; [unrolled: 4-line block ×6, first 2 shown]
	s_waitcnt vmcnt(45)
	v_fmac_f32_e32 v146, v117, v6
	s_waitcnt vmcnt(44)
	v_fmac_f32_e32 v145, v115, v7
	s_waitcnt vmcnt(43)
	v_fmac_f32_e32 v144, v113, v8
	v_add_f32_e32 v144, 0, v144
	v_add_f32_e32 v144, v144, v145
	;; [unrolled: 1-line block ×3, first 2 shown]
	s_waitcnt vmcnt(39)
	v_fmac_f32_e32 v147, v119, v12
	v_fmac_f32_e32 v148, v121, v11
	v_add_f32_e32 v144, v144, v147
	v_fmac_f32_e32 v149, v123, v10
	v_add_f32_e32 v144, v144, v148
	v_fmac_f32_e32 v150, v125, v9
	v_add_f32_e32 v144, v144, v149
	s_waitcnt vmcnt(35)
	v_fmac_f32_e32 v151, v127, v16
	v_add_f32_e32 v144, v144, v150
	v_fmac_f32_e32 v152, v129, v15
	v_add_f32_e32 v144, v144, v151
	;; [unrolled: 2-line block ×4, first 2 shown]
	s_waitcnt vmcnt(31)
	v_fmac_f32_e32 v155, v135, v20
	v_add_f32_e32 v144, v144, v154
	s_waitcnt vmcnt(30) lgkmcnt(1)
	v_mul_f32_e32 v145, v136, v21
	v_add_f32_e32 v144, v144, v155
	v_fmac_f32_e32 v145, v137, v19
	v_add_f32_e32 v144, v144, v145
	s_waitcnt vmcnt(29)
	v_mul_f32_e32 v145, v138, v22
	v_fmac_f32_e32 v145, v139, v18
	v_add_f32_e32 v144, v144, v145
	s_waitcnt vmcnt(28) lgkmcnt(0)
	v_mul_f32_e32 v145, v140, v23
	v_fmac_f32_e32 v145, v141, v17
	v_add_f32_e32 v148, v144, v145
	ds_read_b128 v[144:147], v102 offset:560
	buffer_load_dword v221, off, s[0:3], 0 offset:256
	buffer_load_dword v222, off, s[0:3], 0 offset:260
	;; [unrolled: 1-line block ×6, first 2 shown]
	s_waitcnt vmcnt(33)
	v_mul_f32_e32 v149, v142, v24
	s_waitcnt vmcnt(30)
	v_fmac_f32_e32 v149, v143, v25
	v_add_f32_e32 v152, v148, v149
	ds_read_b128 v[148:151], v102 offset:576
	buffer_load_dword v227, off, s[0:3], 0 offset:280
	buffer_load_dword v228, off, s[0:3], 0 offset:284
	buffer_load_dword v229, off, s[0:3], 0 offset:288
	buffer_load_dword v230, off, s[0:3], 0 offset:292
	buffer_load_dword v231, off, s[0:3], 0 offset:300
	buffer_load_dword v232, off, s[0:3], 0 offset:304
	buffer_load_dword v233, off, s[0:3], 0 offset:308
	buffer_load_dword v234, off, s[0:3], 0 offset:296
	buffer_load_dword v235, off, s[0:3], 0 offset:312
	buffer_load_dword v236, off, s[0:3], 0 offset:316
	s_waitcnt vmcnt(39) lgkmcnt(1)
	v_mul_f32_e32 v153, v144, v26
	buffer_load_dword v237, off, s[0:3], 0 offset:320
	buffer_load_dword v238, off, s[0:3], 0 offset:324
	;; [unrolled: 1-line block ×6, first 2 shown]
	s_waitcnt vmcnt(40)
	v_fmac_f32_e32 v153, v145, v31
	v_add_f32_e32 v152, v152, v153
	v_mul_f32_e32 v153, v146, v28
	v_fmac_f32_e32 v153, v147, v27
	v_add_f32_e32 v152, v152, v153
	s_waitcnt lgkmcnt(0)
	v_mul_f32_e32 v153, v148, v30
	v_fmac_f32_e32 v153, v149, v29
	v_add_f32_e32 v156, v152, v153
	ds_read_b128 v[152:155], v102 offset:592
	buffer_load_dword v243, off, s[0:3], 0 offset:344
	buffer_load_dword v244, off, s[0:3], 0 offset:348
	s_waitcnt vmcnt(40)
	v_mul_f32_e32 v157, v150, v204
	v_fmac_f32_e32 v157, v151, v32
	v_add_f32_e32 v160, v156, v157
	ds_read_b128 v[156:159], v102 offset:608
	buffer_load_dword v245, off, s[0:3], 0 offset:352
	buffer_load_dword v246, off, s[0:3], 0 offset:356
	;; [unrolled: 1-line block ×12, first 2 shown]
	s_waitcnt vmcnt(50) lgkmcnt(1)
	v_mul_f32_e32 v161, v152, v206
	v_fmac_f32_e32 v161, v153, v205
	v_add_f32_e32 v160, v160, v161
	s_waitcnt vmcnt(48)
	v_mul_f32_e32 v161, v154, v208
	v_fmac_f32_e32 v161, v155, v207
	v_add_f32_e32 v34, v160, v161
	s_waitcnt vmcnt(46) lgkmcnt(0)
	v_mul_f32_e32 v160, v156, v210
	v_fmac_f32_e32 v160, v157, v209
	v_add_f32_e32 v34, v34, v160
	ds_read_b128 v[160:163], v102 offset:624
	s_waitcnt vmcnt(44)
	v_mul_f32_e32 v164, v158, v212
	v_fmac_f32_e32 v164, v159, v211
	v_add_f32_e32 v34, v34, v164
	ds_read_b128 v[164:167], v102 offset:640
	s_waitcnt vmcnt(42) lgkmcnt(1)
	v_mul_f32_e32 v168, v160, v214
	v_fmac_f32_e32 v168, v161, v213
	v_add_f32_e32 v34, v34, v168
	s_waitcnt vmcnt(41)
	v_mul_f32_e32 v168, v162, v215
	s_waitcnt vmcnt(38)
	v_fmac_f32_e32 v168, v163, v218
	v_add_f32_e32 v34, v34, v168
	s_waitcnt lgkmcnt(0)
	v_mul_f32_e32 v168, v164, v217
	v_fmac_f32_e32 v168, v165, v216
	v_add_f32_e32 v34, v34, v168
	ds_read_b128 v[168:171], v102 offset:656
	s_waitcnt vmcnt(36)
	v_mul_f32_e32 v172, v166, v220
	v_fmac_f32_e32 v172, v167, v219
	v_add_f32_e32 v34, v34, v172
	ds_read_b128 v[172:175], v102 offset:672
	v_mul_f32_e32 v1, v127, v1
	v_fma_f32 v1, v126, v16, -v1
	v_mul_f32_e32 v2, v129, v2
	v_fma_f32 v2, v128, v15, -v2
	s_waitcnt vmcnt(34) lgkmcnt(1)
	v_mul_f32_e32 v176, v168, v222
	v_fmac_f32_e32 v176, v169, v221
	v_add_f32_e32 v34, v34, v176
	s_waitcnt vmcnt(33)
	v_mul_f32_e32 v176, v170, v223
	s_waitcnt vmcnt(30)
	v_fmac_f32_e32 v176, v171, v226
	v_add_f32_e32 v34, v34, v176
	s_waitcnt lgkmcnt(0)
	v_mul_f32_e32 v176, v172, v225
	v_fmac_f32_e32 v176, v173, v224
	v_add_f32_e32 v34, v34, v176
	ds_read_b128 v[176:179], v102 offset:688
	s_waitcnt vmcnt(28)
	v_mul_f32_e32 v180, v174, v228
	v_fmac_f32_e32 v180, v175, v227
	v_add_f32_e32 v34, v34, v180
	ds_read_b128 v[180:183], v102 offset:704
	s_waitcnt vmcnt(26) lgkmcnt(1)
	v_mul_f32_e32 v184, v176, v230
	v_fmac_f32_e32 v184, v177, v229
	v_add_f32_e32 v34, v34, v184
	s_waitcnt vmcnt(25)
	v_mul_f32_e32 v184, v178, v231
	s_waitcnt vmcnt(22)
	v_fmac_f32_e32 v184, v179, v234
	v_add_f32_e32 v34, v34, v184
	s_waitcnt lgkmcnt(0)
	v_mul_f32_e32 v184, v180, v233
	v_fmac_f32_e32 v184, v181, v232
	v_add_f32_e32 v34, v34, v184
	ds_read_b128 v[184:187], v102 offset:720
	s_waitcnt vmcnt(20)
	v_mul_f32_e32 v188, v182, v236
	v_fmac_f32_e32 v188, v183, v235
	v_add_f32_e32 v34, v34, v188
	ds_read_b128 v[188:191], v102 offset:736
	;; [unrolled: 19-line block ×3, first 2 shown]
	s_waitcnt vmcnt(10) lgkmcnt(1)
	v_mul_f32_e32 v200, v192, v246
	v_fmac_f32_e32 v200, v193, v245
	v_add_f32_e32 v34, v34, v200
	s_waitcnt vmcnt(9)
	v_mul_f32_e32 v200, v194, v247
	s_waitcnt vmcnt(6)
	v_fmac_f32_e32 v200, v195, v250
	v_add_f32_e32 v34, v34, v200
	ds_read_b128 v[200:203], v102 offset:784
	s_waitcnt lgkmcnt(1)
	v_mul_f32_e32 v35, v196, v249
	v_fmac_f32_e32 v35, v197, v248
	v_add_f32_e32 v34, v34, v35
	s_waitcnt vmcnt(4)
	v_mul_f32_e32 v35, v198, v252
	v_fmac_f32_e32 v35, v199, v251
	v_add_f32_e32 v34, v34, v35
	s_waitcnt vmcnt(3) lgkmcnt(0)
	v_mul_f32_e32 v35, v200, v253
	s_waitcnt vmcnt(0)
	v_fmac_f32_e32 v35, v201, v33
	v_add_f32_e32 v34, v34, v35
	v_mul_f32_e32 v35, v202, v255
	v_fmac_f32_e32 v35, v203, v254
	v_add_f32_e32 v34, v34, v35
	v_mul_f32_e32 v35, v113, v111
	v_fma_f32 v8, v112, v8, -v35
	v_mul_f32_e32 v35, v115, v110
	v_add_f32_e32 v8, 0, v8
	v_fma_f32 v7, v114, v7, -v35
	v_add_f32_e32 v7, v8, v7
	v_mul_f32_e32 v8, v117, v109
	v_fma_f32 v6, v116, v6, -v8
	v_add_f32_e32 v6, v7, v6
	v_mul_f32_e32 v7, v119, v108
	;; [unrolled: 3-line block ×5, first 2 shown]
	v_fma_f32 v7, v124, v9, -v7
	v_add_f32_e32 v6, v6, v7
	v_add_f32_e32 v1, v6, v1
	v_add_f32_e32 v1, v1, v2
	v_mul_f32_e32 v2, v131, v3
	v_fma_f32 v2, v130, v14, -v2
	v_add_f32_e32 v1, v1, v2
	v_mul_f32_e32 v2, v133, v4
	v_fma_f32 v2, v132, v13, -v2
	v_add_f32_e32 v1, v1, v2
	;; [unrolled: 3-line block ×37, first 2 shown]
	v_sub_f32_e32 v1, v103, v1
	v_sub_f32_e32 v2, v104, v34
	buffer_store_dword v1, off, s[0:3], 0 offset:24
	buffer_store_dword v2, off, s[0:3], 0 offset:28
	s_and_saveexec_b64 s[4:5], vcc
	s_cbranch_execz .LBB49_309
; %bb.308:
	buffer_load_dword v102, off, s[0:3], 0 offset:16
	buffer_load_dword v103, off, s[0:3], 0 offset:20
	v_mov_b32_e32 v1, 0
	buffer_store_dword v1, off, s[0:3], 0 offset:16
	buffer_store_dword v1, off, s[0:3], 0 offset:20
	s_waitcnt vmcnt(2)
	ds_write_b64 v101, v[102:103]
.LBB49_309:
	s_or_b64 exec, exec, s[4:5]
	s_waitcnt lgkmcnt(0)
	; wave barrier
	buffer_load_dword v109, off, s[0:3], 0 offset:28
	buffer_load_dword v108, off, s[0:3], 0 offset:36
	;; [unrolled: 1-line block ×48, first 2 shown]
	v_mov_b32_e32 v102, 0
	ds_read2_b64 v[112:115], v102 offset0:53 offset1:54
	ds_read2_b64 v[116:119], v102 offset0:55 offset1:56
	;; [unrolled: 1-line block ×7, first 2 shown]
	v_cmp_lt_u32_e32 vcc, 1, v0
	s_waitcnt vmcnt(47) lgkmcnt(6)
	v_mul_f32_e32 v140, v112, v109
	s_waitcnt vmcnt(46)
	v_mul_f32_e32 v141, v114, v108
	s_waitcnt vmcnt(45) lgkmcnt(5)
	v_mul_f32_e32 v142, v116, v107
	s_waitcnt vmcnt(44)
	v_mul_f32_e32 v143, v118, v106
	;; [unrolled: 4-line block ×6, first 2 shown]
	s_waitcnt vmcnt(35)
	v_fmac_f32_e32 v142, v117, v6
	s_waitcnt vmcnt(34)
	v_fmac_f32_e32 v141, v115, v7
	;; [unrolled: 2-line block ×3, first 2 shown]
	v_add_f32_e32 v140, 0, v140
	v_add_f32_e32 v140, v140, v141
	;; [unrolled: 1-line block ×3, first 2 shown]
	s_waitcnt vmcnt(29)
	v_fmac_f32_e32 v143, v119, v12
	v_fmac_f32_e32 v144, v121, v11
	v_add_f32_e32 v140, v140, v143
	v_fmac_f32_e32 v145, v123, v10
	v_add_f32_e32 v140, v140, v144
	;; [unrolled: 2-line block ×3, first 2 shown]
	s_waitcnt vmcnt(25)
	v_fmac_f32_e32 v147, v127, v16
	v_add_f32_e32 v140, v140, v146
	v_fmac_f32_e32 v148, v129, v15
	v_add_f32_e32 v140, v140, v147
	;; [unrolled: 2-line block ×4, first 2 shown]
	s_waitcnt vmcnt(21)
	v_fmac_f32_e32 v151, v135, v20
	v_add_f32_e32 v140, v140, v150
	v_add_f32_e32 v144, v140, v151
	ds_read2_b64 v[140:143], v102 offset0:67 offset1:68
	buffer_load_dword v209, off, s[0:3], 0 offset:208
	buffer_load_dword v210, off, s[0:3], 0 offset:212
	;; [unrolled: 1-line block ×8, first 2 shown]
	s_waitcnt vmcnt(28) lgkmcnt(1)
	v_mul_f32_e32 v145, v136, v21
	buffer_load_dword v217, off, s[0:3], 0 offset:240
	buffer_load_dword v218, off, s[0:3], 0 offset:244
	v_fmac_f32_e32 v145, v137, v19
	v_add_f32_e32 v144, v144, v145
	s_waitcnt vmcnt(29)
	v_mul_f32_e32 v145, v138, v22
	v_fmac_f32_e32 v145, v139, v18
	v_add_f32_e32 v144, v144, v145
	s_waitcnt vmcnt(28) lgkmcnt(0)
	v_mul_f32_e32 v145, v140, v23
	v_fmac_f32_e32 v145, v141, v17
	v_add_f32_e32 v148, v144, v145
	ds_read2_b64 v[144:147], v102 offset0:69 offset1:70
	buffer_load_dword v219, off, s[0:3], 0 offset:248
	buffer_load_dword v220, off, s[0:3], 0 offset:252
	;; [unrolled: 1-line block ×6, first 2 shown]
	s_waitcnt vmcnt(33)
	v_mul_f32_e32 v149, v142, v24
	s_waitcnt vmcnt(26)
	v_fmac_f32_e32 v149, v143, v31
	v_add_f32_e32 v152, v148, v149
	ds_read2_b64 v[148:151], v102 offset0:71 offset1:72
	buffer_load_dword v225, off, s[0:3], 0 offset:272
	buffer_load_dword v226, off, s[0:3], 0 offset:276
	;; [unrolled: 1-line block ×8, first 2 shown]
	s_waitcnt lgkmcnt(1)
	v_mul_f32_e32 v153, v144, v26
	buffer_load_dword v233, off, s[0:3], 0 offset:304
	buffer_load_dword v234, off, s[0:3], 0 offset:308
	v_fmac_f32_e32 v153, v145, v25
	v_add_f32_e32 v152, v152, v153
	v_mul_f32_e32 v153, v146, v28
	v_fmac_f32_e32 v153, v147, v27
	v_add_f32_e32 v152, v152, v153
	s_waitcnt lgkmcnt(0)
	v_mul_f32_e32 v153, v148, v30
	v_fmac_f32_e32 v153, v149, v29
	v_add_f32_e32 v156, v152, v153
	ds_read2_b64 v[152:155], v102 offset0:73 offset1:74
	buffer_load_dword v235, off, s[0:3], 0 offset:312
	buffer_load_dword v236, off, s[0:3], 0 offset:316
	;; [unrolled: 1-line block ×6, first 2 shown]
	s_waitcnt vmcnt(38)
	v_mul_f32_e32 v157, v150, v33
	v_fmac_f32_e32 v157, v151, v32
	v_add_f32_e32 v160, v156, v157
	ds_read2_b64 v[156:159], v102 offset0:75 offset1:76
	buffer_load_dword v241, off, s[0:3], 0 offset:336
	buffer_load_dword v242, off, s[0:3], 0 offset:340
	;; [unrolled: 1-line block ×16, first 2 shown]
	s_waitcnt vmcnt(52) lgkmcnt(1)
	v_mul_f32_e32 v161, v152, v35
	v_fmac_f32_e32 v161, v153, v34
	v_add_f32_e32 v160, v160, v161
	s_waitcnt vmcnt(50)
	v_mul_f32_e32 v161, v154, v206
	v_fmac_f32_e32 v161, v155, v36
	v_add_f32_e32 v160, v160, v161
	s_waitcnt vmcnt(48) lgkmcnt(0)
	v_mul_f32_e32 v161, v156, v208
	v_fmac_f32_e32 v161, v157, v207
	v_add_f32_e32 v164, v160, v161
	ds_read2_b64 v[160:163], v102 offset0:77 offset1:78
	v_mul_f32_e32 v1, v127, v1
	v_fma_f32 v1, v126, v16, -v1
	v_mul_f32_e32 v2, v129, v2
	v_fma_f32 v2, v128, v15, -v2
	s_waitcnt vmcnt(46)
	v_mul_f32_e32 v38, v158, v210
	v_fmac_f32_e32 v38, v159, v209
	v_add_f32_e32 v38, v164, v38
	ds_read2_b64 v[164:167], v102 offset0:79 offset1:80
	s_waitcnt vmcnt(44) lgkmcnt(1)
	v_mul_f32_e32 v168, v160, v212
	v_fmac_f32_e32 v168, v161, v211
	v_add_f32_e32 v38, v38, v168
	s_waitcnt vmcnt(43)
	v_mul_f32_e32 v168, v162, v213
	s_waitcnt vmcnt(40)
	v_fmac_f32_e32 v168, v163, v216
	v_add_f32_e32 v38, v38, v168
	s_waitcnt lgkmcnt(0)
	v_mul_f32_e32 v168, v164, v215
	v_fmac_f32_e32 v168, v165, v214
	v_add_f32_e32 v38, v38, v168
	ds_read2_b64 v[168:171], v102 offset0:81 offset1:82
	s_waitcnt vmcnt(38)
	v_mul_f32_e32 v172, v166, v218
	v_fmac_f32_e32 v172, v167, v217
	v_add_f32_e32 v38, v38, v172
	ds_read2_b64 v[172:175], v102 offset0:83 offset1:84
	s_waitcnt vmcnt(36) lgkmcnt(1)
	v_mul_f32_e32 v176, v168, v220
	v_fmac_f32_e32 v176, v169, v219
	v_add_f32_e32 v38, v38, v176
	s_waitcnt vmcnt(35)
	v_mul_f32_e32 v176, v170, v221
	s_waitcnt vmcnt(32)
	v_fmac_f32_e32 v176, v171, v224
	v_add_f32_e32 v38, v38, v176
	s_waitcnt lgkmcnt(0)
	v_mul_f32_e32 v176, v172, v223
	v_fmac_f32_e32 v176, v173, v222
	v_add_f32_e32 v38, v38, v176
	ds_read2_b64 v[176:179], v102 offset0:85 offset1:86
	;; [unrolled: 19-line block ×5, first 2 shown]
	s_waitcnt vmcnt(6)
	v_mul_f32_e32 v204, v198, v250
	v_fmac_f32_e32 v204, v199, v249
	v_add_f32_e32 v38, v38, v204
	ds_read_b64 v[204:205], v102 offset:792
	s_waitcnt vmcnt(4) lgkmcnt(1)
	v_mul_f32_e32 v39, v200, v252
	v_fmac_f32_e32 v39, v201, v251
	v_add_f32_e32 v38, v38, v39
	s_waitcnt vmcnt(3)
	v_mul_f32_e32 v39, v202, v253
	s_waitcnt vmcnt(0)
	v_fmac_f32_e32 v39, v203, v37
	v_add_f32_e32 v38, v38, v39
	s_waitcnt lgkmcnt(0)
	v_mul_f32_e32 v39, v204, v255
	v_fmac_f32_e32 v39, v205, v254
	v_add_f32_e32 v38, v38, v39
	v_mul_f32_e32 v39, v113, v109
	v_fma_f32 v8, v112, v8, -v39
	v_mul_f32_e32 v39, v115, v108
	v_add_f32_e32 v8, 0, v8
	v_fma_f32 v7, v114, v7, -v39
	v_add_f32_e32 v7, v8, v7
	v_mul_f32_e32 v8, v117, v107
	v_fma_f32 v6, v116, v6, -v8
	v_add_f32_e32 v6, v7, v6
	v_mul_f32_e32 v7, v119, v106
	;; [unrolled: 3-line block ×5, first 2 shown]
	v_fma_f32 v7, v124, v9, -v7
	v_add_f32_e32 v6, v6, v7
	v_add_f32_e32 v1, v6, v1
	;; [unrolled: 1-line block ×3, first 2 shown]
	v_mul_f32_e32 v2, v131, v3
	v_fma_f32 v2, v130, v14, -v2
	v_add_f32_e32 v1, v1, v2
	v_mul_f32_e32 v2, v133, v4
	v_fma_f32 v2, v132, v13, -v2
	v_add_f32_e32 v1, v1, v2
	;; [unrolled: 3-line block ×38, first 2 shown]
	v_sub_f32_e32 v1, v110, v1
	v_sub_f32_e32 v2, v111, v38
	buffer_store_dword v1, off, s[0:3], 0 offset:16
	buffer_store_dword v2, off, s[0:3], 0 offset:20
	s_and_saveexec_b64 s[4:5], vcc
	s_cbranch_execz .LBB49_311
; %bb.310:
	buffer_load_dword v103, off, s[0:3], 0 offset:8
	buffer_load_dword v104, off, s[0:3], 0 offset:12
	s_waitcnt vmcnt(0)
	ds_write_b64 v101, v[103:104]
	buffer_store_dword v102, off, s[0:3], 0 offset:8
	buffer_store_dword v102, off, s[0:3], 0 offset:12
.LBB49_311:
	s_or_b64 exec, exec, s[4:5]
	s_waitcnt lgkmcnt(0)
	; wave barrier
	buffer_load_dword v109, off, s[0:3], 0 offset:20
	buffer_load_dword v108, off, s[0:3], 0 offset:28
	;; [unrolled: 1-line block ×40, first 2 shown]
	ds_read_b128 v[140:143], v102 offset:416
	ds_read_b128 v[144:147], v102 offset:432
	;; [unrolled: 1-line block ×7, first 2 shown]
	buffer_load_dword v4, off, s[0:3], 0 offset:168
	buffer_load_dword v5, off, s[0:3], 0 offset:172
	;; [unrolled: 1-line block ×8, first 2 shown]
	v_cmp_ne_u32_e32 vcc, 0, v0
	s_waitcnt vmcnt(47) lgkmcnt(6)
	v_mul_f32_e32 v12, v140, v109
	s_waitcnt vmcnt(46)
	v_mul_f32_e32 v13, v142, v108
	s_waitcnt vmcnt(45) lgkmcnt(5)
	v_mul_f32_e32 v14, v144, v107
	s_waitcnt vmcnt(44)
	v_mul_f32_e32 v15, v146, v106
	;; [unrolled: 4-line block ×6, first 2 shown]
	s_waitcnt vmcnt(35)
	v_fmac_f32_e32 v14, v145, v122
	s_waitcnt vmcnt(34)
	v_fmac_f32_e32 v13, v143, v125
	;; [unrolled: 2-line block ×3, first 2 shown]
	v_add_f32_e32 v12, 0, v12
	v_add_f32_e32 v12, v12, v13
	;; [unrolled: 1-line block ×3, first 2 shown]
	buffer_load_dword v13, off, s[0:3], 0 offset:200
	buffer_load_dword v14, off, s[0:3], 0 offset:204
	s_waitcnt vmcnt(31)
	v_fmac_f32_e32 v15, v147, v127
	v_fmac_f32_e32 v16, v149, v124
	v_add_f32_e32 v12, v12, v15
	v_fmac_f32_e32 v17, v151, v121
	v_add_f32_e32 v12, v12, v16
	;; [unrolled: 2-line block ×3, first 2 shown]
	s_waitcnt vmcnt(27)
	v_fmac_f32_e32 v19, v155, v123
	v_add_f32_e32 v12, v12, v18
	v_fmac_f32_e32 v20, v157, v120
	v_add_f32_e32 v12, v12, v19
	;; [unrolled: 2-line block ×4, first 2 shown]
	ds_read_b128 v[168:171], v102 offset:528
	s_waitcnt vmcnt(23)
	v_fmac_f32_e32 v23, v163, v135
	v_add_f32_e32 v12, v12, v22
	s_waitcnt vmcnt(22) lgkmcnt(1)
	v_mul_f32_e32 v15, v164, v134
	v_add_f32_e32 v12, v12, v23
	v_fmac_f32_e32 v15, v165, v131
	v_add_f32_e32 v12, v12, v15
	s_waitcnt vmcnt(21)
	v_mul_f32_e32 v15, v166, v132
	v_fmac_f32_e32 v15, v167, v129
	v_add_f32_e32 v12, v12, v15
	s_waitcnt vmcnt(20) lgkmcnt(0)
	v_mul_f32_e32 v15, v168, v130
	v_fmac_f32_e32 v15, v169, v126
	v_add_f32_e32 v12, v12, v15
	buffer_load_dword v15, off, s[0:3], 0 offset:208
	buffer_load_dword v16, off, s[0:3], 0 offset:212
	;; [unrolled: 1-line block ×6, first 2 shown]
	s_waitcnt vmcnt(25)
	v_mul_f32_e32 v21, v170, v133
	s_waitcnt vmcnt(18)
	v_fmac_f32_e32 v21, v171, v3
	ds_read_b128 v[172:175], v102 offset:544
	v_add_f32_e32 v12, v12, v21
	buffer_load_dword v21, off, s[0:3], 0 offset:232
	buffer_load_dword v22, off, s[0:3], 0 offset:236
	ds_read_b128 v[176:179], v102 offset:560
	buffer_load_dword v24, off, s[0:3], 0 offset:240
	buffer_load_dword v25, off, s[0:3], 0 offset:244
	;; [unrolled: 1-line block ×14, first 2 shown]
	s_waitcnt lgkmcnt(1)
	v_mul_f32_e32 v23, v172, v137
	v_fmac_f32_e32 v23, v173, v136
	v_add_f32_e32 v12, v12, v23
	v_mul_f32_e32 v23, v174, v139
	buffer_load_dword v38, off, s[0:3], 0 offset:296
	buffer_load_dword v39, off, s[0:3], 0 offset:300
	v_fmac_f32_e32 v23, v175, v138
	v_add_f32_e32 v12, v12, v23
	s_waitcnt lgkmcnt(0)
	v_mul_f32_e32 v23, v176, v2
	v_fmac_f32_e32 v23, v177, v1
	v_add_f32_e32 v12, v12, v23
	s_waitcnt vmcnt(32)
	v_mul_f32_e32 v23, v178, v5
	v_fmac_f32_e32 v23, v179, v4
	ds_read_b128 v[180:183], v102 offset:576
	v_add_f32_e32 v12, v12, v23
	buffer_load_dword v23, off, s[0:3], 0 offset:304
	buffer_load_dword v40, off, s[0:3], 0 offset:308
	;; [unrolled: 1-line block ×6, first 2 shown]
	ds_read_b128 v[184:187], v102 offset:592
	buffer_load_dword v240, off, s[0:3], 0 offset:328
	buffer_load_dword v241, off, s[0:3], 0 offset:332
	;; [unrolled: 1-line block ×10, first 2 shown]
	s_waitcnt vmcnt(46) lgkmcnt(1)
	v_mul_f32_e32 v188, v180, v7
	v_fmac_f32_e32 v188, v181, v6
	v_add_f32_e32 v12, v12, v188
	s_waitcnt vmcnt(44)
	v_mul_f32_e32 v188, v182, v9
	v_fmac_f32_e32 v188, v183, v8
	v_add_f32_e32 v12, v12, v188
	s_waitcnt vmcnt(42) lgkmcnt(0)
	v_mul_f32_e32 v188, v184, v11
	buffer_load_dword v250, off, s[0:3], 0 offset:368
	buffer_load_dword v251, off, s[0:3], 0 offset:372
	buffer_load_dword v252, off, s[0:3], 0 offset:380
	buffer_load_dword v253, off, s[0:3], 0 offset:384
	buffer_load_dword v254, off, s[0:3], 0 offset:388
	buffer_load_dword v255, off, s[0:3], 0 offset:376
	v_fmac_f32_e32 v188, v185, v10
	v_add_f32_e32 v12, v12, v188
	ds_read_b128 v[188:191], v102 offset:608
	v_mul_f32_e32 v108, v143, v108
	v_fma_f32 v108, v142, v125, -v108
	v_mul_f32_e32 v107, v145, v107
	v_fma_f32 v107, v144, v122, -v107
	;; [unrolled: 2-line block ×5, first 2 shown]
	v_mul_f32_e32 v103, v153, v103
	s_waitcnt vmcnt(46)
	v_mul_f32_e32 v192, v186, v14
	v_fmac_f32_e32 v192, v187, v13
	v_add_f32_e32 v12, v12, v192
	ds_read_b128 v[192:195], v102 offset:624
	buffer_load_dword v41, off, s[0:3], 0 offset:392
	buffer_load_dword v42, off, s[0:3], 0 offset:396
	v_fma_f32 v103, v152, v119, -v103
	v_mul_f32_e32 v2, v177, v2
	v_fma_f32 v1, v176, v1, -v2
	v_mul_f32_e32 v2, v179, v5
	v_fma_f32 v2, v178, v4, -v2
	s_waitcnt vmcnt(46) lgkmcnt(1)
	v_mul_f32_e32 v196, v188, v16
	v_fmac_f32_e32 v196, v189, v15
	v_add_f32_e32 v12, v12, v196
	s_waitcnt vmcnt(45)
	v_mul_f32_e32 v196, v190, v17
	s_waitcnt vmcnt(42)
	v_fmac_f32_e32 v196, v191, v20
	v_add_f32_e32 v12, v12, v196
	s_waitcnt lgkmcnt(0)
	v_mul_f32_e32 v196, v192, v19
	v_fmac_f32_e32 v196, v193, v18
	v_add_f32_e32 v12, v12, v196
	ds_read_b128 v[196:199], v102 offset:640
	s_waitcnt vmcnt(40)
	v_mul_f32_e32 v200, v194, v22
	v_fmac_f32_e32 v200, v195, v21
	v_add_f32_e32 v12, v12, v200
	ds_read_b128 v[200:203], v102 offset:656
	s_waitcnt vmcnt(38) lgkmcnt(1)
	v_mul_f32_e32 v204, v196, v25
	v_fmac_f32_e32 v204, v197, v24
	v_add_f32_e32 v12, v12, v204
	s_waitcnt vmcnt(37)
	v_mul_f32_e32 v204, v198, v26
	s_waitcnt vmcnt(34)
	v_fmac_f32_e32 v204, v199, v29
	v_add_f32_e32 v12, v12, v204
	s_waitcnt lgkmcnt(0)
	v_mul_f32_e32 v204, v200, v28
	v_fmac_f32_e32 v204, v201, v27
	v_add_f32_e32 v12, v12, v204
	ds_read_b128 v[204:207], v102 offset:672
	s_waitcnt vmcnt(32)
	v_mul_f32_e32 v208, v202, v31
	v_fmac_f32_e32 v208, v203, v30
	v_add_f32_e32 v12, v12, v208
	ds_read_b128 v[208:211], v102 offset:688
	;; [unrolled: 19-line block ×5, first 2 shown]
	s_waitcnt vmcnt(6) lgkmcnt(1)
	v_mul_f32_e32 v102, v228, v251
	v_fmac_f32_e32 v102, v229, v250
	v_add_f32_e32 v12, v12, v102
	s_waitcnt vmcnt(5)
	v_mul_f32_e32 v102, v230, v252
	s_waitcnt vmcnt(2)
	v_fmac_f32_e32 v102, v231, v255
	v_add_f32_e32 v12, v12, v102
	s_waitcnt lgkmcnt(0)
	v_mul_f32_e32 v102, v232, v254
	v_fmac_f32_e32 v102, v233, v253
	v_add_f32_e32 v12, v12, v102
	s_waitcnt vmcnt(0)
	v_mul_f32_e32 v102, v234, v42
	v_fmac_f32_e32 v102, v235, v41
	v_add_f32_e32 v12, v12, v102
	v_mul_f32_e32 v102, v141, v109
	v_fma_f32 v102, v140, v128, -v102
	v_add_f32_e32 v102, 0, v102
	v_add_f32_e32 v102, v102, v108
	;; [unrolled: 1-line block ×7, first 2 shown]
	v_mul_f32_e32 v103, v155, v112
	v_fma_f32 v103, v154, v123, -v103
	v_add_f32_e32 v102, v102, v103
	v_mul_f32_e32 v103, v157, v113
	v_fma_f32 v103, v156, v120, -v103
	v_add_f32_e32 v102, v102, v103
	;; [unrolled: 3-line block ×11, first 2 shown]
	v_add_f32_e32 v1, v3, v1
	v_add_f32_e32 v1, v1, v2
	v_mul_f32_e32 v2, v181, v7
	v_fma_f32 v2, v180, v6, -v2
	v_add_f32_e32 v1, v1, v2
	v_mul_f32_e32 v2, v183, v9
	v_fma_f32 v2, v182, v8, -v2
	;; [unrolled: 3-line block ×28, first 2 shown]
	v_add_f32_e32 v1, v1, v2
	v_sub_f32_e32 v1, v110, v1
	v_sub_f32_e32 v2, v111, v12
	buffer_store_dword v1, off, s[0:3], 0 offset:8
	buffer_store_dword v2, off, s[0:3], 0 offset:12
	s_and_saveexec_b64 s[4:5], vcc
	s_cbranch_execz .LBB49_313
; %bb.312:
	buffer_load_dword v102, off, s[0:3], 0
	buffer_load_dword v103, off, s[0:3], 0 offset:4
	v_mov_b32_e32 v0, 0
	buffer_store_dword v0, off, s[0:3], 0
	buffer_store_dword v0, off, s[0:3], 0 offset:4
	s_waitcnt vmcnt(2)
	ds_write_b64 v101, v[102:103]
.LBB49_313:
	s_or_b64 exec, exec, s[4:5]
	s_waitcnt lgkmcnt(0)
	; wave barrier
	buffer_load_dword v106, off, s[0:3], 0 offset:12
	buffer_load_dword v105, off, s[0:3], 0 offset:20
	;; [unrolled: 1-line block ×38, first 2 shown]
	buffer_load_dword v108, off, s[0:3], 0
	buffer_load_dword v109, off, s[0:3], 0 offset:4
	buffer_load_dword v28, off, s[0:3], 0 offset:160
	;; [unrolled: 1-line block ×11, first 2 shown]
	v_mov_b32_e32 v107, 0
	ds_read2_b64 v[114:117], v107 offset0:51 offset1:52
	ds_read2_b64 v[118:121], v107 offset0:53 offset1:54
	ds_read2_b64 v[122:125], v107 offset0:55 offset1:56
	ds_read2_b64 v[126:129], v107 offset0:57 offset1:58
	ds_read2_b64 v[130:133], v107 offset0:59 offset1:60
	ds_read2_b64 v[134:137], v107 offset0:61 offset1:62
	ds_read2_b64 v[138:141], v107 offset0:63 offset1:64
	s_and_b64 vcc, exec, s[22:23]
	s_waitcnt vmcnt(49) lgkmcnt(6)
	v_mul_f32_e32 v38, v114, v106
	s_waitcnt vmcnt(48)
	v_mul_f32_e32 v39, v116, v105
	s_waitcnt vmcnt(47) lgkmcnt(5)
	v_mul_f32_e32 v40, v118, v104
	s_waitcnt vmcnt(46)
	v_mul_f32_e32 v41, v120, v103
	;; [unrolled: 4-line block ×5, first 2 shown]
	s_waitcnt vmcnt(39) lgkmcnt(1)
	v_mul_f32_e32 v147, v134, v113
	s_waitcnt vmcnt(38)
	v_fmac_f32_e32 v40, v119, v1
	s_waitcnt vmcnt(37)
	v_fmac_f32_e32 v39, v117, v2
	;; [unrolled: 2-line block ×3, first 2 shown]
	v_add_f32_e32 v38, 0, v38
	v_add_f32_e32 v38, v38, v39
	;; [unrolled: 1-line block ×3, first 2 shown]
	s_waitcnt vmcnt(32)
	v_fmac_f32_e32 v41, v121, v7
	v_fmac_f32_e32 v42, v123, v6
	v_add_f32_e32 v38, v38, v41
	v_fmac_f32_e32 v142, v125, v5
	v_add_f32_e32 v38, v38, v42
	;; [unrolled: 2-line block ×3, first 2 shown]
	s_waitcnt vmcnt(28)
	v_fmac_f32_e32 v144, v129, v11
	v_add_f32_e32 v38, v38, v143
	v_fmac_f32_e32 v145, v131, v10
	v_add_f32_e32 v38, v38, v144
	;; [unrolled: 2-line block ×4, first 2 shown]
	s_waitcnt vmcnt(27)
	v_mul_f32_e32 v39, v136, v12
	v_add_f32_e32 v38, v38, v147
	s_waitcnt vmcnt(23)
	v_fmac_f32_e32 v39, v137, v16
	v_add_f32_e32 v38, v38, v39
	s_waitcnt vmcnt(22) lgkmcnt(0)
	v_mul_f32_e32 v39, v138, v17
	v_fmac_f32_e32 v39, v139, v15
	ds_read2_b64 v[142:145], v107 offset0:65 offset1:66
	v_add_f32_e32 v38, v38, v39
	buffer_load_dword v39, off, s[0:3], 0 offset:200
	buffer_load_dword v40, off, s[0:3], 0 offset:204
	ds_read2_b64 v[146:149], v107 offset0:67 offset1:68
	buffer_load_dword v42, off, s[0:3], 0 offset:212
	buffer_load_dword v212, off, s[0:3], 0 offset:216
	;; [unrolled: 1-line block ×4, first 2 shown]
	s_waitcnt vmcnt(27)
	v_mul_f32_e32 v41, v140, v18
	v_fmac_f32_e32 v41, v141, v14
	v_add_f32_e32 v38, v38, v41
	s_waitcnt vmcnt(26) lgkmcnt(1)
	v_mul_f32_e32 v41, v142, v19
	ds_read2_b64 v[150:153], v107 offset0:69 offset1:70
	buffer_load_dword v215, off, s[0:3], 0 offset:224
	buffer_load_dword v216, off, s[0:3], 0 offset:228
	v_fmac_f32_e32 v41, v143, v13
	v_add_f32_e32 v38, v38, v41
	s_waitcnt vmcnt(27)
	v_mul_f32_e32 v41, v144, v20
	s_waitcnt vmcnt(21)
	v_fmac_f32_e32 v41, v145, v26
	v_add_f32_e32 v38, v38, v41
	s_waitcnt vmcnt(20) lgkmcnt(1)
	v_mul_f32_e32 v41, v146, v27
	v_fmac_f32_e32 v41, v147, v25
	v_add_f32_e32 v38, v38, v41
	buffer_load_dword v41, off, s[0:3], 0 offset:232
	buffer_load_dword v217, off, s[0:3], 0 offset:236
	;; [unrolled: 1-line block ×14, first 2 shown]
	v_mul_f32_e32 v154, v148, v22
	v_fmac_f32_e32 v154, v149, v21
	v_add_f32_e32 v38, v38, v154
	s_waitcnt lgkmcnt(0)
	v_mul_f32_e32 v154, v150, v24
	v_fmac_f32_e32 v154, v151, v23
	v_add_f32_e32 v38, v38, v154
	ds_read2_b64 v[154:157], v107 offset0:71 offset1:72
	buffer_load_dword v230, off, s[0:3], 0 offset:288
	buffer_load_dword v231, off, s[0:3], 0 offset:292
	s_waitcnt vmcnt(32)
	v_mul_f32_e32 v158, v152, v29
	v_fmac_f32_e32 v158, v153, v28
	v_add_f32_e32 v38, v38, v158
	ds_read2_b64 v[158:161], v107 offset0:73 offset1:74
	buffer_load_dword v232, off, s[0:3], 0 offset:296
	buffer_load_dword v233, off, s[0:3], 0 offset:300
	;; [unrolled: 1-line block ×14, first 2 shown]
	s_waitcnt vmcnt(44) lgkmcnt(1)
	v_mul_f32_e32 v162, v154, v31
	v_fmac_f32_e32 v162, v155, v30
	buffer_load_dword v246, off, s[0:3], 0 offset:352
	buffer_load_dword v247, off, s[0:3], 0 offset:356
	v_add_f32_e32 v38, v38, v162
	s_waitcnt vmcnt(44)
	v_mul_f32_e32 v162, v156, v33
	v_fmac_f32_e32 v162, v157, v32
	v_add_f32_e32 v38, v38, v162
	s_waitcnt vmcnt(42) lgkmcnt(0)
	v_mul_f32_e32 v162, v158, v35
	v_fmac_f32_e32 v162, v159, v34
	v_add_f32_e32 v38, v38, v162
	ds_read2_b64 v[162:165], v107 offset0:75 offset1:76
	buffer_load_dword v248, off, s[0:3], 0 offset:360
	buffer_load_dword v249, off, s[0:3], 0 offset:364
	;; [unrolled: 1-line block ×6, first 2 shown]
	s_waitcnt vmcnt(46)
	v_mul_f32_e32 v166, v160, v37
	v_fmac_f32_e32 v166, v161, v36
	v_add_f32_e32 v38, v38, v166
	ds_read2_b64 v[166:169], v107 offset0:77 offset1:78
	buffer_load_dword v254, off, s[0:3], 0 offset:388
	buffer_load_dword v255, off, s[0:3], 0 offset:392
	;; [unrolled: 1-line block ×4, first 2 shown]
	v_mul_f32_e32 v0, v127, v0
	v_fma_f32 v0, v126, v4, -v0
	s_waitcnt vmcnt(48) lgkmcnt(1)
	v_mul_f32_e32 v170, v162, v40
	v_fmac_f32_e32 v170, v163, v39
	v_add_f32_e32 v38, v38, v170
	s_waitcnt vmcnt(47)
	v_mul_f32_e32 v170, v164, v42
	s_waitcnt vmcnt(44)
	v_fmac_f32_e32 v170, v165, v214
	v_add_f32_e32 v38, v38, v170
	s_waitcnt lgkmcnt(0)
	v_mul_f32_e32 v170, v166, v213
	v_fmac_f32_e32 v170, v167, v212
	v_add_f32_e32 v38, v38, v170
	ds_read2_b64 v[170:173], v107 offset0:79 offset1:80
	s_waitcnt vmcnt(42)
	v_mul_f32_e32 v174, v168, v216
	v_fmac_f32_e32 v174, v169, v215
	v_add_f32_e32 v38, v38, v174
	ds_read2_b64 v[174:177], v107 offset0:81 offset1:82
	s_waitcnt vmcnt(40) lgkmcnt(1)
	v_mul_f32_e32 v178, v170, v217
	v_fmac_f32_e32 v178, v171, v41
	v_add_f32_e32 v38, v38, v178
	s_waitcnt vmcnt(39)
	v_mul_f32_e32 v178, v172, v218
	s_waitcnt vmcnt(36)
	v_fmac_f32_e32 v178, v173, v221
	v_add_f32_e32 v38, v38, v178
	s_waitcnt lgkmcnt(0)
	v_mul_f32_e32 v178, v174, v220
	v_fmac_f32_e32 v178, v175, v219
	v_add_f32_e32 v38, v38, v178
	ds_read2_b64 v[178:181], v107 offset0:83 offset1:84
	s_waitcnt vmcnt(34)
	v_mul_f32_e32 v182, v176, v223
	v_fmac_f32_e32 v182, v177, v222
	v_add_f32_e32 v38, v38, v182
	ds_read2_b64 v[182:185], v107 offset0:85 offset1:86
	;; [unrolled: 19-line block ×5, first 2 shown]
	s_waitcnt vmcnt(8) lgkmcnt(1)
	v_mul_f32_e32 v210, v202, v249
	v_fmac_f32_e32 v210, v203, v248
	v_add_f32_e32 v38, v38, v210
	s_waitcnt vmcnt(7)
	v_mul_f32_e32 v210, v204, v250
	s_waitcnt vmcnt(4)
	v_fmac_f32_e32 v210, v205, v253
	v_add_f32_e32 v38, v38, v210
	ds_read_b64 v[210:211], v107 offset:792
	s_waitcnt lgkmcnt(1)
	v_mul_f32_e32 v45, v206, v252
	v_fmac_f32_e32 v45, v207, v251
	v_add_f32_e32 v38, v38, v45
	s_waitcnt vmcnt(3)
	v_mul_f32_e32 v45, v208, v254
	s_waitcnt vmcnt(0)
	v_fmac_f32_e32 v45, v209, v44
	v_add_f32_e32 v38, v38, v45
	s_waitcnt lgkmcnt(0)
	v_mul_f32_e32 v45, v210, v43
	v_fmac_f32_e32 v45, v211, v255
	v_add_f32_e32 v38, v38, v45
	v_mul_f32_e32 v45, v115, v106
	v_fma_f32 v3, v114, v3, -v45
	v_mul_f32_e32 v45, v117, v105
	v_add_f32_e32 v3, 0, v3
	v_fma_f32 v2, v116, v2, -v45
	v_add_f32_e32 v2, v3, v2
	v_mul_f32_e32 v3, v119, v104
	v_fma_f32 v1, v118, v1, -v3
	v_add_f32_e32 v1, v2, v1
	v_mul_f32_e32 v2, v121, v103
	;; [unrolled: 3-line block ×4, first 2 shown]
	v_fma_f32 v2, v124, v5, -v2
	v_add_f32_e32 v1, v1, v2
	v_add_f32_e32 v0, v1, v0
	v_mul_f32_e32 v1, v129, v110
	v_fma_f32 v1, v128, v11, -v1
	v_add_f32_e32 v0, v0, v1
	v_mul_f32_e32 v1, v131, v111
	v_fma_f32 v1, v130, v10, -v1
	;; [unrolled: 3-line block ×42, first 2 shown]
	v_add_f32_e32 v0, v0, v1
	v_sub_f32_e32 v0, v108, v0
	v_sub_f32_e32 v1, v109, v38
	buffer_store_dword v0, off, s[0:3], 0
	buffer_store_dword v1, off, s[0:3], 0 offset:4
	s_cbranch_vccz .LBB49_412
; %bb.314:
	global_load_dword v0, v107, s[20:21] offset:192
	s_waitcnt vmcnt(0)
	v_add_u32_e32 v0, -1, v0
	v_cmp_ne_u32_e32 vcc, 48, v0
	s_cbranch_vccz .LBB49_316
; %bb.315:
	v_lshlrev_b32_e32 v0, 3, v0
	buffer_load_dword v1, v0, s[0:3], 0 offen
	buffer_load_dword v2, v0, s[0:3], 0 offen offset:4
	buffer_load_dword v3, off, s[0:3], 0 offset:388
	buffer_load_dword v4, off, s[0:3], 0 offset:384
	s_waitcnt vmcnt(3)
	buffer_store_dword v1, off, s[0:3], 0 offset:384
	s_waitcnt vmcnt(3)
	buffer_store_dword v2, off, s[0:3], 0 offset:388
	s_waitcnt vmcnt(3)
	buffer_store_dword v3, v0, s[0:3], 0 offen offset:4
	s_waitcnt vmcnt(3)
	buffer_store_dword v4, v0, s[0:3], 0 offen
.LBB49_316:
	v_mov_b32_e32 v0, 0
	global_load_dword v1, v0, s[20:21] offset:188
	s_waitcnt vmcnt(0)
	v_add_u32_e32 v101, -1, v1
	v_cmp_eq_u32_e32 vcc, 47, v101
	s_cbranch_vccnz .LBB49_318
; %bb.317:
	v_lshlrev_b32_e32 v1, 3, v101
	buffer_load_dword v2, v1, s[0:3], 0 offen
	buffer_load_dword v3, v1, s[0:3], 0 offen offset:4
	buffer_load_dword v4, off, s[0:3], 0 offset:376
	buffer_load_dword v5, off, s[0:3], 0 offset:380
	s_waitcnt vmcnt(3)
	buffer_store_dword v2, off, s[0:3], 0 offset:376
	s_waitcnt vmcnt(3)
	buffer_store_dword v3, off, s[0:3], 0 offset:380
	s_waitcnt vmcnt(3)
	buffer_store_dword v4, v1, s[0:3], 0 offen
	s_waitcnt vmcnt(3)
	buffer_store_dword v5, v1, s[0:3], 0 offen offset:4
.LBB49_318:
	global_load_dword v0, v0, s[20:21] offset:184
	s_waitcnt vmcnt(0)
	v_add_u32_e32 v0, -1, v0
	v_cmp_eq_u32_e32 vcc, 46, v0
	s_cbranch_vccnz .LBB49_320
; %bb.319:
	v_lshlrev_b32_e32 v0, 3, v0
	buffer_load_dword v1, v0, s[0:3], 0 offen
	buffer_load_dword v2, v0, s[0:3], 0 offen offset:4
	buffer_load_dword v3, off, s[0:3], 0 offset:372
	buffer_load_dword v4, off, s[0:3], 0 offset:368
	s_waitcnt vmcnt(3)
	buffer_store_dword v1, off, s[0:3], 0 offset:368
	s_waitcnt vmcnt(3)
	buffer_store_dword v2, off, s[0:3], 0 offset:372
	s_waitcnt vmcnt(3)
	buffer_store_dword v3, v0, s[0:3], 0 offen offset:4
	s_waitcnt vmcnt(3)
	buffer_store_dword v4, v0, s[0:3], 0 offen
.LBB49_320:
	v_mov_b32_e32 v0, 0
	global_load_dword v1, v0, s[20:21] offset:180
	s_waitcnt vmcnt(0)
	v_add_u32_e32 v101, -1, v1
	v_cmp_eq_u32_e32 vcc, 45, v101
	s_cbranch_vccnz .LBB49_322
; %bb.321:
	v_lshlrev_b32_e32 v1, 3, v101
	buffer_load_dword v2, v1, s[0:3], 0 offen
	buffer_load_dword v3, v1, s[0:3], 0 offen offset:4
	buffer_load_dword v4, off, s[0:3], 0 offset:360
	buffer_load_dword v5, off, s[0:3], 0 offset:364
	s_waitcnt vmcnt(3)
	buffer_store_dword v2, off, s[0:3], 0 offset:360
	s_waitcnt vmcnt(3)
	buffer_store_dword v3, off, s[0:3], 0 offset:364
	s_waitcnt vmcnt(3)
	buffer_store_dword v4, v1, s[0:3], 0 offen
	s_waitcnt vmcnt(3)
	buffer_store_dword v5, v1, s[0:3], 0 offen offset:4
.LBB49_322:
	global_load_dword v0, v0, s[20:21] offset:176
	s_waitcnt vmcnt(0)
	v_add_u32_e32 v0, -1, v0
	v_cmp_eq_u32_e32 vcc, 44, v0
	s_cbranch_vccnz .LBB49_324
; %bb.323:
	v_lshlrev_b32_e32 v0, 3, v0
	buffer_load_dword v1, v0, s[0:3], 0 offen
	buffer_load_dword v2, v0, s[0:3], 0 offen offset:4
	buffer_load_dword v3, off, s[0:3], 0 offset:356
	buffer_load_dword v4, off, s[0:3], 0 offset:352
	s_waitcnt vmcnt(3)
	buffer_store_dword v1, off, s[0:3], 0 offset:352
	s_waitcnt vmcnt(3)
	buffer_store_dword v2, off, s[0:3], 0 offset:356
	s_waitcnt vmcnt(3)
	buffer_store_dword v3, v0, s[0:3], 0 offen offset:4
	s_waitcnt vmcnt(3)
	buffer_store_dword v4, v0, s[0:3], 0 offen
.LBB49_324:
	;; [unrolled: 41-line block ×23, first 2 shown]
	v_mov_b32_e32 v0, 0
	global_load_dword v1, v0, s[20:21] offset:4
	s_waitcnt vmcnt(0)
	v_add_u32_e32 v101, -1, v1
	v_cmp_eq_u32_e32 vcc, 1, v101
	s_cbranch_vccnz .LBB49_410
; %bb.409:
	v_lshlrev_b32_e32 v1, 3, v101
	buffer_load_dword v2, v1, s[0:3], 0 offen
	buffer_load_dword v3, v1, s[0:3], 0 offen offset:4
	buffer_load_dword v4, off, s[0:3], 0 offset:8
	buffer_load_dword v5, off, s[0:3], 0 offset:12
	s_waitcnt vmcnt(3)
	buffer_store_dword v2, off, s[0:3], 0 offset:8
	s_waitcnt vmcnt(3)
	buffer_store_dword v3, off, s[0:3], 0 offset:12
	s_waitcnt vmcnt(3)
	buffer_store_dword v4, v1, s[0:3], 0 offen
	s_waitcnt vmcnt(3)
	buffer_store_dword v5, v1, s[0:3], 0 offen offset:4
.LBB49_410:
	global_load_dword v0, v0, s[20:21]
	s_waitcnt vmcnt(0)
	v_add_u32_e32 v0, -1, v0
	v_cmp_eq_u32_e32 vcc, 0, v0
	s_cbranch_vccnz .LBB49_412
; %bb.411:
	v_lshlrev_b32_e32 v0, 3, v0
	buffer_load_dword v1, v0, s[0:3], 0 offen
	buffer_load_dword v2, v0, s[0:3], 0 offen offset:4
	buffer_load_dword v3, off, s[0:3], 0 offset:4
	buffer_load_dword v4, off, s[0:3], 0
	s_waitcnt vmcnt(3)
	buffer_store_dword v1, off, s[0:3], 0
	s_waitcnt vmcnt(3)
	buffer_store_dword v2, off, s[0:3], 0 offset:4
	s_waitcnt vmcnt(3)
	buffer_store_dword v3, v0, s[0:3], 0 offen offset:4
	s_waitcnt vmcnt(3)
	buffer_store_dword v4, v0, s[0:3], 0 offen
.LBB49_412:
	buffer_load_dword v101, off, s[0:3], 0
	buffer_load_dword v102, off, s[0:3], 0 offset:4
	buffer_load_dword v103, off, s[0:3], 0 offset:8
	;; [unrolled: 1-line block ×99, first 2 shown]
	s_waitcnt vmcnt(62)
	global_store_dwordx2 v[91:92], v[101:102], off
	global_store_dwordx2 v[93:94], v[103:104], off
	buffer_load_dword v0, off, s[0:3], 0 offset:400 ; 4-byte Folded Reload
	buffer_load_dword v1, off, s[0:3], 0 offset:404 ; 4-byte Folded Reload
	s_waitcnt vmcnt(0)
	global_store_dwordx2 v[0:1], v[105:106], off
	buffer_load_dword v0, off, s[0:3], 0 offset:408 ; 4-byte Folded Reload
	s_nop 0
	buffer_load_dword v1, off, s[0:3], 0 offset:412 ; 4-byte Folded Reload
	s_waitcnt vmcnt(0)
	global_store_dwordx2 v[0:1], v[107:108], off
	buffer_load_dword v0, off, s[0:3], 0 offset:416 ; 4-byte Folded Reload
	s_nop 0
	;; [unrolled: 5-line block ×22, first 2 shown]
	buffer_load_dword v1, off, s[0:3], 0 offset:580 ; 4-byte Folded Reload
	s_waitcnt vmcnt(0)
	global_store_dwordx2 v[0:1], v[149:150], off
	global_store_dwordx2 v[47:48], v[151:152], off
	;; [unrolled: 1-line block ×26, first 2 shown]
	s_endpgm
	.section	.rodata,"a",@progbits
	.p2align	6, 0x0
	.amdhsa_kernel _ZN9rocsolver6v33100L18getri_kernel_smallILi50E19rocblas_complex_numIfEPS3_EEvT1_iilPiilS6_bb
		.amdhsa_group_segment_fixed_size 804
		.amdhsa_private_segment_fixed_size 592
		.amdhsa_kernarg_size 60
		.amdhsa_user_sgpr_count 6
		.amdhsa_user_sgpr_private_segment_buffer 1
		.amdhsa_user_sgpr_dispatch_ptr 0
		.amdhsa_user_sgpr_queue_ptr 0
		.amdhsa_user_sgpr_kernarg_segment_ptr 1
		.amdhsa_user_sgpr_dispatch_id 0
		.amdhsa_user_sgpr_flat_scratch_init 0
		.amdhsa_user_sgpr_private_segment_size 0
		.amdhsa_uses_dynamic_stack 0
		.amdhsa_system_sgpr_private_segment_wavefront_offset 1
		.amdhsa_system_sgpr_workgroup_id_x 1
		.amdhsa_system_sgpr_workgroup_id_y 0
		.amdhsa_system_sgpr_workgroup_id_z 0
		.amdhsa_system_sgpr_workgroup_info 0
		.amdhsa_system_vgpr_workitem_id 0
		.amdhsa_next_free_vgpr 256
		.amdhsa_next_free_sgpr 24
		.amdhsa_reserve_vcc 1
		.amdhsa_reserve_flat_scratch 0
		.amdhsa_float_round_mode_32 0
		.amdhsa_float_round_mode_16_64 0
		.amdhsa_float_denorm_mode_32 3
		.amdhsa_float_denorm_mode_16_64 3
		.amdhsa_dx10_clamp 1
		.amdhsa_ieee_mode 1
		.amdhsa_fp16_overflow 0
		.amdhsa_exception_fp_ieee_invalid_op 0
		.amdhsa_exception_fp_denorm_src 0
		.amdhsa_exception_fp_ieee_div_zero 0
		.amdhsa_exception_fp_ieee_overflow 0
		.amdhsa_exception_fp_ieee_underflow 0
		.amdhsa_exception_fp_ieee_inexact 0
		.amdhsa_exception_int_div_zero 0
	.end_amdhsa_kernel
	.section	.text._ZN9rocsolver6v33100L18getri_kernel_smallILi50E19rocblas_complex_numIfEPS3_EEvT1_iilPiilS6_bb,"axG",@progbits,_ZN9rocsolver6v33100L18getri_kernel_smallILi50E19rocblas_complex_numIfEPS3_EEvT1_iilPiilS6_bb,comdat
.Lfunc_end49:
	.size	_ZN9rocsolver6v33100L18getri_kernel_smallILi50E19rocblas_complex_numIfEPS3_EEvT1_iilPiilS6_bb, .Lfunc_end49-_ZN9rocsolver6v33100L18getri_kernel_smallILi50E19rocblas_complex_numIfEPS3_EEvT1_iilPiilS6_bb
                                        ; -- End function
	.set _ZN9rocsolver6v33100L18getri_kernel_smallILi50E19rocblas_complex_numIfEPS3_EEvT1_iilPiilS6_bb.num_vgpr, 256
	.set _ZN9rocsolver6v33100L18getri_kernel_smallILi50E19rocblas_complex_numIfEPS3_EEvT1_iilPiilS6_bb.num_agpr, 0
	.set _ZN9rocsolver6v33100L18getri_kernel_smallILi50E19rocblas_complex_numIfEPS3_EEvT1_iilPiilS6_bb.numbered_sgpr, 24
	.set _ZN9rocsolver6v33100L18getri_kernel_smallILi50E19rocblas_complex_numIfEPS3_EEvT1_iilPiilS6_bb.num_named_barrier, 0
	.set _ZN9rocsolver6v33100L18getri_kernel_smallILi50E19rocblas_complex_numIfEPS3_EEvT1_iilPiilS6_bb.private_seg_size, 592
	.set _ZN9rocsolver6v33100L18getri_kernel_smallILi50E19rocblas_complex_numIfEPS3_EEvT1_iilPiilS6_bb.uses_vcc, 1
	.set _ZN9rocsolver6v33100L18getri_kernel_smallILi50E19rocblas_complex_numIfEPS3_EEvT1_iilPiilS6_bb.uses_flat_scratch, 0
	.set _ZN9rocsolver6v33100L18getri_kernel_smallILi50E19rocblas_complex_numIfEPS3_EEvT1_iilPiilS6_bb.has_dyn_sized_stack, 0
	.set _ZN9rocsolver6v33100L18getri_kernel_smallILi50E19rocblas_complex_numIfEPS3_EEvT1_iilPiilS6_bb.has_recursion, 0
	.set _ZN9rocsolver6v33100L18getri_kernel_smallILi50E19rocblas_complex_numIfEPS3_EEvT1_iilPiilS6_bb.has_indirect_call, 0
	.section	.AMDGPU.csdata,"",@progbits
; Kernel info:
; codeLenInByte = 93588
; TotalNumSgprs: 28
; NumVgprs: 256
; ScratchSize: 592
; MemoryBound: 0
; FloatMode: 240
; IeeeMode: 1
; LDSByteSize: 804 bytes/workgroup (compile time only)
; SGPRBlocks: 3
; VGPRBlocks: 63
; NumSGPRsForWavesPerEU: 28
; NumVGPRsForWavesPerEU: 256
; Occupancy: 1
; WaveLimiterHint : 1
; COMPUTE_PGM_RSRC2:SCRATCH_EN: 1
; COMPUTE_PGM_RSRC2:USER_SGPR: 6
; COMPUTE_PGM_RSRC2:TRAP_HANDLER: 0
; COMPUTE_PGM_RSRC2:TGID_X_EN: 1
; COMPUTE_PGM_RSRC2:TGID_Y_EN: 0
; COMPUTE_PGM_RSRC2:TGID_Z_EN: 0
; COMPUTE_PGM_RSRC2:TIDIG_COMP_CNT: 0
	.section	.text._ZN9rocsolver6v33100L18getri_kernel_smallILi51E19rocblas_complex_numIfEPS3_EEvT1_iilPiilS6_bb,"axG",@progbits,_ZN9rocsolver6v33100L18getri_kernel_smallILi51E19rocblas_complex_numIfEPS3_EEvT1_iilPiilS6_bb,comdat
	.globl	_ZN9rocsolver6v33100L18getri_kernel_smallILi51E19rocblas_complex_numIfEPS3_EEvT1_iilPiilS6_bb ; -- Begin function _ZN9rocsolver6v33100L18getri_kernel_smallILi51E19rocblas_complex_numIfEPS3_EEvT1_iilPiilS6_bb
	.p2align	8
	.type	_ZN9rocsolver6v33100L18getri_kernel_smallILi51E19rocblas_complex_numIfEPS3_EEvT1_iilPiilS6_bb,@function
_ZN9rocsolver6v33100L18getri_kernel_smallILi51E19rocblas_complex_numIfEPS3_EEvT1_iilPiilS6_bb: ; @_ZN9rocsolver6v33100L18getri_kernel_smallILi51E19rocblas_complex_numIfEPS3_EEvT1_iilPiilS6_bb
; %bb.0:
	s_add_u32 s0, s0, s7
	s_addc_u32 s1, s1, 0
	v_cmp_gt_u32_e32 vcc, 51, v0
	s_and_saveexec_b64 s[8:9], vcc
	s_cbranch_execz .LBB50_218
; %bb.1:
	s_load_dword s12, s[4:5], 0x38
	s_load_dwordx4 s[16:19], s[4:5], 0x10
	s_load_dwordx4 s[8:11], s[4:5], 0x28
                                        ; implicit-def: $sgpr20_sgpr21
	s_waitcnt lgkmcnt(0)
	s_bitcmp1_b32 s12, 8
	s_cselect_b64 s[22:23], -1, 0
	s_ashr_i32 s7, s6, 31
	s_bfe_u32 s12, s12, 0x10008
	s_cmp_eq_u32 s12, 0
	s_cbranch_scc1 .LBB50_3
; %bb.2:
	s_load_dword s12, s[4:5], 0x20
	s_mul_i32 s13, s8, s7
	s_mul_hi_u32 s14, s8, s6
	s_mul_i32 s9, s9, s6
	s_add_i32 s14, s14, s13
	s_add_i32 s9, s14, s9
	s_mul_i32 s8, s8, s6
	s_waitcnt lgkmcnt(0)
	s_ashr_i32 s13, s12, 31
	s_lshl_b64 s[8:9], s[8:9], 2
	s_add_u32 s14, s18, s8
	s_addc_u32 s15, s19, s9
	s_lshl_b64 s[8:9], s[12:13], 2
	s_add_u32 s20, s14, s8
	s_addc_u32 s21, s15, s9
.LBB50_3:
	s_load_dwordx4 s[12:15], s[4:5], 0x0
	s_load_dword s8, s[4:5], 0x38
	s_mul_i32 s9, s16, s7
	s_mul_hi_u32 s18, s16, s6
	s_add_i32 s9, s18, s9
	s_waitcnt lgkmcnt(0)
	s_ashr_i32 s5, s14, 31
	s_mov_b32 s4, s14
	s_mul_i32 s14, s17, s6
	s_add_i32 s17, s9, s14
	s_mul_i32 s16, s16, s6
	s_lshl_b64 s[16:17], s[16:17], 3
	s_add_u32 s9, s12, s16
	s_addc_u32 s12, s13, s17
	s_lshl_b64 s[4:5], s[4:5], 3
	s_add_u32 s4, s9, s4
	s_addc_u32 s5, s12, s5
	s_add_i32 s9, s15, s15
	v_add_u32_e32 v3, s9, v0
	v_ashrrev_i32_e32 v4, 31, v3
	v_lshlrev_b64 v[1:2], 3, v[3:4]
	v_add_u32_e32 v5, s15, v3
	v_mov_b32_e32 v4, s5
	v_add_co_u32_e32 v1, vcc, s4, v1
	v_ashrrev_i32_e32 v6, 31, v5
	v_addc_co_u32_e32 v2, vcc, v4, v2, vcc
	v_lshlrev_b64 v[3:4], 3, v[5:6]
	v_add_u32_e32 v7, s15, v5
	v_mov_b32_e32 v6, s5
	v_add_co_u32_e32 v3, vcc, s4, v3
	v_ashrrev_i32_e32 v8, 31, v7
	v_addc_co_u32_e32 v4, vcc, v6, v4, vcc
	;; [unrolled: 6-line block ×8, first 2 shown]
	v_lshlrev_b64 v[17:18], 3, v[19:20]
	v_mov_b32_e32 v21, s5
	v_add_co_u32_e32 v17, vcc, s4, v17
	v_addc_co_u32_e32 v18, vcc, v21, v18, vcc
	v_add_u32_e32 v21, s15, v19
	v_ashrrev_i32_e32 v22, 31, v21
	v_lshlrev_b64 v[19:20], 3, v[21:22]
	v_mov_b32_e32 v23, s5
	v_add_co_u32_e32 v19, vcc, s4, v19
	v_addc_co_u32_e32 v20, vcc, v23, v20, vcc
	v_add_u32_e32 v23, s15, v21
	v_ashrrev_i32_e32 v24, 31, v23
	;; [unrolled: 6-line block ×34, first 2 shown]
	v_lshlrev_b64 v[85:86], 3, v[87:88]
	v_mov_b32_e32 v89, s5
	v_add_co_u32_e32 v85, vcc, s4, v85
	v_addc_co_u32_e32 v86, vcc, v89, v86, vcc
	v_lshlrev_b32_e32 v105, 3, v0
	v_add_u32_e32 v89, s15, v87
	v_mov_b32_e32 v87, s5
	v_add_co_u32_e32 v93, vcc, s4, v105
	s_ashr_i32 s13, s15, 31
	s_mov_b32 s12, s15
	v_addc_co_u32_e32 v94, vcc, 0, v87, vcc
	s_lshl_b64 s[12:13], s[12:13], 3
	v_mov_b32_e32 v87, s13
	v_add_co_u32_e32 v95, vcc, s12, v93
	v_addc_co_u32_e32 v96, vcc, v94, v87, vcc
	global_load_dwordx2 v[103:104], v105, s[4:5]
	global_load_dwordx2 v[106:107], v[95:96], off
	s_nop 0
	buffer_store_dword v1, off, s[0:3], 0 offset:408 ; 4-byte Folded Spill
	s_nop 0
	buffer_store_dword v2, off, s[0:3], 0 offset:412 ; 4-byte Folded Spill
	v_ashrrev_i32_e32 v90, 31, v89
	v_lshlrev_b64 v[87:88], 3, v[89:90]
	v_mov_b32_e32 v91, s5
	v_add_co_u32_e32 v87, vcc, s4, v87
	v_addc_co_u32_e32 v88, vcc, v91, v88, vcc
	v_add_u32_e32 v91, s15, v89
	v_ashrrev_i32_e32 v92, 31, v91
	v_lshlrev_b64 v[89:90], 3, v[91:92]
	v_mov_b32_e32 v97, s5
	v_add_co_u32_e32 v89, vcc, s4, v89
	v_addc_co_u32_e32 v90, vcc, v97, v90, vcc
	v_add_u32_e32 v97, s15, v91
	;; [unrolled: 6-line block ×5, first 2 shown]
	v_ashrrev_i32_e32 v102, 31, v101
	v_lshlrev_b64 v[101:102], 3, v[101:102]
	v_mov_b32_e32 v162, s5
	v_add_co_u32_e32 v101, vcc, s4, v101
	v_addc_co_u32_e32 v102, vcc, v162, v102, vcc
	s_bitcmp0_b32 s8, 0
	s_mov_b64 s[8:9], -1
	global_load_dwordx2 v[108:109], v[1:2], off
	s_nop 0
	buffer_store_dword v3, off, s[0:3], 0 offset:416 ; 4-byte Folded Spill
	s_nop 0
	buffer_store_dword v4, off, s[0:3], 0 offset:420 ; 4-byte Folded Spill
	global_load_dwordx2 v[110:111], v[3:4], off
	s_nop 0
	buffer_store_dword v5, off, s[0:3], 0 offset:424 ; 4-byte Folded Spill
	s_nop 0
	buffer_store_dword v6, off, s[0:3], 0 offset:428 ; 4-byte Folded Spill
	;; [unrolled: 5-line block ×25, first 2 shown]
	global_load_dwordx2 v[158:159], v[51:52], off
	global_load_dwordx2 v[160:161], v[53:54], off
	;; [unrolled: 1-line block ×14, first 2 shown]
	s_waitcnt vmcnt(62)
	buffer_store_dword v104, off, s[0:3], 0 offset:4
	buffer_store_dword v103, off, s[0:3], 0
	global_load_dwordx2 v[103:104], v[59:60], off
	s_nop 0
	buffer_store_dword v107, off, s[0:3], 0 offset:12
	buffer_store_dword v106, off, s[0:3], 0 offset:8
	global_load_dwordx2 v[106:107], v[63:64], off
	s_nop 0
	buffer_store_dword v109, off, s[0:3], 0 offset:20
	buffer_store_dword v108, off, s[0:3], 0 offset:16
	;; [unrolled: 4-line block ×10, first 2 shown]
	s_waitcnt vmcnt(62)
	buffer_store_dword v126, off, s[0:3], 0 offset:88
	buffer_store_dword v127, off, s[0:3], 0 offset:92
	buffer_store_dword v128, off, s[0:3], 0 offset:96
	buffer_store_dword v129, off, s[0:3], 0 offset:100
	buffer_store_dword v130, off, s[0:3], 0 offset:104
	buffer_store_dword v131, off, s[0:3], 0 offset:108
	buffer_store_dword v133, off, s[0:3], 0 offset:116
	buffer_store_dword v132, off, s[0:3], 0 offset:112
	buffer_store_dword v134, off, s[0:3], 0 offset:120
	buffer_store_dword v135, off, s[0:3], 0 offset:124
	buffer_store_dword v136, off, s[0:3], 0 offset:128
	buffer_store_dword v137, off, s[0:3], 0 offset:132
	buffer_store_dword v138, off, s[0:3], 0 offset:136
	buffer_store_dword v139, off, s[0:3], 0 offset:140
	buffer_store_dword v140, off, s[0:3], 0 offset:144
	buffer_store_dword v141, off, s[0:3], 0 offset:148
	buffer_store_dword v143, off, s[0:3], 0 offset:156
	buffer_store_dword v142, off, s[0:3], 0 offset:152
	buffer_store_dword v145, off, s[0:3], 0 offset:164
	buffer_store_dword v144, off, s[0:3], 0 offset:160
	buffer_store_dword v146, off, s[0:3], 0 offset:168
	buffer_store_dword v147, off, s[0:3], 0 offset:172
	s_waitcnt vmcnt(62)
	buffer_store_dword v148, off, s[0:3], 0 offset:176
	buffer_store_dword v149, off, s[0:3], 0 offset:180
	;; [unrolled: 1-line block ×18, first 2 shown]
	s_waitcnt vmcnt(62)
	buffer_store_dword v104, off, s[0:3], 0 offset:252
	buffer_store_dword v103, off, s[0:3], 0 offset:248
	;; [unrolled: 1-line block ×12, first 2 shown]
	s_waitcnt vmcnt(62)
	buffer_store_dword v111, off, s[0:3], 0 offset:300
	buffer_store_dword v110, off, s[0:3], 0 offset:296
	buffer_store_dword v173, off, s[0:3], 0 offset:308
	buffer_store_dword v172, off, s[0:3], 0 offset:304
	buffer_store_dword v112, off, s[0:3], 0 offset:312
	buffer_store_dword v113, off, s[0:3], 0 offset:316
	buffer_store_dword v174, off, s[0:3], 0 offset:320
	buffer_store_dword v175, off, s[0:3], 0 offset:324
	buffer_store_dword v114, off, s[0:3], 0 offset:328
	buffer_store_dword v115, off, s[0:3], 0 offset:332
	buffer_store_dword v176, off, s[0:3], 0 offset:336
	buffer_store_dword v177, off, s[0:3], 0 offset:340
	buffer_store_dword v117, off, s[0:3], 0 offset:348
	buffer_store_dword v116, off, s[0:3], 0 offset:344
	buffer_store_dword v179, off, s[0:3], 0 offset:356
	buffer_store_dword v178, off, s[0:3], 0 offset:352
	s_waitcnt vmcnt(62)
	buffer_store_dword v118, off, s[0:3], 0 offset:360
	buffer_store_dword v119, off, s[0:3], 0 offset:364
	;; [unrolled: 1-line block ×12, first 2 shown]
	s_cbranch_scc1 .LBB50_216
; %bb.4:
	v_cmp_eq_u32_e64 s[4:5], 0, v0
	s_and_saveexec_b64 s[8:9], s[4:5]
; %bb.5:
	v_mov_b32_e32 v103, 0
	ds_write_b32 v103, v103 offset:408
; %bb.6:
	s_or_b64 exec, exec, s[8:9]
	v_mov_b32_e32 v103, 0
	v_lshl_add_u32 v107, v0, 3, v103
	s_waitcnt lgkmcnt(0)
	; wave barrier
	buffer_load_dword v103, v107, s[0:3], 0 offen
	buffer_load_dword v104, v107, s[0:3], 0 offen offset:4
	s_waitcnt vmcnt(1)
	v_cmp_eq_f32_e32 vcc, 0, v103
	s_waitcnt vmcnt(0)
	v_cmp_eq_f32_e64 s[8:9], 0, v104
	s_and_b64 s[8:9], vcc, s[8:9]
	s_and_saveexec_b64 s[12:13], s[8:9]
	s_cbranch_execz .LBB50_10
; %bb.7:
	v_mov_b32_e32 v103, 0
	ds_read_b32 v106, v103 offset:408
	v_add_u32_e32 v104, 1, v0
	s_waitcnt lgkmcnt(0)
	v_readfirstlane_b32 s8, v106
	s_cmp_eq_u32 s8, 0
	s_cselect_b64 s[14:15], -1, 0
	v_cmp_gt_i32_e32 vcc, s8, v104
	s_or_b64 s[14:15], s[14:15], vcc
	s_and_b64 exec, exec, s[14:15]
	s_cbranch_execz .LBB50_10
; %bb.8:
	s_mov_b64 s[14:15], 0
	v_mov_b32_e32 v106, s8
.LBB50_9:                               ; =>This Inner Loop Header: Depth=1
	ds_cmpst_rtn_b32 v106, v103, v106, v104 offset:408
	s_waitcnt lgkmcnt(0)
	v_cmp_ne_u32_e32 vcc, 0, v106
	v_cmp_le_i32_e64 s[8:9], v106, v104
	s_and_b64 s[8:9], vcc, s[8:9]
	s_and_b64 s[8:9], exec, s[8:9]
	s_or_b64 s[14:15], s[8:9], s[14:15]
	s_andn2_b64 exec, exec, s[14:15]
	s_cbranch_execnz .LBB50_9
.LBB50_10:
	s_or_b64 exec, exec, s[12:13]
	v_mov_b32_e32 v104, 0
	; wave barrier
	ds_read_b32 v103, v104 offset:408
	s_and_saveexec_b64 s[8:9], s[4:5]
	s_cbranch_execz .LBB50_12
; %bb.11:
	s_lshl_b64 s[12:13], s[6:7], 2
	s_add_u32 s12, s10, s12
	s_addc_u32 s13, s11, s13
	s_waitcnt lgkmcnt(0)
	global_store_dword v104, v103, s[12:13]
.LBB50_12:
	s_or_b64 exec, exec, s[8:9]
	s_waitcnt lgkmcnt(0)
	v_cmp_ne_u32_e32 vcc, 0, v103
	s_mov_b64 s[8:9], 0
	s_cbranch_vccnz .LBB50_216
; %bb.13:
	buffer_load_dword v104, v107, s[0:3], 0 offen
	buffer_load_dword v106, v107, s[0:3], 0 offen offset:4
                                        ; implicit-def: $vgpr109
                                        ; implicit-def: $vgpr108
                                        ; implicit-def: $vgpr103
	s_waitcnt vmcnt(0)
	v_cmp_ngt_f32_e64 s[8:9], |v104|, |v106|
	s_and_saveexec_b64 s[12:13], s[8:9]
	s_xor_b64 s[8:9], exec, s[12:13]
	s_cbranch_execz .LBB50_15
; %bb.14:
	v_div_scale_f32 v103, s[12:13], v106, v106, v104
	v_div_scale_f32 v108, vcc, v104, v106, v104
	v_rcp_f32_e32 v109, v103
	v_fma_f32 v110, -v103, v109, 1.0
	v_fmac_f32_e32 v109, v110, v109
	v_mul_f32_e32 v110, v108, v109
	v_fma_f32 v111, -v103, v110, v108
	v_fmac_f32_e32 v110, v111, v109
	v_fma_f32 v103, -v103, v110, v108
	v_div_fmas_f32 v103, v103, v109, v110
	v_div_fixup_f32 v103, v103, v106, v104
	v_fmac_f32_e32 v106, v104, v103
	v_div_scale_f32 v104, s[12:13], v106, v106, 1.0
	v_div_scale_f32 v108, vcc, 1.0, v106, 1.0
	v_rcp_f32_e32 v109, v104
	v_fma_f32 v110, -v104, v109, 1.0
	v_fmac_f32_e32 v109, v110, v109
	v_mul_f32_e32 v110, v108, v109
	v_fma_f32 v111, -v104, v110, v108
	v_fmac_f32_e32 v110, v111, v109
	v_fma_f32 v104, -v104, v110, v108
	v_div_fmas_f32 v104, v104, v109, v110
	v_div_fixup_f32 v104, v104, v106, 1.0
	v_mul_f32_e32 v109, v103, v104
	v_xor_b32_e32 v108, 0x80000000, v104
	v_xor_b32_e32 v103, 0x80000000, v109
                                        ; implicit-def: $vgpr104
                                        ; implicit-def: $vgpr106
.LBB50_15:
	s_andn2_saveexec_b64 s[8:9], s[8:9]
	s_cbranch_execz .LBB50_17
; %bb.16:
	v_div_scale_f32 v103, s[12:13], v104, v104, v106
	v_div_scale_f32 v108, vcc, v106, v104, v106
	v_rcp_f32_e32 v109, v103
	v_fma_f32 v110, -v103, v109, 1.0
	v_fmac_f32_e32 v109, v110, v109
	v_mul_f32_e32 v110, v108, v109
	v_fma_f32 v111, -v103, v110, v108
	v_fmac_f32_e32 v110, v111, v109
	v_fma_f32 v103, -v103, v110, v108
	v_div_fmas_f32 v103, v103, v109, v110
	v_div_fixup_f32 v108, v103, v104, v106
	v_fmac_f32_e32 v104, v106, v108
	v_div_scale_f32 v103, s[12:13], v104, v104, 1.0
	v_div_scale_f32 v106, vcc, 1.0, v104, 1.0
	v_rcp_f32_e32 v109, v103
	v_fma_f32 v110, -v103, v109, 1.0
	v_fmac_f32_e32 v109, v110, v109
	v_mul_f32_e32 v110, v106, v109
	v_fma_f32 v111, -v103, v110, v106
	v_fmac_f32_e32 v110, v111, v109
	v_fma_f32 v103, -v103, v110, v106
	v_div_fmas_f32 v103, v103, v109, v110
	v_div_fixup_f32 v109, v103, v104, 1.0
	v_xor_b32_e32 v103, 0x80000000, v109
	v_mul_f32_e64 v108, v108, -v109
.LBB50_17:
	s_or_b64 exec, exec, s[8:9]
	buffer_store_dword v109, v107, s[0:3], 0 offen
	buffer_store_dword v108, v107, s[0:3], 0 offen offset:4
	buffer_load_dword v110, off, s[0:3], 0 offset:12
	s_nop 0
	buffer_load_dword v109, off, s[0:3], 0 offset:8
	v_xor_b32_e32 v104, 0x80000000, v108
	v_add_u32_e32 v106, 0x1a0, v105
	s_waitcnt vmcnt(0)
	ds_write2_b64 v105, v[103:104], v[109:110] offset1:52
	s_waitcnt lgkmcnt(0)
	; wave barrier
	s_and_saveexec_b64 s[8:9], s[4:5]
	s_cbranch_execz .LBB50_19
; %bb.18:
	buffer_load_dword v110, v107, s[0:3], 0 offen offset:4
	buffer_load_dword v111, v107, s[0:3], 0 offen
	ds_read_b64 v[103:104], v106
	v_mov_b32_e32 v108, 0
	ds_read_b64 v[108:109], v108 offset:8
	s_waitcnt vmcnt(1) lgkmcnt(1)
	v_mul_f32_e32 v112, v104, v110
	v_mul_f32_e32 v110, v103, v110
	s_waitcnt vmcnt(0)
	v_fmac_f32_e32 v110, v104, v111
	v_fma_f32 v103, v103, v111, -v112
	v_add_f32_e32 v104, 0, v110
	v_add_f32_e32 v103, 0, v103
	s_waitcnt lgkmcnt(0)
	v_mul_f32_e32 v110, v104, v109
	v_mul_f32_e32 v109, v103, v109
	v_fma_f32 v103, v103, v108, -v110
	v_fmac_f32_e32 v109, v104, v108
	buffer_store_dword v103, off, s[0:3], 0 offset:8
	buffer_store_dword v109, off, s[0:3], 0 offset:12
.LBB50_19:
	s_or_b64 exec, exec, s[8:9]
	; wave barrier
	buffer_load_dword v103, off, s[0:3], 0 offset:16
	buffer_load_dword v104, off, s[0:3], 0 offset:20
	v_cmp_gt_u32_e32 vcc, 2, v0
	s_waitcnt vmcnt(0)
	ds_write_b64 v106, v[103:104]
	s_waitcnt lgkmcnt(0)
	; wave barrier
	s_and_saveexec_b64 s[8:9], vcc
	s_cbranch_execz .LBB50_23
; %bb.20:
	buffer_load_dword v108, v107, s[0:3], 0 offen offset:4
	buffer_load_dword v109, v107, s[0:3], 0 offen
	ds_read_b64 v[103:104], v106
	s_waitcnt vmcnt(1) lgkmcnt(0)
	v_mul_f32_e32 v107, v104, v108
	v_mul_f32_e32 v108, v103, v108
	s_waitcnt vmcnt(0)
	v_fma_f32 v103, v103, v109, -v107
	v_fmac_f32_e32 v108, v104, v109
	v_add_f32_e32 v104, 0, v103
	v_add_f32_e32 v103, 0, v108
	s_and_saveexec_b64 s[12:13], s[4:5]
	s_cbranch_execz .LBB50_22
; %bb.21:
	buffer_load_dword v109, off, s[0:3], 0 offset:12
	buffer_load_dword v110, off, s[0:3], 0 offset:8
	v_mov_b32_e32 v107, 0
	ds_read_b64 v[107:108], v107 offset:424
	s_waitcnt vmcnt(1) lgkmcnt(0)
	v_mul_f32_e32 v111, v107, v109
	v_mul_f32_e32 v109, v108, v109
	s_waitcnt vmcnt(0)
	v_fmac_f32_e32 v111, v108, v110
	v_fma_f32 v107, v107, v110, -v109
	v_add_f32_e32 v103, v103, v111
	v_add_f32_e32 v104, v104, v107
.LBB50_22:
	s_or_b64 exec, exec, s[12:13]
	v_mov_b32_e32 v107, 0
	ds_read_b64 v[107:108], v107 offset:16
	s_waitcnt lgkmcnt(0)
	v_mul_f32_e32 v109, v103, v108
	v_mul_f32_e32 v108, v104, v108
	v_fma_f32 v104, v104, v107, -v109
	v_fmac_f32_e32 v108, v103, v107
	buffer_store_dword v104, off, s[0:3], 0 offset:16
	buffer_store_dword v108, off, s[0:3], 0 offset:20
.LBB50_23:
	s_or_b64 exec, exec, s[8:9]
	; wave barrier
	buffer_load_dword v103, off, s[0:3], 0 offset:24
	buffer_load_dword v104, off, s[0:3], 0 offset:28
	v_cmp_gt_u32_e32 vcc, 3, v0
	s_waitcnt vmcnt(0)
	ds_write_b64 v106, v[103:104]
	v_add_u32_e32 v103, -1, v0
	s_waitcnt lgkmcnt(0)
	; wave barrier
	s_and_saveexec_b64 s[4:5], vcc
	s_cbranch_execz .LBB50_27
; %bb.24:
	v_add_u32_e32 v107, -1, v0
	v_add_u32_e32 v108, 0x1a0, v105
	v_mov_b32_e32 v109, v105
	v_mov_b32_e32 v104, 0
	s_mov_b64 s[8:9], 0
	v_mov_b32_e32 v110, 0
.LBB50_25:                              ; =>This Inner Loop Header: Depth=1
	buffer_load_dword v113, v109, s[0:3], 0 offen offset:4
	buffer_load_dword v114, v109, s[0:3], 0 offen
	ds_read_b64 v[111:112], v108
	v_add_u32_e32 v107, 1, v107
	v_cmp_lt_u32_e32 vcc, 1, v107
	v_add_u32_e32 v108, 8, v108
	v_add_u32_e32 v109, 8, v109
	s_or_b64 s[8:9], vcc, s[8:9]
	s_waitcnt vmcnt(1) lgkmcnt(0)
	v_mul_f32_e32 v115, v112, v113
	v_mul_f32_e32 v113, v111, v113
	s_waitcnt vmcnt(0)
	v_fma_f32 v111, v111, v114, -v115
	v_fmac_f32_e32 v113, v112, v114
	v_add_f32_e32 v110, v110, v111
	v_add_f32_e32 v104, v104, v113
	s_andn2_b64 exec, exec, s[8:9]
	s_cbranch_execnz .LBB50_25
; %bb.26:
	s_or_b64 exec, exec, s[8:9]
	v_mov_b32_e32 v107, 0
	ds_read_b64 v[107:108], v107 offset:24
	s_waitcnt lgkmcnt(0)
	v_mul_f32_e32 v109, v104, v108
	v_mul_f32_e32 v108, v110, v108
	v_fma_f32 v109, v110, v107, -v109
	v_fmac_f32_e32 v108, v104, v107
	buffer_store_dword v109, off, s[0:3], 0 offset:24
	buffer_store_dword v108, off, s[0:3], 0 offset:28
.LBB50_27:
	s_or_b64 exec, exec, s[4:5]
	; wave barrier
	buffer_load_dword v107, off, s[0:3], 0 offset:32
	buffer_load_dword v108, off, s[0:3], 0 offset:36
	v_cmp_gt_u32_e32 vcc, 4, v0
	s_waitcnt vmcnt(0)
	ds_write_b64 v106, v[107:108]
	s_waitcnt lgkmcnt(0)
	; wave barrier
	s_and_saveexec_b64 s[4:5], vcc
	s_cbranch_execz .LBB50_31
; %bb.28:
	v_add_u32_e32 v107, -1, v0
	v_add_u32_e32 v108, 0x1a0, v105
	v_mov_b32_e32 v109, v105
	v_mov_b32_e32 v104, 0
	s_mov_b64 s[8:9], 0
	v_mov_b32_e32 v110, 0
.LBB50_29:                              ; =>This Inner Loop Header: Depth=1
	buffer_load_dword v113, v109, s[0:3], 0 offen offset:4
	buffer_load_dword v114, v109, s[0:3], 0 offen
	ds_read_b64 v[111:112], v108
	v_add_u32_e32 v107, 1, v107
	v_cmp_lt_u32_e32 vcc, 2, v107
	v_add_u32_e32 v108, 8, v108
	v_add_u32_e32 v109, 8, v109
	s_or_b64 s[8:9], vcc, s[8:9]
	s_waitcnt vmcnt(1) lgkmcnt(0)
	v_mul_f32_e32 v115, v112, v113
	v_mul_f32_e32 v113, v111, v113
	s_waitcnt vmcnt(0)
	v_fma_f32 v111, v111, v114, -v115
	v_fmac_f32_e32 v113, v112, v114
	v_add_f32_e32 v110, v110, v111
	v_add_f32_e32 v104, v104, v113
	s_andn2_b64 exec, exec, s[8:9]
	s_cbranch_execnz .LBB50_29
; %bb.30:
	s_or_b64 exec, exec, s[8:9]
	v_mov_b32_e32 v107, 0
	ds_read_b64 v[107:108], v107 offset:32
	s_waitcnt lgkmcnt(0)
	v_mul_f32_e32 v109, v104, v108
	v_mul_f32_e32 v108, v110, v108
	v_fma_f32 v109, v110, v107, -v109
	v_fmac_f32_e32 v108, v104, v107
	buffer_store_dword v109, off, s[0:3], 0 offset:32
	buffer_store_dword v108, off, s[0:3], 0 offset:36
.LBB50_31:
	s_or_b64 exec, exec, s[4:5]
	; wave barrier
	buffer_load_dword v107, off, s[0:3], 0 offset:40
	buffer_load_dword v108, off, s[0:3], 0 offset:44
	v_cmp_gt_u32_e32 vcc, 5, v0
	s_waitcnt vmcnt(0)
	ds_write_b64 v106, v[107:108]
	;; [unrolled: 49-line block ×19, first 2 shown]
	s_waitcnt lgkmcnt(0)
	; wave barrier
	s_and_saveexec_b64 s[4:5], vcc
	s_cbranch_execz .LBB50_103
; %bb.100:
	v_add_u32_e32 v107, -1, v0
	v_add_u32_e32 v108, 0x1a0, v105
	v_mov_b32_e32 v109, v105
	v_mov_b32_e32 v104, 0
	s_mov_b64 s[8:9], 0
	v_mov_b32_e32 v110, 0
.LBB50_101:                             ; =>This Inner Loop Header: Depth=1
	buffer_load_dword v113, v109, s[0:3], 0 offen offset:4
	buffer_load_dword v114, v109, s[0:3], 0 offen
	ds_read_b64 v[111:112], v108
	v_add_u32_e32 v107, 1, v107
	v_cmp_lt_u32_e32 vcc, 20, v107
	v_add_u32_e32 v108, 8, v108
	v_add_u32_e32 v109, 8, v109
	s_or_b64 s[8:9], vcc, s[8:9]
	s_waitcnt vmcnt(1) lgkmcnt(0)
	v_mul_f32_e32 v115, v112, v113
	v_mul_f32_e32 v113, v111, v113
	s_waitcnt vmcnt(0)
	v_fma_f32 v111, v111, v114, -v115
	v_fmac_f32_e32 v113, v112, v114
	v_add_f32_e32 v110, v110, v111
	v_add_f32_e32 v104, v104, v113
	s_andn2_b64 exec, exec, s[8:9]
	s_cbranch_execnz .LBB50_101
; %bb.102:
	s_or_b64 exec, exec, s[8:9]
	v_mov_b32_e32 v107, 0
	ds_read_b64 v[107:108], v107 offset:176
	s_waitcnt lgkmcnt(0)
	v_mul_f32_e32 v109, v104, v108
	v_mul_f32_e32 v108, v110, v108
	v_fma_f32 v109, v110, v107, -v109
	v_fmac_f32_e32 v108, v104, v107
	buffer_store_dword v109, off, s[0:3], 0 offset:176
	buffer_store_dword v108, off, s[0:3], 0 offset:180
.LBB50_103:
	s_or_b64 exec, exec, s[4:5]
	; wave barrier
	buffer_load_dword v107, off, s[0:3], 0 offset:184
	buffer_load_dword v108, off, s[0:3], 0 offset:188
	v_cmp_gt_u32_e32 vcc, 23, v0
	s_waitcnt vmcnt(0)
	ds_write_b64 v106, v[107:108]
	s_waitcnt lgkmcnt(0)
	; wave barrier
	s_and_saveexec_b64 s[4:5], vcc
	s_cbranch_execz .LBB50_107
; %bb.104:
	v_add_u32_e32 v107, -1, v0
	v_add_u32_e32 v108, 0x1a0, v105
	v_mov_b32_e32 v109, v105
	v_mov_b32_e32 v104, 0
	s_mov_b64 s[8:9], 0
	v_mov_b32_e32 v110, 0
.LBB50_105:                             ; =>This Inner Loop Header: Depth=1
	buffer_load_dword v113, v109, s[0:3], 0 offen offset:4
	buffer_load_dword v114, v109, s[0:3], 0 offen
	ds_read_b64 v[111:112], v108
	v_add_u32_e32 v107, 1, v107
	v_cmp_lt_u32_e32 vcc, 21, v107
	v_add_u32_e32 v108, 8, v108
	v_add_u32_e32 v109, 8, v109
	s_or_b64 s[8:9], vcc, s[8:9]
	s_waitcnt vmcnt(1) lgkmcnt(0)
	v_mul_f32_e32 v115, v112, v113
	v_mul_f32_e32 v113, v111, v113
	s_waitcnt vmcnt(0)
	v_fma_f32 v111, v111, v114, -v115
	v_fmac_f32_e32 v113, v112, v114
	v_add_f32_e32 v110, v110, v111
	v_add_f32_e32 v104, v104, v113
	s_andn2_b64 exec, exec, s[8:9]
	s_cbranch_execnz .LBB50_105
; %bb.106:
	s_or_b64 exec, exec, s[8:9]
	v_mov_b32_e32 v107, 0
	ds_read_b64 v[107:108], v107 offset:184
	s_waitcnt lgkmcnt(0)
	v_mul_f32_e32 v109, v104, v108
	v_mul_f32_e32 v108, v110, v108
	v_fma_f32 v109, v110, v107, -v109
	v_fmac_f32_e32 v108, v104, v107
	buffer_store_dword v109, off, s[0:3], 0 offset:184
	buffer_store_dword v108, off, s[0:3], 0 offset:188
.LBB50_107:
	s_or_b64 exec, exec, s[4:5]
	; wave barrier
	buffer_load_dword v107, off, s[0:3], 0 offset:192
	buffer_load_dword v108, off, s[0:3], 0 offset:196
	v_cmp_gt_u32_e32 vcc, 24, v0
	s_waitcnt vmcnt(0)
	ds_write_b64 v106, v[107:108]
	;; [unrolled: 49-line block ×27, first 2 shown]
	s_waitcnt lgkmcnt(0)
	; wave barrier
	s_and_saveexec_b64 s[4:5], vcc
	s_cbranch_execz .LBB50_211
; %bb.208:
	v_add_u32_e32 v107, -1, v0
	v_add_u32_e32 v108, 0x1a0, v105
	v_mov_b32_e32 v109, v105
	v_mov_b32_e32 v104, 0
	s_mov_b64 s[8:9], 0
	v_mov_b32_e32 v110, 0
.LBB50_209:                             ; =>This Inner Loop Header: Depth=1
	buffer_load_dword v113, v109, s[0:3], 0 offen offset:4
	buffer_load_dword v114, v109, s[0:3], 0 offen
	ds_read_b64 v[111:112], v108
	v_add_u32_e32 v107, 1, v107
	v_cmp_lt_u32_e32 vcc, 47, v107
	v_add_u32_e32 v108, 8, v108
	v_add_u32_e32 v109, 8, v109
	s_or_b64 s[8:9], vcc, s[8:9]
	s_waitcnt vmcnt(1) lgkmcnt(0)
	v_mul_f32_e32 v115, v112, v113
	v_mul_f32_e32 v113, v111, v113
	s_waitcnt vmcnt(0)
	v_fma_f32 v111, v111, v114, -v115
	v_fmac_f32_e32 v113, v112, v114
	v_add_f32_e32 v110, v110, v111
	v_add_f32_e32 v104, v104, v113
	s_andn2_b64 exec, exec, s[8:9]
	s_cbranch_execnz .LBB50_209
; %bb.210:
	s_or_b64 exec, exec, s[8:9]
	v_mov_b32_e32 v107, 0
	ds_read_b64 v[107:108], v107 offset:392
	s_waitcnt lgkmcnt(0)
	v_mul_f32_e32 v109, v104, v108
	v_mul_f32_e32 v108, v110, v108
	v_fma_f32 v109, v110, v107, -v109
	v_fmac_f32_e32 v108, v104, v107
	buffer_store_dword v109, off, s[0:3], 0 offset:392
	buffer_store_dword v108, off, s[0:3], 0 offset:396
.LBB50_211:
	s_or_b64 exec, exec, s[4:5]
	; wave barrier
	buffer_load_dword v107, off, s[0:3], 0 offset:400
	buffer_load_dword v108, off, s[0:3], 0 offset:404
	v_cmp_ne_u32_e32 vcc, 50, v0
	s_waitcnt vmcnt(0)
	ds_write_b64 v106, v[107:108]
	s_waitcnt lgkmcnt(0)
	; wave barrier
	s_and_saveexec_b64 s[4:5], vcc
	s_cbranch_execz .LBB50_215
; %bb.212:
	v_add_u32_e32 v106, 0x1a0, v105
	v_mov_b32_e32 v104, 0
	s_mov_b64 s[8:9], 0
	v_mov_b32_e32 v107, 0
.LBB50_213:                             ; =>This Inner Loop Header: Depth=1
	buffer_load_dword v110, v105, s[0:3], 0 offen offset:4
	buffer_load_dword v111, v105, s[0:3], 0 offen
	ds_read_b64 v[108:109], v106
	v_add_u32_e32 v103, 1, v103
	v_cmp_lt_u32_e32 vcc, 48, v103
	v_add_u32_e32 v106, 8, v106
	v_add_u32_e32 v105, 8, v105
	s_or_b64 s[8:9], vcc, s[8:9]
	s_waitcnt vmcnt(1) lgkmcnt(0)
	v_mul_f32_e32 v112, v109, v110
	v_mul_f32_e32 v110, v108, v110
	s_waitcnt vmcnt(0)
	v_fma_f32 v108, v108, v111, -v112
	v_fmac_f32_e32 v110, v109, v111
	v_add_f32_e32 v107, v107, v108
	v_add_f32_e32 v104, v104, v110
	s_andn2_b64 exec, exec, s[8:9]
	s_cbranch_execnz .LBB50_213
; %bb.214:
	s_or_b64 exec, exec, s[8:9]
	v_mov_b32_e32 v103, 0
	ds_read_b64 v[105:106], v103 offset:400
	s_waitcnt lgkmcnt(0)
	v_mul_f32_e32 v103, v104, v106
	v_mul_f32_e32 v106, v107, v106
	v_fma_f32 v103, v107, v105, -v103
	v_fmac_f32_e32 v106, v104, v105
	buffer_store_dword v103, off, s[0:3], 0 offset:400
	buffer_store_dword v106, off, s[0:3], 0 offset:404
.LBB50_215:
	s_or_b64 exec, exec, s[4:5]
	s_mov_b64 s[8:9], -1
	; wave barrier
.LBB50_216:
	s_and_b64 vcc, exec, s[8:9]
	s_cbranch_vccz .LBB50_218
; %bb.217:
	s_lshl_b64 s[4:5], s[6:7], 2
	s_add_u32 s4, s10, s4
	s_addc_u32 s5, s11, s5
	v_mov_b32_e32 v103, 0
	global_load_dword v103, v103, s[4:5]
	s_waitcnt vmcnt(0)
	v_cmp_ne_u32_e32 vcc, 0, v103
	s_cbranch_vccz .LBB50_219
.LBB50_218:
	s_endpgm
.LBB50_219:
	v_mov_b32_e32 v103, 0x1a0
	v_lshl_add_u32 v103, v0, 3, v103
	v_cmp_eq_u32_e32 vcc, 50, v0
	s_and_saveexec_b64 s[4:5], vcc
	s_cbranch_execz .LBB50_221
; %bb.220:
	buffer_load_dword v104, off, s[0:3], 0 offset:392
	buffer_load_dword v105, off, s[0:3], 0 offset:396
	v_mov_b32_e32 v106, 0
	buffer_store_dword v106, off, s[0:3], 0 offset:392
	buffer_store_dword v106, off, s[0:3], 0 offset:396
	s_waitcnt vmcnt(2)
	ds_write_b64 v103, v[104:105]
.LBB50_221:
	s_or_b64 exec, exec, s[4:5]
	s_waitcnt lgkmcnt(0)
	; wave barrier
	buffer_load_dword v107, off, s[0:3], 0 offset:404
	buffer_load_dword v108, off, s[0:3], 0 offset:400
	buffer_load_dword v109, off, s[0:3], 0 offset:392
	buffer_load_dword v110, off, s[0:3], 0 offset:396
	v_mov_b32_e32 v104, 0
	ds_read_b64 v[105:106], v104 offset:816
	v_cmp_lt_u32_e32 vcc, 48, v0
	s_waitcnt vmcnt(3) lgkmcnt(0)
	v_mul_f32_e32 v111, v105, v107
	v_mul_f32_e32 v107, v106, v107
	s_waitcnt vmcnt(2)
	v_fma_f32 v105, v105, v108, -v107
	v_fmac_f32_e32 v111, v106, v108
	v_add_f32_e32 v105, 0, v105
	v_add_f32_e32 v106, 0, v111
	s_waitcnt vmcnt(1)
	v_sub_f32_e32 v105, v109, v105
	s_waitcnt vmcnt(0)
	v_sub_f32_e32 v106, v110, v106
	buffer_store_dword v105, off, s[0:3], 0 offset:392
	buffer_store_dword v106, off, s[0:3], 0 offset:396
	s_and_saveexec_b64 s[4:5], vcc
	s_cbranch_execz .LBB50_223
; %bb.222:
	buffer_load_dword v105, off, s[0:3], 0 offset:384
	buffer_load_dword v106, off, s[0:3], 0 offset:388
	s_waitcnt vmcnt(0)
	ds_write_b64 v103, v[105:106]
	buffer_store_dword v104, off, s[0:3], 0 offset:384
	buffer_store_dword v104, off, s[0:3], 0 offset:388
.LBB50_223:
	s_or_b64 exec, exec, s[4:5]
	s_waitcnt lgkmcnt(0)
	; wave barrier
	buffer_load_dword v108, off, s[0:3], 0 offset:396
	buffer_load_dword v109, off, s[0:3], 0 offset:404
	;; [unrolled: 1-line block ×6, first 2 shown]
	ds_read2_b64 v[104:107], v104 offset0:101 offset1:102
	v_cmp_lt_u32_e32 vcc, 47, v0
	s_waitcnt vmcnt(5) lgkmcnt(0)
	v_mul_f32_e32 v114, v104, v108
	v_mul_f32_e32 v108, v105, v108
	s_waitcnt vmcnt(4)
	v_mul_f32_e32 v115, v106, v109
	v_mul_f32_e32 v109, v107, v109
	s_waitcnt vmcnt(3)
	v_fma_f32 v104, v104, v110, -v108
	v_fmac_f32_e32 v114, v105, v110
	s_waitcnt vmcnt(2)
	v_fma_f32 v105, v106, v111, -v109
	v_add_f32_e32 v104, 0, v104
	v_fmac_f32_e32 v115, v107, v111
	v_add_f32_e32 v106, 0, v114
	v_add_f32_e32 v104, v104, v105
	;; [unrolled: 1-line block ×3, first 2 shown]
	s_waitcnt vmcnt(1)
	v_sub_f32_e32 v104, v112, v104
	s_waitcnt vmcnt(0)
	v_sub_f32_e32 v105, v113, v106
	buffer_store_dword v104, off, s[0:3], 0 offset:384
	buffer_store_dword v105, off, s[0:3], 0 offset:388
	s_and_saveexec_b64 s[4:5], vcc
	s_cbranch_execz .LBB50_225
; %bb.224:
	buffer_load_dword v104, off, s[0:3], 0 offset:376
	buffer_load_dword v105, off, s[0:3], 0 offset:380
	v_mov_b32_e32 v106, 0
	buffer_store_dword v106, off, s[0:3], 0 offset:376
	buffer_store_dword v106, off, s[0:3], 0 offset:380
	s_waitcnt vmcnt(2)
	ds_write_b64 v103, v[104:105]
.LBB50_225:
	s_or_b64 exec, exec, s[4:5]
	s_waitcnt lgkmcnt(0)
	; wave barrier
	buffer_load_dword v111, off, s[0:3], 0 offset:388
	buffer_load_dword v112, off, s[0:3], 0 offset:396
	;; [unrolled: 1-line block ×8, first 2 shown]
	v_mov_b32_e32 v104, 0
	ds_read_b128 v[105:108], v104 offset:800
	ds_read_b64 v[109:110], v104 offset:816
	v_cmp_lt_u32_e32 vcc, 46, v0
	s_waitcnt vmcnt(7) lgkmcnt(1)
	v_mul_f32_e32 v119, v105, v111
	v_mul_f32_e32 v111, v106, v111
	s_waitcnt vmcnt(6)
	v_mul_f32_e32 v120, v107, v112
	v_mul_f32_e32 v112, v108, v112
	s_waitcnt vmcnt(4)
	v_fma_f32 v105, v105, v114, -v111
	s_waitcnt lgkmcnt(0)
	v_mul_f32_e32 v121, v109, v113
	v_mul_f32_e32 v113, v110, v113
	v_fmac_f32_e32 v119, v106, v114
	s_waitcnt vmcnt(3)
	v_fma_f32 v106, v107, v115, -v112
	v_add_f32_e32 v105, 0, v105
	v_fmac_f32_e32 v120, v108, v115
	s_waitcnt vmcnt(2)
	v_fma_f32 v107, v109, v116, -v113
	v_add_f32_e32 v108, 0, v119
	v_add_f32_e32 v105, v105, v106
	v_fmac_f32_e32 v121, v110, v116
	v_add_f32_e32 v108, v108, v120
	v_add_f32_e32 v105, v105, v107
	;; [unrolled: 1-line block ×3, first 2 shown]
	s_waitcnt vmcnt(1)
	v_sub_f32_e32 v105, v117, v105
	s_waitcnt vmcnt(0)
	v_sub_f32_e32 v106, v118, v106
	buffer_store_dword v105, off, s[0:3], 0 offset:376
	buffer_store_dword v106, off, s[0:3], 0 offset:380
	s_and_saveexec_b64 s[4:5], vcc
	s_cbranch_execz .LBB50_227
; %bb.226:
	buffer_load_dword v105, off, s[0:3], 0 offset:368
	buffer_load_dword v106, off, s[0:3], 0 offset:372
	s_waitcnt vmcnt(0)
	ds_write_b64 v103, v[105:106]
	buffer_store_dword v104, off, s[0:3], 0 offset:368
	buffer_store_dword v104, off, s[0:3], 0 offset:372
.LBB50_227:
	s_or_b64 exec, exec, s[4:5]
	s_waitcnt lgkmcnt(0)
	; wave barrier
	buffer_load_dword v113, off, s[0:3], 0 offset:380
	buffer_load_dword v114, off, s[0:3], 0 offset:388
	;; [unrolled: 1-line block ×10, first 2 shown]
	ds_read2_b64 v[105:108], v104 offset0:99 offset1:100
	ds_read2_b64 v[109:112], v104 offset0:101 offset1:102
	v_cmp_lt_u32_e32 vcc, 45, v0
	s_waitcnt vmcnt(9) lgkmcnt(1)
	v_mul_f32_e32 v104, v105, v113
	v_mul_f32_e32 v113, v106, v113
	s_waitcnt vmcnt(8)
	v_mul_f32_e32 v123, v107, v114
	v_mul_f32_e32 v114, v108, v114
	s_waitcnt vmcnt(5)
	v_fma_f32 v105, v105, v117, -v113
	s_waitcnt lgkmcnt(0)
	v_mul_f32_e32 v124, v109, v115
	v_mul_f32_e32 v115, v110, v115
	v_fmac_f32_e32 v104, v106, v117
	s_waitcnt vmcnt(4)
	v_fma_f32 v106, v107, v118, -v114
	v_add_f32_e32 v105, 0, v105
	v_mul_f32_e32 v125, v111, v116
	v_mul_f32_e32 v116, v112, v116
	v_fmac_f32_e32 v123, v108, v118
	s_waitcnt vmcnt(3)
	v_fma_f32 v107, v109, v119, -v115
	v_add_f32_e32 v104, 0, v104
	v_add_f32_e32 v105, v105, v106
	v_fmac_f32_e32 v124, v110, v119
	s_waitcnt vmcnt(2)
	v_fma_f32 v108, v111, v120, -v116
	v_add_f32_e32 v104, v104, v123
	v_add_f32_e32 v105, v105, v107
	v_fmac_f32_e32 v125, v112, v120
	v_add_f32_e32 v104, v104, v124
	v_add_f32_e32 v105, v105, v108
	;; [unrolled: 1-line block ×3, first 2 shown]
	s_waitcnt vmcnt(1)
	v_sub_f32_e32 v105, v121, v105
	s_waitcnt vmcnt(0)
	v_sub_f32_e32 v104, v122, v104
	buffer_store_dword v105, off, s[0:3], 0 offset:368
	buffer_store_dword v104, off, s[0:3], 0 offset:372
	s_and_saveexec_b64 s[4:5], vcc
	s_cbranch_execz .LBB50_229
; %bb.228:
	buffer_load_dword v104, off, s[0:3], 0 offset:360
	buffer_load_dword v105, off, s[0:3], 0 offset:364
	v_mov_b32_e32 v106, 0
	buffer_store_dword v106, off, s[0:3], 0 offset:360
	buffer_store_dword v106, off, s[0:3], 0 offset:364
	s_waitcnt vmcnt(2)
	ds_write_b64 v103, v[104:105]
.LBB50_229:
	s_or_b64 exec, exec, s[4:5]
	s_waitcnt lgkmcnt(0)
	; wave barrier
	buffer_load_dword v115, off, s[0:3], 0 offset:372
	buffer_load_dword v116, off, s[0:3], 0 offset:380
	;; [unrolled: 1-line block ×12, first 2 shown]
	v_mov_b32_e32 v104, 0
	ds_read_b128 v[105:108], v104 offset:784
	ds_read_b128 v[109:112], v104 offset:800
	ds_read_b64 v[113:114], v104 offset:816
	v_cmp_lt_u32_e32 vcc, 44, v0
	s_waitcnt vmcnt(11) lgkmcnt(2)
	v_mul_f32_e32 v127, v105, v115
	v_mul_f32_e32 v115, v106, v115
	s_waitcnt vmcnt(10)
	v_mul_f32_e32 v128, v107, v116
	v_mul_f32_e32 v116, v108, v116
	s_waitcnt vmcnt(9) lgkmcnt(1)
	v_mul_f32_e32 v129, v109, v117
	s_waitcnt vmcnt(6)
	v_fma_f32 v105, v105, v120, -v115
	v_mul_f32_e32 v117, v110, v117
	v_fmac_f32_e32 v127, v106, v120
	s_waitcnt vmcnt(5)
	v_fma_f32 v106, v107, v121, -v116
	v_add_f32_e32 v105, 0, v105
	v_mul_f32_e32 v130, v111, v118
	v_mul_f32_e32 v118, v112, v118
	v_fmac_f32_e32 v128, v108, v121
	s_waitcnt vmcnt(4)
	v_fmac_f32_e32 v129, v110, v122
	v_fma_f32 v107, v109, v122, -v117
	v_add_f32_e32 v110, 0, v127
	v_add_f32_e32 v105, v105, v106
	s_waitcnt lgkmcnt(0)
	v_mul_f32_e32 v131, v113, v119
	v_mul_f32_e32 v119, v114, v119
	s_waitcnt vmcnt(3)
	v_fma_f32 v108, v111, v123, -v118
	v_add_f32_e32 v110, v110, v128
	v_add_f32_e32 v105, v105, v107
	v_fmac_f32_e32 v130, v112, v123
	s_waitcnt vmcnt(2)
	v_fma_f32 v109, v113, v124, -v119
	v_add_f32_e32 v106, v110, v129
	v_add_f32_e32 v105, v105, v108
	v_fmac_f32_e32 v131, v114, v124
	v_add_f32_e32 v106, v106, v130
	v_add_f32_e32 v105, v105, v109
	;; [unrolled: 1-line block ×3, first 2 shown]
	s_waitcnt vmcnt(1)
	v_sub_f32_e32 v105, v125, v105
	s_waitcnt vmcnt(0)
	v_sub_f32_e32 v106, v126, v106
	buffer_store_dword v105, off, s[0:3], 0 offset:360
	buffer_store_dword v106, off, s[0:3], 0 offset:364
	s_and_saveexec_b64 s[4:5], vcc
	s_cbranch_execz .LBB50_231
; %bb.230:
	buffer_load_dword v105, off, s[0:3], 0 offset:352
	buffer_load_dword v106, off, s[0:3], 0 offset:356
	s_waitcnt vmcnt(0)
	ds_write_b64 v103, v[105:106]
	buffer_store_dword v104, off, s[0:3], 0 offset:352
	buffer_store_dword v104, off, s[0:3], 0 offset:356
.LBB50_231:
	s_or_b64 exec, exec, s[4:5]
	s_waitcnt lgkmcnt(0)
	; wave barrier
	buffer_load_dword v117, off, s[0:3], 0 offset:364
	buffer_load_dword v118, off, s[0:3], 0 offset:372
	;; [unrolled: 1-line block ×14, first 2 shown]
	ds_read2_b64 v[105:108], v104 offset0:97 offset1:98
	ds_read2_b64 v[109:112], v104 offset0:99 offset1:100
	;; [unrolled: 1-line block ×3, first 2 shown]
	v_cmp_lt_u32_e32 vcc, 43, v0
	s_waitcnt vmcnt(13) lgkmcnt(2)
	v_mul_f32_e32 v104, v105, v117
	v_mul_f32_e32 v117, v106, v117
	s_waitcnt vmcnt(12)
	v_mul_f32_e32 v131, v107, v118
	v_mul_f32_e32 v118, v108, v118
	s_waitcnt vmcnt(11) lgkmcnt(1)
	v_mul_f32_e32 v132, v109, v119
	v_mul_f32_e32 v119, v110, v119
	s_waitcnt vmcnt(7)
	v_fma_f32 v105, v105, v123, -v117
	v_fmac_f32_e32 v104, v106, v123
	s_waitcnt vmcnt(6)
	v_fma_f32 v106, v107, v124, -v118
	v_add_f32_e32 v105, 0, v105
	v_mul_f32_e32 v133, v111, v120
	v_mul_f32_e32 v120, v112, v120
	v_fmac_f32_e32 v131, v108, v124
	s_waitcnt vmcnt(5)
	v_fma_f32 v107, v109, v125, -v119
	v_add_f32_e32 v104, 0, v104
	v_add_f32_e32 v105, v105, v106
	s_waitcnt lgkmcnt(0)
	v_mul_f32_e32 v134, v113, v121
	v_mul_f32_e32 v121, v114, v121
	v_fmac_f32_e32 v132, v110, v125
	s_waitcnt vmcnt(4)
	v_fma_f32 v108, v111, v126, -v120
	v_add_f32_e32 v104, v104, v131
	v_add_f32_e32 v105, v105, v107
	v_mul_f32_e32 v135, v115, v122
	v_mul_f32_e32 v122, v116, v122
	v_fmac_f32_e32 v133, v112, v126
	s_waitcnt vmcnt(3)
	v_fma_f32 v109, v113, v127, -v121
	v_add_f32_e32 v104, v104, v132
	v_add_f32_e32 v105, v105, v108
	v_fmac_f32_e32 v134, v114, v127
	s_waitcnt vmcnt(2)
	v_fma_f32 v110, v115, v128, -v122
	v_add_f32_e32 v104, v104, v133
	v_add_f32_e32 v105, v105, v109
	v_fmac_f32_e32 v135, v116, v128
	v_add_f32_e32 v104, v104, v134
	v_add_f32_e32 v105, v105, v110
	;; [unrolled: 1-line block ×3, first 2 shown]
	s_waitcnt vmcnt(1)
	v_sub_f32_e32 v105, v129, v105
	s_waitcnt vmcnt(0)
	v_sub_f32_e32 v104, v130, v104
	buffer_store_dword v105, off, s[0:3], 0 offset:352
	buffer_store_dword v104, off, s[0:3], 0 offset:356
	s_and_saveexec_b64 s[4:5], vcc
	s_cbranch_execz .LBB50_233
; %bb.232:
	buffer_load_dword v104, off, s[0:3], 0 offset:344
	buffer_load_dword v105, off, s[0:3], 0 offset:348
	v_mov_b32_e32 v106, 0
	buffer_store_dword v106, off, s[0:3], 0 offset:344
	buffer_store_dword v106, off, s[0:3], 0 offset:348
	s_waitcnt vmcnt(2)
	ds_write_b64 v103, v[104:105]
.LBB50_233:
	s_or_b64 exec, exec, s[4:5]
	s_waitcnt lgkmcnt(0)
	; wave barrier
	buffer_load_dword v119, off, s[0:3], 0 offset:356
	buffer_load_dword v120, off, s[0:3], 0 offset:364
	;; [unrolled: 1-line block ×16, first 2 shown]
	v_mov_b32_e32 v104, 0
	ds_read_b128 v[105:108], v104 offset:768
	ds_read_b128 v[109:112], v104 offset:784
	;; [unrolled: 1-line block ×3, first 2 shown]
	ds_read_b64 v[117:118], v104 offset:816
	v_cmp_lt_u32_e32 vcc, 42, v0
	s_waitcnt vmcnt(15) lgkmcnt(3)
	v_mul_f32_e32 v135, v105, v119
	v_mul_f32_e32 v119, v106, v119
	s_waitcnt vmcnt(14)
	v_mul_f32_e32 v136, v107, v120
	v_mul_f32_e32 v120, v108, v120
	s_waitcnt vmcnt(13) lgkmcnt(2)
	v_mul_f32_e32 v137, v109, v121
	s_waitcnt vmcnt(12)
	v_mul_f32_e32 v138, v111, v122
	v_mul_f32_e32 v121, v110, v121
	s_waitcnt vmcnt(8)
	v_fma_f32 v105, v105, v126, -v119
	v_fmac_f32_e32 v135, v106, v126
	s_waitcnt vmcnt(7)
	v_fma_f32 v106, v107, v127, -v120
	v_add_f32_e32 v105, 0, v105
	v_mul_f32_e32 v122, v112, v122
	v_fmac_f32_e32 v136, v108, v127
	s_waitcnt vmcnt(5)
	v_fmac_f32_e32 v138, v112, v129
	v_fma_f32 v107, v109, v128, -v121
	v_add_f32_e32 v112, 0, v135
	v_add_f32_e32 v105, v105, v106
	s_waitcnt lgkmcnt(1)
	v_mul_f32_e32 v139, v113, v123
	v_mul_f32_e32 v123, v114, v123
	v_fmac_f32_e32 v137, v110, v128
	v_fma_f32 v108, v111, v129, -v122
	v_add_f32_e32 v112, v112, v136
	v_add_f32_e32 v105, v105, v107
	v_mul_f32_e32 v140, v115, v124
	v_mul_f32_e32 v124, v116, v124
	s_waitcnt vmcnt(4)
	v_fma_f32 v109, v113, v130, -v123
	v_add_f32_e32 v106, v112, v137
	v_add_f32_e32 v105, v105, v108
	s_waitcnt lgkmcnt(0)
	v_mul_f32_e32 v141, v117, v125
	v_mul_f32_e32 v125, v118, v125
	v_fmac_f32_e32 v139, v114, v130
	s_waitcnt vmcnt(3)
	v_fma_f32 v110, v115, v131, -v124
	v_add_f32_e32 v106, v106, v138
	v_add_f32_e32 v105, v105, v109
	v_fmac_f32_e32 v140, v116, v131
	s_waitcnt vmcnt(2)
	v_fma_f32 v111, v117, v132, -v125
	v_add_f32_e32 v106, v106, v139
	v_add_f32_e32 v105, v105, v110
	v_fmac_f32_e32 v141, v118, v132
	v_add_f32_e32 v106, v106, v140
	v_add_f32_e32 v105, v105, v111
	;; [unrolled: 1-line block ×3, first 2 shown]
	s_waitcnt vmcnt(1)
	v_sub_f32_e32 v105, v133, v105
	s_waitcnt vmcnt(0)
	v_sub_f32_e32 v106, v134, v106
	buffer_store_dword v105, off, s[0:3], 0 offset:344
	buffer_store_dword v106, off, s[0:3], 0 offset:348
	s_and_saveexec_b64 s[4:5], vcc
	s_cbranch_execz .LBB50_235
; %bb.234:
	buffer_load_dword v105, off, s[0:3], 0 offset:336
	buffer_load_dword v106, off, s[0:3], 0 offset:340
	s_waitcnt vmcnt(0)
	ds_write_b64 v103, v[105:106]
	buffer_store_dword v104, off, s[0:3], 0 offset:336
	buffer_store_dword v104, off, s[0:3], 0 offset:340
.LBB50_235:
	s_or_b64 exec, exec, s[4:5]
	s_waitcnt lgkmcnt(0)
	; wave barrier
	buffer_load_dword v121, off, s[0:3], 0 offset:348
	buffer_load_dword v122, off, s[0:3], 0 offset:356
	;; [unrolled: 1-line block ×18, first 2 shown]
	ds_read2_b64 v[105:108], v104 offset0:95 offset1:96
	ds_read2_b64 v[109:112], v104 offset0:97 offset1:98
	;; [unrolled: 1-line block ×4, first 2 shown]
	v_cmp_lt_u32_e32 vcc, 41, v0
	s_waitcnt vmcnt(17) lgkmcnt(3)
	v_mul_f32_e32 v104, v105, v121
	v_mul_f32_e32 v121, v106, v121
	s_waitcnt vmcnt(16)
	v_mul_f32_e32 v139, v107, v122
	v_mul_f32_e32 v122, v108, v122
	s_waitcnt vmcnt(15) lgkmcnt(2)
	v_mul_f32_e32 v140, v109, v123
	v_mul_f32_e32 v123, v110, v123
	s_waitcnt vmcnt(14)
	v_mul_f32_e32 v141, v111, v124
	v_mul_f32_e32 v124, v112, v124
	s_waitcnt vmcnt(9)
	v_fma_f32 v105, v105, v129, -v121
	v_fmac_f32_e32 v104, v106, v129
	s_waitcnt vmcnt(8)
	v_fma_f32 v106, v107, v130, -v122
	v_add_f32_e32 v105, 0, v105
	v_fmac_f32_e32 v139, v108, v130
	s_waitcnt vmcnt(7)
	v_fma_f32 v107, v109, v131, -v123
	v_add_f32_e32 v104, 0, v104
	v_add_f32_e32 v105, v105, v106
	s_waitcnt lgkmcnt(1)
	v_mul_f32_e32 v142, v113, v125
	v_mul_f32_e32 v125, v114, v125
	v_fmac_f32_e32 v140, v110, v131
	s_waitcnt vmcnt(6)
	v_fma_f32 v108, v111, v132, -v124
	v_add_f32_e32 v104, v104, v139
	v_add_f32_e32 v105, v105, v107
	v_mul_f32_e32 v143, v115, v126
	v_mul_f32_e32 v126, v116, v126
	v_fmac_f32_e32 v141, v112, v132
	s_waitcnt vmcnt(5)
	v_fma_f32 v109, v113, v133, -v125
	v_add_f32_e32 v104, v104, v140
	v_add_f32_e32 v105, v105, v108
	s_waitcnt lgkmcnt(0)
	v_mul_f32_e32 v144, v117, v127
	v_mul_f32_e32 v127, v118, v127
	v_fmac_f32_e32 v142, v114, v133
	s_waitcnt vmcnt(4)
	v_fma_f32 v110, v115, v134, -v126
	v_add_f32_e32 v104, v104, v141
	v_add_f32_e32 v105, v105, v109
	v_mul_f32_e32 v145, v119, v128
	v_mul_f32_e32 v128, v120, v128
	v_fmac_f32_e32 v143, v116, v134
	s_waitcnt vmcnt(3)
	v_fma_f32 v111, v117, v135, -v127
	v_add_f32_e32 v104, v104, v142
	v_add_f32_e32 v105, v105, v110
	v_fmac_f32_e32 v144, v118, v135
	s_waitcnt vmcnt(2)
	v_fma_f32 v112, v119, v136, -v128
	v_add_f32_e32 v104, v104, v143
	v_add_f32_e32 v105, v105, v111
	v_fmac_f32_e32 v145, v120, v136
	v_add_f32_e32 v104, v104, v144
	v_add_f32_e32 v105, v105, v112
	;; [unrolled: 1-line block ×3, first 2 shown]
	s_waitcnt vmcnt(1)
	v_sub_f32_e32 v105, v137, v105
	s_waitcnt vmcnt(0)
	v_sub_f32_e32 v104, v138, v104
	buffer_store_dword v105, off, s[0:3], 0 offset:336
	buffer_store_dword v104, off, s[0:3], 0 offset:340
	s_and_saveexec_b64 s[4:5], vcc
	s_cbranch_execz .LBB50_237
; %bb.236:
	buffer_load_dword v104, off, s[0:3], 0 offset:328
	buffer_load_dword v105, off, s[0:3], 0 offset:332
	v_mov_b32_e32 v106, 0
	buffer_store_dword v106, off, s[0:3], 0 offset:328
	buffer_store_dword v106, off, s[0:3], 0 offset:332
	s_waitcnt vmcnt(2)
	ds_write_b64 v103, v[104:105]
.LBB50_237:
	s_or_b64 exec, exec, s[4:5]
	s_waitcnt lgkmcnt(0)
	; wave barrier
	buffer_load_dword v123, off, s[0:3], 0 offset:340
	buffer_load_dword v124, off, s[0:3], 0 offset:348
	;; [unrolled: 1-line block ×20, first 2 shown]
	v_mov_b32_e32 v104, 0
	ds_read_b128 v[105:108], v104 offset:752
	ds_read_b128 v[109:112], v104 offset:768
	ds_read_b128 v[113:116], v104 offset:784
	ds_read_b128 v[117:120], v104 offset:800
	ds_read_b64 v[121:122], v104 offset:816
	v_cmp_lt_u32_e32 vcc, 40, v0
	s_waitcnt vmcnt(19) lgkmcnt(4)
	v_mul_f32_e32 v143, v105, v123
	v_mul_f32_e32 v123, v106, v123
	s_waitcnt vmcnt(18)
	v_mul_f32_e32 v144, v107, v124
	v_mul_f32_e32 v124, v108, v124
	s_waitcnt vmcnt(17) lgkmcnt(3)
	v_mul_f32_e32 v145, v109, v125
	s_waitcnt vmcnt(15) lgkmcnt(2)
	v_mul_f32_e32 v147, v113, v127
	v_mul_f32_e32 v125, v110, v125
	;; [unrolled: 1-line block ×4, first 2 shown]
	s_waitcnt vmcnt(10)
	v_fma_f32 v105, v105, v132, -v123
	v_fmac_f32_e32 v143, v106, v132
	s_waitcnt vmcnt(9)
	v_fma_f32 v106, v107, v133, -v124
	v_add_f32_e32 v105, 0, v105
	v_mul_f32_e32 v127, v114, v127
	v_fmac_f32_e32 v144, v108, v133
	s_waitcnt vmcnt(6)
	v_fmac_f32_e32 v147, v114, v136
	v_fma_f32 v107, v109, v134, -v125
	v_add_f32_e32 v114, 0, v143
	v_add_f32_e32 v105, v105, v106
	v_fmac_f32_e32 v145, v110, v134
	v_fma_f32 v108, v111, v135, -v126
	v_add_f32_e32 v114, v114, v144
	v_add_f32_e32 v105, v105, v107
	v_mul_f32_e32 v148, v115, v128
	v_mul_f32_e32 v128, v116, v128
	v_fmac_f32_e32 v146, v112, v135
	v_fma_f32 v109, v113, v136, -v127
	v_add_f32_e32 v106, v114, v145
	v_add_f32_e32 v105, v105, v108
	s_waitcnt lgkmcnt(1)
	v_mul_f32_e32 v149, v117, v129
	v_mul_f32_e32 v129, v118, v129
	s_waitcnt vmcnt(5)
	v_fma_f32 v110, v115, v137, -v128
	v_add_f32_e32 v106, v106, v146
	v_add_f32_e32 v105, v105, v109
	v_mul_f32_e32 v150, v119, v130
	v_mul_f32_e32 v130, v120, v130
	v_fmac_f32_e32 v148, v116, v137
	s_waitcnt vmcnt(4)
	v_fma_f32 v111, v117, v138, -v129
	v_add_f32_e32 v106, v106, v147
	v_add_f32_e32 v105, v105, v110
	s_waitcnt lgkmcnt(0)
	v_mul_f32_e32 v151, v121, v131
	v_mul_f32_e32 v131, v122, v131
	v_fmac_f32_e32 v149, v118, v138
	s_waitcnt vmcnt(3)
	v_fma_f32 v112, v119, v139, -v130
	v_add_f32_e32 v106, v106, v148
	v_add_f32_e32 v105, v105, v111
	v_fmac_f32_e32 v150, v120, v139
	s_waitcnt vmcnt(2)
	v_fma_f32 v113, v121, v140, -v131
	v_add_f32_e32 v106, v106, v149
	v_add_f32_e32 v105, v105, v112
	v_fmac_f32_e32 v151, v122, v140
	v_add_f32_e32 v106, v106, v150
	v_add_f32_e32 v105, v105, v113
	;; [unrolled: 1-line block ×3, first 2 shown]
	s_waitcnt vmcnt(1)
	v_sub_f32_e32 v105, v141, v105
	s_waitcnt vmcnt(0)
	v_sub_f32_e32 v106, v142, v106
	buffer_store_dword v105, off, s[0:3], 0 offset:328
	buffer_store_dword v106, off, s[0:3], 0 offset:332
	s_and_saveexec_b64 s[4:5], vcc
	s_cbranch_execz .LBB50_239
; %bb.238:
	buffer_load_dword v105, off, s[0:3], 0 offset:320
	buffer_load_dword v106, off, s[0:3], 0 offset:324
	s_waitcnt vmcnt(0)
	ds_write_b64 v103, v[105:106]
	buffer_store_dword v104, off, s[0:3], 0 offset:320
	buffer_store_dword v104, off, s[0:3], 0 offset:324
.LBB50_239:
	s_or_b64 exec, exec, s[4:5]
	s_waitcnt lgkmcnt(0)
	; wave barrier
	buffer_load_dword v125, off, s[0:3], 0 offset:332
	buffer_load_dword v126, off, s[0:3], 0 offset:340
	;; [unrolled: 1-line block ×22, first 2 shown]
	ds_read2_b64 v[105:108], v104 offset0:93 offset1:94
	ds_read2_b64 v[109:112], v104 offset0:95 offset1:96
	;; [unrolled: 1-line block ×5, first 2 shown]
	v_cmp_lt_u32_e32 vcc, 39, v0
	s_waitcnt vmcnt(21) lgkmcnt(4)
	v_mul_f32_e32 v104, v105, v125
	v_mul_f32_e32 v125, v106, v125
	s_waitcnt vmcnt(20)
	v_mul_f32_e32 v147, v107, v126
	v_mul_f32_e32 v126, v108, v126
	s_waitcnt vmcnt(19) lgkmcnt(3)
	v_mul_f32_e32 v148, v109, v127
	v_mul_f32_e32 v127, v110, v127
	s_waitcnt vmcnt(18)
	v_mul_f32_e32 v149, v111, v128
	v_mul_f32_e32 v128, v112, v128
	s_waitcnt vmcnt(17) lgkmcnt(2)
	v_mul_f32_e32 v150, v113, v129
	v_mul_f32_e32 v129, v114, v129
	s_waitcnt vmcnt(11)
	v_fma_f32 v105, v105, v135, -v125
	v_fmac_f32_e32 v104, v106, v135
	s_waitcnt vmcnt(10)
	v_fma_f32 v106, v107, v136, -v126
	v_add_f32_e32 v105, 0, v105
	v_fmac_f32_e32 v147, v108, v136
	s_waitcnt vmcnt(9)
	v_fma_f32 v107, v109, v137, -v127
	v_add_f32_e32 v104, 0, v104
	v_add_f32_e32 v105, v105, v106
	v_fmac_f32_e32 v148, v110, v137
	s_waitcnt vmcnt(8)
	v_fma_f32 v108, v111, v138, -v128
	v_add_f32_e32 v104, v104, v147
	v_add_f32_e32 v105, v105, v107
	v_mul_f32_e32 v151, v115, v130
	v_mul_f32_e32 v130, v116, v130
	v_fmac_f32_e32 v149, v112, v138
	s_waitcnt vmcnt(7)
	v_fma_f32 v109, v113, v139, -v129
	v_add_f32_e32 v104, v104, v148
	v_add_f32_e32 v105, v105, v108
	s_waitcnt lgkmcnt(1)
	v_mul_f32_e32 v152, v117, v131
	v_mul_f32_e32 v131, v118, v131
	v_fmac_f32_e32 v150, v114, v139
	s_waitcnt vmcnt(6)
	v_fma_f32 v110, v115, v140, -v130
	v_add_f32_e32 v104, v104, v149
	v_add_f32_e32 v105, v105, v109
	v_mul_f32_e32 v153, v119, v132
	v_mul_f32_e32 v132, v120, v132
	v_fmac_f32_e32 v151, v116, v140
	s_waitcnt vmcnt(5)
	v_fma_f32 v111, v117, v141, -v131
	v_add_f32_e32 v104, v104, v150
	v_add_f32_e32 v105, v105, v110
	s_waitcnt lgkmcnt(0)
	v_mul_f32_e32 v154, v121, v133
	v_mul_f32_e32 v133, v122, v133
	v_fmac_f32_e32 v152, v118, v141
	s_waitcnt vmcnt(4)
	v_fma_f32 v112, v119, v142, -v132
	v_add_f32_e32 v104, v104, v151
	v_add_f32_e32 v105, v105, v111
	v_mul_f32_e32 v155, v123, v134
	v_mul_f32_e32 v134, v124, v134
	v_fmac_f32_e32 v153, v120, v142
	s_waitcnt vmcnt(3)
	v_fma_f32 v113, v121, v143, -v133
	v_add_f32_e32 v104, v104, v152
	v_add_f32_e32 v105, v105, v112
	v_fmac_f32_e32 v154, v122, v143
	s_waitcnt vmcnt(2)
	v_fma_f32 v114, v123, v144, -v134
	v_add_f32_e32 v104, v104, v153
	v_add_f32_e32 v105, v105, v113
	v_fmac_f32_e32 v155, v124, v144
	v_add_f32_e32 v104, v104, v154
	v_add_f32_e32 v105, v105, v114
	;; [unrolled: 1-line block ×3, first 2 shown]
	s_waitcnt vmcnt(1)
	v_sub_f32_e32 v105, v145, v105
	s_waitcnt vmcnt(0)
	v_sub_f32_e32 v104, v146, v104
	buffer_store_dword v105, off, s[0:3], 0 offset:320
	buffer_store_dword v104, off, s[0:3], 0 offset:324
	s_and_saveexec_b64 s[4:5], vcc
	s_cbranch_execz .LBB50_241
; %bb.240:
	buffer_load_dword v104, off, s[0:3], 0 offset:312
	buffer_load_dword v105, off, s[0:3], 0 offset:316
	v_mov_b32_e32 v106, 0
	buffer_store_dword v106, off, s[0:3], 0 offset:312
	buffer_store_dword v106, off, s[0:3], 0 offset:316
	s_waitcnt vmcnt(2)
	ds_write_b64 v103, v[104:105]
.LBB50_241:
	s_or_b64 exec, exec, s[4:5]
	s_waitcnt lgkmcnt(0)
	; wave barrier
	buffer_load_dword v127, off, s[0:3], 0 offset:324
	buffer_load_dword v128, off, s[0:3], 0 offset:332
	;; [unrolled: 1-line block ×24, first 2 shown]
	v_mov_b32_e32 v104, 0
	ds_read_b128 v[105:108], v104 offset:736
	ds_read_b128 v[109:112], v104 offset:752
	;; [unrolled: 1-line block ×5, first 2 shown]
	ds_read_b64 v[125:126], v104 offset:816
	v_cmp_lt_u32_e32 vcc, 38, v0
	s_waitcnt vmcnt(23) lgkmcnt(5)
	v_mul_f32_e32 v151, v105, v127
	v_mul_f32_e32 v127, v106, v127
	s_waitcnt vmcnt(22)
	v_mul_f32_e32 v152, v107, v128
	v_mul_f32_e32 v128, v108, v128
	s_waitcnt vmcnt(21) lgkmcnt(4)
	v_mul_f32_e32 v153, v109, v129
	v_mul_f32_e32 v129, v110, v129
	s_waitcnt vmcnt(20)
	v_mul_f32_e32 v154, v111, v130
	s_waitcnt vmcnt(19) lgkmcnt(3)
	v_mul_f32_e32 v155, v113, v131
	v_mul_f32_e32 v130, v112, v130
	;; [unrolled: 1-line block ×3, first 2 shown]
	s_waitcnt vmcnt(18)
	v_mul_f32_e32 v156, v115, v132
	s_waitcnt vmcnt(12)
	v_fma_f32 v105, v105, v138, -v127
	v_fmac_f32_e32 v151, v106, v138
	s_waitcnt vmcnt(11)
	v_fma_f32 v106, v107, v139, -v128
	v_add_f32_e32 v105, 0, v105
	s_waitcnt vmcnt(10)
	v_fma_f32 v107, v109, v140, -v129
	v_add_f32_e32 v105, v105, v106
	v_fmac_f32_e32 v152, v108, v139
	s_waitcnt vmcnt(8)
	v_fmac_f32_e32 v155, v114, v142
	v_fma_f32 v108, v111, v141, -v130
	v_add_f32_e32 v114, 0, v151
	v_add_f32_e32 v105, v105, v107
	v_mul_f32_e32 v132, v116, v132
	v_fmac_f32_e32 v153, v110, v140
	v_fma_f32 v109, v113, v142, -v131
	v_add_f32_e32 v114, v114, v152
	v_add_f32_e32 v105, v105, v108
	s_waitcnt lgkmcnt(2)
	v_mul_f32_e32 v157, v117, v133
	v_mul_f32_e32 v133, v118, v133
	v_fmac_f32_e32 v154, v112, v141
	s_waitcnt vmcnt(7)
	v_fma_f32 v110, v115, v143, -v132
	v_add_f32_e32 v106, v114, v153
	v_add_f32_e32 v105, v105, v109
	v_mul_f32_e32 v158, v119, v134
	v_mul_f32_e32 v134, v120, v134
	s_waitcnt vmcnt(6)
	v_fma_f32 v111, v117, v144, -v133
	v_add_f32_e32 v106, v106, v154
	v_add_f32_e32 v105, v105, v110
	s_waitcnt lgkmcnt(1)
	v_mul_f32_e32 v159, v121, v135
	v_mul_f32_e32 v135, v122, v135
	v_fmac_f32_e32 v156, v116, v143
	s_waitcnt vmcnt(5)
	v_fma_f32 v112, v119, v145, -v134
	v_add_f32_e32 v106, v106, v155
	v_add_f32_e32 v105, v105, v111
	v_fmac_f32_e32 v157, v118, v144
	s_waitcnt vmcnt(4)
	v_fma_f32 v113, v121, v146, -v135
	v_add_f32_e32 v106, v106, v156
	v_add_f32_e32 v105, v105, v112
	v_mul_f32_e32 v107, v124, v136
	v_fmac_f32_e32 v158, v120, v145
	v_add_f32_e32 v106, v106, v157
	v_add_f32_e32 v105, v105, v113
	s_waitcnt vmcnt(3)
	v_fma_f32 v107, v123, v147, -v107
	v_mul_f32_e32 v160, v123, v136
	v_fmac_f32_e32 v159, v122, v146
	v_add_f32_e32 v106, v106, v158
	v_add_f32_e32 v105, v105, v107
	s_waitcnt lgkmcnt(0)
	v_mul_f32_e32 v107, v126, v137
	v_mul_f32_e32 v161, v125, v137
	v_fmac_f32_e32 v160, v124, v147
	v_add_f32_e32 v106, v106, v159
	s_waitcnt vmcnt(2)
	v_fma_f32 v107, v125, v148, -v107
	v_fmac_f32_e32 v161, v126, v148
	v_add_f32_e32 v106, v106, v160
	v_add_f32_e32 v105, v105, v107
	;; [unrolled: 1-line block ×3, first 2 shown]
	s_waitcnt vmcnt(1)
	v_sub_f32_e32 v105, v149, v105
	s_waitcnt vmcnt(0)
	v_sub_f32_e32 v106, v150, v106
	buffer_store_dword v105, off, s[0:3], 0 offset:312
	buffer_store_dword v106, off, s[0:3], 0 offset:316
	s_and_saveexec_b64 s[4:5], vcc
	s_cbranch_execz .LBB50_243
; %bb.242:
	buffer_load_dword v105, off, s[0:3], 0 offset:304
	buffer_load_dword v106, off, s[0:3], 0 offset:308
	s_waitcnt vmcnt(0)
	ds_write_b64 v103, v[105:106]
	buffer_store_dword v104, off, s[0:3], 0 offset:304
	buffer_store_dword v104, off, s[0:3], 0 offset:308
.LBB50_243:
	s_or_b64 exec, exec, s[4:5]
	s_waitcnt lgkmcnt(0)
	; wave barrier
	buffer_load_dword v129, off, s[0:3], 0 offset:316
	buffer_load_dword v130, off, s[0:3], 0 offset:324
	;; [unrolled: 1-line block ×26, first 2 shown]
	ds_read2_b64 v[105:108], v104 offset0:91 offset1:92
	ds_read2_b64 v[109:112], v104 offset0:93 offset1:94
	;; [unrolled: 1-line block ×6, first 2 shown]
	v_cmp_lt_u32_e32 vcc, 37, v0
	s_waitcnt vmcnt(25) lgkmcnt(5)
	v_mul_f32_e32 v104, v105, v129
	v_mul_f32_e32 v129, v106, v129
	s_waitcnt vmcnt(24)
	v_mul_f32_e32 v155, v107, v130
	v_mul_f32_e32 v130, v108, v130
	s_waitcnt vmcnt(23) lgkmcnt(4)
	v_mul_f32_e32 v156, v109, v131
	v_mul_f32_e32 v131, v110, v131
	s_waitcnt vmcnt(22)
	v_mul_f32_e32 v157, v111, v132
	v_mul_f32_e32 v132, v112, v132
	s_waitcnt vmcnt(21) lgkmcnt(3)
	v_mul_f32_e32 v158, v113, v133
	v_mul_f32_e32 v133, v114, v133
	s_waitcnt vmcnt(20)
	v_mul_f32_e32 v159, v115, v134
	v_mul_f32_e32 v134, v116, v134
	s_waitcnt vmcnt(13)
	v_fma_f32 v105, v105, v141, -v129
	v_fmac_f32_e32 v104, v106, v141
	s_waitcnt vmcnt(12)
	v_fma_f32 v106, v107, v142, -v130
	v_add_f32_e32 v105, 0, v105
	s_waitcnt vmcnt(11)
	v_fma_f32 v107, v109, v143, -v131
	v_add_f32_e32 v105, v105, v106
	v_fmac_f32_e32 v155, v108, v142
	s_waitcnt vmcnt(10)
	v_fma_f32 v108, v111, v144, -v132
	v_add_f32_e32 v105, v105, v107
	s_waitcnt vmcnt(9)
	v_fma_f32 v109, v113, v145, -v133
	v_add_f32_e32 v105, v105, v108
	s_waitcnt lgkmcnt(2)
	v_mul_f32_e32 v160, v117, v135
	v_mul_f32_e32 v135, v118, v135
	v_fmac_f32_e32 v156, v110, v143
	s_waitcnt vmcnt(8)
	v_fma_f32 v110, v115, v146, -v134
	v_add_f32_e32 v104, 0, v104
	v_add_f32_e32 v105, v105, v109
	v_mul_f32_e32 v161, v119, v136
	v_mul_f32_e32 v136, v120, v136
	s_waitcnt vmcnt(7)
	v_fma_f32 v111, v117, v147, -v135
	v_add_f32_e32 v104, v104, v155
	v_add_f32_e32 v105, v105, v110
	v_fmac_f32_e32 v157, v112, v144
	s_waitcnt vmcnt(6)
	v_fma_f32 v112, v119, v148, -v136
	v_add_f32_e32 v104, v104, v156
	v_add_f32_e32 v105, v105, v111
	s_waitcnt lgkmcnt(1)
	v_mul_f32_e32 v106, v122, v137
	v_fmac_f32_e32 v158, v114, v145
	v_add_f32_e32 v104, v104, v157
	v_add_f32_e32 v105, v105, v112
	s_waitcnt vmcnt(5)
	v_fma_f32 v106, v121, v149, -v106
	v_fmac_f32_e32 v159, v116, v146
	v_add_f32_e32 v104, v104, v158
	v_add_f32_e32 v105, v105, v106
	v_mul_f32_e32 v106, v124, v138
	v_fmac_f32_e32 v160, v118, v147
	v_add_f32_e32 v104, v104, v159
	s_waitcnt vmcnt(4)
	v_fma_f32 v106, v123, v150, -v106
	v_mul_f32_e32 v162, v121, v137
	v_fmac_f32_e32 v161, v120, v148
	v_add_f32_e32 v104, v104, v160
	v_add_f32_e32 v105, v105, v106
	s_waitcnt lgkmcnt(0)
	v_mul_f32_e32 v106, v126, v139
	v_mul_f32_e32 v163, v123, v138
	v_fmac_f32_e32 v162, v122, v149
	v_add_f32_e32 v104, v104, v161
	s_waitcnt vmcnt(3)
	v_fma_f32 v106, v125, v151, -v106
	v_mul_f32_e32 v164, v125, v139
	v_fmac_f32_e32 v163, v124, v150
	v_add_f32_e32 v104, v104, v162
	v_add_f32_e32 v105, v105, v106
	v_mul_f32_e32 v106, v128, v140
	v_mul_f32_e32 v165, v127, v140
	v_fmac_f32_e32 v164, v126, v151
	v_add_f32_e32 v104, v104, v163
	s_waitcnt vmcnt(2)
	v_fma_f32 v106, v127, v152, -v106
	v_fmac_f32_e32 v165, v128, v152
	v_add_f32_e32 v104, v104, v164
	v_add_f32_e32 v105, v105, v106
	;; [unrolled: 1-line block ×3, first 2 shown]
	s_waitcnt vmcnt(1)
	v_sub_f32_e32 v105, v153, v105
	s_waitcnt vmcnt(0)
	v_sub_f32_e32 v104, v154, v104
	buffer_store_dword v105, off, s[0:3], 0 offset:304
	buffer_store_dword v104, off, s[0:3], 0 offset:308
	s_and_saveexec_b64 s[4:5], vcc
	s_cbranch_execz .LBB50_245
; %bb.244:
	buffer_load_dword v104, off, s[0:3], 0 offset:296
	buffer_load_dword v105, off, s[0:3], 0 offset:300
	v_mov_b32_e32 v106, 0
	buffer_store_dword v106, off, s[0:3], 0 offset:296
	buffer_store_dword v106, off, s[0:3], 0 offset:300
	s_waitcnt vmcnt(2)
	ds_write_b64 v103, v[104:105]
.LBB50_245:
	s_or_b64 exec, exec, s[4:5]
	s_waitcnt lgkmcnt(0)
	; wave barrier
	buffer_load_dword v131, off, s[0:3], 0 offset:308
	buffer_load_dword v132, off, s[0:3], 0 offset:316
	;; [unrolled: 1-line block ×28, first 2 shown]
	v_mov_b32_e32 v104, 0
	ds_read_b128 v[105:108], v104 offset:720
	ds_read_b128 v[109:112], v104 offset:736
	;; [unrolled: 1-line block ×6, first 2 shown]
	ds_read_b64 v[129:130], v104 offset:816
	v_cmp_lt_u32_e32 vcc, 36, v0
	s_waitcnt vmcnt(27) lgkmcnt(6)
	v_mul_f32_e32 v159, v105, v131
	v_mul_f32_e32 v131, v106, v131
	s_waitcnt vmcnt(26)
	v_mul_f32_e32 v160, v107, v132
	v_mul_f32_e32 v132, v108, v132
	s_waitcnt vmcnt(25) lgkmcnt(5)
	v_mul_f32_e32 v161, v109, v133
	v_mul_f32_e32 v133, v110, v133
	s_waitcnt vmcnt(24)
	v_mul_f32_e32 v162, v111, v134
	v_mul_f32_e32 v134, v112, v134
	;; [unrolled: 6-line block ×3, first 2 shown]
	s_waitcnt vmcnt(21) lgkmcnt(3)
	v_mul_f32_e32 v165, v117, v137
	s_waitcnt vmcnt(14)
	v_fma_f32 v105, v105, v144, -v131
	v_fmac_f32_e32 v159, v106, v144
	s_waitcnt vmcnt(13)
	v_fma_f32 v106, v107, v145, -v132
	v_add_f32_e32 v105, 0, v105
	s_waitcnt vmcnt(12)
	v_fma_f32 v107, v109, v146, -v133
	v_add_f32_e32 v105, v105, v106
	v_fmac_f32_e32 v160, v108, v145
	s_waitcnt vmcnt(11)
	v_fma_f32 v108, v111, v147, -v134
	v_add_f32_e32 v105, v105, v107
	s_waitcnt vmcnt(10)
	v_fma_f32 v109, v113, v148, -v135
	v_add_f32_e32 v105, v105, v108
	v_fmac_f32_e32 v161, v110, v146
	s_waitcnt vmcnt(9)
	v_fma_f32 v110, v115, v149, -v136
	v_add_f32_e32 v105, v105, v109
	v_mul_f32_e32 v107, v118, v137
	v_add_f32_e32 v105, v105, v110
	s_waitcnt vmcnt(8)
	v_fma_f32 v107, v117, v150, -v107
	v_add_f32_e32 v105, v105, v107
	v_mul_f32_e32 v107, v120, v138
	v_add_f32_e32 v111, 0, v159
	s_waitcnt vmcnt(7)
	v_fma_f32 v107, v119, v151, -v107
	v_add_f32_e32 v111, v111, v160
	v_add_f32_e32 v105, v105, v107
	s_waitcnt lgkmcnt(2)
	v_mul_f32_e32 v107, v122, v139
	v_fmac_f32_e32 v162, v112, v147
	v_add_f32_e32 v106, v111, v161
	s_waitcnt vmcnt(6)
	v_fma_f32 v107, v121, v152, -v107
	v_fmac_f32_e32 v163, v114, v148
	v_add_f32_e32 v106, v106, v162
	v_add_f32_e32 v105, v105, v107
	v_mul_f32_e32 v107, v124, v140
	v_fmac_f32_e32 v164, v116, v149
	v_add_f32_e32 v106, v106, v163
	s_waitcnt vmcnt(5)
	v_fma_f32 v107, v123, v153, -v107
	v_mul_f32_e32 v166, v119, v138
	v_fmac_f32_e32 v165, v118, v150
	v_add_f32_e32 v106, v106, v164
	v_add_f32_e32 v105, v105, v107
	s_waitcnt lgkmcnt(1)
	v_mul_f32_e32 v107, v126, v141
	v_mul_f32_e32 v167, v121, v139
	v_fmac_f32_e32 v166, v120, v151
	v_add_f32_e32 v106, v106, v165
	s_waitcnt vmcnt(4)
	v_fma_f32 v107, v125, v154, -v107
	v_mul_f32_e32 v168, v123, v140
	v_fmac_f32_e32 v167, v122, v152
	v_add_f32_e32 v106, v106, v166
	v_add_f32_e32 v105, v105, v107
	v_mul_f32_e32 v107, v128, v142
	v_mul_f32_e32 v169, v125, v141
	v_fmac_f32_e32 v168, v124, v153
	v_add_f32_e32 v106, v106, v167
	s_waitcnt vmcnt(3)
	v_fma_f32 v107, v127, v155, -v107
	v_mul_f32_e32 v170, v127, v142
	v_fmac_f32_e32 v169, v126, v154
	v_add_f32_e32 v106, v106, v168
	v_add_f32_e32 v105, v105, v107
	s_waitcnt lgkmcnt(0)
	v_mul_f32_e32 v107, v130, v143
	v_mul_f32_e32 v171, v129, v143
	v_fmac_f32_e32 v170, v128, v155
	v_add_f32_e32 v106, v106, v169
	s_waitcnt vmcnt(2)
	v_fma_f32 v107, v129, v156, -v107
	v_fmac_f32_e32 v171, v130, v156
	v_add_f32_e32 v106, v106, v170
	v_add_f32_e32 v105, v105, v107
	;; [unrolled: 1-line block ×3, first 2 shown]
	s_waitcnt vmcnt(1)
	v_sub_f32_e32 v105, v157, v105
	s_waitcnt vmcnt(0)
	v_sub_f32_e32 v106, v158, v106
	buffer_store_dword v105, off, s[0:3], 0 offset:296
	buffer_store_dword v106, off, s[0:3], 0 offset:300
	s_and_saveexec_b64 s[4:5], vcc
	s_cbranch_execz .LBB50_247
; %bb.246:
	buffer_load_dword v105, off, s[0:3], 0 offset:288
	buffer_load_dword v106, off, s[0:3], 0 offset:292
	s_waitcnt vmcnt(0)
	ds_write_b64 v103, v[105:106]
	buffer_store_dword v104, off, s[0:3], 0 offset:288
	buffer_store_dword v104, off, s[0:3], 0 offset:292
.LBB50_247:
	s_or_b64 exec, exec, s[4:5]
	s_waitcnt lgkmcnt(0)
	; wave barrier
	buffer_load_dword v133, off, s[0:3], 0 offset:300
	buffer_load_dword v134, off, s[0:3], 0 offset:308
	;; [unrolled: 1-line block ×30, first 2 shown]
	ds_read2_b64 v[105:108], v104 offset0:89 offset1:90
	ds_read2_b64 v[109:112], v104 offset0:91 offset1:92
	;; [unrolled: 1-line block ×7, first 2 shown]
	v_cmp_lt_u32_e32 vcc, 35, v0
	s_waitcnt vmcnt(29) lgkmcnt(6)
	v_mul_f32_e32 v104, v105, v133
	v_mul_f32_e32 v133, v106, v133
	s_waitcnt vmcnt(28)
	v_mul_f32_e32 v163, v107, v134
	v_mul_f32_e32 v134, v108, v134
	s_waitcnt vmcnt(27) lgkmcnt(5)
	v_mul_f32_e32 v164, v109, v135
	v_mul_f32_e32 v135, v110, v135
	s_waitcnt vmcnt(26)
	v_mul_f32_e32 v165, v111, v136
	v_mul_f32_e32 v136, v112, v136
	s_waitcnt vmcnt(25) lgkmcnt(4)
	v_mul_f32_e32 v166, v113, v137
	v_mul_f32_e32 v137, v114, v137
	s_waitcnt vmcnt(24)
	v_mul_f32_e32 v167, v115, v138
	s_waitcnt vmcnt(23) lgkmcnt(3)
	v_mul_f32_e32 v168, v117, v139
	s_waitcnt vmcnt(22)
	v_mul_f32_e32 v169, v119, v140
	s_waitcnt vmcnt(21) lgkmcnt(2)
	v_mul_f32_e32 v170, v121, v141
	s_waitcnt vmcnt(15)
	v_fma_f32 v105, v105, v147, -v133
	v_fmac_f32_e32 v104, v106, v147
	s_waitcnt vmcnt(14)
	v_fma_f32 v106, v107, v148, -v134
	v_add_f32_e32 v105, 0, v105
	s_waitcnt vmcnt(13)
	v_fma_f32 v107, v109, v149, -v135
	v_add_f32_e32 v105, v105, v106
	v_fmac_f32_e32 v163, v108, v148
	s_waitcnt vmcnt(12)
	v_fma_f32 v108, v111, v150, -v136
	v_add_f32_e32 v105, v105, v107
	s_waitcnt vmcnt(11)
	v_fma_f32 v109, v113, v151, -v137
	v_add_f32_e32 v105, v105, v108
	v_mul_f32_e32 v106, v116, v138
	v_add_f32_e32 v105, v105, v109
	s_waitcnt vmcnt(10)
	v_fma_f32 v106, v115, v152, -v106
	v_add_f32_e32 v105, v105, v106
	v_mul_f32_e32 v106, v118, v139
	s_waitcnt vmcnt(9)
	v_fma_f32 v106, v117, v153, -v106
	v_add_f32_e32 v105, v105, v106
	v_mul_f32_e32 v106, v120, v140
	s_waitcnt vmcnt(8)
	v_fma_f32 v106, v119, v154, -v106
	v_add_f32_e32 v104, 0, v104
	v_add_f32_e32 v105, v105, v106
	v_mul_f32_e32 v106, v122, v141
	v_fmac_f32_e32 v164, v110, v149
	v_add_f32_e32 v104, v104, v163
	s_waitcnt vmcnt(7)
	v_fma_f32 v106, v121, v155, -v106
	v_fmac_f32_e32 v165, v112, v150
	v_add_f32_e32 v104, v104, v164
	v_add_f32_e32 v105, v105, v106
	v_mul_f32_e32 v106, v124, v142
	v_fmac_f32_e32 v166, v114, v151
	v_add_f32_e32 v104, v104, v165
	s_waitcnt vmcnt(6)
	v_fma_f32 v106, v123, v156, -v106
	v_fmac_f32_e32 v167, v116, v152
	v_add_f32_e32 v104, v104, v166
	v_add_f32_e32 v105, v105, v106
	s_waitcnt lgkmcnt(1)
	v_mul_f32_e32 v106, v126, v143
	v_fmac_f32_e32 v168, v118, v153
	v_add_f32_e32 v104, v104, v167
	s_waitcnt vmcnt(5)
	v_fma_f32 v106, v125, v157, -v106
	v_fmac_f32_e32 v169, v120, v154
	v_add_f32_e32 v104, v104, v168
	v_add_f32_e32 v105, v105, v106
	v_mul_f32_e32 v106, v128, v144
	v_mul_f32_e32 v171, v123, v142
	v_fmac_f32_e32 v170, v122, v155
	v_add_f32_e32 v104, v104, v169
	s_waitcnt vmcnt(4)
	v_fma_f32 v106, v127, v158, -v106
	v_mul_f32_e32 v172, v125, v143
	v_fmac_f32_e32 v171, v124, v156
	v_add_f32_e32 v104, v104, v170
	v_add_f32_e32 v105, v105, v106
	s_waitcnt lgkmcnt(0)
	v_mul_f32_e32 v106, v130, v145
	v_mul_f32_e32 v173, v127, v144
	v_fmac_f32_e32 v172, v126, v157
	v_add_f32_e32 v104, v104, v171
	s_waitcnt vmcnt(3)
	v_fma_f32 v106, v129, v159, -v106
	v_mul_f32_e32 v174, v129, v145
	v_fmac_f32_e32 v173, v128, v158
	v_add_f32_e32 v104, v104, v172
	v_add_f32_e32 v105, v105, v106
	v_mul_f32_e32 v106, v132, v146
	v_mul_f32_e32 v175, v131, v146
	v_fmac_f32_e32 v174, v130, v159
	v_add_f32_e32 v104, v104, v173
	s_waitcnt vmcnt(2)
	v_fma_f32 v106, v131, v160, -v106
	v_fmac_f32_e32 v175, v132, v160
	v_add_f32_e32 v104, v104, v174
	v_add_f32_e32 v105, v105, v106
	;; [unrolled: 1-line block ×3, first 2 shown]
	s_waitcnt vmcnt(1)
	v_sub_f32_e32 v105, v161, v105
	s_waitcnt vmcnt(0)
	v_sub_f32_e32 v104, v162, v104
	buffer_store_dword v105, off, s[0:3], 0 offset:288
	buffer_store_dword v104, off, s[0:3], 0 offset:292
	s_and_saveexec_b64 s[4:5], vcc
	s_cbranch_execz .LBB50_249
; %bb.248:
	buffer_load_dword v104, off, s[0:3], 0 offset:280
	buffer_load_dword v105, off, s[0:3], 0 offset:284
	v_mov_b32_e32 v106, 0
	buffer_store_dword v106, off, s[0:3], 0 offset:280
	buffer_store_dword v106, off, s[0:3], 0 offset:284
	s_waitcnt vmcnt(2)
	ds_write_b64 v103, v[104:105]
.LBB50_249:
	s_or_b64 exec, exec, s[4:5]
	s_waitcnt lgkmcnt(0)
	; wave barrier
	buffer_load_dword v135, off, s[0:3], 0 offset:292
	buffer_load_dword v136, off, s[0:3], 0 offset:300
	;; [unrolled: 1-line block ×32, first 2 shown]
	v_mov_b32_e32 v104, 0
	ds_read_b128 v[105:108], v104 offset:704
	ds_read_b128 v[109:112], v104 offset:720
	ds_read_b128 v[113:116], v104 offset:736
	ds_read_b128 v[117:120], v104 offset:752
	ds_read_b128 v[121:124], v104 offset:768
	ds_read_b128 v[125:128], v104 offset:784
	ds_read_b128 v[129:132], v104 offset:800
	ds_read_b64 v[133:134], v104 offset:816
	v_cmp_lt_u32_e32 vcc, 34, v0
	s_waitcnt vmcnt(31) lgkmcnt(7)
	v_mul_f32_e32 v167, v105, v135
	v_mul_f32_e32 v135, v106, v135
	s_waitcnt vmcnt(30)
	v_mul_f32_e32 v168, v107, v136
	v_mul_f32_e32 v136, v108, v136
	s_waitcnt vmcnt(29) lgkmcnt(6)
	v_mul_f32_e32 v169, v109, v137
	v_mul_f32_e32 v137, v110, v137
	s_waitcnt vmcnt(28)
	v_mul_f32_e32 v170, v111, v138
	s_waitcnt vmcnt(27) lgkmcnt(5)
	v_mul_f32_e32 v171, v113, v139
	s_waitcnt vmcnt(26)
	v_mul_f32_e32 v172, v115, v140
	s_waitcnt vmcnt(25) lgkmcnt(4)
	;; [unrolled: 4-line block ×4, first 2 shown]
	v_mul_f32_e32 v177, v125, v145
	s_waitcnt vmcnt(20)
	v_mul_f32_e32 v178, v127, v146
	s_waitcnt vmcnt(16)
	v_fma_f32 v105, v105, v150, -v135
	v_fmac_f32_e32 v167, v106, v150
	s_waitcnt vmcnt(15)
	v_fma_f32 v106, v107, v151, -v136
	v_add_f32_e32 v105, 0, v105
	s_waitcnt vmcnt(14)
	v_fma_f32 v107, v109, v152, -v137
	v_add_f32_e32 v105, v105, v106
	v_add_f32_e32 v105, v105, v107
	v_mul_f32_e32 v107, v112, v138
	s_waitcnt vmcnt(13)
	v_fma_f32 v107, v111, v153, -v107
	v_add_f32_e32 v105, v105, v107
	v_mul_f32_e32 v107, v114, v139
	s_waitcnt vmcnt(12)
	v_fma_f32 v107, v113, v154, -v107
	;; [unrolled: 4-line block ×5, first 2 shown]
	v_add_f32_e32 v105, v105, v107
	v_mul_f32_e32 v107, v122, v143
	v_fmac_f32_e32 v168, v108, v151
	v_add_f32_e32 v108, 0, v167
	s_waitcnt vmcnt(8)
	v_fma_f32 v107, v121, v158, -v107
	v_fmac_f32_e32 v169, v110, v152
	v_add_f32_e32 v108, v108, v168
	v_add_f32_e32 v105, v105, v107
	v_mul_f32_e32 v107, v124, v144
	v_fmac_f32_e32 v170, v112, v153
	v_add_f32_e32 v106, v108, v169
	s_waitcnt vmcnt(7)
	v_fma_f32 v107, v123, v159, -v107
	v_fmac_f32_e32 v171, v114, v154
	v_add_f32_e32 v106, v106, v170
	;; [unrolled: 8-line block ×4, first 2 shown]
	v_add_f32_e32 v105, v105, v107
	s_waitcnt lgkmcnt(1)
	v_mul_f32_e32 v107, v130, v147
	v_fmac_f32_e32 v176, v124, v159
	v_add_f32_e32 v106, v106, v175
	s_waitcnt vmcnt(4)
	v_fma_f32 v107, v129, v162, -v107
	v_fmac_f32_e32 v177, v126, v160
	v_add_f32_e32 v106, v106, v176
	v_add_f32_e32 v105, v105, v107
	v_mul_f32_e32 v107, v132, v148
	v_mul_f32_e32 v179, v129, v147
	v_fmac_f32_e32 v178, v128, v161
	v_add_f32_e32 v106, v106, v177
	s_waitcnt vmcnt(3)
	v_fma_f32 v107, v131, v163, -v107
	v_mul_f32_e32 v180, v131, v148
	v_fmac_f32_e32 v179, v130, v162
	v_add_f32_e32 v106, v106, v178
	v_add_f32_e32 v105, v105, v107
	s_waitcnt lgkmcnt(0)
	v_mul_f32_e32 v107, v134, v149
	v_mul_f32_e32 v181, v133, v149
	v_fmac_f32_e32 v180, v132, v163
	v_add_f32_e32 v106, v106, v179
	s_waitcnt vmcnt(2)
	v_fma_f32 v107, v133, v164, -v107
	v_fmac_f32_e32 v181, v134, v164
	v_add_f32_e32 v106, v106, v180
	v_add_f32_e32 v105, v105, v107
	;; [unrolled: 1-line block ×3, first 2 shown]
	s_waitcnt vmcnt(1)
	v_sub_f32_e32 v105, v165, v105
	s_waitcnt vmcnt(0)
	v_sub_f32_e32 v106, v166, v106
	buffer_store_dword v105, off, s[0:3], 0 offset:280
	buffer_store_dword v106, off, s[0:3], 0 offset:284
	s_and_saveexec_b64 s[4:5], vcc
	s_cbranch_execz .LBB50_251
; %bb.250:
	buffer_load_dword v105, off, s[0:3], 0 offset:272
	buffer_load_dword v106, off, s[0:3], 0 offset:276
	s_waitcnt vmcnt(0)
	ds_write_b64 v103, v[105:106]
	buffer_store_dword v104, off, s[0:3], 0 offset:272
	buffer_store_dword v104, off, s[0:3], 0 offset:276
.LBB50_251:
	s_or_b64 exec, exec, s[4:5]
	s_waitcnt lgkmcnt(0)
	; wave barrier
	buffer_load_dword v137, off, s[0:3], 0 offset:284
	buffer_load_dword v138, off, s[0:3], 0 offset:292
	;; [unrolled: 1-line block ×34, first 2 shown]
	ds_read2_b64 v[105:108], v104 offset0:87 offset1:88
	ds_read2_b64 v[109:112], v104 offset0:89 offset1:90
	;; [unrolled: 1-line block ×8, first 2 shown]
	v_cmp_lt_u32_e32 vcc, 33, v0
	s_waitcnt vmcnt(33) lgkmcnt(7)
	v_mul_f32_e32 v104, v105, v137
	v_mul_f32_e32 v137, v106, v137
	s_waitcnt vmcnt(32)
	v_mul_f32_e32 v171, v107, v138
	v_mul_f32_e32 v138, v108, v138
	s_waitcnt vmcnt(31) lgkmcnt(6)
	v_mul_f32_e32 v172, v109, v139
	s_waitcnt vmcnt(30)
	v_mul_f32_e32 v173, v111, v140
	s_waitcnt vmcnt(29) lgkmcnt(5)
	v_mul_f32_e32 v174, v113, v141
	s_waitcnt vmcnt(28)
	;; [unrolled: 4-line block ×6, first 2 shown]
	v_mul_f32_e32 v183, v131, v150
	s_waitcnt vmcnt(17)
	v_fma_f32 v105, v105, v153, -v137
	v_fmac_f32_e32 v104, v106, v153
	s_waitcnt vmcnt(16)
	v_fma_f32 v106, v107, v154, -v138
	v_add_f32_e32 v105, 0, v105
	v_add_f32_e32 v105, v105, v106
	v_mul_f32_e32 v106, v110, v139
	s_waitcnt vmcnt(15)
	v_fma_f32 v106, v109, v155, -v106
	v_add_f32_e32 v105, v105, v106
	v_mul_f32_e32 v106, v112, v140
	s_waitcnt vmcnt(14)
	v_fma_f32 v106, v111, v156, -v106
	;; [unrolled: 4-line block ×7, first 2 shown]
	v_fmac_f32_e32 v171, v108, v154
	v_add_f32_e32 v104, 0, v104
	v_add_f32_e32 v105, v105, v106
	v_mul_f32_e32 v106, v124, v146
	v_fmac_f32_e32 v172, v110, v155
	v_add_f32_e32 v104, v104, v171
	s_waitcnt vmcnt(8)
	v_fma_f32 v106, v123, v162, -v106
	v_fmac_f32_e32 v173, v112, v156
	v_add_f32_e32 v104, v104, v172
	v_add_f32_e32 v105, v105, v106
	v_mul_f32_e32 v106, v126, v147
	v_fmac_f32_e32 v174, v114, v157
	v_add_f32_e32 v104, v104, v173
	s_waitcnt vmcnt(7)
	v_fma_f32 v106, v125, v163, -v106
	v_fmac_f32_e32 v175, v116, v158
	v_add_f32_e32 v104, v104, v174
	v_add_f32_e32 v105, v105, v106
	v_mul_f32_e32 v106, v128, v148
	v_fmac_f32_e32 v176, v118, v159
	v_add_f32_e32 v104, v104, v175
	s_waitcnt vmcnt(6)
	v_fma_f32 v106, v127, v164, -v106
	v_fmac_f32_e32 v177, v120, v160
	v_add_f32_e32 v104, v104, v176
	v_add_f32_e32 v105, v105, v106
	v_mul_f32_e32 v106, v130, v149
	v_fmac_f32_e32 v178, v122, v161
	v_add_f32_e32 v104, v104, v177
	s_waitcnt vmcnt(5)
	v_fma_f32 v106, v129, v165, -v106
	v_fmac_f32_e32 v179, v124, v162
	v_add_f32_e32 v104, v104, v178
	v_add_f32_e32 v105, v105, v106
	v_mul_f32_e32 v106, v132, v150
	v_fmac_f32_e32 v180, v126, v163
	v_add_f32_e32 v104, v104, v179
	s_waitcnt vmcnt(4)
	v_fma_f32 v106, v131, v166, -v106
	v_fmac_f32_e32 v181, v128, v164
	v_add_f32_e32 v104, v104, v180
	v_add_f32_e32 v105, v105, v106
	s_waitcnt lgkmcnt(0)
	v_mul_f32_e32 v106, v134, v151
	v_fmac_f32_e32 v182, v130, v165
	v_add_f32_e32 v104, v104, v181
	s_waitcnt vmcnt(3)
	v_fma_f32 v106, v133, v167, -v106
	v_mul_f32_e32 v184, v133, v151
	v_fmac_f32_e32 v183, v132, v166
	v_add_f32_e32 v104, v104, v182
	v_add_f32_e32 v105, v105, v106
	v_mul_f32_e32 v106, v136, v152
	v_mul_f32_e32 v185, v135, v152
	v_fmac_f32_e32 v184, v134, v167
	v_add_f32_e32 v104, v104, v183
	s_waitcnt vmcnt(2)
	v_fma_f32 v106, v135, v168, -v106
	v_fmac_f32_e32 v185, v136, v168
	v_add_f32_e32 v104, v104, v184
	v_add_f32_e32 v105, v105, v106
	;; [unrolled: 1-line block ×3, first 2 shown]
	s_waitcnt vmcnt(1)
	v_sub_f32_e32 v105, v169, v105
	s_waitcnt vmcnt(0)
	v_sub_f32_e32 v104, v170, v104
	buffer_store_dword v105, off, s[0:3], 0 offset:272
	buffer_store_dword v104, off, s[0:3], 0 offset:276
	s_and_saveexec_b64 s[4:5], vcc
	s_cbranch_execz .LBB50_253
; %bb.252:
	buffer_load_dword v104, off, s[0:3], 0 offset:264
	buffer_load_dword v105, off, s[0:3], 0 offset:268
	v_mov_b32_e32 v106, 0
	buffer_store_dword v106, off, s[0:3], 0 offset:264
	buffer_store_dword v106, off, s[0:3], 0 offset:268
	s_waitcnt vmcnt(2)
	ds_write_b64 v103, v[104:105]
.LBB50_253:
	s_or_b64 exec, exec, s[4:5]
	s_waitcnt lgkmcnt(0)
	; wave barrier
	buffer_load_dword v139, off, s[0:3], 0 offset:276
	buffer_load_dword v140, off, s[0:3], 0 offset:284
	;; [unrolled: 1-line block ×36, first 2 shown]
	v_mov_b32_e32 v104, 0
	ds_read_b128 v[105:108], v104 offset:688
	ds_read_b128 v[109:112], v104 offset:704
	;; [unrolled: 1-line block ×8, first 2 shown]
	ds_read_b64 v[137:138], v104 offset:816
	v_cmp_lt_u32_e32 vcc, 32, v0
	s_waitcnt vmcnt(35) lgkmcnt(8)
	v_mul_f32_e32 v175, v105, v139
	s_waitcnt vmcnt(34)
	v_mul_f32_e32 v176, v107, v140
	s_waitcnt vmcnt(33) lgkmcnt(7)
	v_mul_f32_e32 v177, v109, v141
	s_waitcnt vmcnt(32)
	v_mul_f32_e32 v178, v111, v142
	;; [unrolled: 4-line block ×8, first 2 shown]
	s_waitcnt vmcnt(19) lgkmcnt(0)
	v_mul_f32_e32 v191, v137, v155
	s_waitcnt vmcnt(18)
	v_fmac_f32_e32 v175, v106, v156
	v_mul_f32_e32 v106, v106, v139
	v_fma_f32 v105, v105, v156, -v106
	v_mul_f32_e32 v106, v108, v140
	v_add_f32_e32 v105, 0, v105
	s_waitcnt vmcnt(17)
	v_fma_f32 v106, v107, v157, -v106
	v_add_f32_e32 v105, v105, v106
	v_mul_f32_e32 v106, v110, v141
	s_waitcnt vmcnt(16)
	v_fma_f32 v106, v109, v158, -v106
	v_add_f32_e32 v105, v105, v106
	v_mul_f32_e32 v106, v112, v142
	;; [unrolled: 4-line block ×8, first 2 shown]
	v_fmac_f32_e32 v176, v108, v157
	v_add_f32_e32 v175, 0, v175
	s_waitcnt vmcnt(9)
	v_fma_f32 v106, v123, v165, -v106
	v_fmac_f32_e32 v177, v110, v158
	v_add_f32_e32 v175, v175, v176
	v_add_f32_e32 v105, v105, v106
	v_mul_f32_e32 v106, v126, v149
	v_fmac_f32_e32 v178, v112, v159
	v_add_f32_e32 v175, v175, v177
	s_waitcnt vmcnt(8)
	v_fma_f32 v106, v125, v166, -v106
	v_fmac_f32_e32 v179, v114, v160
	v_add_f32_e32 v175, v175, v178
	v_add_f32_e32 v105, v105, v106
	v_mul_f32_e32 v106, v128, v150
	;; [unrolled: 8-line block ×7, first 2 shown]
	v_fmac_f32_e32 v190, v136, v171
	v_add_f32_e32 v175, v175, v189
	s_waitcnt vmcnt(2)
	v_fma_f32 v106, v137, v172, -v106
	v_fmac_f32_e32 v191, v138, v172
	v_add_f32_e32 v175, v175, v190
	v_add_f32_e32 v105, v105, v106
	;; [unrolled: 1-line block ×3, first 2 shown]
	s_waitcnt vmcnt(1)
	v_sub_f32_e32 v105, v173, v105
	s_waitcnt vmcnt(0)
	v_sub_f32_e32 v106, v174, v175
	buffer_store_dword v105, off, s[0:3], 0 offset:264
	buffer_store_dword v106, off, s[0:3], 0 offset:268
	s_and_saveexec_b64 s[4:5], vcc
	s_cbranch_execz .LBB50_255
; %bb.254:
	buffer_load_dword v105, off, s[0:3], 0 offset:256
	buffer_load_dword v106, off, s[0:3], 0 offset:260
	s_waitcnt vmcnt(0)
	ds_write_b64 v103, v[105:106]
	buffer_store_dword v104, off, s[0:3], 0 offset:256
	buffer_store_dword v104, off, s[0:3], 0 offset:260
.LBB50_255:
	s_or_b64 exec, exec, s[4:5]
	s_waitcnt lgkmcnt(0)
	; wave barrier
	buffer_load_dword v141, off, s[0:3], 0 offset:268
	buffer_load_dword v142, off, s[0:3], 0 offset:276
	;; [unrolled: 1-line block ×38, first 2 shown]
	ds_read2_b64 v[105:108], v104 offset0:85 offset1:86
	ds_read2_b64 v[109:112], v104 offset0:87 offset1:88
	ds_read2_b64 v[113:116], v104 offset0:89 offset1:90
	ds_read2_b64 v[117:120], v104 offset0:91 offset1:92
	ds_read2_b64 v[121:124], v104 offset0:93 offset1:94
	ds_read2_b64 v[125:128], v104 offset0:95 offset1:96
	ds_read2_b64 v[129:132], v104 offset0:97 offset1:98
	ds_read2_b64 v[133:136], v104 offset0:99 offset1:100
	ds_read2_b64 v[137:140], v104 offset0:101 offset1:102
	v_cmp_lt_u32_e32 vcc, 31, v0
	s_waitcnt vmcnt(37) lgkmcnt(8)
	v_mul_f32_e32 v104, v105, v141
	s_waitcnt vmcnt(36)
	v_mul_f32_e32 v179, v107, v142
	s_waitcnt vmcnt(35) lgkmcnt(7)
	v_mul_f32_e32 v180, v109, v143
	s_waitcnt vmcnt(34)
	v_mul_f32_e32 v181, v111, v144
	;; [unrolled: 4-line block ×8, first 2 shown]
	s_waitcnt vmcnt(21) lgkmcnt(0)
	v_mul_f32_e32 v194, v137, v157
	s_waitcnt vmcnt(20)
	v_fmac_f32_e32 v104, v106, v158
	v_mul_f32_e32 v106, v106, v141
	v_fma_f32 v105, v105, v158, -v106
	v_mul_f32_e32 v106, v108, v142
	v_add_f32_e32 v105, 0, v105
	s_waitcnt vmcnt(19)
	v_fma_f32 v106, v107, v159, -v106
	v_add_f32_e32 v105, v105, v106
	v_mul_f32_e32 v106, v110, v143
	s_waitcnt vmcnt(18)
	v_fma_f32 v106, v109, v160, -v106
	v_add_f32_e32 v105, v105, v106
	v_mul_f32_e32 v106, v112, v144
	;; [unrolled: 4-line block ×8, first 2 shown]
	s_waitcnt vmcnt(11)
	v_fma_f32 v106, v123, v167, -v106
	v_fmac_f32_e32 v179, v108, v159
	v_add_f32_e32 v104, 0, v104
	v_add_f32_e32 v105, v105, v106
	v_mul_f32_e32 v106, v126, v151
	v_fmac_f32_e32 v180, v110, v160
	v_add_f32_e32 v104, v104, v179
	s_waitcnt vmcnt(10)
	v_fma_f32 v106, v125, v168, -v106
	v_fmac_f32_e32 v181, v112, v161
	v_add_f32_e32 v104, v104, v180
	v_add_f32_e32 v105, v105, v106
	v_mul_f32_e32 v106, v128, v152
	v_fmac_f32_e32 v182, v114, v162
	v_add_f32_e32 v104, v104, v181
	;; [unrolled: 8-line block ×7, first 2 shown]
	s_waitcnt vmcnt(4)
	v_fma_f32 v106, v137, v174, -v106
	v_fmac_f32_e32 v193, v136, v173
	v_add_f32_e32 v104, v104, v192
	v_add_f32_e32 v105, v105, v106
	s_waitcnt vmcnt(3)
	v_mul_f32_e32 v106, v140, v175
	v_add_f32_e32 v104, v104, v193
	v_fmac_f32_e32 v194, v138, v174
	v_mul_f32_e32 v179, v139, v175
	s_waitcnt vmcnt(2)
	v_fma_f32 v106, v139, v176, -v106
	v_add_f32_e32 v104, v104, v194
	v_fmac_f32_e32 v179, v140, v176
	v_add_f32_e32 v105, v105, v106
	v_add_f32_e32 v104, v104, v179
	s_waitcnt vmcnt(1)
	v_sub_f32_e32 v105, v177, v105
	s_waitcnt vmcnt(0)
	v_sub_f32_e32 v104, v178, v104
	buffer_store_dword v105, off, s[0:3], 0 offset:256
	buffer_store_dword v104, off, s[0:3], 0 offset:260
	s_and_saveexec_b64 s[4:5], vcc
	s_cbranch_execz .LBB50_257
; %bb.256:
	buffer_load_dword v104, off, s[0:3], 0 offset:248
	buffer_load_dword v105, off, s[0:3], 0 offset:252
	v_mov_b32_e32 v106, 0
	buffer_store_dword v106, off, s[0:3], 0 offset:248
	buffer_store_dword v106, off, s[0:3], 0 offset:252
	s_waitcnt vmcnt(2)
	ds_write_b64 v103, v[104:105]
.LBB50_257:
	s_or_b64 exec, exec, s[4:5]
	s_waitcnt lgkmcnt(0)
	; wave barrier
	buffer_load_dword v143, off, s[0:3], 0 offset:260
	buffer_load_dword v144, off, s[0:3], 0 offset:268
	;; [unrolled: 1-line block ×40, first 2 shown]
	v_mov_b32_e32 v104, 0
	ds_read_b128 v[105:108], v104 offset:672
	ds_read_b128 v[109:112], v104 offset:688
	;; [unrolled: 1-line block ×9, first 2 shown]
	v_cmp_lt_u32_e32 vcc, 30, v0
	s_waitcnt vmcnt(39) lgkmcnt(8)
	v_mul_f32_e32 v141, v105, v143
	s_waitcnt vmcnt(38)
	v_mul_f32_e32 v142, v107, v144
	s_waitcnt vmcnt(37) lgkmcnt(7)
	v_mul_f32_e32 v183, v109, v145
	s_waitcnt vmcnt(36)
	v_mul_f32_e32 v184, v111, v146
	;; [unrolled: 4-line block ×7, first 2 shown]
	s_waitcnt vmcnt(25) lgkmcnt(1)
	v_mul_f32_e32 v195, v133, v157
	s_waitcnt vmcnt(24)
	v_fmac_f32_e32 v141, v106, v158
	v_mul_f32_e32 v106, v106, v143
	v_fma_f32 v105, v105, v158, -v106
	v_mul_f32_e32 v106, v108, v144
	v_add_f32_e32 v105, 0, v105
	s_waitcnt vmcnt(23)
	v_fma_f32 v106, v107, v159, -v106
	v_add_f32_e32 v105, v105, v106
	v_mul_f32_e32 v106, v110, v145
	s_waitcnt vmcnt(22)
	v_fma_f32 v106, v109, v160, -v106
	v_add_f32_e32 v105, v105, v106
	v_mul_f32_e32 v106, v112, v146
	;; [unrolled: 4-line block ×6, first 2 shown]
	s_waitcnt vmcnt(17)
	v_fma_f32 v106, v119, v165, -v106
	v_fmac_f32_e32 v142, v108, v159
	v_add_f32_e32 v141, 0, v141
	v_add_f32_e32 v105, v105, v106
	v_mul_f32_e32 v106, v122, v151
	v_fmac_f32_e32 v183, v110, v160
	v_add_f32_e32 v141, v141, v142
	s_waitcnt vmcnt(16)
	v_fma_f32 v106, v121, v166, -v106
	v_fmac_f32_e32 v184, v112, v161
	v_add_f32_e32 v141, v141, v183
	v_add_f32_e32 v105, v105, v106
	v_mul_f32_e32 v106, v124, v152
	v_fmac_f32_e32 v185, v114, v162
	v_add_f32_e32 v141, v141, v184
	;; [unrolled: 8-line block ×6, first 2 shown]
	s_waitcnt vmcnt(11)
	v_fma_f32 v106, v131, v171, -v106
	v_fmac_f32_e32 v194, v132, v171
	v_add_f32_e32 v141, v141, v193
	v_add_f32_e32 v105, v105, v106
	v_mul_f32_e32 v106, v134, v157
	s_waitcnt vmcnt(10)
	v_fmac_f32_e32 v195, v134, v172
	v_add_f32_e32 v141, v141, v194
	s_waitcnt vmcnt(9)
	v_mul_f32_e32 v142, v135, v173
	v_fma_f32 v106, v133, v172, -v106
	v_add_f32_e32 v141, v141, v195
	s_waitcnt vmcnt(8)
	v_fmac_f32_e32 v142, v136, v174
	v_add_f32_e32 v105, v105, v106
	v_mul_f32_e32 v106, v136, v173
	v_add_f32_e32 v183, v141, v142
	ds_read_b64 v[141:142], v104 offset:816
	v_fma_f32 v106, v135, v174, -v106
	v_add_f32_e32 v105, v105, v106
	s_waitcnt vmcnt(7) lgkmcnt(1)
	v_mul_f32_e32 v106, v138, v175
	v_mul_f32_e32 v184, v137, v175
	s_waitcnt vmcnt(6)
	v_fma_f32 v106, v137, v176, -v106
	v_fmac_f32_e32 v184, v138, v176
	v_add_f32_e32 v105, v105, v106
	s_waitcnt vmcnt(5)
	v_mul_f32_e32 v106, v140, v177
	v_add_f32_e32 v183, v183, v184
	v_mul_f32_e32 v184, v139, v177
	s_waitcnt vmcnt(4)
	v_fma_f32 v106, v139, v178, -v106
	v_fmac_f32_e32 v184, v140, v178
	v_add_f32_e32 v105, v105, v106
	s_waitcnt vmcnt(3) lgkmcnt(0)
	v_mul_f32_e32 v106, v142, v179
	v_add_f32_e32 v183, v183, v184
	v_mul_f32_e32 v184, v141, v179
	s_waitcnt vmcnt(2)
	v_fma_f32 v106, v141, v180, -v106
	v_fmac_f32_e32 v184, v142, v180
	v_add_f32_e32 v105, v105, v106
	v_add_f32_e32 v183, v183, v184
	s_waitcnt vmcnt(1)
	v_sub_f32_e32 v105, v181, v105
	s_waitcnt vmcnt(0)
	v_sub_f32_e32 v106, v182, v183
	buffer_store_dword v105, off, s[0:3], 0 offset:248
	buffer_store_dword v106, off, s[0:3], 0 offset:252
	s_and_saveexec_b64 s[4:5], vcc
	s_cbranch_execz .LBB50_259
; %bb.258:
	buffer_load_dword v105, off, s[0:3], 0 offset:240
	buffer_load_dword v106, off, s[0:3], 0 offset:244
	s_waitcnt vmcnt(0)
	ds_write_b64 v103, v[105:106]
	buffer_store_dword v104, off, s[0:3], 0 offset:240
	buffer_store_dword v104, off, s[0:3], 0 offset:244
.LBB50_259:
	s_or_b64 exec, exec, s[4:5]
	s_waitcnt lgkmcnt(0)
	; wave barrier
	buffer_load_dword v145, off, s[0:3], 0 offset:252
	buffer_load_dword v146, off, s[0:3], 0 offset:260
	;; [unrolled: 1-line block ×42, first 2 shown]
	ds_read2_b64 v[105:108], v104 offset0:83 offset1:84
	ds_read2_b64 v[109:112], v104 offset0:85 offset1:86
	ds_read2_b64 v[113:116], v104 offset0:87 offset1:88
	ds_read2_b64 v[117:120], v104 offset0:89 offset1:90
	ds_read2_b64 v[121:124], v104 offset0:91 offset1:92
	ds_read2_b64 v[125:128], v104 offset0:93 offset1:94
	ds_read2_b64 v[129:132], v104 offset0:95 offset1:96
	ds_read2_b64 v[133:136], v104 offset0:97 offset1:98
	v_cmp_lt_u32_e32 vcc, 29, v0
	s_waitcnt vmcnt(41) lgkmcnt(7)
	v_mul_f32_e32 v137, v105, v145
	s_waitcnt vmcnt(40)
	v_mul_f32_e32 v138, v107, v146
	s_waitcnt vmcnt(39) lgkmcnt(6)
	v_mul_f32_e32 v139, v109, v147
	s_waitcnt vmcnt(38)
	v_mul_f32_e32 v140, v111, v148
	;; [unrolled: 4-line block ×7, first 2 shown]
	s_waitcnt vmcnt(27) lgkmcnt(0)
	v_mul_f32_e32 v193, v133, v159
	s_waitcnt vmcnt(26)
	v_fmac_f32_e32 v137, v106, v160
	v_mul_f32_e32 v106, v106, v145
	v_fma_f32 v105, v105, v160, -v106
	v_mul_f32_e32 v106, v108, v146
	v_add_f32_e32 v105, 0, v105
	s_waitcnt vmcnt(25)
	v_fma_f32 v106, v107, v161, -v106
	v_add_f32_e32 v105, v105, v106
	v_mul_f32_e32 v106, v110, v147
	s_waitcnt vmcnt(24)
	v_fma_f32 v106, v109, v162, -v106
	v_add_f32_e32 v105, v105, v106
	v_mul_f32_e32 v106, v112, v148
	s_waitcnt vmcnt(23)
	v_fma_f32 v106, v111, v163, -v106
	v_add_f32_e32 v105, v105, v106
	v_mul_f32_e32 v106, v114, v149
	s_waitcnt vmcnt(22)
	v_fma_f32 v106, v113, v164, -v106
	v_add_f32_e32 v105, v105, v106
	v_mul_f32_e32 v106, v116, v150
	s_waitcnt vmcnt(21)
	v_fma_f32 v106, v115, v165, -v106
	v_add_f32_e32 v105, v105, v106
	v_mul_f32_e32 v106, v118, v151
	v_fmac_f32_e32 v138, v108, v161
	v_add_f32_e32 v137, 0, v137
	s_waitcnt vmcnt(20)
	v_fma_f32 v106, v117, v166, -v106
	v_fmac_f32_e32 v139, v110, v162
	v_add_f32_e32 v137, v137, v138
	v_add_f32_e32 v105, v105, v106
	v_mul_f32_e32 v106, v120, v152
	v_fmac_f32_e32 v140, v112, v163
	v_add_f32_e32 v137, v137, v139
	s_waitcnt vmcnt(19)
	v_fma_f32 v106, v119, v167, -v106
	v_fmac_f32_e32 v141, v114, v164
	v_add_f32_e32 v137, v137, v140
	v_add_f32_e32 v105, v105, v106
	v_mul_f32_e32 v106, v122, v153
	;; [unrolled: 8-line block ×5, first 2 shown]
	s_waitcnt vmcnt(15)
	v_fmac_f32_e32 v190, v128, v171
	v_add_f32_e32 v137, v137, v189
	v_fma_f32 v106, v127, v171, -v106
	s_waitcnt vmcnt(14)
	v_fmac_f32_e32 v191, v130, v172
	v_add_f32_e32 v137, v137, v190
	v_add_f32_e32 v105, v105, v106
	v_mul_f32_e32 v106, v130, v157
	s_waitcnt vmcnt(13)
	v_fmac_f32_e32 v192, v132, v173
	v_add_f32_e32 v137, v137, v191
	v_fma_f32 v106, v129, v172, -v106
	s_waitcnt vmcnt(12)
	v_fmac_f32_e32 v193, v134, v174
	v_add_f32_e32 v137, v137, v192
	v_add_f32_e32 v105, v105, v106
	v_mul_f32_e32 v106, v132, v158
	v_add_f32_e32 v141, v137, v193
	ds_read2_b64 v[137:140], v104 offset0:99 offset1:100
	v_fma_f32 v106, v131, v173, -v106
	v_add_f32_e32 v105, v105, v106
	v_mul_f32_e32 v106, v134, v159
	s_waitcnt vmcnt(11)
	v_mul_f32_e32 v142, v135, v175
	v_fma_f32 v106, v133, v174, -v106
	s_waitcnt vmcnt(10)
	v_fmac_f32_e32 v142, v136, v176
	v_add_f32_e32 v105, v105, v106
	v_mul_f32_e32 v106, v136, v175
	v_add_f32_e32 v187, v141, v142
	ds_read2_b64 v[141:144], v104 offset0:101 offset1:102
	v_fma_f32 v106, v135, v176, -v106
	v_add_f32_e32 v105, v105, v106
	s_waitcnt vmcnt(9) lgkmcnt(1)
	v_mul_f32_e32 v106, v138, v177
	v_mul_f32_e32 v104, v137, v177
	s_waitcnt vmcnt(8)
	v_fma_f32 v106, v137, v178, -v106
	v_fmac_f32_e32 v104, v138, v178
	v_add_f32_e32 v105, v105, v106
	s_waitcnt vmcnt(7)
	v_mul_f32_e32 v106, v140, v179
	v_add_f32_e32 v104, v187, v104
	v_mul_f32_e32 v187, v139, v179
	s_waitcnt vmcnt(6)
	v_fma_f32 v106, v139, v180, -v106
	v_fmac_f32_e32 v187, v140, v180
	v_add_f32_e32 v105, v105, v106
	s_waitcnt vmcnt(5) lgkmcnt(0)
	v_mul_f32_e32 v106, v142, v181
	v_add_f32_e32 v104, v104, v187
	v_mul_f32_e32 v187, v141, v181
	s_waitcnt vmcnt(4)
	v_fma_f32 v106, v141, v182, -v106
	v_fmac_f32_e32 v187, v142, v182
	v_add_f32_e32 v105, v105, v106
	s_waitcnt vmcnt(3)
	v_mul_f32_e32 v106, v144, v183
	v_add_f32_e32 v104, v104, v187
	v_mul_f32_e32 v187, v143, v183
	s_waitcnt vmcnt(2)
	v_fma_f32 v106, v143, v184, -v106
	v_fmac_f32_e32 v187, v144, v184
	v_add_f32_e32 v105, v105, v106
	v_add_f32_e32 v104, v104, v187
	s_waitcnt vmcnt(1)
	v_sub_f32_e32 v105, v185, v105
	s_waitcnt vmcnt(0)
	v_sub_f32_e32 v104, v186, v104
	buffer_store_dword v105, off, s[0:3], 0 offset:240
	buffer_store_dword v104, off, s[0:3], 0 offset:244
	s_and_saveexec_b64 s[4:5], vcc
	s_cbranch_execz .LBB50_261
; %bb.260:
	buffer_load_dword v104, off, s[0:3], 0 offset:232
	buffer_load_dword v105, off, s[0:3], 0 offset:236
	v_mov_b32_e32 v106, 0
	buffer_store_dword v106, off, s[0:3], 0 offset:232
	buffer_store_dword v106, off, s[0:3], 0 offset:236
	s_waitcnt vmcnt(2)
	ds_write_b64 v103, v[104:105]
.LBB50_261:
	s_or_b64 exec, exec, s[4:5]
	s_waitcnt lgkmcnt(0)
	; wave barrier
	buffer_load_dword v147, off, s[0:3], 0 offset:244
	buffer_load_dword v148, off, s[0:3], 0 offset:252
	;; [unrolled: 1-line block ×44, first 2 shown]
	v_mov_b32_e32 v104, 0
	ds_read_b128 v[105:108], v104 offset:656
	ds_read_b128 v[109:112], v104 offset:672
	;; [unrolled: 1-line block ×8, first 2 shown]
	v_cmp_lt_u32_e32 vcc, 28, v0
	s_waitcnt vmcnt(43) lgkmcnt(7)
	v_mul_f32_e32 v137, v105, v147
	s_waitcnt vmcnt(42)
	v_mul_f32_e32 v138, v107, v148
	s_waitcnt vmcnt(41) lgkmcnt(6)
	v_mul_f32_e32 v139, v109, v149
	s_waitcnt vmcnt(40)
	v_mul_f32_e32 v140, v111, v150
	;; [unrolled: 4-line block ×7, first 2 shown]
	s_waitcnt vmcnt(29)
	v_fmac_f32_e32 v137, v106, v161
	v_mul_f32_e32 v106, v106, v147
	v_fma_f32 v105, v105, v161, -v106
	v_mul_f32_e32 v106, v108, v148
	v_add_f32_e32 v105, 0, v105
	s_waitcnt vmcnt(28)
	v_fma_f32 v106, v107, v162, -v106
	v_add_f32_e32 v105, v105, v106
	v_mul_f32_e32 v106, v110, v149
	s_waitcnt vmcnt(27)
	v_fma_f32 v106, v109, v163, -v106
	v_add_f32_e32 v105, v105, v106
	v_mul_f32_e32 v106, v112, v150
	;; [unrolled: 4-line block ×4, first 2 shown]
	s_waitcnt vmcnt(24)
	v_fma_f32 v106, v115, v166, -v106
	v_fmac_f32_e32 v138, v108, v162
	v_add_f32_e32 v137, 0, v137
	v_add_f32_e32 v105, v105, v106
	v_mul_f32_e32 v106, v118, v153
	v_fmac_f32_e32 v139, v110, v163
	v_add_f32_e32 v137, v137, v138
	s_waitcnt vmcnt(23)
	v_fma_f32 v106, v117, v167, -v106
	v_fmac_f32_e32 v140, v112, v164
	v_add_f32_e32 v137, v137, v139
	v_add_f32_e32 v105, v105, v106
	v_mul_f32_e32 v106, v120, v154
	v_fmac_f32_e32 v141, v114, v165
	v_add_f32_e32 v137, v137, v140
	;; [unrolled: 8-line block ×4, first 2 shown]
	s_waitcnt vmcnt(20)
	v_fma_f32 v106, v123, v170, -v106
	v_fmac_f32_e32 v146, v124, v170
	v_add_f32_e32 v137, v137, v145
	v_add_f32_e32 v105, v105, v106
	v_mul_f32_e32 v106, v126, v157
	s_waitcnt vmcnt(19)
	v_fmac_f32_e32 v191, v126, v171
	v_add_f32_e32 v137, v137, v146
	v_fma_f32 v106, v125, v171, -v106
	s_waitcnt vmcnt(18)
	v_fmac_f32_e32 v192, v128, v172
	v_add_f32_e32 v137, v137, v191
	v_add_f32_e32 v105, v105, v106
	v_mul_f32_e32 v106, v128, v158
	s_waitcnt vmcnt(17)
	v_fmac_f32_e32 v193, v130, v173
	v_add_f32_e32 v137, v137, v192
	v_fma_f32 v106, v127, v172, -v106
	v_add_f32_e32 v137, v137, v193
	s_waitcnt vmcnt(16)
	v_fmac_f32_e32 v194, v132, v174
	s_waitcnt vmcnt(15) lgkmcnt(0)
	v_mul_f32_e32 v138, v133, v175
	v_add_f32_e32 v105, v105, v106
	v_mul_f32_e32 v106, v130, v159
	v_add_f32_e32 v137, v137, v194
	s_waitcnt vmcnt(14)
	v_fmac_f32_e32 v138, v134, v176
	v_fma_f32 v106, v129, v173, -v106
	v_add_f32_e32 v141, v137, v138
	ds_read_b128 v[137:140], v104 offset:784
	v_add_f32_e32 v105, v105, v106
	v_mul_f32_e32 v106, v132, v160
	v_fma_f32 v106, v131, v174, -v106
	v_add_f32_e32 v105, v105, v106
	v_mul_f32_e32 v106, v134, v175
	s_waitcnt vmcnt(13)
	v_mul_f32_e32 v142, v135, v177
	v_fma_f32 v106, v133, v176, -v106
	s_waitcnt vmcnt(12)
	v_fmac_f32_e32 v142, v136, v178
	v_add_f32_e32 v105, v105, v106
	v_mul_f32_e32 v106, v136, v177
	v_add_f32_e32 v145, v141, v142
	ds_read_b128 v[141:144], v104 offset:800
	s_waitcnt vmcnt(11) lgkmcnt(1)
	v_mul_f32_e32 v146, v137, v179
	v_fma_f32 v106, v135, v178, -v106
	s_waitcnt vmcnt(10)
	v_fmac_f32_e32 v146, v138, v180
	v_add_f32_e32 v105, v105, v106
	v_mul_f32_e32 v106, v138, v179
	v_add_f32_e32 v145, v145, v146
	s_waitcnt vmcnt(9)
	v_mul_f32_e32 v146, v139, v181
	v_fma_f32 v106, v137, v180, -v106
	s_waitcnt vmcnt(8)
	v_fmac_f32_e32 v146, v140, v182
	v_add_f32_e32 v105, v105, v106
	v_mul_f32_e32 v106, v140, v181
	v_add_f32_e32 v191, v145, v146
	ds_read_b64 v[145:146], v104 offset:816
	v_fma_f32 v106, v139, v182, -v106
	v_add_f32_e32 v105, v105, v106
	s_waitcnt vmcnt(7) lgkmcnt(1)
	v_mul_f32_e32 v106, v142, v183
	v_mul_f32_e32 v192, v141, v183
	s_waitcnt vmcnt(6)
	v_fma_f32 v106, v141, v184, -v106
	v_fmac_f32_e32 v192, v142, v184
	v_add_f32_e32 v105, v105, v106
	s_waitcnt vmcnt(5)
	v_mul_f32_e32 v106, v144, v185
	v_add_f32_e32 v191, v191, v192
	v_mul_f32_e32 v192, v143, v185
	s_waitcnt vmcnt(4)
	v_fma_f32 v106, v143, v186, -v106
	v_fmac_f32_e32 v192, v144, v186
	v_add_f32_e32 v105, v105, v106
	s_waitcnt vmcnt(3) lgkmcnt(0)
	v_mul_f32_e32 v106, v146, v187
	v_add_f32_e32 v191, v191, v192
	v_mul_f32_e32 v192, v145, v187
	s_waitcnt vmcnt(2)
	v_fma_f32 v106, v145, v188, -v106
	v_fmac_f32_e32 v192, v146, v188
	v_add_f32_e32 v105, v105, v106
	v_add_f32_e32 v191, v191, v192
	s_waitcnt vmcnt(1)
	v_sub_f32_e32 v105, v189, v105
	s_waitcnt vmcnt(0)
	v_sub_f32_e32 v106, v190, v191
	buffer_store_dword v105, off, s[0:3], 0 offset:232
	buffer_store_dword v106, off, s[0:3], 0 offset:236
	s_and_saveexec_b64 s[4:5], vcc
	s_cbranch_execz .LBB50_263
; %bb.262:
	buffer_load_dword v105, off, s[0:3], 0 offset:224
	buffer_load_dword v106, off, s[0:3], 0 offset:228
	s_waitcnt vmcnt(0)
	ds_write_b64 v103, v[105:106]
	buffer_store_dword v104, off, s[0:3], 0 offset:224
	buffer_store_dword v104, off, s[0:3], 0 offset:228
.LBB50_263:
	s_or_b64 exec, exec, s[4:5]
	s_waitcnt lgkmcnt(0)
	; wave barrier
	buffer_load_dword v149, off, s[0:3], 0 offset:236
	buffer_load_dword v150, off, s[0:3], 0 offset:244
	;; [unrolled: 1-line block ×46, first 2 shown]
	ds_read2_b64 v[105:108], v104 offset0:81 offset1:82
	ds_read2_b64 v[109:112], v104 offset0:83 offset1:84
	;; [unrolled: 1-line block ×8, first 2 shown]
	v_cmp_lt_u32_e32 vcc, 27, v0
	s_waitcnt vmcnt(45) lgkmcnt(7)
	v_mul_f32_e32 v137, v105, v149
	s_waitcnt vmcnt(44)
	v_mul_f32_e32 v138, v107, v150
	s_waitcnt vmcnt(43) lgkmcnt(6)
	v_mul_f32_e32 v139, v109, v151
	s_waitcnt vmcnt(42)
	v_mul_f32_e32 v140, v111, v152
	;; [unrolled: 4-line block ×6, first 2 shown]
	s_waitcnt vmcnt(33) lgkmcnt(1)
	v_mul_f32_e32 v195, v129, v161
	s_waitcnt vmcnt(32)
	v_fmac_f32_e32 v137, v106, v162
	v_mul_f32_e32 v106, v106, v149
	v_fma_f32 v105, v105, v162, -v106
	v_mul_f32_e32 v106, v108, v150
	v_add_f32_e32 v105, 0, v105
	s_waitcnt vmcnt(31)
	v_fma_f32 v106, v107, v163, -v106
	v_add_f32_e32 v105, v105, v106
	v_mul_f32_e32 v106, v110, v151
	s_waitcnt vmcnt(30)
	v_fma_f32 v106, v109, v164, -v106
	v_add_f32_e32 v105, v105, v106
	v_mul_f32_e32 v106, v112, v152
	;; [unrolled: 4-line block ×4, first 2 shown]
	v_fmac_f32_e32 v138, v108, v163
	v_add_f32_e32 v137, 0, v137
	s_waitcnt vmcnt(27)
	v_fma_f32 v106, v115, v167, -v106
	v_fmac_f32_e32 v139, v110, v164
	v_add_f32_e32 v137, v137, v138
	v_add_f32_e32 v105, v105, v106
	v_mul_f32_e32 v106, v118, v155
	v_fmac_f32_e32 v140, v112, v165
	v_add_f32_e32 v137, v137, v139
	s_waitcnt vmcnt(26)
	v_fma_f32 v106, v117, v168, -v106
	v_fmac_f32_e32 v141, v114, v166
	v_add_f32_e32 v137, v137, v140
	v_add_f32_e32 v105, v105, v106
	v_mul_f32_e32 v106, v120, v156
	;; [unrolled: 8-line block ×4, first 2 shown]
	s_waitcnt vmcnt(23)
	v_fmac_f32_e32 v146, v124, v171
	v_add_f32_e32 v137, v137, v145
	v_fma_f32 v106, v123, v171, -v106
	s_waitcnt vmcnt(22)
	v_fmac_f32_e32 v147, v126, v172
	v_add_f32_e32 v137, v137, v146
	v_add_f32_e32 v105, v105, v106
	v_mul_f32_e32 v106, v126, v159
	s_waitcnt vmcnt(21)
	v_fmac_f32_e32 v148, v128, v173
	v_add_f32_e32 v137, v137, v147
	v_fma_f32 v106, v125, v172, -v106
	s_waitcnt vmcnt(20)
	v_fmac_f32_e32 v195, v130, v174
	v_add_f32_e32 v137, v137, v148
	s_waitcnt vmcnt(19)
	v_mul_f32_e32 v138, v131, v175
	v_add_f32_e32 v105, v105, v106
	v_mul_f32_e32 v106, v128, v160
	v_add_f32_e32 v137, v137, v195
	s_waitcnt vmcnt(18)
	v_fmac_f32_e32 v138, v132, v176
	v_fma_f32 v106, v127, v173, -v106
	v_add_f32_e32 v137, v137, v138
	s_waitcnt vmcnt(17) lgkmcnt(0)
	v_mul_f32_e32 v138, v133, v177
	v_add_f32_e32 v105, v105, v106
	v_mul_f32_e32 v106, v130, v161
	s_waitcnt vmcnt(16)
	v_fmac_f32_e32 v138, v134, v178
	v_fma_f32 v106, v129, v174, -v106
	v_add_f32_e32 v141, v137, v138
	ds_read2_b64 v[137:140], v104 offset0:97 offset1:98
	v_add_f32_e32 v105, v105, v106
	v_mul_f32_e32 v106, v132, v175
	v_fma_f32 v106, v131, v176, -v106
	v_add_f32_e32 v105, v105, v106
	v_mul_f32_e32 v106, v134, v177
	s_waitcnt vmcnt(15)
	v_mul_f32_e32 v142, v135, v179
	v_fma_f32 v106, v133, v178, -v106
	s_waitcnt vmcnt(14)
	v_fmac_f32_e32 v142, v136, v180
	v_add_f32_e32 v105, v105, v106
	v_mul_f32_e32 v106, v136, v179
	v_add_f32_e32 v145, v141, v142
	ds_read2_b64 v[141:144], v104 offset0:99 offset1:100
	s_waitcnt vmcnt(13) lgkmcnt(1)
	v_mul_f32_e32 v146, v137, v181
	v_fma_f32 v106, v135, v180, -v106
	s_waitcnt vmcnt(12)
	v_fmac_f32_e32 v146, v138, v182
	v_add_f32_e32 v105, v105, v106
	v_mul_f32_e32 v106, v138, v181
	v_add_f32_e32 v145, v145, v146
	s_waitcnt vmcnt(11)
	v_mul_f32_e32 v146, v139, v183
	v_fma_f32 v106, v137, v182, -v106
	s_waitcnt vmcnt(10)
	v_fmac_f32_e32 v146, v140, v184
	v_add_f32_e32 v105, v105, v106
	v_mul_f32_e32 v106, v140, v183
	v_add_f32_e32 v195, v145, v146
	ds_read2_b64 v[145:148], v104 offset0:101 offset1:102
	v_fma_f32 v106, v139, v184, -v106
	v_add_f32_e32 v105, v105, v106
	s_waitcnt vmcnt(9) lgkmcnt(1)
	v_mul_f32_e32 v106, v142, v185
	v_mul_f32_e32 v196, v141, v185
	s_waitcnt vmcnt(8)
	v_fma_f32 v106, v141, v186, -v106
	v_fmac_f32_e32 v196, v142, v186
	v_add_f32_e32 v105, v105, v106
	s_waitcnt vmcnt(7)
	v_mul_f32_e32 v106, v144, v187
	v_add_f32_e32 v104, v195, v196
	v_mul_f32_e32 v195, v143, v187
	s_waitcnt vmcnt(6)
	v_fma_f32 v106, v143, v188, -v106
	v_fmac_f32_e32 v195, v144, v188
	v_add_f32_e32 v105, v105, v106
	s_waitcnt vmcnt(5) lgkmcnt(0)
	v_mul_f32_e32 v106, v146, v189
	v_add_f32_e32 v104, v104, v195
	v_mul_f32_e32 v195, v145, v189
	s_waitcnt vmcnt(4)
	v_fma_f32 v106, v145, v190, -v106
	v_fmac_f32_e32 v195, v146, v190
	v_add_f32_e32 v105, v105, v106
	s_waitcnt vmcnt(3)
	v_mul_f32_e32 v106, v148, v191
	v_add_f32_e32 v104, v104, v195
	v_mul_f32_e32 v195, v147, v191
	s_waitcnt vmcnt(2)
	v_fma_f32 v106, v147, v192, -v106
	v_fmac_f32_e32 v195, v148, v192
	v_add_f32_e32 v105, v105, v106
	v_add_f32_e32 v104, v104, v195
	s_waitcnt vmcnt(1)
	v_sub_f32_e32 v105, v193, v105
	s_waitcnt vmcnt(0)
	v_sub_f32_e32 v104, v194, v104
	buffer_store_dword v105, off, s[0:3], 0 offset:224
	buffer_store_dword v104, off, s[0:3], 0 offset:228
	s_and_saveexec_b64 s[4:5], vcc
	s_cbranch_execz .LBB50_265
; %bb.264:
	buffer_load_dword v104, off, s[0:3], 0 offset:216
	buffer_load_dword v105, off, s[0:3], 0 offset:220
	v_mov_b32_e32 v106, 0
	buffer_store_dword v106, off, s[0:3], 0 offset:216
	buffer_store_dword v106, off, s[0:3], 0 offset:220
	s_waitcnt vmcnt(2)
	ds_write_b64 v103, v[104:105]
.LBB50_265:
	s_or_b64 exec, exec, s[4:5]
	s_waitcnt lgkmcnt(0)
	; wave barrier
	buffer_load_dword v151, off, s[0:3], 0 offset:228
	buffer_load_dword v152, off, s[0:3], 0 offset:236
	;; [unrolled: 1-line block ×48, first 2 shown]
	v_mov_b32_e32 v104, 0
	ds_read_b128 v[105:108], v104 offset:640
	ds_read_b128 v[109:112], v104 offset:656
	;; [unrolled: 1-line block ×7, first 2 shown]
	v_cmp_lt_u32_e32 vcc, 26, v0
	s_waitcnt vmcnt(47) lgkmcnt(6)
	v_mul_f32_e32 v133, v105, v151
	s_waitcnt vmcnt(46)
	v_mul_f32_e32 v134, v107, v152
	s_waitcnt vmcnt(45) lgkmcnt(5)
	v_mul_f32_e32 v135, v109, v153
	s_waitcnt vmcnt(44)
	v_mul_f32_e32 v136, v111, v154
	;; [unrolled: 4-line block ×6, first 2 shown]
	s_waitcnt vmcnt(35)
	v_fmac_f32_e32 v133, v106, v163
	v_mul_f32_e32 v106, v106, v151
	v_fma_f32 v105, v105, v163, -v106
	v_mul_f32_e32 v106, v108, v152
	v_add_f32_e32 v105, 0, v105
	s_waitcnt vmcnt(34)
	v_fma_f32 v106, v107, v164, -v106
	v_add_f32_e32 v105, v105, v106
	v_mul_f32_e32 v106, v110, v153
	s_waitcnt vmcnt(33)
	v_fma_f32 v106, v109, v165, -v106
	v_fmac_f32_e32 v134, v108, v164
	v_add_f32_e32 v133, 0, v133
	v_add_f32_e32 v105, v105, v106
	v_mul_f32_e32 v106, v112, v154
	v_fmac_f32_e32 v135, v110, v165
	v_add_f32_e32 v133, v133, v134
	s_waitcnt vmcnt(32)
	v_fma_f32 v106, v111, v166, -v106
	v_fmac_f32_e32 v136, v112, v166
	v_add_f32_e32 v133, v133, v135
	v_add_f32_e32 v105, v105, v106
	v_mul_f32_e32 v106, v114, v155
	s_waitcnt vmcnt(31)
	v_fmac_f32_e32 v137, v114, v167
	v_add_f32_e32 v133, v133, v136
	v_fma_f32 v106, v113, v167, -v106
	s_waitcnt vmcnt(30)
	v_fmac_f32_e32 v138, v116, v168
	v_add_f32_e32 v133, v133, v137
	v_add_f32_e32 v105, v105, v106
	v_mul_f32_e32 v106, v116, v156
	s_waitcnt vmcnt(29)
	v_fmac_f32_e32 v139, v118, v169
	v_add_f32_e32 v133, v133, v138
	v_fma_f32 v106, v115, v168, -v106
	s_waitcnt vmcnt(28)
	;; [unrolled: 9-line block ×4, first 2 shown]
	v_fmac_f32_e32 v144, v128, v174
	v_add_f32_e32 v133, v133, v143
	v_add_f32_e32 v105, v105, v106
	v_mul_f32_e32 v106, v122, v159
	v_add_f32_e32 v137, v133, v144
	ds_read_b128 v[133:136], v104 offset:752
	v_fma_f32 v106, v121, v171, -v106
	s_waitcnt vmcnt(23) lgkmcnt(1)
	v_mul_f32_e32 v138, v129, v175
	v_add_f32_e32 v105, v105, v106
	v_mul_f32_e32 v106, v124, v160
	s_waitcnt vmcnt(22)
	v_fmac_f32_e32 v138, v130, v176
	v_fma_f32 v106, v123, v172, -v106
	v_add_f32_e32 v137, v137, v138
	s_waitcnt vmcnt(21)
	v_mul_f32_e32 v138, v131, v177
	v_add_f32_e32 v105, v105, v106
	v_mul_f32_e32 v106, v126, v161
	s_waitcnt vmcnt(20)
	v_fmac_f32_e32 v138, v132, v178
	v_fma_f32 v106, v125, v173, -v106
	v_add_f32_e32 v137, v137, v138
	s_waitcnt vmcnt(19) lgkmcnt(0)
	v_mul_f32_e32 v138, v133, v179
	v_add_f32_e32 v105, v105, v106
	v_mul_f32_e32 v106, v128, v162
	s_waitcnt vmcnt(18)
	v_fmac_f32_e32 v138, v134, v180
	v_fma_f32 v106, v127, v174, -v106
	v_add_f32_e32 v141, v137, v138
	ds_read_b128 v[137:140], v104 offset:768
	v_add_f32_e32 v105, v105, v106
	v_mul_f32_e32 v106, v130, v175
	v_fma_f32 v106, v129, v176, -v106
	s_waitcnt vmcnt(17)
	v_mul_f32_e32 v142, v135, v181
	v_add_f32_e32 v105, v105, v106
	v_mul_f32_e32 v106, v132, v177
	s_waitcnt vmcnt(16)
	v_fmac_f32_e32 v142, v136, v182
	v_fma_f32 v106, v131, v178, -v106
	v_add_f32_e32 v145, v141, v142
	ds_read_b128 v[141:144], v104 offset:784
	v_add_f32_e32 v105, v105, v106
	v_mul_f32_e32 v106, v134, v179
	s_waitcnt vmcnt(15) lgkmcnt(1)
	v_mul_f32_e32 v146, v137, v183
	v_fma_f32 v106, v133, v180, -v106
	s_waitcnt vmcnt(14)
	v_fmac_f32_e32 v146, v138, v184
	v_add_f32_e32 v105, v105, v106
	v_mul_f32_e32 v106, v136, v181
	v_add_f32_e32 v145, v145, v146
	s_waitcnt vmcnt(13)
	v_mul_f32_e32 v146, v139, v185
	v_fma_f32 v106, v135, v182, -v106
	s_waitcnt vmcnt(12)
	v_fmac_f32_e32 v146, v140, v186
	v_add_f32_e32 v105, v105, v106
	v_mul_f32_e32 v106, v138, v183
	v_add_f32_e32 v145, v145, v146
	s_waitcnt vmcnt(11) lgkmcnt(0)
	v_mul_f32_e32 v146, v141, v187
	v_fma_f32 v106, v137, v184, -v106
	s_waitcnt vmcnt(10)
	v_fmac_f32_e32 v146, v142, v188
	v_add_f32_e32 v105, v105, v106
	v_mul_f32_e32 v106, v140, v185
	v_add_f32_e32 v149, v145, v146
	ds_read_b128 v[145:148], v104 offset:800
	v_fma_f32 v106, v139, v186, -v106
	v_add_f32_e32 v105, v105, v106
	v_mul_f32_e32 v106, v142, v187
	s_waitcnt vmcnt(9)
	v_mul_f32_e32 v150, v143, v189
	v_fma_f32 v106, v141, v188, -v106
	s_waitcnt vmcnt(8)
	v_fmac_f32_e32 v150, v144, v190
	v_add_f32_e32 v105, v105, v106
	v_mul_f32_e32 v106, v144, v189
	v_add_f32_e32 v199, v149, v150
	ds_read_b64 v[149:150], v104 offset:816
	v_fma_f32 v106, v143, v190, -v106
	v_add_f32_e32 v105, v105, v106
	s_waitcnt vmcnt(6) lgkmcnt(1)
	v_mul_f32_e32 v106, v146, v192
	v_mul_f32_e32 v200, v145, v192
	v_fma_f32 v106, v145, v191, -v106
	v_fmac_f32_e32 v200, v146, v191
	v_add_f32_e32 v105, v105, v106
	s_waitcnt vmcnt(3)
	v_mul_f32_e32 v106, v148, v195
	v_add_f32_e32 v199, v199, v200
	v_mul_f32_e32 v200, v147, v195
	s_waitcnt vmcnt(2)
	v_fma_f32 v106, v147, v196, -v106
	v_fmac_f32_e32 v200, v148, v196
	v_add_f32_e32 v105, v105, v106
	s_waitcnt vmcnt(0) lgkmcnt(0)
	v_mul_f32_e32 v106, v150, v198
	v_add_f32_e32 v199, v199, v200
	v_mul_f32_e32 v200, v149, v198
	v_fma_f32 v106, v149, v197, -v106
	v_fmac_f32_e32 v200, v150, v197
	v_add_f32_e32 v105, v105, v106
	v_add_f32_e32 v199, v199, v200
	v_sub_f32_e32 v105, v193, v105
	v_sub_f32_e32 v106, v194, v199
	buffer_store_dword v105, off, s[0:3], 0 offset:216
	buffer_store_dword v106, off, s[0:3], 0 offset:220
	s_and_saveexec_b64 s[4:5], vcc
	s_cbranch_execz .LBB50_267
; %bb.266:
	buffer_load_dword v105, off, s[0:3], 0 offset:208
	buffer_load_dword v106, off, s[0:3], 0 offset:212
	s_waitcnt vmcnt(0)
	ds_write_b64 v103, v[105:106]
	buffer_store_dword v104, off, s[0:3], 0 offset:208
	buffer_store_dword v104, off, s[0:3], 0 offset:212
.LBB50_267:
	s_or_b64 exec, exec, s[4:5]
	s_waitcnt lgkmcnt(0)
	; wave barrier
	buffer_load_dword v153, off, s[0:3], 0 offset:220
	buffer_load_dword v154, off, s[0:3], 0 offset:228
	;; [unrolled: 1-line block ×48, first 2 shown]
	ds_read2_b64 v[105:108], v104 offset0:79 offset1:80
	ds_read2_b64 v[109:112], v104 offset0:81 offset1:82
	buffer_load_dword v201, off, s[0:3], 0 offset:400
	buffer_load_dword v202, off, s[0:3], 0 offset:404
	ds_read2_b64 v[113:116], v104 offset0:83 offset1:84
	ds_read2_b64 v[117:120], v104 offset0:85 offset1:86
	;; [unrolled: 1-line block ×5, first 2 shown]
	v_cmp_lt_u32_e32 vcc, 25, v0
	s_waitcnt vmcnt(49) lgkmcnt(6)
	v_mul_f32_e32 v133, v105, v153
	s_waitcnt vmcnt(48)
	v_mul_f32_e32 v134, v107, v154
	s_waitcnt vmcnt(47) lgkmcnt(5)
	v_mul_f32_e32 v135, v109, v155
	s_waitcnt vmcnt(46)
	v_mul_f32_e32 v136, v111, v156
	;; [unrolled: 4-line block ×6, first 2 shown]
	s_waitcnt vmcnt(37)
	v_fmac_f32_e32 v133, v106, v165
	v_mul_f32_e32 v106, v106, v153
	v_fma_f32 v105, v105, v165, -v106
	v_mul_f32_e32 v106, v108, v154
	v_add_f32_e32 v105, 0, v105
	s_waitcnt vmcnt(36)
	v_fma_f32 v106, v107, v166, -v106
	v_add_f32_e32 v105, v105, v106
	v_mul_f32_e32 v106, v110, v155
	s_waitcnt vmcnt(35)
	v_fma_f32 v106, v109, v167, -v106
	v_fmac_f32_e32 v134, v108, v166
	v_add_f32_e32 v133, 0, v133
	v_add_f32_e32 v105, v105, v106
	v_mul_f32_e32 v106, v112, v156
	v_fmac_f32_e32 v135, v110, v167
	v_add_f32_e32 v133, v133, v134
	s_waitcnt vmcnt(34)
	v_fma_f32 v106, v111, v168, -v106
	v_fmac_f32_e32 v136, v112, v168
	v_add_f32_e32 v133, v133, v135
	v_add_f32_e32 v105, v105, v106
	v_mul_f32_e32 v106, v114, v157
	s_waitcnt vmcnt(33)
	v_fmac_f32_e32 v137, v114, v169
	v_add_f32_e32 v133, v133, v136
	v_fma_f32 v106, v113, v169, -v106
	s_waitcnt vmcnt(32)
	v_fmac_f32_e32 v138, v116, v170
	v_add_f32_e32 v133, v133, v137
	v_add_f32_e32 v105, v105, v106
	v_mul_f32_e32 v106, v116, v158
	s_waitcnt vmcnt(31)
	v_fmac_f32_e32 v139, v118, v171
	v_add_f32_e32 v133, v133, v138
	v_fma_f32 v106, v115, v170, -v106
	s_waitcnt vmcnt(30)
	;; [unrolled: 9-line block ×3, first 2 shown]
	v_fmac_f32_e32 v142, v124, v174
	v_add_f32_e32 v133, v133, v141
	v_add_f32_e32 v105, v105, v106
	v_mul_f32_e32 v106, v120, v160
	s_waitcnt vmcnt(27)
	v_fmac_f32_e32 v143, v126, v175
	v_add_f32_e32 v133, v133, v142
	v_fma_f32 v106, v119, v172, -v106
	v_add_f32_e32 v133, v133, v143
	s_waitcnt vmcnt(26)
	v_fmac_f32_e32 v144, v128, v176
	v_add_f32_e32 v105, v105, v106
	v_mul_f32_e32 v106, v122, v161
	v_add_f32_e32 v137, v133, v144
	ds_read2_b64 v[133:136], v104 offset0:93 offset1:94
	v_fma_f32 v106, v121, v173, -v106
	s_waitcnt vmcnt(25) lgkmcnt(1)
	v_mul_f32_e32 v138, v129, v177
	v_add_f32_e32 v105, v105, v106
	v_mul_f32_e32 v106, v124, v162
	s_waitcnt vmcnt(24)
	v_fmac_f32_e32 v138, v130, v178
	v_fma_f32 v106, v123, v174, -v106
	v_add_f32_e32 v137, v137, v138
	s_waitcnt vmcnt(23)
	v_mul_f32_e32 v138, v131, v179
	v_add_f32_e32 v105, v105, v106
	v_mul_f32_e32 v106, v126, v163
	s_waitcnt vmcnt(22)
	v_fmac_f32_e32 v138, v132, v180
	v_fma_f32 v106, v125, v175, -v106
	v_add_f32_e32 v137, v137, v138
	s_waitcnt vmcnt(21) lgkmcnt(0)
	v_mul_f32_e32 v138, v133, v181
	v_add_f32_e32 v105, v105, v106
	v_mul_f32_e32 v106, v128, v164
	s_waitcnt vmcnt(20)
	v_fmac_f32_e32 v138, v134, v182
	v_fma_f32 v106, v127, v176, -v106
	v_add_f32_e32 v141, v137, v138
	ds_read2_b64 v[137:140], v104 offset0:95 offset1:96
	v_add_f32_e32 v105, v105, v106
	v_mul_f32_e32 v106, v130, v177
	v_fma_f32 v106, v129, v178, -v106
	s_waitcnt vmcnt(19)
	v_mul_f32_e32 v142, v135, v183
	v_add_f32_e32 v105, v105, v106
	v_mul_f32_e32 v106, v132, v179
	s_waitcnt vmcnt(18)
	v_fmac_f32_e32 v142, v136, v184
	v_fma_f32 v106, v131, v180, -v106
	v_add_f32_e32 v145, v141, v142
	ds_read2_b64 v[141:144], v104 offset0:97 offset1:98
	v_add_f32_e32 v105, v105, v106
	v_mul_f32_e32 v106, v134, v181
	s_waitcnt vmcnt(17) lgkmcnt(1)
	v_mul_f32_e32 v146, v137, v185
	v_fma_f32 v106, v133, v182, -v106
	s_waitcnt vmcnt(16)
	v_fmac_f32_e32 v146, v138, v186
	v_add_f32_e32 v105, v105, v106
	v_mul_f32_e32 v106, v136, v183
	v_add_f32_e32 v145, v145, v146
	s_waitcnt vmcnt(15)
	v_mul_f32_e32 v146, v139, v187
	v_fma_f32 v106, v135, v184, -v106
	s_waitcnt vmcnt(14)
	v_fmac_f32_e32 v146, v140, v188
	v_add_f32_e32 v105, v105, v106
	v_mul_f32_e32 v106, v138, v185
	v_add_f32_e32 v145, v145, v146
	s_waitcnt vmcnt(13) lgkmcnt(0)
	v_mul_f32_e32 v146, v141, v189
	v_fma_f32 v106, v137, v186, -v106
	s_waitcnt vmcnt(12)
	v_fmac_f32_e32 v146, v142, v190
	v_add_f32_e32 v105, v105, v106
	v_mul_f32_e32 v106, v140, v187
	v_add_f32_e32 v149, v145, v146
	ds_read2_b64 v[145:148], v104 offset0:99 offset1:100
	v_fma_f32 v106, v139, v188, -v106
	v_add_f32_e32 v105, v105, v106
	v_mul_f32_e32 v106, v142, v189
	s_waitcnt vmcnt(11)
	v_mul_f32_e32 v150, v143, v191
	v_fma_f32 v106, v141, v190, -v106
	s_waitcnt vmcnt(10)
	v_fmac_f32_e32 v150, v144, v192
	v_add_f32_e32 v105, v105, v106
	v_mul_f32_e32 v106, v144, v191
	v_add_f32_e32 v203, v149, v150
	ds_read2_b64 v[149:152], v104 offset0:101 offset1:102
	v_fma_f32 v106, v143, v192, -v106
	v_add_f32_e32 v105, v105, v106
	s_waitcnt vmcnt(7) lgkmcnt(1)
	v_mul_f32_e32 v106, v146, v195
	v_mul_f32_e32 v104, v145, v195
	s_waitcnt vmcnt(6)
	v_fma_f32 v106, v145, v196, -v106
	v_fmac_f32_e32 v104, v146, v196
	v_add_f32_e32 v105, v105, v106
	s_waitcnt vmcnt(4)
	v_mul_f32_e32 v106, v148, v198
	v_add_f32_e32 v104, v203, v104
	v_mul_f32_e32 v203, v147, v198
	v_fma_f32 v106, v147, v197, -v106
	v_fmac_f32_e32 v203, v148, v197
	v_add_f32_e32 v105, v105, v106
	s_waitcnt vmcnt(2) lgkmcnt(0)
	v_mul_f32_e32 v106, v150, v200
	v_add_f32_e32 v104, v104, v203
	v_mul_f32_e32 v203, v149, v200
	v_fma_f32 v106, v149, v199, -v106
	v_fmac_f32_e32 v203, v150, v199
	v_add_f32_e32 v105, v105, v106
	s_waitcnt vmcnt(0)
	v_mul_f32_e32 v106, v152, v202
	v_add_f32_e32 v104, v104, v203
	v_mul_f32_e32 v203, v151, v202
	v_fma_f32 v106, v151, v201, -v106
	v_fmac_f32_e32 v203, v152, v201
	v_add_f32_e32 v105, v105, v106
	v_add_f32_e32 v104, v104, v203
	v_sub_f32_e32 v105, v193, v105
	v_sub_f32_e32 v104, v194, v104
	buffer_store_dword v105, off, s[0:3], 0 offset:208
	buffer_store_dword v104, off, s[0:3], 0 offset:212
	s_and_saveexec_b64 s[4:5], vcc
	s_cbranch_execz .LBB50_269
; %bb.268:
	buffer_load_dword v104, off, s[0:3], 0 offset:200
	buffer_load_dword v105, off, s[0:3], 0 offset:204
	v_mov_b32_e32 v106, 0
	buffer_store_dword v106, off, s[0:3], 0 offset:200
	buffer_store_dword v106, off, s[0:3], 0 offset:204
	s_waitcnt vmcnt(2)
	ds_write_b64 v103, v[104:105]
.LBB50_269:
	s_or_b64 exec, exec, s[4:5]
	s_waitcnt lgkmcnt(0)
	; wave barrier
	buffer_load_dword v155, off, s[0:3], 0 offset:212
	buffer_load_dword v156, off, s[0:3], 0 offset:220
	;; [unrolled: 1-line block ×52, first 2 shown]
	v_mov_b32_e32 v104, 0
	ds_read_b128 v[105:108], v104 offset:624
	ds_read_b128 v[109:112], v104 offset:640
	ds_read_b128 v[113:116], v104 offset:656
	ds_read_b128 v[117:120], v104 offset:672
	ds_read_b128 v[121:124], v104 offset:688
	ds_read_b128 v[125:128], v104 offset:704
	v_cmp_lt_u32_e32 vcc, 24, v0
	s_waitcnt vmcnt(51) lgkmcnt(5)
	v_mul_f32_e32 v129, v105, v155
	s_waitcnt vmcnt(50)
	v_mul_f32_e32 v130, v107, v156
	s_waitcnt vmcnt(49) lgkmcnt(4)
	v_mul_f32_e32 v131, v109, v157
	s_waitcnt vmcnt(48)
	v_mul_f32_e32 v132, v111, v158
	s_waitcnt vmcnt(47) lgkmcnt(3)
	v_mul_f32_e32 v133, v113, v159
	s_waitcnt vmcnt(46)
	v_mul_f32_e32 v134, v115, v160
	s_waitcnt vmcnt(45) lgkmcnt(2)
	v_mul_f32_e32 v135, v117, v161
	s_waitcnt vmcnt(44)
	v_mul_f32_e32 v136, v119, v162
	s_waitcnt vmcnt(43) lgkmcnt(1)
	v_mul_f32_e32 v137, v121, v163
	s_waitcnt vmcnt(42)
	v_mul_f32_e32 v138, v123, v164
	s_waitcnt vmcnt(41) lgkmcnt(0)
	v_mul_f32_e32 v139, v125, v165
	s_waitcnt vmcnt(40)
	v_fmac_f32_e32 v129, v106, v166
	v_mul_f32_e32 v106, v106, v155
	s_waitcnt vmcnt(39)
	v_fmac_f32_e32 v130, v108, v167
	v_add_f32_e32 v129, 0, v129
	v_fma_f32 v105, v105, v166, -v106
	v_mul_f32_e32 v106, v108, v156
	s_waitcnt vmcnt(38)
	v_fmac_f32_e32 v131, v110, v168
	v_add_f32_e32 v129, v129, v130
	v_add_f32_e32 v105, 0, v105
	v_fma_f32 v106, v107, v167, -v106
	s_waitcnt vmcnt(37)
	v_fmac_f32_e32 v132, v112, v169
	v_add_f32_e32 v129, v129, v131
	v_add_f32_e32 v105, v105, v106
	v_mul_f32_e32 v106, v110, v157
	s_waitcnt vmcnt(36)
	v_fmac_f32_e32 v133, v114, v170
	v_add_f32_e32 v129, v129, v132
	v_fma_f32 v106, v109, v168, -v106
	s_waitcnt vmcnt(35)
	v_fmac_f32_e32 v134, v116, v171
	v_add_f32_e32 v129, v129, v133
	v_add_f32_e32 v105, v105, v106
	v_mul_f32_e32 v106, v112, v158
	s_waitcnt vmcnt(34)
	v_fmac_f32_e32 v135, v118, v172
	;; [unrolled: 9-line block ×3, first 2 shown]
	v_add_f32_e32 v129, v129, v136
	v_fma_f32 v106, v113, v170, -v106
	s_waitcnt vmcnt(31)
	v_fmac_f32_e32 v138, v124, v175
	v_add_f32_e32 v129, v129, v137
	v_add_f32_e32 v105, v105, v106
	v_mul_f32_e32 v106, v116, v160
	v_add_f32_e32 v129, v129, v138
	s_waitcnt vmcnt(30)
	v_fmac_f32_e32 v139, v126, v176
	v_fma_f32 v106, v115, v171, -v106
	v_add_f32_e32 v133, v129, v139
	ds_read_b128 v[129:132], v104 offset:720
	v_add_f32_e32 v105, v105, v106
	v_mul_f32_e32 v106, v118, v161
	v_fma_f32 v106, v117, v172, -v106
	s_waitcnt vmcnt(29)
	v_mul_f32_e32 v134, v127, v177
	v_add_f32_e32 v105, v105, v106
	v_mul_f32_e32 v106, v120, v162
	s_waitcnt vmcnt(28)
	v_fmac_f32_e32 v134, v128, v178
	v_fma_f32 v106, v119, v173, -v106
	v_add_f32_e32 v137, v133, v134
	ds_read_b128 v[133:136], v104 offset:736
	v_add_f32_e32 v105, v105, v106
	v_mul_f32_e32 v106, v122, v163
	s_waitcnt vmcnt(27) lgkmcnt(1)
	v_mul_f32_e32 v138, v129, v179
	v_fma_f32 v106, v121, v174, -v106
	s_waitcnt vmcnt(26)
	v_fmac_f32_e32 v138, v130, v180
	v_add_f32_e32 v105, v105, v106
	v_mul_f32_e32 v106, v124, v164
	v_add_f32_e32 v137, v137, v138
	s_waitcnt vmcnt(25)
	v_mul_f32_e32 v138, v131, v181
	v_fma_f32 v106, v123, v175, -v106
	s_waitcnt vmcnt(24)
	v_fmac_f32_e32 v138, v132, v182
	v_add_f32_e32 v105, v105, v106
	v_mul_f32_e32 v106, v126, v165
	v_add_f32_e32 v137, v137, v138
	s_waitcnt vmcnt(23) lgkmcnt(0)
	v_mul_f32_e32 v138, v133, v183
	v_fma_f32 v106, v125, v176, -v106
	s_waitcnt vmcnt(22)
	v_fmac_f32_e32 v138, v134, v184
	v_add_f32_e32 v105, v105, v106
	v_mul_f32_e32 v106, v128, v177
	v_add_f32_e32 v141, v137, v138
	ds_read_b128 v[137:140], v104 offset:752
	v_fma_f32 v106, v127, v178, -v106
	v_add_f32_e32 v105, v105, v106
	v_mul_f32_e32 v106, v130, v179
	s_waitcnt vmcnt(21)
	v_mul_f32_e32 v142, v135, v185
	v_fma_f32 v106, v129, v180, -v106
	s_waitcnt vmcnt(20)
	v_fmac_f32_e32 v142, v136, v186
	v_add_f32_e32 v105, v105, v106
	v_mul_f32_e32 v106, v132, v181
	v_add_f32_e32 v145, v141, v142
	ds_read_b128 v[141:144], v104 offset:768
	v_fma_f32 v106, v131, v182, -v106
	s_waitcnt vmcnt(19) lgkmcnt(1)
	v_mul_f32_e32 v146, v137, v187
	v_add_f32_e32 v105, v105, v106
	v_mul_f32_e32 v106, v134, v183
	s_waitcnt vmcnt(18)
	v_fmac_f32_e32 v146, v138, v188
	v_fma_f32 v106, v133, v184, -v106
	v_add_f32_e32 v145, v145, v146
	s_waitcnt vmcnt(17)
	v_mul_f32_e32 v146, v139, v189
	v_add_f32_e32 v105, v105, v106
	v_mul_f32_e32 v106, v136, v185
	s_waitcnt vmcnt(16)
	v_fmac_f32_e32 v146, v140, v190
	v_fma_f32 v106, v135, v186, -v106
	v_add_f32_e32 v145, v145, v146
	s_waitcnt vmcnt(14) lgkmcnt(0)
	v_mul_f32_e32 v146, v141, v192
	v_add_f32_e32 v105, v105, v106
	v_mul_f32_e32 v106, v138, v187
	v_fmac_f32_e32 v146, v142, v191
	v_fma_f32 v106, v137, v188, -v106
	v_add_f32_e32 v149, v145, v146
	ds_read_b128 v[145:148], v104 offset:784
	v_add_f32_e32 v105, v105, v106
	v_mul_f32_e32 v106, v140, v189
	v_fma_f32 v106, v139, v190, -v106
	v_add_f32_e32 v105, v105, v106
	v_mul_f32_e32 v106, v142, v192
	s_waitcnt vmcnt(11)
	v_mul_f32_e32 v150, v143, v195
	v_fma_f32 v106, v141, v191, -v106
	s_waitcnt vmcnt(10)
	v_fmac_f32_e32 v150, v144, v196
	v_add_f32_e32 v105, v105, v106
	v_mul_f32_e32 v106, v144, v195
	v_add_f32_e32 v153, v149, v150
	ds_read_b128 v[149:152], v104 offset:800
	s_waitcnt vmcnt(8) lgkmcnt(1)
	v_mul_f32_e32 v154, v145, v198
	v_fma_f32 v106, v143, v196, -v106
	v_fmac_f32_e32 v154, v146, v197
	v_add_f32_e32 v105, v105, v106
	v_mul_f32_e32 v106, v146, v198
	v_add_f32_e32 v153, v153, v154
	s_waitcnt vmcnt(6)
	v_mul_f32_e32 v154, v147, v200
	v_fma_f32 v106, v145, v197, -v106
	v_fmac_f32_e32 v154, v148, v199
	v_add_f32_e32 v105, v105, v106
	v_mul_f32_e32 v106, v148, v200
	v_add_f32_e32 v207, v153, v154
	ds_read_b64 v[153:154], v104 offset:816
	v_fma_f32 v106, v147, v199, -v106
	v_add_f32_e32 v105, v105, v106
	s_waitcnt vmcnt(4) lgkmcnt(1)
	v_mul_f32_e32 v106, v150, v202
	v_mul_f32_e32 v208, v149, v202
	v_fma_f32 v106, v149, v201, -v106
	v_fmac_f32_e32 v208, v150, v201
	v_add_f32_e32 v105, v105, v106
	s_waitcnt vmcnt(2)
	v_mul_f32_e32 v106, v152, v204
	v_add_f32_e32 v207, v207, v208
	v_mul_f32_e32 v208, v151, v204
	v_fma_f32 v106, v151, v203, -v106
	v_fmac_f32_e32 v208, v152, v203
	v_add_f32_e32 v105, v105, v106
	s_waitcnt vmcnt(0) lgkmcnt(0)
	v_mul_f32_e32 v106, v154, v206
	v_add_f32_e32 v207, v207, v208
	v_mul_f32_e32 v208, v153, v206
	v_fma_f32 v106, v153, v205, -v106
	v_fmac_f32_e32 v208, v154, v205
	v_add_f32_e32 v105, v105, v106
	v_add_f32_e32 v207, v207, v208
	v_sub_f32_e32 v105, v193, v105
	v_sub_f32_e32 v106, v194, v207
	buffer_store_dword v105, off, s[0:3], 0 offset:200
	buffer_store_dword v106, off, s[0:3], 0 offset:204
	s_and_saveexec_b64 s[4:5], vcc
	s_cbranch_execz .LBB50_271
; %bb.270:
	buffer_load_dword v105, off, s[0:3], 0 offset:192
	buffer_load_dword v106, off, s[0:3], 0 offset:196
	s_waitcnt vmcnt(0)
	ds_write_b64 v103, v[105:106]
	buffer_store_dword v104, off, s[0:3], 0 offset:192
	buffer_store_dword v104, off, s[0:3], 0 offset:196
.LBB50_271:
	s_or_b64 exec, exec, s[4:5]
	s_waitcnt lgkmcnt(0)
	; wave barrier
	buffer_load_dword v157, off, s[0:3], 0 offset:204
	buffer_load_dword v158, off, s[0:3], 0 offset:212
	;; [unrolled: 1-line block ×42, first 2 shown]
	ds_read2_b64 v[105:108], v104 offset0:77 offset1:78
	ds_read2_b64 v[109:112], v104 offset0:79 offset1:80
	;; [unrolled: 1-line block ×4, first 2 shown]
	buffer_load_dword v199, off, s[0:3], 0 offset:364
	buffer_load_dword v200, off, s[0:3], 0 offset:360
	;; [unrolled: 1-line block ×6, first 2 shown]
	ds_read2_b64 v[121:124], v104 offset0:85 offset1:86
	ds_read2_b64 v[125:128], v104 offset0:87 offset1:88
	buffer_load_dword v205, off, s[0:3], 0 offset:384
	buffer_load_dword v206, off, s[0:3], 0 offset:388
	;; [unrolled: 1-line block ×6, first 2 shown]
	v_cmp_lt_u32_e32 vcc, 23, v0
	s_waitcnt vmcnt(53) lgkmcnt(5)
	v_mul_f32_e32 v129, v105, v157
	s_waitcnt vmcnt(52)
	v_mul_f32_e32 v130, v107, v158
	s_waitcnt vmcnt(51) lgkmcnt(4)
	v_mul_f32_e32 v131, v109, v159
	s_waitcnt vmcnt(50)
	v_mul_f32_e32 v132, v111, v160
	;; [unrolled: 4-line block ×5, first 2 shown]
	s_waitcnt vmcnt(43)
	v_fmac_f32_e32 v129, v106, v167
	v_mul_f32_e32 v106, v106, v157
	s_waitcnt vmcnt(42)
	v_fmac_f32_e32 v130, v108, v168
	v_add_f32_e32 v129, 0, v129
	v_fma_f32 v105, v105, v167, -v106
	v_mul_f32_e32 v106, v108, v158
	s_waitcnt vmcnt(41)
	v_fmac_f32_e32 v131, v110, v169
	v_add_f32_e32 v129, v129, v130
	v_add_f32_e32 v105, 0, v105
	v_fma_f32 v106, v107, v168, -v106
	s_waitcnt vmcnt(40)
	v_fmac_f32_e32 v132, v112, v170
	v_add_f32_e32 v129, v129, v131
	v_add_f32_e32 v105, v105, v106
	v_mul_f32_e32 v106, v110, v159
	s_waitcnt vmcnt(39)
	v_fmac_f32_e32 v133, v114, v171
	v_add_f32_e32 v129, v129, v132
	v_fma_f32 v106, v109, v169, -v106
	s_waitcnt vmcnt(38)
	v_fmac_f32_e32 v134, v116, v172
	v_add_f32_e32 v129, v129, v133
	v_add_f32_e32 v105, v105, v106
	v_mul_f32_e32 v106, v112, v160
	s_waitcnt vmcnt(37)
	v_fmac_f32_e32 v135, v118, v173
	;; [unrolled: 9-line block ×3, first 2 shown]
	v_add_f32_e32 v129, v129, v136
	v_fma_f32 v106, v113, v171, -v106
	s_waitcnt vmcnt(34)
	v_fmac_f32_e32 v138, v124, v176
	v_add_f32_e32 v129, v129, v137
	s_waitcnt vmcnt(33) lgkmcnt(0)
	v_mul_f32_e32 v130, v125, v177
	v_add_f32_e32 v105, v105, v106
	v_mul_f32_e32 v106, v116, v162
	v_add_f32_e32 v129, v129, v138
	s_waitcnt vmcnt(32)
	v_fmac_f32_e32 v130, v126, v178
	v_fma_f32 v106, v115, v172, -v106
	v_add_f32_e32 v133, v129, v130
	ds_read2_b64 v[129:132], v104 offset0:89 offset1:90
	v_add_f32_e32 v105, v105, v106
	v_mul_f32_e32 v106, v118, v163
	v_fma_f32 v106, v117, v173, -v106
	s_waitcnt vmcnt(31)
	v_mul_f32_e32 v134, v127, v179
	v_add_f32_e32 v105, v105, v106
	v_mul_f32_e32 v106, v120, v164
	s_waitcnt vmcnt(30)
	v_fmac_f32_e32 v134, v128, v180
	v_fma_f32 v106, v119, v174, -v106
	v_add_f32_e32 v137, v133, v134
	ds_read2_b64 v[133:136], v104 offset0:91 offset1:92
	v_add_f32_e32 v105, v105, v106
	v_mul_f32_e32 v106, v122, v165
	s_waitcnt vmcnt(29) lgkmcnt(1)
	v_mul_f32_e32 v138, v129, v181
	v_fma_f32 v106, v121, v175, -v106
	s_waitcnt vmcnt(28)
	v_fmac_f32_e32 v138, v130, v182
	v_add_f32_e32 v105, v105, v106
	v_mul_f32_e32 v106, v124, v166
	v_add_f32_e32 v137, v137, v138
	s_waitcnt vmcnt(27)
	v_mul_f32_e32 v138, v131, v183
	v_fma_f32 v106, v123, v176, -v106
	s_waitcnt vmcnt(26)
	v_fmac_f32_e32 v138, v132, v184
	v_add_f32_e32 v105, v105, v106
	v_mul_f32_e32 v106, v126, v177
	v_add_f32_e32 v137, v137, v138
	s_waitcnt vmcnt(25) lgkmcnt(0)
	v_mul_f32_e32 v138, v133, v185
	v_fma_f32 v106, v125, v178, -v106
	s_waitcnt vmcnt(24)
	v_fmac_f32_e32 v138, v134, v186
	v_add_f32_e32 v105, v105, v106
	v_mul_f32_e32 v106, v128, v179
	v_add_f32_e32 v141, v137, v138
	ds_read2_b64 v[137:140], v104 offset0:93 offset1:94
	v_fma_f32 v106, v127, v180, -v106
	v_add_f32_e32 v105, v105, v106
	v_mul_f32_e32 v106, v130, v181
	s_waitcnt vmcnt(23)
	v_mul_f32_e32 v142, v135, v187
	v_fma_f32 v106, v129, v182, -v106
	s_waitcnt vmcnt(22)
	v_fmac_f32_e32 v142, v136, v188
	v_add_f32_e32 v105, v105, v106
	v_mul_f32_e32 v106, v132, v183
	v_add_f32_e32 v145, v141, v142
	ds_read2_b64 v[141:144], v104 offset0:95 offset1:96
	v_fma_f32 v106, v131, v184, -v106
	s_waitcnt vmcnt(21) lgkmcnt(1)
	v_mul_f32_e32 v146, v137, v189
	v_add_f32_e32 v105, v105, v106
	v_mul_f32_e32 v106, v134, v185
	s_waitcnt vmcnt(20)
	v_fmac_f32_e32 v146, v138, v190
	v_fma_f32 v106, v133, v186, -v106
	v_add_f32_e32 v145, v145, v146
	s_waitcnt vmcnt(18)
	v_mul_f32_e32 v146, v139, v192
	v_add_f32_e32 v105, v105, v106
	v_mul_f32_e32 v106, v136, v187
	v_fmac_f32_e32 v146, v140, v191
	v_fma_f32 v106, v135, v188, -v106
	v_add_f32_e32 v145, v145, v146
	s_waitcnt vmcnt(15) lgkmcnt(0)
	v_mul_f32_e32 v146, v141, v195
	v_add_f32_e32 v105, v105, v106
	v_mul_f32_e32 v106, v138, v189
	s_waitcnt vmcnt(14)
	v_fmac_f32_e32 v146, v142, v196
	v_fma_f32 v106, v137, v190, -v106
	v_add_f32_e32 v149, v145, v146
	ds_read2_b64 v[145:148], v104 offset0:97 offset1:98
	v_add_f32_e32 v105, v105, v106
	v_mul_f32_e32 v106, v140, v192
	v_fma_f32 v106, v139, v191, -v106
	v_add_f32_e32 v105, v105, v106
	v_mul_f32_e32 v106, v142, v195
	s_waitcnt vmcnt(12)
	v_mul_f32_e32 v150, v143, v198
	v_fma_f32 v106, v141, v196, -v106
	v_fmac_f32_e32 v150, v144, v197
	v_add_f32_e32 v105, v105, v106
	v_mul_f32_e32 v106, v144, v198
	v_add_f32_e32 v153, v149, v150
	ds_read2_b64 v[149:152], v104 offset0:99 offset1:100
	s_waitcnt vmcnt(11) lgkmcnt(1)
	v_mul_f32_e32 v154, v145, v199
	v_fma_f32 v106, v143, v197, -v106
	s_waitcnt vmcnt(10)
	v_fmac_f32_e32 v154, v146, v200
	v_add_f32_e32 v105, v105, v106
	v_mul_f32_e32 v106, v146, v199
	v_add_f32_e32 v153, v153, v154
	s_waitcnt vmcnt(8)
	v_mul_f32_e32 v154, v147, v202
	v_fma_f32 v106, v145, v200, -v106
	v_fmac_f32_e32 v154, v148, v201
	v_add_f32_e32 v105, v105, v106
	v_mul_f32_e32 v106, v148, v202
	v_add_f32_e32 v211, v153, v154
	ds_read2_b64 v[153:156], v104 offset0:101 offset1:102
	v_fma_f32 v106, v147, v201, -v106
	v_add_f32_e32 v105, v105, v106
	s_waitcnt vmcnt(6) lgkmcnt(1)
	v_mul_f32_e32 v106, v150, v204
	v_mul_f32_e32 v212, v149, v204
	v_fma_f32 v106, v149, v203, -v106
	v_fmac_f32_e32 v212, v150, v203
	v_add_f32_e32 v105, v105, v106
	s_waitcnt vmcnt(4)
	v_mul_f32_e32 v106, v152, v206
	v_add_f32_e32 v104, v211, v212
	v_mul_f32_e32 v211, v151, v206
	v_fma_f32 v106, v151, v205, -v106
	v_fmac_f32_e32 v211, v152, v205
	v_add_f32_e32 v105, v105, v106
	s_waitcnt vmcnt(2) lgkmcnt(0)
	v_mul_f32_e32 v106, v154, v208
	v_add_f32_e32 v104, v104, v211
	v_mul_f32_e32 v211, v153, v208
	v_fma_f32 v106, v153, v207, -v106
	v_fmac_f32_e32 v211, v154, v207
	v_add_f32_e32 v105, v105, v106
	s_waitcnt vmcnt(0)
	v_mul_f32_e32 v106, v156, v210
	v_add_f32_e32 v104, v104, v211
	v_mul_f32_e32 v211, v155, v210
	v_fma_f32 v106, v155, v209, -v106
	v_fmac_f32_e32 v211, v156, v209
	v_add_f32_e32 v105, v105, v106
	v_add_f32_e32 v104, v104, v211
	v_sub_f32_e32 v105, v193, v105
	v_sub_f32_e32 v104, v194, v104
	buffer_store_dword v105, off, s[0:3], 0 offset:192
	buffer_store_dword v104, off, s[0:3], 0 offset:196
	s_and_saveexec_b64 s[4:5], vcc
	s_cbranch_execz .LBB50_273
; %bb.272:
	buffer_load_dword v104, off, s[0:3], 0 offset:184
	buffer_load_dword v105, off, s[0:3], 0 offset:188
	v_mov_b32_e32 v106, 0
	buffer_store_dword v106, off, s[0:3], 0 offset:184
	buffer_store_dword v106, off, s[0:3], 0 offset:188
	s_waitcnt vmcnt(2)
	ds_write_b64 v103, v[104:105]
.LBB50_273:
	s_or_b64 exec, exec, s[4:5]
	s_waitcnt lgkmcnt(0)
	; wave barrier
	buffer_load_dword v159, off, s[0:3], 0 offset:196
	buffer_load_dword v160, off, s[0:3], 0 offset:204
	;; [unrolled: 1-line block ×56, first 2 shown]
	v_mov_b32_e32 v104, 0
	ds_read_b128 v[105:108], v104 offset:608
	ds_read_b128 v[109:112], v104 offset:624
	;; [unrolled: 1-line block ×6, first 2 shown]
	v_cmp_lt_u32_e32 vcc, 22, v0
	s_waitcnt vmcnt(55) lgkmcnt(5)
	v_mul_f32_e32 v129, v105, v159
	s_waitcnt vmcnt(54)
	v_mul_f32_e32 v130, v107, v160
	s_waitcnt vmcnt(53) lgkmcnt(4)
	v_mul_f32_e32 v131, v109, v161
	s_waitcnt vmcnt(52)
	v_mul_f32_e32 v132, v111, v162
	;; [unrolled: 4-line block ×4, first 2 shown]
	s_waitcnt vmcnt(47) lgkmcnt(1)
	v_mul_f32_e32 v137, v121, v167
	s_waitcnt vmcnt(46)
	v_fmac_f32_e32 v129, v106, v168
	s_waitcnt vmcnt(45)
	v_fmac_f32_e32 v130, v108, v169
	v_add_f32_e32 v129, 0, v129
	s_waitcnt vmcnt(44)
	v_fmac_f32_e32 v131, v110, v170
	v_add_f32_e32 v129, v129, v130
	;; [unrolled: 3-line block ×3, first 2 shown]
	v_mul_f32_e32 v106, v106, v159
	s_waitcnt vmcnt(42)
	v_fmac_f32_e32 v133, v114, v172
	v_add_f32_e32 v129, v129, v132
	v_fma_f32 v105, v105, v168, -v106
	v_mul_f32_e32 v106, v108, v160
	s_waitcnt vmcnt(41)
	v_fmac_f32_e32 v134, v116, v173
	v_add_f32_e32 v129, v129, v133
	v_add_f32_e32 v105, 0, v105
	v_fma_f32 v106, v107, v169, -v106
	s_waitcnt vmcnt(40)
	v_fmac_f32_e32 v135, v118, v174
	v_add_f32_e32 v129, v129, v134
	v_add_f32_e32 v105, v105, v106
	v_mul_f32_e32 v106, v110, v161
	s_waitcnt vmcnt(39)
	v_fmac_f32_e32 v136, v120, v175
	v_add_f32_e32 v129, v129, v135
	v_fma_f32 v106, v109, v170, -v106
	v_add_f32_e32 v129, v129, v136
	s_waitcnt vmcnt(38)
	v_fmac_f32_e32 v137, v122, v176
	s_waitcnt vmcnt(37)
	v_mul_f32_e32 v130, v123, v177
	v_add_f32_e32 v105, v105, v106
	v_mul_f32_e32 v106, v112, v162
	v_add_f32_e32 v129, v129, v137
	s_waitcnt vmcnt(36)
	v_fmac_f32_e32 v130, v124, v178
	v_fma_f32 v106, v111, v171, -v106
	v_add_f32_e32 v129, v129, v130
	s_waitcnt vmcnt(35) lgkmcnt(0)
	v_mul_f32_e32 v130, v125, v179
	v_add_f32_e32 v105, v105, v106
	v_mul_f32_e32 v106, v114, v163
	s_waitcnt vmcnt(34)
	v_fmac_f32_e32 v130, v126, v180
	v_fma_f32 v106, v113, v172, -v106
	v_add_f32_e32 v133, v129, v130
	ds_read_b128 v[129:132], v104 offset:704
	v_add_f32_e32 v105, v105, v106
	v_mul_f32_e32 v106, v116, v164
	v_fma_f32 v106, v115, v173, -v106
	s_waitcnt vmcnt(33)
	v_mul_f32_e32 v134, v127, v181
	v_add_f32_e32 v105, v105, v106
	v_mul_f32_e32 v106, v118, v165
	s_waitcnt vmcnt(32)
	v_fmac_f32_e32 v134, v128, v182
	v_fma_f32 v106, v117, v174, -v106
	v_add_f32_e32 v137, v133, v134
	ds_read_b128 v[133:136], v104 offset:720
	v_add_f32_e32 v105, v105, v106
	v_mul_f32_e32 v106, v120, v166
	s_waitcnt vmcnt(31) lgkmcnt(1)
	v_mul_f32_e32 v138, v129, v183
	v_fma_f32 v106, v119, v175, -v106
	s_waitcnt vmcnt(30)
	v_fmac_f32_e32 v138, v130, v184
	v_add_f32_e32 v105, v105, v106
	v_mul_f32_e32 v106, v122, v167
	v_add_f32_e32 v137, v137, v138
	s_waitcnt vmcnt(29)
	v_mul_f32_e32 v138, v131, v185
	v_fma_f32 v106, v121, v176, -v106
	s_waitcnt vmcnt(28)
	v_fmac_f32_e32 v138, v132, v186
	v_add_f32_e32 v105, v105, v106
	v_mul_f32_e32 v106, v124, v177
	v_add_f32_e32 v137, v137, v138
	s_waitcnt vmcnt(27) lgkmcnt(0)
	v_mul_f32_e32 v138, v133, v187
	v_fma_f32 v106, v123, v178, -v106
	s_waitcnt vmcnt(26)
	v_fmac_f32_e32 v138, v134, v188
	v_add_f32_e32 v105, v105, v106
	v_mul_f32_e32 v106, v126, v179
	v_add_f32_e32 v141, v137, v138
	ds_read_b128 v[137:140], v104 offset:736
	v_fma_f32 v106, v125, v180, -v106
	v_add_f32_e32 v105, v105, v106
	v_mul_f32_e32 v106, v128, v181
	s_waitcnt vmcnt(24)
	v_mul_f32_e32 v142, v135, v190
	v_fma_f32 v106, v127, v182, -v106
	v_fmac_f32_e32 v142, v136, v189
	v_add_f32_e32 v105, v105, v106
	v_mul_f32_e32 v106, v130, v183
	v_add_f32_e32 v145, v141, v142
	ds_read_b128 v[141:144], v104 offset:752
	v_fma_f32 v106, v129, v184, -v106
	s_waitcnt vmcnt(21) lgkmcnt(1)
	v_mul_f32_e32 v146, v137, v193
	v_add_f32_e32 v105, v105, v106
	v_mul_f32_e32 v106, v132, v185
	s_waitcnt vmcnt(20)
	v_fmac_f32_e32 v146, v138, v194
	v_fma_f32 v106, v131, v186, -v106
	v_add_f32_e32 v145, v145, v146
	s_waitcnt vmcnt(18)
	v_mul_f32_e32 v146, v139, v196
	v_add_f32_e32 v105, v105, v106
	v_mul_f32_e32 v106, v134, v187
	v_fmac_f32_e32 v146, v140, v195
	v_fma_f32 v106, v133, v188, -v106
	v_add_f32_e32 v145, v145, v146
	s_waitcnt vmcnt(16) lgkmcnt(0)
	v_mul_f32_e32 v146, v141, v198
	v_add_f32_e32 v105, v105, v106
	v_mul_f32_e32 v106, v136, v190
	v_fmac_f32_e32 v146, v142, v197
	v_fma_f32 v106, v135, v189, -v106
	v_add_f32_e32 v149, v145, v146
	ds_read_b128 v[145:148], v104 offset:768
	v_add_f32_e32 v105, v105, v106
	v_mul_f32_e32 v106, v138, v193
	v_fma_f32 v106, v137, v194, -v106
	s_waitcnt vmcnt(14)
	v_mul_f32_e32 v150, v143, v200
	v_add_f32_e32 v105, v105, v106
	v_mul_f32_e32 v106, v140, v196
	v_fmac_f32_e32 v150, v144, v199
	v_fma_f32 v106, v139, v195, -v106
	v_add_f32_e32 v153, v149, v150
	ds_read_b128 v[149:152], v104 offset:784
	v_add_f32_e32 v105, v105, v106
	v_mul_f32_e32 v106, v142, v198
	s_waitcnt vmcnt(12) lgkmcnt(1)
	v_mul_f32_e32 v154, v145, v202
	v_fma_f32 v106, v141, v197, -v106
	v_fmac_f32_e32 v154, v146, v201
	v_add_f32_e32 v105, v105, v106
	v_mul_f32_e32 v106, v144, v200
	v_add_f32_e32 v153, v153, v154
	s_waitcnt vmcnt(10)
	v_mul_f32_e32 v154, v147, v204
	v_fma_f32 v106, v143, v199, -v106
	v_fmac_f32_e32 v154, v148, v203
	v_add_f32_e32 v105, v105, v106
	v_mul_f32_e32 v106, v146, v202
	v_add_f32_e32 v153, v153, v154
	s_waitcnt vmcnt(8) lgkmcnt(0)
	v_mul_f32_e32 v154, v149, v206
	v_fma_f32 v106, v145, v201, -v106
	v_fmac_f32_e32 v154, v150, v205
	v_add_f32_e32 v105, v105, v106
	v_mul_f32_e32 v106, v148, v204
	v_add_f32_e32 v157, v153, v154
	ds_read_b128 v[153:156], v104 offset:800
	v_fma_f32 v106, v147, v203, -v106
	v_add_f32_e32 v105, v105, v106
	v_mul_f32_e32 v106, v150, v206
	s_waitcnt vmcnt(6)
	v_mul_f32_e32 v158, v151, v208
	v_fma_f32 v106, v149, v205, -v106
	v_fmac_f32_e32 v158, v152, v207
	v_add_f32_e32 v105, v105, v106
	v_mul_f32_e32 v106, v152, v208
	v_add_f32_e32 v215, v157, v158
	ds_read_b64 v[157:158], v104 offset:816
	v_fma_f32 v106, v151, v207, -v106
	v_add_f32_e32 v105, v105, v106
	s_waitcnt vmcnt(4) lgkmcnt(1)
	v_mul_f32_e32 v106, v154, v210
	v_mul_f32_e32 v216, v153, v210
	v_fma_f32 v106, v153, v209, -v106
	v_fmac_f32_e32 v216, v154, v209
	v_add_f32_e32 v105, v105, v106
	s_waitcnt vmcnt(2)
	v_mul_f32_e32 v106, v156, v212
	v_add_f32_e32 v215, v215, v216
	v_mul_f32_e32 v216, v155, v212
	v_fma_f32 v106, v155, v211, -v106
	v_fmac_f32_e32 v216, v156, v211
	v_add_f32_e32 v105, v105, v106
	s_waitcnt vmcnt(0) lgkmcnt(0)
	v_mul_f32_e32 v106, v158, v214
	v_add_f32_e32 v215, v215, v216
	v_mul_f32_e32 v216, v157, v214
	v_fma_f32 v106, v157, v213, -v106
	v_fmac_f32_e32 v216, v158, v213
	v_add_f32_e32 v105, v105, v106
	v_add_f32_e32 v215, v215, v216
	v_sub_f32_e32 v105, v191, v105
	v_sub_f32_e32 v106, v192, v215
	buffer_store_dword v105, off, s[0:3], 0 offset:184
	buffer_store_dword v106, off, s[0:3], 0 offset:188
	s_and_saveexec_b64 s[4:5], vcc
	s_cbranch_execz .LBB50_275
; %bb.274:
	buffer_load_dword v105, off, s[0:3], 0 offset:176
	buffer_load_dword v106, off, s[0:3], 0 offset:180
	s_waitcnt vmcnt(0)
	ds_write_b64 v103, v[105:106]
	buffer_store_dword v104, off, s[0:3], 0 offset:176
	buffer_store_dword v104, off, s[0:3], 0 offset:180
.LBB50_275:
	s_or_b64 exec, exec, s[4:5]
	s_waitcnt lgkmcnt(0)
	; wave barrier
	buffer_load_dword v161, off, s[0:3], 0 offset:188
	buffer_load_dword v162, off, s[0:3], 0 offset:196
	;; [unrolled: 1-line block ×34, first 2 shown]
	ds_read2_b64 v[105:108], v104 offset0:75 offset1:76
	ds_read2_b64 v[109:112], v104 offset0:77 offset1:78
	buffer_load_dword v195, off, s[0:3], 0 offset:316
	buffer_load_dword v196, off, s[0:3], 0 offset:312
	;; [unrolled: 1-line block ×6, first 2 shown]
	ds_read2_b64 v[113:116], v104 offset0:79 offset1:80
	ds_read2_b64 v[117:120], v104 offset0:81 offset1:82
	;; [unrolled: 1-line block ×4, first 2 shown]
	buffer_load_dword v201, off, s[0:3], 0 offset:340
	buffer_load_dword v202, off, s[0:3], 0 offset:336
	;; [unrolled: 1-line block ×18, first 2 shown]
	v_cmp_lt_u32_e32 vcc, 21, v0
	s_waitcnt vmcnt(57) lgkmcnt(5)
	v_mul_f32_e32 v129, v105, v161
	s_waitcnt vmcnt(56)
	v_mul_f32_e32 v130, v107, v162
	s_waitcnt vmcnt(55) lgkmcnt(4)
	v_mul_f32_e32 v131, v109, v163
	s_waitcnt vmcnt(54)
	v_mul_f32_e32 v132, v111, v164
	s_waitcnt vmcnt(53) lgkmcnt(3)
	v_mul_f32_e32 v133, v113, v165
	s_waitcnt vmcnt(52)
	v_mul_f32_e32 v134, v115, v166
	s_waitcnt vmcnt(51) lgkmcnt(2)
	v_mul_f32_e32 v135, v117, v167
	s_waitcnt vmcnt(50)
	v_mul_f32_e32 v136, v119, v168
	s_waitcnt vmcnt(49)
	v_fmac_f32_e32 v129, v106, v169
	s_waitcnt vmcnt(48)
	v_fmac_f32_e32 v130, v108, v170
	v_add_f32_e32 v129, 0, v129
	s_waitcnt vmcnt(47)
	v_fmac_f32_e32 v131, v110, v171
	v_add_f32_e32 v129, v129, v130
	;; [unrolled: 3-line block ×4, first 2 shown]
	v_mul_f32_e32 v106, v106, v161
	s_waitcnt vmcnt(44)
	v_fmac_f32_e32 v134, v116, v174
	v_add_f32_e32 v129, v129, v133
	v_fma_f32 v105, v105, v169, -v106
	v_mul_f32_e32 v106, v108, v162
	s_waitcnt vmcnt(43)
	v_fmac_f32_e32 v135, v118, v175
	v_add_f32_e32 v129, v129, v134
	v_add_f32_e32 v105, 0, v105
	v_fma_f32 v106, v107, v170, -v106
	s_waitcnt vmcnt(42)
	v_fmac_f32_e32 v136, v120, v176
	v_add_f32_e32 v129, v129, v135
	s_waitcnt vmcnt(41) lgkmcnt(1)
	v_mul_f32_e32 v130, v121, v177
	v_add_f32_e32 v105, v105, v106
	v_mul_f32_e32 v106, v110, v163
	v_add_f32_e32 v129, v129, v136
	s_waitcnt vmcnt(40)
	v_fmac_f32_e32 v130, v122, v178
	v_fma_f32 v106, v109, v171, -v106
	v_add_f32_e32 v129, v129, v130
	s_waitcnt vmcnt(39)
	v_mul_f32_e32 v130, v123, v179
	v_add_f32_e32 v105, v105, v106
	v_mul_f32_e32 v106, v112, v164
	s_waitcnt vmcnt(38)
	v_fmac_f32_e32 v130, v124, v180
	v_fma_f32 v106, v111, v172, -v106
	v_add_f32_e32 v129, v129, v130
	s_waitcnt vmcnt(37) lgkmcnt(0)
	v_mul_f32_e32 v130, v125, v181
	v_add_f32_e32 v105, v105, v106
	v_mul_f32_e32 v106, v114, v165
	s_waitcnt vmcnt(36)
	v_fmac_f32_e32 v130, v126, v182
	v_fma_f32 v106, v113, v173, -v106
	v_add_f32_e32 v133, v129, v130
	ds_read2_b64 v[129:132], v104 offset0:87 offset1:88
	v_add_f32_e32 v105, v105, v106
	v_mul_f32_e32 v106, v116, v166
	v_fma_f32 v106, v115, v174, -v106
	s_waitcnt vmcnt(35)
	v_mul_f32_e32 v134, v127, v183
	v_add_f32_e32 v105, v105, v106
	v_mul_f32_e32 v106, v118, v167
	s_waitcnt vmcnt(34)
	v_fmac_f32_e32 v134, v128, v184
	v_fma_f32 v106, v117, v175, -v106
	v_add_f32_e32 v137, v133, v134
	ds_read2_b64 v[133:136], v104 offset0:89 offset1:90
	v_add_f32_e32 v105, v105, v106
	v_mul_f32_e32 v106, v120, v168
	s_waitcnt vmcnt(33) lgkmcnt(1)
	v_mul_f32_e32 v138, v129, v185
	v_fma_f32 v106, v119, v176, -v106
	s_waitcnt vmcnt(32)
	v_fmac_f32_e32 v138, v130, v186
	v_add_f32_e32 v105, v105, v106
	v_mul_f32_e32 v106, v122, v177
	v_add_f32_e32 v137, v137, v138
	s_waitcnt vmcnt(31)
	v_mul_f32_e32 v138, v131, v187
	v_fma_f32 v106, v121, v178, -v106
	s_waitcnt vmcnt(30)
	v_fmac_f32_e32 v138, v132, v188
	v_add_f32_e32 v105, v105, v106
	v_mul_f32_e32 v106, v124, v179
	v_add_f32_e32 v137, v137, v138
	s_waitcnt vmcnt(29) lgkmcnt(0)
	v_mul_f32_e32 v138, v133, v189
	v_fma_f32 v106, v123, v180, -v106
	s_waitcnt vmcnt(28)
	v_fmac_f32_e32 v138, v134, v190
	v_add_f32_e32 v105, v105, v106
	v_mul_f32_e32 v106, v126, v181
	v_add_f32_e32 v141, v137, v138
	ds_read2_b64 v[137:140], v104 offset0:91 offset1:92
	v_fma_f32 v106, v125, v182, -v106
	v_add_f32_e32 v105, v105, v106
	v_mul_f32_e32 v106, v128, v183
	s_waitcnt vmcnt(25)
	v_mul_f32_e32 v142, v135, v193
	v_fma_f32 v106, v127, v184, -v106
	s_waitcnt vmcnt(24)
	v_fmac_f32_e32 v142, v136, v194
	v_add_f32_e32 v105, v105, v106
	v_mul_f32_e32 v106, v130, v185
	v_add_f32_e32 v145, v141, v142
	ds_read2_b64 v[141:144], v104 offset0:93 offset1:94
	v_fma_f32 v106, v129, v186, -v106
	s_waitcnt vmcnt(23) lgkmcnt(1)
	v_mul_f32_e32 v146, v137, v195
	v_add_f32_e32 v105, v105, v106
	v_mul_f32_e32 v106, v132, v187
	s_waitcnt vmcnt(22)
	v_fmac_f32_e32 v146, v138, v196
	v_fma_f32 v106, v131, v188, -v106
	v_add_f32_e32 v145, v145, v146
	s_waitcnt vmcnt(20)
	v_mul_f32_e32 v146, v139, v198
	v_add_f32_e32 v105, v105, v106
	v_mul_f32_e32 v106, v134, v189
	v_fmac_f32_e32 v146, v140, v197
	v_fma_f32 v106, v133, v190, -v106
	v_add_f32_e32 v145, v145, v146
	s_waitcnt vmcnt(18) lgkmcnt(0)
	v_mul_f32_e32 v146, v141, v200
	v_add_f32_e32 v105, v105, v106
	v_mul_f32_e32 v106, v136, v193
	v_fmac_f32_e32 v146, v142, v199
	v_fma_f32 v106, v135, v194, -v106
	v_add_f32_e32 v149, v145, v146
	ds_read2_b64 v[145:148], v104 offset0:95 offset1:96
	v_add_f32_e32 v105, v105, v106
	v_mul_f32_e32 v106, v138, v195
	v_fma_f32 v106, v137, v196, -v106
	s_waitcnt vmcnt(17)
	v_mul_f32_e32 v150, v143, v201
	v_add_f32_e32 v105, v105, v106
	v_mul_f32_e32 v106, v140, v198
	s_waitcnt vmcnt(16)
	v_fmac_f32_e32 v150, v144, v202
	v_fma_f32 v106, v139, v197, -v106
	v_add_f32_e32 v153, v149, v150
	ds_read2_b64 v[149:152], v104 offset0:97 offset1:98
	v_add_f32_e32 v105, v105, v106
	v_mul_f32_e32 v106, v142, v200
	s_waitcnt vmcnt(14) lgkmcnt(1)
	v_mul_f32_e32 v154, v145, v204
	v_fma_f32 v106, v141, v199, -v106
	v_fmac_f32_e32 v154, v146, v203
	v_add_f32_e32 v105, v105, v106
	v_mul_f32_e32 v106, v144, v201
	v_add_f32_e32 v153, v153, v154
	s_waitcnt vmcnt(12)
	v_mul_f32_e32 v154, v147, v206
	v_fma_f32 v106, v143, v202, -v106
	v_fmac_f32_e32 v154, v148, v205
	v_add_f32_e32 v105, v105, v106
	v_mul_f32_e32 v106, v146, v204
	v_add_f32_e32 v153, v153, v154
	s_waitcnt vmcnt(10) lgkmcnt(0)
	v_mul_f32_e32 v154, v149, v208
	v_fma_f32 v106, v145, v203, -v106
	v_fmac_f32_e32 v154, v150, v207
	v_add_f32_e32 v105, v105, v106
	v_mul_f32_e32 v106, v148, v206
	v_add_f32_e32 v157, v153, v154
	ds_read2_b64 v[153:156], v104 offset0:99 offset1:100
	v_fma_f32 v106, v147, v205, -v106
	v_add_f32_e32 v105, v105, v106
	v_mul_f32_e32 v106, v150, v208
	s_waitcnt vmcnt(8)
	v_mul_f32_e32 v158, v151, v210
	v_fma_f32 v106, v149, v207, -v106
	v_fmac_f32_e32 v158, v152, v209
	v_add_f32_e32 v105, v105, v106
	v_mul_f32_e32 v106, v152, v210
	v_add_f32_e32 v219, v157, v158
	ds_read2_b64 v[157:160], v104 offset0:101 offset1:102
	v_fma_f32 v106, v151, v209, -v106
	v_add_f32_e32 v105, v105, v106
	s_waitcnt vmcnt(6) lgkmcnt(1)
	v_mul_f32_e32 v106, v154, v212
	v_mul_f32_e32 v104, v153, v212
	v_fma_f32 v106, v153, v211, -v106
	v_fmac_f32_e32 v104, v154, v211
	v_add_f32_e32 v105, v105, v106
	s_waitcnt vmcnt(4)
	v_mul_f32_e32 v106, v156, v214
	v_add_f32_e32 v104, v219, v104
	v_mul_f32_e32 v219, v155, v214
	v_fma_f32 v106, v155, v213, -v106
	v_fmac_f32_e32 v219, v156, v213
	v_add_f32_e32 v105, v105, v106
	s_waitcnt vmcnt(2) lgkmcnt(0)
	v_mul_f32_e32 v106, v158, v216
	v_add_f32_e32 v104, v104, v219
	v_mul_f32_e32 v219, v157, v216
	v_fma_f32 v106, v157, v215, -v106
	v_fmac_f32_e32 v219, v158, v215
	v_add_f32_e32 v105, v105, v106
	s_waitcnt vmcnt(0)
	v_mul_f32_e32 v106, v160, v218
	v_add_f32_e32 v104, v104, v219
	v_mul_f32_e32 v219, v159, v218
	v_fma_f32 v106, v159, v217, -v106
	v_fmac_f32_e32 v219, v160, v217
	v_add_f32_e32 v105, v105, v106
	v_add_f32_e32 v104, v104, v219
	v_sub_f32_e32 v105, v191, v105
	v_sub_f32_e32 v104, v192, v104
	buffer_store_dword v105, off, s[0:3], 0 offset:176
	buffer_store_dword v104, off, s[0:3], 0 offset:180
	s_and_saveexec_b64 s[4:5], vcc
	s_cbranch_execz .LBB50_277
; %bb.276:
	buffer_load_dword v104, off, s[0:3], 0 offset:168
	buffer_load_dword v105, off, s[0:3], 0 offset:172
	v_mov_b32_e32 v106, 0
	buffer_store_dword v106, off, s[0:3], 0 offset:168
	buffer_store_dword v106, off, s[0:3], 0 offset:172
	s_waitcnt vmcnt(2)
	ds_write_b64 v103, v[104:105]
.LBB50_277:
	s_or_b64 exec, exec, s[4:5]
	s_waitcnt lgkmcnt(0)
	; wave barrier
	buffer_load_dword v163, off, s[0:3], 0 offset:180
	buffer_load_dword v164, off, s[0:3], 0 offset:188
	;; [unrolled: 1-line block ×60, first 2 shown]
	v_mov_b32_e32 v104, 0
	ds_read_b128 v[105:108], v104 offset:592
	ds_read_b128 v[109:112], v104 offset:608
	;; [unrolled: 1-line block ×5, first 2 shown]
	v_cmp_lt_u32_e32 vcc, 20, v0
	s_waitcnt vmcnt(59) lgkmcnt(4)
	v_mul_f32_e32 v125, v105, v163
	s_waitcnt vmcnt(58)
	v_mul_f32_e32 v126, v107, v164
	s_waitcnt vmcnt(57) lgkmcnt(3)
	v_mul_f32_e32 v127, v109, v165
	s_waitcnt vmcnt(56)
	v_mul_f32_e32 v128, v111, v166
	;; [unrolled: 4-line block ×3, first 2 shown]
	s_waitcnt vmcnt(53) lgkmcnt(1)
	v_mul_f32_e32 v131, v117, v169
	s_waitcnt vmcnt(52)
	v_fmac_f32_e32 v125, v106, v170
	s_waitcnt vmcnt(51)
	v_fmac_f32_e32 v126, v108, v171
	v_add_f32_e32 v125, 0, v125
	s_waitcnt vmcnt(50)
	v_fmac_f32_e32 v127, v110, v172
	v_add_f32_e32 v125, v125, v126
	;; [unrolled: 3-line block ×6, first 2 shown]
	s_waitcnt vmcnt(45)
	v_mul_f32_e32 v126, v119, v177
	v_add_f32_e32 v125, v125, v131
	s_waitcnt vmcnt(44)
	v_fmac_f32_e32 v126, v120, v178
	v_mul_f32_e32 v106, v106, v163
	v_add_f32_e32 v129, v125, v126
	ds_read_b128 v[125:128], v104 offset:672
	v_fma_f32 v105, v105, v170, -v106
	v_mul_f32_e32 v106, v108, v164
	s_waitcnt vmcnt(43) lgkmcnt(1)
	v_mul_f32_e32 v130, v121, v179
	v_add_f32_e32 v105, 0, v105
	v_fma_f32 v106, v107, v171, -v106
	s_waitcnt vmcnt(42)
	v_fmac_f32_e32 v130, v122, v180
	v_add_f32_e32 v105, v105, v106
	v_mul_f32_e32 v106, v110, v165
	v_add_f32_e32 v129, v129, v130
	s_waitcnt vmcnt(41)
	v_mul_f32_e32 v130, v123, v181
	v_fma_f32 v106, v109, v172, -v106
	s_waitcnt vmcnt(40)
	v_fmac_f32_e32 v130, v124, v182
	v_add_f32_e32 v105, v105, v106
	v_mul_f32_e32 v106, v112, v166
	v_add_f32_e32 v129, v129, v130
	s_waitcnt vmcnt(39) lgkmcnt(0)
	v_mul_f32_e32 v130, v125, v183
	v_fma_f32 v106, v111, v173, -v106
	s_waitcnt vmcnt(38)
	v_fmac_f32_e32 v130, v126, v184
	v_add_f32_e32 v105, v105, v106
	v_mul_f32_e32 v106, v114, v167
	v_add_f32_e32 v133, v129, v130
	ds_read_b128 v[129:132], v104 offset:688
	v_fma_f32 v106, v113, v174, -v106
	v_add_f32_e32 v105, v105, v106
	v_mul_f32_e32 v106, v116, v168
	s_waitcnt vmcnt(37)
	v_mul_f32_e32 v134, v127, v185
	v_fma_f32 v106, v115, v175, -v106
	s_waitcnt vmcnt(36)
	v_fmac_f32_e32 v134, v128, v186
	v_add_f32_e32 v105, v105, v106
	v_mul_f32_e32 v106, v118, v169
	v_add_f32_e32 v137, v133, v134
	ds_read_b128 v[133:136], v104 offset:704
	v_fma_f32 v106, v117, v176, -v106
	s_waitcnt vmcnt(34) lgkmcnt(1)
	v_mul_f32_e32 v138, v129, v188
	v_add_f32_e32 v105, v105, v106
	v_mul_f32_e32 v106, v120, v177
	v_fmac_f32_e32 v138, v130, v187
	v_fma_f32 v106, v119, v178, -v106
	v_add_f32_e32 v137, v137, v138
	s_waitcnt vmcnt(31)
	v_mul_f32_e32 v138, v131, v191
	v_add_f32_e32 v105, v105, v106
	v_mul_f32_e32 v106, v122, v179
	s_waitcnt vmcnt(30)
	v_fmac_f32_e32 v138, v132, v192
	v_fma_f32 v106, v121, v180, -v106
	v_add_f32_e32 v137, v137, v138
	s_waitcnt vmcnt(28) lgkmcnt(0)
	v_mul_f32_e32 v138, v133, v194
	v_add_f32_e32 v105, v105, v106
	v_mul_f32_e32 v106, v124, v181
	v_fmac_f32_e32 v138, v134, v193
	v_fma_f32 v106, v123, v182, -v106
	v_add_f32_e32 v141, v137, v138
	ds_read_b128 v[137:140], v104 offset:720
	v_add_f32_e32 v105, v105, v106
	v_mul_f32_e32 v106, v126, v183
	v_fma_f32 v106, v125, v184, -v106
	s_waitcnt vmcnt(26)
	v_mul_f32_e32 v142, v135, v196
	v_add_f32_e32 v105, v105, v106
	v_mul_f32_e32 v106, v128, v185
	v_fmac_f32_e32 v142, v136, v195
	v_fma_f32 v106, v127, v186, -v106
	v_add_f32_e32 v145, v141, v142
	ds_read_b128 v[141:144], v104 offset:736
	v_add_f32_e32 v105, v105, v106
	v_mul_f32_e32 v106, v130, v188
	s_waitcnt vmcnt(24) lgkmcnt(1)
	v_mul_f32_e32 v146, v137, v198
	v_fma_f32 v106, v129, v187, -v106
	v_fmac_f32_e32 v146, v138, v197
	v_add_f32_e32 v105, v105, v106
	v_mul_f32_e32 v106, v132, v191
	v_add_f32_e32 v145, v145, v146
	s_waitcnt vmcnt(22)
	v_mul_f32_e32 v146, v139, v200
	v_fma_f32 v106, v131, v192, -v106
	v_fmac_f32_e32 v146, v140, v199
	v_add_f32_e32 v105, v105, v106
	v_mul_f32_e32 v106, v134, v194
	v_add_f32_e32 v145, v145, v146
	s_waitcnt vmcnt(20) lgkmcnt(0)
	v_mul_f32_e32 v146, v141, v202
	v_fma_f32 v106, v133, v193, -v106
	v_fmac_f32_e32 v146, v142, v201
	v_add_f32_e32 v105, v105, v106
	v_mul_f32_e32 v106, v136, v196
	v_add_f32_e32 v149, v145, v146
	ds_read_b128 v[145:148], v104 offset:752
	v_fma_f32 v106, v135, v195, -v106
	v_add_f32_e32 v105, v105, v106
	v_mul_f32_e32 v106, v138, v198
	s_waitcnt vmcnt(18)
	v_mul_f32_e32 v150, v143, v204
	v_fma_f32 v106, v137, v197, -v106
	v_fmac_f32_e32 v150, v144, v203
	v_add_f32_e32 v105, v105, v106
	v_mul_f32_e32 v106, v140, v200
	v_add_f32_e32 v153, v149, v150
	ds_read_b128 v[149:152], v104 offset:768
	v_fma_f32 v106, v139, v199, -v106
	s_waitcnt vmcnt(16) lgkmcnt(1)
	v_mul_f32_e32 v154, v145, v206
	v_add_f32_e32 v105, v105, v106
	v_mul_f32_e32 v106, v142, v202
	v_fmac_f32_e32 v154, v146, v205
	v_fma_f32 v106, v141, v201, -v106
	v_add_f32_e32 v153, v153, v154
	s_waitcnt vmcnt(14)
	v_mul_f32_e32 v154, v147, v208
	v_add_f32_e32 v105, v105, v106
	v_mul_f32_e32 v106, v144, v204
	v_fmac_f32_e32 v154, v148, v207
	v_fma_f32 v106, v143, v203, -v106
	v_add_f32_e32 v153, v153, v154
	s_waitcnt vmcnt(12) lgkmcnt(0)
	v_mul_f32_e32 v154, v149, v210
	v_add_f32_e32 v105, v105, v106
	v_mul_f32_e32 v106, v146, v206
	v_fmac_f32_e32 v154, v150, v209
	v_fma_f32 v106, v145, v205, -v106
	v_add_f32_e32 v157, v153, v154
	ds_read_b128 v[153:156], v104 offset:784
	v_add_f32_e32 v105, v105, v106
	v_mul_f32_e32 v106, v148, v208
	v_fma_f32 v106, v147, v207, -v106
	v_add_f32_e32 v105, v105, v106
	v_mul_f32_e32 v106, v150, v210
	s_waitcnt vmcnt(10)
	v_mul_f32_e32 v158, v151, v212
	v_fma_f32 v106, v149, v209, -v106
	v_fmac_f32_e32 v158, v152, v211
	v_add_f32_e32 v105, v105, v106
	v_mul_f32_e32 v106, v152, v212
	v_add_f32_e32 v161, v157, v158
	ds_read_b128 v[157:160], v104 offset:800
	s_waitcnt vmcnt(8) lgkmcnt(1)
	v_mul_f32_e32 v162, v153, v214
	v_fma_f32 v106, v151, v211, -v106
	v_fmac_f32_e32 v162, v154, v213
	v_add_f32_e32 v105, v105, v106
	v_mul_f32_e32 v106, v154, v214
	v_add_f32_e32 v161, v161, v162
	s_waitcnt vmcnt(6)
	v_mul_f32_e32 v162, v155, v216
	v_fma_f32 v106, v153, v213, -v106
	v_fmac_f32_e32 v162, v156, v215
	v_add_f32_e32 v105, v105, v106
	v_mul_f32_e32 v106, v156, v216
	v_add_f32_e32 v223, v161, v162
	ds_read_b64 v[161:162], v104 offset:816
	v_fma_f32 v106, v155, v215, -v106
	v_add_f32_e32 v105, v105, v106
	s_waitcnt vmcnt(4) lgkmcnt(1)
	v_mul_f32_e32 v106, v158, v218
	v_mul_f32_e32 v224, v157, v218
	v_fma_f32 v106, v157, v217, -v106
	v_fmac_f32_e32 v224, v158, v217
	v_add_f32_e32 v105, v105, v106
	s_waitcnt vmcnt(2)
	v_mul_f32_e32 v106, v160, v220
	v_add_f32_e32 v223, v223, v224
	v_mul_f32_e32 v224, v159, v220
	v_fma_f32 v106, v159, v219, -v106
	v_fmac_f32_e32 v224, v160, v219
	v_add_f32_e32 v105, v105, v106
	s_waitcnt vmcnt(0) lgkmcnt(0)
	v_mul_f32_e32 v106, v162, v222
	v_add_f32_e32 v223, v223, v224
	v_mul_f32_e32 v224, v161, v222
	v_fma_f32 v106, v161, v221, -v106
	v_fmac_f32_e32 v224, v162, v221
	v_add_f32_e32 v105, v105, v106
	v_add_f32_e32 v223, v223, v224
	v_sub_f32_e32 v105, v189, v105
	v_sub_f32_e32 v106, v190, v223
	buffer_store_dword v105, off, s[0:3], 0 offset:168
	buffer_store_dword v106, off, s[0:3], 0 offset:172
	s_and_saveexec_b64 s[4:5], vcc
	s_cbranch_execz .LBB50_279
; %bb.278:
	buffer_load_dword v105, off, s[0:3], 0 offset:160
	buffer_load_dword v106, off, s[0:3], 0 offset:164
	s_waitcnt vmcnt(0)
	ds_write_b64 v103, v[105:106]
	buffer_store_dword v104, off, s[0:3], 0 offset:160
	buffer_store_dword v104, off, s[0:3], 0 offset:164
.LBB50_279:
	s_or_b64 exec, exec, s[4:5]
	s_waitcnt lgkmcnt(0)
	; wave barrier
	buffer_load_dword v165, off, s[0:3], 0 offset:172
	buffer_load_dword v166, off, s[0:3], 0 offset:180
	;; [unrolled: 1-line block ×32, first 2 shown]
	ds_read2_b64 v[105:108], v104 offset0:73 offset1:74
	ds_read2_b64 v[109:112], v104 offset0:75 offset1:76
	ds_read2_b64 v[113:116], v104 offset0:77 offset1:78
	ds_read2_b64 v[117:120], v104 offset0:79 offset1:80
	buffer_load_dword v197, off, s[0:3], 0 offset:292
	buffer_load_dword v198, off, s[0:3], 0 offset:288
	;; [unrolled: 1-line block ×30, first 2 shown]
	v_cmp_lt_u32_e32 vcc, 19, v0
	s_waitcnt vmcnt(61) lgkmcnt(3)
	v_mul_f32_e32 v121, v105, v165
	s_waitcnt vmcnt(60)
	v_mul_f32_e32 v122, v107, v166
	s_waitcnt vmcnt(59) lgkmcnt(2)
	v_mul_f32_e32 v123, v109, v167
	s_waitcnt vmcnt(58)
	v_mul_f32_e32 v124, v111, v168
	s_waitcnt vmcnt(57) lgkmcnt(1)
	v_mul_f32_e32 v125, v113, v169
	s_waitcnt vmcnt(56)
	v_mul_f32_e32 v126, v115, v170
	s_waitcnt vmcnt(55) lgkmcnt(0)
	v_mul_f32_e32 v127, v117, v171
	s_waitcnt vmcnt(54)
	v_fmac_f32_e32 v121, v106, v172
	s_waitcnt vmcnt(53)
	v_fmac_f32_e32 v122, v108, v173
	v_add_f32_e32 v121, 0, v121
	s_waitcnt vmcnt(52)
	v_fmac_f32_e32 v123, v110, v174
	v_add_f32_e32 v121, v121, v122
	;; [unrolled: 3-line block ×6, first 2 shown]
	v_add_f32_e32 v125, v121, v127
	ds_read2_b64 v[121:124], v104 offset0:81 offset1:82
	s_waitcnt vmcnt(47)
	v_mul_f32_e32 v126, v119, v179
	s_waitcnt vmcnt(46)
	v_fmac_f32_e32 v126, v120, v180
	v_mul_f32_e32 v106, v106, v165
	v_add_f32_e32 v129, v125, v126
	ds_read2_b64 v[125:128], v104 offset0:83 offset1:84
	v_fma_f32 v105, v105, v172, -v106
	v_mul_f32_e32 v106, v108, v166
	s_waitcnt vmcnt(45) lgkmcnt(1)
	v_mul_f32_e32 v130, v121, v181
	v_add_f32_e32 v105, 0, v105
	v_fma_f32 v106, v107, v173, -v106
	s_waitcnt vmcnt(44)
	v_fmac_f32_e32 v130, v122, v182
	v_add_f32_e32 v105, v105, v106
	v_mul_f32_e32 v106, v110, v167
	v_add_f32_e32 v129, v129, v130
	s_waitcnt vmcnt(43)
	v_mul_f32_e32 v130, v123, v183
	v_fma_f32 v106, v109, v174, -v106
	s_waitcnt vmcnt(42)
	v_fmac_f32_e32 v130, v124, v184
	v_add_f32_e32 v105, v105, v106
	v_mul_f32_e32 v106, v112, v168
	v_add_f32_e32 v129, v129, v130
	s_waitcnt vmcnt(41) lgkmcnt(0)
	v_mul_f32_e32 v130, v125, v185
	v_fma_f32 v106, v111, v175, -v106
	s_waitcnt vmcnt(40)
	v_fmac_f32_e32 v130, v126, v186
	v_add_f32_e32 v105, v105, v106
	v_mul_f32_e32 v106, v114, v169
	v_add_f32_e32 v133, v129, v130
	ds_read2_b64 v[129:132], v104 offset0:85 offset1:86
	v_fma_f32 v106, v113, v176, -v106
	v_add_f32_e32 v105, v105, v106
	v_mul_f32_e32 v106, v116, v170
	s_waitcnt vmcnt(39)
	v_mul_f32_e32 v134, v127, v187
	v_fma_f32 v106, v115, v177, -v106
	s_waitcnt vmcnt(38)
	v_fmac_f32_e32 v134, v128, v188
	v_add_f32_e32 v105, v105, v106
	v_mul_f32_e32 v106, v118, v171
	v_add_f32_e32 v137, v133, v134
	ds_read2_b64 v[133:136], v104 offset0:87 offset1:88
	v_fma_f32 v106, v117, v178, -v106
	s_waitcnt vmcnt(35) lgkmcnt(1)
	v_mul_f32_e32 v138, v129, v191
	v_add_f32_e32 v105, v105, v106
	v_mul_f32_e32 v106, v120, v179
	s_waitcnt vmcnt(34)
	v_fmac_f32_e32 v138, v130, v192
	v_fma_f32 v106, v119, v180, -v106
	v_add_f32_e32 v137, v137, v138
	s_waitcnt vmcnt(32)
	v_mul_f32_e32 v138, v131, v194
	v_add_f32_e32 v105, v105, v106
	v_mul_f32_e32 v106, v122, v181
	v_fmac_f32_e32 v138, v132, v193
	v_fma_f32 v106, v121, v182, -v106
	v_add_f32_e32 v137, v137, v138
	s_waitcnt vmcnt(30) lgkmcnt(0)
	v_mul_f32_e32 v138, v133, v196
	v_add_f32_e32 v105, v105, v106
	v_mul_f32_e32 v106, v124, v183
	v_fmac_f32_e32 v138, v134, v195
	v_fma_f32 v106, v123, v184, -v106
	v_add_f32_e32 v141, v137, v138
	ds_read2_b64 v[137:140], v104 offset0:89 offset1:90
	v_add_f32_e32 v105, v105, v106
	v_mul_f32_e32 v106, v126, v185
	v_fma_f32 v106, v125, v186, -v106
	s_waitcnt vmcnt(29)
	v_mul_f32_e32 v142, v135, v197
	v_add_f32_e32 v105, v105, v106
	v_mul_f32_e32 v106, v128, v187
	s_waitcnt vmcnt(28)
	v_fmac_f32_e32 v142, v136, v198
	v_fma_f32 v106, v127, v188, -v106
	v_add_f32_e32 v145, v141, v142
	ds_read2_b64 v[141:144], v104 offset0:91 offset1:92
	v_add_f32_e32 v105, v105, v106
	v_mul_f32_e32 v106, v130, v191
	s_waitcnt vmcnt(26) lgkmcnt(1)
	v_mul_f32_e32 v146, v137, v200
	v_fma_f32 v106, v129, v192, -v106
	v_fmac_f32_e32 v146, v138, v199
	v_add_f32_e32 v105, v105, v106
	v_mul_f32_e32 v106, v132, v194
	v_add_f32_e32 v145, v145, v146
	s_waitcnt vmcnt(24)
	v_mul_f32_e32 v146, v139, v202
	v_fma_f32 v106, v131, v193, -v106
	v_fmac_f32_e32 v146, v140, v201
	v_add_f32_e32 v105, v105, v106
	v_mul_f32_e32 v106, v134, v196
	v_add_f32_e32 v145, v145, v146
	s_waitcnt vmcnt(22) lgkmcnt(0)
	v_mul_f32_e32 v146, v141, v204
	v_fma_f32 v106, v133, v195, -v106
	v_fmac_f32_e32 v146, v142, v203
	v_add_f32_e32 v105, v105, v106
	v_mul_f32_e32 v106, v136, v197
	v_add_f32_e32 v149, v145, v146
	ds_read2_b64 v[145:148], v104 offset0:93 offset1:94
	v_fma_f32 v106, v135, v198, -v106
	v_add_f32_e32 v105, v105, v106
	v_mul_f32_e32 v106, v138, v200
	s_waitcnt vmcnt(20)
	v_mul_f32_e32 v150, v143, v206
	v_fma_f32 v106, v137, v199, -v106
	v_fmac_f32_e32 v150, v144, v205
	v_add_f32_e32 v105, v105, v106
	v_mul_f32_e32 v106, v140, v202
	v_add_f32_e32 v153, v149, v150
	ds_read2_b64 v[149:152], v104 offset0:95 offset1:96
	v_fma_f32 v106, v139, v201, -v106
	s_waitcnt vmcnt(18) lgkmcnt(1)
	v_mul_f32_e32 v154, v145, v208
	v_add_f32_e32 v105, v105, v106
	v_mul_f32_e32 v106, v142, v204
	v_fmac_f32_e32 v154, v146, v207
	v_fma_f32 v106, v141, v203, -v106
	v_add_f32_e32 v153, v153, v154
	s_waitcnt vmcnt(16)
	v_mul_f32_e32 v154, v147, v210
	v_add_f32_e32 v105, v105, v106
	v_mul_f32_e32 v106, v144, v206
	v_fmac_f32_e32 v154, v148, v209
	v_fma_f32 v106, v143, v205, -v106
	v_add_f32_e32 v153, v153, v154
	s_waitcnt vmcnt(14) lgkmcnt(0)
	v_mul_f32_e32 v154, v149, v212
	v_add_f32_e32 v105, v105, v106
	v_mul_f32_e32 v106, v146, v208
	v_fmac_f32_e32 v154, v150, v211
	v_fma_f32 v106, v145, v207, -v106
	v_add_f32_e32 v157, v153, v154
	ds_read2_b64 v[153:156], v104 offset0:97 offset1:98
	v_add_f32_e32 v105, v105, v106
	v_mul_f32_e32 v106, v148, v210
	v_fma_f32 v106, v147, v209, -v106
	v_add_f32_e32 v105, v105, v106
	v_mul_f32_e32 v106, v150, v212
	s_waitcnt vmcnt(12)
	v_mul_f32_e32 v158, v151, v214
	v_fma_f32 v106, v149, v211, -v106
	v_fmac_f32_e32 v158, v152, v213
	v_add_f32_e32 v105, v105, v106
	v_mul_f32_e32 v106, v152, v214
	v_add_f32_e32 v161, v157, v158
	ds_read2_b64 v[157:160], v104 offset0:99 offset1:100
	s_waitcnt vmcnt(10) lgkmcnt(1)
	v_mul_f32_e32 v162, v153, v216
	v_fma_f32 v106, v151, v213, -v106
	v_fmac_f32_e32 v162, v154, v215
	v_add_f32_e32 v105, v105, v106
	v_mul_f32_e32 v106, v154, v216
	v_add_f32_e32 v161, v161, v162
	s_waitcnt vmcnt(8)
	v_mul_f32_e32 v162, v155, v218
	v_fma_f32 v106, v153, v215, -v106
	v_fmac_f32_e32 v162, v156, v217
	v_add_f32_e32 v105, v105, v106
	v_mul_f32_e32 v106, v156, v218
	v_add_f32_e32 v227, v161, v162
	ds_read2_b64 v[161:164], v104 offset0:101 offset1:102
	v_fma_f32 v106, v155, v217, -v106
	v_add_f32_e32 v105, v105, v106
	s_waitcnt vmcnt(6) lgkmcnt(1)
	v_mul_f32_e32 v106, v158, v220
	v_mul_f32_e32 v228, v157, v220
	v_fma_f32 v106, v157, v219, -v106
	v_fmac_f32_e32 v228, v158, v219
	v_add_f32_e32 v105, v105, v106
	s_waitcnt vmcnt(4)
	v_mul_f32_e32 v106, v160, v222
	v_add_f32_e32 v104, v227, v228
	v_mul_f32_e32 v227, v159, v222
	v_fma_f32 v106, v159, v221, -v106
	v_fmac_f32_e32 v227, v160, v221
	v_add_f32_e32 v105, v105, v106
	s_waitcnt vmcnt(2) lgkmcnt(0)
	v_mul_f32_e32 v106, v162, v224
	v_add_f32_e32 v104, v104, v227
	v_mul_f32_e32 v227, v161, v224
	v_fma_f32 v106, v161, v223, -v106
	v_fmac_f32_e32 v227, v162, v223
	v_add_f32_e32 v105, v105, v106
	s_waitcnt vmcnt(0)
	v_mul_f32_e32 v106, v164, v226
	v_add_f32_e32 v104, v104, v227
	v_mul_f32_e32 v227, v163, v226
	v_fma_f32 v106, v163, v225, -v106
	v_fmac_f32_e32 v227, v164, v225
	v_add_f32_e32 v105, v105, v106
	v_add_f32_e32 v104, v104, v227
	v_sub_f32_e32 v105, v189, v105
	v_sub_f32_e32 v104, v190, v104
	buffer_store_dword v105, off, s[0:3], 0 offset:160
	buffer_store_dword v104, off, s[0:3], 0 offset:164
	s_and_saveexec_b64 s[4:5], vcc
	s_cbranch_execz .LBB50_281
; %bb.280:
	buffer_load_dword v104, off, s[0:3], 0 offset:152
	buffer_load_dword v105, off, s[0:3], 0 offset:156
	v_mov_b32_e32 v106, 0
	buffer_store_dword v106, off, s[0:3], 0 offset:152
	buffer_store_dword v106, off, s[0:3], 0 offset:156
	s_waitcnt vmcnt(2)
	ds_write_b64 v103, v[104:105]
.LBB50_281:
	s_or_b64 exec, exec, s[4:5]
	s_waitcnt lgkmcnt(0)
	; wave barrier
	buffer_load_dword v167, off, s[0:3], 0 offset:164
	buffer_load_dword v168, off, s[0:3], 0 offset:172
	;; [unrolled: 1-line block ×56, first 2 shown]
	v_mov_b32_e32 v104, 0
	ds_read_b128 v[105:108], v104 offset:576
	buffer_load_dword v223, off, s[0:3], 0 offset:376
	buffer_load_dword v224, off, s[0:3], 0 offset:380
	;; [unrolled: 1-line block ×4, first 2 shown]
	ds_read_b128 v[109:112], v104 offset:592
	ds_read_b128 v[113:116], v104 offset:608
	;; [unrolled: 1-line block ×3, first 2 shown]
	v_cmp_lt_u32_e32 vcc, 18, v0
	s_waitcnt vmcnt(59) lgkmcnt(3)
	v_mul_f32_e32 v121, v105, v167
	s_waitcnt vmcnt(58)
	v_mul_f32_e32 v122, v107, v168
	s_waitcnt vmcnt(57) lgkmcnt(2)
	v_mul_f32_e32 v123, v109, v169
	s_waitcnt vmcnt(56)
	v_mul_f32_e32 v124, v111, v170
	;; [unrolled: 4-line block ×4, first 2 shown]
	s_waitcnt vmcnt(51)
	v_fmac_f32_e32 v121, v106, v175
	s_waitcnt vmcnt(50)
	v_fmac_f32_e32 v122, v108, v176
	v_add_f32_e32 v121, 0, v121
	s_waitcnt vmcnt(49)
	v_fmac_f32_e32 v123, v110, v177
	v_add_f32_e32 v121, v121, v122
	;; [unrolled: 3-line block ×6, first 2 shown]
	v_add_f32_e32 v125, v121, v127
	ds_read_b128 v[121:124], v104 offset:640
	buffer_load_dword v227, off, s[0:3], 0 offset:396
	buffer_load_dword v228, off, s[0:3], 0 offset:392
	;; [unrolled: 1-line block ×4, first 2 shown]
	s_waitcnt vmcnt(48)
	v_fmac_f32_e32 v128, v120, v182
	v_add_f32_e32 v129, v125, v128
	ds_read_b128 v[125:128], v104 offset:656
	s_waitcnt vmcnt(47) lgkmcnt(1)
	v_mul_f32_e32 v130, v121, v183
	v_mul_f32_e32 v106, v106, v167
	s_waitcnt vmcnt(46)
	v_fmac_f32_e32 v130, v122, v184
	v_fma_f32 v105, v105, v175, -v106
	v_mul_f32_e32 v106, v108, v168
	v_add_f32_e32 v129, v129, v130
	s_waitcnt vmcnt(45)
	v_mul_f32_e32 v130, v123, v185
	v_add_f32_e32 v105, 0, v105
	v_fma_f32 v106, v107, v176, -v106
	s_waitcnt vmcnt(44)
	v_fmac_f32_e32 v130, v124, v186
	v_add_f32_e32 v105, v105, v106
	v_mul_f32_e32 v106, v110, v169
	v_add_f32_e32 v129, v129, v130
	s_waitcnt vmcnt(42) lgkmcnt(0)
	v_mul_f32_e32 v130, v125, v188
	v_fma_f32 v106, v109, v177, -v106
	v_fmac_f32_e32 v130, v126, v187
	v_add_f32_e32 v105, v105, v106
	v_mul_f32_e32 v106, v112, v170
	v_add_f32_e32 v133, v129, v130
	ds_read_b128 v[129:132], v104 offset:672
	v_fma_f32 v106, v111, v178, -v106
	v_add_f32_e32 v105, v105, v106
	v_mul_f32_e32 v106, v114, v171
	s_waitcnt vmcnt(39)
	v_mul_f32_e32 v134, v127, v191
	v_fma_f32 v106, v113, v179, -v106
	s_waitcnt vmcnt(38)
	v_fmac_f32_e32 v134, v128, v192
	v_add_f32_e32 v105, v105, v106
	v_mul_f32_e32 v106, v116, v172
	v_add_f32_e32 v137, v133, v134
	ds_read_b128 v[133:136], v104 offset:688
	v_fma_f32 v106, v115, v180, -v106
	s_waitcnt vmcnt(36) lgkmcnt(1)
	v_mul_f32_e32 v138, v129, v194
	v_add_f32_e32 v105, v105, v106
	v_mul_f32_e32 v106, v118, v173
	v_fmac_f32_e32 v138, v130, v193
	v_fma_f32 v106, v117, v181, -v106
	v_add_f32_e32 v137, v137, v138
	s_waitcnt vmcnt(34)
	v_mul_f32_e32 v138, v131, v196
	v_add_f32_e32 v105, v105, v106
	v_mul_f32_e32 v106, v120, v174
	v_fmac_f32_e32 v138, v132, v195
	v_fma_f32 v106, v119, v182, -v106
	v_add_f32_e32 v137, v137, v138
	s_waitcnt vmcnt(32) lgkmcnt(0)
	v_mul_f32_e32 v138, v133, v198
	v_add_f32_e32 v105, v105, v106
	v_mul_f32_e32 v106, v122, v183
	v_fmac_f32_e32 v138, v134, v197
	v_fma_f32 v106, v121, v184, -v106
	v_add_f32_e32 v141, v137, v138
	ds_read_b128 v[137:140], v104 offset:704
	v_add_f32_e32 v105, v105, v106
	v_mul_f32_e32 v106, v124, v185
	v_fma_f32 v106, v123, v186, -v106
	s_waitcnt vmcnt(30)
	v_mul_f32_e32 v142, v135, v200
	v_add_f32_e32 v105, v105, v106
	v_mul_f32_e32 v106, v126, v188
	v_fmac_f32_e32 v142, v136, v199
	v_fma_f32 v106, v125, v187, -v106
	v_add_f32_e32 v145, v141, v142
	ds_read_b128 v[141:144], v104 offset:720
	v_add_f32_e32 v105, v105, v106
	v_mul_f32_e32 v106, v128, v191
	s_waitcnt vmcnt(28) lgkmcnt(1)
	v_mul_f32_e32 v146, v137, v202
	v_fma_f32 v106, v127, v192, -v106
	v_fmac_f32_e32 v146, v138, v201
	v_add_f32_e32 v105, v105, v106
	v_mul_f32_e32 v106, v130, v194
	v_add_f32_e32 v145, v145, v146
	s_waitcnt vmcnt(26)
	v_mul_f32_e32 v146, v139, v204
	v_fma_f32 v106, v129, v193, -v106
	v_fmac_f32_e32 v146, v140, v203
	v_add_f32_e32 v105, v105, v106
	v_mul_f32_e32 v106, v132, v196
	v_add_f32_e32 v145, v145, v146
	s_waitcnt vmcnt(24) lgkmcnt(0)
	v_mul_f32_e32 v146, v141, v206
	v_fma_f32 v106, v131, v195, -v106
	v_fmac_f32_e32 v146, v142, v205
	v_add_f32_e32 v105, v105, v106
	v_mul_f32_e32 v106, v134, v198
	v_add_f32_e32 v149, v145, v146
	ds_read_b128 v[145:148], v104 offset:736
	v_fma_f32 v106, v133, v197, -v106
	v_add_f32_e32 v105, v105, v106
	v_mul_f32_e32 v106, v136, v200
	s_waitcnt vmcnt(22)
	v_mul_f32_e32 v150, v143, v208
	v_fma_f32 v106, v135, v199, -v106
	v_fmac_f32_e32 v150, v144, v207
	v_add_f32_e32 v105, v105, v106
	v_mul_f32_e32 v106, v138, v202
	v_add_f32_e32 v153, v149, v150
	ds_read_b128 v[149:152], v104 offset:752
	v_fma_f32 v106, v137, v201, -v106
	s_waitcnt vmcnt(20) lgkmcnt(1)
	v_mul_f32_e32 v154, v145, v210
	v_add_f32_e32 v105, v105, v106
	v_mul_f32_e32 v106, v140, v204
	v_fmac_f32_e32 v154, v146, v209
	v_fma_f32 v106, v139, v203, -v106
	v_add_f32_e32 v153, v153, v154
	s_waitcnt vmcnt(18)
	v_mul_f32_e32 v154, v147, v212
	v_add_f32_e32 v105, v105, v106
	v_mul_f32_e32 v106, v142, v206
	v_fmac_f32_e32 v154, v148, v211
	v_fma_f32 v106, v141, v205, -v106
	v_add_f32_e32 v153, v153, v154
	s_waitcnt vmcnt(16) lgkmcnt(0)
	v_mul_f32_e32 v154, v149, v214
	v_add_f32_e32 v105, v105, v106
	v_mul_f32_e32 v106, v144, v208
	v_fmac_f32_e32 v154, v150, v213
	v_fma_f32 v106, v143, v207, -v106
	v_add_f32_e32 v157, v153, v154
	ds_read_b128 v[153:156], v104 offset:768
	v_add_f32_e32 v105, v105, v106
	v_mul_f32_e32 v106, v146, v210
	v_fma_f32 v106, v145, v209, -v106
	s_waitcnt vmcnt(14)
	v_mul_f32_e32 v158, v151, v216
	v_add_f32_e32 v105, v105, v106
	v_mul_f32_e32 v106, v148, v212
	v_fmac_f32_e32 v158, v152, v215
	v_fma_f32 v106, v147, v211, -v106
	v_add_f32_e32 v161, v157, v158
	ds_read_b128 v[157:160], v104 offset:784
	v_add_f32_e32 v105, v105, v106
	v_mul_f32_e32 v106, v150, v214
	s_waitcnt vmcnt(12) lgkmcnt(1)
	v_mul_f32_e32 v162, v153, v218
	v_fma_f32 v106, v149, v213, -v106
	v_fmac_f32_e32 v162, v154, v217
	v_add_f32_e32 v105, v105, v106
	v_mul_f32_e32 v106, v152, v216
	v_add_f32_e32 v161, v161, v162
	s_waitcnt vmcnt(10)
	v_mul_f32_e32 v162, v155, v220
	v_fma_f32 v106, v151, v215, -v106
	v_fmac_f32_e32 v162, v156, v219
	v_add_f32_e32 v105, v105, v106
	v_mul_f32_e32 v106, v154, v218
	v_add_f32_e32 v161, v161, v162
	s_waitcnt vmcnt(8) lgkmcnt(0)
	v_mul_f32_e32 v162, v157, v222
	v_fma_f32 v106, v153, v217, -v106
	v_fmac_f32_e32 v162, v158, v221
	v_add_f32_e32 v105, v105, v106
	v_mul_f32_e32 v106, v156, v220
	v_add_f32_e32 v165, v161, v162
	ds_read_b128 v[161:164], v104 offset:800
	v_fma_f32 v106, v155, v219, -v106
	v_add_f32_e32 v105, v105, v106
	v_mul_f32_e32 v106, v158, v222
	s_waitcnt vmcnt(6)
	v_mul_f32_e32 v166, v159, v224
	v_fma_f32 v106, v157, v221, -v106
	v_fmac_f32_e32 v166, v160, v223
	v_add_f32_e32 v105, v105, v106
	v_mul_f32_e32 v106, v160, v224
	v_add_f32_e32 v231, v165, v166
	ds_read_b64 v[165:166], v104 offset:816
	v_fma_f32 v106, v159, v223, -v106
	v_add_f32_e32 v105, v105, v106
	s_waitcnt vmcnt(4) lgkmcnt(1)
	v_mul_f32_e32 v106, v162, v226
	v_mul_f32_e32 v232, v161, v226
	v_fma_f32 v106, v161, v225, -v106
	v_fmac_f32_e32 v232, v162, v225
	v_add_f32_e32 v105, v105, v106
	s_waitcnt vmcnt(3)
	v_mul_f32_e32 v106, v164, v227
	v_add_f32_e32 v231, v231, v232
	v_mul_f32_e32 v232, v163, v227
	s_waitcnt vmcnt(2)
	v_fma_f32 v106, v163, v228, -v106
	v_fmac_f32_e32 v232, v164, v228
	v_add_f32_e32 v105, v105, v106
	s_waitcnt vmcnt(0) lgkmcnt(0)
	v_mul_f32_e32 v106, v166, v230
	v_add_f32_e32 v231, v231, v232
	v_mul_f32_e32 v232, v165, v230
	v_fma_f32 v106, v165, v229, -v106
	v_fmac_f32_e32 v232, v166, v229
	v_add_f32_e32 v105, v105, v106
	v_add_f32_e32 v231, v231, v232
	v_sub_f32_e32 v105, v189, v105
	v_sub_f32_e32 v106, v190, v231
	buffer_store_dword v105, off, s[0:3], 0 offset:152
	buffer_store_dword v106, off, s[0:3], 0 offset:156
	s_and_saveexec_b64 s[4:5], vcc
	s_cbranch_execz .LBB50_283
; %bb.282:
	buffer_load_dword v105, off, s[0:3], 0 offset:144
	buffer_load_dword v106, off, s[0:3], 0 offset:148
	s_waitcnt vmcnt(0)
	ds_write_b64 v103, v[105:106]
	buffer_store_dword v104, off, s[0:3], 0 offset:144
	buffer_store_dword v104, off, s[0:3], 0 offset:148
.LBB50_283:
	s_or_b64 exec, exec, s[4:5]
	s_waitcnt lgkmcnt(0)
	; wave barrier
	buffer_load_dword v169, off, s[0:3], 0 offset:156
	buffer_load_dword v170, off, s[0:3], 0 offset:164
	;; [unrolled: 1-line block ×26, first 2 shown]
	ds_read2_b64 v[105:108], v104 offset0:71 offset1:72
	ds_read2_b64 v[109:112], v104 offset0:73 offset1:74
	;; [unrolled: 1-line block ×4, first 2 shown]
	buffer_load_dword v195, off, s[0:3], 0 offset:252
	buffer_load_dword v196, off, s[0:3], 0 offset:248
	;; [unrolled: 1-line block ×34, first 2 shown]
	v_cmp_lt_u32_e32 vcc, 17, v0
	s_waitcnt vmcnt(59) lgkmcnt(3)
	v_mul_f32_e32 v121, v105, v169
	s_waitcnt vmcnt(58)
	v_mul_f32_e32 v122, v107, v170
	s_waitcnt vmcnt(57) lgkmcnt(2)
	v_mul_f32_e32 v123, v109, v171
	s_waitcnt vmcnt(56)
	v_mul_f32_e32 v124, v111, v172
	;; [unrolled: 4-line block ×4, first 2 shown]
	s_waitcnt vmcnt(51)
	v_fmac_f32_e32 v121, v106, v177
	s_waitcnt vmcnt(50)
	v_fmac_f32_e32 v122, v108, v178
	v_add_f32_e32 v121, 0, v121
	s_waitcnt vmcnt(49)
	v_fmac_f32_e32 v123, v110, v179
	v_add_f32_e32 v121, v121, v122
	;; [unrolled: 3-line block ×7, first 2 shown]
	v_add_f32_e32 v129, v121, v128
	ds_read2_b64 v[121:124], v104 offset0:79 offset1:80
	buffer_load_dword v229, off, s[0:3], 0 offset:388
	buffer_load_dword v230, off, s[0:3], 0 offset:384
	;; [unrolled: 1-line block ×4, first 2 shown]
	ds_read2_b64 v[125:128], v104 offset0:81 offset1:82
	buffer_load_dword v233, off, s[0:3], 0 offset:400
	buffer_load_dword v234, off, s[0:3], 0 offset:404
	v_mul_f32_e32 v106, v106, v169
	s_waitcnt vmcnt(49) lgkmcnt(1)
	v_mul_f32_e32 v130, v121, v185
	s_waitcnt vmcnt(48)
	v_fmac_f32_e32 v130, v122, v186
	v_fma_f32 v105, v105, v177, -v106
	v_mul_f32_e32 v106, v108, v170
	v_add_f32_e32 v129, v129, v130
	s_waitcnt vmcnt(46)
	v_mul_f32_e32 v130, v123, v188
	v_add_f32_e32 v105, 0, v105
	v_fma_f32 v106, v107, v178, -v106
	v_fmac_f32_e32 v130, v124, v187
	v_add_f32_e32 v105, v105, v106
	v_mul_f32_e32 v106, v110, v171
	v_add_f32_e32 v129, v129, v130
	s_waitcnt vmcnt(43) lgkmcnt(0)
	v_mul_f32_e32 v130, v125, v191
	v_fma_f32 v106, v109, v179, -v106
	s_waitcnt vmcnt(42)
	v_fmac_f32_e32 v130, v126, v192
	v_add_f32_e32 v105, v105, v106
	v_mul_f32_e32 v106, v112, v172
	v_add_f32_e32 v133, v129, v130
	ds_read2_b64 v[129:132], v104 offset0:83 offset1:84
	v_fma_f32 v106, v111, v180, -v106
	v_add_f32_e32 v105, v105, v106
	v_mul_f32_e32 v106, v114, v173
	s_waitcnt vmcnt(40)
	v_mul_f32_e32 v134, v127, v194
	v_fma_f32 v106, v113, v181, -v106
	v_fmac_f32_e32 v134, v128, v193
	v_add_f32_e32 v105, v105, v106
	v_mul_f32_e32 v106, v116, v174
	v_add_f32_e32 v137, v133, v134
	ds_read2_b64 v[133:136], v104 offset0:85 offset1:86
	v_fma_f32 v106, v115, v182, -v106
	s_waitcnt vmcnt(39) lgkmcnt(1)
	v_mul_f32_e32 v138, v129, v195
	v_add_f32_e32 v105, v105, v106
	v_mul_f32_e32 v106, v118, v175
	s_waitcnt vmcnt(38)
	v_fmac_f32_e32 v138, v130, v196
	v_fma_f32 v106, v117, v183, -v106
	v_add_f32_e32 v137, v137, v138
	s_waitcnt vmcnt(36)
	v_mul_f32_e32 v138, v131, v198
	v_add_f32_e32 v105, v105, v106
	v_mul_f32_e32 v106, v120, v176
	v_fmac_f32_e32 v138, v132, v197
	v_fma_f32 v106, v119, v184, -v106
	v_add_f32_e32 v137, v137, v138
	s_waitcnt vmcnt(34) lgkmcnt(0)
	v_mul_f32_e32 v138, v133, v200
	v_add_f32_e32 v105, v105, v106
	v_mul_f32_e32 v106, v122, v185
	v_fmac_f32_e32 v138, v134, v199
	v_fma_f32 v106, v121, v186, -v106
	v_add_f32_e32 v141, v137, v138
	ds_read2_b64 v[137:140], v104 offset0:87 offset1:88
	v_add_f32_e32 v105, v105, v106
	v_mul_f32_e32 v106, v124, v188
	v_fma_f32 v106, v123, v187, -v106
	s_waitcnt vmcnt(32)
	v_mul_f32_e32 v142, v135, v202
	v_add_f32_e32 v105, v105, v106
	v_mul_f32_e32 v106, v126, v191
	v_fmac_f32_e32 v142, v136, v201
	v_fma_f32 v106, v125, v192, -v106
	v_add_f32_e32 v145, v141, v142
	ds_read2_b64 v[141:144], v104 offset0:89 offset1:90
	v_add_f32_e32 v105, v105, v106
	v_mul_f32_e32 v106, v128, v194
	s_waitcnt vmcnt(30) lgkmcnt(1)
	v_mul_f32_e32 v146, v137, v204
	v_fma_f32 v106, v127, v193, -v106
	v_fmac_f32_e32 v146, v138, v203
	v_add_f32_e32 v105, v105, v106
	v_mul_f32_e32 v106, v130, v195
	v_add_f32_e32 v145, v145, v146
	s_waitcnt vmcnt(28)
	v_mul_f32_e32 v146, v139, v206
	v_fma_f32 v106, v129, v196, -v106
	v_fmac_f32_e32 v146, v140, v205
	v_add_f32_e32 v105, v105, v106
	v_mul_f32_e32 v106, v132, v198
	v_add_f32_e32 v145, v145, v146
	s_waitcnt vmcnt(26) lgkmcnt(0)
	v_mul_f32_e32 v146, v141, v208
	v_fma_f32 v106, v131, v197, -v106
	v_fmac_f32_e32 v146, v142, v207
	v_add_f32_e32 v105, v105, v106
	v_mul_f32_e32 v106, v134, v200
	v_add_f32_e32 v149, v145, v146
	ds_read2_b64 v[145:148], v104 offset0:91 offset1:92
	v_fma_f32 v106, v133, v199, -v106
	v_add_f32_e32 v105, v105, v106
	v_mul_f32_e32 v106, v136, v202
	s_waitcnt vmcnt(24)
	v_mul_f32_e32 v150, v143, v210
	v_fma_f32 v106, v135, v201, -v106
	v_fmac_f32_e32 v150, v144, v209
	v_add_f32_e32 v105, v105, v106
	v_mul_f32_e32 v106, v138, v204
	v_add_f32_e32 v153, v149, v150
	ds_read2_b64 v[149:152], v104 offset0:93 offset1:94
	v_fma_f32 v106, v137, v203, -v106
	s_waitcnt vmcnt(22) lgkmcnt(1)
	v_mul_f32_e32 v154, v145, v212
	v_add_f32_e32 v105, v105, v106
	v_mul_f32_e32 v106, v140, v206
	v_fmac_f32_e32 v154, v146, v211
	v_fma_f32 v106, v139, v205, -v106
	v_add_f32_e32 v153, v153, v154
	s_waitcnt vmcnt(20)
	v_mul_f32_e32 v154, v147, v214
	v_add_f32_e32 v105, v105, v106
	v_mul_f32_e32 v106, v142, v208
	v_fmac_f32_e32 v154, v148, v213
	v_fma_f32 v106, v141, v207, -v106
	v_add_f32_e32 v153, v153, v154
	s_waitcnt vmcnt(18) lgkmcnt(0)
	v_mul_f32_e32 v154, v149, v216
	v_add_f32_e32 v105, v105, v106
	v_mul_f32_e32 v106, v144, v210
	v_fmac_f32_e32 v154, v150, v215
	v_fma_f32 v106, v143, v209, -v106
	v_add_f32_e32 v157, v153, v154
	ds_read2_b64 v[153:156], v104 offset0:95 offset1:96
	v_add_f32_e32 v105, v105, v106
	v_mul_f32_e32 v106, v146, v212
	v_fma_f32 v106, v145, v211, -v106
	s_waitcnt vmcnt(16)
	v_mul_f32_e32 v158, v151, v218
	v_add_f32_e32 v105, v105, v106
	v_mul_f32_e32 v106, v148, v214
	v_fmac_f32_e32 v158, v152, v217
	v_fma_f32 v106, v147, v213, -v106
	v_add_f32_e32 v161, v157, v158
	ds_read2_b64 v[157:160], v104 offset0:97 offset1:98
	v_add_f32_e32 v105, v105, v106
	v_mul_f32_e32 v106, v150, v216
	s_waitcnt vmcnt(14) lgkmcnt(1)
	v_mul_f32_e32 v162, v153, v220
	v_fma_f32 v106, v149, v215, -v106
	v_fmac_f32_e32 v162, v154, v219
	v_add_f32_e32 v105, v105, v106
	v_mul_f32_e32 v106, v152, v218
	v_add_f32_e32 v161, v161, v162
	s_waitcnt vmcnt(12)
	v_mul_f32_e32 v162, v155, v222
	v_fma_f32 v106, v151, v217, -v106
	v_fmac_f32_e32 v162, v156, v221
	v_add_f32_e32 v105, v105, v106
	v_mul_f32_e32 v106, v154, v220
	v_add_f32_e32 v161, v161, v162
	s_waitcnt vmcnt(10) lgkmcnt(0)
	v_mul_f32_e32 v162, v157, v224
	v_fma_f32 v106, v153, v219, -v106
	v_fmac_f32_e32 v162, v158, v223
	v_add_f32_e32 v105, v105, v106
	v_mul_f32_e32 v106, v156, v222
	v_add_f32_e32 v165, v161, v162
	ds_read2_b64 v[161:164], v104 offset0:99 offset1:100
	v_fma_f32 v106, v155, v221, -v106
	v_add_f32_e32 v105, v105, v106
	v_mul_f32_e32 v106, v158, v224
	s_waitcnt vmcnt(8)
	v_mul_f32_e32 v166, v159, v226
	v_fma_f32 v106, v157, v223, -v106
	v_fmac_f32_e32 v166, v160, v225
	v_add_f32_e32 v105, v105, v106
	v_mul_f32_e32 v106, v160, v226
	v_add_f32_e32 v235, v165, v166
	ds_read2_b64 v[165:168], v104 offset0:101 offset1:102
	v_fma_f32 v106, v159, v225, -v106
	v_add_f32_e32 v105, v105, v106
	s_waitcnt vmcnt(6) lgkmcnt(1)
	v_mul_f32_e32 v106, v162, v228
	v_mul_f32_e32 v104, v161, v228
	v_fma_f32 v106, v161, v227, -v106
	v_fmac_f32_e32 v104, v162, v227
	v_add_f32_e32 v105, v105, v106
	s_waitcnt vmcnt(5)
	v_mul_f32_e32 v106, v164, v229
	v_add_f32_e32 v104, v235, v104
	v_mul_f32_e32 v235, v163, v229
	s_waitcnt vmcnt(4)
	v_fma_f32 v106, v163, v230, -v106
	v_fmac_f32_e32 v235, v164, v230
	v_add_f32_e32 v105, v105, v106
	s_waitcnt vmcnt(2) lgkmcnt(0)
	v_mul_f32_e32 v106, v166, v232
	v_add_f32_e32 v104, v104, v235
	v_mul_f32_e32 v235, v165, v232
	v_fma_f32 v106, v165, v231, -v106
	v_fmac_f32_e32 v235, v166, v231
	v_add_f32_e32 v105, v105, v106
	s_waitcnt vmcnt(0)
	v_mul_f32_e32 v106, v168, v234
	v_add_f32_e32 v104, v104, v235
	v_mul_f32_e32 v235, v167, v234
	v_fma_f32 v106, v167, v233, -v106
	v_fmac_f32_e32 v235, v168, v233
	v_add_f32_e32 v105, v105, v106
	v_add_f32_e32 v104, v104, v235
	v_sub_f32_e32 v105, v189, v105
	v_sub_f32_e32 v104, v190, v104
	buffer_store_dword v105, off, s[0:3], 0 offset:144
	buffer_store_dword v104, off, s[0:3], 0 offset:148
	s_and_saveexec_b64 s[4:5], vcc
	s_cbranch_execz .LBB50_285
; %bb.284:
	buffer_load_dword v104, off, s[0:3], 0 offset:136
	buffer_load_dword v105, off, s[0:3], 0 offset:140
	v_mov_b32_e32 v106, 0
	buffer_store_dword v106, off, s[0:3], 0 offset:136
	buffer_store_dword v106, off, s[0:3], 0 offset:140
	s_waitcnt vmcnt(2)
	ds_write_b64 v103, v[104:105]
.LBB50_285:
	s_or_b64 exec, exec, s[4:5]
	s_waitcnt lgkmcnt(0)
	; wave barrier
	buffer_load_dword v171, off, s[0:3], 0 offset:148
	buffer_load_dword v172, off, s[0:3], 0 offset:156
	;; [unrolled: 1-line block ×58, first 2 shown]
	v_mov_b32_e32 v104, 0
	ds_read_b128 v[105:108], v104 offset:560
	ds_read_b128 v[109:112], v104 offset:576
	;; [unrolled: 1-line block ×5, first 2 shown]
	buffer_load_dword v229, off, s[0:3], 0 offset:368
	buffer_load_dword v230, off, s[0:3], 0 offset:372
	v_cmp_lt_u32_e32 vcc, 16, v0
	s_waitcnt vmcnt(59) lgkmcnt(4)
	v_mul_f32_e32 v125, v105, v171
	s_waitcnt vmcnt(58)
	v_mul_f32_e32 v126, v107, v172
	s_waitcnt vmcnt(57) lgkmcnt(3)
	v_mul_f32_e32 v127, v109, v173
	s_waitcnt vmcnt(56)
	v_mul_f32_e32 v128, v111, v174
	;; [unrolled: 4-line block ×4, first 2 shown]
	s_waitcnt vmcnt(51)
	v_fmac_f32_e32 v125, v106, v179
	s_waitcnt vmcnt(50)
	v_fmac_f32_e32 v126, v108, v180
	v_add_f32_e32 v125, 0, v125
	s_waitcnt vmcnt(49)
	v_fmac_f32_e32 v127, v110, v181
	v_add_f32_e32 v125, v125, v126
	;; [unrolled: 3-line block ×7, first 2 shown]
	v_add_f32_e32 v129, v125, v132
	ds_read_b128 v[125:128], v104 offset:640
	buffer_load_dword v231, off, s[0:3], 0 offset:380
	buffer_load_dword v232, off, s[0:3], 0 offset:376
	;; [unrolled: 1-line block ×8, first 2 shown]
	s_waitcnt vmcnt(51) lgkmcnt(1)
	v_mul_f32_e32 v130, v121, v187
	s_waitcnt vmcnt(50)
	v_fmac_f32_e32 v130, v122, v188
	v_mul_f32_e32 v106, v106, v171
	v_add_f32_e32 v129, v129, v130
	s_waitcnt vmcnt(49)
	v_mul_f32_e32 v130, v123, v189
	v_fma_f32 v105, v105, v179, -v106
	v_mul_f32_e32 v106, v108, v172
	s_waitcnt vmcnt(46)
	v_fmac_f32_e32 v130, v124, v192
	v_add_f32_e32 v105, 0, v105
	v_fma_f32 v106, v107, v180, -v106
	v_add_f32_e32 v129, v129, v130
	s_waitcnt vmcnt(44) lgkmcnt(0)
	v_mul_f32_e32 v130, v125, v194
	v_add_f32_e32 v105, v105, v106
	v_mul_f32_e32 v106, v110, v173
	v_fmac_f32_e32 v130, v126, v193
	v_fma_f32 v106, v109, v181, -v106
	v_add_f32_e32 v133, v129, v130
	ds_read_b128 v[129:132], v104 offset:656
	v_add_f32_e32 v105, v105, v106
	v_mul_f32_e32 v106, v112, v174
	v_fma_f32 v106, v111, v182, -v106
	s_waitcnt vmcnt(42)
	v_mul_f32_e32 v134, v127, v196
	v_add_f32_e32 v105, v105, v106
	v_mul_f32_e32 v106, v114, v175
	v_fmac_f32_e32 v134, v128, v195
	v_fma_f32 v106, v113, v183, -v106
	v_add_f32_e32 v137, v133, v134
	ds_read_b128 v[133:136], v104 offset:672
	v_add_f32_e32 v105, v105, v106
	v_mul_f32_e32 v106, v116, v176
	s_waitcnt vmcnt(40) lgkmcnt(1)
	v_mul_f32_e32 v138, v129, v198
	v_fma_f32 v106, v115, v184, -v106
	v_fmac_f32_e32 v138, v130, v197
	v_add_f32_e32 v105, v105, v106
	v_mul_f32_e32 v106, v118, v177
	v_add_f32_e32 v137, v137, v138
	s_waitcnt vmcnt(38)
	v_mul_f32_e32 v138, v131, v200
	v_fma_f32 v106, v117, v185, -v106
	v_fmac_f32_e32 v138, v132, v199
	v_add_f32_e32 v105, v105, v106
	v_mul_f32_e32 v106, v120, v178
	v_add_f32_e32 v137, v137, v138
	s_waitcnt vmcnt(36) lgkmcnt(0)
	v_mul_f32_e32 v138, v133, v202
	v_fma_f32 v106, v119, v186, -v106
	v_fmac_f32_e32 v138, v134, v201
	v_add_f32_e32 v105, v105, v106
	v_mul_f32_e32 v106, v122, v187
	v_add_f32_e32 v141, v137, v138
	ds_read_b128 v[137:140], v104 offset:688
	v_fma_f32 v106, v121, v188, -v106
	v_add_f32_e32 v105, v105, v106
	v_mul_f32_e32 v106, v124, v189
	s_waitcnt vmcnt(34)
	v_mul_f32_e32 v142, v135, v204
	v_fma_f32 v106, v123, v192, -v106
	v_fmac_f32_e32 v142, v136, v203
	v_add_f32_e32 v105, v105, v106
	v_mul_f32_e32 v106, v126, v194
	v_add_f32_e32 v145, v141, v142
	ds_read_b128 v[141:144], v104 offset:704
	v_fma_f32 v106, v125, v193, -v106
	s_waitcnt vmcnt(32) lgkmcnt(1)
	v_mul_f32_e32 v146, v137, v206
	v_add_f32_e32 v105, v105, v106
	v_mul_f32_e32 v106, v128, v196
	v_fmac_f32_e32 v146, v138, v205
	v_fma_f32 v106, v127, v195, -v106
	v_add_f32_e32 v145, v145, v146
	s_waitcnt vmcnt(30)
	v_mul_f32_e32 v146, v139, v208
	v_add_f32_e32 v105, v105, v106
	v_mul_f32_e32 v106, v130, v198
	v_fmac_f32_e32 v146, v140, v207
	v_fma_f32 v106, v129, v197, -v106
	v_add_f32_e32 v145, v145, v146
	s_waitcnt vmcnt(28) lgkmcnt(0)
	v_mul_f32_e32 v146, v141, v210
	v_add_f32_e32 v105, v105, v106
	v_mul_f32_e32 v106, v132, v200
	v_fmac_f32_e32 v146, v142, v209
	v_fma_f32 v106, v131, v199, -v106
	v_add_f32_e32 v149, v145, v146
	ds_read_b128 v[145:148], v104 offset:720
	v_add_f32_e32 v105, v105, v106
	v_mul_f32_e32 v106, v134, v202
	v_fma_f32 v106, v133, v201, -v106
	s_waitcnt vmcnt(26)
	v_mul_f32_e32 v150, v143, v212
	v_add_f32_e32 v105, v105, v106
	v_mul_f32_e32 v106, v136, v204
	v_fmac_f32_e32 v150, v144, v211
	v_fma_f32 v106, v135, v203, -v106
	v_add_f32_e32 v153, v149, v150
	ds_read_b128 v[149:152], v104 offset:736
	v_add_f32_e32 v105, v105, v106
	v_mul_f32_e32 v106, v138, v206
	s_waitcnt vmcnt(24) lgkmcnt(1)
	v_mul_f32_e32 v154, v145, v214
	v_fma_f32 v106, v137, v205, -v106
	v_fmac_f32_e32 v154, v146, v213
	v_add_f32_e32 v105, v105, v106
	v_mul_f32_e32 v106, v140, v208
	v_add_f32_e32 v153, v153, v154
	s_waitcnt vmcnt(22)
	v_mul_f32_e32 v154, v147, v216
	v_fma_f32 v106, v139, v207, -v106
	v_fmac_f32_e32 v154, v148, v215
	v_add_f32_e32 v105, v105, v106
	v_mul_f32_e32 v106, v142, v210
	v_add_f32_e32 v153, v153, v154
	s_waitcnt vmcnt(20) lgkmcnt(0)
	v_mul_f32_e32 v154, v149, v218
	v_fma_f32 v106, v141, v209, -v106
	v_fmac_f32_e32 v154, v150, v217
	v_add_f32_e32 v105, v105, v106
	v_mul_f32_e32 v106, v144, v212
	v_add_f32_e32 v157, v153, v154
	ds_read_b128 v[153:156], v104 offset:752
	v_fma_f32 v106, v143, v211, -v106
	v_add_f32_e32 v105, v105, v106
	v_mul_f32_e32 v106, v146, v214
	s_waitcnt vmcnt(18)
	v_mul_f32_e32 v158, v151, v220
	v_fma_f32 v106, v145, v213, -v106
	v_fmac_f32_e32 v158, v152, v219
	v_add_f32_e32 v105, v105, v106
	v_mul_f32_e32 v106, v148, v216
	v_add_f32_e32 v161, v157, v158
	ds_read_b128 v[157:160], v104 offset:768
	v_fma_f32 v106, v147, v215, -v106
	s_waitcnt vmcnt(16) lgkmcnt(1)
	v_mul_f32_e32 v162, v153, v222
	v_add_f32_e32 v105, v105, v106
	v_mul_f32_e32 v106, v150, v218
	v_fmac_f32_e32 v162, v154, v221
	v_fma_f32 v106, v149, v217, -v106
	v_add_f32_e32 v161, v161, v162
	s_waitcnt vmcnt(14)
	v_mul_f32_e32 v162, v155, v224
	v_add_f32_e32 v105, v105, v106
	v_mul_f32_e32 v106, v152, v220
	v_fmac_f32_e32 v162, v156, v223
	v_fma_f32 v106, v151, v219, -v106
	v_add_f32_e32 v161, v161, v162
	s_waitcnt vmcnt(12) lgkmcnt(0)
	v_mul_f32_e32 v162, v157, v226
	v_add_f32_e32 v105, v105, v106
	v_mul_f32_e32 v106, v154, v222
	v_fmac_f32_e32 v162, v158, v225
	v_fma_f32 v106, v153, v221, -v106
	v_add_f32_e32 v165, v161, v162
	ds_read_b128 v[161:164], v104 offset:784
	v_add_f32_e32 v105, v105, v106
	v_mul_f32_e32 v106, v156, v224
	v_fma_f32 v106, v155, v223, -v106
	v_add_f32_e32 v105, v105, v106
	v_mul_f32_e32 v106, v158, v226
	s_waitcnt vmcnt(10)
	v_mul_f32_e32 v166, v159, v228
	v_fma_f32 v106, v157, v225, -v106
	v_fmac_f32_e32 v166, v160, v227
	v_add_f32_e32 v105, v105, v106
	v_mul_f32_e32 v106, v160, v228
	v_add_f32_e32 v169, v165, v166
	ds_read_b128 v[165:168], v104 offset:800
	s_waitcnt vmcnt(8) lgkmcnt(1)
	v_mul_f32_e32 v170, v161, v230
	v_fma_f32 v106, v159, v227, -v106
	v_fmac_f32_e32 v170, v162, v229
	v_add_f32_e32 v105, v105, v106
	v_mul_f32_e32 v106, v162, v230
	v_add_f32_e32 v169, v169, v170
	s_waitcnt vmcnt(7)
	v_mul_f32_e32 v170, v163, v231
	v_fma_f32 v106, v161, v229, -v106
	s_waitcnt vmcnt(6)
	v_fmac_f32_e32 v170, v164, v232
	v_add_f32_e32 v105, v105, v106
	v_mul_f32_e32 v106, v164, v231
	v_add_f32_e32 v239, v169, v170
	ds_read_b64 v[169:170], v104 offset:816
	v_fma_f32 v106, v163, v232, -v106
	v_add_f32_e32 v105, v105, v106
	s_waitcnt vmcnt(4) lgkmcnt(1)
	v_mul_f32_e32 v106, v166, v234
	v_mul_f32_e32 v240, v165, v234
	v_fma_f32 v106, v165, v233, -v106
	v_fmac_f32_e32 v240, v166, v233
	v_add_f32_e32 v105, v105, v106
	s_waitcnt vmcnt(3)
	v_mul_f32_e32 v106, v168, v235
	v_add_f32_e32 v239, v239, v240
	v_mul_f32_e32 v240, v167, v235
	s_waitcnt vmcnt(2)
	v_fma_f32 v106, v167, v236, -v106
	v_fmac_f32_e32 v240, v168, v236
	v_add_f32_e32 v105, v105, v106
	s_waitcnt vmcnt(0) lgkmcnt(0)
	v_mul_f32_e32 v106, v170, v238
	v_add_f32_e32 v239, v239, v240
	v_mul_f32_e32 v240, v169, v238
	v_fma_f32 v106, v169, v237, -v106
	v_fmac_f32_e32 v240, v170, v237
	v_add_f32_e32 v105, v105, v106
	v_add_f32_e32 v239, v239, v240
	v_sub_f32_e32 v105, v190, v105
	v_sub_f32_e32 v106, v191, v239
	buffer_store_dword v105, off, s[0:3], 0 offset:136
	buffer_store_dword v106, off, s[0:3], 0 offset:140
	s_and_saveexec_b64 s[4:5], vcc
	s_cbranch_execz .LBB50_287
; %bb.286:
	buffer_load_dword v105, off, s[0:3], 0 offset:128
	buffer_load_dword v106, off, s[0:3], 0 offset:132
	s_waitcnt vmcnt(0)
	ds_write_b64 v103, v[105:106]
	buffer_store_dword v104, off, s[0:3], 0 offset:128
	buffer_store_dword v104, off, s[0:3], 0 offset:132
.LBB50_287:
	s_or_b64 exec, exec, s[4:5]
	s_waitcnt lgkmcnt(0)
	; wave barrier
	buffer_load_dword v173, off, s[0:3], 0 offset:140
	buffer_load_dword v174, off, s[0:3], 0 offset:148
	;; [unrolled: 1-line block ×24, first 2 shown]
	ds_read2_b64 v[105:108], v104 offset0:69 offset1:70
	ds_read2_b64 v[109:112], v104 offset0:71 offset1:72
	;; [unrolled: 1-line block ×6, first 2 shown]
	buffer_load_dword v197, off, s[0:3], 0 offset:228
	buffer_load_dword v198, off, s[0:3], 0 offset:224
	;; [unrolled: 1-line block ×46, first 2 shown]
	v_cmp_lt_u32_e32 vcc, 15, v0
	s_waitcnt vmcnt(62) lgkmcnt(5)
	v_mul_f32_e32 v129, v105, v173
	v_mul_f32_e32 v130, v107, v174
	s_waitcnt lgkmcnt(4)
	v_mul_f32_e32 v131, v109, v175
	v_mul_f32_e32 v132, v111, v176
	s_waitcnt lgkmcnt(3)
	;; [unrolled: 3-line block ×3, first 2 shown]
	v_mul_f32_e32 v135, v117, v179
	v_mul_f32_e32 v136, v119, v180
	s_waitcnt vmcnt(61)
	v_fmac_f32_e32 v129, v106, v181
	s_waitcnt vmcnt(60)
	v_fmac_f32_e32 v130, v108, v182
	v_add_f32_e32 v129, 0, v129
	s_waitcnt vmcnt(59)
	v_fmac_f32_e32 v131, v110, v183
	v_add_f32_e32 v129, v129, v130
	;; [unrolled: 3-line block ×7, first 2 shown]
	s_waitcnt vmcnt(53) lgkmcnt(1)
	v_mul_f32_e32 v130, v121, v189
	v_add_f32_e32 v129, v129, v136
	s_waitcnt vmcnt(52)
	v_fmac_f32_e32 v130, v122, v190
	v_mul_f32_e32 v106, v106, v173
	v_add_f32_e32 v129, v129, v130
	s_waitcnt vmcnt(51)
	v_mul_f32_e32 v130, v123, v191
	v_fma_f32 v105, v105, v181, -v106
	v_mul_f32_e32 v106, v108, v174
	s_waitcnt vmcnt(50)
	v_fmac_f32_e32 v130, v124, v192
	v_add_f32_e32 v105, 0, v105
	v_fma_f32 v106, v107, v182, -v106
	v_add_f32_e32 v129, v129, v130
	s_waitcnt vmcnt(47) lgkmcnt(0)
	v_mul_f32_e32 v130, v125, v195
	v_add_f32_e32 v105, v105, v106
	v_mul_f32_e32 v106, v110, v175
	s_waitcnt vmcnt(46)
	v_fmac_f32_e32 v130, v126, v196
	v_fma_f32 v106, v109, v183, -v106
	v_add_f32_e32 v133, v129, v130
	ds_read2_b64 v[129:132], v104 offset0:81 offset1:82
	v_add_f32_e32 v105, v105, v106
	v_mul_f32_e32 v106, v112, v176
	v_fma_f32 v106, v111, v184, -v106
	s_waitcnt vmcnt(45)
	v_mul_f32_e32 v134, v127, v197
	v_add_f32_e32 v105, v105, v106
	v_mul_f32_e32 v106, v114, v177
	s_waitcnt vmcnt(44)
	v_fmac_f32_e32 v134, v128, v198
	v_fma_f32 v106, v113, v185, -v106
	v_add_f32_e32 v137, v133, v134
	ds_read2_b64 v[133:136], v104 offset0:83 offset1:84
	v_add_f32_e32 v105, v105, v106
	v_mul_f32_e32 v106, v116, v178
	s_waitcnt vmcnt(42) lgkmcnt(1)
	v_mul_f32_e32 v138, v129, v200
	v_fma_f32 v106, v115, v186, -v106
	v_fmac_f32_e32 v138, v130, v199
	v_add_f32_e32 v105, v105, v106
	v_mul_f32_e32 v106, v118, v179
	v_add_f32_e32 v137, v137, v138
	s_waitcnt vmcnt(40)
	v_mul_f32_e32 v138, v131, v202
	v_fma_f32 v106, v117, v187, -v106
	v_fmac_f32_e32 v138, v132, v201
	v_add_f32_e32 v105, v105, v106
	v_mul_f32_e32 v106, v120, v180
	v_add_f32_e32 v137, v137, v138
	s_waitcnt vmcnt(38) lgkmcnt(0)
	v_mul_f32_e32 v138, v133, v204
	v_fma_f32 v106, v119, v188, -v106
	v_fmac_f32_e32 v138, v134, v203
	v_add_f32_e32 v105, v105, v106
	v_mul_f32_e32 v106, v122, v189
	v_add_f32_e32 v141, v137, v138
	ds_read2_b64 v[137:140], v104 offset0:85 offset1:86
	v_fma_f32 v106, v121, v190, -v106
	v_add_f32_e32 v105, v105, v106
	v_mul_f32_e32 v106, v124, v191
	s_waitcnt vmcnt(36)
	v_mul_f32_e32 v142, v135, v206
	v_fma_f32 v106, v123, v192, -v106
	v_fmac_f32_e32 v142, v136, v205
	v_add_f32_e32 v105, v105, v106
	v_mul_f32_e32 v106, v126, v195
	v_add_f32_e32 v145, v141, v142
	ds_read2_b64 v[141:144], v104 offset0:87 offset1:88
	v_fma_f32 v106, v125, v196, -v106
	s_waitcnt vmcnt(34) lgkmcnt(1)
	v_mul_f32_e32 v146, v137, v208
	v_add_f32_e32 v105, v105, v106
	v_mul_f32_e32 v106, v128, v197
	v_fmac_f32_e32 v146, v138, v207
	v_fma_f32 v106, v127, v198, -v106
	v_add_f32_e32 v145, v145, v146
	s_waitcnt vmcnt(32)
	v_mul_f32_e32 v146, v139, v210
	v_add_f32_e32 v105, v105, v106
	v_mul_f32_e32 v106, v130, v200
	v_fmac_f32_e32 v146, v140, v209
	v_fma_f32 v106, v129, v199, -v106
	v_add_f32_e32 v145, v145, v146
	s_waitcnt vmcnt(30) lgkmcnt(0)
	v_mul_f32_e32 v146, v141, v212
	v_add_f32_e32 v105, v105, v106
	v_mul_f32_e32 v106, v132, v202
	v_fmac_f32_e32 v146, v142, v211
	v_fma_f32 v106, v131, v201, -v106
	v_add_f32_e32 v149, v145, v146
	ds_read2_b64 v[145:148], v104 offset0:89 offset1:90
	v_add_f32_e32 v105, v105, v106
	v_mul_f32_e32 v106, v134, v204
	v_fma_f32 v106, v133, v203, -v106
	s_waitcnt vmcnt(28)
	v_mul_f32_e32 v150, v143, v214
	v_add_f32_e32 v105, v105, v106
	v_mul_f32_e32 v106, v136, v206
	v_fmac_f32_e32 v150, v144, v213
	v_fma_f32 v106, v135, v205, -v106
	v_add_f32_e32 v153, v149, v150
	ds_read2_b64 v[149:152], v104 offset0:91 offset1:92
	v_add_f32_e32 v105, v105, v106
	v_mul_f32_e32 v106, v138, v208
	s_waitcnt vmcnt(26) lgkmcnt(1)
	v_mul_f32_e32 v154, v145, v216
	v_fma_f32 v106, v137, v207, -v106
	v_fmac_f32_e32 v154, v146, v215
	v_add_f32_e32 v105, v105, v106
	v_mul_f32_e32 v106, v140, v210
	v_add_f32_e32 v153, v153, v154
	s_waitcnt vmcnt(24)
	v_mul_f32_e32 v154, v147, v218
	v_fma_f32 v106, v139, v209, -v106
	v_fmac_f32_e32 v154, v148, v217
	v_add_f32_e32 v105, v105, v106
	v_mul_f32_e32 v106, v142, v212
	v_add_f32_e32 v153, v153, v154
	s_waitcnt vmcnt(22) lgkmcnt(0)
	v_mul_f32_e32 v154, v149, v220
	v_fma_f32 v106, v141, v211, -v106
	v_fmac_f32_e32 v154, v150, v219
	v_add_f32_e32 v105, v105, v106
	v_mul_f32_e32 v106, v144, v214
	v_add_f32_e32 v157, v153, v154
	ds_read2_b64 v[153:156], v104 offset0:93 offset1:94
	v_fma_f32 v106, v143, v213, -v106
	v_add_f32_e32 v105, v105, v106
	v_mul_f32_e32 v106, v146, v216
	s_waitcnt vmcnt(20)
	v_mul_f32_e32 v158, v151, v222
	v_fma_f32 v106, v145, v215, -v106
	v_fmac_f32_e32 v158, v152, v221
	v_add_f32_e32 v105, v105, v106
	v_mul_f32_e32 v106, v148, v218
	v_add_f32_e32 v161, v157, v158
	ds_read2_b64 v[157:160], v104 offset0:95 offset1:96
	v_fma_f32 v106, v147, v217, -v106
	s_waitcnt vmcnt(18) lgkmcnt(1)
	v_mul_f32_e32 v162, v153, v224
	v_add_f32_e32 v105, v105, v106
	v_mul_f32_e32 v106, v150, v220
	v_fmac_f32_e32 v162, v154, v223
	v_fma_f32 v106, v149, v219, -v106
	v_add_f32_e32 v161, v161, v162
	s_waitcnt vmcnt(16)
	v_mul_f32_e32 v162, v155, v226
	v_add_f32_e32 v105, v105, v106
	v_mul_f32_e32 v106, v152, v222
	v_fmac_f32_e32 v162, v156, v225
	v_fma_f32 v106, v151, v221, -v106
	v_add_f32_e32 v161, v161, v162
	s_waitcnt vmcnt(14) lgkmcnt(0)
	v_mul_f32_e32 v162, v157, v228
	v_add_f32_e32 v105, v105, v106
	v_mul_f32_e32 v106, v154, v224
	v_fmac_f32_e32 v162, v158, v227
	v_fma_f32 v106, v153, v223, -v106
	v_add_f32_e32 v165, v161, v162
	ds_read2_b64 v[161:164], v104 offset0:97 offset1:98
	v_add_f32_e32 v105, v105, v106
	v_mul_f32_e32 v106, v156, v226
	v_fma_f32 v106, v155, v225, -v106
	v_add_f32_e32 v105, v105, v106
	v_mul_f32_e32 v106, v158, v228
	s_waitcnt vmcnt(12)
	v_mul_f32_e32 v166, v159, v230
	v_fma_f32 v106, v157, v227, -v106
	v_fmac_f32_e32 v166, v160, v229
	v_add_f32_e32 v105, v105, v106
	v_mul_f32_e32 v106, v160, v230
	v_add_f32_e32 v169, v165, v166
	ds_read2_b64 v[165:168], v104 offset0:99 offset1:100
	s_waitcnt vmcnt(10) lgkmcnt(1)
	v_mul_f32_e32 v170, v161, v232
	v_fma_f32 v106, v159, v229, -v106
	v_fmac_f32_e32 v170, v162, v231
	v_add_f32_e32 v105, v105, v106
	v_mul_f32_e32 v106, v162, v232
	v_add_f32_e32 v169, v169, v170
	s_waitcnt vmcnt(9)
	v_mul_f32_e32 v170, v163, v233
	v_fma_f32 v106, v161, v231, -v106
	s_waitcnt vmcnt(8)
	v_fmac_f32_e32 v170, v164, v234
	v_add_f32_e32 v105, v105, v106
	v_mul_f32_e32 v106, v164, v233
	v_add_f32_e32 v243, v169, v170
	ds_read2_b64 v[169:172], v104 offset0:101 offset1:102
	v_fma_f32 v106, v163, v234, -v106
	v_add_f32_e32 v105, v105, v106
	s_waitcnt vmcnt(6) lgkmcnt(1)
	v_mul_f32_e32 v106, v166, v236
	v_mul_f32_e32 v244, v165, v236
	v_fma_f32 v106, v165, v235, -v106
	v_fmac_f32_e32 v244, v166, v235
	v_add_f32_e32 v105, v105, v106
	s_waitcnt vmcnt(4)
	v_mul_f32_e32 v106, v168, v238
	v_add_f32_e32 v104, v243, v244
	v_mul_f32_e32 v243, v167, v238
	v_fma_f32 v106, v167, v237, -v106
	v_fmac_f32_e32 v243, v168, v237
	v_add_f32_e32 v105, v105, v106
	s_waitcnt vmcnt(3) lgkmcnt(0)
	v_mul_f32_e32 v106, v170, v239
	v_add_f32_e32 v104, v104, v243
	v_mul_f32_e32 v243, v169, v239
	s_waitcnt vmcnt(2)
	v_fma_f32 v106, v169, v240, -v106
	v_fmac_f32_e32 v243, v170, v240
	v_add_f32_e32 v105, v105, v106
	s_waitcnt vmcnt(0)
	v_mul_f32_e32 v106, v172, v242
	v_add_f32_e32 v104, v104, v243
	v_mul_f32_e32 v243, v171, v242
	v_fma_f32 v106, v171, v241, -v106
	v_fmac_f32_e32 v243, v172, v241
	v_add_f32_e32 v105, v105, v106
	v_add_f32_e32 v104, v104, v243
	v_sub_f32_e32 v105, v193, v105
	v_sub_f32_e32 v104, v194, v104
	buffer_store_dword v105, off, s[0:3], 0 offset:128
	buffer_store_dword v104, off, s[0:3], 0 offset:132
	s_and_saveexec_b64 s[4:5], vcc
	s_cbranch_execz .LBB50_289
; %bb.288:
	buffer_load_dword v104, off, s[0:3], 0 offset:120
	buffer_load_dword v105, off, s[0:3], 0 offset:124
	v_mov_b32_e32 v106, 0
	buffer_store_dword v106, off, s[0:3], 0 offset:120
	buffer_store_dword v106, off, s[0:3], 0 offset:124
	s_waitcnt vmcnt(2)
	ds_write_b64 v103, v[104:105]
.LBB50_289:
	s_or_b64 exec, exec, s[4:5]
	s_waitcnt lgkmcnt(0)
	; wave barrier
	buffer_load_dword v175, off, s[0:3], 0 offset:132
	buffer_load_dword v176, off, s[0:3], 0 offset:140
	;; [unrolled: 1-line block ×56, first 2 shown]
	v_mov_b32_e32 v104, 0
	ds_read_b128 v[105:108], v104 offset:544
	ds_read_b128 v[109:112], v104 offset:560
	;; [unrolled: 1-line block ×6, first 2 shown]
	buffer_load_dword v231, off, s[0:3], 0 offset:344
	buffer_load_dword v232, off, s[0:3], 0 offset:348
	buffer_load_dword v233, off, s[0:3], 0 offset:352
	buffer_load_dword v234, off, s[0:3], 0 offset:356
	buffer_load_dword v235, off, s[0:3], 0 offset:364
	buffer_load_dword v236, off, s[0:3], 0 offset:360
	buffer_load_dword v237, off, s[0:3], 0 offset:368
	buffer_load_dword v238, off, s[0:3], 0 offset:372
	buffer_load_dword v239, off, s[0:3], 0 offset:376
	buffer_load_dword v240, off, s[0:3], 0 offset:380
	buffer_load_dword v241, off, s[0:3], 0 offset:384
	buffer_load_dword v242, off, s[0:3], 0 offset:388
	v_cmp_lt_u32_e32 vcc, 14, v0
	s_waitcnt vmcnt(62) lgkmcnt(5)
	v_mul_f32_e32 v129, v105, v175
	v_mul_f32_e32 v130, v107, v176
	s_waitcnt lgkmcnt(4)
	v_mul_f32_e32 v131, v109, v177
	v_mul_f32_e32 v132, v111, v178
	s_waitcnt lgkmcnt(3)
	v_mul_f32_e32 v133, v113, v179
	v_mul_f32_e32 v134, v115, v180
	s_waitcnt vmcnt(61) lgkmcnt(2)
	v_mul_f32_e32 v135, v117, v181
	s_waitcnt vmcnt(60)
	v_mul_f32_e32 v136, v119, v182
	s_waitcnt vmcnt(59) lgkmcnt(1)
	v_mul_f32_e32 v137, v121, v183
	s_waitcnt vmcnt(58)
	v_fmac_f32_e32 v129, v106, v184
	s_waitcnt vmcnt(57)
	v_fmac_f32_e32 v130, v108, v185
	v_add_f32_e32 v129, 0, v129
	s_waitcnt vmcnt(56)
	v_fmac_f32_e32 v131, v110, v186
	v_add_f32_e32 v129, v129, v130
	;; [unrolled: 3-line block ×7, first 2 shown]
	v_add_f32_e32 v129, v129, v136
	s_waitcnt vmcnt(50)
	v_fmac_f32_e32 v137, v122, v192
	s_waitcnt vmcnt(49)
	v_mul_f32_e32 v130, v123, v193
	v_add_f32_e32 v129, v129, v137
	s_waitcnt vmcnt(48)
	v_fmac_f32_e32 v130, v124, v194
	v_add_f32_e32 v129, v129, v130
	s_waitcnt vmcnt(47) lgkmcnt(0)
	v_mul_f32_e32 v130, v125, v195
	s_waitcnt vmcnt(44)
	v_fmac_f32_e32 v130, v126, v198
	v_add_f32_e32 v133, v129, v130
	ds_read_b128 v[129:132], v104 offset:640
	buffer_load_dword v243, off, s[0:3], 0 offset:396
	buffer_load_dword v244, off, s[0:3], 0 offset:392
	;; [unrolled: 1-line block ×4, first 2 shown]
	v_mul_f32_e32 v106, v106, v175
	v_fma_f32 v105, v105, v184, -v106
	v_mul_f32_e32 v106, v108, v176
	v_add_f32_e32 v105, 0, v105
	v_fma_f32 v106, v107, v185, -v106
	v_add_f32_e32 v105, v105, v106
	v_mul_f32_e32 v106, v110, v177
	v_fma_f32 v106, v109, v186, -v106
	s_waitcnt vmcnt(46)
	v_mul_f32_e32 v134, v127, v200
	v_add_f32_e32 v105, v105, v106
	v_mul_f32_e32 v106, v112, v178
	v_fmac_f32_e32 v134, v128, v199
	v_fma_f32 v106, v111, v187, -v106
	v_add_f32_e32 v137, v133, v134
	ds_read_b128 v[133:136], v104 offset:656
	v_add_f32_e32 v105, v105, v106
	v_mul_f32_e32 v106, v114, v179
	s_waitcnt vmcnt(44) lgkmcnt(1)
	v_mul_f32_e32 v138, v129, v202
	v_fma_f32 v106, v113, v188, -v106
	v_fmac_f32_e32 v138, v130, v201
	v_add_f32_e32 v105, v105, v106
	v_mul_f32_e32 v106, v116, v180
	v_add_f32_e32 v137, v137, v138
	s_waitcnt vmcnt(42)
	v_mul_f32_e32 v138, v131, v204
	v_fma_f32 v106, v115, v189, -v106
	v_fmac_f32_e32 v138, v132, v203
	v_add_f32_e32 v105, v105, v106
	v_mul_f32_e32 v106, v118, v181
	v_add_f32_e32 v137, v137, v138
	s_waitcnt vmcnt(40) lgkmcnt(0)
	v_mul_f32_e32 v138, v133, v206
	v_fma_f32 v106, v117, v190, -v106
	v_fmac_f32_e32 v138, v134, v205
	v_add_f32_e32 v105, v105, v106
	v_mul_f32_e32 v106, v120, v182
	v_add_f32_e32 v141, v137, v138
	ds_read_b128 v[137:140], v104 offset:672
	v_fma_f32 v106, v119, v191, -v106
	v_add_f32_e32 v105, v105, v106
	v_mul_f32_e32 v106, v122, v183
	s_waitcnt vmcnt(38)
	v_mul_f32_e32 v142, v135, v208
	v_fma_f32 v106, v121, v192, -v106
	v_fmac_f32_e32 v142, v136, v207
	v_add_f32_e32 v105, v105, v106
	v_mul_f32_e32 v106, v124, v193
	v_add_f32_e32 v145, v141, v142
	ds_read_b128 v[141:144], v104 offset:688
	v_fma_f32 v106, v123, v194, -v106
	s_waitcnt vmcnt(36) lgkmcnt(1)
	v_mul_f32_e32 v146, v137, v210
	v_add_f32_e32 v105, v105, v106
	v_mul_f32_e32 v106, v126, v195
	v_fmac_f32_e32 v146, v138, v209
	v_fma_f32 v106, v125, v198, -v106
	v_add_f32_e32 v145, v145, v146
	s_waitcnt vmcnt(34)
	v_mul_f32_e32 v146, v139, v212
	v_add_f32_e32 v105, v105, v106
	v_mul_f32_e32 v106, v128, v200
	v_fmac_f32_e32 v146, v140, v211
	v_fma_f32 v106, v127, v199, -v106
	v_add_f32_e32 v145, v145, v146
	s_waitcnt vmcnt(32) lgkmcnt(0)
	v_mul_f32_e32 v146, v141, v214
	v_add_f32_e32 v105, v105, v106
	v_mul_f32_e32 v106, v130, v202
	v_fmac_f32_e32 v146, v142, v213
	v_fma_f32 v106, v129, v201, -v106
	v_add_f32_e32 v149, v145, v146
	ds_read_b128 v[145:148], v104 offset:704
	v_add_f32_e32 v105, v105, v106
	v_mul_f32_e32 v106, v132, v204
	v_fma_f32 v106, v131, v203, -v106
	s_waitcnt vmcnt(30)
	v_mul_f32_e32 v150, v143, v216
	v_add_f32_e32 v105, v105, v106
	v_mul_f32_e32 v106, v134, v206
	v_fmac_f32_e32 v150, v144, v215
	v_fma_f32 v106, v133, v205, -v106
	v_add_f32_e32 v153, v149, v150
	ds_read_b128 v[149:152], v104 offset:720
	v_add_f32_e32 v105, v105, v106
	v_mul_f32_e32 v106, v136, v208
	s_waitcnt vmcnt(28) lgkmcnt(1)
	v_mul_f32_e32 v154, v145, v218
	v_fma_f32 v106, v135, v207, -v106
	v_fmac_f32_e32 v154, v146, v217
	v_add_f32_e32 v105, v105, v106
	v_mul_f32_e32 v106, v138, v210
	v_add_f32_e32 v153, v153, v154
	s_waitcnt vmcnt(26)
	v_mul_f32_e32 v154, v147, v220
	v_fma_f32 v106, v137, v209, -v106
	v_fmac_f32_e32 v154, v148, v219
	v_add_f32_e32 v105, v105, v106
	v_mul_f32_e32 v106, v140, v212
	v_add_f32_e32 v153, v153, v154
	s_waitcnt vmcnt(24) lgkmcnt(0)
	v_mul_f32_e32 v154, v149, v222
	v_fma_f32 v106, v139, v211, -v106
	v_fmac_f32_e32 v154, v150, v221
	v_add_f32_e32 v105, v105, v106
	v_mul_f32_e32 v106, v142, v214
	v_add_f32_e32 v157, v153, v154
	ds_read_b128 v[153:156], v104 offset:736
	v_fma_f32 v106, v141, v213, -v106
	v_add_f32_e32 v105, v105, v106
	v_mul_f32_e32 v106, v144, v216
	s_waitcnt vmcnt(22)
	v_mul_f32_e32 v158, v151, v224
	v_fma_f32 v106, v143, v215, -v106
	v_fmac_f32_e32 v158, v152, v223
	v_add_f32_e32 v105, v105, v106
	v_mul_f32_e32 v106, v146, v218
	v_add_f32_e32 v161, v157, v158
	ds_read_b128 v[157:160], v104 offset:752
	v_fma_f32 v106, v145, v217, -v106
	s_waitcnt vmcnt(20) lgkmcnt(1)
	v_mul_f32_e32 v162, v153, v226
	v_add_f32_e32 v105, v105, v106
	v_mul_f32_e32 v106, v148, v220
	v_fmac_f32_e32 v162, v154, v225
	v_fma_f32 v106, v147, v219, -v106
	v_add_f32_e32 v161, v161, v162
	s_waitcnt vmcnt(18)
	v_mul_f32_e32 v162, v155, v228
	v_add_f32_e32 v105, v105, v106
	v_mul_f32_e32 v106, v150, v222
	v_fmac_f32_e32 v162, v156, v227
	v_fma_f32 v106, v149, v221, -v106
	v_add_f32_e32 v161, v161, v162
	s_waitcnt vmcnt(16) lgkmcnt(0)
	v_mul_f32_e32 v162, v157, v230
	v_add_f32_e32 v105, v105, v106
	v_mul_f32_e32 v106, v152, v224
	v_fmac_f32_e32 v162, v158, v229
	v_fma_f32 v106, v151, v223, -v106
	v_add_f32_e32 v165, v161, v162
	ds_read_b128 v[161:164], v104 offset:768
	v_add_f32_e32 v105, v105, v106
	v_mul_f32_e32 v106, v154, v226
	v_fma_f32 v106, v153, v225, -v106
	s_waitcnt vmcnt(14)
	v_mul_f32_e32 v166, v159, v232
	v_add_f32_e32 v105, v105, v106
	v_mul_f32_e32 v106, v156, v228
	v_fmac_f32_e32 v166, v160, v231
	v_fma_f32 v106, v155, v227, -v106
	v_add_f32_e32 v169, v165, v166
	ds_read_b128 v[165:168], v104 offset:784
	v_add_f32_e32 v105, v105, v106
	v_mul_f32_e32 v106, v158, v230
	s_waitcnt vmcnt(12) lgkmcnt(1)
	v_mul_f32_e32 v170, v161, v234
	v_fma_f32 v106, v157, v229, -v106
	v_fmac_f32_e32 v170, v162, v233
	v_add_f32_e32 v105, v105, v106
	v_mul_f32_e32 v106, v160, v232
	v_add_f32_e32 v169, v169, v170
	s_waitcnt vmcnt(11)
	v_mul_f32_e32 v170, v163, v235
	v_fma_f32 v106, v159, v231, -v106
	s_waitcnt vmcnt(10)
	v_fmac_f32_e32 v170, v164, v236
	v_add_f32_e32 v105, v105, v106
	v_mul_f32_e32 v106, v162, v234
	v_add_f32_e32 v169, v169, v170
	s_waitcnt vmcnt(8) lgkmcnt(0)
	v_mul_f32_e32 v170, v165, v238
	v_fma_f32 v106, v161, v233, -v106
	v_fmac_f32_e32 v170, v166, v237
	v_add_f32_e32 v105, v105, v106
	v_mul_f32_e32 v106, v164, v235
	v_add_f32_e32 v173, v169, v170
	ds_read_b128 v[169:172], v104 offset:800
	v_fma_f32 v106, v163, v236, -v106
	v_add_f32_e32 v105, v105, v106
	v_mul_f32_e32 v106, v166, v238
	s_waitcnt vmcnt(6)
	v_mul_f32_e32 v174, v167, v240
	v_fma_f32 v106, v165, v237, -v106
	v_fmac_f32_e32 v174, v168, v239
	v_add_f32_e32 v105, v105, v106
	v_mul_f32_e32 v106, v168, v240
	v_add_f32_e32 v247, v173, v174
	ds_read_b64 v[173:174], v104 offset:816
	v_fma_f32 v106, v167, v239, -v106
	v_add_f32_e32 v105, v105, v106
	s_waitcnt vmcnt(4) lgkmcnt(1)
	v_mul_f32_e32 v106, v170, v242
	v_mul_f32_e32 v248, v169, v242
	v_fma_f32 v106, v169, v241, -v106
	v_fmac_f32_e32 v248, v170, v241
	v_add_f32_e32 v105, v105, v106
	s_waitcnt vmcnt(3)
	v_mul_f32_e32 v106, v172, v243
	v_add_f32_e32 v247, v247, v248
	v_mul_f32_e32 v248, v171, v243
	s_waitcnt vmcnt(2)
	v_fma_f32 v106, v171, v244, -v106
	v_fmac_f32_e32 v248, v172, v244
	v_add_f32_e32 v105, v105, v106
	s_waitcnt vmcnt(0) lgkmcnt(0)
	v_mul_f32_e32 v106, v174, v246
	v_add_f32_e32 v247, v247, v248
	v_mul_f32_e32 v248, v173, v246
	v_fma_f32 v106, v173, v245, -v106
	v_fmac_f32_e32 v248, v174, v245
	v_add_f32_e32 v105, v105, v106
	v_add_f32_e32 v247, v247, v248
	v_sub_f32_e32 v105, v196, v105
	v_sub_f32_e32 v106, v197, v247
	buffer_store_dword v105, off, s[0:3], 0 offset:120
	buffer_store_dword v106, off, s[0:3], 0 offset:124
	s_and_saveexec_b64 s[4:5], vcc
	s_cbranch_execz .LBB50_291
; %bb.290:
	buffer_load_dword v105, off, s[0:3], 0 offset:112
	buffer_load_dword v106, off, s[0:3], 0 offset:116
	s_waitcnt vmcnt(0)
	ds_write_b64 v103, v[105:106]
	buffer_store_dword v104, off, s[0:3], 0 offset:112
	buffer_store_dword v104, off, s[0:3], 0 offset:116
.LBB50_291:
	s_or_b64 exec, exec, s[4:5]
	s_waitcnt lgkmcnt(0)
	; wave barrier
	buffer_load_dword v177, off, s[0:3], 0 offset:124
	buffer_load_dword v178, off, s[0:3], 0 offset:132
	;; [unrolled: 1-line block ×26, first 2 shown]
	ds_read2_b64 v[105:108], v104 offset0:67 offset1:68
	ds_read2_b64 v[109:112], v104 offset0:69 offset1:70
	;; [unrolled: 1-line block ×6, first 2 shown]
	buffer_load_dword v203, off, s[0:3], 0 offset:216
	buffer_load_dword v204, off, s[0:3], 0 offset:220
	;; [unrolled: 1-line block ×42, first 2 shown]
	v_cmp_lt_u32_e32 vcc, 13, v0
	s_waitcnt vmcnt(62) lgkmcnt(5)
	v_mul_f32_e32 v129, v105, v177
	v_mul_f32_e32 v130, v107, v178
	s_waitcnt lgkmcnt(4)
	v_mul_f32_e32 v131, v109, v179
	v_mul_f32_e32 v132, v111, v180
	s_waitcnt lgkmcnt(3)
	v_mul_f32_e32 v133, v113, v181
	v_mul_f32_e32 v134, v115, v182
	s_waitcnt vmcnt(61) lgkmcnt(2)
	v_mul_f32_e32 v135, v117, v183
	s_waitcnt vmcnt(60)
	v_mul_f32_e32 v136, v119, v184
	s_waitcnt vmcnt(59) lgkmcnt(1)
	v_mul_f32_e32 v137, v121, v185
	s_waitcnt vmcnt(58)
	v_fmac_f32_e32 v129, v106, v186
	s_waitcnt vmcnt(57)
	v_fmac_f32_e32 v130, v108, v187
	v_add_f32_e32 v129, 0, v129
	s_waitcnt vmcnt(56)
	v_fmac_f32_e32 v131, v110, v188
	v_add_f32_e32 v129, v129, v130
	;; [unrolled: 3-line block ×8, first 2 shown]
	s_waitcnt vmcnt(49)
	v_mul_f32_e32 v130, v123, v195
	v_add_f32_e32 v129, v129, v137
	s_waitcnt vmcnt(48)
	v_fmac_f32_e32 v130, v124, v196
	v_add_f32_e32 v129, v129, v130
	s_waitcnt vmcnt(47) lgkmcnt(0)
	v_mul_f32_e32 v130, v125, v197
	s_waitcnt vmcnt(46)
	v_fmac_f32_e32 v130, v126, v198
	v_add_f32_e32 v129, v129, v130
	s_waitcnt vmcnt(42)
	v_mul_f32_e32 v130, v127, v202
	v_fmac_f32_e32 v130, v128, v201
	v_add_f32_e32 v137, v129, v130
	ds_read2_b64 v[129:132], v104 offset0:79 offset1:80
	buffer_load_dword v245, off, s[0:3], 0 offset:388
	buffer_load_dword v246, off, s[0:3], 0 offset:384
	;; [unrolled: 1-line block ×4, first 2 shown]
	ds_read2_b64 v[133:136], v104 offset0:81 offset1:82
	buffer_load_dword v249, off, s[0:3], 0 offset:400
	buffer_load_dword v250, off, s[0:3], 0 offset:404
	v_mul_f32_e32 v106, v106, v177
	v_fma_f32 v105, v105, v186, -v106
	v_mul_f32_e32 v106, v108, v178
	v_add_f32_e32 v105, 0, v105
	v_fma_f32 v106, v107, v187, -v106
	v_add_f32_e32 v105, v105, v106
	v_mul_f32_e32 v106, v110, v179
	v_fma_f32 v106, v109, v188, -v106
	v_add_f32_e32 v105, v105, v106
	v_mul_f32_e32 v106, v112, v180
	;; [unrolled: 3-line block ×3, first 2 shown]
	s_waitcnt vmcnt(46) lgkmcnt(1)
	v_mul_f32_e32 v138, v129, v204
	v_fma_f32 v106, v113, v190, -v106
	v_fmac_f32_e32 v138, v130, v203
	v_add_f32_e32 v105, v105, v106
	v_mul_f32_e32 v106, v116, v182
	v_add_f32_e32 v137, v137, v138
	s_waitcnt vmcnt(44)
	v_mul_f32_e32 v138, v131, v206
	v_fma_f32 v106, v115, v191, -v106
	v_fmac_f32_e32 v138, v132, v205
	v_add_f32_e32 v105, v105, v106
	v_mul_f32_e32 v106, v118, v183
	v_add_f32_e32 v137, v137, v138
	s_waitcnt vmcnt(42) lgkmcnt(0)
	v_mul_f32_e32 v138, v133, v208
	v_fma_f32 v106, v117, v192, -v106
	v_fmac_f32_e32 v138, v134, v207
	v_add_f32_e32 v105, v105, v106
	v_mul_f32_e32 v106, v120, v184
	v_add_f32_e32 v141, v137, v138
	ds_read2_b64 v[137:140], v104 offset0:83 offset1:84
	v_fma_f32 v106, v119, v193, -v106
	v_add_f32_e32 v105, v105, v106
	v_mul_f32_e32 v106, v122, v185
	s_waitcnt vmcnt(40)
	v_mul_f32_e32 v142, v135, v210
	v_fma_f32 v106, v121, v194, -v106
	v_fmac_f32_e32 v142, v136, v209
	v_add_f32_e32 v105, v105, v106
	v_mul_f32_e32 v106, v124, v195
	v_add_f32_e32 v145, v141, v142
	ds_read2_b64 v[141:144], v104 offset0:85 offset1:86
	v_fma_f32 v106, v123, v196, -v106
	s_waitcnt vmcnt(38) lgkmcnt(1)
	v_mul_f32_e32 v146, v137, v212
	v_add_f32_e32 v105, v105, v106
	v_mul_f32_e32 v106, v126, v197
	v_fmac_f32_e32 v146, v138, v211
	v_fma_f32 v106, v125, v198, -v106
	v_add_f32_e32 v145, v145, v146
	s_waitcnt vmcnt(36)
	v_mul_f32_e32 v146, v139, v214
	v_add_f32_e32 v105, v105, v106
	v_mul_f32_e32 v106, v128, v202
	v_fmac_f32_e32 v146, v140, v213
	v_fma_f32 v106, v127, v201, -v106
	v_add_f32_e32 v145, v145, v146
	s_waitcnt vmcnt(34) lgkmcnt(0)
	v_mul_f32_e32 v146, v141, v216
	v_add_f32_e32 v105, v105, v106
	v_mul_f32_e32 v106, v130, v204
	v_fmac_f32_e32 v146, v142, v215
	v_fma_f32 v106, v129, v203, -v106
	v_add_f32_e32 v149, v145, v146
	ds_read2_b64 v[145:148], v104 offset0:87 offset1:88
	v_add_f32_e32 v105, v105, v106
	v_mul_f32_e32 v106, v132, v206
	v_fma_f32 v106, v131, v205, -v106
	s_waitcnt vmcnt(32)
	v_mul_f32_e32 v150, v143, v218
	v_add_f32_e32 v105, v105, v106
	v_mul_f32_e32 v106, v134, v208
	v_fmac_f32_e32 v150, v144, v217
	v_fma_f32 v106, v133, v207, -v106
	v_add_f32_e32 v153, v149, v150
	ds_read2_b64 v[149:152], v104 offset0:89 offset1:90
	v_add_f32_e32 v105, v105, v106
	v_mul_f32_e32 v106, v136, v210
	s_waitcnt vmcnt(30) lgkmcnt(1)
	v_mul_f32_e32 v154, v145, v220
	v_fma_f32 v106, v135, v209, -v106
	v_fmac_f32_e32 v154, v146, v219
	v_add_f32_e32 v105, v105, v106
	v_mul_f32_e32 v106, v138, v212
	v_add_f32_e32 v153, v153, v154
	s_waitcnt vmcnt(28)
	v_mul_f32_e32 v154, v147, v222
	v_fma_f32 v106, v137, v211, -v106
	v_fmac_f32_e32 v154, v148, v221
	v_add_f32_e32 v105, v105, v106
	v_mul_f32_e32 v106, v140, v214
	v_add_f32_e32 v153, v153, v154
	s_waitcnt vmcnt(26) lgkmcnt(0)
	v_mul_f32_e32 v154, v149, v224
	v_fma_f32 v106, v139, v213, -v106
	v_fmac_f32_e32 v154, v150, v223
	v_add_f32_e32 v105, v105, v106
	v_mul_f32_e32 v106, v142, v216
	v_add_f32_e32 v157, v153, v154
	ds_read2_b64 v[153:156], v104 offset0:91 offset1:92
	v_fma_f32 v106, v141, v215, -v106
	v_add_f32_e32 v105, v105, v106
	v_mul_f32_e32 v106, v144, v218
	s_waitcnt vmcnt(24)
	v_mul_f32_e32 v158, v151, v226
	v_fma_f32 v106, v143, v217, -v106
	v_fmac_f32_e32 v158, v152, v225
	v_add_f32_e32 v105, v105, v106
	v_mul_f32_e32 v106, v146, v220
	v_add_f32_e32 v161, v157, v158
	ds_read2_b64 v[157:160], v104 offset0:93 offset1:94
	v_fma_f32 v106, v145, v219, -v106
	s_waitcnt vmcnt(22) lgkmcnt(1)
	v_mul_f32_e32 v162, v153, v228
	v_add_f32_e32 v105, v105, v106
	v_mul_f32_e32 v106, v148, v222
	v_fmac_f32_e32 v162, v154, v227
	v_fma_f32 v106, v147, v221, -v106
	v_add_f32_e32 v161, v161, v162
	s_waitcnt vmcnt(20)
	v_mul_f32_e32 v162, v155, v230
	v_add_f32_e32 v105, v105, v106
	v_mul_f32_e32 v106, v150, v224
	v_fmac_f32_e32 v162, v156, v229
	v_fma_f32 v106, v149, v223, -v106
	v_add_f32_e32 v161, v161, v162
	s_waitcnt vmcnt(18) lgkmcnt(0)
	v_mul_f32_e32 v162, v157, v232
	v_add_f32_e32 v105, v105, v106
	v_mul_f32_e32 v106, v152, v226
	v_fmac_f32_e32 v162, v158, v231
	v_fma_f32 v106, v151, v225, -v106
	v_add_f32_e32 v165, v161, v162
	ds_read2_b64 v[161:164], v104 offset0:95 offset1:96
	v_add_f32_e32 v105, v105, v106
	v_mul_f32_e32 v106, v154, v228
	v_fma_f32 v106, v153, v227, -v106
	s_waitcnt vmcnt(16)
	v_mul_f32_e32 v166, v159, v234
	v_add_f32_e32 v105, v105, v106
	v_mul_f32_e32 v106, v156, v230
	v_fmac_f32_e32 v166, v160, v233
	v_fma_f32 v106, v155, v229, -v106
	v_add_f32_e32 v169, v165, v166
	ds_read2_b64 v[165:168], v104 offset0:97 offset1:98
	v_add_f32_e32 v105, v105, v106
	v_mul_f32_e32 v106, v158, v232
	s_waitcnt vmcnt(14) lgkmcnt(1)
	v_mul_f32_e32 v170, v161, v236
	v_fma_f32 v106, v157, v231, -v106
	v_fmac_f32_e32 v170, v162, v235
	v_add_f32_e32 v105, v105, v106
	v_mul_f32_e32 v106, v160, v234
	v_add_f32_e32 v169, v169, v170
	s_waitcnt vmcnt(13)
	v_mul_f32_e32 v170, v163, v237
	v_fma_f32 v106, v159, v233, -v106
	s_waitcnt vmcnt(12)
	v_fmac_f32_e32 v170, v164, v238
	v_add_f32_e32 v105, v105, v106
	v_mul_f32_e32 v106, v162, v236
	v_add_f32_e32 v169, v169, v170
	s_waitcnt vmcnt(10) lgkmcnt(0)
	v_mul_f32_e32 v170, v165, v240
	v_fma_f32 v106, v161, v235, -v106
	v_fmac_f32_e32 v170, v166, v239
	v_add_f32_e32 v105, v105, v106
	v_mul_f32_e32 v106, v164, v237
	v_add_f32_e32 v173, v169, v170
	ds_read2_b64 v[169:172], v104 offset0:99 offset1:100
	v_fma_f32 v106, v163, v238, -v106
	v_add_f32_e32 v105, v105, v106
	v_mul_f32_e32 v106, v166, v240
	s_waitcnt vmcnt(8)
	v_mul_f32_e32 v174, v167, v242
	v_fma_f32 v106, v165, v239, -v106
	v_fmac_f32_e32 v174, v168, v241
	v_add_f32_e32 v105, v105, v106
	v_mul_f32_e32 v106, v168, v242
	v_add_f32_e32 v251, v173, v174
	ds_read2_b64 v[173:176], v104 offset0:101 offset1:102
	v_fma_f32 v106, v167, v241, -v106
	v_add_f32_e32 v105, v105, v106
	s_waitcnt vmcnt(6) lgkmcnt(1)
	v_mul_f32_e32 v106, v170, v244
	v_mul_f32_e32 v104, v169, v244
	v_fma_f32 v106, v169, v243, -v106
	v_fmac_f32_e32 v104, v170, v243
	v_add_f32_e32 v105, v105, v106
	s_waitcnt vmcnt(5)
	v_mul_f32_e32 v106, v172, v245
	v_add_f32_e32 v104, v251, v104
	v_mul_f32_e32 v251, v171, v245
	s_waitcnt vmcnt(4)
	v_fma_f32 v106, v171, v246, -v106
	v_fmac_f32_e32 v251, v172, v246
	v_add_f32_e32 v105, v105, v106
	s_waitcnt vmcnt(2) lgkmcnt(0)
	v_mul_f32_e32 v106, v174, v248
	v_add_f32_e32 v104, v104, v251
	v_mul_f32_e32 v251, v173, v248
	v_fma_f32 v106, v173, v247, -v106
	v_fmac_f32_e32 v251, v174, v247
	v_add_f32_e32 v105, v105, v106
	s_waitcnt vmcnt(0)
	v_mul_f32_e32 v106, v176, v250
	v_add_f32_e32 v104, v104, v251
	v_mul_f32_e32 v251, v175, v250
	v_fma_f32 v106, v175, v249, -v106
	v_fmac_f32_e32 v251, v176, v249
	v_add_f32_e32 v105, v105, v106
	v_add_f32_e32 v104, v104, v251
	v_sub_f32_e32 v105, v199, v105
	v_sub_f32_e32 v104, v200, v104
	buffer_store_dword v105, off, s[0:3], 0 offset:112
	buffer_store_dword v104, off, s[0:3], 0 offset:116
	s_and_saveexec_b64 s[4:5], vcc
	s_cbranch_execz .LBB50_293
; %bb.292:
	buffer_load_dword v104, off, s[0:3], 0 offset:104
	buffer_load_dword v105, off, s[0:3], 0 offset:108
	v_mov_b32_e32 v106, 0
	buffer_store_dword v106, off, s[0:3], 0 offset:104
	buffer_store_dword v106, off, s[0:3], 0 offset:108
	s_waitcnt vmcnt(2)
	ds_write_b64 v103, v[104:105]
.LBB50_293:
	s_or_b64 exec, exec, s[4:5]
	s_waitcnt lgkmcnt(0)
	; wave barrier
	buffer_load_dword v179, off, s[0:3], 0 offset:116
	buffer_load_dword v180, off, s[0:3], 0 offset:124
	;; [unrolled: 1-line block ×50, first 2 shown]
	v_mov_b32_e32 v104, 0
	ds_read_b128 v[105:108], v104 offset:528
	ds_read_b128 v[109:112], v104 offset:544
	;; [unrolled: 1-line block ×6, first 2 shown]
	buffer_load_dword v229, off, s[0:3], 0 offset:304
	buffer_load_dword v230, off, s[0:3], 0 offset:308
	;; [unrolled: 1-line block ×16, first 2 shown]
	v_cmp_lt_u32_e32 vcc, 12, v0
	s_waitcnt vmcnt(62) lgkmcnt(5)
	v_mul_f32_e32 v129, v105, v179
	v_mul_f32_e32 v130, v107, v180
	s_waitcnt lgkmcnt(4)
	v_mul_f32_e32 v131, v109, v181
	v_mul_f32_e32 v132, v111, v182
	s_waitcnt vmcnt(61) lgkmcnt(3)
	v_mul_f32_e32 v133, v113, v183
	s_waitcnt vmcnt(60)
	v_mul_f32_e32 v134, v115, v184
	s_waitcnt vmcnt(59) lgkmcnt(2)
	v_mul_f32_e32 v135, v117, v185
	s_waitcnt vmcnt(58)
	;; [unrolled: 4-line block ×3, first 2 shown]
	v_fmac_f32_e32 v131, v110, v188
	s_waitcnt vmcnt(55)
	v_fmac_f32_e32 v130, v108, v189
	s_waitcnt vmcnt(54)
	v_fmac_f32_e32 v129, v106, v190
	v_add_f32_e32 v129, 0, v129
	v_add_f32_e32 v129, v129, v130
	;; [unrolled: 1-line block ×3, first 2 shown]
	s_waitcnt vmcnt(50)
	v_fmac_f32_e32 v132, v112, v194
	v_fmac_f32_e32 v133, v114, v193
	v_add_f32_e32 v129, v129, v132
	v_fmac_f32_e32 v134, v116, v192
	v_add_f32_e32 v129, v129, v133
	;; [unrolled: 2-line block ×3, first 2 shown]
	s_waitcnt vmcnt(46)
	v_fmac_f32_e32 v136, v120, v198
	v_add_f32_e32 v129, v129, v135
	v_fmac_f32_e32 v137, v122, v197
	v_add_f32_e32 v129, v129, v136
	s_waitcnt vmcnt(45)
	v_mul_f32_e32 v130, v123, v199
	v_add_f32_e32 v129, v129, v137
	v_fmac_f32_e32 v130, v124, v196
	v_add_f32_e32 v129, v129, v130
	s_waitcnt vmcnt(44) lgkmcnt(0)
	v_mul_f32_e32 v130, v125, v200
	v_fmac_f32_e32 v130, v126, v195
	v_add_f32_e32 v133, v129, v130
	ds_read_b128 v[129:132], v104 offset:624
	buffer_load_dword v245, off, s[0:3], 0 offset:368
	buffer_load_dword v246, off, s[0:3], 0 offset:372
	;; [unrolled: 1-line block ×6, first 2 shown]
	s_waitcnt vmcnt(49)
	v_mul_f32_e32 v134, v127, v201
	s_waitcnt vmcnt(42)
	v_fmac_f32_e32 v134, v128, v208
	v_add_f32_e32 v137, v133, v134
	ds_read_b128 v[133:136], v104 offset:640
	buffer_load_dword v251, off, s[0:3], 0 offset:396
	buffer_load_dword v252, off, s[0:3], 0 offset:400
	;; [unrolled: 1-line block ×4, first 2 shown]
	s_waitcnt lgkmcnt(1)
	v_mul_f32_e32 v138, v129, v203
	v_fmac_f32_e32 v138, v130, v202
	v_add_f32_e32 v137, v137, v138
	v_mul_f32_e32 v138, v131, v205
	v_fmac_f32_e32 v138, v132, v204
	v_add_f32_e32 v137, v137, v138
	s_waitcnt lgkmcnt(0)
	v_mul_f32_e32 v138, v133, v207
	v_fmac_f32_e32 v138, v134, v206
	v_add_f32_e32 v141, v137, v138
	ds_read_b128 v[137:140], v104 offset:656
	s_waitcnt vmcnt(42)
	v_mul_f32_e32 v142, v135, v212
	v_fmac_f32_e32 v142, v136, v211
	v_add_f32_e32 v145, v141, v142
	ds_read_b128 v[141:144], v104 offset:672
	s_waitcnt vmcnt(40) lgkmcnt(1)
	v_mul_f32_e32 v146, v137, v214
	v_fmac_f32_e32 v146, v138, v213
	v_add_f32_e32 v145, v145, v146
	s_waitcnt vmcnt(38)
	v_mul_f32_e32 v146, v139, v216
	v_fmac_f32_e32 v146, v140, v215
	v_add_f32_e32 v145, v145, v146
	s_waitcnt vmcnt(36) lgkmcnt(0)
	v_mul_f32_e32 v146, v141, v218
	v_fmac_f32_e32 v146, v142, v217
	v_add_f32_e32 v149, v145, v146
	ds_read_b128 v[145:148], v104 offset:688
	s_waitcnt vmcnt(34)
	v_mul_f32_e32 v150, v143, v220
	v_fmac_f32_e32 v150, v144, v219
	v_add_f32_e32 v153, v149, v150
	ds_read_b128 v[149:152], v104 offset:704
	s_waitcnt vmcnt(32) lgkmcnt(1)
	v_mul_f32_e32 v154, v145, v222
	v_fmac_f32_e32 v154, v146, v221
	v_add_f32_e32 v153, v153, v154
	s_waitcnt vmcnt(30)
	v_mul_f32_e32 v154, v147, v224
	v_fmac_f32_e32 v154, v148, v223
	v_add_f32_e32 v153, v153, v154
	s_waitcnt vmcnt(28) lgkmcnt(0)
	v_mul_f32_e32 v154, v149, v226
	v_fmac_f32_e32 v154, v150, v225
	v_add_f32_e32 v157, v153, v154
	ds_read_b128 v[153:156], v104 offset:720
	s_waitcnt vmcnt(26)
	v_mul_f32_e32 v158, v151, v228
	v_fmac_f32_e32 v158, v152, v227
	v_add_f32_e32 v161, v157, v158
	ds_read_b128 v[157:160], v104 offset:736
	s_waitcnt vmcnt(24) lgkmcnt(1)
	v_mul_f32_e32 v162, v153, v230
	v_fmac_f32_e32 v162, v154, v229
	v_add_f32_e32 v161, v161, v162
	s_waitcnt vmcnt(23)
	v_mul_f32_e32 v162, v155, v231
	s_waitcnt vmcnt(20)
	v_fmac_f32_e32 v162, v156, v234
	v_add_f32_e32 v161, v161, v162
	s_waitcnt lgkmcnt(0)
	v_mul_f32_e32 v162, v157, v233
	v_fmac_f32_e32 v162, v158, v232
	v_add_f32_e32 v165, v161, v162
	ds_read_b128 v[161:164], v104 offset:752
	s_waitcnt vmcnt(18)
	v_mul_f32_e32 v166, v159, v236
	v_fmac_f32_e32 v166, v160, v235
	v_add_f32_e32 v169, v165, v166
	ds_read_b128 v[165:168], v104 offset:768
	s_waitcnt vmcnt(16) lgkmcnt(1)
	v_mul_f32_e32 v170, v161, v238
	v_fmac_f32_e32 v170, v162, v237
	v_add_f32_e32 v169, v169, v170
	s_waitcnt vmcnt(15)
	v_mul_f32_e32 v170, v163, v239
	s_waitcnt vmcnt(12)
	v_fmac_f32_e32 v170, v164, v242
	v_add_f32_e32 v169, v169, v170
	s_waitcnt lgkmcnt(0)
	v_mul_f32_e32 v170, v165, v241
	v_fmac_f32_e32 v170, v166, v240
	v_add_f32_e32 v173, v169, v170
	ds_read_b128 v[169:172], v104 offset:784
	s_waitcnt vmcnt(10)
	v_mul_f32_e32 v174, v167, v244
	v_fmac_f32_e32 v174, v168, v243
	v_add_f32_e32 v177, v173, v174
	ds_read_b128 v[173:176], v104 offset:800
	s_waitcnt vmcnt(8) lgkmcnt(1)
	v_mul_f32_e32 v178, v169, v246
	v_fmac_f32_e32 v178, v170, v245
	v_add_f32_e32 v177, v177, v178
	s_waitcnt vmcnt(7)
	v_mul_f32_e32 v178, v171, v247
	s_waitcnt vmcnt(4)
	v_fmac_f32_e32 v178, v172, v250
	v_add_f32_e32 v255, v177, v178
	ds_read_b64 v[177:178], v104 offset:816
	s_waitcnt lgkmcnt(1)
	v_mul_f32_e32 v1, v173, v249
	v_fmac_f32_e32 v1, v174, v248
	s_waitcnt vmcnt(3)
	v_mul_f32_e32 v2, v175, v251
	v_add_f32_e32 v1, v255, v1
	s_waitcnt vmcnt(0)
	v_fmac_f32_e32 v2, v176, v254
	v_add_f32_e32 v1, v1, v2
	s_waitcnt lgkmcnt(0)
	v_mul_f32_e32 v2, v177, v253
	v_fmac_f32_e32 v2, v178, v252
	v_add_f32_e32 v1, v1, v2
	v_mul_f32_e32 v2, v106, v179
	v_fma_f32 v2, v105, v190, -v2
	v_mul_f32_e32 v105, v108, v180
	v_add_f32_e32 v2, 0, v2
	v_fma_f32 v105, v107, v189, -v105
	v_add_f32_e32 v2, v2, v105
	v_mul_f32_e32 v105, v110, v181
	v_fma_f32 v105, v109, v188, -v105
	v_add_f32_e32 v2, v2, v105
	v_mul_f32_e32 v105, v112, v182
	;; [unrolled: 3-line block ×35, first 2 shown]
	v_fma_f32 v105, v177, v252, -v105
	v_add_f32_e32 v2, v2, v105
	v_sub_f32_e32 v2, v209, v2
	v_sub_f32_e32 v1, v210, v1
	buffer_store_dword v2, off, s[0:3], 0 offset:104
	buffer_store_dword v1, off, s[0:3], 0 offset:108
	s_and_saveexec_b64 s[4:5], vcc
	s_cbranch_execz .LBB50_295
; %bb.294:
	buffer_load_dword v105, off, s[0:3], 0 offset:96
	buffer_load_dword v106, off, s[0:3], 0 offset:100
	s_waitcnt vmcnt(0)
	ds_write_b64 v103, v[105:106]
	buffer_store_dword v104, off, s[0:3], 0 offset:96
	buffer_store_dword v104, off, s[0:3], 0 offset:100
.LBB50_295:
	s_or_b64 exec, exec, s[4:5]
	s_waitcnt lgkmcnt(0)
	; wave barrier
	buffer_load_dword v1, off, s[0:3], 0 offset:108
	buffer_load_dword v2, off, s[0:3], 0 offset:116
	;; [unrolled: 1-line block ×32, first 2 shown]
	ds_read2_b64 v[105:108], v104 offset0:65 offset1:66
	ds_read2_b64 v[109:112], v104 offset0:67 offset1:68
	;; [unrolled: 1-line block ×6, first 2 shown]
	buffer_load_dword v211, off, s[0:3], 0 offset:224
	buffer_load_dword v212, off, s[0:3], 0 offset:228
	;; [unrolled: 1-line block ×32, first 2 shown]
	v_cmp_lt_u32_e32 vcc, 11, v0
	s_waitcnt vmcnt(62) lgkmcnt(5)
	v_mul_f32_e32 v129, v105, v1
	v_mul_f32_e32 v130, v107, v2
	s_waitcnt vmcnt(61) lgkmcnt(4)
	v_mul_f32_e32 v131, v109, v181
	s_waitcnt vmcnt(60)
	v_mul_f32_e32 v132, v111, v182
	s_waitcnt vmcnt(59) lgkmcnt(3)
	v_mul_f32_e32 v133, v113, v183
	s_waitcnt vmcnt(58)
	;; [unrolled: 4-line block ×4, first 2 shown]
	v_mul_f32_e32 v138, v123, v188
	s_waitcnt vmcnt(53)
	v_fmac_f32_e32 v131, v110, v189
	s_waitcnt vmcnt(52)
	v_fmac_f32_e32 v130, v108, v190
	;; [unrolled: 2-line block ×3, first 2 shown]
	v_add_f32_e32 v129, 0, v129
	v_add_f32_e32 v129, v129, v130
	v_add_f32_e32 v129, v129, v131
	s_waitcnt vmcnt(47)
	v_fmac_f32_e32 v132, v112, v195
	v_fmac_f32_e32 v133, v114, v194
	v_add_f32_e32 v129, v129, v132
	v_fmac_f32_e32 v134, v116, v193
	v_add_f32_e32 v129, v129, v133
	;; [unrolled: 2-line block ×3, first 2 shown]
	s_waitcnt vmcnt(43)
	v_fmac_f32_e32 v136, v120, v199
	v_add_f32_e32 v129, v129, v135
	v_fmac_f32_e32 v137, v122, v198
	v_add_f32_e32 v129, v129, v136
	;; [unrolled: 2-line block ×3, first 2 shown]
	s_waitcnt vmcnt(42) lgkmcnt(0)
	v_mul_f32_e32 v130, v125, v200
	v_add_f32_e32 v129, v129, v138
	v_fmac_f32_e32 v130, v126, v196
	v_add_f32_e32 v133, v129, v130
	ds_read2_b64 v[129:132], v104 offset0:77 offset1:78
	buffer_load_dword v243, off, s[0:3], 0 offset:352
	buffer_load_dword v244, off, s[0:3], 0 offset:356
	s_waitcnt vmcnt(43)
	v_mul_f32_e32 v134, v127, v201
	s_waitcnt vmcnt(37)
	v_fmac_f32_e32 v134, v128, v207
	v_add_f32_e32 v137, v133, v134
	ds_read2_b64 v[133:136], v104 offset0:79 offset1:80
	buffer_load_dword v245, off, s[0:3], 0 offset:360
	buffer_load_dword v246, off, s[0:3], 0 offset:364
	;; [unrolled: 1-line block ×12, first 2 shown]
	v_mul_f32_e32 v1, v106, v1
	v_fma_f32 v1, v105, v191, -v1
	v_mul_f32_e32 v2, v108, v2
	v_add_f32_e32 v1, 0, v1
	v_fma_f32 v2, v107, v190, -v2
	v_add_f32_e32 v1, v1, v2
	v_mul_f32_e32 v2, v110, v181
	v_fma_f32 v2, v109, v189, -v2
	v_add_f32_e32 v1, v1, v2
	v_mul_f32_e32 v2, v112, v182
	v_fma_f32 v2, v111, v195, -v2
	s_waitcnt vmcnt(48) lgkmcnt(1)
	v_mul_f32_e32 v138, v129, v208
	v_add_f32_e32 v1, v1, v2
	v_mul_f32_e32 v2, v114, v183
	v_fmac_f32_e32 v138, v130, v206
	v_fma_f32 v2, v113, v194, -v2
	v_add_f32_e32 v137, v137, v138
	v_mul_f32_e32 v138, v131, v203
	v_add_f32_e32 v1, v1, v2
	v_mul_f32_e32 v2, v116, v184
	v_fmac_f32_e32 v138, v132, v202
	v_fma_f32 v2, v115, v193, -v2
	v_add_f32_e32 v4, v137, v138
	s_waitcnt lgkmcnt(0)
	v_mul_f32_e32 v137, v133, v205
	v_add_f32_e32 v1, v1, v2
	v_mul_f32_e32 v2, v118, v185
	v_fmac_f32_e32 v137, v134, v204
	v_fma_f32 v2, v117, v192, -v2
	v_add_f32_e32 v4, v4, v137
	ds_read2_b64 v[137:140], v104 offset0:81 offset1:82
	v_add_f32_e32 v1, v1, v2
	v_mul_f32_e32 v2, v120, v186
	v_fma_f32 v2, v119, v199, -v2
	s_waitcnt vmcnt(44)
	v_mul_f32_e32 v141, v135, v212
	v_add_f32_e32 v1, v1, v2
	v_mul_f32_e32 v2, v122, v187
	v_fmac_f32_e32 v141, v136, v211
	v_fma_f32 v2, v121, v198, -v2
	v_add_f32_e32 v4, v4, v141
	ds_read2_b64 v[141:144], v104 offset0:83 offset1:84
	v_add_f32_e32 v1, v1, v2
	v_mul_f32_e32 v2, v124, v188
	s_waitcnt vmcnt(42) lgkmcnt(1)
	v_mul_f32_e32 v145, v137, v214
	v_fma_f32 v2, v123, v197, -v2
	v_fmac_f32_e32 v145, v138, v213
	v_add_f32_e32 v1, v1, v2
	v_mul_f32_e32 v2, v126, v200
	v_add_f32_e32 v4, v4, v145
	s_waitcnt vmcnt(40)
	v_mul_f32_e32 v145, v139, v216
	v_fma_f32 v2, v125, v196, -v2
	v_fmac_f32_e32 v145, v140, v215
	v_add_f32_e32 v1, v1, v2
	v_mul_f32_e32 v2, v128, v201
	v_add_f32_e32 v4, v4, v145
	s_waitcnt vmcnt(38) lgkmcnt(0)
	v_mul_f32_e32 v145, v141, v218
	v_fma_f32 v2, v127, v207, -v2
	v_fmac_f32_e32 v145, v142, v217
	v_add_f32_e32 v1, v1, v2
	v_mul_f32_e32 v2, v130, v208
	v_add_f32_e32 v4, v4, v145
	ds_read2_b64 v[145:148], v104 offset0:85 offset1:86
	v_fma_f32 v2, v129, v206, -v2
	v_add_f32_e32 v1, v1, v2
	v_mul_f32_e32 v2, v132, v203
	s_waitcnt vmcnt(36)
	v_mul_f32_e32 v149, v143, v220
	v_fma_f32 v2, v131, v202, -v2
	v_fmac_f32_e32 v149, v144, v219
	v_add_f32_e32 v1, v1, v2
	v_mul_f32_e32 v2, v134, v205
	v_add_f32_e32 v4, v4, v149
	ds_read2_b64 v[149:152], v104 offset0:87 offset1:88
	v_fma_f32 v2, v133, v204, -v2
	s_waitcnt vmcnt(34) lgkmcnt(1)
	v_mul_f32_e32 v153, v145, v222
	v_add_f32_e32 v1, v1, v2
	v_mul_f32_e32 v2, v136, v212
	v_fmac_f32_e32 v153, v146, v221
	v_fma_f32 v2, v135, v211, -v2
	v_add_f32_e32 v4, v4, v153
	s_waitcnt vmcnt(32)
	v_mul_f32_e32 v153, v147, v224
	v_add_f32_e32 v1, v1, v2
	v_mul_f32_e32 v2, v138, v214
	v_fmac_f32_e32 v153, v148, v223
	v_fma_f32 v2, v137, v213, -v2
	v_add_f32_e32 v4, v4, v153
	s_waitcnt vmcnt(30) lgkmcnt(0)
	v_mul_f32_e32 v153, v149, v226
	v_add_f32_e32 v1, v1, v2
	v_mul_f32_e32 v2, v140, v216
	v_fmac_f32_e32 v153, v150, v225
	v_fma_f32 v2, v139, v215, -v2
	v_add_f32_e32 v4, v4, v153
	ds_read2_b64 v[153:156], v104 offset0:89 offset1:90
	v_add_f32_e32 v1, v1, v2
	v_mul_f32_e32 v2, v142, v218
	v_fma_f32 v2, v141, v217, -v2
	s_waitcnt vmcnt(28)
	v_mul_f32_e32 v157, v151, v228
	v_add_f32_e32 v1, v1, v2
	v_mul_f32_e32 v2, v144, v220
	v_fmac_f32_e32 v157, v152, v227
	v_fma_f32 v2, v143, v219, -v2
	v_add_f32_e32 v4, v4, v157
	ds_read2_b64 v[157:160], v104 offset0:91 offset1:92
	v_add_f32_e32 v1, v1, v2
	v_mul_f32_e32 v2, v146, v222
	s_waitcnt vmcnt(26) lgkmcnt(1)
	v_mul_f32_e32 v161, v153, v230
	v_fma_f32 v2, v145, v221, -v2
	v_fmac_f32_e32 v161, v154, v229
	v_add_f32_e32 v1, v1, v2
	v_mul_f32_e32 v2, v148, v224
	v_add_f32_e32 v4, v4, v161
	s_waitcnt vmcnt(25)
	v_mul_f32_e32 v161, v155, v231
	v_fma_f32 v2, v147, v223, -v2
	s_waitcnt vmcnt(22)
	v_fmac_f32_e32 v161, v156, v234
	v_add_f32_e32 v1, v1, v2
	v_mul_f32_e32 v2, v150, v226
	v_add_f32_e32 v4, v4, v161
	s_waitcnt lgkmcnt(0)
	v_mul_f32_e32 v161, v157, v233
	v_fma_f32 v2, v149, v225, -v2
	v_fmac_f32_e32 v161, v158, v232
	v_add_f32_e32 v1, v1, v2
	v_mul_f32_e32 v2, v152, v228
	v_add_f32_e32 v4, v4, v161
	ds_read2_b64 v[161:164], v104 offset0:93 offset1:94
	v_fma_f32 v2, v151, v227, -v2
	v_add_f32_e32 v1, v1, v2
	v_mul_f32_e32 v2, v154, v230
	s_waitcnt vmcnt(20)
	v_mul_f32_e32 v165, v159, v236
	v_fma_f32 v2, v153, v229, -v2
	v_fmac_f32_e32 v165, v160, v235
	v_add_f32_e32 v1, v1, v2
	v_mul_f32_e32 v2, v156, v231
	v_add_f32_e32 v4, v4, v165
	ds_read2_b64 v[165:168], v104 offset0:95 offset1:96
	v_fma_f32 v2, v155, v234, -v2
	s_waitcnt vmcnt(18) lgkmcnt(1)
	v_mul_f32_e32 v169, v161, v238
	v_add_f32_e32 v1, v1, v2
	v_mul_f32_e32 v2, v158, v233
	v_fmac_f32_e32 v169, v162, v237
	v_fma_f32 v2, v157, v232, -v2
	v_add_f32_e32 v4, v4, v169
	s_waitcnt vmcnt(17)
	v_mul_f32_e32 v169, v163, v239
	v_add_f32_e32 v1, v1, v2
	v_mul_f32_e32 v2, v160, v236
	s_waitcnt vmcnt(14)
	v_fmac_f32_e32 v169, v164, v242
	v_fma_f32 v2, v159, v235, -v2
	v_add_f32_e32 v4, v4, v169
	s_waitcnt lgkmcnt(0)
	v_mul_f32_e32 v169, v165, v241
	v_add_f32_e32 v1, v1, v2
	v_mul_f32_e32 v2, v162, v238
	v_fmac_f32_e32 v169, v166, v240
	v_fma_f32 v2, v161, v237, -v2
	v_add_f32_e32 v4, v4, v169
	ds_read2_b64 v[169:172], v104 offset0:97 offset1:98
	v_add_f32_e32 v1, v1, v2
	v_mul_f32_e32 v2, v164, v239
	v_fma_f32 v2, v163, v242, -v2
	v_add_f32_e32 v1, v1, v2
	v_mul_f32_e32 v2, v166, v241
	s_waitcnt vmcnt(12)
	v_mul_f32_e32 v173, v167, v244
	v_fma_f32 v2, v165, v240, -v2
	v_fmac_f32_e32 v173, v168, v243
	v_add_f32_e32 v1, v1, v2
	v_mul_f32_e32 v2, v168, v244
	v_add_f32_e32 v4, v4, v173
	ds_read2_b64 v[173:176], v104 offset0:99 offset1:100
	s_waitcnt vmcnt(10) lgkmcnt(1)
	v_mul_f32_e32 v177, v169, v246
	v_fma_f32 v2, v167, v243, -v2
	v_fmac_f32_e32 v177, v170, v245
	v_add_f32_e32 v1, v1, v2
	v_mul_f32_e32 v2, v170, v246
	v_add_f32_e32 v4, v4, v177
	s_waitcnt vmcnt(9)
	v_mul_f32_e32 v177, v171, v247
	v_fma_f32 v2, v169, v245, -v2
	s_waitcnt vmcnt(6)
	v_fmac_f32_e32 v177, v172, v250
	v_add_f32_e32 v1, v1, v2
	v_mul_f32_e32 v2, v172, v247
	v_add_f32_e32 v4, v4, v177
	ds_read2_b64 v[177:180], v104 offset0:101 offset1:102
	v_fma_f32 v2, v171, v250, -v2
	v_add_f32_e32 v1, v1, v2
	s_waitcnt lgkmcnt(1)
	v_mul_f32_e32 v2, v174, v249
	v_mul_f32_e32 v5, v173, v249
	v_fma_f32 v2, v173, v248, -v2
	v_fmac_f32_e32 v5, v174, v248
	v_add_f32_e32 v1, v1, v2
	s_waitcnt vmcnt(4)
	v_mul_f32_e32 v2, v176, v252
	v_add_f32_e32 v4, v4, v5
	v_mul_f32_e32 v5, v175, v252
	v_fma_f32 v2, v175, v251, -v2
	v_fmac_f32_e32 v5, v176, v251
	v_add_f32_e32 v1, v1, v2
	s_waitcnt vmcnt(3) lgkmcnt(0)
	v_mul_f32_e32 v2, v178, v253
	v_add_f32_e32 v4, v4, v5
	v_mul_f32_e32 v5, v177, v253
	s_waitcnt vmcnt(0)
	v_fma_f32 v2, v177, v3, -v2
	v_fmac_f32_e32 v5, v178, v3
	v_add_f32_e32 v1, v1, v2
	v_mul_f32_e32 v2, v180, v255
	v_add_f32_e32 v4, v4, v5
	v_mul_f32_e32 v5, v179, v255
	v_fma_f32 v2, v179, v254, -v2
	v_fmac_f32_e32 v5, v180, v254
	v_add_f32_e32 v1, v1, v2
	v_add_f32_e32 v4, v4, v5
	v_sub_f32_e32 v1, v209, v1
	v_sub_f32_e32 v2, v210, v4
	buffer_store_dword v1, off, s[0:3], 0 offset:96
	buffer_store_dword v2, off, s[0:3], 0 offset:100
	s_and_saveexec_b64 s[4:5], vcc
	s_cbranch_execz .LBB50_297
; %bb.296:
	buffer_load_dword v104, off, s[0:3], 0 offset:88
	buffer_load_dword v105, off, s[0:3], 0 offset:92
	v_mov_b32_e32 v1, 0
	buffer_store_dword v1, off, s[0:3], 0 offset:88
	buffer_store_dword v1, off, s[0:3], 0 offset:92
	s_waitcnt vmcnt(2)
	ds_write_b64 v103, v[104:105]
.LBB50_297:
	s_or_b64 exec, exec, s[4:5]
	s_waitcnt lgkmcnt(0)
	; wave barrier
	buffer_load_dword v1, off, s[0:3], 0 offset:100
	buffer_load_dword v2, off, s[0:3], 0 offset:108
	;; [unrolled: 1-line block ×50, first 2 shown]
	v_mov_b32_e32 v104, 0
	ds_read_b128 v[105:108], v104 offset:512
	ds_read_b128 v[109:112], v104 offset:528
	;; [unrolled: 1-line block ×6, first 2 shown]
	buffer_load_dword v227, off, s[0:3], 0 offset:288
	buffer_load_dword v228, off, s[0:3], 0 offset:292
	;; [unrolled: 1-line block ×8, first 2 shown]
	v_cmp_lt_u32_e32 vcc, 10, v0
	s_waitcnt vmcnt(57) lgkmcnt(5)
	v_mul_f32_e32 v129, v105, v1
	s_waitcnt vmcnt(56)
	v_mul_f32_e32 v130, v107, v2
	s_waitcnt vmcnt(55) lgkmcnt(4)
	v_mul_f32_e32 v131, v109, v3
	s_waitcnt vmcnt(54)
	v_mul_f32_e32 v132, v111, v4
	;; [unrolled: 4-line block ×5, first 2 shown]
	s_waitcnt vmcnt(47) lgkmcnt(0)
	v_mul_f32_e32 v139, v125, v187
	s_waitcnt vmcnt(46)
	v_fmac_f32_e32 v131, v110, v188
	s_waitcnt vmcnt(45)
	v_fmac_f32_e32 v130, v108, v189
	;; [unrolled: 2-line block ×3, first 2 shown]
	v_add_f32_e32 v129, 0, v129
	v_add_f32_e32 v129, v129, v130
	;; [unrolled: 1-line block ×3, first 2 shown]
	s_waitcnt vmcnt(40)
	v_fmac_f32_e32 v132, v112, v194
	v_fmac_f32_e32 v133, v114, v193
	v_add_f32_e32 v129, v129, v132
	v_fmac_f32_e32 v134, v116, v192
	v_add_f32_e32 v129, v129, v133
	;; [unrolled: 2-line block ×3, first 2 shown]
	s_waitcnt vmcnt(36)
	v_fmac_f32_e32 v136, v120, v198
	v_add_f32_e32 v129, v129, v135
	v_fmac_f32_e32 v137, v122, v197
	v_add_f32_e32 v129, v129, v136
	;; [unrolled: 2-line block ×3, first 2 shown]
	v_add_f32_e32 v129, v129, v138
	v_fmac_f32_e32 v139, v126, v195
	v_add_f32_e32 v133, v129, v139
	ds_read_b128 v[129:132], v104 offset:608
	buffer_load_dword v235, off, s[0:3], 0 offset:320
	buffer_load_dword v236, off, s[0:3], 0 offset:324
	;; [unrolled: 1-line block ×6, first 2 shown]
	s_waitcnt vmcnt(41)
	v_mul_f32_e32 v134, v127, v199
	s_waitcnt vmcnt(34)
	v_fmac_f32_e32 v134, v128, v206
	v_add_f32_e32 v137, v133, v134
	ds_read_b128 v[133:136], v104 offset:624
	buffer_load_dword v241, off, s[0:3], 0 offset:344
	buffer_load_dword v242, off, s[0:3], 0 offset:348
	;; [unrolled: 1-line block ×16, first 2 shown]
	v_mul_f32_e32 v1, v106, v1
	v_fma_f32 v1, v105, v190, -v1
	v_mul_f32_e32 v2, v108, v2
	v_add_f32_e32 v1, 0, v1
	v_fma_f32 v2, v107, v189, -v2
	v_add_f32_e32 v1, v1, v2
	v_mul_f32_e32 v2, v110, v3
	v_fma_f32 v2, v109, v188, -v2
	s_waitcnt lgkmcnt(1)
	v_mul_f32_e32 v138, v129, v201
	v_add_f32_e32 v1, v1, v2
	v_mul_f32_e32 v2, v112, v4
	v_fmac_f32_e32 v138, v130, v200
	v_fma_f32 v2, v111, v194, -v2
	v_add_f32_e32 v137, v137, v138
	v_mul_f32_e32 v138, v131, v203
	v_add_f32_e32 v1, v1, v2
	v_mul_f32_e32 v2, v114, v5
	v_fmac_f32_e32 v138, v132, v202
	v_fma_f32 v2, v113, v193, -v2
	v_add_f32_e32 v137, v137, v138
	s_waitcnt lgkmcnt(0)
	v_mul_f32_e32 v138, v133, v205
	v_add_f32_e32 v1, v1, v2
	v_mul_f32_e32 v2, v116, v6
	v_fmac_f32_e32 v138, v134, v204
	v_fma_f32 v2, v115, v192, -v2
	v_add_f32_e32 v141, v137, v138
	ds_read_b128 v[137:140], v104 offset:640
	v_add_f32_e32 v1, v1, v2
	v_mul_f32_e32 v2, v118, v183
	v_fma_f32 v2, v117, v191, -v2
	s_waitcnt vmcnt(46)
	v_mul_f32_e32 v8, v135, v210
	v_add_f32_e32 v1, v1, v2
	v_mul_f32_e32 v2, v120, v184
	v_fmac_f32_e32 v8, v136, v209
	v_fma_f32 v2, v119, v198, -v2
	v_add_f32_e32 v8, v141, v8
	ds_read_b128 v[141:144], v104 offset:656
	v_add_f32_e32 v1, v1, v2
	v_mul_f32_e32 v2, v122, v185
	s_waitcnt vmcnt(44) lgkmcnt(1)
	v_mul_f32_e32 v145, v137, v212
	v_fma_f32 v2, v121, v197, -v2
	v_fmac_f32_e32 v145, v138, v211
	v_add_f32_e32 v1, v1, v2
	v_mul_f32_e32 v2, v124, v186
	v_add_f32_e32 v8, v8, v145
	s_waitcnt vmcnt(42)
	v_mul_f32_e32 v145, v139, v214
	v_fma_f32 v2, v123, v196, -v2
	v_fmac_f32_e32 v145, v140, v213
	v_add_f32_e32 v1, v1, v2
	v_mul_f32_e32 v2, v126, v187
	v_add_f32_e32 v8, v8, v145
	s_waitcnt vmcnt(40) lgkmcnt(0)
	v_mul_f32_e32 v145, v141, v216
	v_fma_f32 v2, v125, v195, -v2
	v_fmac_f32_e32 v145, v142, v215
	v_add_f32_e32 v1, v1, v2
	v_mul_f32_e32 v2, v128, v199
	v_add_f32_e32 v8, v8, v145
	ds_read_b128 v[145:148], v104 offset:672
	v_fma_f32 v2, v127, v206, -v2
	v_add_f32_e32 v1, v1, v2
	v_mul_f32_e32 v2, v130, v201
	s_waitcnt vmcnt(38)
	v_mul_f32_e32 v149, v143, v218
	v_fma_f32 v2, v129, v200, -v2
	v_fmac_f32_e32 v149, v144, v217
	v_add_f32_e32 v1, v1, v2
	v_mul_f32_e32 v2, v132, v203
	v_add_f32_e32 v8, v8, v149
	ds_read_b128 v[149:152], v104 offset:688
	v_fma_f32 v2, v131, v202, -v2
	s_waitcnt vmcnt(36) lgkmcnt(1)
	v_mul_f32_e32 v153, v145, v220
	v_add_f32_e32 v1, v1, v2
	v_mul_f32_e32 v2, v134, v205
	v_fmac_f32_e32 v153, v146, v219
	v_fma_f32 v2, v133, v204, -v2
	v_add_f32_e32 v8, v8, v153
	s_waitcnt vmcnt(34)
	v_mul_f32_e32 v153, v147, v222
	v_add_f32_e32 v1, v1, v2
	v_mul_f32_e32 v2, v136, v210
	v_fmac_f32_e32 v153, v148, v221
	v_fma_f32 v2, v135, v209, -v2
	v_add_f32_e32 v8, v8, v153
	s_waitcnt vmcnt(32) lgkmcnt(0)
	v_mul_f32_e32 v153, v149, v224
	v_add_f32_e32 v1, v1, v2
	v_mul_f32_e32 v2, v138, v212
	v_fmac_f32_e32 v153, v150, v223
	v_fma_f32 v2, v137, v211, -v2
	v_add_f32_e32 v8, v8, v153
	ds_read_b128 v[153:156], v104 offset:704
	v_add_f32_e32 v1, v1, v2
	v_mul_f32_e32 v2, v140, v214
	v_fma_f32 v2, v139, v213, -v2
	s_waitcnt vmcnt(30)
	v_mul_f32_e32 v157, v151, v226
	v_add_f32_e32 v1, v1, v2
	v_mul_f32_e32 v2, v142, v216
	v_fmac_f32_e32 v157, v152, v225
	v_fma_f32 v2, v141, v215, -v2
	v_add_f32_e32 v8, v8, v157
	ds_read_b128 v[157:160], v104 offset:720
	v_add_f32_e32 v1, v1, v2
	v_mul_f32_e32 v2, v144, v218
	s_waitcnt vmcnt(28) lgkmcnt(1)
	v_mul_f32_e32 v161, v153, v228
	v_fma_f32 v2, v143, v217, -v2
	v_fmac_f32_e32 v161, v154, v227
	v_add_f32_e32 v1, v1, v2
	v_mul_f32_e32 v2, v146, v220
	v_add_f32_e32 v8, v8, v161
	s_waitcnt vmcnt(27)
	v_mul_f32_e32 v161, v155, v229
	v_fma_f32 v2, v145, v219, -v2
	s_waitcnt vmcnt(24)
	v_fmac_f32_e32 v161, v156, v232
	v_add_f32_e32 v1, v1, v2
	v_mul_f32_e32 v2, v148, v222
	v_add_f32_e32 v8, v8, v161
	s_waitcnt lgkmcnt(0)
	v_mul_f32_e32 v161, v157, v231
	v_fma_f32 v2, v147, v221, -v2
	v_fmac_f32_e32 v161, v158, v230
	v_add_f32_e32 v1, v1, v2
	v_mul_f32_e32 v2, v150, v224
	v_add_f32_e32 v8, v8, v161
	ds_read_b128 v[161:164], v104 offset:736
	v_fma_f32 v2, v149, v223, -v2
	v_add_f32_e32 v1, v1, v2
	v_mul_f32_e32 v2, v152, v226
	s_waitcnt vmcnt(22)
	v_mul_f32_e32 v165, v159, v234
	v_fma_f32 v2, v151, v225, -v2
	v_fmac_f32_e32 v165, v160, v233
	v_add_f32_e32 v1, v1, v2
	v_mul_f32_e32 v2, v154, v228
	v_add_f32_e32 v8, v8, v165
	ds_read_b128 v[165:168], v104 offset:752
	v_fma_f32 v2, v153, v227, -v2
	s_waitcnt vmcnt(20) lgkmcnt(1)
	v_mul_f32_e32 v169, v161, v236
	v_add_f32_e32 v1, v1, v2
	v_mul_f32_e32 v2, v156, v229
	v_fmac_f32_e32 v169, v162, v235
	v_fma_f32 v2, v155, v232, -v2
	v_add_f32_e32 v8, v8, v169
	s_waitcnt vmcnt(19)
	v_mul_f32_e32 v169, v163, v237
	v_add_f32_e32 v1, v1, v2
	v_mul_f32_e32 v2, v158, v231
	s_waitcnt vmcnt(16)
	v_fmac_f32_e32 v169, v164, v240
	v_fma_f32 v2, v157, v230, -v2
	v_add_f32_e32 v8, v8, v169
	s_waitcnt lgkmcnt(0)
	v_mul_f32_e32 v169, v165, v239
	v_add_f32_e32 v1, v1, v2
	v_mul_f32_e32 v2, v160, v234
	v_fmac_f32_e32 v169, v166, v238
	v_fma_f32 v2, v159, v233, -v2
	v_add_f32_e32 v8, v8, v169
	ds_read_b128 v[169:172], v104 offset:768
	v_add_f32_e32 v1, v1, v2
	v_mul_f32_e32 v2, v162, v236
	v_fma_f32 v2, v161, v235, -v2
	s_waitcnt vmcnt(14)
	v_mul_f32_e32 v173, v167, v242
	v_add_f32_e32 v1, v1, v2
	v_mul_f32_e32 v2, v164, v237
	v_fmac_f32_e32 v173, v168, v241
	v_fma_f32 v2, v163, v240, -v2
	v_add_f32_e32 v8, v8, v173
	ds_read_b128 v[173:176], v104 offset:784
	v_add_f32_e32 v1, v1, v2
	v_mul_f32_e32 v2, v166, v239
	s_waitcnt vmcnt(12) lgkmcnt(1)
	v_mul_f32_e32 v177, v169, v244
	v_fma_f32 v2, v165, v238, -v2
	v_fmac_f32_e32 v177, v170, v243
	v_add_f32_e32 v1, v1, v2
	v_mul_f32_e32 v2, v168, v242
	v_add_f32_e32 v8, v8, v177
	s_waitcnt vmcnt(11)
	v_mul_f32_e32 v177, v171, v245
	v_fma_f32 v2, v167, v241, -v2
	s_waitcnt vmcnt(8)
	v_fmac_f32_e32 v177, v172, v248
	v_add_f32_e32 v1, v1, v2
	v_mul_f32_e32 v2, v170, v244
	v_add_f32_e32 v8, v8, v177
	s_waitcnt lgkmcnt(0)
	v_mul_f32_e32 v177, v173, v247
	v_fma_f32 v2, v169, v243, -v2
	v_fmac_f32_e32 v177, v174, v246
	v_add_f32_e32 v1, v1, v2
	v_mul_f32_e32 v2, v172, v245
	v_add_f32_e32 v8, v8, v177
	ds_read_b128 v[177:180], v104 offset:800
	v_fma_f32 v2, v171, v248, -v2
	v_add_f32_e32 v1, v1, v2
	v_mul_f32_e32 v2, v174, v247
	s_waitcnt vmcnt(6)
	v_mul_f32_e32 v181, v175, v250
	v_fma_f32 v2, v173, v246, -v2
	v_fmac_f32_e32 v181, v176, v249
	v_add_f32_e32 v1, v1, v2
	v_mul_f32_e32 v2, v176, v250
	v_add_f32_e32 v8, v8, v181
	ds_read_b64 v[181:182], v104 offset:816
	v_fma_f32 v2, v175, v249, -v2
	v_add_f32_e32 v1, v1, v2
	s_waitcnt vmcnt(4) lgkmcnt(1)
	v_mul_f32_e32 v2, v178, v252
	v_mul_f32_e32 v9, v177, v252
	v_fma_f32 v2, v177, v251, -v2
	v_fmac_f32_e32 v9, v178, v251
	v_add_f32_e32 v1, v1, v2
	s_waitcnt vmcnt(3)
	v_mul_f32_e32 v2, v180, v253
	v_add_f32_e32 v8, v8, v9
	v_mul_f32_e32 v9, v179, v253
	s_waitcnt vmcnt(0)
	v_fma_f32 v2, v179, v7, -v2
	v_fmac_f32_e32 v9, v180, v7
	v_add_f32_e32 v1, v1, v2
	s_waitcnt lgkmcnt(0)
	v_mul_f32_e32 v2, v182, v255
	v_add_f32_e32 v8, v8, v9
	v_mul_f32_e32 v9, v181, v255
	v_fma_f32 v2, v181, v254, -v2
	v_fmac_f32_e32 v9, v182, v254
	v_add_f32_e32 v1, v1, v2
	v_add_f32_e32 v8, v8, v9
	v_sub_f32_e32 v1, v207, v1
	v_sub_f32_e32 v2, v208, v8
	buffer_store_dword v1, off, s[0:3], 0 offset:88
	buffer_store_dword v2, off, s[0:3], 0 offset:92
	s_and_saveexec_b64 s[4:5], vcc
	s_cbranch_execz .LBB50_299
; %bb.298:
	buffer_load_dword v105, off, s[0:3], 0 offset:80
	buffer_load_dword v106, off, s[0:3], 0 offset:84
	s_waitcnt vmcnt(0)
	ds_write_b64 v103, v[105:106]
	buffer_store_dword v104, off, s[0:3], 0 offset:80
	buffer_store_dword v104, off, s[0:3], 0 offset:84
.LBB50_299:
	s_or_b64 exec, exec, s[4:5]
	s_waitcnt lgkmcnt(0)
	; wave barrier
	buffer_load_dword v1, off, s[0:3], 0 offset:92
	buffer_load_dword v2, off, s[0:3], 0 offset:100
	;; [unrolled: 1-line block ×32, first 2 shown]
	ds_read2_b64 v[105:108], v104 offset0:63 offset1:64
	ds_read2_b64 v[109:112], v104 offset0:65 offset1:66
	;; [unrolled: 1-line block ×6, first 2 shown]
	buffer_load_dword v207, off, s[0:3], 0 offset:208
	buffer_load_dword v208, off, s[0:3], 0 offset:212
	buffer_load_dword v209, off, s[0:3], 0 offset:216
	buffer_load_dword v210, off, s[0:3], 0 offset:220
	buffer_load_dword v211, off, s[0:3], 0 offset:224
	buffer_load_dword v212, off, s[0:3], 0 offset:228
	buffer_load_dword v213, off, s[0:3], 0 offset:232
	buffer_load_dword v214, off, s[0:3], 0 offset:236
	buffer_load_dword v215, off, s[0:3], 0 offset:240
	buffer_load_dword v216, off, s[0:3], 0 offset:244
	buffer_load_dword v217, off, s[0:3], 0 offset:248
	buffer_load_dword v218, off, s[0:3], 0 offset:252
	buffer_load_dword v219, off, s[0:3], 0 offset:256
	buffer_load_dword v220, off, s[0:3], 0 offset:260
	buffer_load_dword v221, off, s[0:3], 0 offset:264
	buffer_load_dword v222, off, s[0:3], 0 offset:268
	buffer_load_dword v223, off, s[0:3], 0 offset:272
	buffer_load_dword v224, off, s[0:3], 0 offset:276
	buffer_load_dword v225, off, s[0:3], 0 offset:280
	buffer_load_dword v226, off, s[0:3], 0 offset:284
	buffer_load_dword v227, off, s[0:3], 0 offset:292
	buffer_load_dword v228, off, s[0:3], 0 offset:296
	buffer_load_dword v229, off, s[0:3], 0 offset:300
	buffer_load_dword v230, off, s[0:3], 0 offset:288
	buffer_load_dword v231, off, s[0:3], 0 offset:304
	buffer_load_dword v232, off, s[0:3], 0 offset:308
	v_cmp_lt_u32_e32 vcc, 9, v0
	s_waitcnt vmcnt(57) lgkmcnt(5)
	v_mul_f32_e32 v129, v105, v1
	s_waitcnt vmcnt(56)
	v_mul_f32_e32 v130, v107, v2
	s_waitcnt vmcnt(55) lgkmcnt(4)
	v_mul_f32_e32 v131, v109, v3
	s_waitcnt vmcnt(54)
	v_mul_f32_e32 v132, v111, v4
	;; [unrolled: 4-line block ×5, first 2 shown]
	s_waitcnt vmcnt(47) lgkmcnt(0)
	v_mul_f32_e32 v139, v125, v185
	s_waitcnt vmcnt(46)
	v_fmac_f32_e32 v131, v110, v186
	s_waitcnt vmcnt(45)
	v_fmac_f32_e32 v130, v108, v187
	;; [unrolled: 2-line block ×3, first 2 shown]
	v_add_f32_e32 v129, 0, v129
	v_add_f32_e32 v129, v129, v130
	;; [unrolled: 1-line block ×3, first 2 shown]
	s_waitcnt vmcnt(40)
	v_fmac_f32_e32 v132, v112, v192
	v_fmac_f32_e32 v133, v114, v191
	v_add_f32_e32 v129, v129, v132
	v_fmac_f32_e32 v134, v116, v190
	v_add_f32_e32 v129, v129, v133
	;; [unrolled: 2-line block ×3, first 2 shown]
	s_waitcnt vmcnt(36)
	v_fmac_f32_e32 v136, v120, v196
	v_add_f32_e32 v129, v129, v135
	v_fmac_f32_e32 v137, v122, v195
	v_add_f32_e32 v129, v129, v136
	;; [unrolled: 2-line block ×4, first 2 shown]
	v_add_f32_e32 v133, v129, v139
	ds_read2_b64 v[129:132], v104 offset0:75 offset1:76
	buffer_load_dword v233, off, s[0:3], 0 offset:312
	buffer_load_dword v234, off, s[0:3], 0 offset:316
	buffer_load_dword v235, off, s[0:3], 0 offset:324
	buffer_load_dword v236, off, s[0:3], 0 offset:328
	buffer_load_dword v237, off, s[0:3], 0 offset:332
	buffer_load_dword v238, off, s[0:3], 0 offset:320
	s_waitcnt vmcnt(41)
	v_mul_f32_e32 v134, v127, v197
	s_waitcnt vmcnt(35)
	v_fmac_f32_e32 v134, v128, v203
	v_add_f32_e32 v137, v133, v134
	ds_read2_b64 v[133:136], v104 offset0:77 offset1:78
	buffer_load_dword v239, off, s[0:3], 0 offset:336
	buffer_load_dword v240, off, s[0:3], 0 offset:340
	;; [unrolled: 1-line block ×10, first 2 shown]
	s_waitcnt vmcnt(44) lgkmcnt(1)
	v_mul_f32_e32 v138, v129, v204
	v_fmac_f32_e32 v138, v130, v202
	v_add_f32_e32 v137, v137, v138
	v_mul_f32_e32 v138, v131, v199
	v_fmac_f32_e32 v138, v132, v198
	v_add_f32_e32 v137, v137, v138
	s_waitcnt lgkmcnt(0)
	v_mul_f32_e32 v138, v133, v201
	buffer_load_dword v249, off, s[0:3], 0 offset:376
	buffer_load_dword v250, off, s[0:3], 0 offset:380
	;; [unrolled: 1-line block ×6, first 2 shown]
	v_fmac_f32_e32 v138, v134, v200
	s_waitcnt vmcnt(46)
	v_mul_f32_e32 v142, v135, v208
	v_add_f32_e32 v141, v137, v138
	v_fmac_f32_e32 v142, v136, v207
	ds_read2_b64 v[137:140], v104 offset0:79 offset1:80
	v_add_f32_e32 v145, v141, v142
	ds_read2_b64 v[141:144], v104 offset0:81 offset1:82
	buffer_load_dword v255, off, s[0:3], 0 offset:400
	buffer_load_dword v11, off, s[0:3], 0 offset:404
	v_mul_f32_e32 v1, v106, v1
	v_fma_f32 v1, v105, v188, -v1
	v_mul_f32_e32 v2, v108, v2
	v_add_f32_e32 v1, 0, v1
	v_fma_f32 v2, v107, v187, -v2
	v_add_f32_e32 v1, v1, v2
	v_mul_f32_e32 v2, v110, v3
	v_fma_f32 v2, v109, v186, -v2
	v_add_f32_e32 v1, v1, v2
	v_mul_f32_e32 v2, v112, v4
	;; [unrolled: 3-line block ×7, first 2 shown]
	s_waitcnt vmcnt(46) lgkmcnt(1)
	v_mul_f32_e32 v12, v137, v210
	v_fma_f32 v2, v121, v195, -v2
	v_fmac_f32_e32 v12, v138, v209
	v_add_f32_e32 v1, v1, v2
	v_mul_f32_e32 v2, v124, v10
	v_add_f32_e32 v12, v145, v12
	s_waitcnt vmcnt(44)
	v_mul_f32_e32 v145, v139, v212
	v_fma_f32 v2, v123, v194, -v2
	v_fmac_f32_e32 v145, v140, v211
	v_add_f32_e32 v1, v1, v2
	v_mul_f32_e32 v2, v126, v185
	v_add_f32_e32 v12, v12, v145
	s_waitcnt vmcnt(42) lgkmcnt(0)
	v_mul_f32_e32 v145, v141, v214
	v_fma_f32 v2, v125, v193, -v2
	v_fmac_f32_e32 v145, v142, v213
	v_add_f32_e32 v1, v1, v2
	v_mul_f32_e32 v2, v128, v197
	v_add_f32_e32 v12, v12, v145
	ds_read2_b64 v[145:148], v104 offset0:83 offset1:84
	v_fma_f32 v2, v127, v203, -v2
	v_add_f32_e32 v1, v1, v2
	v_mul_f32_e32 v2, v130, v204
	s_waitcnt vmcnt(40)
	v_mul_f32_e32 v149, v143, v216
	v_fma_f32 v2, v129, v202, -v2
	v_fmac_f32_e32 v149, v144, v215
	v_add_f32_e32 v1, v1, v2
	v_mul_f32_e32 v2, v132, v199
	v_add_f32_e32 v12, v12, v149
	ds_read2_b64 v[149:152], v104 offset0:85 offset1:86
	v_fma_f32 v2, v131, v198, -v2
	s_waitcnt vmcnt(38) lgkmcnt(1)
	v_mul_f32_e32 v153, v145, v218
	v_add_f32_e32 v1, v1, v2
	v_mul_f32_e32 v2, v134, v201
	v_fmac_f32_e32 v153, v146, v217
	v_fma_f32 v2, v133, v200, -v2
	v_add_f32_e32 v12, v12, v153
	s_waitcnt vmcnt(36)
	v_mul_f32_e32 v153, v147, v220
	v_add_f32_e32 v1, v1, v2
	v_mul_f32_e32 v2, v136, v208
	v_fmac_f32_e32 v153, v148, v219
	v_fma_f32 v2, v135, v207, -v2
	v_add_f32_e32 v12, v12, v153
	s_waitcnt vmcnt(34) lgkmcnt(0)
	v_mul_f32_e32 v153, v149, v222
	v_add_f32_e32 v1, v1, v2
	v_mul_f32_e32 v2, v138, v210
	v_fmac_f32_e32 v153, v150, v221
	v_fma_f32 v2, v137, v209, -v2
	v_add_f32_e32 v12, v12, v153
	ds_read2_b64 v[153:156], v104 offset0:87 offset1:88
	v_add_f32_e32 v1, v1, v2
	v_mul_f32_e32 v2, v140, v212
	v_fma_f32 v2, v139, v211, -v2
	s_waitcnt vmcnt(32)
	v_mul_f32_e32 v157, v151, v224
	v_add_f32_e32 v1, v1, v2
	v_mul_f32_e32 v2, v142, v214
	v_fmac_f32_e32 v157, v152, v223
	v_fma_f32 v2, v141, v213, -v2
	v_add_f32_e32 v12, v12, v157
	ds_read2_b64 v[157:160], v104 offset0:89 offset1:90
	v_add_f32_e32 v1, v1, v2
	v_mul_f32_e32 v2, v144, v216
	s_waitcnt vmcnt(30) lgkmcnt(1)
	v_mul_f32_e32 v161, v153, v226
	v_fma_f32 v2, v143, v215, -v2
	v_fmac_f32_e32 v161, v154, v225
	v_add_f32_e32 v1, v1, v2
	v_mul_f32_e32 v2, v146, v218
	v_add_f32_e32 v12, v12, v161
	s_waitcnt vmcnt(29)
	v_mul_f32_e32 v161, v155, v227
	v_fma_f32 v2, v145, v217, -v2
	s_waitcnt vmcnt(26)
	v_fmac_f32_e32 v161, v156, v230
	v_add_f32_e32 v1, v1, v2
	v_mul_f32_e32 v2, v148, v220
	v_add_f32_e32 v12, v12, v161
	s_waitcnt lgkmcnt(0)
	v_mul_f32_e32 v161, v157, v229
	v_fma_f32 v2, v147, v219, -v2
	v_fmac_f32_e32 v161, v158, v228
	v_add_f32_e32 v1, v1, v2
	v_mul_f32_e32 v2, v150, v222
	v_add_f32_e32 v12, v12, v161
	ds_read2_b64 v[161:164], v104 offset0:91 offset1:92
	v_fma_f32 v2, v149, v221, -v2
	v_add_f32_e32 v1, v1, v2
	v_mul_f32_e32 v2, v152, v224
	s_waitcnt vmcnt(24)
	v_mul_f32_e32 v165, v159, v232
	v_fma_f32 v2, v151, v223, -v2
	v_fmac_f32_e32 v165, v160, v231
	v_add_f32_e32 v1, v1, v2
	v_mul_f32_e32 v2, v154, v226
	v_add_f32_e32 v12, v12, v165
	ds_read2_b64 v[165:168], v104 offset0:93 offset1:94
	v_fma_f32 v2, v153, v225, -v2
	s_waitcnt vmcnt(22) lgkmcnt(1)
	v_mul_f32_e32 v169, v161, v234
	v_add_f32_e32 v1, v1, v2
	v_mul_f32_e32 v2, v156, v227
	v_fmac_f32_e32 v169, v162, v233
	v_fma_f32 v2, v155, v230, -v2
	v_add_f32_e32 v12, v12, v169
	s_waitcnt vmcnt(21)
	v_mul_f32_e32 v169, v163, v235
	v_add_f32_e32 v1, v1, v2
	v_mul_f32_e32 v2, v158, v229
	s_waitcnt vmcnt(18)
	v_fmac_f32_e32 v169, v164, v238
	v_fma_f32 v2, v157, v228, -v2
	v_add_f32_e32 v12, v12, v169
	s_waitcnt lgkmcnt(0)
	v_mul_f32_e32 v169, v165, v237
	v_add_f32_e32 v1, v1, v2
	v_mul_f32_e32 v2, v160, v232
	v_fmac_f32_e32 v169, v166, v236
	v_fma_f32 v2, v159, v231, -v2
	v_add_f32_e32 v12, v12, v169
	ds_read2_b64 v[169:172], v104 offset0:95 offset1:96
	v_add_f32_e32 v1, v1, v2
	v_mul_f32_e32 v2, v162, v234
	v_fma_f32 v2, v161, v233, -v2
	s_waitcnt vmcnt(16)
	v_mul_f32_e32 v173, v167, v240
	v_add_f32_e32 v1, v1, v2
	v_mul_f32_e32 v2, v164, v235
	v_fmac_f32_e32 v173, v168, v239
	v_fma_f32 v2, v163, v238, -v2
	v_add_f32_e32 v12, v12, v173
	ds_read2_b64 v[173:176], v104 offset0:97 offset1:98
	v_add_f32_e32 v1, v1, v2
	v_mul_f32_e32 v2, v166, v237
	s_waitcnt vmcnt(14) lgkmcnt(1)
	v_mul_f32_e32 v177, v169, v242
	v_fma_f32 v2, v165, v236, -v2
	v_fmac_f32_e32 v177, v170, v241
	v_add_f32_e32 v1, v1, v2
	v_mul_f32_e32 v2, v168, v240
	v_add_f32_e32 v12, v12, v177
	s_waitcnt vmcnt(13)
	v_mul_f32_e32 v177, v171, v243
	v_fma_f32 v2, v167, v239, -v2
	s_waitcnt vmcnt(10)
	v_fmac_f32_e32 v177, v172, v246
	v_add_f32_e32 v1, v1, v2
	v_mul_f32_e32 v2, v170, v242
	v_add_f32_e32 v12, v12, v177
	s_waitcnt lgkmcnt(0)
	v_mul_f32_e32 v177, v173, v245
	v_fma_f32 v2, v169, v241, -v2
	v_fmac_f32_e32 v177, v174, v244
	v_add_f32_e32 v1, v1, v2
	v_mul_f32_e32 v2, v172, v243
	v_add_f32_e32 v12, v12, v177
	ds_read2_b64 v[177:180], v104 offset0:99 offset1:100
	v_fma_f32 v2, v171, v246, -v2
	v_add_f32_e32 v1, v1, v2
	v_mul_f32_e32 v2, v174, v245
	s_waitcnt vmcnt(8)
	v_mul_f32_e32 v181, v175, v248
	v_fma_f32 v2, v173, v244, -v2
	v_fmac_f32_e32 v181, v176, v247
	v_add_f32_e32 v1, v1, v2
	v_mul_f32_e32 v2, v176, v248
	v_add_f32_e32 v12, v12, v181
	ds_read2_b64 v[181:184], v104 offset0:101 offset1:102
	v_fma_f32 v2, v175, v247, -v2
	v_add_f32_e32 v1, v1, v2
	s_waitcnt vmcnt(6) lgkmcnt(1)
	v_mul_f32_e32 v2, v178, v250
	v_mul_f32_e32 v104, v177, v250
	v_fma_f32 v2, v177, v249, -v2
	v_fmac_f32_e32 v104, v178, v249
	v_add_f32_e32 v1, v1, v2
	s_waitcnt vmcnt(5)
	v_mul_f32_e32 v2, v180, v251
	v_add_f32_e32 v12, v12, v104
	v_mul_f32_e32 v104, v179, v251
	s_waitcnt vmcnt(2)
	v_fma_f32 v2, v179, v254, -v2
	v_fmac_f32_e32 v104, v180, v254
	v_add_f32_e32 v1, v1, v2
	s_waitcnt lgkmcnt(0)
	v_mul_f32_e32 v2, v182, v253
	v_add_f32_e32 v12, v12, v104
	v_mul_f32_e32 v104, v181, v253
	v_fma_f32 v2, v181, v252, -v2
	v_fmac_f32_e32 v104, v182, v252
	v_add_f32_e32 v1, v1, v2
	s_waitcnt vmcnt(0)
	v_mul_f32_e32 v2, v184, v11
	v_add_f32_e32 v12, v12, v104
	v_mul_f32_e32 v104, v183, v11
	v_fma_f32 v2, v183, v255, -v2
	v_fmac_f32_e32 v104, v184, v255
	v_add_f32_e32 v1, v1, v2
	v_add_f32_e32 v12, v12, v104
	v_sub_f32_e32 v1, v205, v1
	v_sub_f32_e32 v2, v206, v12
	buffer_store_dword v1, off, s[0:3], 0 offset:80
	buffer_store_dword v2, off, s[0:3], 0 offset:84
	s_and_saveexec_b64 s[4:5], vcc
	s_cbranch_execz .LBB50_301
; %bb.300:
	buffer_load_dword v104, off, s[0:3], 0 offset:72
	buffer_load_dword v105, off, s[0:3], 0 offset:76
	v_mov_b32_e32 v1, 0
	buffer_store_dword v1, off, s[0:3], 0 offset:72
	buffer_store_dword v1, off, s[0:3], 0 offset:76
	s_waitcnt vmcnt(2)
	ds_write_b64 v103, v[104:105]
.LBB50_301:
	s_or_b64 exec, exec, s[4:5]
	s_waitcnt lgkmcnt(0)
	; wave barrier
	buffer_load_dword v113, off, s[0:3], 0 offset:84
	buffer_load_dword v112, off, s[0:3], 0 offset:92
	;; [unrolled: 1-line block ×50, first 2 shown]
	v_mov_b32_e32 v104, 0
	ds_read_b128 v[114:117], v104 offset:496
	ds_read_b128 v[118:121], v104 offset:512
	;; [unrolled: 1-line block ×6, first 2 shown]
	buffer_load_dword v225, off, s[0:3], 0 offset:272
	buffer_load_dword v226, off, s[0:3], 0 offset:276
	;; [unrolled: 1-line block ×6, first 2 shown]
	v_cmp_lt_u32_e32 vcc, 8, v0
	s_waitcnt vmcnt(55) lgkmcnt(5)
	v_mul_f32_e32 v138, v114, v113
	s_waitcnt vmcnt(54)
	v_mul_f32_e32 v139, v116, v112
	s_waitcnt vmcnt(53) lgkmcnt(4)
	v_mul_f32_e32 v140, v118, v111
	s_waitcnt vmcnt(52)
	v_mul_f32_e32 v141, v120, v110
	;; [unrolled: 4-line block ×5, first 2 shown]
	s_waitcnt vmcnt(45) lgkmcnt(0)
	v_mul_f32_e32 v148, v134, v4
	s_waitcnt vmcnt(44)
	v_fmac_f32_e32 v140, v119, v5
	s_waitcnt vmcnt(43)
	v_fmac_f32_e32 v139, v117, v6
	;; [unrolled: 2-line block ×3, first 2 shown]
	v_add_f32_e32 v138, 0, v138
	v_add_f32_e32 v138, v138, v139
	;; [unrolled: 1-line block ×3, first 2 shown]
	s_waitcnt vmcnt(38)
	v_fmac_f32_e32 v141, v121, v11
	v_fmac_f32_e32 v142, v123, v10
	v_add_f32_e32 v138, v138, v141
	v_fmac_f32_e32 v143, v125, v9
	v_add_f32_e32 v138, v138, v142
	;; [unrolled: 2-line block ×3, first 2 shown]
	s_waitcnt vmcnt(34)
	v_fmac_f32_e32 v145, v129, v198
	v_add_f32_e32 v138, v138, v144
	v_fmac_f32_e32 v146, v131, v197
	v_add_f32_e32 v138, v138, v145
	v_fmac_f32_e32 v147, v133, v196
	v_add_f32_e32 v138, v138, v146
	v_fmac_f32_e32 v148, v135, v12
	v_add_f32_e32 v138, v138, v147
	v_add_f32_e32 v142, v138, v148
	ds_read_b128 v[138:141], v104 offset:592
	buffer_load_dword v231, off, s[0:3], 0 offset:296
	buffer_load_dword v232, off, s[0:3], 0 offset:300
	s_waitcnt vmcnt(35)
	v_mul_f32_e32 v143, v136, v199
	s_waitcnt vmcnt(29)
	v_fmac_f32_e32 v143, v137, v205
	v_add_f32_e32 v146, v142, v143
	ds_read_b128 v[142:145], v104 offset:608
	buffer_load_dword v233, off, s[0:3], 0 offset:304
	buffer_load_dword v234, off, s[0:3], 0 offset:308
	;; [unrolled: 1-line block ×14, first 2 shown]
	s_waitcnt vmcnt(42) lgkmcnt(1)
	v_mul_f32_e32 v147, v138, v206
	v_fmac_f32_e32 v147, v139, v204
	buffer_load_dword v247, off, s[0:3], 0 offset:360
	buffer_load_dword v248, off, s[0:3], 0 offset:364
	v_add_f32_e32 v146, v146, v147
	v_mul_f32_e32 v147, v140, v201
	v_fmac_f32_e32 v147, v141, v200
	v_add_f32_e32 v146, v146, v147
	s_waitcnt lgkmcnt(0)
	v_mul_f32_e32 v147, v142, v203
	v_fmac_f32_e32 v147, v143, v202
	v_add_f32_e32 v150, v146, v147
	ds_read_b128 v[146:149], v104 offset:624
	buffer_load_dword v249, off, s[0:3], 0 offset:368
	buffer_load_dword v250, off, s[0:3], 0 offset:372
	;; [unrolled: 1-line block ×6, first 2 shown]
	s_waitcnt vmcnt(46)
	v_mul_f32_e32 v151, v144, v208
	v_fmac_f32_e32 v151, v145, v207
	v_add_f32_e32 v154, v150, v151
	ds_read_b128 v[150:153], v104 offset:640
	buffer_load_dword v255, off, s[0:3], 0 offset:396
	buffer_load_dword v13, off, s[0:3], 0 offset:400
	;; [unrolled: 1-line block ×4, first 2 shown]
	s_waitcnt vmcnt(48) lgkmcnt(1)
	v_mul_f32_e32 v155, v146, v210
	v_fmac_f32_e32 v155, v147, v209
	v_add_f32_e32 v16, v154, v155
	s_waitcnt vmcnt(46)
	v_mul_f32_e32 v154, v148, v212
	v_fmac_f32_e32 v154, v149, v211
	v_add_f32_e32 v16, v16, v154
	s_waitcnt vmcnt(44) lgkmcnt(0)
	v_mul_f32_e32 v154, v150, v214
	v_fmac_f32_e32 v154, v151, v213
	v_add_f32_e32 v16, v16, v154
	ds_read_b128 v[154:157], v104 offset:656
	s_waitcnt vmcnt(42)
	v_mul_f32_e32 v158, v152, v216
	v_fmac_f32_e32 v158, v153, v215
	v_add_f32_e32 v16, v16, v158
	ds_read_b128 v[158:161], v104 offset:672
	s_waitcnt vmcnt(40) lgkmcnt(1)
	v_mul_f32_e32 v162, v154, v218
	v_fmac_f32_e32 v162, v155, v217
	v_add_f32_e32 v16, v16, v162
	s_waitcnt vmcnt(38)
	v_mul_f32_e32 v162, v156, v220
	v_fmac_f32_e32 v162, v157, v219
	v_add_f32_e32 v16, v16, v162
	s_waitcnt vmcnt(36) lgkmcnt(0)
	v_mul_f32_e32 v162, v158, v222
	v_fmac_f32_e32 v162, v159, v221
	v_add_f32_e32 v16, v16, v162
	ds_read_b128 v[162:165], v104 offset:688
	s_waitcnt vmcnt(34)
	v_mul_f32_e32 v166, v160, v224
	v_fmac_f32_e32 v166, v161, v223
	v_add_f32_e32 v16, v16, v166
	ds_read_b128 v[166:169], v104 offset:704
	s_waitcnt vmcnt(32) lgkmcnt(1)
	v_mul_f32_e32 v170, v162, v226
	v_fmac_f32_e32 v170, v163, v225
	v_add_f32_e32 v16, v16, v170
	s_waitcnt vmcnt(31)
	v_mul_f32_e32 v170, v164, v227
	s_waitcnt vmcnt(28)
	v_fmac_f32_e32 v170, v165, v230
	v_add_f32_e32 v16, v16, v170
	s_waitcnt lgkmcnt(0)
	v_mul_f32_e32 v170, v166, v229
	v_fmac_f32_e32 v170, v167, v228
	v_add_f32_e32 v16, v16, v170
	ds_read_b128 v[170:173], v104 offset:720
	v_mul_f32_e32 v1, v129, v1
	v_fma_f32 v1, v128, v198, -v1
	v_mul_f32_e32 v2, v131, v2
	v_fma_f32 v2, v130, v197, -v2
	s_waitcnt vmcnt(26)
	v_mul_f32_e32 v174, v168, v232
	v_fmac_f32_e32 v174, v169, v231
	v_add_f32_e32 v16, v16, v174
	ds_read_b128 v[174:177], v104 offset:736
	s_waitcnt vmcnt(24) lgkmcnt(1)
	v_mul_f32_e32 v178, v170, v234
	v_fmac_f32_e32 v178, v171, v233
	v_add_f32_e32 v16, v16, v178
	s_waitcnt vmcnt(23)
	v_mul_f32_e32 v178, v172, v235
	s_waitcnt vmcnt(20)
	v_fmac_f32_e32 v178, v173, v238
	v_add_f32_e32 v16, v16, v178
	s_waitcnt lgkmcnt(0)
	v_mul_f32_e32 v178, v174, v237
	v_fmac_f32_e32 v178, v175, v236
	v_add_f32_e32 v16, v16, v178
	ds_read_b128 v[178:181], v104 offset:752
	s_waitcnt vmcnt(18)
	v_mul_f32_e32 v182, v176, v240
	v_fmac_f32_e32 v182, v177, v239
	v_add_f32_e32 v16, v16, v182
	ds_read_b128 v[182:185], v104 offset:768
	s_waitcnt vmcnt(16) lgkmcnt(1)
	v_mul_f32_e32 v186, v178, v242
	v_fmac_f32_e32 v186, v179, v241
	v_add_f32_e32 v16, v16, v186
	s_waitcnt vmcnt(15)
	v_mul_f32_e32 v186, v180, v243
	s_waitcnt vmcnt(12)
	v_fmac_f32_e32 v186, v181, v246
	v_add_f32_e32 v16, v16, v186
	s_waitcnt lgkmcnt(0)
	v_mul_f32_e32 v186, v182, v245
	v_fmac_f32_e32 v186, v183, v244
	v_add_f32_e32 v16, v16, v186
	ds_read_b128 v[186:189], v104 offset:784
	s_waitcnt vmcnt(10)
	v_mul_f32_e32 v190, v184, v248
	v_fmac_f32_e32 v190, v185, v247
	v_add_f32_e32 v16, v16, v190
	ds_read_b128 v[190:193], v104 offset:800
	s_waitcnt vmcnt(8) lgkmcnt(1)
	v_mul_f32_e32 v194, v186, v250
	v_fmac_f32_e32 v194, v187, v249
	v_add_f32_e32 v16, v16, v194
	s_waitcnt vmcnt(7)
	v_mul_f32_e32 v194, v188, v251
	s_waitcnt vmcnt(4)
	v_fmac_f32_e32 v194, v189, v254
	v_add_f32_e32 v16, v16, v194
	ds_read_b64 v[194:195], v104 offset:816
	s_waitcnt lgkmcnt(1)
	v_mul_f32_e32 v17, v190, v253
	v_fmac_f32_e32 v17, v191, v252
	v_add_f32_e32 v16, v16, v17
	s_waitcnt vmcnt(3)
	v_mul_f32_e32 v17, v192, v255
	s_waitcnt vmcnt(0)
	v_fmac_f32_e32 v17, v193, v15
	v_add_f32_e32 v16, v16, v17
	s_waitcnt lgkmcnt(0)
	v_mul_f32_e32 v17, v194, v14
	v_fmac_f32_e32 v17, v195, v13
	v_add_f32_e32 v16, v16, v17
	v_mul_f32_e32 v17, v115, v113
	v_fma_f32 v7, v114, v7, -v17
	v_mul_f32_e32 v17, v117, v112
	v_add_f32_e32 v7, 0, v7
	v_fma_f32 v6, v116, v6, -v17
	v_add_f32_e32 v6, v7, v6
	v_mul_f32_e32 v7, v119, v111
	v_fma_f32 v5, v118, v5, -v7
	v_add_f32_e32 v5, v6, v5
	v_mul_f32_e32 v6, v121, v110
	;; [unrolled: 3-line block ×5, first 2 shown]
	v_fma_f32 v6, v126, v8, -v6
	v_add_f32_e32 v5, v5, v6
	v_add_f32_e32 v1, v5, v1
	v_add_f32_e32 v1, v1, v2
	v_mul_f32_e32 v2, v133, v3
	v_fma_f32 v2, v132, v196, -v2
	v_add_f32_e32 v1, v1, v2
	v_mul_f32_e32 v2, v135, v4
	v_fma_f32 v2, v134, v12, -v2
	v_add_f32_e32 v1, v1, v2
	;; [unrolled: 3-line block ×32, first 2 shown]
	v_sub_f32_e32 v1, v105, v1
	v_sub_f32_e32 v2, v106, v16
	buffer_store_dword v1, off, s[0:3], 0 offset:72
	buffer_store_dword v2, off, s[0:3], 0 offset:76
	s_and_saveexec_b64 s[4:5], vcc
	s_cbranch_execz .LBB50_303
; %bb.302:
	buffer_load_dword v105, off, s[0:3], 0 offset:64
	buffer_load_dword v106, off, s[0:3], 0 offset:68
	s_waitcnt vmcnt(0)
	ds_write_b64 v103, v[105:106]
	buffer_store_dword v104, off, s[0:3], 0 offset:64
	buffer_store_dword v104, off, s[0:3], 0 offset:68
.LBB50_303:
	s_or_b64 exec, exec, s[4:5]
	s_waitcnt lgkmcnt(0)
	; wave barrier
	buffer_load_dword v1, off, s[0:3], 0 offset:76
	buffer_load_dword v2, off, s[0:3], 0 offset:84
	;; [unrolled: 1-line block ×32, first 2 shown]
	ds_read2_b64 v[105:108], v104 offset0:61 offset1:62
	ds_read2_b64 v[109:112], v104 offset0:63 offset1:64
	ds_read2_b64 v[113:116], v104 offset0:65 offset1:66
	ds_read2_b64 v[117:120], v104 offset0:67 offset1:68
	ds_read2_b64 v[121:124], v104 offset0:69 offset1:70
	ds_read2_b64 v[125:128], v104 offset0:71 offset1:72
	buffer_load_dword v203, off, s[0:3], 0 offset:192
	buffer_load_dword v204, off, s[0:3], 0 offset:196
	;; [unrolled: 1-line block ×18, first 2 shown]
	v_cmp_lt_u32_e32 vcc, 7, v0
	s_waitcnt vmcnt(49) lgkmcnt(5)
	v_mul_f32_e32 v129, v105, v1
	s_waitcnt vmcnt(48)
	v_mul_f32_e32 v130, v107, v2
	s_waitcnt vmcnt(47) lgkmcnt(4)
	v_mul_f32_e32 v131, v109, v3
	s_waitcnt vmcnt(46)
	v_mul_f32_e32 v132, v111, v4
	;; [unrolled: 4-line block ×6, first 2 shown]
	s_waitcnt vmcnt(37)
	v_fmac_f32_e32 v131, v110, v13
	s_waitcnt vmcnt(36)
	v_fmac_f32_e32 v130, v108, v14
	;; [unrolled: 2-line block ×3, first 2 shown]
	v_add_f32_e32 v129, 0, v129
	v_add_f32_e32 v129, v129, v130
	v_add_f32_e32 v129, v129, v131
	s_waitcnt vmcnt(31)
	v_fmac_f32_e32 v132, v112, v189
	v_fmac_f32_e32 v133, v114, v18
	v_add_f32_e32 v129, v129, v132
	v_fmac_f32_e32 v134, v116, v17
	v_add_f32_e32 v129, v129, v133
	;; [unrolled: 2-line block ×3, first 2 shown]
	s_waitcnt vmcnt(27)
	v_fmac_f32_e32 v136, v120, v193
	v_add_f32_e32 v129, v129, v135
	v_fmac_f32_e32 v137, v122, v192
	v_add_f32_e32 v129, v129, v136
	;; [unrolled: 2-line block ×3, first 2 shown]
	v_add_f32_e32 v133, v129, v138
	ds_read2_b64 v[129:132], v104 offset0:73 offset1:74
	buffer_load_dword v221, off, s[0:3], 0 offset:264
	buffer_load_dword v222, off, s[0:3], 0 offset:268
	;; [unrolled: 1-line block ×6, first 2 shown]
	v_fmac_f32_e32 v139, v126, v190
	s_waitcnt vmcnt(27)
	v_fmac_f32_e32 v140, v128, v199
	v_add_f32_e32 v133, v133, v139
	v_add_f32_e32 v137, v133, v140
	ds_read2_b64 v[133:136], v104 offset0:75 offset1:76
	buffer_load_dword v227, off, s[0:3], 0 offset:288
	buffer_load_dword v228, off, s[0:3], 0 offset:292
	buffer_load_dword v229, off, s[0:3], 0 offset:296
	buffer_load_dword v230, off, s[0:3], 0 offset:300
	buffer_load_dword v231, off, s[0:3], 0 offset:308
	buffer_load_dword v232, off, s[0:3], 0 offset:312
	buffer_load_dword v233, off, s[0:3], 0 offset:316
	buffer_load_dword v234, off, s[0:3], 0 offset:304
	buffer_load_dword v235, off, s[0:3], 0 offset:320
	buffer_load_dword v236, off, s[0:3], 0 offset:324
	s_waitcnt vmcnt(36) lgkmcnt(1)
	v_mul_f32_e32 v138, v129, v200
	buffer_load_dword v237, off, s[0:3], 0 offset:328
	buffer_load_dword v238, off, s[0:3], 0 offset:332
	;; [unrolled: 1-line block ×6, first 2 shown]
	v_fmac_f32_e32 v138, v130, v198
	v_add_f32_e32 v137, v137, v138
	v_mul_f32_e32 v138, v131, v195
	v_fmac_f32_e32 v138, v132, v194
	v_add_f32_e32 v137, v137, v138
	s_waitcnt lgkmcnt(0)
	v_mul_f32_e32 v138, v133, v197
	v_fmac_f32_e32 v138, v134, v196
	v_add_f32_e32 v141, v137, v138
	ds_read2_b64 v[137:140], v104 offset0:77 offset1:78
	buffer_load_dword v243, off, s[0:3], 0 offset:352
	buffer_load_dword v244, off, s[0:3], 0 offset:356
	s_waitcnt vmcnt(40)
	v_mul_f32_e32 v142, v135, v204
	v_fmac_f32_e32 v142, v136, v203
	v_add_f32_e32 v145, v141, v142
	ds_read2_b64 v[141:144], v104 offset0:79 offset1:80
	buffer_load_dword v245, off, s[0:3], 0 offset:360
	buffer_load_dword v246, off, s[0:3], 0 offset:364
	buffer_load_dword v247, off, s[0:3], 0 offset:372
	buffer_load_dword v248, off, s[0:3], 0 offset:376
	buffer_load_dword v249, off, s[0:3], 0 offset:380
	buffer_load_dword v250, off, s[0:3], 0 offset:368
	buffer_load_dword v251, off, s[0:3], 0 offset:384
	buffer_load_dword v252, off, s[0:3], 0 offset:388
	buffer_load_dword v253, off, s[0:3], 0 offset:396
	buffer_load_dword v254, off, s[0:3], 0 offset:400
	buffer_load_dword v255, off, s[0:3], 0 offset:404
	buffer_load_dword v19, off, s[0:3], 0 offset:392
	v_mul_f32_e32 v1, v106, v1
	v_fma_f32 v1, v105, v15, -v1
	v_mul_f32_e32 v2, v108, v2
	v_add_f32_e32 v1, 0, v1
	v_fma_f32 v2, v107, v14, -v2
	v_add_f32_e32 v1, v1, v2
	v_mul_f32_e32 v2, v110, v3
	v_fma_f32 v2, v109, v13, -v2
	v_add_f32_e32 v1, v1, v2
	v_mul_f32_e32 v2, v112, v4
	;; [unrolled: 3-line block ×6, first 2 shown]
	v_fma_f32 v2, v119, v193, -v2
	s_waitcnt vmcnt(50) lgkmcnt(1)
	v_mul_f32_e32 v146, v137, v206
	v_add_f32_e32 v1, v1, v2
	v_mul_f32_e32 v2, v122, v9
	v_fmac_f32_e32 v146, v138, v205
	v_fma_f32 v2, v121, v192, -v2
	v_add_f32_e32 v145, v145, v146
	s_waitcnt vmcnt(48)
	v_mul_f32_e32 v146, v139, v208
	v_add_f32_e32 v1, v1, v2
	v_mul_f32_e32 v2, v124, v10
	v_fmac_f32_e32 v146, v140, v207
	v_fma_f32 v2, v123, v191, -v2
	v_add_f32_e32 v20, v145, v146
	s_waitcnt vmcnt(46) lgkmcnt(0)
	v_mul_f32_e32 v145, v141, v210
	v_add_f32_e32 v1, v1, v2
	v_mul_f32_e32 v2, v126, v11
	v_fmac_f32_e32 v145, v142, v209
	v_fma_f32 v2, v125, v190, -v2
	v_add_f32_e32 v20, v20, v145
	ds_read2_b64 v[145:148], v104 offset0:81 offset1:82
	v_add_f32_e32 v1, v1, v2
	v_mul_f32_e32 v2, v128, v12
	v_fma_f32 v2, v127, v199, -v2
	s_waitcnt vmcnt(44)
	v_mul_f32_e32 v149, v143, v212
	v_add_f32_e32 v1, v1, v2
	v_mul_f32_e32 v2, v130, v200
	v_fmac_f32_e32 v149, v144, v211
	v_fma_f32 v2, v129, v198, -v2
	v_add_f32_e32 v20, v20, v149
	ds_read2_b64 v[149:152], v104 offset0:83 offset1:84
	v_add_f32_e32 v1, v1, v2
	v_mul_f32_e32 v2, v132, v195
	s_waitcnt vmcnt(42) lgkmcnt(1)
	v_mul_f32_e32 v153, v145, v214
	v_fma_f32 v2, v131, v194, -v2
	v_fmac_f32_e32 v153, v146, v213
	v_add_f32_e32 v1, v1, v2
	v_mul_f32_e32 v2, v134, v197
	v_add_f32_e32 v20, v20, v153
	s_waitcnt vmcnt(40)
	v_mul_f32_e32 v153, v147, v216
	v_fma_f32 v2, v133, v196, -v2
	v_fmac_f32_e32 v153, v148, v215
	v_add_f32_e32 v1, v1, v2
	v_mul_f32_e32 v2, v136, v204
	v_add_f32_e32 v20, v20, v153
	s_waitcnt vmcnt(38) lgkmcnt(0)
	v_mul_f32_e32 v153, v149, v218
	v_fma_f32 v2, v135, v203, -v2
	v_fmac_f32_e32 v153, v150, v217
	v_add_f32_e32 v1, v1, v2
	v_mul_f32_e32 v2, v138, v206
	v_add_f32_e32 v20, v20, v153
	ds_read2_b64 v[153:156], v104 offset0:85 offset1:86
	v_fma_f32 v2, v137, v205, -v2
	v_add_f32_e32 v1, v1, v2
	v_mul_f32_e32 v2, v140, v208
	s_waitcnt vmcnt(36)
	v_mul_f32_e32 v157, v151, v220
	v_fma_f32 v2, v139, v207, -v2
	v_fmac_f32_e32 v157, v152, v219
	v_add_f32_e32 v1, v1, v2
	v_mul_f32_e32 v2, v142, v210
	v_add_f32_e32 v20, v20, v157
	ds_read2_b64 v[157:160], v104 offset0:87 offset1:88
	v_fma_f32 v2, v141, v209, -v2
	s_waitcnt vmcnt(34) lgkmcnt(1)
	v_mul_f32_e32 v161, v153, v222
	v_add_f32_e32 v1, v1, v2
	v_mul_f32_e32 v2, v144, v212
	v_fmac_f32_e32 v161, v154, v221
	v_fma_f32 v2, v143, v211, -v2
	v_add_f32_e32 v20, v20, v161
	s_waitcnt vmcnt(33)
	v_mul_f32_e32 v161, v155, v223
	v_add_f32_e32 v1, v1, v2
	v_mul_f32_e32 v2, v146, v214
	s_waitcnt vmcnt(30)
	v_fmac_f32_e32 v161, v156, v226
	v_fma_f32 v2, v145, v213, -v2
	v_add_f32_e32 v20, v20, v161
	s_waitcnt lgkmcnt(0)
	v_mul_f32_e32 v161, v157, v225
	v_add_f32_e32 v1, v1, v2
	v_mul_f32_e32 v2, v148, v216
	v_fmac_f32_e32 v161, v158, v224
	v_fma_f32 v2, v147, v215, -v2
	v_add_f32_e32 v20, v20, v161
	ds_read2_b64 v[161:164], v104 offset0:89 offset1:90
	v_add_f32_e32 v1, v1, v2
	v_mul_f32_e32 v2, v150, v218
	v_fma_f32 v2, v149, v217, -v2
	s_waitcnt vmcnt(28)
	v_mul_f32_e32 v165, v159, v228
	v_add_f32_e32 v1, v1, v2
	v_mul_f32_e32 v2, v152, v220
	v_fmac_f32_e32 v165, v160, v227
	v_fma_f32 v2, v151, v219, -v2
	v_add_f32_e32 v20, v20, v165
	ds_read2_b64 v[165:168], v104 offset0:91 offset1:92
	v_add_f32_e32 v1, v1, v2
	v_mul_f32_e32 v2, v154, v222
	s_waitcnt vmcnt(26) lgkmcnt(1)
	v_mul_f32_e32 v169, v161, v230
	v_fma_f32 v2, v153, v221, -v2
	v_fmac_f32_e32 v169, v162, v229
	v_add_f32_e32 v1, v1, v2
	v_mul_f32_e32 v2, v156, v223
	v_add_f32_e32 v20, v20, v169
	s_waitcnt vmcnt(25)
	v_mul_f32_e32 v169, v163, v231
	v_fma_f32 v2, v155, v226, -v2
	s_waitcnt vmcnt(22)
	v_fmac_f32_e32 v169, v164, v234
	v_add_f32_e32 v1, v1, v2
	v_mul_f32_e32 v2, v158, v225
	v_add_f32_e32 v20, v20, v169
	s_waitcnt lgkmcnt(0)
	v_mul_f32_e32 v169, v165, v233
	v_fma_f32 v2, v157, v224, -v2
	v_fmac_f32_e32 v169, v166, v232
	v_add_f32_e32 v1, v1, v2
	v_mul_f32_e32 v2, v160, v228
	v_add_f32_e32 v20, v20, v169
	ds_read2_b64 v[169:172], v104 offset0:93 offset1:94
	v_fma_f32 v2, v159, v227, -v2
	v_add_f32_e32 v1, v1, v2
	v_mul_f32_e32 v2, v162, v230
	s_waitcnt vmcnt(20)
	v_mul_f32_e32 v173, v167, v236
	v_fma_f32 v2, v161, v229, -v2
	v_fmac_f32_e32 v173, v168, v235
	v_add_f32_e32 v1, v1, v2
	v_mul_f32_e32 v2, v164, v231
	v_add_f32_e32 v20, v20, v173
	ds_read2_b64 v[173:176], v104 offset0:95 offset1:96
	v_fma_f32 v2, v163, v234, -v2
	s_waitcnt vmcnt(18) lgkmcnt(1)
	v_mul_f32_e32 v177, v169, v238
	v_add_f32_e32 v1, v1, v2
	v_mul_f32_e32 v2, v166, v233
	v_fmac_f32_e32 v177, v170, v237
	v_fma_f32 v2, v165, v232, -v2
	v_add_f32_e32 v20, v20, v177
	s_waitcnt vmcnt(17)
	v_mul_f32_e32 v177, v171, v239
	v_add_f32_e32 v1, v1, v2
	v_mul_f32_e32 v2, v168, v236
	s_waitcnt vmcnt(14)
	v_fmac_f32_e32 v177, v172, v242
	v_fma_f32 v2, v167, v235, -v2
	v_add_f32_e32 v20, v20, v177
	s_waitcnt lgkmcnt(0)
	v_mul_f32_e32 v177, v173, v241
	v_add_f32_e32 v1, v1, v2
	v_mul_f32_e32 v2, v170, v238
	v_fmac_f32_e32 v177, v174, v240
	v_fma_f32 v2, v169, v237, -v2
	v_add_f32_e32 v20, v20, v177
	ds_read2_b64 v[177:180], v104 offset0:97 offset1:98
	v_add_f32_e32 v1, v1, v2
	v_mul_f32_e32 v2, v172, v239
	v_fma_f32 v2, v171, v242, -v2
	v_add_f32_e32 v1, v1, v2
	v_mul_f32_e32 v2, v174, v241
	s_waitcnt vmcnt(12)
	v_mul_f32_e32 v181, v175, v244
	v_fma_f32 v2, v173, v240, -v2
	v_fmac_f32_e32 v181, v176, v243
	v_add_f32_e32 v1, v1, v2
	v_mul_f32_e32 v2, v176, v244
	v_add_f32_e32 v20, v20, v181
	ds_read2_b64 v[181:184], v104 offset0:99 offset1:100
	s_waitcnt vmcnt(10) lgkmcnt(1)
	v_mul_f32_e32 v185, v177, v246
	v_fma_f32 v2, v175, v243, -v2
	v_fmac_f32_e32 v185, v178, v245
	v_add_f32_e32 v1, v1, v2
	v_mul_f32_e32 v2, v178, v246
	v_add_f32_e32 v20, v20, v185
	s_waitcnt vmcnt(9)
	v_mul_f32_e32 v185, v179, v247
	v_fma_f32 v2, v177, v245, -v2
	s_waitcnt vmcnt(6)
	v_fmac_f32_e32 v185, v180, v250
	v_add_f32_e32 v1, v1, v2
	v_mul_f32_e32 v2, v180, v247
	v_add_f32_e32 v20, v20, v185
	ds_read2_b64 v[185:188], v104 offset0:101 offset1:102
	v_fma_f32 v2, v179, v250, -v2
	v_add_f32_e32 v1, v1, v2
	s_waitcnt lgkmcnt(1)
	v_mul_f32_e32 v2, v182, v249
	v_mul_f32_e32 v21, v181, v249
	v_fma_f32 v2, v181, v248, -v2
	v_fmac_f32_e32 v21, v182, v248
	v_add_f32_e32 v1, v1, v2
	s_waitcnt vmcnt(4)
	v_mul_f32_e32 v2, v184, v252
	v_add_f32_e32 v20, v20, v21
	v_mul_f32_e32 v21, v183, v252
	v_fma_f32 v2, v183, v251, -v2
	v_fmac_f32_e32 v21, v184, v251
	v_add_f32_e32 v1, v1, v2
	s_waitcnt vmcnt(3) lgkmcnt(0)
	v_mul_f32_e32 v2, v186, v253
	v_add_f32_e32 v20, v20, v21
	v_mul_f32_e32 v21, v185, v253
	s_waitcnt vmcnt(0)
	v_fma_f32 v2, v185, v19, -v2
	v_fmac_f32_e32 v21, v186, v19
	v_add_f32_e32 v1, v1, v2
	v_mul_f32_e32 v2, v188, v255
	v_add_f32_e32 v20, v20, v21
	v_mul_f32_e32 v21, v187, v255
	v_fma_f32 v2, v187, v254, -v2
	v_fmac_f32_e32 v21, v188, v254
	v_add_f32_e32 v1, v1, v2
	v_add_f32_e32 v20, v20, v21
	v_sub_f32_e32 v1, v201, v1
	v_sub_f32_e32 v2, v202, v20
	buffer_store_dword v1, off, s[0:3], 0 offset:64
	buffer_store_dword v2, off, s[0:3], 0 offset:68
	s_and_saveexec_b64 s[4:5], vcc
	s_cbranch_execz .LBB50_305
; %bb.304:
	buffer_load_dword v104, off, s[0:3], 0 offset:56
	buffer_load_dword v105, off, s[0:3], 0 offset:60
	v_mov_b32_e32 v1, 0
	buffer_store_dword v1, off, s[0:3], 0 offset:56
	buffer_store_dword v1, off, s[0:3], 0 offset:60
	s_waitcnt vmcnt(2)
	ds_write_b64 v103, v[104:105]
.LBB50_305:
	s_or_b64 exec, exec, s[4:5]
	s_waitcnt lgkmcnt(0)
	; wave barrier
	buffer_load_dword v113, off, s[0:3], 0 offset:68
	buffer_load_dword v112, off, s[0:3], 0 offset:76
	;; [unrolled: 1-line block ×48, first 2 shown]
	v_mov_b32_e32 v104, 0
	ds_read_b128 v[119:122], v104 offset:480
	ds_read_b128 v[123:126], v104 offset:496
	;; [unrolled: 1-line block ×6, first 2 shown]
	buffer_load_dword v217, off, s[0:3], 0 offset:248
	buffer_load_dword v218, off, s[0:3], 0 offset:252
	v_cmp_lt_u32_e32 vcc, 6, v0
	s_waitcnt vmcnt(49) lgkmcnt(5)
	v_mul_f32_e32 v143, v119, v113
	s_waitcnt vmcnt(48)
	v_mul_f32_e32 v144, v121, v112
	s_waitcnt vmcnt(47) lgkmcnt(4)
	v_mul_f32_e32 v145, v123, v111
	s_waitcnt vmcnt(46)
	v_mul_f32_e32 v146, v125, v110
	;; [unrolled: 4-line block ×6, first 2 shown]
	s_waitcnt vmcnt(37)
	v_fmac_f32_e32 v145, v124, v1
	s_waitcnt vmcnt(36)
	v_fmac_f32_e32 v144, v122, v2
	s_waitcnt vmcnt(35)
	v_fmac_f32_e32 v143, v120, v3
	v_add_f32_e32 v143, 0, v143
	v_add_f32_e32 v143, v143, v144
	;; [unrolled: 1-line block ×3, first 2 shown]
	s_waitcnt vmcnt(31)
	v_fmac_f32_e32 v146, v126, v7
	v_fmac_f32_e32 v147, v128, v6
	v_add_f32_e32 v143, v143, v146
	v_fmac_f32_e32 v148, v130, v5
	v_add_f32_e32 v143, v143, v147
	;; [unrolled: 2-line block ×3, first 2 shown]
	s_waitcnt vmcnt(27)
	v_fmac_f32_e32 v150, v134, v11
	v_add_f32_e32 v143, v143, v149
	v_fmac_f32_e32 v151, v136, v10
	v_add_f32_e32 v143, v143, v150
	;; [unrolled: 2-line block ×4, first 2 shown]
	v_add_f32_e32 v147, v143, v153
	ds_read_b128 v[143:146], v104 offset:576
	buffer_load_dword v219, off, s[0:3], 0 offset:256
	buffer_load_dword v220, off, s[0:3], 0 offset:260
	;; [unrolled: 1-line block ×6, first 2 shown]
	s_waitcnt vmcnt(28)
	v_fmac_f32_e32 v154, v142, v16
	v_add_f32_e32 v151, v147, v154
	ds_read_b128 v[147:150], v104 offset:592
	buffer_load_dword v225, off, s[0:3], 0 offset:280
	buffer_load_dword v226, off, s[0:3], 0 offset:284
	;; [unrolled: 1-line block ×8, first 2 shown]
	s_waitcnt vmcnt(35) lgkmcnt(1)
	v_mul_f32_e32 v152, v143, v17
	buffer_load_dword v233, off, s[0:3], 0 offset:312
	buffer_load_dword v234, off, s[0:3], 0 offset:316
	v_fmac_f32_e32 v152, v144, v15
	v_add_f32_e32 v151, v151, v152
	s_waitcnt vmcnt(36)
	v_mul_f32_e32 v152, v145, v18
	v_fmac_f32_e32 v152, v146, v14
	v_add_f32_e32 v151, v151, v152
	s_waitcnt lgkmcnt(0)
	v_mul_f32_e32 v152, v147, v13
	v_fmac_f32_e32 v152, v148, v12
	v_add_f32_e32 v155, v151, v152
	ds_read_b128 v[151:154], v104 offset:608
	buffer_load_dword v235, off, s[0:3], 0 offset:320
	buffer_load_dword v236, off, s[0:3], 0 offset:324
	;; [unrolled: 1-line block ×6, first 2 shown]
	s_waitcnt vmcnt(38)
	v_mul_f32_e32 v156, v149, v20
	v_fmac_f32_e32 v156, v150, v19
	v_add_f32_e32 v159, v155, v156
	ds_read_b128 v[155:158], v104 offset:624
	buffer_load_dword v241, off, s[0:3], 0 offset:344
	buffer_load_dword v242, off, s[0:3], 0 offset:348
	;; [unrolled: 1-line block ×16, first 2 shown]
	s_waitcnt vmcnt(52) lgkmcnt(1)
	v_mul_f32_e32 v160, v151, v22
	v_fmac_f32_e32 v160, v152, v21
	v_add_f32_e32 v159, v159, v160
	s_waitcnt vmcnt(50)
	v_mul_f32_e32 v160, v153, v206
	v_fmac_f32_e32 v160, v154, v205
	v_add_f32_e32 v159, v159, v160
	s_waitcnt vmcnt(48) lgkmcnt(0)
	v_mul_f32_e32 v160, v155, v208
	v_fmac_f32_e32 v160, v156, v207
	v_add_f32_e32 v163, v159, v160
	ds_read_b128 v[159:162], v104 offset:640
	s_waitcnt vmcnt(46)
	v_mul_f32_e32 v24, v157, v210
	v_fmac_f32_e32 v24, v158, v209
	v_add_f32_e32 v24, v163, v24
	ds_read_b128 v[163:166], v104 offset:656
	s_waitcnt vmcnt(44) lgkmcnt(1)
	v_mul_f32_e32 v167, v159, v212
	v_fmac_f32_e32 v167, v160, v211
	v_add_f32_e32 v24, v24, v167
	s_waitcnt vmcnt(42)
	v_mul_f32_e32 v167, v161, v214
	v_fmac_f32_e32 v167, v162, v213
	v_add_f32_e32 v24, v24, v167
	s_waitcnt vmcnt(40) lgkmcnt(0)
	v_mul_f32_e32 v167, v163, v216
	v_fmac_f32_e32 v167, v164, v215
	v_add_f32_e32 v24, v24, v167
	ds_read_b128 v[167:170], v104 offset:672
	s_waitcnt vmcnt(38)
	v_mul_f32_e32 v171, v165, v218
	v_fmac_f32_e32 v171, v166, v217
	v_add_f32_e32 v24, v24, v171
	ds_read_b128 v[171:174], v104 offset:688
	s_waitcnt vmcnt(36) lgkmcnt(1)
	v_mul_f32_e32 v175, v167, v220
	v_fmac_f32_e32 v175, v168, v219
	v_add_f32_e32 v24, v24, v175
	s_waitcnt vmcnt(35)
	v_mul_f32_e32 v175, v169, v221
	s_waitcnt vmcnt(32)
	v_fmac_f32_e32 v175, v170, v224
	v_add_f32_e32 v24, v24, v175
	s_waitcnt lgkmcnt(0)
	v_mul_f32_e32 v175, v171, v223
	v_fmac_f32_e32 v175, v172, v222
	v_add_f32_e32 v24, v24, v175
	ds_read_b128 v[175:178], v104 offset:704
	s_waitcnt vmcnt(30)
	v_mul_f32_e32 v179, v173, v226
	v_fmac_f32_e32 v179, v174, v225
	v_add_f32_e32 v24, v24, v179
	ds_read_b128 v[179:182], v104 offset:720
	s_waitcnt vmcnt(28) lgkmcnt(1)
	v_mul_f32_e32 v183, v175, v228
	v_fmac_f32_e32 v183, v176, v227
	v_add_f32_e32 v24, v24, v183
	s_waitcnt vmcnt(27)
	v_mul_f32_e32 v183, v177, v229
	s_waitcnt vmcnt(24)
	v_fmac_f32_e32 v183, v178, v232
	v_add_f32_e32 v24, v24, v183
	s_waitcnt lgkmcnt(0)
	;; [unrolled: 19-line block ×4, first 2 shown]
	v_mul_f32_e32 v199, v195, v247
	v_fmac_f32_e32 v199, v196, v246
	v_add_f32_e32 v24, v24, v199
	ds_read_b128 v[199:202], v104 offset:800
	s_waitcnt vmcnt(6)
	v_mul_f32_e32 v203, v197, v250
	v_fmac_f32_e32 v203, v198, v249
	v_add_f32_e32 v24, v24, v203
	ds_read_b64 v[203:204], v104 offset:816
	s_waitcnt vmcnt(4) lgkmcnt(1)
	v_mul_f32_e32 v25, v199, v252
	v_fmac_f32_e32 v25, v200, v251
	v_add_f32_e32 v24, v24, v25
	s_waitcnt vmcnt(3)
	v_mul_f32_e32 v25, v201, v253
	s_waitcnt vmcnt(0)
	v_fmac_f32_e32 v25, v202, v23
	v_add_f32_e32 v24, v24, v25
	s_waitcnt lgkmcnt(0)
	v_mul_f32_e32 v25, v203, v255
	v_fmac_f32_e32 v25, v204, v254
	v_add_f32_e32 v24, v24, v25
	v_mul_f32_e32 v25, v120, v113
	v_fma_f32 v3, v119, v3, -v25
	v_mul_f32_e32 v25, v122, v112
	v_add_f32_e32 v3, 0, v3
	v_fma_f32 v2, v121, v2, -v25
	v_add_f32_e32 v2, v3, v2
	v_mul_f32_e32 v3, v124, v111
	v_fma_f32 v1, v123, v1, -v3
	v_add_f32_e32 v1, v2, v1
	v_mul_f32_e32 v2, v126, v110
	v_fma_f32 v2, v125, v7, -v2
	v_add_f32_e32 v1, v1, v2
	v_mul_f32_e32 v2, v128, v109
	v_fma_f32 v2, v127, v6, -v2
	v_add_f32_e32 v1, v1, v2
	v_mul_f32_e32 v2, v130, v108
	v_fma_f32 v2, v129, v5, -v2
	v_add_f32_e32 v1, v1, v2
	v_mul_f32_e32 v2, v132, v107
	v_fma_f32 v2, v131, v4, -v2
	v_add_f32_e32 v1, v1, v2
	v_mul_f32_e32 v2, v134, v114
	v_fma_f32 v2, v133, v11, -v2
	v_add_f32_e32 v1, v1, v2
	v_mul_f32_e32 v2, v136, v115
	v_fma_f32 v2, v135, v10, -v2
	v_add_f32_e32 v1, v1, v2
	v_mul_f32_e32 v2, v138, v116
	v_fma_f32 v2, v137, v9, -v2
	v_add_f32_e32 v1, v1, v2
	v_mul_f32_e32 v2, v140, v117
	v_fma_f32 v2, v139, v8, -v2
	v_add_f32_e32 v1, v1, v2
	v_mul_f32_e32 v2, v142, v118
	v_fma_f32 v2, v141, v16, -v2
	v_add_f32_e32 v1, v1, v2
	v_mul_f32_e32 v2, v144, v17
	v_fma_f32 v2, v143, v15, -v2
	v_add_f32_e32 v1, v1, v2
	v_mul_f32_e32 v2, v146, v18
	v_fma_f32 v2, v145, v14, -v2
	v_add_f32_e32 v1, v1, v2
	v_mul_f32_e32 v2, v148, v13
	v_fma_f32 v2, v147, v12, -v2
	v_add_f32_e32 v1, v1, v2
	v_mul_f32_e32 v2, v150, v20
	v_fma_f32 v2, v149, v19, -v2
	v_add_f32_e32 v1, v1, v2
	v_mul_f32_e32 v2, v152, v22
	v_fma_f32 v2, v151, v21, -v2
	v_add_f32_e32 v1, v1, v2
	v_mul_f32_e32 v2, v154, v206
	v_fma_f32 v2, v153, v205, -v2
	v_add_f32_e32 v1, v1, v2
	v_mul_f32_e32 v2, v156, v208
	v_fma_f32 v2, v155, v207, -v2
	v_add_f32_e32 v1, v1, v2
	v_mul_f32_e32 v2, v158, v210
	v_fma_f32 v2, v157, v209, -v2
	v_add_f32_e32 v1, v1, v2
	v_mul_f32_e32 v2, v160, v212
	v_fma_f32 v2, v159, v211, -v2
	v_add_f32_e32 v1, v1, v2
	v_mul_f32_e32 v2, v162, v214
	v_fma_f32 v2, v161, v213, -v2
	v_add_f32_e32 v1, v1, v2
	v_mul_f32_e32 v2, v164, v216
	v_fma_f32 v2, v163, v215, -v2
	v_add_f32_e32 v1, v1, v2
	v_mul_f32_e32 v2, v166, v218
	v_fma_f32 v2, v165, v217, -v2
	v_add_f32_e32 v1, v1, v2
	v_mul_f32_e32 v2, v168, v220
	v_fma_f32 v2, v167, v219, -v2
	v_add_f32_e32 v1, v1, v2
	v_mul_f32_e32 v2, v170, v221
	v_fma_f32 v2, v169, v224, -v2
	v_add_f32_e32 v1, v1, v2
	v_mul_f32_e32 v2, v172, v223
	v_fma_f32 v2, v171, v222, -v2
	v_add_f32_e32 v1, v1, v2
	v_mul_f32_e32 v2, v174, v226
	v_fma_f32 v2, v173, v225, -v2
	v_add_f32_e32 v1, v1, v2
	v_mul_f32_e32 v2, v176, v228
	v_fma_f32 v2, v175, v227, -v2
	v_add_f32_e32 v1, v1, v2
	v_mul_f32_e32 v2, v178, v229
	v_fma_f32 v2, v177, v232, -v2
	v_add_f32_e32 v1, v1, v2
	v_mul_f32_e32 v2, v180, v231
	v_fma_f32 v2, v179, v230, -v2
	v_add_f32_e32 v1, v1, v2
	v_mul_f32_e32 v2, v182, v234
	v_fma_f32 v2, v181, v233, -v2
	v_add_f32_e32 v1, v1, v2
	v_mul_f32_e32 v2, v184, v236
	v_fma_f32 v2, v183, v235, -v2
	v_add_f32_e32 v1, v1, v2
	v_mul_f32_e32 v2, v186, v237
	v_fma_f32 v2, v185, v240, -v2
	v_add_f32_e32 v1, v1, v2
	v_mul_f32_e32 v2, v188, v239
	v_fma_f32 v2, v187, v238, -v2
	v_add_f32_e32 v1, v1, v2
	v_mul_f32_e32 v2, v190, v242
	v_fma_f32 v2, v189, v241, -v2
	v_add_f32_e32 v1, v1, v2
	v_mul_f32_e32 v2, v192, v244
	v_fma_f32 v2, v191, v243, -v2
	v_add_f32_e32 v1, v1, v2
	v_mul_f32_e32 v2, v194, v245
	v_fma_f32 v2, v193, v248, -v2
	v_add_f32_e32 v1, v1, v2
	v_mul_f32_e32 v2, v196, v247
	v_fma_f32 v2, v195, v246, -v2
	v_add_f32_e32 v1, v1, v2
	v_mul_f32_e32 v2, v198, v250
	v_fma_f32 v2, v197, v249, -v2
	v_add_f32_e32 v1, v1, v2
	v_mul_f32_e32 v2, v200, v252
	v_fma_f32 v2, v199, v251, -v2
	v_add_f32_e32 v1, v1, v2
	v_mul_f32_e32 v2, v202, v253
	v_fma_f32 v2, v201, v23, -v2
	v_add_f32_e32 v1, v1, v2
	v_mul_f32_e32 v2, v204, v255
	v_fma_f32 v2, v203, v254, -v2
	v_add_f32_e32 v1, v1, v2
	v_sub_f32_e32 v1, v105, v1
	v_sub_f32_e32 v2, v106, v24
	buffer_store_dword v1, off, s[0:3], 0 offset:56
	buffer_store_dword v2, off, s[0:3], 0 offset:60
	s_and_saveexec_b64 s[4:5], vcc
	s_cbranch_execz .LBB50_307
; %bb.306:
	buffer_load_dword v105, off, s[0:3], 0 offset:48
	buffer_load_dword v106, off, s[0:3], 0 offset:52
	s_waitcnt vmcnt(0)
	ds_write_b64 v103, v[105:106]
	buffer_store_dword v104, off, s[0:3], 0 offset:48
	buffer_store_dword v104, off, s[0:3], 0 offset:52
.LBB50_307:
	s_or_b64 exec, exec, s[4:5]
	s_waitcnt lgkmcnt(0)
	; wave barrier
	buffer_load_dword v113, off, s[0:3], 0 offset:60
	buffer_load_dword v112, off, s[0:3], 0 offset:68
	;; [unrolled: 1-line block ×32, first 2 shown]
	ds_read2_b64 v[119:122], v104 offset0:59 offset1:60
	ds_read2_b64 v[123:126], v104 offset0:61 offset1:62
	;; [unrolled: 1-line block ×4, first 2 shown]
	buffer_load_dword v19, off, s[0:3], 0 offset:176
	buffer_load_dword v20, off, s[0:3], 0 offset:180
	ds_read2_b64 v[135:138], v104 offset0:67 offset1:68
	ds_read2_b64 v[139:142], v104 offset0:69 offset1:70
	;; [unrolled: 1-line block ×3, first 2 shown]
	buffer_load_dword v21, off, s[0:3], 0 offset:184
	buffer_load_dword v22, off, s[0:3], 0 offset:188
	;; [unrolled: 1-line block ×16, first 2 shown]
	v_cmp_lt_u32_e32 vcc, 5, v0
	s_waitcnt vmcnt(49) lgkmcnt(6)
	v_mul_f32_e32 v147, v119, v113
	s_waitcnt vmcnt(48)
	v_mul_f32_e32 v148, v121, v112
	s_waitcnt vmcnt(47) lgkmcnt(5)
	v_mul_f32_e32 v149, v123, v111
	s_waitcnt vmcnt(46)
	v_mul_f32_e32 v150, v125, v110
	;; [unrolled: 4-line block ×6, first 2 shown]
	s_waitcnt vmcnt(37)
	v_fmac_f32_e32 v149, v124, v1
	s_waitcnt vmcnt(36)
	v_fmac_f32_e32 v148, v122, v2
	;; [unrolled: 2-line block ×3, first 2 shown]
	v_add_f32_e32 v147, 0, v147
	v_add_f32_e32 v147, v147, v148
	;; [unrolled: 1-line block ×3, first 2 shown]
	s_waitcnt vmcnt(31)
	v_fmac_f32_e32 v150, v126, v7
	v_fmac_f32_e32 v151, v128, v6
	v_add_f32_e32 v147, v147, v150
	v_fmac_f32_e32 v152, v130, v5
	v_add_f32_e32 v147, v147, v151
	;; [unrolled: 2-line block ×3, first 2 shown]
	s_waitcnt vmcnt(27)
	v_fmac_f32_e32 v154, v134, v11
	v_add_f32_e32 v147, v147, v153
	v_fmac_f32_e32 v155, v136, v10
	v_add_f32_e32 v147, v147, v154
	;; [unrolled: 2-line block ×4, first 2 shown]
	s_waitcnt vmcnt(23)
	v_fmac_f32_e32 v158, v142, v15
	v_add_f32_e32 v147, v147, v157
	v_add_f32_e32 v151, v147, v158
	ds_read2_b64 v[147:150], v104 offset0:73 offset1:74
	buffer_load_dword v217, off, s[0:3], 0 offset:248
	buffer_load_dword v218, off, s[0:3], 0 offset:252
	;; [unrolled: 1-line block ×14, first 2 shown]
	s_waitcnt vmcnt(36) lgkmcnt(1)
	v_mul_f32_e32 v152, v143, v16
	buffer_load_dword v231, off, s[0:3], 0 offset:304
	buffer_load_dword v232, off, s[0:3], 0 offset:308
	v_fmac_f32_e32 v152, v144, v14
	v_add_f32_e32 v151, v151, v152
	s_waitcnt vmcnt(37)
	v_mul_f32_e32 v152, v145, v17
	v_fmac_f32_e32 v152, v146, v13
	v_add_f32_e32 v151, v151, v152
	s_waitcnt vmcnt(36) lgkmcnt(0)
	v_mul_f32_e32 v152, v147, v18
	v_fmac_f32_e32 v152, v148, v12
	v_add_f32_e32 v155, v151, v152
	ds_read2_b64 v[151:154], v104 offset0:75 offset1:76
	buffer_load_dword v233, off, s[0:3], 0 offset:312
	buffer_load_dword v234, off, s[0:3], 0 offset:316
	;; [unrolled: 1-line block ×6, first 2 shown]
	s_waitcnt vmcnt(38)
	v_mul_f32_e32 v156, v149, v20
	v_fmac_f32_e32 v156, v150, v19
	v_add_f32_e32 v159, v155, v156
	ds_read2_b64 v[155:158], v104 offset0:77 offset1:78
	buffer_load_dword v239, off, s[0:3], 0 offset:336
	buffer_load_dword v240, off, s[0:3], 0 offset:340
	;; [unrolled: 1-line block ×10, first 2 shown]
	s_waitcnt vmcnt(46) lgkmcnt(1)
	v_mul_f32_e32 v160, v151, v22
	v_fmac_f32_e32 v160, v152, v21
	v_add_f32_e32 v159, v159, v160
	s_waitcnt vmcnt(44)
	v_mul_f32_e32 v160, v153, v24
	v_fmac_f32_e32 v160, v154, v23
	v_add_f32_e32 v159, v159, v160
	s_waitcnt vmcnt(42) lgkmcnt(0)
	v_mul_f32_e32 v160, v155, v26
	buffer_load_dword v249, off, s[0:3], 0 offset:376
	buffer_load_dword v250, off, s[0:3], 0 offset:380
	;; [unrolled: 1-line block ×6, first 2 shown]
	v_fmac_f32_e32 v160, v156, v25
	s_waitcnt vmcnt(46)
	v_mul_f32_e32 v164, v157, v208
	v_add_f32_e32 v163, v159, v160
	v_fmac_f32_e32 v164, v158, v207
	ds_read2_b64 v[159:162], v104 offset0:79 offset1:80
	v_add_f32_e32 v167, v163, v164
	ds_read2_b64 v[163:166], v104 offset0:81 offset1:82
	buffer_load_dword v255, off, s[0:3], 0 offset:400
	buffer_load_dword v27, off, s[0:3], 0 offset:404
	s_waitcnt vmcnt(46) lgkmcnt(1)
	v_mul_f32_e32 v28, v159, v210
	v_fmac_f32_e32 v28, v160, v209
	v_add_f32_e32 v28, v167, v28
	s_waitcnt vmcnt(44)
	v_mul_f32_e32 v167, v161, v212
	v_fmac_f32_e32 v167, v162, v211
	v_add_f32_e32 v28, v28, v167
	s_waitcnt vmcnt(42) lgkmcnt(0)
	v_mul_f32_e32 v167, v163, v214
	v_fmac_f32_e32 v167, v164, v213
	v_add_f32_e32 v28, v28, v167
	ds_read2_b64 v[167:170], v104 offset0:83 offset1:84
	s_waitcnt vmcnt(40)
	v_mul_f32_e32 v171, v165, v216
	v_fmac_f32_e32 v171, v166, v215
	v_add_f32_e32 v28, v28, v171
	ds_read2_b64 v[171:174], v104 offset0:85 offset1:86
	s_waitcnt vmcnt(38) lgkmcnt(1)
	v_mul_f32_e32 v175, v167, v218
	v_fmac_f32_e32 v175, v168, v217
	v_add_f32_e32 v28, v28, v175
	s_waitcnt vmcnt(37)
	v_mul_f32_e32 v175, v169, v219
	s_waitcnt vmcnt(34)
	v_fmac_f32_e32 v175, v170, v222
	v_add_f32_e32 v28, v28, v175
	s_waitcnt lgkmcnt(0)
	v_mul_f32_e32 v175, v171, v221
	v_fmac_f32_e32 v175, v172, v220
	v_add_f32_e32 v28, v28, v175
	ds_read2_b64 v[175:178], v104 offset0:87 offset1:88
	s_waitcnt vmcnt(32)
	v_mul_f32_e32 v179, v173, v224
	v_fmac_f32_e32 v179, v174, v223
	v_add_f32_e32 v28, v28, v179
	ds_read2_b64 v[179:182], v104 offset0:89 offset1:90
	s_waitcnt vmcnt(30) lgkmcnt(1)
	v_mul_f32_e32 v183, v175, v226
	v_fmac_f32_e32 v183, v176, v225
	v_add_f32_e32 v28, v28, v183
	s_waitcnt vmcnt(29)
	v_mul_f32_e32 v183, v177, v227
	s_waitcnt vmcnt(26)
	v_fmac_f32_e32 v183, v178, v230
	v_add_f32_e32 v28, v28, v183
	s_waitcnt lgkmcnt(0)
	;; [unrolled: 19-line block ×5, first 2 shown]
	v_mul_f32_e32 v104, v203, v253
	v_fmac_f32_e32 v104, v204, v252
	v_add_f32_e32 v28, v28, v104
	s_waitcnt vmcnt(0)
	v_mul_f32_e32 v104, v205, v27
	v_fmac_f32_e32 v104, v206, v255
	v_add_f32_e32 v28, v28, v104
	v_mul_f32_e32 v104, v120, v113
	v_fma_f32 v3, v119, v3, -v104
	v_mul_f32_e32 v104, v122, v112
	v_add_f32_e32 v3, 0, v3
	v_fma_f32 v2, v121, v2, -v104
	v_add_f32_e32 v2, v3, v2
	v_mul_f32_e32 v3, v124, v111
	v_fma_f32 v1, v123, v1, -v3
	v_add_f32_e32 v1, v2, v1
	v_mul_f32_e32 v2, v126, v110
	;; [unrolled: 3-line block ×42, first 2 shown]
	v_fma_f32 v2, v205, v255, -v2
	v_add_f32_e32 v1, v1, v2
	v_sub_f32_e32 v1, v105, v1
	v_sub_f32_e32 v2, v106, v28
	buffer_store_dword v1, off, s[0:3], 0 offset:48
	buffer_store_dword v2, off, s[0:3], 0 offset:52
	s_and_saveexec_b64 s[4:5], vcc
	s_cbranch_execz .LBB50_309
; %bb.308:
	buffer_load_dword v104, off, s[0:3], 0 offset:40
	buffer_load_dword v105, off, s[0:3], 0 offset:44
	v_mov_b32_e32 v1, 0
	buffer_store_dword v1, off, s[0:3], 0 offset:40
	buffer_store_dword v1, off, s[0:3], 0 offset:44
	s_waitcnt vmcnt(2)
	ds_write_b64 v103, v[104:105]
.LBB50_309:
	s_or_b64 exec, exec, s[4:5]
	s_waitcnt lgkmcnt(0)
	; wave barrier
	buffer_load_dword v1, off, s[0:3], 0 offset:52
	buffer_load_dword v2, off, s[0:3], 0 offset:60
	;; [unrolled: 1-line block ×48, first 2 shown]
	v_mov_b32_e32 v104, 0
	ds_read_b128 v[107:110], v104 offset:464
	ds_read_b128 v[111:114], v104 offset:480
	ds_read_b128 v[115:118], v104 offset:496
	ds_read_b128 v[119:122], v104 offset:512
	ds_read_b128 v[123:126], v104 offset:528
	ds_read_b128 v[127:130], v104 offset:544
	ds_read_b128 v[131:134], v104 offset:560
	v_cmp_lt_u32_e32 vcc, 4, v0
	s_waitcnt vmcnt(47) lgkmcnt(6)
	v_mul_f32_e32 v135, v107, v1
	s_waitcnt vmcnt(46)
	v_mul_f32_e32 v136, v109, v2
	s_waitcnt vmcnt(45) lgkmcnt(5)
	v_mul_f32_e32 v137, v111, v3
	s_waitcnt vmcnt(44)
	v_mul_f32_e32 v138, v113, v4
	;; [unrolled: 4-line block ×6, first 2 shown]
	s_waitcnt vmcnt(35)
	v_fmac_f32_e32 v137, v112, v13
	s_waitcnt vmcnt(34)
	v_fmac_f32_e32 v136, v110, v14
	;; [unrolled: 2-line block ×3, first 2 shown]
	v_add_f32_e32 v135, 0, v135
	v_add_f32_e32 v135, v135, v136
	;; [unrolled: 1-line block ×3, first 2 shown]
	s_waitcnt vmcnt(29)
	v_fmac_f32_e32 v138, v114, v19
	v_fmac_f32_e32 v139, v116, v18
	v_add_f32_e32 v135, v135, v138
	v_fmac_f32_e32 v140, v118, v17
	v_add_f32_e32 v135, v135, v139
	;; [unrolled: 2-line block ×3, first 2 shown]
	s_waitcnt vmcnt(25)
	v_fmac_f32_e32 v142, v122, v23
	v_add_f32_e32 v135, v135, v141
	v_fmac_f32_e32 v143, v124, v22
	v_add_f32_e32 v135, v135, v142
	;; [unrolled: 2-line block ×4, first 2 shown]
	s_waitcnt vmcnt(21)
	v_fmac_f32_e32 v146, v130, v27
	v_add_f32_e32 v135, v135, v145
	v_add_f32_e32 v139, v135, v146
	ds_read_b128 v[135:138], v104 offset:576
	buffer_load_dword v215, off, s[0:3], 0 offset:232
	buffer_load_dword v216, off, s[0:3], 0 offset:236
	;; [unrolled: 1-line block ×10, first 2 shown]
	s_waitcnt vmcnt(30) lgkmcnt(1)
	v_mul_f32_e32 v140, v131, v28
	v_fmac_f32_e32 v140, v132, v26
	buffer_load_dword v225, off, s[0:3], 0 offset:272
	buffer_load_dword v226, off, s[0:3], 0 offset:276
	buffer_load_dword v227, off, s[0:3], 0 offset:284
	buffer_load_dword v228, off, s[0:3], 0 offset:288
	buffer_load_dword v229, off, s[0:3], 0 offset:292
	buffer_load_dword v230, off, s[0:3], 0 offset:280
	v_add_f32_e32 v139, v139, v140
	s_waitcnt vmcnt(35)
	v_mul_f32_e32 v140, v133, v197
	v_fmac_f32_e32 v140, v134, v25
	v_add_f32_e32 v139, v139, v140
	s_waitcnt vmcnt(34) lgkmcnt(0)
	v_mul_f32_e32 v140, v135, v198
	v_fmac_f32_e32 v140, v136, v24
	v_add_f32_e32 v143, v139, v140
	ds_read_b128 v[139:142], v104 offset:592
	buffer_load_dword v231, off, s[0:3], 0 offset:296
	buffer_load_dword v232, off, s[0:3], 0 offset:300
	s_waitcnt vmcnt(32)
	v_mul_f32_e32 v144, v137, v200
	v_fmac_f32_e32 v144, v138, v199
	v_add_f32_e32 v147, v143, v144
	ds_read_b128 v[143:146], v104 offset:608
	buffer_load_dword v233, off, s[0:3], 0 offset:304
	buffer_load_dword v234, off, s[0:3], 0 offset:308
	;; [unrolled: 1-line block ×14, first 2 shown]
	s_waitcnt vmcnt(44) lgkmcnt(1)
	v_mul_f32_e32 v148, v139, v202
	v_fmac_f32_e32 v148, v140, v201
	buffer_load_dword v247, off, s[0:3], 0 offset:360
	buffer_load_dword v248, off, s[0:3], 0 offset:364
	v_add_f32_e32 v147, v147, v148
	s_waitcnt vmcnt(44)
	v_mul_f32_e32 v148, v141, v204
	v_fmac_f32_e32 v148, v142, v203
	v_add_f32_e32 v147, v147, v148
	s_waitcnt vmcnt(42) lgkmcnt(0)
	v_mul_f32_e32 v148, v143, v206
	v_fmac_f32_e32 v148, v144, v205
	v_mul_f32_e32 v1, v108, v1
	v_add_f32_e32 v151, v147, v148
	ds_read_b128 v[147:150], v104 offset:624
	buffer_load_dword v249, off, s[0:3], 0 offset:368
	buffer_load_dword v250, off, s[0:3], 0 offset:372
	;; [unrolled: 1-line block ×6, first 2 shown]
	v_fma_f32 v1, v107, v15, -v1
	v_mul_f32_e32 v2, v110, v2
	v_add_f32_e32 v1, 0, v1
	v_fma_f32 v2, v109, v14, -v2
	v_add_f32_e32 v1, v1, v2
	v_mul_f32_e32 v2, v112, v3
	s_waitcnt vmcnt(46)
	v_mul_f32_e32 v152, v145, v208
	v_fma_f32 v2, v111, v13, -v2
	v_fmac_f32_e32 v152, v146, v207
	v_add_f32_e32 v1, v1, v2
	v_mul_f32_e32 v2, v114, v4
	v_add_f32_e32 v155, v151, v152
	ds_read_b128 v[151:154], v104 offset:640
	buffer_load_dword v255, off, s[0:3], 0 offset:396
	buffer_load_dword v29, off, s[0:3], 0 offset:400
	;; [unrolled: 1-line block ×4, first 2 shown]
	v_fma_f32 v2, v113, v19, -v2
	v_add_f32_e32 v1, v1, v2
	v_mul_f32_e32 v2, v116, v5
	v_fma_f32 v2, v115, v18, -v2
	v_add_f32_e32 v1, v1, v2
	v_mul_f32_e32 v2, v118, v6
	;; [unrolled: 3-line block ×8, first 2 shown]
	v_fma_f32 v2, v129, v27, -v2
	s_waitcnt vmcnt(48) lgkmcnt(1)
	v_mul_f32_e32 v156, v147, v210
	v_add_f32_e32 v1, v1, v2
	v_mul_f32_e32 v2, v132, v28
	v_fmac_f32_e32 v156, v148, v209
	v_fma_f32 v2, v131, v26, -v2
	v_add_f32_e32 v32, v155, v156
	s_waitcnt vmcnt(46)
	v_mul_f32_e32 v155, v149, v212
	v_add_f32_e32 v1, v1, v2
	v_mul_f32_e32 v2, v134, v197
	v_fmac_f32_e32 v155, v150, v211
	v_fma_f32 v2, v133, v25, -v2
	v_add_f32_e32 v32, v32, v155
	s_waitcnt vmcnt(44) lgkmcnt(0)
	v_mul_f32_e32 v155, v151, v214
	v_add_f32_e32 v1, v1, v2
	v_mul_f32_e32 v2, v136, v198
	v_fmac_f32_e32 v155, v152, v213
	v_fma_f32 v2, v135, v24, -v2
	v_add_f32_e32 v32, v32, v155
	ds_read_b128 v[155:158], v104 offset:656
	v_add_f32_e32 v1, v1, v2
	v_mul_f32_e32 v2, v138, v200
	v_fma_f32 v2, v137, v199, -v2
	s_waitcnt vmcnt(42)
	v_mul_f32_e32 v159, v153, v216
	v_add_f32_e32 v1, v1, v2
	v_mul_f32_e32 v2, v140, v202
	v_fmac_f32_e32 v159, v154, v215
	v_fma_f32 v2, v139, v201, -v2
	v_add_f32_e32 v32, v32, v159
	ds_read_b128 v[159:162], v104 offset:672
	v_add_f32_e32 v1, v1, v2
	v_mul_f32_e32 v2, v142, v204
	s_waitcnt vmcnt(40) lgkmcnt(1)
	v_mul_f32_e32 v163, v155, v218
	v_fma_f32 v2, v141, v203, -v2
	v_fmac_f32_e32 v163, v156, v217
	v_add_f32_e32 v1, v1, v2
	v_mul_f32_e32 v2, v144, v206
	v_add_f32_e32 v32, v32, v163
	s_waitcnt vmcnt(39)
	v_mul_f32_e32 v163, v157, v219
	v_fma_f32 v2, v143, v205, -v2
	s_waitcnt vmcnt(36)
	v_fmac_f32_e32 v163, v158, v222
	v_add_f32_e32 v1, v1, v2
	v_mul_f32_e32 v2, v146, v208
	v_add_f32_e32 v32, v32, v163
	s_waitcnt lgkmcnt(0)
	v_mul_f32_e32 v163, v159, v221
	v_fma_f32 v2, v145, v207, -v2
	v_fmac_f32_e32 v163, v160, v220
	v_add_f32_e32 v1, v1, v2
	v_mul_f32_e32 v2, v148, v210
	v_add_f32_e32 v32, v32, v163
	ds_read_b128 v[163:166], v104 offset:688
	v_fma_f32 v2, v147, v209, -v2
	v_add_f32_e32 v1, v1, v2
	v_mul_f32_e32 v2, v150, v212
	s_waitcnt vmcnt(34)
	v_mul_f32_e32 v167, v161, v224
	v_fma_f32 v2, v149, v211, -v2
	v_fmac_f32_e32 v167, v162, v223
	v_add_f32_e32 v1, v1, v2
	v_mul_f32_e32 v2, v152, v214
	v_add_f32_e32 v32, v32, v167
	ds_read_b128 v[167:170], v104 offset:704
	v_fma_f32 v2, v151, v213, -v2
	s_waitcnt vmcnt(32) lgkmcnt(1)
	v_mul_f32_e32 v171, v163, v226
	v_add_f32_e32 v1, v1, v2
	v_mul_f32_e32 v2, v154, v216
	v_fmac_f32_e32 v171, v164, v225
	v_fma_f32 v2, v153, v215, -v2
	v_add_f32_e32 v32, v32, v171
	s_waitcnt vmcnt(31)
	v_mul_f32_e32 v171, v165, v227
	v_add_f32_e32 v1, v1, v2
	v_mul_f32_e32 v2, v156, v218
	s_waitcnt vmcnt(28)
	v_fmac_f32_e32 v171, v166, v230
	v_fma_f32 v2, v155, v217, -v2
	v_add_f32_e32 v32, v32, v171
	s_waitcnt lgkmcnt(0)
	v_mul_f32_e32 v171, v167, v229
	v_add_f32_e32 v1, v1, v2
	v_mul_f32_e32 v2, v158, v219
	v_fmac_f32_e32 v171, v168, v228
	v_fma_f32 v2, v157, v222, -v2
	v_add_f32_e32 v32, v32, v171
	ds_read_b128 v[171:174], v104 offset:720
	v_add_f32_e32 v1, v1, v2
	v_mul_f32_e32 v2, v160, v221
	v_fma_f32 v2, v159, v220, -v2
	s_waitcnt vmcnt(26)
	v_mul_f32_e32 v175, v169, v232
	v_add_f32_e32 v1, v1, v2
	v_mul_f32_e32 v2, v162, v224
	v_fmac_f32_e32 v175, v170, v231
	v_fma_f32 v2, v161, v223, -v2
	v_add_f32_e32 v32, v32, v175
	ds_read_b128 v[175:178], v104 offset:736
	v_add_f32_e32 v1, v1, v2
	v_mul_f32_e32 v2, v164, v226
	s_waitcnt vmcnt(24) lgkmcnt(1)
	v_mul_f32_e32 v179, v171, v234
	v_fma_f32 v2, v163, v225, -v2
	v_fmac_f32_e32 v179, v172, v233
	v_add_f32_e32 v1, v1, v2
	v_mul_f32_e32 v2, v166, v227
	v_add_f32_e32 v32, v32, v179
	s_waitcnt vmcnt(23)
	v_mul_f32_e32 v179, v173, v235
	v_fma_f32 v2, v165, v230, -v2
	s_waitcnt vmcnt(20)
	v_fmac_f32_e32 v179, v174, v238
	v_add_f32_e32 v1, v1, v2
	v_mul_f32_e32 v2, v168, v229
	v_add_f32_e32 v32, v32, v179
	s_waitcnt lgkmcnt(0)
	v_mul_f32_e32 v179, v175, v237
	v_fma_f32 v2, v167, v228, -v2
	v_fmac_f32_e32 v179, v176, v236
	v_add_f32_e32 v1, v1, v2
	v_mul_f32_e32 v2, v170, v232
	v_add_f32_e32 v32, v32, v179
	ds_read_b128 v[179:182], v104 offset:752
	v_fma_f32 v2, v169, v231, -v2
	v_add_f32_e32 v1, v1, v2
	v_mul_f32_e32 v2, v172, v234
	s_waitcnt vmcnt(18)
	v_mul_f32_e32 v183, v177, v240
	v_fma_f32 v2, v171, v233, -v2
	v_fmac_f32_e32 v183, v178, v239
	v_add_f32_e32 v1, v1, v2
	v_mul_f32_e32 v2, v174, v235
	v_add_f32_e32 v32, v32, v183
	ds_read_b128 v[183:186], v104 offset:768
	v_fma_f32 v2, v173, v238, -v2
	s_waitcnt vmcnt(16) lgkmcnt(1)
	v_mul_f32_e32 v187, v179, v242
	v_add_f32_e32 v1, v1, v2
	v_mul_f32_e32 v2, v176, v237
	v_fmac_f32_e32 v187, v180, v241
	v_fma_f32 v2, v175, v236, -v2
	v_add_f32_e32 v32, v32, v187
	s_waitcnt vmcnt(15)
	v_mul_f32_e32 v187, v181, v243
	v_add_f32_e32 v1, v1, v2
	v_mul_f32_e32 v2, v178, v240
	s_waitcnt vmcnt(12)
	v_fmac_f32_e32 v187, v182, v246
	v_fma_f32 v2, v177, v239, -v2
	v_add_f32_e32 v32, v32, v187
	s_waitcnt lgkmcnt(0)
	v_mul_f32_e32 v187, v183, v245
	v_add_f32_e32 v1, v1, v2
	v_mul_f32_e32 v2, v180, v242
	v_fmac_f32_e32 v187, v184, v244
	v_fma_f32 v2, v179, v241, -v2
	v_add_f32_e32 v32, v32, v187
	ds_read_b128 v[187:190], v104 offset:784
	v_add_f32_e32 v1, v1, v2
	v_mul_f32_e32 v2, v182, v243
	v_fma_f32 v2, v181, v246, -v2
	v_add_f32_e32 v1, v1, v2
	v_mul_f32_e32 v2, v184, v245
	s_waitcnt vmcnt(10)
	v_mul_f32_e32 v191, v185, v248
	v_fma_f32 v2, v183, v244, -v2
	v_fmac_f32_e32 v191, v186, v247
	v_add_f32_e32 v1, v1, v2
	v_mul_f32_e32 v2, v186, v248
	v_add_f32_e32 v32, v32, v191
	ds_read_b128 v[191:194], v104 offset:800
	s_waitcnt vmcnt(8) lgkmcnt(1)
	v_mul_f32_e32 v195, v187, v250
	v_fma_f32 v2, v185, v247, -v2
	v_fmac_f32_e32 v195, v188, v249
	v_add_f32_e32 v1, v1, v2
	v_mul_f32_e32 v2, v188, v250
	v_add_f32_e32 v32, v32, v195
	s_waitcnt vmcnt(7)
	v_mul_f32_e32 v195, v189, v251
	v_fma_f32 v2, v187, v249, -v2
	s_waitcnt vmcnt(4)
	v_fmac_f32_e32 v195, v190, v254
	v_add_f32_e32 v1, v1, v2
	v_mul_f32_e32 v2, v190, v251
	v_add_f32_e32 v32, v32, v195
	ds_read_b64 v[195:196], v104 offset:816
	v_fma_f32 v2, v189, v254, -v2
	v_add_f32_e32 v1, v1, v2
	s_waitcnt lgkmcnt(1)
	v_mul_f32_e32 v2, v192, v253
	v_mul_f32_e32 v33, v191, v253
	v_fma_f32 v2, v191, v252, -v2
	v_fmac_f32_e32 v33, v192, v252
	v_add_f32_e32 v1, v1, v2
	s_waitcnt vmcnt(3)
	v_mul_f32_e32 v2, v194, v255
	v_add_f32_e32 v32, v32, v33
	v_mul_f32_e32 v33, v193, v255
	s_waitcnt vmcnt(0)
	v_fma_f32 v2, v193, v31, -v2
	v_fmac_f32_e32 v33, v194, v31
	v_add_f32_e32 v1, v1, v2
	s_waitcnt lgkmcnt(0)
	v_mul_f32_e32 v2, v196, v30
	v_add_f32_e32 v32, v32, v33
	v_mul_f32_e32 v33, v195, v30
	v_fma_f32 v2, v195, v29, -v2
	v_fmac_f32_e32 v33, v196, v29
	v_add_f32_e32 v1, v1, v2
	v_add_f32_e32 v32, v32, v33
	v_sub_f32_e32 v1, v105, v1
	v_sub_f32_e32 v2, v106, v32
	buffer_store_dword v1, off, s[0:3], 0 offset:40
	buffer_store_dword v2, off, s[0:3], 0 offset:44
	s_and_saveexec_b64 s[4:5], vcc
	s_cbranch_execz .LBB50_311
; %bb.310:
	buffer_load_dword v105, off, s[0:3], 0 offset:32
	buffer_load_dword v106, off, s[0:3], 0 offset:36
	s_waitcnt vmcnt(0)
	ds_write_b64 v103, v[105:106]
	buffer_store_dword v104, off, s[0:3], 0 offset:32
	buffer_store_dword v104, off, s[0:3], 0 offset:36
.LBB50_311:
	s_or_b64 exec, exec, s[4:5]
	s_waitcnt lgkmcnt(0)
	; wave barrier
	buffer_load_dword v113, off, s[0:3], 0 offset:44
	buffer_load_dword v112, off, s[0:3], 0 offset:52
	;; [unrolled: 1-line block ×33, first 2 shown]
	ds_read2_b64 v[114:117], v104 offset0:57 offset1:58
	ds_read2_b64 v[118:121], v104 offset0:59 offset1:60
	;; [unrolled: 1-line block ×6, first 2 shown]
	buffer_load_dword v25, off, s[0:3], 0 offset:160
	buffer_load_dword v26, off, s[0:3], 0 offset:172
	;; [unrolled: 1-line block ×7, first 2 shown]
	ds_read2_b64 v[138:141], v104 offset0:69 offset1:70
	ds_read2_b64 v[142:145], v104 offset0:71 offset1:72
	buffer_load_dword v32, off, s[0:3], 0 offset:192
	buffer_load_dword v33, off, s[0:3], 0 offset:196
	;; [unrolled: 1-line block ×18, first 2 shown]
	v_cmp_lt_u32_e32 vcc, 3, v0
	s_waitcnt vmcnt(57) lgkmcnt(7)
	v_mul_f32_e32 v146, v114, v113
	s_waitcnt vmcnt(56)
	v_mul_f32_e32 v147, v116, v112
	s_waitcnt vmcnt(55) lgkmcnt(6)
	v_mul_f32_e32 v148, v118, v111
	s_waitcnt vmcnt(54)
	v_mul_f32_e32 v149, v120, v110
	;; [unrolled: 4-line block ×6, first 2 shown]
	s_waitcnt vmcnt(45)
	v_fmac_f32_e32 v148, v119, v6
	s_waitcnt vmcnt(44)
	v_fmac_f32_e32 v147, v117, v7
	;; [unrolled: 2-line block ×3, first 2 shown]
	v_add_f32_e32 v146, 0, v146
	v_add_f32_e32 v146, v146, v147
	v_add_f32_e32 v146, v146, v148
	s_waitcnt vmcnt(39)
	v_fmac_f32_e32 v149, v121, v12
	v_fmac_f32_e32 v150, v123, v11
	v_add_f32_e32 v146, v146, v149
	v_fmac_f32_e32 v151, v125, v10
	v_add_f32_e32 v146, v146, v150
	;; [unrolled: 2-line block ×3, first 2 shown]
	s_waitcnt vmcnt(35)
	v_fmac_f32_e32 v153, v129, v16
	v_add_f32_e32 v146, v146, v152
	v_fmac_f32_e32 v154, v131, v15
	v_add_f32_e32 v146, v146, v153
	;; [unrolled: 2-line block ×4, first 2 shown]
	s_waitcnt vmcnt(31)
	v_fmac_f32_e32 v157, v137, v20
	v_add_f32_e32 v146, v146, v156
	s_waitcnt vmcnt(30) lgkmcnt(1)
	v_mul_f32_e32 v147, v138, v21
	v_add_f32_e32 v146, v146, v157
	v_fmac_f32_e32 v147, v139, v19
	v_add_f32_e32 v146, v146, v147
	s_waitcnt vmcnt(29)
	v_mul_f32_e32 v147, v140, v22
	v_fmac_f32_e32 v147, v141, v18
	v_add_f32_e32 v146, v146, v147
	s_waitcnt vmcnt(28) lgkmcnt(0)
	v_mul_f32_e32 v147, v142, v23
	v_fmac_f32_e32 v147, v143, v17
	v_add_f32_e32 v150, v146, v147
	ds_read2_b64 v[146:149], v104 offset0:73 offset1:74
	buffer_load_dword v221, off, s[0:3], 0 offset:264
	buffer_load_dword v222, off, s[0:3], 0 offset:268
	;; [unrolled: 1-line block ×6, first 2 shown]
	s_waitcnt vmcnt(33)
	v_mul_f32_e32 v151, v144, v24
	s_waitcnt vmcnt(30)
	v_fmac_f32_e32 v151, v145, v25
	v_add_f32_e32 v154, v150, v151
	ds_read2_b64 v[150:153], v104 offset0:75 offset1:76
	buffer_load_dword v227, off, s[0:3], 0 offset:288
	buffer_load_dword v228, off, s[0:3], 0 offset:292
	buffer_load_dword v229, off, s[0:3], 0 offset:296
	buffer_load_dword v230, off, s[0:3], 0 offset:300
	buffer_load_dword v231, off, s[0:3], 0 offset:308
	buffer_load_dword v232, off, s[0:3], 0 offset:312
	buffer_load_dword v233, off, s[0:3], 0 offset:316
	buffer_load_dword v234, off, s[0:3], 0 offset:304
	buffer_load_dword v235, off, s[0:3], 0 offset:320
	buffer_load_dword v236, off, s[0:3], 0 offset:324
	s_waitcnt vmcnt(39) lgkmcnt(1)
	v_mul_f32_e32 v155, v146, v26
	buffer_load_dword v237, off, s[0:3], 0 offset:328
	buffer_load_dword v238, off, s[0:3], 0 offset:332
	;; [unrolled: 1-line block ×6, first 2 shown]
	s_waitcnt vmcnt(40)
	v_fmac_f32_e32 v155, v147, v31
	v_add_f32_e32 v154, v154, v155
	v_mul_f32_e32 v155, v148, v28
	v_fmac_f32_e32 v155, v149, v27
	v_add_f32_e32 v154, v154, v155
	s_waitcnt lgkmcnt(0)
	v_mul_f32_e32 v155, v150, v30
	v_fmac_f32_e32 v155, v151, v29
	v_add_f32_e32 v158, v154, v155
	ds_read2_b64 v[154:157], v104 offset0:77 offset1:78
	buffer_load_dword v243, off, s[0:3], 0 offset:352
	buffer_load_dword v244, off, s[0:3], 0 offset:356
	s_waitcnt vmcnt(40)
	v_mul_f32_e32 v159, v152, v33
	v_fmac_f32_e32 v159, v153, v32
	v_add_f32_e32 v162, v158, v159
	ds_read2_b64 v[158:161], v104 offset0:79 offset1:80
	buffer_load_dword v245, off, s[0:3], 0 offset:360
	buffer_load_dword v246, off, s[0:3], 0 offset:364
	;; [unrolled: 1-line block ×12, first 2 shown]
	s_waitcnt vmcnt(50) lgkmcnt(1)
	v_mul_f32_e32 v163, v154, v206
	v_fmac_f32_e32 v163, v155, v34
	v_add_f32_e32 v162, v162, v163
	s_waitcnt vmcnt(48)
	v_mul_f32_e32 v163, v156, v208
	v_fmac_f32_e32 v163, v157, v207
	v_add_f32_e32 v36, v162, v163
	s_waitcnt vmcnt(46) lgkmcnt(0)
	v_mul_f32_e32 v162, v158, v210
	v_fmac_f32_e32 v162, v159, v209
	v_add_f32_e32 v36, v36, v162
	ds_read2_b64 v[162:165], v104 offset0:81 offset1:82
	s_waitcnt vmcnt(44)
	v_mul_f32_e32 v166, v160, v212
	v_fmac_f32_e32 v166, v161, v211
	v_add_f32_e32 v36, v36, v166
	ds_read2_b64 v[166:169], v104 offset0:83 offset1:84
	s_waitcnt vmcnt(42) lgkmcnt(1)
	v_mul_f32_e32 v170, v162, v214
	v_fmac_f32_e32 v170, v163, v213
	v_add_f32_e32 v36, v36, v170
	s_waitcnt vmcnt(41)
	v_mul_f32_e32 v170, v164, v215
	s_waitcnt vmcnt(38)
	v_fmac_f32_e32 v170, v165, v218
	v_add_f32_e32 v36, v36, v170
	s_waitcnt lgkmcnt(0)
	v_mul_f32_e32 v170, v166, v217
	v_fmac_f32_e32 v170, v167, v216
	v_add_f32_e32 v36, v36, v170
	ds_read2_b64 v[170:173], v104 offset0:85 offset1:86
	s_waitcnt vmcnt(36)
	v_mul_f32_e32 v174, v168, v220
	v_fmac_f32_e32 v174, v169, v219
	v_add_f32_e32 v36, v36, v174
	ds_read2_b64 v[174:177], v104 offset0:87 offset1:88
	v_mul_f32_e32 v1, v129, v1
	v_fma_f32 v1, v128, v16, -v1
	v_mul_f32_e32 v2, v131, v2
	v_fma_f32 v2, v130, v15, -v2
	s_waitcnt vmcnt(34) lgkmcnt(1)
	v_mul_f32_e32 v178, v170, v222
	v_fmac_f32_e32 v178, v171, v221
	v_add_f32_e32 v36, v36, v178
	s_waitcnt vmcnt(33)
	v_mul_f32_e32 v178, v172, v223
	s_waitcnt vmcnt(30)
	v_fmac_f32_e32 v178, v173, v226
	v_add_f32_e32 v36, v36, v178
	s_waitcnt lgkmcnt(0)
	v_mul_f32_e32 v178, v174, v225
	v_fmac_f32_e32 v178, v175, v224
	v_add_f32_e32 v36, v36, v178
	ds_read2_b64 v[178:181], v104 offset0:89 offset1:90
	s_waitcnt vmcnt(28)
	v_mul_f32_e32 v182, v176, v228
	v_fmac_f32_e32 v182, v177, v227
	v_add_f32_e32 v36, v36, v182
	ds_read2_b64 v[182:185], v104 offset0:91 offset1:92
	s_waitcnt vmcnt(26) lgkmcnt(1)
	v_mul_f32_e32 v186, v178, v230
	v_fmac_f32_e32 v186, v179, v229
	v_add_f32_e32 v36, v36, v186
	s_waitcnt vmcnt(25)
	v_mul_f32_e32 v186, v180, v231
	s_waitcnt vmcnt(22)
	v_fmac_f32_e32 v186, v181, v234
	v_add_f32_e32 v36, v36, v186
	s_waitcnt lgkmcnt(0)
	v_mul_f32_e32 v186, v182, v233
	v_fmac_f32_e32 v186, v183, v232
	v_add_f32_e32 v36, v36, v186
	ds_read2_b64 v[186:189], v104 offset0:93 offset1:94
	s_waitcnt vmcnt(20)
	v_mul_f32_e32 v190, v184, v236
	v_fmac_f32_e32 v190, v185, v235
	v_add_f32_e32 v36, v36, v190
	ds_read2_b64 v[190:193], v104 offset0:95 offset1:96
	;; [unrolled: 19-line block ×3, first 2 shown]
	s_waitcnt vmcnt(10) lgkmcnt(1)
	v_mul_f32_e32 v202, v194, v246
	v_fmac_f32_e32 v202, v195, v245
	v_add_f32_e32 v36, v36, v202
	s_waitcnt vmcnt(9)
	v_mul_f32_e32 v202, v196, v247
	s_waitcnt vmcnt(6)
	v_fmac_f32_e32 v202, v197, v250
	v_add_f32_e32 v36, v36, v202
	ds_read2_b64 v[202:205], v104 offset0:101 offset1:102
	s_waitcnt lgkmcnt(1)
	v_mul_f32_e32 v37, v198, v249
	v_fmac_f32_e32 v37, v199, v248
	v_add_f32_e32 v36, v36, v37
	s_waitcnt vmcnt(4)
	v_mul_f32_e32 v37, v200, v252
	v_fmac_f32_e32 v37, v201, v251
	v_add_f32_e32 v36, v36, v37
	s_waitcnt vmcnt(3) lgkmcnt(0)
	v_mul_f32_e32 v37, v202, v253
	s_waitcnt vmcnt(0)
	v_fmac_f32_e32 v37, v203, v35
	v_add_f32_e32 v36, v36, v37
	v_mul_f32_e32 v37, v204, v255
	v_fmac_f32_e32 v37, v205, v254
	v_add_f32_e32 v36, v36, v37
	v_mul_f32_e32 v37, v115, v113
	v_fma_f32 v8, v114, v8, -v37
	v_mul_f32_e32 v37, v117, v112
	v_add_f32_e32 v8, 0, v8
	v_fma_f32 v7, v116, v7, -v37
	v_add_f32_e32 v7, v8, v7
	v_mul_f32_e32 v8, v119, v111
	v_fma_f32 v6, v118, v6, -v8
	v_add_f32_e32 v6, v7, v6
	v_mul_f32_e32 v7, v121, v110
	;; [unrolled: 3-line block ×5, first 2 shown]
	v_fma_f32 v7, v126, v9, -v7
	v_add_f32_e32 v6, v6, v7
	v_add_f32_e32 v1, v6, v1
	v_add_f32_e32 v1, v1, v2
	v_mul_f32_e32 v2, v133, v3
	v_fma_f32 v2, v132, v14, -v2
	v_add_f32_e32 v1, v1, v2
	v_mul_f32_e32 v2, v135, v4
	v_fma_f32 v2, v134, v13, -v2
	v_add_f32_e32 v1, v1, v2
	;; [unrolled: 3-line block ×37, first 2 shown]
	v_sub_f32_e32 v1, v105, v1
	v_sub_f32_e32 v2, v106, v36
	buffer_store_dword v1, off, s[0:3], 0 offset:32
	buffer_store_dword v2, off, s[0:3], 0 offset:36
	s_and_saveexec_b64 s[4:5], vcc
	s_cbranch_execz .LBB50_313
; %bb.312:
	buffer_load_dword v104, off, s[0:3], 0 offset:24
	buffer_load_dword v105, off, s[0:3], 0 offset:28
	v_mov_b32_e32 v1, 0
	buffer_store_dword v1, off, s[0:3], 0 offset:24
	buffer_store_dword v1, off, s[0:3], 0 offset:28
	s_waitcnt vmcnt(2)
	ds_write_b64 v103, v[104:105]
.LBB50_313:
	s_or_b64 exec, exec, s[4:5]
	s_waitcnt lgkmcnt(0)
	; wave barrier
	buffer_load_dword v111, off, s[0:3], 0 offset:36
	buffer_load_dword v110, off, s[0:3], 0 offset:44
	;; [unrolled: 1-line block ×48, first 2 shown]
	v_mov_b32_e32 v104, 0
	ds_read_b128 v[114:117], v104 offset:448
	ds_read_b128 v[118:121], v104 offset:464
	;; [unrolled: 1-line block ×7, first 2 shown]
	v_cmp_lt_u32_e32 vcc, 2, v0
	s_waitcnt vmcnt(47) lgkmcnt(6)
	v_mul_f32_e32 v142, v114, v111
	s_waitcnt vmcnt(46)
	v_mul_f32_e32 v143, v116, v110
	s_waitcnt vmcnt(45) lgkmcnt(5)
	v_mul_f32_e32 v144, v118, v109
	s_waitcnt vmcnt(44)
	v_mul_f32_e32 v145, v120, v108
	;; [unrolled: 4-line block ×6, first 2 shown]
	s_waitcnt vmcnt(35)
	v_fmac_f32_e32 v144, v119, v6
	s_waitcnt vmcnt(34)
	v_fmac_f32_e32 v143, v117, v7
	;; [unrolled: 2-line block ×3, first 2 shown]
	v_add_f32_e32 v142, 0, v142
	v_add_f32_e32 v142, v142, v143
	;; [unrolled: 1-line block ×3, first 2 shown]
	s_waitcnt vmcnt(29)
	v_fmac_f32_e32 v145, v121, v12
	v_fmac_f32_e32 v146, v123, v11
	v_add_f32_e32 v142, v142, v145
	v_fmac_f32_e32 v147, v125, v10
	v_add_f32_e32 v142, v142, v146
	;; [unrolled: 2-line block ×3, first 2 shown]
	s_waitcnt vmcnt(25)
	v_fmac_f32_e32 v149, v129, v16
	v_add_f32_e32 v142, v142, v148
	v_fmac_f32_e32 v150, v131, v15
	v_add_f32_e32 v142, v142, v149
	;; [unrolled: 2-line block ×4, first 2 shown]
	s_waitcnt vmcnt(21)
	v_fmac_f32_e32 v153, v137, v20
	v_add_f32_e32 v142, v142, v152
	v_add_f32_e32 v146, v142, v153
	ds_read_b128 v[142:145], v104 offset:560
	buffer_load_dword v209, off, s[0:3], 0 offset:216
	buffer_load_dword v210, off, s[0:3], 0 offset:220
	buffer_load_dword v211, off, s[0:3], 0 offset:224
	buffer_load_dword v212, off, s[0:3], 0 offset:228
	buffer_load_dword v213, off, s[0:3], 0 offset:236
	buffer_load_dword v214, off, s[0:3], 0 offset:240
	buffer_load_dword v215, off, s[0:3], 0 offset:244
	buffer_load_dword v216, off, s[0:3], 0 offset:232
	s_waitcnt vmcnt(28) lgkmcnt(1)
	v_mul_f32_e32 v147, v138, v21
	buffer_load_dword v217, off, s[0:3], 0 offset:248
	buffer_load_dword v218, off, s[0:3], 0 offset:252
	v_fmac_f32_e32 v147, v139, v19
	v_add_f32_e32 v146, v146, v147
	s_waitcnt vmcnt(29)
	v_mul_f32_e32 v147, v140, v22
	v_fmac_f32_e32 v147, v141, v18
	v_add_f32_e32 v146, v146, v147
	s_waitcnt vmcnt(28) lgkmcnt(0)
	v_mul_f32_e32 v147, v142, v23
	v_fmac_f32_e32 v147, v143, v17
	v_add_f32_e32 v150, v146, v147
	ds_read_b128 v[146:149], v104 offset:576
	buffer_load_dword v219, off, s[0:3], 0 offset:256
	buffer_load_dword v220, off, s[0:3], 0 offset:260
	;; [unrolled: 1-line block ×6, first 2 shown]
	s_waitcnt vmcnt(33)
	v_mul_f32_e32 v151, v144, v24
	s_waitcnt vmcnt(26)
	v_fmac_f32_e32 v151, v145, v31
	v_add_f32_e32 v154, v150, v151
	ds_read_b128 v[150:153], v104 offset:592
	buffer_load_dword v225, off, s[0:3], 0 offset:280
	buffer_load_dword v226, off, s[0:3], 0 offset:284
	;; [unrolled: 1-line block ×8, first 2 shown]
	s_waitcnt lgkmcnt(1)
	v_mul_f32_e32 v155, v146, v26
	buffer_load_dword v233, off, s[0:3], 0 offset:312
	buffer_load_dword v234, off, s[0:3], 0 offset:316
	v_fmac_f32_e32 v155, v147, v25
	v_add_f32_e32 v154, v154, v155
	v_mul_f32_e32 v155, v148, v28
	v_fmac_f32_e32 v155, v149, v27
	v_add_f32_e32 v154, v154, v155
	s_waitcnt lgkmcnt(0)
	v_mul_f32_e32 v155, v150, v30
	v_fmac_f32_e32 v155, v151, v29
	v_add_f32_e32 v158, v154, v155
	ds_read_b128 v[154:157], v104 offset:608
	buffer_load_dword v235, off, s[0:3], 0 offset:320
	buffer_load_dword v236, off, s[0:3], 0 offset:324
	;; [unrolled: 1-line block ×6, first 2 shown]
	s_waitcnt vmcnt(38)
	v_mul_f32_e32 v159, v152, v33
	v_fmac_f32_e32 v159, v153, v32
	v_add_f32_e32 v162, v158, v159
	ds_read_b128 v[158:161], v104 offset:624
	buffer_load_dword v241, off, s[0:3], 0 offset:344
	buffer_load_dword v242, off, s[0:3], 0 offset:348
	buffer_load_dword v243, off, s[0:3], 0 offset:352
	buffer_load_dword v244, off, s[0:3], 0 offset:356
	buffer_load_dword v245, off, s[0:3], 0 offset:364
	buffer_load_dword v246, off, s[0:3], 0 offset:368
	buffer_load_dword v247, off, s[0:3], 0 offset:372
	buffer_load_dword v248, off, s[0:3], 0 offset:360
	buffer_load_dword v249, off, s[0:3], 0 offset:376
	buffer_load_dword v250, off, s[0:3], 0 offset:380
	buffer_load_dword v251, off, s[0:3], 0 offset:384
	buffer_load_dword v252, off, s[0:3], 0 offset:388
	buffer_load_dword v253, off, s[0:3], 0 offset:396
	buffer_load_dword v254, off, s[0:3], 0 offset:400
	buffer_load_dword v255, off, s[0:3], 0 offset:404
	buffer_load_dword v39, off, s[0:3], 0 offset:392
	s_waitcnt vmcnt(52) lgkmcnt(1)
	v_mul_f32_e32 v163, v154, v35
	v_fmac_f32_e32 v163, v155, v34
	v_add_f32_e32 v162, v162, v163
	s_waitcnt vmcnt(50)
	v_mul_f32_e32 v163, v156, v37
	v_fmac_f32_e32 v163, v157, v36
	v_add_f32_e32 v162, v162, v163
	s_waitcnt vmcnt(48) lgkmcnt(0)
	v_mul_f32_e32 v163, v158, v208
	v_fmac_f32_e32 v163, v159, v38
	v_add_f32_e32 v166, v162, v163
	ds_read_b128 v[162:165], v104 offset:640
	v_mul_f32_e32 v1, v129, v1
	v_fma_f32 v1, v128, v16, -v1
	v_mul_f32_e32 v2, v131, v2
	v_fma_f32 v2, v130, v15, -v2
	s_waitcnt vmcnt(46)
	v_mul_f32_e32 v40, v160, v210
	v_fmac_f32_e32 v40, v161, v209
	v_add_f32_e32 v40, v166, v40
	ds_read_b128 v[166:169], v104 offset:656
	s_waitcnt vmcnt(44) lgkmcnt(1)
	v_mul_f32_e32 v170, v162, v212
	v_fmac_f32_e32 v170, v163, v211
	v_add_f32_e32 v40, v40, v170
	s_waitcnt vmcnt(43)
	v_mul_f32_e32 v170, v164, v213
	s_waitcnt vmcnt(40)
	v_fmac_f32_e32 v170, v165, v216
	v_add_f32_e32 v40, v40, v170
	s_waitcnt lgkmcnt(0)
	v_mul_f32_e32 v170, v166, v215
	v_fmac_f32_e32 v170, v167, v214
	v_add_f32_e32 v40, v40, v170
	ds_read_b128 v[170:173], v104 offset:672
	s_waitcnt vmcnt(38)
	v_mul_f32_e32 v174, v168, v218
	v_fmac_f32_e32 v174, v169, v217
	v_add_f32_e32 v40, v40, v174
	ds_read_b128 v[174:177], v104 offset:688
	s_waitcnt vmcnt(36) lgkmcnt(1)
	v_mul_f32_e32 v178, v170, v220
	v_fmac_f32_e32 v178, v171, v219
	v_add_f32_e32 v40, v40, v178
	s_waitcnt vmcnt(35)
	v_mul_f32_e32 v178, v172, v221
	s_waitcnt vmcnt(32)
	v_fmac_f32_e32 v178, v173, v224
	v_add_f32_e32 v40, v40, v178
	s_waitcnt lgkmcnt(0)
	v_mul_f32_e32 v178, v174, v223
	v_fmac_f32_e32 v178, v175, v222
	v_add_f32_e32 v40, v40, v178
	ds_read_b128 v[178:181], v104 offset:704
	;; [unrolled: 19-line block ×5, first 2 shown]
	s_waitcnt vmcnt(6)
	v_mul_f32_e32 v206, v200, v250
	v_fmac_f32_e32 v206, v201, v249
	v_add_f32_e32 v40, v40, v206
	ds_read_b64 v[206:207], v104 offset:816
	s_waitcnt vmcnt(4) lgkmcnt(1)
	v_mul_f32_e32 v41, v202, v252
	v_fmac_f32_e32 v41, v203, v251
	v_add_f32_e32 v40, v40, v41
	s_waitcnt vmcnt(3)
	v_mul_f32_e32 v41, v204, v253
	s_waitcnt vmcnt(0)
	v_fmac_f32_e32 v41, v205, v39
	v_add_f32_e32 v40, v40, v41
	s_waitcnt lgkmcnt(0)
	v_mul_f32_e32 v41, v206, v255
	v_fmac_f32_e32 v41, v207, v254
	v_add_f32_e32 v40, v40, v41
	v_mul_f32_e32 v41, v115, v111
	v_fma_f32 v8, v114, v8, -v41
	v_mul_f32_e32 v41, v117, v110
	v_add_f32_e32 v8, 0, v8
	v_fma_f32 v7, v116, v7, -v41
	v_add_f32_e32 v7, v8, v7
	v_mul_f32_e32 v8, v119, v109
	v_fma_f32 v6, v118, v6, -v8
	v_add_f32_e32 v6, v7, v6
	v_mul_f32_e32 v7, v121, v108
	;; [unrolled: 3-line block ×5, first 2 shown]
	v_fma_f32 v7, v126, v9, -v7
	v_add_f32_e32 v6, v6, v7
	v_add_f32_e32 v1, v6, v1
	;; [unrolled: 1-line block ×3, first 2 shown]
	v_mul_f32_e32 v2, v133, v3
	v_fma_f32 v2, v132, v14, -v2
	v_add_f32_e32 v1, v1, v2
	v_mul_f32_e32 v2, v135, v4
	v_fma_f32 v2, v134, v13, -v2
	v_add_f32_e32 v1, v1, v2
	;; [unrolled: 3-line block ×38, first 2 shown]
	v_sub_f32_e32 v1, v112, v1
	v_sub_f32_e32 v2, v113, v40
	buffer_store_dword v1, off, s[0:3], 0 offset:24
	buffer_store_dword v2, off, s[0:3], 0 offset:28
	s_and_saveexec_b64 s[4:5], vcc
	s_cbranch_execz .LBB50_315
; %bb.314:
	buffer_load_dword v105, off, s[0:3], 0 offset:16
	buffer_load_dword v106, off, s[0:3], 0 offset:20
	s_waitcnt vmcnt(0)
	ds_write_b64 v103, v[105:106]
	buffer_store_dword v104, off, s[0:3], 0 offset:16
	buffer_store_dword v104, off, s[0:3], 0 offset:20
.LBB50_315:
	s_or_b64 exec, exec, s[4:5]
	s_waitcnt lgkmcnt(0)
	; wave barrier
	buffer_load_dword v111, off, s[0:3], 0 offset:28
	buffer_load_dword v110, off, s[0:3], 0 offset:36
	;; [unrolled: 1-line block ×40, first 2 shown]
	ds_read2_b64 v[142:145], v104 offset0:55 offset1:56
	ds_read2_b64 v[146:149], v104 offset0:57 offset1:58
	;; [unrolled: 1-line block ×7, first 2 shown]
	buffer_load_dword v4, off, s[0:3], 0 offset:176
	buffer_load_dword v5, off, s[0:3], 0 offset:180
	;; [unrolled: 1-line block ×8, first 2 shown]
	v_cmp_lt_u32_e32 vcc, 1, v0
	s_waitcnt vmcnt(47) lgkmcnt(6)
	v_mul_f32_e32 v12, v142, v111
	s_waitcnt vmcnt(46)
	v_mul_f32_e32 v13, v144, v110
	s_waitcnt vmcnt(45) lgkmcnt(5)
	v_mul_f32_e32 v14, v146, v109
	s_waitcnt vmcnt(44)
	v_mul_f32_e32 v15, v148, v108
	;; [unrolled: 4-line block ×6, first 2 shown]
	s_waitcnt vmcnt(35)
	v_fmac_f32_e32 v14, v147, v124
	s_waitcnt vmcnt(34)
	v_fmac_f32_e32 v13, v145, v127
	;; [unrolled: 2-line block ×3, first 2 shown]
	v_add_f32_e32 v12, 0, v12
	v_add_f32_e32 v12, v12, v13
	;; [unrolled: 1-line block ×3, first 2 shown]
	buffer_load_dword v13, off, s[0:3], 0 offset:208
	buffer_load_dword v14, off, s[0:3], 0 offset:212
	s_waitcnt vmcnt(31)
	v_fmac_f32_e32 v15, v149, v129
	v_fmac_f32_e32 v16, v151, v126
	v_add_f32_e32 v12, v12, v15
	v_fmac_f32_e32 v17, v153, v123
	v_add_f32_e32 v12, v12, v16
	;; [unrolled: 2-line block ×3, first 2 shown]
	s_waitcnt vmcnt(27)
	v_fmac_f32_e32 v19, v157, v125
	v_add_f32_e32 v12, v12, v18
	v_fmac_f32_e32 v20, v159, v122
	v_add_f32_e32 v12, v12, v19
	;; [unrolled: 2-line block ×4, first 2 shown]
	ds_read2_b64 v[170:173], v104 offset0:69 offset1:70
	s_waitcnt vmcnt(23)
	v_fmac_f32_e32 v23, v165, v137
	v_add_f32_e32 v12, v12, v22
	s_waitcnt vmcnt(22) lgkmcnt(1)
	v_mul_f32_e32 v15, v166, v136
	v_add_f32_e32 v12, v12, v23
	v_fmac_f32_e32 v15, v167, v133
	v_add_f32_e32 v12, v12, v15
	s_waitcnt vmcnt(21)
	v_mul_f32_e32 v15, v168, v134
	v_fmac_f32_e32 v15, v169, v131
	v_add_f32_e32 v12, v12, v15
	s_waitcnt vmcnt(20) lgkmcnt(0)
	v_mul_f32_e32 v15, v170, v132
	v_fmac_f32_e32 v15, v171, v128
	v_add_f32_e32 v12, v12, v15
	buffer_load_dword v15, off, s[0:3], 0 offset:216
	buffer_load_dword v16, off, s[0:3], 0 offset:220
	;; [unrolled: 1-line block ×6, first 2 shown]
	s_waitcnt vmcnt(25)
	v_mul_f32_e32 v21, v172, v135
	s_waitcnt vmcnt(18)
	v_fmac_f32_e32 v21, v173, v3
	ds_read2_b64 v[174:177], v104 offset0:71 offset1:72
	v_add_f32_e32 v12, v12, v21
	buffer_load_dword v21, off, s[0:3], 0 offset:240
	buffer_load_dword v22, off, s[0:3], 0 offset:244
	ds_read2_b64 v[178:181], v104 offset0:73 offset1:74
	buffer_load_dword v24, off, s[0:3], 0 offset:248
	buffer_load_dword v25, off, s[0:3], 0 offset:252
	;; [unrolled: 1-line block ×14, first 2 shown]
	s_waitcnt lgkmcnt(1)
	v_mul_f32_e32 v23, v174, v139
	v_fmac_f32_e32 v23, v175, v138
	v_add_f32_e32 v12, v12, v23
	v_mul_f32_e32 v23, v176, v141
	buffer_load_dword v38, off, s[0:3], 0 offset:304
	buffer_load_dword v39, off, s[0:3], 0 offset:308
	v_fmac_f32_e32 v23, v177, v140
	v_add_f32_e32 v12, v12, v23
	s_waitcnt lgkmcnt(0)
	v_mul_f32_e32 v23, v178, v2
	v_fmac_f32_e32 v23, v179, v1
	v_add_f32_e32 v12, v12, v23
	s_waitcnt vmcnt(32)
	v_mul_f32_e32 v23, v180, v5
	v_fmac_f32_e32 v23, v181, v4
	ds_read2_b64 v[182:185], v104 offset0:75 offset1:76
	v_add_f32_e32 v12, v12, v23
	buffer_load_dword v23, off, s[0:3], 0 offset:312
	buffer_load_dword v40, off, s[0:3], 0 offset:316
	;; [unrolled: 1-line block ×6, first 2 shown]
	ds_read2_b64 v[186:189], v104 offset0:77 offset1:78
	buffer_load_dword v240, off, s[0:3], 0 offset:336
	buffer_load_dword v241, off, s[0:3], 0 offset:340
	;; [unrolled: 1-line block ×10, first 2 shown]
	s_waitcnt vmcnt(46) lgkmcnt(1)
	v_mul_f32_e32 v190, v182, v7
	v_fmac_f32_e32 v190, v183, v6
	v_add_f32_e32 v12, v12, v190
	s_waitcnt vmcnt(44)
	v_mul_f32_e32 v190, v184, v9
	v_fmac_f32_e32 v190, v185, v8
	v_add_f32_e32 v12, v12, v190
	s_waitcnt vmcnt(42) lgkmcnt(0)
	v_mul_f32_e32 v190, v186, v11
	buffer_load_dword v250, off, s[0:3], 0 offset:376
	buffer_load_dword v251, off, s[0:3], 0 offset:380
	buffer_load_dword v252, off, s[0:3], 0 offset:388
	buffer_load_dword v253, off, s[0:3], 0 offset:392
	buffer_load_dword v254, off, s[0:3], 0 offset:396
	buffer_load_dword v255, off, s[0:3], 0 offset:384
	v_fmac_f32_e32 v190, v187, v10
	v_add_f32_e32 v12, v12, v190
	ds_read2_b64 v[190:193], v104 offset0:79 offset1:80
	v_mul_f32_e32 v110, v145, v110
	v_fma_f32 v110, v144, v127, -v110
	v_mul_f32_e32 v109, v147, v109
	v_fma_f32 v109, v146, v124, -v109
	;; [unrolled: 2-line block ×5, first 2 shown]
	v_mul_f32_e32 v105, v155, v105
	s_waitcnt vmcnt(46)
	v_mul_f32_e32 v194, v188, v14
	v_fmac_f32_e32 v194, v189, v13
	v_add_f32_e32 v12, v12, v194
	ds_read2_b64 v[194:197], v104 offset0:81 offset1:82
	buffer_load_dword v43, off, s[0:3], 0 offset:400
	buffer_load_dword v44, off, s[0:3], 0 offset:404
	v_fma_f32 v105, v154, v121, -v105
	v_mul_f32_e32 v2, v179, v2
	v_fma_f32 v1, v178, v1, -v2
	v_mul_f32_e32 v2, v181, v5
	v_fma_f32 v2, v180, v4, -v2
	s_waitcnt vmcnt(46) lgkmcnt(1)
	v_mul_f32_e32 v198, v190, v16
	v_fmac_f32_e32 v198, v191, v15
	v_add_f32_e32 v12, v12, v198
	s_waitcnt vmcnt(45)
	v_mul_f32_e32 v198, v192, v17
	s_waitcnt vmcnt(42)
	v_fmac_f32_e32 v198, v193, v20
	v_add_f32_e32 v12, v12, v198
	s_waitcnt lgkmcnt(0)
	v_mul_f32_e32 v198, v194, v19
	v_fmac_f32_e32 v198, v195, v18
	v_add_f32_e32 v12, v12, v198
	ds_read2_b64 v[198:201], v104 offset0:83 offset1:84
	s_waitcnt vmcnt(40)
	v_mul_f32_e32 v202, v196, v22
	v_fmac_f32_e32 v202, v197, v21
	v_add_f32_e32 v12, v12, v202
	ds_read2_b64 v[202:205], v104 offset0:85 offset1:86
	s_waitcnt vmcnt(38) lgkmcnt(1)
	v_mul_f32_e32 v206, v198, v25
	v_fmac_f32_e32 v206, v199, v24
	v_add_f32_e32 v12, v12, v206
	s_waitcnt vmcnt(37)
	v_mul_f32_e32 v206, v200, v26
	s_waitcnt vmcnt(34)
	v_fmac_f32_e32 v206, v201, v29
	v_add_f32_e32 v12, v12, v206
	s_waitcnt lgkmcnt(0)
	v_mul_f32_e32 v206, v202, v28
	v_fmac_f32_e32 v206, v203, v27
	v_add_f32_e32 v12, v12, v206
	ds_read2_b64 v[206:209], v104 offset0:87 offset1:88
	s_waitcnt vmcnt(32)
	v_mul_f32_e32 v210, v204, v31
	v_fmac_f32_e32 v210, v205, v30
	v_add_f32_e32 v12, v12, v210
	ds_read2_b64 v[210:213], v104 offset0:89 offset1:90
	;; [unrolled: 19-line block ×5, first 2 shown]
	s_waitcnt vmcnt(6) lgkmcnt(1)
	v_mul_f32_e32 v104, v230, v251
	v_fmac_f32_e32 v104, v231, v250
	v_add_f32_e32 v12, v12, v104
	s_waitcnt vmcnt(5)
	v_mul_f32_e32 v104, v232, v252
	s_waitcnt vmcnt(2)
	v_fmac_f32_e32 v104, v233, v255
	v_add_f32_e32 v12, v12, v104
	s_waitcnt lgkmcnt(0)
	v_mul_f32_e32 v104, v234, v254
	v_fmac_f32_e32 v104, v235, v253
	v_add_f32_e32 v12, v12, v104
	s_waitcnt vmcnt(0)
	v_mul_f32_e32 v104, v236, v44
	v_fmac_f32_e32 v104, v237, v43
	v_add_f32_e32 v12, v12, v104
	v_mul_f32_e32 v104, v143, v111
	v_fma_f32 v104, v142, v130, -v104
	v_add_f32_e32 v104, 0, v104
	v_add_f32_e32 v104, v104, v110
	;; [unrolled: 1-line block ×7, first 2 shown]
	v_mul_f32_e32 v105, v157, v114
	v_fma_f32 v105, v156, v125, -v105
	v_add_f32_e32 v104, v104, v105
	v_mul_f32_e32 v105, v159, v115
	v_fma_f32 v105, v158, v122, -v105
	v_add_f32_e32 v104, v104, v105
	;; [unrolled: 3-line block ×11, first 2 shown]
	v_add_f32_e32 v1, v3, v1
	v_add_f32_e32 v1, v1, v2
	v_mul_f32_e32 v2, v183, v7
	v_fma_f32 v2, v182, v6, -v2
	v_add_f32_e32 v1, v1, v2
	v_mul_f32_e32 v2, v185, v9
	v_fma_f32 v2, v184, v8, -v2
	;; [unrolled: 3-line block ×28, first 2 shown]
	v_add_f32_e32 v1, v1, v2
	v_sub_f32_e32 v1, v112, v1
	v_sub_f32_e32 v2, v113, v12
	buffer_store_dword v1, off, s[0:3], 0 offset:16
	buffer_store_dword v2, off, s[0:3], 0 offset:20
	s_and_saveexec_b64 s[4:5], vcc
	s_cbranch_execz .LBB50_317
; %bb.316:
	buffer_load_dword v104, off, s[0:3], 0 offset:8
	buffer_load_dword v105, off, s[0:3], 0 offset:12
	v_mov_b32_e32 v1, 0
	buffer_store_dword v1, off, s[0:3], 0 offset:8
	buffer_store_dword v1, off, s[0:3], 0 offset:12
	s_waitcnt vmcnt(2)
	ds_write_b64 v103, v[104:105]
.LBB50_317:
	s_or_b64 exec, exec, s[4:5]
	s_waitcnt lgkmcnt(0)
	; wave barrier
	buffer_load_dword v111, off, s[0:3], 0 offset:20
	buffer_load_dword v110, off, s[0:3], 0 offset:28
	;; [unrolled: 1-line block ×50, first 2 shown]
	v_mov_b32_e32 v104, 0
	ds_read_b128 v[118:121], v104 offset:432
	ds_read_b128 v[122:125], v104 offset:448
	;; [unrolled: 1-line block ×7, first 2 shown]
	v_cmp_ne_u32_e32 vcc, 0, v0
	s_waitcnt vmcnt(49) lgkmcnt(6)
	v_mul_f32_e32 v38, v118, v111
	s_waitcnt vmcnt(48)
	v_mul_f32_e32 v39, v120, v110
	s_waitcnt vmcnt(47) lgkmcnt(5)
	v_mul_f32_e32 v40, v122, v109
	s_waitcnt vmcnt(46)
	v_mul_f32_e32 v41, v124, v108
	;; [unrolled: 4-line block ×5, first 2 shown]
	s_waitcnt vmcnt(39) lgkmcnt(1)
	v_mul_f32_e32 v149, v138, v117
	s_waitcnt vmcnt(38)
	v_fmac_f32_e32 v40, v123, v1
	s_waitcnt vmcnt(37)
	v_fmac_f32_e32 v39, v121, v2
	;; [unrolled: 2-line block ×3, first 2 shown]
	v_add_f32_e32 v38, 0, v38
	v_add_f32_e32 v38, v38, v39
	;; [unrolled: 1-line block ×3, first 2 shown]
	s_waitcnt vmcnt(32)
	v_fmac_f32_e32 v41, v125, v7
	v_fmac_f32_e32 v42, v127, v6
	v_add_f32_e32 v38, v38, v41
	v_fmac_f32_e32 v43, v129, v5
	v_add_f32_e32 v38, v38, v42
	;; [unrolled: 2-line block ×3, first 2 shown]
	s_waitcnt vmcnt(28)
	v_fmac_f32_e32 v146, v133, v11
	v_add_f32_e32 v38, v38, v44
	v_fmac_f32_e32 v147, v135, v10
	v_add_f32_e32 v38, v38, v146
	;; [unrolled: 2-line block ×4, first 2 shown]
	s_waitcnt vmcnt(27)
	v_mul_f32_e32 v39, v140, v12
	v_add_f32_e32 v38, v38, v149
	s_waitcnt vmcnt(23)
	v_fmac_f32_e32 v39, v141, v16
	v_add_f32_e32 v38, v38, v39
	s_waitcnt vmcnt(22) lgkmcnt(0)
	v_mul_f32_e32 v39, v142, v17
	v_fmac_f32_e32 v39, v143, v15
	ds_read_b128 v[146:149], v104 offset:544
	v_add_f32_e32 v38, v38, v39
	buffer_load_dword v39, off, s[0:3], 0 offset:208
	buffer_load_dword v40, off, s[0:3], 0 offset:212
	ds_read_b128 v[150:153], v104 offset:560
	buffer_load_dword v42, off, s[0:3], 0 offset:220
	buffer_load_dword v43, off, s[0:3], 0 offset:224
	;; [unrolled: 1-line block ×4, first 2 shown]
	s_waitcnt vmcnt(27)
	v_mul_f32_e32 v41, v144, v18
	v_fmac_f32_e32 v41, v145, v14
	v_add_f32_e32 v38, v38, v41
	s_waitcnt vmcnt(26) lgkmcnt(1)
	v_mul_f32_e32 v41, v146, v19
	ds_read_b128 v[154:157], v104 offset:576
	buffer_load_dword v217, off, s[0:3], 0 offset:232
	buffer_load_dword v218, off, s[0:3], 0 offset:236
	v_fmac_f32_e32 v41, v147, v13
	v_add_f32_e32 v38, v38, v41
	s_waitcnt vmcnt(27)
	v_mul_f32_e32 v41, v148, v20
	s_waitcnt vmcnt(21)
	v_fmac_f32_e32 v41, v149, v26
	v_add_f32_e32 v38, v38, v41
	s_waitcnt vmcnt(20) lgkmcnt(1)
	v_mul_f32_e32 v41, v150, v27
	v_fmac_f32_e32 v41, v151, v25
	v_add_f32_e32 v38, v38, v41
	buffer_load_dword v41, off, s[0:3], 0 offset:240
	buffer_load_dword v219, off, s[0:3], 0 offset:244
	;; [unrolled: 1-line block ×14, first 2 shown]
	v_mul_f32_e32 v158, v152, v22
	v_fmac_f32_e32 v158, v153, v21
	v_add_f32_e32 v38, v38, v158
	s_waitcnt lgkmcnt(0)
	v_mul_f32_e32 v158, v154, v24
	v_fmac_f32_e32 v158, v155, v23
	v_add_f32_e32 v38, v38, v158
	ds_read_b128 v[158:161], v104 offset:592
	buffer_load_dword v232, off, s[0:3], 0 offset:296
	buffer_load_dword v233, off, s[0:3], 0 offset:300
	s_waitcnt vmcnt(32)
	v_mul_f32_e32 v162, v156, v29
	v_fmac_f32_e32 v162, v157, v28
	v_add_f32_e32 v38, v38, v162
	ds_read_b128 v[162:165], v104 offset:608
	buffer_load_dword v234, off, s[0:3], 0 offset:304
	buffer_load_dword v235, off, s[0:3], 0 offset:308
	buffer_load_dword v236, off, s[0:3], 0 offset:316
	buffer_load_dword v237, off, s[0:3], 0 offset:320
	buffer_load_dword v238, off, s[0:3], 0 offset:324
	buffer_load_dword v239, off, s[0:3], 0 offset:312
	buffer_load_dword v240, off, s[0:3], 0 offset:328
	buffer_load_dword v241, off, s[0:3], 0 offset:332
	buffer_load_dword v242, off, s[0:3], 0 offset:336
	buffer_load_dword v243, off, s[0:3], 0 offset:340
	buffer_load_dword v244, off, s[0:3], 0 offset:348
	buffer_load_dword v245, off, s[0:3], 0 offset:352
	buffer_load_dword v246, off, s[0:3], 0 offset:356
	buffer_load_dword v247, off, s[0:3], 0 offset:344
	s_waitcnt vmcnt(44) lgkmcnt(1)
	v_mul_f32_e32 v166, v158, v31
	v_fmac_f32_e32 v166, v159, v30
	buffer_load_dword v248, off, s[0:3], 0 offset:360
	buffer_load_dword v249, off, s[0:3], 0 offset:364
	v_add_f32_e32 v38, v38, v166
	s_waitcnt vmcnt(44)
	v_mul_f32_e32 v166, v160, v33
	v_fmac_f32_e32 v166, v161, v32
	v_add_f32_e32 v38, v38, v166
	s_waitcnt vmcnt(42) lgkmcnt(0)
	v_mul_f32_e32 v166, v162, v35
	v_fmac_f32_e32 v166, v163, v34
	v_add_f32_e32 v38, v38, v166
	ds_read_b128 v[166:169], v104 offset:624
	buffer_load_dword v250, off, s[0:3], 0 offset:368
	buffer_load_dword v251, off, s[0:3], 0 offset:372
	;; [unrolled: 1-line block ×6, first 2 shown]
	s_waitcnt vmcnt(46)
	v_mul_f32_e32 v170, v164, v37
	v_fmac_f32_e32 v170, v165, v36
	v_add_f32_e32 v38, v38, v170
	ds_read_b128 v[170:173], v104 offset:640
	buffer_load_dword v45, off, s[0:3], 0 offset:396
	buffer_load_dword v46, off, s[0:3], 0 offset:400
	;; [unrolled: 1-line block ×4, first 2 shown]
	s_waitcnt vmcnt(48) lgkmcnt(1)
	v_mul_f32_e32 v174, v166, v40
	v_fmac_f32_e32 v174, v167, v39
	v_add_f32_e32 v38, v38, v174
	s_waitcnt vmcnt(47)
	v_mul_f32_e32 v174, v168, v42
	s_waitcnt vmcnt(44)
	v_fmac_f32_e32 v174, v169, v216
	v_add_f32_e32 v38, v38, v174
	s_waitcnt lgkmcnt(0)
	v_mul_f32_e32 v174, v170, v44
	v_fmac_f32_e32 v174, v171, v43
	v_add_f32_e32 v38, v38, v174
	ds_read_b128 v[174:177], v104 offset:656
	s_waitcnt vmcnt(42)
	v_mul_f32_e32 v178, v172, v218
	v_fmac_f32_e32 v178, v173, v217
	v_add_f32_e32 v38, v38, v178
	ds_read_b128 v[178:181], v104 offset:672
	s_waitcnt vmcnt(40) lgkmcnt(1)
	v_mul_f32_e32 v182, v174, v219
	v_fmac_f32_e32 v182, v175, v41
	v_add_f32_e32 v38, v38, v182
	s_waitcnt vmcnt(39)
	v_mul_f32_e32 v182, v176, v220
	s_waitcnt vmcnt(36)
	v_fmac_f32_e32 v182, v177, v223
	v_add_f32_e32 v38, v38, v182
	s_waitcnt lgkmcnt(0)
	v_mul_f32_e32 v182, v178, v222
	v_fmac_f32_e32 v182, v179, v221
	v_add_f32_e32 v38, v38, v182
	ds_read_b128 v[182:185], v104 offset:688
	s_waitcnt vmcnt(34)
	v_mul_f32_e32 v186, v180, v225
	v_fmac_f32_e32 v186, v181, v224
	v_add_f32_e32 v38, v38, v186
	ds_read_b128 v[186:189], v104 offset:704
	;; [unrolled: 19-line block ×5, first 2 shown]
	s_waitcnt vmcnt(8) lgkmcnt(1)
	v_mul_f32_e32 v214, v206, v251
	v_fmac_f32_e32 v214, v207, v250
	v_add_f32_e32 v38, v38, v214
	s_waitcnt vmcnt(7)
	v_mul_f32_e32 v214, v208, v252
	s_waitcnt vmcnt(4)
	v_fmac_f32_e32 v214, v209, v255
	v_add_f32_e32 v38, v38, v214
	ds_read_b64 v[214:215], v104 offset:816
	s_waitcnt lgkmcnt(1)
	v_mul_f32_e32 v49, v210, v254
	v_fmac_f32_e32 v49, v211, v253
	v_add_f32_e32 v38, v38, v49
	s_waitcnt vmcnt(3)
	v_mul_f32_e32 v49, v212, v45
	s_waitcnt vmcnt(0)
	v_fmac_f32_e32 v49, v213, v48
	v_add_f32_e32 v38, v38, v49
	s_waitcnt lgkmcnt(0)
	v_mul_f32_e32 v49, v214, v47
	v_fmac_f32_e32 v49, v215, v46
	v_add_f32_e32 v38, v38, v49
	v_mul_f32_e32 v49, v119, v111
	v_fma_f32 v3, v118, v3, -v49
	v_mul_f32_e32 v49, v121, v110
	v_add_f32_e32 v3, 0, v3
	v_fma_f32 v2, v120, v2, -v49
	v_add_f32_e32 v2, v3, v2
	v_mul_f32_e32 v3, v123, v109
	v_fma_f32 v1, v122, v1, -v3
	v_add_f32_e32 v1, v2, v1
	v_mul_f32_e32 v2, v125, v108
	v_fma_f32 v2, v124, v7, -v2
	v_add_f32_e32 v1, v1, v2
	v_mul_f32_e32 v2, v127, v107
	v_fma_f32 v2, v126, v6, -v2
	v_add_f32_e32 v1, v1, v2
	v_mul_f32_e32 v2, v129, v106
	v_fma_f32 v2, v128, v5, -v2
	v_add_f32_e32 v1, v1, v2
	v_mul_f32_e32 v2, v131, v105
	v_fma_f32 v2, v130, v4, -v2
	v_add_f32_e32 v1, v1, v2
	v_mul_f32_e32 v2, v133, v114
	v_fma_f32 v2, v132, v11, -v2
	v_add_f32_e32 v1, v1, v2
	v_mul_f32_e32 v2, v135, v115
	v_fma_f32 v2, v134, v10, -v2
	v_add_f32_e32 v1, v1, v2
	v_mul_f32_e32 v2, v137, v116
	v_fma_f32 v2, v136, v9, -v2
	v_add_f32_e32 v1, v1, v2
	v_mul_f32_e32 v2, v139, v117
	v_fma_f32 v2, v138, v8, -v2
	v_add_f32_e32 v1, v1, v2
	v_mul_f32_e32 v2, v141, v12
	v_fma_f32 v2, v140, v16, -v2
	v_add_f32_e32 v1, v1, v2
	v_mul_f32_e32 v2, v143, v17
	v_fma_f32 v2, v142, v15, -v2
	v_add_f32_e32 v1, v1, v2
	v_mul_f32_e32 v2, v145, v18
	v_fma_f32 v2, v144, v14, -v2
	v_add_f32_e32 v1, v1, v2
	v_mul_f32_e32 v2, v147, v19
	v_fma_f32 v2, v146, v13, -v2
	v_add_f32_e32 v1, v1, v2
	v_mul_f32_e32 v2, v149, v20
	v_fma_f32 v2, v148, v26, -v2
	v_add_f32_e32 v1, v1, v2
	v_mul_f32_e32 v2, v151, v27
	v_fma_f32 v2, v150, v25, -v2
	v_add_f32_e32 v1, v1, v2
	v_mul_f32_e32 v2, v153, v22
	v_fma_f32 v2, v152, v21, -v2
	v_add_f32_e32 v1, v1, v2
	v_mul_f32_e32 v2, v155, v24
	v_fma_f32 v2, v154, v23, -v2
	v_add_f32_e32 v1, v1, v2
	v_mul_f32_e32 v2, v157, v29
	v_fma_f32 v2, v156, v28, -v2
	v_add_f32_e32 v1, v1, v2
	v_mul_f32_e32 v2, v159, v31
	v_fma_f32 v2, v158, v30, -v2
	v_add_f32_e32 v1, v1, v2
	v_mul_f32_e32 v2, v161, v33
	v_fma_f32 v2, v160, v32, -v2
	v_add_f32_e32 v1, v1, v2
	v_mul_f32_e32 v2, v163, v35
	v_fma_f32 v2, v162, v34, -v2
	v_add_f32_e32 v1, v1, v2
	v_mul_f32_e32 v2, v165, v37
	v_fma_f32 v2, v164, v36, -v2
	v_add_f32_e32 v1, v1, v2
	v_mul_f32_e32 v2, v167, v40
	v_fma_f32 v2, v166, v39, -v2
	v_add_f32_e32 v1, v1, v2
	v_mul_f32_e32 v2, v169, v42
	v_fma_f32 v2, v168, v216, -v2
	v_add_f32_e32 v1, v1, v2
	v_mul_f32_e32 v2, v171, v44
	v_fma_f32 v2, v170, v43, -v2
	v_add_f32_e32 v1, v1, v2
	v_mul_f32_e32 v2, v173, v218
	v_fma_f32 v2, v172, v217, -v2
	v_add_f32_e32 v1, v1, v2
	v_mul_f32_e32 v2, v175, v219
	v_fma_f32 v2, v174, v41, -v2
	v_add_f32_e32 v1, v1, v2
	v_mul_f32_e32 v2, v177, v220
	v_fma_f32 v2, v176, v223, -v2
	v_add_f32_e32 v1, v1, v2
	v_mul_f32_e32 v2, v179, v222
	v_fma_f32 v2, v178, v221, -v2
	v_add_f32_e32 v1, v1, v2
	v_mul_f32_e32 v2, v181, v225
	v_fma_f32 v2, v180, v224, -v2
	v_add_f32_e32 v1, v1, v2
	v_mul_f32_e32 v2, v183, v227
	v_fma_f32 v2, v182, v226, -v2
	v_add_f32_e32 v1, v1, v2
	v_mul_f32_e32 v2, v185, v228
	v_fma_f32 v2, v184, v231, -v2
	v_add_f32_e32 v1, v1, v2
	v_mul_f32_e32 v2, v187, v230
	v_fma_f32 v2, v186, v229, -v2
	v_add_f32_e32 v1, v1, v2
	v_mul_f32_e32 v2, v189, v233
	v_fma_f32 v2, v188, v232, -v2
	v_add_f32_e32 v1, v1, v2
	v_mul_f32_e32 v2, v191, v235
	v_fma_f32 v2, v190, v234, -v2
	v_add_f32_e32 v1, v1, v2
	v_mul_f32_e32 v2, v193, v236
	v_fma_f32 v2, v192, v239, -v2
	v_add_f32_e32 v1, v1, v2
	v_mul_f32_e32 v2, v195, v238
	v_fma_f32 v2, v194, v237, -v2
	v_add_f32_e32 v1, v1, v2
	v_mul_f32_e32 v2, v197, v241
	v_fma_f32 v2, v196, v240, -v2
	v_add_f32_e32 v1, v1, v2
	v_mul_f32_e32 v2, v199, v243
	v_fma_f32 v2, v198, v242, -v2
	v_add_f32_e32 v1, v1, v2
	v_mul_f32_e32 v2, v201, v244
	v_fma_f32 v2, v200, v247, -v2
	v_add_f32_e32 v1, v1, v2
	v_mul_f32_e32 v2, v203, v246
	v_fma_f32 v2, v202, v245, -v2
	v_add_f32_e32 v1, v1, v2
	v_mul_f32_e32 v2, v205, v249
	v_fma_f32 v2, v204, v248, -v2
	v_add_f32_e32 v1, v1, v2
	v_mul_f32_e32 v2, v207, v251
	v_fma_f32 v2, v206, v250, -v2
	v_add_f32_e32 v1, v1, v2
	v_mul_f32_e32 v2, v209, v252
	v_fma_f32 v2, v208, v255, -v2
	v_add_f32_e32 v1, v1, v2
	v_mul_f32_e32 v2, v211, v254
	v_fma_f32 v2, v210, v253, -v2
	v_add_f32_e32 v1, v1, v2
	v_mul_f32_e32 v2, v213, v45
	v_fma_f32 v2, v212, v48, -v2
	v_add_f32_e32 v1, v1, v2
	v_mul_f32_e32 v2, v215, v47
	v_fma_f32 v2, v214, v46, -v2
	v_add_f32_e32 v1, v1, v2
	v_sub_f32_e32 v1, v112, v1
	v_sub_f32_e32 v2, v113, v38
	buffer_store_dword v1, off, s[0:3], 0 offset:8
	buffer_store_dword v2, off, s[0:3], 0 offset:12
	s_and_saveexec_b64 s[4:5], vcc
	s_cbranch_execz .LBB50_319
; %bb.318:
	buffer_load_dword v105, off, s[0:3], 0
	buffer_load_dword v106, off, s[0:3], 0 offset:4
	s_waitcnt vmcnt(0)
	ds_write_b64 v103, v[105:106]
	buffer_store_dword v104, off, s[0:3], 0
	buffer_store_dword v104, off, s[0:3], 0 offset:4
.LBB50_319:
	s_or_b64 exec, exec, s[4:5]
	s_waitcnt lgkmcnt(0)
	; wave barrier
	buffer_load_dword v109, off, s[0:3], 0 offset:12
	buffer_load_dword v108, off, s[0:3], 0 offset:20
	;; [unrolled: 1-line block ×38, first 2 shown]
	buffer_load_dword v110, off, s[0:3], 0
	buffer_load_dword v111, off, s[0:3], 0 offset:4
	ds_read2_b64 v[117:120], v104 offset0:53 offset1:54
	ds_read2_b64 v[121:124], v104 offset0:55 offset1:56
	;; [unrolled: 1-line block ×7, first 2 shown]
	buffer_load_dword v27, off, s[0:3], 0 offset:160
	buffer_load_dword v28, off, s[0:3], 0 offset:164
	;; [unrolled: 1-line block ×10, first 2 shown]
	ds_read2_b64 v[145:148], v104 offset0:67 offset1:68
	s_and_b64 vcc, exec, s[22:23]
	s_waitcnt vmcnt(49) lgkmcnt(7)
	v_mul_f32_e32 v37, v117, v109
	s_waitcnt vmcnt(48)
	v_mul_f32_e32 v38, v119, v108
	s_waitcnt vmcnt(47) lgkmcnt(6)
	v_mul_f32_e32 v39, v121, v107
	s_waitcnt vmcnt(46)
	v_mul_f32_e32 v40, v123, v106
	;; [unrolled: 4-line block ×6, first 2 shown]
	s_waitcnt vmcnt(37)
	v_fmac_f32_e32 v39, v122, v1
	s_waitcnt vmcnt(36)
	v_fmac_f32_e32 v38, v120, v2
	;; [unrolled: 2-line block ×3, first 2 shown]
	v_add_f32_e32 v37, 0, v37
	v_add_f32_e32 v37, v37, v38
	;; [unrolled: 1-line block ×3, first 2 shown]
	s_waitcnt vmcnt(31)
	v_fmac_f32_e32 v40, v124, v7
	v_fmac_f32_e32 v41, v126, v6
	v_add_f32_e32 v37, v37, v40
	v_fmac_f32_e32 v42, v128, v5
	v_add_f32_e32 v37, v37, v41
	v_fmac_f32_e32 v43, v130, v4
	v_add_f32_e32 v37, v37, v42
	s_waitcnt vmcnt(27)
	v_fmac_f32_e32 v44, v132, v11
	v_add_f32_e32 v37, v37, v43
	v_fmac_f32_e32 v45, v134, v10
	v_add_f32_e32 v37, v37, v44
	;; [unrolled: 2-line block ×4, first 2 shown]
	v_add_f32_e32 v37, v37, v47
	s_waitcnt vmcnt(23)
	v_fmac_f32_e32 v48, v140, v15
	s_waitcnt vmcnt(22) lgkmcnt(1)
	v_mul_f32_e32 v38, v141, v16
	v_add_f32_e32 v37, v37, v48
	v_fmac_f32_e32 v38, v142, v14
	buffer_load_dword v39, off, s[0:3], 0 offset:204
	v_add_f32_e32 v37, v37, v38
	s_waitcnt vmcnt(22)
	v_mul_f32_e32 v38, v143, v17
	v_fmac_f32_e32 v38, v144, v13
	buffer_load_dword v40, off, s[0:3], 0 offset:200
	buffer_load_dword v41, off, s[0:3], 0 offset:208
	;; [unrolled: 1-line block ×3, first 2 shown]
	ds_read2_b64 v[149:152], v104 offset0:69 offset1:70
	v_add_f32_e32 v37, v37, v38
	s_waitcnt vmcnt(24) lgkmcnt(1)
	v_mul_f32_e32 v38, v145, v18
	v_fmac_f32_e32 v38, v146, v12
	v_add_f32_e32 v37, v37, v38
	s_waitcnt vmcnt(23)
	v_mul_f32_e32 v38, v147, v19
	buffer_load_dword v43, off, s[0:3], 0 offset:216
	buffer_load_dword v44, off, s[0:3], 0 offset:220
	s_waitcnt vmcnt(19)
	v_fmac_f32_e32 v38, v148, v25
	v_add_f32_e32 v37, v37, v38
	s_waitcnt vmcnt(18) lgkmcnt(0)
	v_mul_f32_e32 v38, v149, v26
	v_fmac_f32_e32 v38, v150, v24
	ds_read2_b64 v[153:156], v104 offset0:71 offset1:72
	v_add_f32_e32 v37, v37, v38
	buffer_load_dword v38, off, s[0:3], 0 offset:224
	buffer_load_dword v45, off, s[0:3], 0 offset:228
	;; [unrolled: 1-line block ×8, first 2 shown]
	v_mul_f32_e32 v46, v151, v21
	v_fmac_f32_e32 v46, v152, v20
	v_add_f32_e32 v37, v37, v46
	s_waitcnt lgkmcnt(0)
	v_mul_f32_e32 v46, v153, v23
	v_fmac_f32_e32 v46, v154, v22
	v_add_f32_e32 v37, v37, v46
	buffer_load_dword v46, off, s[0:3], 0 offset:256
	buffer_load_dword v219, off, s[0:3], 0 offset:260
	ds_read2_b64 v[157:160], v104 offset0:73 offset1:74
	buffer_load_dword v220, off, s[0:3], 0 offset:264
	buffer_load_dword v221, off, s[0:3], 0 offset:268
	;; [unrolled: 1-line block ×6, first 2 shown]
	s_waitcnt vmcnt(30)
	v_mul_f32_e32 v161, v155, v28
	v_fmac_f32_e32 v161, v156, v27
	v_add_f32_e32 v37, v37, v161
	ds_read2_b64 v[161:164], v104 offset0:75 offset1:76
	buffer_load_dword v226, off, s[0:3], 0 offset:288
	buffer_load_dword v227, off, s[0:3], 0 offset:292
	;; [unrolled: 1-line block ×10, first 2 shown]
	s_waitcnt vmcnt(38) lgkmcnt(1)
	v_mul_f32_e32 v165, v157, v30
	buffer_load_dword v236, off, s[0:3], 0 offset:328
	buffer_load_dword v237, off, s[0:3], 0 offset:332
	;; [unrolled: 1-line block ×6, first 2 shown]
	v_fmac_f32_e32 v165, v158, v29
	v_add_f32_e32 v37, v37, v165
	s_waitcnt vmcnt(42)
	v_mul_f32_e32 v165, v159, v32
	v_fmac_f32_e32 v165, v160, v31
	v_add_f32_e32 v37, v37, v165
	s_waitcnt vmcnt(40) lgkmcnt(0)
	v_mul_f32_e32 v165, v161, v34
	v_fmac_f32_e32 v165, v162, v33
	v_add_f32_e32 v37, v37, v165
	ds_read2_b64 v[165:168], v104 offset0:77 offset1:78
	buffer_load_dword v242, off, s[0:3], 0 offset:352
	buffer_load_dword v243, off, s[0:3], 0 offset:356
	s_waitcnt vmcnt(40)
	v_mul_f32_e32 v169, v163, v36
	v_fmac_f32_e32 v169, v164, v35
	v_add_f32_e32 v37, v37, v169
	ds_read2_b64 v[169:172], v104 offset0:79 offset1:80
	buffer_load_dword v244, off, s[0:3], 0 offset:360
	buffer_load_dword v245, off, s[0:3], 0 offset:364
	;; [unrolled: 1-line block ×12, first 2 shown]
	v_mul_f32_e32 v0, v130, v0
	v_fma_f32 v0, v129, v4, -v0
	s_waitcnt vmcnt(51) lgkmcnt(1)
	v_mul_f32_e32 v173, v165, v39
	s_waitcnt vmcnt(50)
	v_fmac_f32_e32 v173, v166, v40
	v_add_f32_e32 v37, v37, v173
	s_waitcnt vmcnt(48)
	v_mul_f32_e32 v173, v167, v42
	v_fmac_f32_e32 v173, v168, v41
	v_add_f32_e32 v37, v37, v173
	s_waitcnt vmcnt(46) lgkmcnt(0)
	v_mul_f32_e32 v173, v169, v44
	v_fmac_f32_e32 v173, v170, v43
	v_add_f32_e32 v37, v37, v173
	ds_read2_b64 v[173:176], v104 offset0:81 offset1:82
	s_waitcnt vmcnt(44)
	v_mul_f32_e32 v177, v171, v45
	v_fmac_f32_e32 v177, v172, v38
	v_add_f32_e32 v37, v37, v177
	ds_read2_b64 v[177:180], v104 offset0:83 offset1:84
	s_waitcnt vmcnt(42) lgkmcnt(1)
	v_mul_f32_e32 v181, v173, v48
	v_fmac_f32_e32 v181, v174, v47
	v_add_f32_e32 v37, v37, v181
	s_waitcnt vmcnt(41)
	v_mul_f32_e32 v181, v175, v49
	s_waitcnt vmcnt(38)
	v_fmac_f32_e32 v181, v176, v218
	v_add_f32_e32 v37, v37, v181
	s_waitcnt lgkmcnt(0)
	v_mul_f32_e32 v181, v177, v217
	v_fmac_f32_e32 v181, v178, v50
	v_add_f32_e32 v37, v37, v181
	ds_read2_b64 v[181:184], v104 offset0:85 offset1:86
	s_waitcnt vmcnt(36)
	v_mul_f32_e32 v185, v179, v219
	v_fmac_f32_e32 v185, v180, v46
	v_add_f32_e32 v37, v37, v185
	ds_read2_b64 v[185:188], v104 offset0:87 offset1:88
	s_waitcnt vmcnt(34) lgkmcnt(1)
	v_mul_f32_e32 v189, v181, v221
	v_fmac_f32_e32 v189, v182, v220
	v_add_f32_e32 v37, v37, v189
	s_waitcnt vmcnt(33)
	v_mul_f32_e32 v189, v183, v222
	s_waitcnt vmcnt(30)
	v_fmac_f32_e32 v189, v184, v225
	v_add_f32_e32 v37, v37, v189
	s_waitcnt lgkmcnt(0)
	;; [unrolled: 19-line block ×4, first 2 shown]
	v_mul_f32_e32 v205, v201, v240
	v_fmac_f32_e32 v205, v202, v239
	v_add_f32_e32 v37, v37, v205
	ds_read2_b64 v[205:208], v104 offset0:97 offset1:98
	s_waitcnt vmcnt(12)
	v_mul_f32_e32 v209, v203, v243
	v_fmac_f32_e32 v209, v204, v242
	v_add_f32_e32 v37, v37, v209
	ds_read2_b64 v[209:212], v104 offset0:99 offset1:100
	s_waitcnt vmcnt(10) lgkmcnt(1)
	v_mul_f32_e32 v213, v205, v245
	v_fmac_f32_e32 v213, v206, v244
	v_add_f32_e32 v37, v37, v213
	s_waitcnt vmcnt(9)
	v_mul_f32_e32 v213, v207, v246
	s_waitcnt vmcnt(6)
	v_fmac_f32_e32 v213, v208, v249
	v_add_f32_e32 v37, v37, v213
	ds_read2_b64 v[213:216], v104 offset0:101 offset1:102
	s_waitcnt lgkmcnt(1)
	v_mul_f32_e32 v51, v209, v248
	v_fmac_f32_e32 v51, v210, v247
	v_add_f32_e32 v37, v37, v51
	s_waitcnt vmcnt(4)
	v_mul_f32_e32 v51, v211, v251
	v_fmac_f32_e32 v51, v212, v250
	v_add_f32_e32 v37, v37, v51
	s_waitcnt vmcnt(3) lgkmcnt(0)
	v_mul_f32_e32 v51, v213, v252
	s_waitcnt vmcnt(0)
	v_fmac_f32_e32 v51, v214, v255
	v_add_f32_e32 v37, v37, v51
	v_mul_f32_e32 v51, v215, v254
	v_fmac_f32_e32 v51, v216, v253
	v_add_f32_e32 v37, v37, v51
	v_mul_f32_e32 v51, v118, v109
	v_fma_f32 v3, v117, v3, -v51
	v_mul_f32_e32 v51, v120, v108
	v_add_f32_e32 v3, 0, v3
	v_fma_f32 v2, v119, v2, -v51
	v_add_f32_e32 v2, v3, v2
	v_mul_f32_e32 v3, v122, v107
	v_fma_f32 v1, v121, v1, -v3
	v_add_f32_e32 v1, v2, v1
	v_mul_f32_e32 v2, v124, v106
	;; [unrolled: 3-line block ×4, first 2 shown]
	v_fma_f32 v2, v127, v5, -v2
	v_add_f32_e32 v1, v1, v2
	v_add_f32_e32 v0, v1, v0
	v_mul_f32_e32 v1, v132, v112
	v_fma_f32 v1, v131, v11, -v1
	v_add_f32_e32 v0, v0, v1
	v_mul_f32_e32 v1, v134, v113
	v_fma_f32 v1, v133, v10, -v1
	;; [unrolled: 3-line block ×43, first 2 shown]
	v_add_f32_e32 v0, v0, v1
	v_sub_f32_e32 v0, v110, v0
	v_sub_f32_e32 v1, v111, v37
	buffer_store_dword v0, off, s[0:3], 0
	buffer_store_dword v1, off, s[0:3], 0 offset:4
	s_cbranch_vccz .LBB50_420
; %bb.320:
	v_mov_b32_e32 v0, 0
	global_load_dword v103, v0, s[20:21] offset:196
	s_waitcnt vmcnt(0)
	v_add_u32_e32 v103, -1, v103
	v_cmp_ne_u32_e32 vcc, 49, v103
	s_cbranch_vccz .LBB50_322
; %bb.321:
	v_lshlrev_b32_e32 v1, 3, v103
	buffer_load_dword v2, v1, s[0:3], 0 offen
	buffer_load_dword v3, v1, s[0:3], 0 offen offset:4
	buffer_load_dword v4, off, s[0:3], 0 offset:392
	buffer_load_dword v5, off, s[0:3], 0 offset:396
	s_waitcnt vmcnt(3)
	buffer_store_dword v2, off, s[0:3], 0 offset:392
	s_waitcnt vmcnt(3)
	buffer_store_dword v3, off, s[0:3], 0 offset:396
	s_waitcnt vmcnt(3)
	buffer_store_dword v4, v1, s[0:3], 0 offen
	s_waitcnt vmcnt(3)
	buffer_store_dword v5, v1, s[0:3], 0 offen offset:4
.LBB50_322:
	global_load_dword v0, v0, s[20:21] offset:192
	s_waitcnt vmcnt(0)
	v_add_u32_e32 v0, -1, v0
	v_cmp_eq_u32_e32 vcc, 48, v0
	s_cbranch_vccnz .LBB50_324
; %bb.323:
	v_lshlrev_b32_e32 v0, 3, v0
	buffer_load_dword v1, v0, s[0:3], 0 offen
	buffer_load_dword v2, v0, s[0:3], 0 offen offset:4
	buffer_load_dword v3, off, s[0:3], 0 offset:388
	buffer_load_dword v4, off, s[0:3], 0 offset:384
	s_waitcnt vmcnt(3)
	buffer_store_dword v1, off, s[0:3], 0 offset:384
	s_waitcnt vmcnt(3)
	buffer_store_dword v2, off, s[0:3], 0 offset:388
	s_waitcnt vmcnt(3)
	buffer_store_dword v3, v0, s[0:3], 0 offen offset:4
	s_waitcnt vmcnt(3)
	buffer_store_dword v4, v0, s[0:3], 0 offen
.LBB50_324:
	v_mov_b32_e32 v0, 0
	global_load_dword v1, v0, s[20:21] offset:188
	s_waitcnt vmcnt(0)
	v_add_u32_e32 v103, -1, v1
	v_cmp_eq_u32_e32 vcc, 47, v103
	s_cbranch_vccnz .LBB50_326
; %bb.325:
	v_lshlrev_b32_e32 v1, 3, v103
	buffer_load_dword v2, v1, s[0:3], 0 offen
	buffer_load_dword v3, v1, s[0:3], 0 offen offset:4
	buffer_load_dword v4, off, s[0:3], 0 offset:376
	buffer_load_dword v5, off, s[0:3], 0 offset:380
	s_waitcnt vmcnt(3)
	buffer_store_dword v2, off, s[0:3], 0 offset:376
	s_waitcnt vmcnt(3)
	buffer_store_dword v3, off, s[0:3], 0 offset:380
	s_waitcnt vmcnt(3)
	buffer_store_dword v4, v1, s[0:3], 0 offen
	s_waitcnt vmcnt(3)
	buffer_store_dword v5, v1, s[0:3], 0 offen offset:4
.LBB50_326:
	global_load_dword v0, v0, s[20:21] offset:184
	s_waitcnt vmcnt(0)
	v_add_u32_e32 v0, -1, v0
	v_cmp_eq_u32_e32 vcc, 46, v0
	s_cbranch_vccnz .LBB50_328
; %bb.327:
	v_lshlrev_b32_e32 v0, 3, v0
	buffer_load_dword v1, v0, s[0:3], 0 offen
	buffer_load_dword v2, v0, s[0:3], 0 offen offset:4
	buffer_load_dword v3, off, s[0:3], 0 offset:372
	buffer_load_dword v4, off, s[0:3], 0 offset:368
	s_waitcnt vmcnt(3)
	buffer_store_dword v1, off, s[0:3], 0 offset:368
	s_waitcnt vmcnt(3)
	buffer_store_dword v2, off, s[0:3], 0 offset:372
	s_waitcnt vmcnt(3)
	buffer_store_dword v3, v0, s[0:3], 0 offen offset:4
	s_waitcnt vmcnt(3)
	buffer_store_dword v4, v0, s[0:3], 0 offen
.LBB50_328:
	v_mov_b32_e32 v0, 0
	global_load_dword v1, v0, s[20:21] offset:180
	s_waitcnt vmcnt(0)
	v_add_u32_e32 v103, -1, v1
	v_cmp_eq_u32_e32 vcc, 45, v103
	s_cbranch_vccnz .LBB50_330
; %bb.329:
	v_lshlrev_b32_e32 v1, 3, v103
	buffer_load_dword v2, v1, s[0:3], 0 offen
	buffer_load_dword v3, v1, s[0:3], 0 offen offset:4
	buffer_load_dword v4, off, s[0:3], 0 offset:360
	buffer_load_dword v5, off, s[0:3], 0 offset:364
	s_waitcnt vmcnt(3)
	buffer_store_dword v2, off, s[0:3], 0 offset:360
	s_waitcnt vmcnt(3)
	buffer_store_dword v3, off, s[0:3], 0 offset:364
	s_waitcnt vmcnt(3)
	buffer_store_dword v4, v1, s[0:3], 0 offen
	s_waitcnt vmcnt(3)
	buffer_store_dword v5, v1, s[0:3], 0 offen offset:4
.LBB50_330:
	;; [unrolled: 41-line block ×24, first 2 shown]
	global_load_dword v0, v0, s[20:21]
	s_waitcnt vmcnt(0)
	v_add_u32_e32 v0, -1, v0
	v_cmp_eq_u32_e32 vcc, 0, v0
	s_cbranch_vccnz .LBB50_420
; %bb.419:
	v_lshlrev_b32_e32 v0, 3, v0
	buffer_load_dword v1, v0, s[0:3], 0 offen
	buffer_load_dword v2, v0, s[0:3], 0 offen offset:4
	buffer_load_dword v3, off, s[0:3], 0 offset:4
	buffer_load_dword v4, off, s[0:3], 0
	s_waitcnt vmcnt(3)
	buffer_store_dword v1, off, s[0:3], 0
	s_waitcnt vmcnt(3)
	buffer_store_dword v2, off, s[0:3], 0 offset:4
	s_waitcnt vmcnt(3)
	buffer_store_dword v3, v0, s[0:3], 0 offen offset:4
	s_waitcnt vmcnt(3)
	buffer_store_dword v4, v0, s[0:3], 0 offen
.LBB50_420:
	buffer_load_dword v103, off, s[0:3], 0
	buffer_load_dword v104, off, s[0:3], 0 offset:4
	buffer_load_dword v105, off, s[0:3], 0 offset:8
	;; [unrolled: 1-line block ×101, first 2 shown]
	s_waitcnt vmcnt(62)
	global_store_dwordx2 v[93:94], v[103:104], off
	global_store_dwordx2 v[95:96], v[105:106], off
	buffer_load_dword v0, off, s[0:3], 0 offset:408 ; 4-byte Folded Reload
	buffer_load_dword v1, off, s[0:3], 0 offset:412 ; 4-byte Folded Reload
	s_waitcnt vmcnt(0)
	global_store_dwordx2 v[0:1], v[107:108], off
	buffer_load_dword v0, off, s[0:3], 0 offset:416 ; 4-byte Folded Reload
	s_nop 0
	buffer_load_dword v1, off, s[0:3], 0 offset:420 ; 4-byte Folded Reload
	s_waitcnt vmcnt(0)
	global_store_dwordx2 v[0:1], v[109:110], off
	buffer_load_dword v0, off, s[0:3], 0 offset:424 ; 4-byte Folded Reload
	s_nop 0
	;; [unrolled: 5-line block ×25, first 2 shown]
	buffer_load_dword v1, off, s[0:3], 0 offset:612 ; 4-byte Folded Reload
	s_waitcnt vmcnt(0)
	global_store_dwordx2 v[0:1], v[157:158], off
	global_store_dwordx2 v[53:54], v[159:160], off
	;; [unrolled: 1-line block ×24, first 2 shown]
	s_endpgm
	.section	.rodata,"a",@progbits
	.p2align	6, 0x0
	.amdhsa_kernel _ZN9rocsolver6v33100L18getri_kernel_smallILi51E19rocblas_complex_numIfEPS3_EEvT1_iilPiilS6_bb
		.amdhsa_group_segment_fixed_size 824
		.amdhsa_private_segment_fixed_size 624
		.amdhsa_kernarg_size 60
		.amdhsa_user_sgpr_count 6
		.amdhsa_user_sgpr_private_segment_buffer 1
		.amdhsa_user_sgpr_dispatch_ptr 0
		.amdhsa_user_sgpr_queue_ptr 0
		.amdhsa_user_sgpr_kernarg_segment_ptr 1
		.amdhsa_user_sgpr_dispatch_id 0
		.amdhsa_user_sgpr_flat_scratch_init 0
		.amdhsa_user_sgpr_private_segment_size 0
		.amdhsa_uses_dynamic_stack 0
		.amdhsa_system_sgpr_private_segment_wavefront_offset 1
		.amdhsa_system_sgpr_workgroup_id_x 1
		.amdhsa_system_sgpr_workgroup_id_y 0
		.amdhsa_system_sgpr_workgroup_id_z 0
		.amdhsa_system_sgpr_workgroup_info 0
		.amdhsa_system_vgpr_workitem_id 0
		.amdhsa_next_free_vgpr 256
		.amdhsa_next_free_sgpr 24
		.amdhsa_reserve_vcc 1
		.amdhsa_reserve_flat_scratch 0
		.amdhsa_float_round_mode_32 0
		.amdhsa_float_round_mode_16_64 0
		.amdhsa_float_denorm_mode_32 3
		.amdhsa_float_denorm_mode_16_64 3
		.amdhsa_dx10_clamp 1
		.amdhsa_ieee_mode 1
		.amdhsa_fp16_overflow 0
		.amdhsa_exception_fp_ieee_invalid_op 0
		.amdhsa_exception_fp_denorm_src 0
		.amdhsa_exception_fp_ieee_div_zero 0
		.amdhsa_exception_fp_ieee_overflow 0
		.amdhsa_exception_fp_ieee_underflow 0
		.amdhsa_exception_fp_ieee_inexact 0
		.amdhsa_exception_int_div_zero 0
	.end_amdhsa_kernel
	.section	.text._ZN9rocsolver6v33100L18getri_kernel_smallILi51E19rocblas_complex_numIfEPS3_EEvT1_iilPiilS6_bb,"axG",@progbits,_ZN9rocsolver6v33100L18getri_kernel_smallILi51E19rocblas_complex_numIfEPS3_EEvT1_iilPiilS6_bb,comdat
.Lfunc_end50:
	.size	_ZN9rocsolver6v33100L18getri_kernel_smallILi51E19rocblas_complex_numIfEPS3_EEvT1_iilPiilS6_bb, .Lfunc_end50-_ZN9rocsolver6v33100L18getri_kernel_smallILi51E19rocblas_complex_numIfEPS3_EEvT1_iilPiilS6_bb
                                        ; -- End function
	.set _ZN9rocsolver6v33100L18getri_kernel_smallILi51E19rocblas_complex_numIfEPS3_EEvT1_iilPiilS6_bb.num_vgpr, 256
	.set _ZN9rocsolver6v33100L18getri_kernel_smallILi51E19rocblas_complex_numIfEPS3_EEvT1_iilPiilS6_bb.num_agpr, 0
	.set _ZN9rocsolver6v33100L18getri_kernel_smallILi51E19rocblas_complex_numIfEPS3_EEvT1_iilPiilS6_bb.numbered_sgpr, 24
	.set _ZN9rocsolver6v33100L18getri_kernel_smallILi51E19rocblas_complex_numIfEPS3_EEvT1_iilPiilS6_bb.num_named_barrier, 0
	.set _ZN9rocsolver6v33100L18getri_kernel_smallILi51E19rocblas_complex_numIfEPS3_EEvT1_iilPiilS6_bb.private_seg_size, 624
	.set _ZN9rocsolver6v33100L18getri_kernel_smallILi51E19rocblas_complex_numIfEPS3_EEvT1_iilPiilS6_bb.uses_vcc, 1
	.set _ZN9rocsolver6v33100L18getri_kernel_smallILi51E19rocblas_complex_numIfEPS3_EEvT1_iilPiilS6_bb.uses_flat_scratch, 0
	.set _ZN9rocsolver6v33100L18getri_kernel_smallILi51E19rocblas_complex_numIfEPS3_EEvT1_iilPiilS6_bb.has_dyn_sized_stack, 0
	.set _ZN9rocsolver6v33100L18getri_kernel_smallILi51E19rocblas_complex_numIfEPS3_EEvT1_iilPiilS6_bb.has_recursion, 0
	.set _ZN9rocsolver6v33100L18getri_kernel_smallILi51E19rocblas_complex_numIfEPS3_EEvT1_iilPiilS6_bb.has_indirect_call, 0
	.section	.AMDGPU.csdata,"",@progbits
; Kernel info:
; codeLenInByte = 96892
; TotalNumSgprs: 28
; NumVgprs: 256
; ScratchSize: 624
; MemoryBound: 0
; FloatMode: 240
; IeeeMode: 1
; LDSByteSize: 824 bytes/workgroup (compile time only)
; SGPRBlocks: 3
; VGPRBlocks: 63
; NumSGPRsForWavesPerEU: 28
; NumVGPRsForWavesPerEU: 256
; Occupancy: 1
; WaveLimiterHint : 1
; COMPUTE_PGM_RSRC2:SCRATCH_EN: 1
; COMPUTE_PGM_RSRC2:USER_SGPR: 6
; COMPUTE_PGM_RSRC2:TRAP_HANDLER: 0
; COMPUTE_PGM_RSRC2:TGID_X_EN: 1
; COMPUTE_PGM_RSRC2:TGID_Y_EN: 0
; COMPUTE_PGM_RSRC2:TGID_Z_EN: 0
; COMPUTE_PGM_RSRC2:TIDIG_COMP_CNT: 0
	.section	.text._ZN9rocsolver6v33100L18getri_kernel_smallILi52E19rocblas_complex_numIfEPS3_EEvT1_iilPiilS6_bb,"axG",@progbits,_ZN9rocsolver6v33100L18getri_kernel_smallILi52E19rocblas_complex_numIfEPS3_EEvT1_iilPiilS6_bb,comdat
	.globl	_ZN9rocsolver6v33100L18getri_kernel_smallILi52E19rocblas_complex_numIfEPS3_EEvT1_iilPiilS6_bb ; -- Begin function _ZN9rocsolver6v33100L18getri_kernel_smallILi52E19rocblas_complex_numIfEPS3_EEvT1_iilPiilS6_bb
	.p2align	8
	.type	_ZN9rocsolver6v33100L18getri_kernel_smallILi52E19rocblas_complex_numIfEPS3_EEvT1_iilPiilS6_bb,@function
_ZN9rocsolver6v33100L18getri_kernel_smallILi52E19rocblas_complex_numIfEPS3_EEvT1_iilPiilS6_bb: ; @_ZN9rocsolver6v33100L18getri_kernel_smallILi52E19rocblas_complex_numIfEPS3_EEvT1_iilPiilS6_bb
; %bb.0:
	s_add_u32 s0, s0, s7
	s_addc_u32 s1, s1, 0
	v_cmp_gt_u32_e32 vcc, 52, v0
	s_and_saveexec_b64 s[8:9], vcc
	s_cbranch_execz .LBB51_222
; %bb.1:
	s_load_dword s12, s[4:5], 0x38
	s_load_dwordx4 s[16:19], s[4:5], 0x10
	s_load_dwordx4 s[8:11], s[4:5], 0x28
                                        ; implicit-def: $sgpr20_sgpr21
	s_waitcnt lgkmcnt(0)
	s_bitcmp1_b32 s12, 8
	s_cselect_b64 s[22:23], -1, 0
	s_ashr_i32 s7, s6, 31
	s_bfe_u32 s12, s12, 0x10008
	s_cmp_eq_u32 s12, 0
	s_cbranch_scc1 .LBB51_3
; %bb.2:
	s_load_dword s12, s[4:5], 0x20
	s_mul_i32 s13, s8, s7
	s_mul_hi_u32 s14, s8, s6
	s_mul_i32 s9, s9, s6
	s_add_i32 s14, s14, s13
	s_add_i32 s9, s14, s9
	s_mul_i32 s8, s8, s6
	s_waitcnt lgkmcnt(0)
	s_ashr_i32 s13, s12, 31
	s_lshl_b64 s[8:9], s[8:9], 2
	s_add_u32 s14, s18, s8
	s_addc_u32 s15, s19, s9
	s_lshl_b64 s[8:9], s[12:13], 2
	s_add_u32 s20, s14, s8
	s_addc_u32 s21, s15, s9
.LBB51_3:
	s_load_dwordx4 s[12:15], s[4:5], 0x0
	s_load_dword s8, s[4:5], 0x38
	s_mul_i32 s9, s16, s7
	s_mul_hi_u32 s18, s16, s6
	s_add_i32 s9, s18, s9
	s_waitcnt lgkmcnt(0)
	s_ashr_i32 s5, s14, 31
	s_mov_b32 s4, s14
	s_mul_i32 s14, s17, s6
	s_add_i32 s17, s9, s14
	s_mul_i32 s16, s16, s6
	s_lshl_b64 s[16:17], s[16:17], 3
	s_add_u32 s9, s12, s16
	s_addc_u32 s12, s13, s17
	s_lshl_b64 s[4:5], s[4:5], 3
	s_add_u32 s4, s9, s4
	s_addc_u32 s5, s12, s5
	s_add_i32 s9, s15, s15
	v_add_u32_e32 v3, s9, v0
	v_ashrrev_i32_e32 v4, 31, v3
	v_lshlrev_b64 v[1:2], 3, v[3:4]
	v_add_u32_e32 v5, s15, v3
	v_mov_b32_e32 v4, s5
	v_add_co_u32_e32 v1, vcc, s4, v1
	v_ashrrev_i32_e32 v6, 31, v5
	v_addc_co_u32_e32 v2, vcc, v4, v2, vcc
	v_lshlrev_b64 v[3:4], 3, v[5:6]
	v_add_u32_e32 v7, s15, v5
	v_mov_b32_e32 v6, s5
	v_add_co_u32_e32 v3, vcc, s4, v3
	v_ashrrev_i32_e32 v8, 31, v7
	v_addc_co_u32_e32 v4, vcc, v6, v4, vcc
	;; [unrolled: 6-line block ×8, first 2 shown]
	v_lshlrev_b64 v[17:18], 3, v[19:20]
	v_mov_b32_e32 v21, s5
	v_add_co_u32_e32 v17, vcc, s4, v17
	v_addc_co_u32_e32 v18, vcc, v21, v18, vcc
	v_add_u32_e32 v21, s15, v19
	v_ashrrev_i32_e32 v22, 31, v21
	v_lshlrev_b64 v[19:20], 3, v[21:22]
	v_mov_b32_e32 v23, s5
	v_add_co_u32_e32 v19, vcc, s4, v19
	v_addc_co_u32_e32 v20, vcc, v23, v20, vcc
	v_add_u32_e32 v23, s15, v21
	v_ashrrev_i32_e32 v24, 31, v23
	;; [unrolled: 6-line block ×35, first 2 shown]
	v_lshlrev_b64 v[87:88], 3, v[89:90]
	v_mov_b32_e32 v91, s5
	v_add_co_u32_e32 v87, vcc, s4, v87
	v_addc_co_u32_e32 v88, vcc, v91, v88, vcc
	v_lshlrev_b32_e32 v107, 3, v0
	v_mov_b32_e32 v90, s5
	v_add_co_u32_e32 v95, vcc, s4, v107
	s_ashr_i32 s13, s15, 31
	s_mov_b32 s12, s15
	v_addc_co_u32_e32 v96, vcc, 0, v90, vcc
	s_lshl_b64 s[12:13], s[12:13], 3
	v_mov_b32_e32 v90, s13
	v_add_co_u32_e32 v97, vcc, s12, v95
	v_addc_co_u32_e32 v98, vcc, v96, v90, vcc
	global_load_dwordx2 v[105:106], v107, s[4:5]
	global_load_dwordx2 v[108:109], v[97:98], off
	s_nop 0
	buffer_store_dword v1, off, s[0:3], 0 offset:416 ; 4-byte Folded Spill
	s_nop 0
	buffer_store_dword v2, off, s[0:3], 0 offset:420 ; 4-byte Folded Spill
	v_add_u32_e32 v91, s15, v89
	v_ashrrev_i32_e32 v92, 31, v91
	v_lshlrev_b64 v[89:90], 3, v[91:92]
	v_mov_b32_e32 v93, s5
	v_add_co_u32_e32 v89, vcc, s4, v89
	v_addc_co_u32_e32 v90, vcc, v93, v90, vcc
	v_add_u32_e32 v93, s15, v91
	v_ashrrev_i32_e32 v94, 31, v93
	v_lshlrev_b64 v[91:92], 3, v[93:94]
	v_mov_b32_e32 v99, s5
	v_add_co_u32_e32 v91, vcc, s4, v91
	v_addc_co_u32_e32 v92, vcc, v99, v92, vcc
	;; [unrolled: 6-line block ×6, first 2 shown]
	s_bitcmp0_b32 s8, 0
	s_mov_b64 s[8:9], -1
	global_load_dwordx2 v[110:111], v[1:2], off
	s_nop 0
	buffer_store_dword v3, off, s[0:3], 0 offset:424 ; 4-byte Folded Spill
	s_nop 0
	buffer_store_dword v4, off, s[0:3], 0 offset:428 ; 4-byte Folded Spill
	global_load_dwordx2 v[112:113], v[3:4], off
	s_nop 0
	buffer_store_dword v5, off, s[0:3], 0 offset:432 ; 4-byte Folded Spill
	s_nop 0
	buffer_store_dword v6, off, s[0:3], 0 offset:436 ; 4-byte Folded Spill
	;; [unrolled: 5-line block ×26, first 2 shown]
	global_load_dwordx2 v[162:163], v[53:54], off
	s_waitcnt vmcnt(62)
	buffer_store_dword v106, off, s[0:3], 0 offset:4
	buffer_store_dword v55, off, s[0:3], 0 offset:632 ; 4-byte Folded Spill
	s_nop 0
	buffer_store_dword v56, off, s[0:3], 0 offset:636 ; 4-byte Folded Spill
	global_load_dwordx2 v[164:165], v[55:56], off
	s_nop 0
	buffer_store_dword v105, off, s[0:3], 0
	buffer_store_dword v57, off, s[0:3], 0 offset:640 ; 4-byte Folded Spill
	s_nop 0
	buffer_store_dword v58, off, s[0:3], 0 offset:644 ; 4-byte Folded Spill
	global_load_dwordx2 v[166:167], v[59:60], off
	global_load_dwordx2 v[168:169], v[63:64], off
	global_load_dwordx2 v[170:171], v[67:68], off
	global_load_dwordx2 v[172:173], v[71:72], off
	global_load_dwordx2 v[174:175], v[75:76], off
	global_load_dwordx2 v[176:177], v[79:80], off
	global_load_dwordx2 v[178:179], v[83:84], off
	global_load_dwordx2 v[180:181], v[87:88], off
	global_load_dwordx2 v[182:183], v[91:92], off
	global_load_dwordx2 v[184:185], v[99:100], off
	global_load_dwordx2 v[186:187], v[103:104], off
	global_load_dwordx2 v[105:106], v[57:58], off
	s_nop 0
	buffer_store_dword v109, off, s[0:3], 0 offset:12
	buffer_store_dword v108, off, s[0:3], 0 offset:8
	global_load_dwordx2 v[108:109], v[61:62], off
	s_nop 0
	buffer_store_dword v111, off, s[0:3], 0 offset:20
	buffer_store_dword v110, off, s[0:3], 0 offset:16
	global_load_dwordx2 v[110:111], v[65:66], off
	;; [unrolled: 4-line block ×7, first 2 shown]
	s_waitcnt vmcnt(62)
	buffer_store_dword v123, off, s[0:3], 0 offset:68
	buffer_store_dword v122, off, s[0:3], 0 offset:64
	global_load_dwordx2 v[122:123], v[89:90], off
	s_nop 0
	buffer_store_dword v124, off, s[0:3], 0 offset:72
	buffer_store_dword v125, off, s[0:3], 0 offset:76
	global_load_dwordx2 v[124:125], v[93:94], off
	s_nop 0
	;; [unrolled: 4-line block ×3, first 2 shown]
	buffer_store_dword v128, off, s[0:3], 0 offset:88
	buffer_store_dword v129, off, s[0:3], 0 offset:92
	;; [unrolled: 1-line block ×20, first 2 shown]
	s_waitcnt vmcnt(62)
	buffer_store_dword v148, off, s[0:3], 0 offset:168
	buffer_store_dword v149, off, s[0:3], 0 offset:172
	;; [unrolled: 1-line block ×18, first 2 shown]
	s_waitcnt vmcnt(62)
	buffer_store_dword v105, off, s[0:3], 0 offset:240
	buffer_store_dword v106, off, s[0:3], 0 offset:244
	;; [unrolled: 1-line block ×12, first 2 shown]
	s_waitcnt vmcnt(62)
	buffer_store_dword v112, off, s[0:3], 0 offset:288
	buffer_store_dword v113, off, s[0:3], 0 offset:292
	;; [unrolled: 1-line block ×16, first 2 shown]
	s_waitcnt vmcnt(62)
	buffer_store_dword v121, off, s[0:3], 0 offset:356
	buffer_store_dword v120, off, s[0:3], 0 offset:352
	;; [unrolled: 1-line block ×16, first 2 shown]
	s_cbranch_scc1 .LBB51_220
; %bb.4:
	v_cmp_eq_u32_e64 s[4:5], 0, v0
	s_and_saveexec_b64 s[8:9], s[4:5]
; %bb.5:
	v_mov_b32_e32 v105, 0
	ds_write_b32 v105, v105 offset:832
; %bb.6:
	s_or_b64 exec, exec, s[8:9]
	v_mov_b32_e32 v105, 0
	v_lshl_add_u32 v109, v0, 3, v105
	s_waitcnt lgkmcnt(0)
	; wave barrier
	buffer_load_dword v105, v109, s[0:3], 0 offen
	buffer_load_dword v106, v109, s[0:3], 0 offen offset:4
	s_waitcnt vmcnt(1)
	v_cmp_eq_f32_e32 vcc, 0, v105
	s_waitcnt vmcnt(0)
	v_cmp_eq_f32_e64 s[8:9], 0, v106
	s_and_b64 s[8:9], vcc, s[8:9]
	s_and_saveexec_b64 s[12:13], s[8:9]
	s_cbranch_execz .LBB51_10
; %bb.7:
	v_mov_b32_e32 v105, 0
	ds_read_b32 v108, v105 offset:832
	v_add_u32_e32 v106, 1, v0
	s_waitcnt lgkmcnt(0)
	v_readfirstlane_b32 s8, v108
	s_cmp_eq_u32 s8, 0
	s_cselect_b64 s[14:15], -1, 0
	v_cmp_gt_i32_e32 vcc, s8, v106
	s_or_b64 s[14:15], s[14:15], vcc
	s_and_b64 exec, exec, s[14:15]
	s_cbranch_execz .LBB51_10
; %bb.8:
	s_mov_b64 s[14:15], 0
	v_mov_b32_e32 v108, s8
.LBB51_9:                               ; =>This Inner Loop Header: Depth=1
	ds_cmpst_rtn_b32 v108, v105, v108, v106 offset:832
	s_waitcnt lgkmcnt(0)
	v_cmp_ne_u32_e32 vcc, 0, v108
	v_cmp_le_i32_e64 s[8:9], v108, v106
	s_and_b64 s[8:9], vcc, s[8:9]
	s_and_b64 s[8:9], exec, s[8:9]
	s_or_b64 s[14:15], s[8:9], s[14:15]
	s_andn2_b64 exec, exec, s[14:15]
	s_cbranch_execnz .LBB51_9
.LBB51_10:
	s_or_b64 exec, exec, s[12:13]
	v_mov_b32_e32 v106, 0
	; wave barrier
	ds_read_b32 v105, v106 offset:832
	s_and_saveexec_b64 s[8:9], s[4:5]
	s_cbranch_execz .LBB51_12
; %bb.11:
	s_lshl_b64 s[12:13], s[6:7], 2
	s_add_u32 s12, s10, s12
	s_addc_u32 s13, s11, s13
	s_waitcnt lgkmcnt(0)
	global_store_dword v106, v105, s[12:13]
.LBB51_12:
	s_or_b64 exec, exec, s[8:9]
	s_waitcnt lgkmcnt(0)
	v_cmp_ne_u32_e32 vcc, 0, v105
	s_mov_b64 s[8:9], 0
	s_cbranch_vccnz .LBB51_220
; %bb.13:
	buffer_load_dword v106, v109, s[0:3], 0 offen
	buffer_load_dword v108, v109, s[0:3], 0 offen offset:4
                                        ; implicit-def: $vgpr111
                                        ; implicit-def: $vgpr110
                                        ; implicit-def: $vgpr105
	s_waitcnt vmcnt(0)
	v_cmp_ngt_f32_e64 s[8:9], |v106|, |v108|
	s_and_saveexec_b64 s[12:13], s[8:9]
	s_xor_b64 s[8:9], exec, s[12:13]
	s_cbranch_execz .LBB51_15
; %bb.14:
	v_div_scale_f32 v105, s[12:13], v108, v108, v106
	v_div_scale_f32 v110, vcc, v106, v108, v106
	v_rcp_f32_e32 v111, v105
	v_fma_f32 v112, -v105, v111, 1.0
	v_fmac_f32_e32 v111, v112, v111
	v_mul_f32_e32 v112, v110, v111
	v_fma_f32 v113, -v105, v112, v110
	v_fmac_f32_e32 v112, v113, v111
	v_fma_f32 v105, -v105, v112, v110
	v_div_fmas_f32 v105, v105, v111, v112
	v_div_fixup_f32 v105, v105, v108, v106
	v_fmac_f32_e32 v108, v106, v105
	v_div_scale_f32 v106, s[12:13], v108, v108, 1.0
	v_div_scale_f32 v110, vcc, 1.0, v108, 1.0
	v_rcp_f32_e32 v111, v106
	v_fma_f32 v112, -v106, v111, 1.0
	v_fmac_f32_e32 v111, v112, v111
	v_mul_f32_e32 v112, v110, v111
	v_fma_f32 v113, -v106, v112, v110
	v_fmac_f32_e32 v112, v113, v111
	v_fma_f32 v106, -v106, v112, v110
	v_div_fmas_f32 v106, v106, v111, v112
	v_div_fixup_f32 v106, v106, v108, 1.0
	v_mul_f32_e32 v111, v105, v106
	v_xor_b32_e32 v110, 0x80000000, v106
	v_xor_b32_e32 v105, 0x80000000, v111
                                        ; implicit-def: $vgpr106
                                        ; implicit-def: $vgpr108
.LBB51_15:
	s_andn2_saveexec_b64 s[8:9], s[8:9]
	s_cbranch_execz .LBB51_17
; %bb.16:
	v_div_scale_f32 v105, s[12:13], v106, v106, v108
	v_div_scale_f32 v110, vcc, v108, v106, v108
	v_rcp_f32_e32 v111, v105
	v_fma_f32 v112, -v105, v111, 1.0
	v_fmac_f32_e32 v111, v112, v111
	v_mul_f32_e32 v112, v110, v111
	v_fma_f32 v113, -v105, v112, v110
	v_fmac_f32_e32 v112, v113, v111
	v_fma_f32 v105, -v105, v112, v110
	v_div_fmas_f32 v105, v105, v111, v112
	v_div_fixup_f32 v110, v105, v106, v108
	v_fmac_f32_e32 v106, v108, v110
	v_div_scale_f32 v105, s[12:13], v106, v106, 1.0
	v_div_scale_f32 v108, vcc, 1.0, v106, 1.0
	v_rcp_f32_e32 v111, v105
	v_fma_f32 v112, -v105, v111, 1.0
	v_fmac_f32_e32 v111, v112, v111
	v_mul_f32_e32 v112, v108, v111
	v_fma_f32 v113, -v105, v112, v108
	v_fmac_f32_e32 v112, v113, v111
	v_fma_f32 v105, -v105, v112, v108
	v_div_fmas_f32 v105, v105, v111, v112
	v_div_fixup_f32 v111, v105, v106, 1.0
	v_xor_b32_e32 v105, 0x80000000, v111
	v_mul_f32_e64 v110, v110, -v111
.LBB51_17:
	s_or_b64 exec, exec, s[8:9]
	buffer_store_dword v111, v109, s[0:3], 0 offen
	buffer_store_dword v110, v109, s[0:3], 0 offen offset:4
	buffer_load_dword v112, off, s[0:3], 0 offset:12
	s_nop 0
	buffer_load_dword v111, off, s[0:3], 0 offset:8
	v_xor_b32_e32 v106, 0x80000000, v110
	v_add_u32_e32 v108, 0x1a0, v107
	s_waitcnt vmcnt(0)
	ds_write2_b64 v107, v[105:106], v[111:112] offset1:52
	s_waitcnt lgkmcnt(0)
	; wave barrier
	s_and_saveexec_b64 s[8:9], s[4:5]
	s_cbranch_execz .LBB51_19
; %bb.18:
	buffer_load_dword v112, v109, s[0:3], 0 offen offset:4
	buffer_load_dword v113, v109, s[0:3], 0 offen
	ds_read_b64 v[105:106], v108
	v_mov_b32_e32 v110, 0
	ds_read_b64 v[110:111], v110 offset:8
	s_waitcnt vmcnt(1) lgkmcnt(1)
	v_mul_f32_e32 v114, v106, v112
	v_mul_f32_e32 v112, v105, v112
	s_waitcnt vmcnt(0)
	v_fmac_f32_e32 v112, v106, v113
	v_fma_f32 v105, v105, v113, -v114
	v_add_f32_e32 v106, 0, v112
	v_add_f32_e32 v105, 0, v105
	s_waitcnt lgkmcnt(0)
	v_mul_f32_e32 v112, v106, v111
	v_mul_f32_e32 v111, v105, v111
	v_fma_f32 v105, v105, v110, -v112
	v_fmac_f32_e32 v111, v106, v110
	buffer_store_dword v105, off, s[0:3], 0 offset:8
	buffer_store_dword v111, off, s[0:3], 0 offset:12
.LBB51_19:
	s_or_b64 exec, exec, s[8:9]
	; wave barrier
	buffer_load_dword v105, off, s[0:3], 0 offset:16
	buffer_load_dword v106, off, s[0:3], 0 offset:20
	v_cmp_gt_u32_e32 vcc, 2, v0
	s_waitcnt vmcnt(0)
	ds_write_b64 v108, v[105:106]
	s_waitcnt lgkmcnt(0)
	; wave barrier
	s_and_saveexec_b64 s[8:9], vcc
	s_cbranch_execz .LBB51_23
; %bb.20:
	buffer_load_dword v110, v109, s[0:3], 0 offen offset:4
	buffer_load_dword v111, v109, s[0:3], 0 offen
	ds_read_b64 v[105:106], v108
	s_waitcnt vmcnt(1) lgkmcnt(0)
	v_mul_f32_e32 v109, v106, v110
	v_mul_f32_e32 v110, v105, v110
	s_waitcnt vmcnt(0)
	v_fma_f32 v105, v105, v111, -v109
	v_fmac_f32_e32 v110, v106, v111
	v_add_f32_e32 v106, 0, v105
	v_add_f32_e32 v105, 0, v110
	s_and_saveexec_b64 s[12:13], s[4:5]
	s_cbranch_execz .LBB51_22
; %bb.21:
	buffer_load_dword v111, off, s[0:3], 0 offset:12
	buffer_load_dword v112, off, s[0:3], 0 offset:8
	v_mov_b32_e32 v109, 0
	ds_read_b64 v[109:110], v109 offset:424
	s_waitcnt vmcnt(1) lgkmcnt(0)
	v_mul_f32_e32 v113, v109, v111
	v_mul_f32_e32 v111, v110, v111
	s_waitcnt vmcnt(0)
	v_fmac_f32_e32 v113, v110, v112
	v_fma_f32 v109, v109, v112, -v111
	v_add_f32_e32 v105, v105, v113
	v_add_f32_e32 v106, v106, v109
.LBB51_22:
	s_or_b64 exec, exec, s[12:13]
	v_mov_b32_e32 v109, 0
	ds_read_b64 v[109:110], v109 offset:16
	s_waitcnt lgkmcnt(0)
	v_mul_f32_e32 v111, v105, v110
	v_mul_f32_e32 v110, v106, v110
	v_fma_f32 v106, v106, v109, -v111
	v_fmac_f32_e32 v110, v105, v109
	buffer_store_dword v106, off, s[0:3], 0 offset:16
	buffer_store_dword v110, off, s[0:3], 0 offset:20
.LBB51_23:
	s_or_b64 exec, exec, s[8:9]
	; wave barrier
	buffer_load_dword v105, off, s[0:3], 0 offset:24
	buffer_load_dword v106, off, s[0:3], 0 offset:28
	v_cmp_gt_u32_e32 vcc, 3, v0
	s_waitcnt vmcnt(0)
	ds_write_b64 v108, v[105:106]
	v_add_u32_e32 v105, -1, v0
	s_waitcnt lgkmcnt(0)
	; wave barrier
	s_and_saveexec_b64 s[4:5], vcc
	s_cbranch_execz .LBB51_27
; %bb.24:
	v_add_u32_e32 v109, -1, v0
	v_add_u32_e32 v110, 0x1a0, v107
	v_mov_b32_e32 v111, v107
	v_mov_b32_e32 v106, 0
	s_mov_b64 s[8:9], 0
	v_mov_b32_e32 v112, 0
.LBB51_25:                              ; =>This Inner Loop Header: Depth=1
	buffer_load_dword v115, v111, s[0:3], 0 offen offset:4
	buffer_load_dword v116, v111, s[0:3], 0 offen
	ds_read_b64 v[113:114], v110
	v_add_u32_e32 v109, 1, v109
	v_cmp_lt_u32_e32 vcc, 1, v109
	v_add_u32_e32 v110, 8, v110
	v_add_u32_e32 v111, 8, v111
	s_or_b64 s[8:9], vcc, s[8:9]
	s_waitcnt vmcnt(1) lgkmcnt(0)
	v_mul_f32_e32 v117, v114, v115
	v_mul_f32_e32 v115, v113, v115
	s_waitcnt vmcnt(0)
	v_fma_f32 v113, v113, v116, -v117
	v_fmac_f32_e32 v115, v114, v116
	v_add_f32_e32 v112, v112, v113
	v_add_f32_e32 v106, v106, v115
	s_andn2_b64 exec, exec, s[8:9]
	s_cbranch_execnz .LBB51_25
; %bb.26:
	s_or_b64 exec, exec, s[8:9]
	v_mov_b32_e32 v109, 0
	ds_read_b64 v[109:110], v109 offset:24
	s_waitcnt lgkmcnt(0)
	v_mul_f32_e32 v111, v106, v110
	v_mul_f32_e32 v110, v112, v110
	v_fma_f32 v111, v112, v109, -v111
	v_fmac_f32_e32 v110, v106, v109
	buffer_store_dword v111, off, s[0:3], 0 offset:24
	buffer_store_dword v110, off, s[0:3], 0 offset:28
.LBB51_27:
	s_or_b64 exec, exec, s[4:5]
	; wave barrier
	buffer_load_dword v109, off, s[0:3], 0 offset:32
	buffer_load_dword v110, off, s[0:3], 0 offset:36
	v_cmp_gt_u32_e32 vcc, 4, v0
	s_waitcnt vmcnt(0)
	ds_write_b64 v108, v[109:110]
	s_waitcnt lgkmcnt(0)
	; wave barrier
	s_and_saveexec_b64 s[4:5], vcc
	s_cbranch_execz .LBB51_31
; %bb.28:
	v_add_u32_e32 v109, -1, v0
	v_add_u32_e32 v110, 0x1a0, v107
	v_mov_b32_e32 v111, v107
	v_mov_b32_e32 v106, 0
	s_mov_b64 s[8:9], 0
	v_mov_b32_e32 v112, 0
.LBB51_29:                              ; =>This Inner Loop Header: Depth=1
	buffer_load_dword v115, v111, s[0:3], 0 offen offset:4
	buffer_load_dword v116, v111, s[0:3], 0 offen
	ds_read_b64 v[113:114], v110
	v_add_u32_e32 v109, 1, v109
	v_cmp_lt_u32_e32 vcc, 2, v109
	v_add_u32_e32 v110, 8, v110
	v_add_u32_e32 v111, 8, v111
	s_or_b64 s[8:9], vcc, s[8:9]
	s_waitcnt vmcnt(1) lgkmcnt(0)
	v_mul_f32_e32 v117, v114, v115
	v_mul_f32_e32 v115, v113, v115
	s_waitcnt vmcnt(0)
	v_fma_f32 v113, v113, v116, -v117
	v_fmac_f32_e32 v115, v114, v116
	v_add_f32_e32 v112, v112, v113
	v_add_f32_e32 v106, v106, v115
	s_andn2_b64 exec, exec, s[8:9]
	s_cbranch_execnz .LBB51_29
; %bb.30:
	s_or_b64 exec, exec, s[8:9]
	v_mov_b32_e32 v109, 0
	ds_read_b64 v[109:110], v109 offset:32
	s_waitcnt lgkmcnt(0)
	v_mul_f32_e32 v111, v106, v110
	v_mul_f32_e32 v110, v112, v110
	v_fma_f32 v111, v112, v109, -v111
	v_fmac_f32_e32 v110, v106, v109
	buffer_store_dword v111, off, s[0:3], 0 offset:32
	buffer_store_dword v110, off, s[0:3], 0 offset:36
.LBB51_31:
	s_or_b64 exec, exec, s[4:5]
	; wave barrier
	buffer_load_dword v109, off, s[0:3], 0 offset:40
	buffer_load_dword v110, off, s[0:3], 0 offset:44
	v_cmp_gt_u32_e32 vcc, 5, v0
	s_waitcnt vmcnt(0)
	ds_write_b64 v108, v[109:110]
	;; [unrolled: 49-line block ×19, first 2 shown]
	s_waitcnt lgkmcnt(0)
	; wave barrier
	s_and_saveexec_b64 s[4:5], vcc
	s_cbranch_execz .LBB51_103
; %bb.100:
	v_add_u32_e32 v109, -1, v0
	v_add_u32_e32 v110, 0x1a0, v107
	v_mov_b32_e32 v111, v107
	v_mov_b32_e32 v106, 0
	s_mov_b64 s[8:9], 0
	v_mov_b32_e32 v112, 0
.LBB51_101:                             ; =>This Inner Loop Header: Depth=1
	buffer_load_dword v115, v111, s[0:3], 0 offen offset:4
	buffer_load_dword v116, v111, s[0:3], 0 offen
	ds_read_b64 v[113:114], v110
	v_add_u32_e32 v109, 1, v109
	v_cmp_lt_u32_e32 vcc, 20, v109
	v_add_u32_e32 v110, 8, v110
	v_add_u32_e32 v111, 8, v111
	s_or_b64 s[8:9], vcc, s[8:9]
	s_waitcnt vmcnt(1) lgkmcnt(0)
	v_mul_f32_e32 v117, v114, v115
	v_mul_f32_e32 v115, v113, v115
	s_waitcnt vmcnt(0)
	v_fma_f32 v113, v113, v116, -v117
	v_fmac_f32_e32 v115, v114, v116
	v_add_f32_e32 v112, v112, v113
	v_add_f32_e32 v106, v106, v115
	s_andn2_b64 exec, exec, s[8:9]
	s_cbranch_execnz .LBB51_101
; %bb.102:
	s_or_b64 exec, exec, s[8:9]
	v_mov_b32_e32 v109, 0
	ds_read_b64 v[109:110], v109 offset:176
	s_waitcnt lgkmcnt(0)
	v_mul_f32_e32 v111, v106, v110
	v_mul_f32_e32 v110, v112, v110
	v_fma_f32 v111, v112, v109, -v111
	v_fmac_f32_e32 v110, v106, v109
	buffer_store_dword v111, off, s[0:3], 0 offset:176
	buffer_store_dword v110, off, s[0:3], 0 offset:180
.LBB51_103:
	s_or_b64 exec, exec, s[4:5]
	; wave barrier
	buffer_load_dword v109, off, s[0:3], 0 offset:184
	buffer_load_dword v110, off, s[0:3], 0 offset:188
	v_cmp_gt_u32_e32 vcc, 23, v0
	s_waitcnt vmcnt(0)
	ds_write_b64 v108, v[109:110]
	s_waitcnt lgkmcnt(0)
	; wave barrier
	s_and_saveexec_b64 s[4:5], vcc
	s_cbranch_execz .LBB51_107
; %bb.104:
	v_add_u32_e32 v109, -1, v0
	v_add_u32_e32 v110, 0x1a0, v107
	v_mov_b32_e32 v111, v107
	v_mov_b32_e32 v106, 0
	s_mov_b64 s[8:9], 0
	v_mov_b32_e32 v112, 0
.LBB51_105:                             ; =>This Inner Loop Header: Depth=1
	buffer_load_dword v115, v111, s[0:3], 0 offen offset:4
	buffer_load_dword v116, v111, s[0:3], 0 offen
	ds_read_b64 v[113:114], v110
	v_add_u32_e32 v109, 1, v109
	v_cmp_lt_u32_e32 vcc, 21, v109
	v_add_u32_e32 v110, 8, v110
	v_add_u32_e32 v111, 8, v111
	s_or_b64 s[8:9], vcc, s[8:9]
	s_waitcnt vmcnt(1) lgkmcnt(0)
	v_mul_f32_e32 v117, v114, v115
	v_mul_f32_e32 v115, v113, v115
	s_waitcnt vmcnt(0)
	v_fma_f32 v113, v113, v116, -v117
	v_fmac_f32_e32 v115, v114, v116
	v_add_f32_e32 v112, v112, v113
	v_add_f32_e32 v106, v106, v115
	s_andn2_b64 exec, exec, s[8:9]
	s_cbranch_execnz .LBB51_105
; %bb.106:
	s_or_b64 exec, exec, s[8:9]
	v_mov_b32_e32 v109, 0
	ds_read_b64 v[109:110], v109 offset:184
	s_waitcnt lgkmcnt(0)
	v_mul_f32_e32 v111, v106, v110
	v_mul_f32_e32 v110, v112, v110
	v_fma_f32 v111, v112, v109, -v111
	v_fmac_f32_e32 v110, v106, v109
	buffer_store_dword v111, off, s[0:3], 0 offset:184
	buffer_store_dword v110, off, s[0:3], 0 offset:188
.LBB51_107:
	s_or_b64 exec, exec, s[4:5]
	; wave barrier
	buffer_load_dword v109, off, s[0:3], 0 offset:192
	buffer_load_dword v110, off, s[0:3], 0 offset:196
	v_cmp_gt_u32_e32 vcc, 24, v0
	s_waitcnt vmcnt(0)
	ds_write_b64 v108, v[109:110]
	;; [unrolled: 49-line block ×28, first 2 shown]
	s_waitcnt lgkmcnt(0)
	; wave barrier
	s_and_saveexec_b64 s[4:5], vcc
	s_cbranch_execz .LBB51_215
; %bb.212:
	v_add_u32_e32 v109, -1, v0
	v_add_u32_e32 v110, 0x1a0, v107
	v_mov_b32_e32 v111, v107
	v_mov_b32_e32 v106, 0
	s_mov_b64 s[8:9], 0
	v_mov_b32_e32 v112, 0
.LBB51_213:                             ; =>This Inner Loop Header: Depth=1
	buffer_load_dword v115, v111, s[0:3], 0 offen offset:4
	buffer_load_dword v116, v111, s[0:3], 0 offen
	ds_read_b64 v[113:114], v110
	v_add_u32_e32 v109, 1, v109
	v_cmp_lt_u32_e32 vcc, 48, v109
	v_add_u32_e32 v110, 8, v110
	v_add_u32_e32 v111, 8, v111
	s_or_b64 s[8:9], vcc, s[8:9]
	s_waitcnt vmcnt(1) lgkmcnt(0)
	v_mul_f32_e32 v117, v114, v115
	v_mul_f32_e32 v115, v113, v115
	s_waitcnt vmcnt(0)
	v_fma_f32 v113, v113, v116, -v117
	v_fmac_f32_e32 v115, v114, v116
	v_add_f32_e32 v112, v112, v113
	v_add_f32_e32 v106, v106, v115
	s_andn2_b64 exec, exec, s[8:9]
	s_cbranch_execnz .LBB51_213
; %bb.214:
	s_or_b64 exec, exec, s[8:9]
	v_mov_b32_e32 v109, 0
	ds_read_b64 v[109:110], v109 offset:400
	s_waitcnt lgkmcnt(0)
	v_mul_f32_e32 v111, v106, v110
	v_mul_f32_e32 v110, v112, v110
	v_fma_f32 v111, v112, v109, -v111
	v_fmac_f32_e32 v110, v106, v109
	buffer_store_dword v111, off, s[0:3], 0 offset:400
	buffer_store_dword v110, off, s[0:3], 0 offset:404
.LBB51_215:
	s_or_b64 exec, exec, s[4:5]
	; wave barrier
	buffer_load_dword v109, off, s[0:3], 0 offset:408
	buffer_load_dword v110, off, s[0:3], 0 offset:412
	v_cmp_ne_u32_e32 vcc, 51, v0
	s_waitcnt vmcnt(0)
	ds_write_b64 v108, v[109:110]
	s_waitcnt lgkmcnt(0)
	; wave barrier
	s_and_saveexec_b64 s[4:5], vcc
	s_cbranch_execz .LBB51_219
; %bb.216:
	v_add_u32_e32 v108, 0x1a0, v107
	v_mov_b32_e32 v106, 0
	s_mov_b64 s[8:9], 0
	v_mov_b32_e32 v109, 0
.LBB51_217:                             ; =>This Inner Loop Header: Depth=1
	buffer_load_dword v112, v107, s[0:3], 0 offen offset:4
	buffer_load_dword v113, v107, s[0:3], 0 offen
	ds_read_b64 v[110:111], v108
	v_add_u32_e32 v105, 1, v105
	v_cmp_lt_u32_e32 vcc, 49, v105
	v_add_u32_e32 v108, 8, v108
	v_add_u32_e32 v107, 8, v107
	s_or_b64 s[8:9], vcc, s[8:9]
	s_waitcnt vmcnt(1) lgkmcnt(0)
	v_mul_f32_e32 v114, v111, v112
	v_mul_f32_e32 v112, v110, v112
	s_waitcnt vmcnt(0)
	v_fma_f32 v110, v110, v113, -v114
	v_fmac_f32_e32 v112, v111, v113
	v_add_f32_e32 v109, v109, v110
	v_add_f32_e32 v106, v106, v112
	s_andn2_b64 exec, exec, s[8:9]
	s_cbranch_execnz .LBB51_217
; %bb.218:
	s_or_b64 exec, exec, s[8:9]
	v_mov_b32_e32 v105, 0
	ds_read_b64 v[107:108], v105 offset:408
	s_waitcnt lgkmcnt(0)
	v_mul_f32_e32 v105, v106, v108
	v_mul_f32_e32 v108, v109, v108
	v_fma_f32 v105, v109, v107, -v105
	v_fmac_f32_e32 v108, v106, v107
	buffer_store_dword v105, off, s[0:3], 0 offset:408
	buffer_store_dword v108, off, s[0:3], 0 offset:412
.LBB51_219:
	s_or_b64 exec, exec, s[4:5]
	s_mov_b64 s[8:9], -1
	; wave barrier
.LBB51_220:
	s_and_b64 vcc, exec, s[8:9]
	s_cbranch_vccz .LBB51_222
; %bb.221:
	s_lshl_b64 s[4:5], s[6:7], 2
	s_add_u32 s4, s10, s4
	s_addc_u32 s5, s11, s5
	v_mov_b32_e32 v105, 0
	global_load_dword v105, v105, s[4:5]
	s_waitcnt vmcnt(0)
	v_cmp_ne_u32_e32 vcc, 0, v105
	s_cbranch_vccz .LBB51_223
.LBB51_222:
	s_endpgm
.LBB51_223:
	v_mov_b32_e32 v105, 0x1a0
	v_lshl_add_u32 v105, v0, 3, v105
	v_cmp_eq_u32_e32 vcc, 51, v0
	s_and_saveexec_b64 s[4:5], vcc
	s_cbranch_execz .LBB51_225
; %bb.224:
	buffer_load_dword v106, off, s[0:3], 0 offset:400
	buffer_load_dword v107, off, s[0:3], 0 offset:404
	v_mov_b32_e32 v108, 0
	buffer_store_dword v108, off, s[0:3], 0 offset:400
	buffer_store_dword v108, off, s[0:3], 0 offset:404
	s_waitcnt vmcnt(2)
	ds_write_b64 v105, v[106:107]
.LBB51_225:
	s_or_b64 exec, exec, s[4:5]
	s_waitcnt lgkmcnt(0)
	; wave barrier
	buffer_load_dword v109, off, s[0:3], 0 offset:412
	buffer_load_dword v110, off, s[0:3], 0 offset:408
	buffer_load_dword v111, off, s[0:3], 0 offset:400
	buffer_load_dword v112, off, s[0:3], 0 offset:404
	v_mov_b32_e32 v106, 0
	ds_read_b64 v[107:108], v106 offset:824
	v_cmp_lt_u32_e32 vcc, 49, v0
	s_waitcnt vmcnt(3) lgkmcnt(0)
	v_mul_f32_e32 v113, v107, v109
	v_mul_f32_e32 v109, v108, v109
	s_waitcnt vmcnt(2)
	v_fma_f32 v107, v107, v110, -v109
	v_fmac_f32_e32 v113, v108, v110
	v_add_f32_e32 v107, 0, v107
	v_add_f32_e32 v108, 0, v113
	s_waitcnt vmcnt(1)
	v_sub_f32_e32 v107, v111, v107
	s_waitcnt vmcnt(0)
	v_sub_f32_e32 v108, v112, v108
	buffer_store_dword v107, off, s[0:3], 0 offset:400
	buffer_store_dword v108, off, s[0:3], 0 offset:404
	s_and_saveexec_b64 s[4:5], vcc
	s_cbranch_execz .LBB51_227
; %bb.226:
	buffer_load_dword v107, off, s[0:3], 0 offset:392
	buffer_load_dword v108, off, s[0:3], 0 offset:396
	s_waitcnt vmcnt(0)
	ds_write_b64 v105, v[107:108]
	buffer_store_dword v106, off, s[0:3], 0 offset:392
	buffer_store_dword v106, off, s[0:3], 0 offset:396
.LBB51_227:
	s_or_b64 exec, exec, s[4:5]
	s_waitcnt lgkmcnt(0)
	; wave barrier
	buffer_load_dword v110, off, s[0:3], 0 offset:404
	buffer_load_dword v111, off, s[0:3], 0 offset:412
	;; [unrolled: 1-line block ×6, first 2 shown]
	ds_read_b128 v[106:109], v106 offset:816
	v_cmp_lt_u32_e32 vcc, 48, v0
	s_waitcnt vmcnt(5) lgkmcnt(0)
	v_mul_f32_e32 v116, v106, v110
	v_mul_f32_e32 v110, v107, v110
	s_waitcnt vmcnt(4)
	v_mul_f32_e32 v117, v108, v111
	v_mul_f32_e32 v111, v109, v111
	s_waitcnt vmcnt(3)
	v_fma_f32 v106, v106, v112, -v110
	v_fmac_f32_e32 v116, v107, v112
	s_waitcnt vmcnt(2)
	v_fma_f32 v107, v108, v113, -v111
	v_add_f32_e32 v106, 0, v106
	v_fmac_f32_e32 v117, v109, v113
	v_add_f32_e32 v108, 0, v116
	v_add_f32_e32 v106, v106, v107
	;; [unrolled: 1-line block ×3, first 2 shown]
	s_waitcnt vmcnt(1)
	v_sub_f32_e32 v106, v114, v106
	s_waitcnt vmcnt(0)
	v_sub_f32_e32 v107, v115, v108
	buffer_store_dword v106, off, s[0:3], 0 offset:392
	buffer_store_dword v107, off, s[0:3], 0 offset:396
	s_and_saveexec_b64 s[4:5], vcc
	s_cbranch_execz .LBB51_229
; %bb.228:
	buffer_load_dword v106, off, s[0:3], 0 offset:384
	buffer_load_dword v107, off, s[0:3], 0 offset:388
	v_mov_b32_e32 v108, 0
	buffer_store_dword v108, off, s[0:3], 0 offset:384
	buffer_store_dword v108, off, s[0:3], 0 offset:388
	s_waitcnt vmcnt(2)
	ds_write_b64 v105, v[106:107]
.LBB51_229:
	s_or_b64 exec, exec, s[4:5]
	s_waitcnt lgkmcnt(0)
	; wave barrier
	buffer_load_dword v113, off, s[0:3], 0 offset:396
	buffer_load_dword v114, off, s[0:3], 0 offset:404
	;; [unrolled: 1-line block ×8, first 2 shown]
	v_mov_b32_e32 v106, 0
	ds_read2_b64 v[107:110], v106 offset0:101 offset1:102
	ds_read_b64 v[111:112], v106 offset:824
	v_cmp_lt_u32_e32 vcc, 47, v0
	s_waitcnt vmcnt(7) lgkmcnt(1)
	v_mul_f32_e32 v121, v107, v113
	v_mul_f32_e32 v113, v108, v113
	s_waitcnt vmcnt(6)
	v_mul_f32_e32 v122, v109, v114
	v_mul_f32_e32 v114, v110, v114
	s_waitcnt vmcnt(4)
	v_fma_f32 v107, v107, v116, -v113
	s_waitcnt lgkmcnt(0)
	v_mul_f32_e32 v123, v111, v115
	v_mul_f32_e32 v115, v112, v115
	v_fmac_f32_e32 v121, v108, v116
	s_waitcnt vmcnt(3)
	v_fma_f32 v108, v109, v117, -v114
	v_add_f32_e32 v107, 0, v107
	v_fmac_f32_e32 v122, v110, v117
	s_waitcnt vmcnt(2)
	v_fma_f32 v109, v111, v118, -v115
	v_add_f32_e32 v110, 0, v121
	v_add_f32_e32 v107, v107, v108
	v_fmac_f32_e32 v123, v112, v118
	v_add_f32_e32 v110, v110, v122
	v_add_f32_e32 v107, v107, v109
	;; [unrolled: 1-line block ×3, first 2 shown]
	s_waitcnt vmcnt(1)
	v_sub_f32_e32 v107, v119, v107
	s_waitcnt vmcnt(0)
	v_sub_f32_e32 v108, v120, v108
	buffer_store_dword v107, off, s[0:3], 0 offset:384
	buffer_store_dword v108, off, s[0:3], 0 offset:388
	s_and_saveexec_b64 s[4:5], vcc
	s_cbranch_execz .LBB51_231
; %bb.230:
	buffer_load_dword v107, off, s[0:3], 0 offset:376
	buffer_load_dword v108, off, s[0:3], 0 offset:380
	s_waitcnt vmcnt(0)
	ds_write_b64 v105, v[107:108]
	buffer_store_dword v106, off, s[0:3], 0 offset:376
	buffer_store_dword v106, off, s[0:3], 0 offset:380
.LBB51_231:
	s_or_b64 exec, exec, s[4:5]
	s_waitcnt lgkmcnt(0)
	; wave barrier
	ds_read_b128 v[107:110], v106 offset:800
	ds_read_b128 v[111:114], v106 offset:816
	buffer_load_dword v106, off, s[0:3], 0 offset:376
	buffer_load_dword v115, off, s[0:3], 0 offset:380
	;; [unrolled: 1-line block ×10, first 2 shown]
	v_cmp_lt_u32_e32 vcc, 46, v0
	s_waitcnt vmcnt(6) lgkmcnt(1)
	v_mul_f32_e32 v124, v107, v117
	v_fmac_f32_e32 v124, v108, v116
	v_mul_f32_e32 v108, v108, v117
	v_fma_f32 v107, v107, v116, -v108
	s_waitcnt vmcnt(4)
	v_mul_f32_e32 v108, v110, v119
	v_mul_f32_e32 v125, v109, v119
	v_add_f32_e32 v107, 0, v107
	v_fma_f32 v108, v109, v118, -v108
	v_add_f32_e32 v124, 0, v124
	v_fmac_f32_e32 v125, v110, v118
	v_add_f32_e32 v107, v107, v108
	s_waitcnt vmcnt(2) lgkmcnt(0)
	v_mul_f32_e32 v108, v112, v121
	v_add_f32_e32 v124, v124, v125
	v_mul_f32_e32 v125, v111, v121
	v_fma_f32 v108, v111, v120, -v108
	v_fmac_f32_e32 v125, v112, v120
	v_add_f32_e32 v107, v107, v108
	s_waitcnt vmcnt(0)
	v_mul_f32_e32 v108, v114, v123
	v_add_f32_e32 v124, v124, v125
	v_mul_f32_e32 v125, v113, v123
	v_fma_f32 v108, v113, v122, -v108
	v_fmac_f32_e32 v125, v114, v122
	v_add_f32_e32 v107, v107, v108
	v_add_f32_e32 v124, v124, v125
	v_sub_f32_e32 v106, v106, v107
	v_sub_f32_e32 v107, v115, v124
	buffer_store_dword v106, off, s[0:3], 0 offset:376
	buffer_store_dword v107, off, s[0:3], 0 offset:380
	s_and_saveexec_b64 s[4:5], vcc
	s_cbranch_execz .LBB51_233
; %bb.232:
	buffer_load_dword v106, off, s[0:3], 0 offset:368
	buffer_load_dword v107, off, s[0:3], 0 offset:372
	v_mov_b32_e32 v108, 0
	buffer_store_dword v108, off, s[0:3], 0 offset:368
	buffer_store_dword v108, off, s[0:3], 0 offset:372
	s_waitcnt vmcnt(2)
	ds_write_b64 v105, v[106:107]
.LBB51_233:
	s_or_b64 exec, exec, s[4:5]
	s_waitcnt lgkmcnt(0)
	; wave barrier
	buffer_load_dword v117, off, s[0:3], 0 offset:380
	buffer_load_dword v118, off, s[0:3], 0 offset:388
	;; [unrolled: 1-line block ×12, first 2 shown]
	v_mov_b32_e32 v106, 0
	ds_read2_b64 v[107:110], v106 offset0:99 offset1:100
	ds_read2_b64 v[111:114], v106 offset0:101 offset1:102
	ds_read_b64 v[115:116], v106 offset:824
	v_cmp_lt_u32_e32 vcc, 45, v0
	s_waitcnt vmcnt(11) lgkmcnt(2)
	v_mul_f32_e32 v129, v107, v117
	v_mul_f32_e32 v117, v108, v117
	s_waitcnt vmcnt(10)
	v_mul_f32_e32 v130, v109, v118
	v_mul_f32_e32 v118, v110, v118
	s_waitcnt vmcnt(9) lgkmcnt(1)
	v_mul_f32_e32 v131, v111, v119
	s_waitcnt vmcnt(6)
	v_fma_f32 v107, v107, v122, -v117
	v_mul_f32_e32 v119, v112, v119
	v_fmac_f32_e32 v129, v108, v122
	s_waitcnt vmcnt(5)
	v_fma_f32 v108, v109, v123, -v118
	v_add_f32_e32 v107, 0, v107
	v_mul_f32_e32 v132, v113, v120
	v_mul_f32_e32 v120, v114, v120
	v_fmac_f32_e32 v130, v110, v123
	s_waitcnt vmcnt(4)
	v_fmac_f32_e32 v131, v112, v124
	v_fma_f32 v109, v111, v124, -v119
	v_add_f32_e32 v112, 0, v129
	v_add_f32_e32 v107, v107, v108
	s_waitcnt lgkmcnt(0)
	v_mul_f32_e32 v133, v115, v121
	v_mul_f32_e32 v121, v116, v121
	s_waitcnt vmcnt(3)
	v_fma_f32 v110, v113, v125, -v120
	v_add_f32_e32 v112, v112, v130
	v_add_f32_e32 v107, v107, v109
	v_fmac_f32_e32 v132, v114, v125
	s_waitcnt vmcnt(2)
	v_fma_f32 v111, v115, v126, -v121
	v_add_f32_e32 v108, v112, v131
	v_add_f32_e32 v107, v107, v110
	v_fmac_f32_e32 v133, v116, v126
	v_add_f32_e32 v108, v108, v132
	v_add_f32_e32 v107, v107, v111
	;; [unrolled: 1-line block ×3, first 2 shown]
	s_waitcnt vmcnt(1)
	v_sub_f32_e32 v107, v127, v107
	s_waitcnt vmcnt(0)
	v_sub_f32_e32 v108, v128, v108
	buffer_store_dword v107, off, s[0:3], 0 offset:368
	buffer_store_dword v108, off, s[0:3], 0 offset:372
	s_and_saveexec_b64 s[4:5], vcc
	s_cbranch_execz .LBB51_235
; %bb.234:
	buffer_load_dword v107, off, s[0:3], 0 offset:360
	buffer_load_dword v108, off, s[0:3], 0 offset:364
	s_waitcnt vmcnt(0)
	ds_write_b64 v105, v[107:108]
	buffer_store_dword v106, off, s[0:3], 0 offset:360
	buffer_store_dword v106, off, s[0:3], 0 offset:364
.LBB51_235:
	s_or_b64 exec, exec, s[4:5]
	s_waitcnt lgkmcnt(0)
	; wave barrier
	buffer_load_dword v119, off, s[0:3], 0 offset:372
	buffer_load_dword v120, off, s[0:3], 0 offset:380
	;; [unrolled: 1-line block ×14, first 2 shown]
	ds_read_b128 v[107:110], v106 offset:784
	ds_read_b128 v[111:114], v106 offset:800
	;; [unrolled: 1-line block ×3, first 2 shown]
	v_cmp_lt_u32_e32 vcc, 44, v0
	s_waitcnt vmcnt(13) lgkmcnt(2)
	v_mul_f32_e32 v106, v107, v119
	v_mul_f32_e32 v119, v108, v119
	s_waitcnt vmcnt(12)
	v_mul_f32_e32 v133, v109, v120
	v_mul_f32_e32 v120, v110, v120
	s_waitcnt vmcnt(11) lgkmcnt(1)
	v_mul_f32_e32 v134, v111, v121
	v_mul_f32_e32 v121, v112, v121
	s_waitcnt vmcnt(7)
	v_fma_f32 v107, v107, v125, -v119
	v_fmac_f32_e32 v106, v108, v125
	s_waitcnt vmcnt(6)
	v_fma_f32 v108, v109, v126, -v120
	v_add_f32_e32 v107, 0, v107
	v_mul_f32_e32 v135, v113, v122
	v_mul_f32_e32 v122, v114, v122
	v_fmac_f32_e32 v133, v110, v126
	s_waitcnt vmcnt(5)
	v_fma_f32 v109, v111, v127, -v121
	v_add_f32_e32 v106, 0, v106
	v_add_f32_e32 v107, v107, v108
	s_waitcnt lgkmcnt(0)
	v_mul_f32_e32 v136, v115, v123
	v_mul_f32_e32 v123, v116, v123
	v_fmac_f32_e32 v134, v112, v127
	s_waitcnt vmcnt(4)
	v_fma_f32 v110, v113, v128, -v122
	v_add_f32_e32 v106, v106, v133
	v_add_f32_e32 v107, v107, v109
	v_mul_f32_e32 v137, v117, v124
	v_mul_f32_e32 v124, v118, v124
	v_fmac_f32_e32 v135, v114, v128
	s_waitcnt vmcnt(3)
	v_fma_f32 v111, v115, v129, -v123
	v_add_f32_e32 v106, v106, v134
	v_add_f32_e32 v107, v107, v110
	v_fmac_f32_e32 v136, v116, v129
	s_waitcnt vmcnt(2)
	v_fma_f32 v112, v117, v130, -v124
	v_add_f32_e32 v106, v106, v135
	v_add_f32_e32 v107, v107, v111
	v_fmac_f32_e32 v137, v118, v130
	v_add_f32_e32 v106, v106, v136
	v_add_f32_e32 v107, v107, v112
	;; [unrolled: 1-line block ×3, first 2 shown]
	s_waitcnt vmcnt(1)
	v_sub_f32_e32 v107, v131, v107
	s_waitcnt vmcnt(0)
	v_sub_f32_e32 v106, v132, v106
	buffer_store_dword v107, off, s[0:3], 0 offset:360
	buffer_store_dword v106, off, s[0:3], 0 offset:364
	s_and_saveexec_b64 s[4:5], vcc
	s_cbranch_execz .LBB51_237
; %bb.236:
	buffer_load_dword v106, off, s[0:3], 0 offset:352
	buffer_load_dword v107, off, s[0:3], 0 offset:356
	v_mov_b32_e32 v108, 0
	buffer_store_dword v108, off, s[0:3], 0 offset:352
	buffer_store_dword v108, off, s[0:3], 0 offset:356
	s_waitcnt vmcnt(2)
	ds_write_b64 v105, v[106:107]
.LBB51_237:
	s_or_b64 exec, exec, s[4:5]
	s_waitcnt lgkmcnt(0)
	; wave barrier
	buffer_load_dword v121, off, s[0:3], 0 offset:364
	buffer_load_dword v122, off, s[0:3], 0 offset:372
	;; [unrolled: 1-line block ×16, first 2 shown]
	v_mov_b32_e32 v106, 0
	ds_read2_b64 v[107:110], v106 offset0:97 offset1:98
	ds_read2_b64 v[111:114], v106 offset0:99 offset1:100
	;; [unrolled: 1-line block ×3, first 2 shown]
	ds_read_b64 v[119:120], v106 offset:824
	v_cmp_lt_u32_e32 vcc, 43, v0
	s_waitcnt vmcnt(15) lgkmcnt(3)
	v_mul_f32_e32 v137, v107, v121
	v_mul_f32_e32 v121, v108, v121
	s_waitcnt vmcnt(14)
	v_mul_f32_e32 v138, v109, v122
	v_mul_f32_e32 v122, v110, v122
	s_waitcnt vmcnt(13) lgkmcnt(2)
	v_mul_f32_e32 v139, v111, v123
	s_waitcnt vmcnt(12)
	v_mul_f32_e32 v140, v113, v124
	v_mul_f32_e32 v123, v112, v123
	s_waitcnt vmcnt(8)
	v_fma_f32 v107, v107, v128, -v121
	v_fmac_f32_e32 v137, v108, v128
	s_waitcnt vmcnt(7)
	v_fma_f32 v108, v109, v129, -v122
	v_add_f32_e32 v107, 0, v107
	v_mul_f32_e32 v124, v114, v124
	v_fmac_f32_e32 v138, v110, v129
	s_waitcnt vmcnt(5)
	v_fmac_f32_e32 v140, v114, v131
	v_fma_f32 v109, v111, v130, -v123
	v_add_f32_e32 v114, 0, v137
	v_add_f32_e32 v107, v107, v108
	s_waitcnt lgkmcnt(1)
	v_mul_f32_e32 v141, v115, v125
	v_mul_f32_e32 v125, v116, v125
	v_fmac_f32_e32 v139, v112, v130
	v_fma_f32 v110, v113, v131, -v124
	v_add_f32_e32 v114, v114, v138
	v_add_f32_e32 v107, v107, v109
	v_mul_f32_e32 v142, v117, v126
	v_mul_f32_e32 v126, v118, v126
	s_waitcnt vmcnt(4)
	v_fma_f32 v111, v115, v132, -v125
	v_add_f32_e32 v108, v114, v139
	v_add_f32_e32 v107, v107, v110
	s_waitcnt lgkmcnt(0)
	v_mul_f32_e32 v143, v119, v127
	v_mul_f32_e32 v127, v120, v127
	v_fmac_f32_e32 v141, v116, v132
	s_waitcnt vmcnt(3)
	v_fma_f32 v112, v117, v133, -v126
	v_add_f32_e32 v108, v108, v140
	v_add_f32_e32 v107, v107, v111
	v_fmac_f32_e32 v142, v118, v133
	s_waitcnt vmcnt(2)
	v_fma_f32 v113, v119, v134, -v127
	v_add_f32_e32 v108, v108, v141
	v_add_f32_e32 v107, v107, v112
	v_fmac_f32_e32 v143, v120, v134
	v_add_f32_e32 v108, v108, v142
	v_add_f32_e32 v107, v107, v113
	;; [unrolled: 1-line block ×3, first 2 shown]
	s_waitcnt vmcnt(1)
	v_sub_f32_e32 v107, v135, v107
	s_waitcnt vmcnt(0)
	v_sub_f32_e32 v108, v136, v108
	buffer_store_dword v107, off, s[0:3], 0 offset:352
	buffer_store_dword v108, off, s[0:3], 0 offset:356
	s_and_saveexec_b64 s[4:5], vcc
	s_cbranch_execz .LBB51_239
; %bb.238:
	buffer_load_dword v107, off, s[0:3], 0 offset:344
	buffer_load_dword v108, off, s[0:3], 0 offset:348
	s_waitcnt vmcnt(0)
	ds_write_b64 v105, v[107:108]
	buffer_store_dword v106, off, s[0:3], 0 offset:344
	buffer_store_dword v106, off, s[0:3], 0 offset:348
.LBB51_239:
	s_or_b64 exec, exec, s[4:5]
	s_waitcnt lgkmcnt(0)
	; wave barrier
	buffer_load_dword v123, off, s[0:3], 0 offset:356
	buffer_load_dword v124, off, s[0:3], 0 offset:364
	;; [unrolled: 1-line block ×18, first 2 shown]
	ds_read_b128 v[107:110], v106 offset:768
	ds_read_b128 v[111:114], v106 offset:784
	;; [unrolled: 1-line block ×4, first 2 shown]
	v_cmp_lt_u32_e32 vcc, 42, v0
	s_waitcnt vmcnt(17) lgkmcnt(3)
	v_mul_f32_e32 v106, v107, v123
	v_mul_f32_e32 v123, v108, v123
	s_waitcnt vmcnt(16)
	v_mul_f32_e32 v141, v109, v124
	v_mul_f32_e32 v124, v110, v124
	s_waitcnt vmcnt(15) lgkmcnt(2)
	v_mul_f32_e32 v142, v111, v125
	v_mul_f32_e32 v125, v112, v125
	s_waitcnt vmcnt(14)
	v_mul_f32_e32 v143, v113, v126
	v_mul_f32_e32 v126, v114, v126
	s_waitcnt vmcnt(9)
	v_fma_f32 v107, v107, v131, -v123
	v_fmac_f32_e32 v106, v108, v131
	s_waitcnt vmcnt(8)
	v_fma_f32 v108, v109, v132, -v124
	v_add_f32_e32 v107, 0, v107
	v_fmac_f32_e32 v141, v110, v132
	s_waitcnt vmcnt(7)
	v_fma_f32 v109, v111, v133, -v125
	v_add_f32_e32 v106, 0, v106
	v_add_f32_e32 v107, v107, v108
	s_waitcnt lgkmcnt(1)
	v_mul_f32_e32 v144, v115, v127
	v_mul_f32_e32 v127, v116, v127
	v_fmac_f32_e32 v142, v112, v133
	s_waitcnt vmcnt(6)
	v_fma_f32 v110, v113, v134, -v126
	v_add_f32_e32 v106, v106, v141
	v_add_f32_e32 v107, v107, v109
	v_mul_f32_e32 v145, v117, v128
	v_mul_f32_e32 v128, v118, v128
	v_fmac_f32_e32 v143, v114, v134
	s_waitcnt vmcnt(5)
	v_fma_f32 v111, v115, v135, -v127
	v_add_f32_e32 v106, v106, v142
	v_add_f32_e32 v107, v107, v110
	s_waitcnt lgkmcnt(0)
	v_mul_f32_e32 v146, v119, v129
	v_mul_f32_e32 v129, v120, v129
	v_fmac_f32_e32 v144, v116, v135
	s_waitcnt vmcnt(4)
	v_fma_f32 v112, v117, v136, -v128
	v_add_f32_e32 v106, v106, v143
	v_add_f32_e32 v107, v107, v111
	v_mul_f32_e32 v147, v121, v130
	v_mul_f32_e32 v130, v122, v130
	v_fmac_f32_e32 v145, v118, v136
	s_waitcnt vmcnt(3)
	v_fma_f32 v113, v119, v137, -v129
	v_add_f32_e32 v106, v106, v144
	v_add_f32_e32 v107, v107, v112
	v_fmac_f32_e32 v146, v120, v137
	s_waitcnt vmcnt(2)
	v_fma_f32 v114, v121, v138, -v130
	v_add_f32_e32 v106, v106, v145
	v_add_f32_e32 v107, v107, v113
	v_fmac_f32_e32 v147, v122, v138
	v_add_f32_e32 v106, v106, v146
	v_add_f32_e32 v107, v107, v114
	;; [unrolled: 1-line block ×3, first 2 shown]
	s_waitcnt vmcnt(1)
	v_sub_f32_e32 v107, v139, v107
	s_waitcnt vmcnt(0)
	v_sub_f32_e32 v106, v140, v106
	buffer_store_dword v107, off, s[0:3], 0 offset:344
	buffer_store_dword v106, off, s[0:3], 0 offset:348
	s_and_saveexec_b64 s[4:5], vcc
	s_cbranch_execz .LBB51_241
; %bb.240:
	buffer_load_dword v106, off, s[0:3], 0 offset:336
	buffer_load_dword v107, off, s[0:3], 0 offset:340
	v_mov_b32_e32 v108, 0
	buffer_store_dword v108, off, s[0:3], 0 offset:336
	buffer_store_dword v108, off, s[0:3], 0 offset:340
	s_waitcnt vmcnt(2)
	ds_write_b64 v105, v[106:107]
.LBB51_241:
	s_or_b64 exec, exec, s[4:5]
	s_waitcnt lgkmcnt(0)
	; wave barrier
	buffer_load_dword v125, off, s[0:3], 0 offset:348
	buffer_load_dword v126, off, s[0:3], 0 offset:356
	;; [unrolled: 1-line block ×20, first 2 shown]
	v_mov_b32_e32 v106, 0
	ds_read2_b64 v[107:110], v106 offset0:95 offset1:96
	ds_read2_b64 v[111:114], v106 offset0:97 offset1:98
	;; [unrolled: 1-line block ×4, first 2 shown]
	ds_read_b64 v[123:124], v106 offset:824
	v_cmp_lt_u32_e32 vcc, 41, v0
	s_waitcnt vmcnt(19) lgkmcnt(4)
	v_mul_f32_e32 v145, v107, v125
	v_mul_f32_e32 v125, v108, v125
	s_waitcnt vmcnt(18)
	v_mul_f32_e32 v146, v109, v126
	v_mul_f32_e32 v126, v110, v126
	s_waitcnt vmcnt(17) lgkmcnt(3)
	v_mul_f32_e32 v147, v111, v127
	s_waitcnt vmcnt(15) lgkmcnt(2)
	v_mul_f32_e32 v149, v115, v129
	v_mul_f32_e32 v127, v112, v127
	;; [unrolled: 1-line block ×4, first 2 shown]
	s_waitcnt vmcnt(10)
	v_fma_f32 v107, v107, v134, -v125
	v_fmac_f32_e32 v145, v108, v134
	s_waitcnt vmcnt(9)
	v_fma_f32 v108, v109, v135, -v126
	v_add_f32_e32 v107, 0, v107
	v_mul_f32_e32 v129, v116, v129
	v_fmac_f32_e32 v146, v110, v135
	s_waitcnt vmcnt(6)
	v_fmac_f32_e32 v149, v116, v138
	v_fma_f32 v109, v111, v136, -v127
	v_add_f32_e32 v116, 0, v145
	v_add_f32_e32 v107, v107, v108
	v_fmac_f32_e32 v147, v112, v136
	v_fma_f32 v110, v113, v137, -v128
	v_add_f32_e32 v116, v116, v146
	v_add_f32_e32 v107, v107, v109
	v_mul_f32_e32 v150, v117, v130
	v_mul_f32_e32 v130, v118, v130
	v_fmac_f32_e32 v148, v114, v137
	v_fma_f32 v111, v115, v138, -v129
	v_add_f32_e32 v108, v116, v147
	v_add_f32_e32 v107, v107, v110
	s_waitcnt lgkmcnt(1)
	v_mul_f32_e32 v151, v119, v131
	v_mul_f32_e32 v131, v120, v131
	s_waitcnt vmcnt(5)
	v_fma_f32 v112, v117, v139, -v130
	v_add_f32_e32 v108, v108, v148
	v_add_f32_e32 v107, v107, v111
	v_mul_f32_e32 v152, v121, v132
	v_mul_f32_e32 v132, v122, v132
	v_fmac_f32_e32 v150, v118, v139
	s_waitcnt vmcnt(4)
	v_fma_f32 v113, v119, v140, -v131
	v_add_f32_e32 v108, v108, v149
	v_add_f32_e32 v107, v107, v112
	s_waitcnt lgkmcnt(0)
	v_mul_f32_e32 v153, v123, v133
	v_mul_f32_e32 v133, v124, v133
	v_fmac_f32_e32 v151, v120, v140
	s_waitcnt vmcnt(3)
	v_fma_f32 v114, v121, v141, -v132
	v_add_f32_e32 v108, v108, v150
	v_add_f32_e32 v107, v107, v113
	v_fmac_f32_e32 v152, v122, v141
	s_waitcnt vmcnt(2)
	v_fma_f32 v115, v123, v142, -v133
	v_add_f32_e32 v108, v108, v151
	v_add_f32_e32 v107, v107, v114
	v_fmac_f32_e32 v153, v124, v142
	v_add_f32_e32 v108, v108, v152
	v_add_f32_e32 v107, v107, v115
	;; [unrolled: 1-line block ×3, first 2 shown]
	s_waitcnt vmcnt(1)
	v_sub_f32_e32 v107, v143, v107
	s_waitcnt vmcnt(0)
	v_sub_f32_e32 v108, v144, v108
	buffer_store_dword v107, off, s[0:3], 0 offset:336
	buffer_store_dword v108, off, s[0:3], 0 offset:340
	s_and_saveexec_b64 s[4:5], vcc
	s_cbranch_execz .LBB51_243
; %bb.242:
	buffer_load_dword v107, off, s[0:3], 0 offset:328
	buffer_load_dword v108, off, s[0:3], 0 offset:332
	s_waitcnt vmcnt(0)
	ds_write_b64 v105, v[107:108]
	buffer_store_dword v106, off, s[0:3], 0 offset:328
	buffer_store_dword v106, off, s[0:3], 0 offset:332
.LBB51_243:
	s_or_b64 exec, exec, s[4:5]
	s_waitcnt lgkmcnt(0)
	; wave barrier
	buffer_load_dword v127, off, s[0:3], 0 offset:340
	buffer_load_dword v128, off, s[0:3], 0 offset:348
	;; [unrolled: 1-line block ×22, first 2 shown]
	ds_read_b128 v[107:110], v106 offset:752
	ds_read_b128 v[111:114], v106 offset:768
	;; [unrolled: 1-line block ×5, first 2 shown]
	v_cmp_lt_u32_e32 vcc, 40, v0
	s_waitcnt vmcnt(21) lgkmcnt(4)
	v_mul_f32_e32 v106, v107, v127
	v_mul_f32_e32 v127, v108, v127
	s_waitcnt vmcnt(20)
	v_mul_f32_e32 v149, v109, v128
	v_mul_f32_e32 v128, v110, v128
	s_waitcnt vmcnt(19) lgkmcnt(3)
	v_mul_f32_e32 v150, v111, v129
	v_mul_f32_e32 v129, v112, v129
	s_waitcnt vmcnt(18)
	v_mul_f32_e32 v151, v113, v130
	v_mul_f32_e32 v130, v114, v130
	s_waitcnt vmcnt(17) lgkmcnt(2)
	v_mul_f32_e32 v152, v115, v131
	v_mul_f32_e32 v131, v116, v131
	s_waitcnt vmcnt(11)
	v_fma_f32 v107, v107, v137, -v127
	v_fmac_f32_e32 v106, v108, v137
	s_waitcnt vmcnt(10)
	v_fma_f32 v108, v109, v138, -v128
	v_add_f32_e32 v107, 0, v107
	v_fmac_f32_e32 v149, v110, v138
	s_waitcnt vmcnt(9)
	v_fma_f32 v109, v111, v139, -v129
	v_add_f32_e32 v106, 0, v106
	v_add_f32_e32 v107, v107, v108
	v_fmac_f32_e32 v150, v112, v139
	s_waitcnt vmcnt(8)
	v_fma_f32 v110, v113, v140, -v130
	v_add_f32_e32 v106, v106, v149
	v_add_f32_e32 v107, v107, v109
	v_mul_f32_e32 v153, v117, v132
	v_mul_f32_e32 v132, v118, v132
	v_fmac_f32_e32 v151, v114, v140
	s_waitcnt vmcnt(7)
	v_fma_f32 v111, v115, v141, -v131
	v_add_f32_e32 v106, v106, v150
	v_add_f32_e32 v107, v107, v110
	s_waitcnt lgkmcnt(1)
	v_mul_f32_e32 v154, v119, v133
	v_mul_f32_e32 v133, v120, v133
	v_fmac_f32_e32 v152, v116, v141
	s_waitcnt vmcnt(6)
	v_fma_f32 v112, v117, v142, -v132
	v_add_f32_e32 v106, v106, v151
	v_add_f32_e32 v107, v107, v111
	v_mul_f32_e32 v155, v121, v134
	v_mul_f32_e32 v134, v122, v134
	v_fmac_f32_e32 v153, v118, v142
	s_waitcnt vmcnt(5)
	v_fma_f32 v113, v119, v143, -v133
	v_add_f32_e32 v106, v106, v152
	v_add_f32_e32 v107, v107, v112
	s_waitcnt lgkmcnt(0)
	v_mul_f32_e32 v156, v123, v135
	v_mul_f32_e32 v135, v124, v135
	v_fmac_f32_e32 v154, v120, v143
	s_waitcnt vmcnt(4)
	v_fma_f32 v114, v121, v144, -v134
	v_add_f32_e32 v106, v106, v153
	v_add_f32_e32 v107, v107, v113
	v_mul_f32_e32 v157, v125, v136
	v_mul_f32_e32 v136, v126, v136
	v_fmac_f32_e32 v155, v122, v144
	s_waitcnt vmcnt(3)
	v_fma_f32 v115, v123, v145, -v135
	v_add_f32_e32 v106, v106, v154
	v_add_f32_e32 v107, v107, v114
	v_fmac_f32_e32 v156, v124, v145
	s_waitcnt vmcnt(2)
	v_fma_f32 v116, v125, v146, -v136
	v_add_f32_e32 v106, v106, v155
	v_add_f32_e32 v107, v107, v115
	v_fmac_f32_e32 v157, v126, v146
	v_add_f32_e32 v106, v106, v156
	v_add_f32_e32 v107, v107, v116
	;; [unrolled: 1-line block ×3, first 2 shown]
	s_waitcnt vmcnt(1)
	v_sub_f32_e32 v107, v147, v107
	s_waitcnt vmcnt(0)
	v_sub_f32_e32 v106, v148, v106
	buffer_store_dword v107, off, s[0:3], 0 offset:328
	buffer_store_dword v106, off, s[0:3], 0 offset:332
	s_and_saveexec_b64 s[4:5], vcc
	s_cbranch_execz .LBB51_245
; %bb.244:
	buffer_load_dword v106, off, s[0:3], 0 offset:320
	buffer_load_dword v107, off, s[0:3], 0 offset:324
	v_mov_b32_e32 v108, 0
	buffer_store_dword v108, off, s[0:3], 0 offset:320
	buffer_store_dword v108, off, s[0:3], 0 offset:324
	s_waitcnt vmcnt(2)
	ds_write_b64 v105, v[106:107]
.LBB51_245:
	s_or_b64 exec, exec, s[4:5]
	s_waitcnt lgkmcnt(0)
	; wave barrier
	buffer_load_dword v129, off, s[0:3], 0 offset:332
	buffer_load_dword v130, off, s[0:3], 0 offset:340
	;; [unrolled: 1-line block ×24, first 2 shown]
	v_mov_b32_e32 v106, 0
	ds_read2_b64 v[107:110], v106 offset0:93 offset1:94
	ds_read2_b64 v[111:114], v106 offset0:95 offset1:96
	ds_read2_b64 v[115:118], v106 offset0:97 offset1:98
	ds_read2_b64 v[119:122], v106 offset0:99 offset1:100
	ds_read2_b64 v[123:126], v106 offset0:101 offset1:102
	ds_read_b64 v[127:128], v106 offset:824
	v_cmp_lt_u32_e32 vcc, 39, v0
	s_waitcnt vmcnt(23) lgkmcnt(5)
	v_mul_f32_e32 v153, v107, v129
	v_mul_f32_e32 v129, v108, v129
	s_waitcnt vmcnt(22)
	v_mul_f32_e32 v154, v109, v130
	v_mul_f32_e32 v130, v110, v130
	s_waitcnt vmcnt(21) lgkmcnt(4)
	v_mul_f32_e32 v155, v111, v131
	v_mul_f32_e32 v131, v112, v131
	s_waitcnt vmcnt(20)
	v_mul_f32_e32 v156, v113, v132
	s_waitcnt vmcnt(19) lgkmcnt(3)
	v_mul_f32_e32 v157, v115, v133
	v_mul_f32_e32 v132, v114, v132
	;; [unrolled: 1-line block ×3, first 2 shown]
	s_waitcnt vmcnt(18)
	v_mul_f32_e32 v158, v117, v134
	s_waitcnt vmcnt(12)
	v_fma_f32 v107, v107, v140, -v129
	v_fmac_f32_e32 v153, v108, v140
	s_waitcnt vmcnt(11)
	v_fma_f32 v108, v109, v141, -v130
	v_add_f32_e32 v107, 0, v107
	s_waitcnt vmcnt(10)
	v_fma_f32 v109, v111, v142, -v131
	v_add_f32_e32 v107, v107, v108
	v_fmac_f32_e32 v154, v110, v141
	s_waitcnt vmcnt(8)
	v_fmac_f32_e32 v157, v116, v144
	v_fma_f32 v110, v113, v143, -v132
	v_add_f32_e32 v116, 0, v153
	v_add_f32_e32 v107, v107, v109
	v_mul_f32_e32 v134, v118, v134
	v_fmac_f32_e32 v155, v112, v142
	v_fma_f32 v111, v115, v144, -v133
	v_add_f32_e32 v116, v116, v154
	v_add_f32_e32 v107, v107, v110
	s_waitcnt lgkmcnt(2)
	v_mul_f32_e32 v159, v119, v135
	v_mul_f32_e32 v135, v120, v135
	v_fmac_f32_e32 v156, v114, v143
	s_waitcnt vmcnt(7)
	v_fma_f32 v112, v117, v145, -v134
	v_add_f32_e32 v108, v116, v155
	v_add_f32_e32 v107, v107, v111
	v_mul_f32_e32 v160, v121, v136
	v_mul_f32_e32 v136, v122, v136
	s_waitcnt vmcnt(6)
	v_fma_f32 v113, v119, v146, -v135
	v_add_f32_e32 v108, v108, v156
	v_add_f32_e32 v107, v107, v112
	s_waitcnt lgkmcnt(1)
	v_mul_f32_e32 v161, v123, v137
	v_mul_f32_e32 v137, v124, v137
	v_fmac_f32_e32 v158, v118, v145
	s_waitcnt vmcnt(5)
	v_fma_f32 v114, v121, v147, -v136
	v_add_f32_e32 v108, v108, v157
	v_add_f32_e32 v107, v107, v113
	v_fmac_f32_e32 v159, v120, v146
	s_waitcnt vmcnt(4)
	v_fma_f32 v115, v123, v148, -v137
	v_add_f32_e32 v108, v108, v158
	v_add_f32_e32 v107, v107, v114
	v_mul_f32_e32 v109, v126, v138
	v_fmac_f32_e32 v160, v122, v147
	v_add_f32_e32 v108, v108, v159
	v_add_f32_e32 v107, v107, v115
	s_waitcnt vmcnt(3)
	v_fma_f32 v109, v125, v149, -v109
	v_mul_f32_e32 v162, v125, v138
	v_fmac_f32_e32 v161, v124, v148
	v_add_f32_e32 v108, v108, v160
	v_add_f32_e32 v107, v107, v109
	s_waitcnt lgkmcnt(0)
	v_mul_f32_e32 v109, v128, v139
	v_mul_f32_e32 v163, v127, v139
	v_fmac_f32_e32 v162, v126, v149
	v_add_f32_e32 v108, v108, v161
	s_waitcnt vmcnt(2)
	v_fma_f32 v109, v127, v150, -v109
	v_fmac_f32_e32 v163, v128, v150
	v_add_f32_e32 v108, v108, v162
	v_add_f32_e32 v107, v107, v109
	;; [unrolled: 1-line block ×3, first 2 shown]
	s_waitcnt vmcnt(1)
	v_sub_f32_e32 v107, v151, v107
	s_waitcnt vmcnt(0)
	v_sub_f32_e32 v108, v152, v108
	buffer_store_dword v107, off, s[0:3], 0 offset:320
	buffer_store_dword v108, off, s[0:3], 0 offset:324
	s_and_saveexec_b64 s[4:5], vcc
	s_cbranch_execz .LBB51_247
; %bb.246:
	buffer_load_dword v107, off, s[0:3], 0 offset:312
	buffer_load_dword v108, off, s[0:3], 0 offset:316
	s_waitcnt vmcnt(0)
	ds_write_b64 v105, v[107:108]
	buffer_store_dword v106, off, s[0:3], 0 offset:312
	buffer_store_dword v106, off, s[0:3], 0 offset:316
.LBB51_247:
	s_or_b64 exec, exec, s[4:5]
	s_waitcnt lgkmcnt(0)
	; wave barrier
	buffer_load_dword v131, off, s[0:3], 0 offset:324
	buffer_load_dword v132, off, s[0:3], 0 offset:332
	;; [unrolled: 1-line block ×26, first 2 shown]
	ds_read_b128 v[107:110], v106 offset:736
	ds_read_b128 v[111:114], v106 offset:752
	ds_read_b128 v[115:118], v106 offset:768
	ds_read_b128 v[119:122], v106 offset:784
	ds_read_b128 v[123:126], v106 offset:800
	ds_read_b128 v[127:130], v106 offset:816
	v_cmp_lt_u32_e32 vcc, 38, v0
	s_waitcnt vmcnt(25) lgkmcnt(5)
	v_mul_f32_e32 v106, v107, v131
	v_mul_f32_e32 v131, v108, v131
	s_waitcnt vmcnt(24)
	v_mul_f32_e32 v157, v109, v132
	v_mul_f32_e32 v132, v110, v132
	s_waitcnt vmcnt(23) lgkmcnt(4)
	v_mul_f32_e32 v158, v111, v133
	v_mul_f32_e32 v133, v112, v133
	s_waitcnt vmcnt(22)
	v_mul_f32_e32 v159, v113, v134
	v_mul_f32_e32 v134, v114, v134
	;; [unrolled: 6-line block ×3, first 2 shown]
	s_waitcnt vmcnt(13)
	v_fma_f32 v107, v107, v143, -v131
	v_fmac_f32_e32 v106, v108, v143
	s_waitcnt vmcnt(12)
	v_fma_f32 v108, v109, v144, -v132
	v_add_f32_e32 v107, 0, v107
	s_waitcnt vmcnt(11)
	v_fma_f32 v109, v111, v145, -v133
	v_add_f32_e32 v107, v107, v108
	v_fmac_f32_e32 v157, v110, v144
	s_waitcnt vmcnt(10)
	v_fma_f32 v110, v113, v146, -v134
	v_add_f32_e32 v107, v107, v109
	s_waitcnt vmcnt(9)
	v_fma_f32 v111, v115, v147, -v135
	v_add_f32_e32 v107, v107, v110
	s_waitcnt lgkmcnt(2)
	v_mul_f32_e32 v162, v119, v137
	v_mul_f32_e32 v137, v120, v137
	v_fmac_f32_e32 v158, v112, v145
	s_waitcnt vmcnt(8)
	v_fma_f32 v112, v117, v148, -v136
	v_add_f32_e32 v106, 0, v106
	v_add_f32_e32 v107, v107, v111
	v_mul_f32_e32 v163, v121, v138
	v_mul_f32_e32 v138, v122, v138
	s_waitcnt vmcnt(7)
	v_fma_f32 v113, v119, v149, -v137
	v_add_f32_e32 v106, v106, v157
	v_add_f32_e32 v107, v107, v112
	v_fmac_f32_e32 v159, v114, v146
	s_waitcnt vmcnt(6)
	v_fma_f32 v114, v121, v150, -v138
	v_add_f32_e32 v106, v106, v158
	v_add_f32_e32 v107, v107, v113
	s_waitcnt lgkmcnt(1)
	v_mul_f32_e32 v108, v124, v139
	v_fmac_f32_e32 v160, v116, v147
	v_add_f32_e32 v106, v106, v159
	v_add_f32_e32 v107, v107, v114
	s_waitcnt vmcnt(5)
	v_fma_f32 v108, v123, v151, -v108
	v_fmac_f32_e32 v161, v118, v148
	v_add_f32_e32 v106, v106, v160
	v_add_f32_e32 v107, v107, v108
	v_mul_f32_e32 v108, v126, v140
	v_fmac_f32_e32 v162, v120, v149
	v_add_f32_e32 v106, v106, v161
	s_waitcnt vmcnt(4)
	v_fma_f32 v108, v125, v152, -v108
	v_mul_f32_e32 v164, v123, v139
	v_fmac_f32_e32 v163, v122, v150
	v_add_f32_e32 v106, v106, v162
	v_add_f32_e32 v107, v107, v108
	s_waitcnt lgkmcnt(0)
	v_mul_f32_e32 v108, v128, v141
	v_mul_f32_e32 v165, v125, v140
	v_fmac_f32_e32 v164, v124, v151
	v_add_f32_e32 v106, v106, v163
	s_waitcnt vmcnt(3)
	v_fma_f32 v108, v127, v153, -v108
	v_mul_f32_e32 v166, v127, v141
	v_fmac_f32_e32 v165, v126, v152
	v_add_f32_e32 v106, v106, v164
	v_add_f32_e32 v107, v107, v108
	v_mul_f32_e32 v108, v130, v142
	v_mul_f32_e32 v167, v129, v142
	v_fmac_f32_e32 v166, v128, v153
	v_add_f32_e32 v106, v106, v165
	s_waitcnt vmcnt(2)
	v_fma_f32 v108, v129, v154, -v108
	v_fmac_f32_e32 v167, v130, v154
	v_add_f32_e32 v106, v106, v166
	v_add_f32_e32 v107, v107, v108
	v_add_f32_e32 v106, v106, v167
	s_waitcnt vmcnt(1)
	v_sub_f32_e32 v107, v155, v107
	s_waitcnt vmcnt(0)
	v_sub_f32_e32 v106, v156, v106
	buffer_store_dword v107, off, s[0:3], 0 offset:312
	buffer_store_dword v106, off, s[0:3], 0 offset:316
	s_and_saveexec_b64 s[4:5], vcc
	s_cbranch_execz .LBB51_249
; %bb.248:
	buffer_load_dword v106, off, s[0:3], 0 offset:304
	buffer_load_dword v107, off, s[0:3], 0 offset:308
	v_mov_b32_e32 v108, 0
	buffer_store_dword v108, off, s[0:3], 0 offset:304
	buffer_store_dword v108, off, s[0:3], 0 offset:308
	s_waitcnt vmcnt(2)
	ds_write_b64 v105, v[106:107]
.LBB51_249:
	s_or_b64 exec, exec, s[4:5]
	s_waitcnt lgkmcnt(0)
	; wave barrier
	buffer_load_dword v133, off, s[0:3], 0 offset:316
	buffer_load_dword v134, off, s[0:3], 0 offset:324
	;; [unrolled: 1-line block ×28, first 2 shown]
	v_mov_b32_e32 v106, 0
	ds_read2_b64 v[107:110], v106 offset0:91 offset1:92
	ds_read2_b64 v[111:114], v106 offset0:93 offset1:94
	;; [unrolled: 1-line block ×6, first 2 shown]
	ds_read_b64 v[131:132], v106 offset:824
	v_cmp_lt_u32_e32 vcc, 37, v0
	s_waitcnt vmcnt(27) lgkmcnt(6)
	v_mul_f32_e32 v161, v107, v133
	v_mul_f32_e32 v133, v108, v133
	s_waitcnt vmcnt(26)
	v_mul_f32_e32 v162, v109, v134
	v_mul_f32_e32 v134, v110, v134
	s_waitcnt vmcnt(25) lgkmcnt(5)
	v_mul_f32_e32 v163, v111, v135
	v_mul_f32_e32 v135, v112, v135
	s_waitcnt vmcnt(24)
	v_mul_f32_e32 v164, v113, v136
	v_mul_f32_e32 v136, v114, v136
	s_waitcnt vmcnt(23) lgkmcnt(4)
	v_mul_f32_e32 v165, v115, v137
	v_mul_f32_e32 v137, v116, v137
	s_waitcnt vmcnt(22)
	v_mul_f32_e32 v166, v117, v138
	v_mul_f32_e32 v138, v118, v138
	s_waitcnt vmcnt(21) lgkmcnt(3)
	v_mul_f32_e32 v167, v119, v139
	s_waitcnt vmcnt(14)
	v_fma_f32 v107, v107, v146, -v133
	v_fmac_f32_e32 v161, v108, v146
	s_waitcnt vmcnt(13)
	v_fma_f32 v108, v109, v147, -v134
	v_add_f32_e32 v107, 0, v107
	s_waitcnt vmcnt(12)
	v_fma_f32 v109, v111, v148, -v135
	v_add_f32_e32 v107, v107, v108
	v_fmac_f32_e32 v162, v110, v147
	s_waitcnt vmcnt(11)
	v_fma_f32 v110, v113, v149, -v136
	v_add_f32_e32 v107, v107, v109
	s_waitcnt vmcnt(10)
	v_fma_f32 v111, v115, v150, -v137
	v_add_f32_e32 v107, v107, v110
	v_fmac_f32_e32 v163, v112, v148
	s_waitcnt vmcnt(9)
	v_fma_f32 v112, v117, v151, -v138
	v_add_f32_e32 v107, v107, v111
	v_mul_f32_e32 v109, v120, v139
	v_add_f32_e32 v107, v107, v112
	s_waitcnt vmcnt(8)
	v_fma_f32 v109, v119, v152, -v109
	v_add_f32_e32 v107, v107, v109
	v_mul_f32_e32 v109, v122, v140
	v_add_f32_e32 v113, 0, v161
	s_waitcnt vmcnt(7)
	v_fma_f32 v109, v121, v153, -v109
	v_add_f32_e32 v113, v113, v162
	v_add_f32_e32 v107, v107, v109
	s_waitcnt lgkmcnt(2)
	v_mul_f32_e32 v109, v124, v141
	v_fmac_f32_e32 v164, v114, v149
	v_add_f32_e32 v108, v113, v163
	s_waitcnt vmcnt(6)
	v_fma_f32 v109, v123, v154, -v109
	v_fmac_f32_e32 v165, v116, v150
	v_add_f32_e32 v108, v108, v164
	v_add_f32_e32 v107, v107, v109
	v_mul_f32_e32 v109, v126, v142
	v_fmac_f32_e32 v166, v118, v151
	v_add_f32_e32 v108, v108, v165
	s_waitcnt vmcnt(5)
	v_fma_f32 v109, v125, v155, -v109
	v_mul_f32_e32 v168, v121, v140
	v_fmac_f32_e32 v167, v120, v152
	v_add_f32_e32 v108, v108, v166
	v_add_f32_e32 v107, v107, v109
	s_waitcnt lgkmcnt(1)
	v_mul_f32_e32 v109, v128, v143
	v_mul_f32_e32 v169, v123, v141
	v_fmac_f32_e32 v168, v122, v153
	v_add_f32_e32 v108, v108, v167
	s_waitcnt vmcnt(4)
	v_fma_f32 v109, v127, v156, -v109
	v_mul_f32_e32 v170, v125, v142
	v_fmac_f32_e32 v169, v124, v154
	v_add_f32_e32 v108, v108, v168
	v_add_f32_e32 v107, v107, v109
	v_mul_f32_e32 v109, v130, v144
	v_mul_f32_e32 v171, v127, v143
	v_fmac_f32_e32 v170, v126, v155
	v_add_f32_e32 v108, v108, v169
	s_waitcnt vmcnt(3)
	v_fma_f32 v109, v129, v157, -v109
	v_mul_f32_e32 v172, v129, v144
	v_fmac_f32_e32 v171, v128, v156
	v_add_f32_e32 v108, v108, v170
	v_add_f32_e32 v107, v107, v109
	s_waitcnt lgkmcnt(0)
	v_mul_f32_e32 v109, v132, v145
	v_mul_f32_e32 v173, v131, v145
	v_fmac_f32_e32 v172, v130, v157
	v_add_f32_e32 v108, v108, v171
	s_waitcnt vmcnt(2)
	v_fma_f32 v109, v131, v158, -v109
	v_fmac_f32_e32 v173, v132, v158
	v_add_f32_e32 v108, v108, v172
	v_add_f32_e32 v107, v107, v109
	;; [unrolled: 1-line block ×3, first 2 shown]
	s_waitcnt vmcnt(1)
	v_sub_f32_e32 v107, v159, v107
	s_waitcnt vmcnt(0)
	v_sub_f32_e32 v108, v160, v108
	buffer_store_dword v107, off, s[0:3], 0 offset:304
	buffer_store_dword v108, off, s[0:3], 0 offset:308
	s_and_saveexec_b64 s[4:5], vcc
	s_cbranch_execz .LBB51_251
; %bb.250:
	buffer_load_dword v107, off, s[0:3], 0 offset:296
	buffer_load_dword v108, off, s[0:3], 0 offset:300
	s_waitcnt vmcnt(0)
	ds_write_b64 v105, v[107:108]
	buffer_store_dword v106, off, s[0:3], 0 offset:296
	buffer_store_dword v106, off, s[0:3], 0 offset:300
.LBB51_251:
	s_or_b64 exec, exec, s[4:5]
	s_waitcnt lgkmcnt(0)
	; wave barrier
	buffer_load_dword v135, off, s[0:3], 0 offset:308
	buffer_load_dword v136, off, s[0:3], 0 offset:316
	;; [unrolled: 1-line block ×30, first 2 shown]
	ds_read_b128 v[107:110], v106 offset:720
	ds_read_b128 v[111:114], v106 offset:736
	;; [unrolled: 1-line block ×7, first 2 shown]
	v_cmp_lt_u32_e32 vcc, 36, v0
	s_waitcnt vmcnt(29) lgkmcnt(6)
	v_mul_f32_e32 v106, v107, v135
	v_mul_f32_e32 v135, v108, v135
	s_waitcnt vmcnt(28)
	v_mul_f32_e32 v165, v109, v136
	v_mul_f32_e32 v136, v110, v136
	s_waitcnt vmcnt(27) lgkmcnt(5)
	v_mul_f32_e32 v166, v111, v137
	v_mul_f32_e32 v137, v112, v137
	s_waitcnt vmcnt(26)
	v_mul_f32_e32 v167, v113, v138
	v_mul_f32_e32 v138, v114, v138
	s_waitcnt vmcnt(25) lgkmcnt(4)
	v_mul_f32_e32 v168, v115, v139
	v_mul_f32_e32 v139, v116, v139
	s_waitcnt vmcnt(24)
	v_mul_f32_e32 v169, v117, v140
	s_waitcnt vmcnt(23) lgkmcnt(3)
	v_mul_f32_e32 v170, v119, v141
	s_waitcnt vmcnt(22)
	v_mul_f32_e32 v171, v121, v142
	s_waitcnt vmcnt(21) lgkmcnt(2)
	v_mul_f32_e32 v172, v123, v143
	s_waitcnt vmcnt(15)
	v_fma_f32 v107, v107, v149, -v135
	v_fmac_f32_e32 v106, v108, v149
	s_waitcnt vmcnt(14)
	v_fma_f32 v108, v109, v150, -v136
	v_add_f32_e32 v107, 0, v107
	s_waitcnt vmcnt(13)
	v_fma_f32 v109, v111, v151, -v137
	v_add_f32_e32 v107, v107, v108
	v_fmac_f32_e32 v165, v110, v150
	s_waitcnt vmcnt(12)
	v_fma_f32 v110, v113, v152, -v138
	v_add_f32_e32 v107, v107, v109
	s_waitcnt vmcnt(11)
	v_fma_f32 v111, v115, v153, -v139
	v_add_f32_e32 v107, v107, v110
	v_mul_f32_e32 v108, v118, v140
	v_add_f32_e32 v107, v107, v111
	s_waitcnt vmcnt(10)
	v_fma_f32 v108, v117, v154, -v108
	v_add_f32_e32 v107, v107, v108
	v_mul_f32_e32 v108, v120, v141
	s_waitcnt vmcnt(9)
	v_fma_f32 v108, v119, v155, -v108
	v_add_f32_e32 v107, v107, v108
	v_mul_f32_e32 v108, v122, v142
	s_waitcnt vmcnt(8)
	v_fma_f32 v108, v121, v156, -v108
	v_add_f32_e32 v106, 0, v106
	v_add_f32_e32 v107, v107, v108
	v_mul_f32_e32 v108, v124, v143
	v_fmac_f32_e32 v166, v112, v151
	v_add_f32_e32 v106, v106, v165
	s_waitcnt vmcnt(7)
	v_fma_f32 v108, v123, v157, -v108
	v_fmac_f32_e32 v167, v114, v152
	v_add_f32_e32 v106, v106, v166
	v_add_f32_e32 v107, v107, v108
	v_mul_f32_e32 v108, v126, v144
	v_fmac_f32_e32 v168, v116, v153
	v_add_f32_e32 v106, v106, v167
	s_waitcnt vmcnt(6)
	v_fma_f32 v108, v125, v158, -v108
	v_fmac_f32_e32 v169, v118, v154
	v_add_f32_e32 v106, v106, v168
	v_add_f32_e32 v107, v107, v108
	s_waitcnt lgkmcnt(1)
	v_mul_f32_e32 v108, v128, v145
	v_fmac_f32_e32 v170, v120, v155
	v_add_f32_e32 v106, v106, v169
	s_waitcnt vmcnt(5)
	v_fma_f32 v108, v127, v159, -v108
	v_fmac_f32_e32 v171, v122, v156
	v_add_f32_e32 v106, v106, v170
	v_add_f32_e32 v107, v107, v108
	v_mul_f32_e32 v108, v130, v146
	v_mul_f32_e32 v173, v125, v144
	v_fmac_f32_e32 v172, v124, v157
	v_add_f32_e32 v106, v106, v171
	s_waitcnt vmcnt(4)
	v_fma_f32 v108, v129, v160, -v108
	v_mul_f32_e32 v174, v127, v145
	v_fmac_f32_e32 v173, v126, v158
	v_add_f32_e32 v106, v106, v172
	v_add_f32_e32 v107, v107, v108
	s_waitcnt lgkmcnt(0)
	v_mul_f32_e32 v108, v132, v147
	v_mul_f32_e32 v175, v129, v146
	v_fmac_f32_e32 v174, v128, v159
	v_add_f32_e32 v106, v106, v173
	s_waitcnt vmcnt(3)
	v_fma_f32 v108, v131, v161, -v108
	v_mul_f32_e32 v176, v131, v147
	v_fmac_f32_e32 v175, v130, v160
	v_add_f32_e32 v106, v106, v174
	v_add_f32_e32 v107, v107, v108
	v_mul_f32_e32 v108, v134, v148
	v_mul_f32_e32 v177, v133, v148
	v_fmac_f32_e32 v176, v132, v161
	v_add_f32_e32 v106, v106, v175
	s_waitcnt vmcnt(2)
	v_fma_f32 v108, v133, v162, -v108
	v_fmac_f32_e32 v177, v134, v162
	v_add_f32_e32 v106, v106, v176
	v_add_f32_e32 v107, v107, v108
	;; [unrolled: 1-line block ×3, first 2 shown]
	s_waitcnt vmcnt(1)
	v_sub_f32_e32 v107, v163, v107
	s_waitcnt vmcnt(0)
	v_sub_f32_e32 v106, v164, v106
	buffer_store_dword v107, off, s[0:3], 0 offset:296
	buffer_store_dword v106, off, s[0:3], 0 offset:300
	s_and_saveexec_b64 s[4:5], vcc
	s_cbranch_execz .LBB51_253
; %bb.252:
	buffer_load_dword v106, off, s[0:3], 0 offset:288
	buffer_load_dword v107, off, s[0:3], 0 offset:292
	v_mov_b32_e32 v108, 0
	buffer_store_dword v108, off, s[0:3], 0 offset:288
	buffer_store_dword v108, off, s[0:3], 0 offset:292
	s_waitcnt vmcnt(2)
	ds_write_b64 v105, v[106:107]
.LBB51_253:
	s_or_b64 exec, exec, s[4:5]
	s_waitcnt lgkmcnt(0)
	; wave barrier
	buffer_load_dword v137, off, s[0:3], 0 offset:300
	buffer_load_dword v138, off, s[0:3], 0 offset:308
	;; [unrolled: 1-line block ×32, first 2 shown]
	v_mov_b32_e32 v106, 0
	ds_read2_b64 v[107:110], v106 offset0:89 offset1:90
	ds_read2_b64 v[111:114], v106 offset0:91 offset1:92
	;; [unrolled: 1-line block ×7, first 2 shown]
	ds_read_b64 v[135:136], v106 offset:824
	v_cmp_lt_u32_e32 vcc, 35, v0
	s_waitcnt vmcnt(31) lgkmcnt(7)
	v_mul_f32_e32 v169, v107, v137
	v_mul_f32_e32 v137, v108, v137
	s_waitcnt vmcnt(30)
	v_mul_f32_e32 v170, v109, v138
	v_mul_f32_e32 v138, v110, v138
	s_waitcnt vmcnt(29) lgkmcnt(6)
	v_mul_f32_e32 v171, v111, v139
	v_mul_f32_e32 v139, v112, v139
	s_waitcnt vmcnt(28)
	v_mul_f32_e32 v172, v113, v140
	s_waitcnt vmcnt(27) lgkmcnt(5)
	v_mul_f32_e32 v173, v115, v141
	s_waitcnt vmcnt(26)
	v_mul_f32_e32 v174, v117, v142
	s_waitcnt vmcnt(25) lgkmcnt(4)
	;; [unrolled: 4-line block ×4, first 2 shown]
	v_mul_f32_e32 v179, v127, v147
	s_waitcnt vmcnt(20)
	v_mul_f32_e32 v180, v129, v148
	s_waitcnt vmcnt(16)
	v_fma_f32 v107, v107, v152, -v137
	v_fmac_f32_e32 v169, v108, v152
	s_waitcnt vmcnt(15)
	v_fma_f32 v108, v109, v153, -v138
	v_add_f32_e32 v107, 0, v107
	s_waitcnt vmcnt(14)
	v_fma_f32 v109, v111, v154, -v139
	v_add_f32_e32 v107, v107, v108
	v_add_f32_e32 v107, v107, v109
	v_mul_f32_e32 v109, v114, v140
	s_waitcnt vmcnt(13)
	v_fma_f32 v109, v113, v155, -v109
	v_add_f32_e32 v107, v107, v109
	v_mul_f32_e32 v109, v116, v141
	s_waitcnt vmcnt(12)
	v_fma_f32 v109, v115, v156, -v109
	;; [unrolled: 4-line block ×5, first 2 shown]
	v_add_f32_e32 v107, v107, v109
	v_mul_f32_e32 v109, v124, v145
	v_fmac_f32_e32 v170, v110, v153
	v_add_f32_e32 v110, 0, v169
	s_waitcnt vmcnt(8)
	v_fma_f32 v109, v123, v160, -v109
	v_fmac_f32_e32 v171, v112, v154
	v_add_f32_e32 v110, v110, v170
	v_add_f32_e32 v107, v107, v109
	v_mul_f32_e32 v109, v126, v146
	v_fmac_f32_e32 v172, v114, v155
	v_add_f32_e32 v108, v110, v171
	s_waitcnt vmcnt(7)
	v_fma_f32 v109, v125, v161, -v109
	v_fmac_f32_e32 v173, v116, v156
	v_add_f32_e32 v108, v108, v172
	v_add_f32_e32 v107, v107, v109
	v_mul_f32_e32 v109, v128, v147
	v_fmac_f32_e32 v174, v118, v157
	v_add_f32_e32 v108, v108, v173
	s_waitcnt vmcnt(6)
	v_fma_f32 v109, v127, v162, -v109
	v_fmac_f32_e32 v175, v120, v158
	v_add_f32_e32 v108, v108, v174
	v_add_f32_e32 v107, v107, v109
	v_mul_f32_e32 v109, v130, v148
	v_fmac_f32_e32 v176, v122, v159
	v_add_f32_e32 v108, v108, v175
	s_waitcnt vmcnt(5)
	v_fma_f32 v109, v129, v163, -v109
	v_fmac_f32_e32 v177, v124, v160
	v_add_f32_e32 v108, v108, v176
	v_add_f32_e32 v107, v107, v109
	s_waitcnt lgkmcnt(1)
	v_mul_f32_e32 v109, v132, v149
	v_fmac_f32_e32 v178, v126, v161
	v_add_f32_e32 v108, v108, v177
	s_waitcnt vmcnt(4)
	v_fma_f32 v109, v131, v164, -v109
	v_fmac_f32_e32 v179, v128, v162
	v_add_f32_e32 v108, v108, v178
	v_add_f32_e32 v107, v107, v109
	v_mul_f32_e32 v109, v134, v150
	v_mul_f32_e32 v181, v131, v149
	v_fmac_f32_e32 v180, v130, v163
	v_add_f32_e32 v108, v108, v179
	s_waitcnt vmcnt(3)
	v_fma_f32 v109, v133, v165, -v109
	v_mul_f32_e32 v182, v133, v150
	v_fmac_f32_e32 v181, v132, v164
	v_add_f32_e32 v108, v108, v180
	v_add_f32_e32 v107, v107, v109
	s_waitcnt lgkmcnt(0)
	v_mul_f32_e32 v109, v136, v151
	v_mul_f32_e32 v183, v135, v151
	v_fmac_f32_e32 v182, v134, v165
	v_add_f32_e32 v108, v108, v181
	s_waitcnt vmcnt(2)
	v_fma_f32 v109, v135, v166, -v109
	v_fmac_f32_e32 v183, v136, v166
	v_add_f32_e32 v108, v108, v182
	v_add_f32_e32 v107, v107, v109
	;; [unrolled: 1-line block ×3, first 2 shown]
	s_waitcnt vmcnt(1)
	v_sub_f32_e32 v107, v167, v107
	s_waitcnt vmcnt(0)
	v_sub_f32_e32 v108, v168, v108
	buffer_store_dword v107, off, s[0:3], 0 offset:288
	buffer_store_dword v108, off, s[0:3], 0 offset:292
	s_and_saveexec_b64 s[4:5], vcc
	s_cbranch_execz .LBB51_255
; %bb.254:
	buffer_load_dword v107, off, s[0:3], 0 offset:280
	buffer_load_dword v108, off, s[0:3], 0 offset:284
	s_waitcnt vmcnt(0)
	ds_write_b64 v105, v[107:108]
	buffer_store_dword v106, off, s[0:3], 0 offset:280
	buffer_store_dword v106, off, s[0:3], 0 offset:284
.LBB51_255:
	s_or_b64 exec, exec, s[4:5]
	s_waitcnt lgkmcnt(0)
	; wave barrier
	buffer_load_dword v139, off, s[0:3], 0 offset:292
	buffer_load_dword v140, off, s[0:3], 0 offset:300
	;; [unrolled: 1-line block ×34, first 2 shown]
	ds_read_b128 v[107:110], v106 offset:704
	ds_read_b128 v[111:114], v106 offset:720
	;; [unrolled: 1-line block ×8, first 2 shown]
	v_cmp_lt_u32_e32 vcc, 34, v0
	s_waitcnt vmcnt(33) lgkmcnt(7)
	v_mul_f32_e32 v106, v107, v139
	v_mul_f32_e32 v139, v108, v139
	s_waitcnt vmcnt(32)
	v_mul_f32_e32 v173, v109, v140
	v_mul_f32_e32 v140, v110, v140
	s_waitcnt vmcnt(31) lgkmcnt(6)
	v_mul_f32_e32 v174, v111, v141
	s_waitcnt vmcnt(30)
	v_mul_f32_e32 v175, v113, v142
	s_waitcnt vmcnt(29) lgkmcnt(5)
	v_mul_f32_e32 v176, v115, v143
	s_waitcnt vmcnt(28)
	;; [unrolled: 4-line block ×6, first 2 shown]
	v_mul_f32_e32 v185, v133, v152
	s_waitcnt vmcnt(17)
	v_fma_f32 v107, v107, v155, -v139
	v_fmac_f32_e32 v106, v108, v155
	s_waitcnt vmcnt(16)
	v_fma_f32 v108, v109, v156, -v140
	v_add_f32_e32 v107, 0, v107
	v_add_f32_e32 v107, v107, v108
	v_mul_f32_e32 v108, v112, v141
	s_waitcnt vmcnt(15)
	v_fma_f32 v108, v111, v157, -v108
	v_add_f32_e32 v107, v107, v108
	v_mul_f32_e32 v108, v114, v142
	s_waitcnt vmcnt(14)
	v_fma_f32 v108, v113, v158, -v108
	;; [unrolled: 4-line block ×7, first 2 shown]
	v_fmac_f32_e32 v173, v110, v156
	v_add_f32_e32 v106, 0, v106
	v_add_f32_e32 v107, v107, v108
	v_mul_f32_e32 v108, v126, v148
	v_fmac_f32_e32 v174, v112, v157
	v_add_f32_e32 v106, v106, v173
	s_waitcnt vmcnt(8)
	v_fma_f32 v108, v125, v164, -v108
	v_fmac_f32_e32 v175, v114, v158
	v_add_f32_e32 v106, v106, v174
	v_add_f32_e32 v107, v107, v108
	v_mul_f32_e32 v108, v128, v149
	v_fmac_f32_e32 v176, v116, v159
	v_add_f32_e32 v106, v106, v175
	s_waitcnt vmcnt(7)
	v_fma_f32 v108, v127, v165, -v108
	;; [unrolled: 8-line block ×5, first 2 shown]
	v_fmac_f32_e32 v183, v130, v166
	v_add_f32_e32 v106, v106, v182
	v_add_f32_e32 v107, v107, v108
	s_waitcnt lgkmcnt(0)
	v_mul_f32_e32 v108, v136, v153
	v_fmac_f32_e32 v184, v132, v167
	v_add_f32_e32 v106, v106, v183
	s_waitcnt vmcnt(3)
	v_fma_f32 v108, v135, v169, -v108
	v_mul_f32_e32 v186, v135, v153
	v_fmac_f32_e32 v185, v134, v168
	v_add_f32_e32 v106, v106, v184
	v_add_f32_e32 v107, v107, v108
	v_mul_f32_e32 v108, v138, v154
	v_mul_f32_e32 v187, v137, v154
	v_fmac_f32_e32 v186, v136, v169
	v_add_f32_e32 v106, v106, v185
	s_waitcnt vmcnt(2)
	v_fma_f32 v108, v137, v170, -v108
	v_fmac_f32_e32 v187, v138, v170
	v_add_f32_e32 v106, v106, v186
	v_add_f32_e32 v107, v107, v108
	;; [unrolled: 1-line block ×3, first 2 shown]
	s_waitcnt vmcnt(1)
	v_sub_f32_e32 v107, v171, v107
	s_waitcnt vmcnt(0)
	v_sub_f32_e32 v106, v172, v106
	buffer_store_dword v107, off, s[0:3], 0 offset:280
	buffer_store_dword v106, off, s[0:3], 0 offset:284
	s_and_saveexec_b64 s[4:5], vcc
	s_cbranch_execz .LBB51_257
; %bb.256:
	buffer_load_dword v106, off, s[0:3], 0 offset:272
	buffer_load_dword v107, off, s[0:3], 0 offset:276
	v_mov_b32_e32 v108, 0
	buffer_store_dword v108, off, s[0:3], 0 offset:272
	buffer_store_dword v108, off, s[0:3], 0 offset:276
	s_waitcnt vmcnt(2)
	ds_write_b64 v105, v[106:107]
.LBB51_257:
	s_or_b64 exec, exec, s[4:5]
	s_waitcnt lgkmcnt(0)
	; wave barrier
	buffer_load_dword v141, off, s[0:3], 0 offset:284
	buffer_load_dword v142, off, s[0:3], 0 offset:292
	;; [unrolled: 1-line block ×36, first 2 shown]
	v_mov_b32_e32 v106, 0
	ds_read2_b64 v[107:110], v106 offset0:87 offset1:88
	ds_read2_b64 v[111:114], v106 offset0:89 offset1:90
	;; [unrolled: 1-line block ×8, first 2 shown]
	ds_read_b64 v[139:140], v106 offset:824
	v_cmp_lt_u32_e32 vcc, 33, v0
	s_waitcnt vmcnt(35) lgkmcnt(8)
	v_mul_f32_e32 v177, v107, v141
	s_waitcnt vmcnt(34)
	v_mul_f32_e32 v178, v109, v142
	s_waitcnt vmcnt(33) lgkmcnt(7)
	v_mul_f32_e32 v179, v111, v143
	s_waitcnt vmcnt(32)
	v_mul_f32_e32 v180, v113, v144
	;; [unrolled: 4-line block ×8, first 2 shown]
	s_waitcnt vmcnt(19) lgkmcnt(0)
	v_mul_f32_e32 v193, v139, v157
	s_waitcnt vmcnt(18)
	v_fmac_f32_e32 v177, v108, v158
	v_mul_f32_e32 v108, v108, v141
	v_fma_f32 v107, v107, v158, -v108
	v_mul_f32_e32 v108, v110, v142
	v_add_f32_e32 v107, 0, v107
	s_waitcnt vmcnt(17)
	v_fma_f32 v108, v109, v159, -v108
	v_add_f32_e32 v107, v107, v108
	v_mul_f32_e32 v108, v112, v143
	s_waitcnt vmcnt(16)
	v_fma_f32 v108, v111, v160, -v108
	v_add_f32_e32 v107, v107, v108
	v_mul_f32_e32 v108, v114, v144
	;; [unrolled: 4-line block ×8, first 2 shown]
	v_fmac_f32_e32 v178, v110, v159
	v_add_f32_e32 v177, 0, v177
	s_waitcnt vmcnt(9)
	v_fma_f32 v108, v125, v167, -v108
	v_fmac_f32_e32 v179, v112, v160
	v_add_f32_e32 v177, v177, v178
	v_add_f32_e32 v107, v107, v108
	v_mul_f32_e32 v108, v128, v151
	v_fmac_f32_e32 v180, v114, v161
	v_add_f32_e32 v177, v177, v179
	s_waitcnt vmcnt(8)
	v_fma_f32 v108, v127, v168, -v108
	v_fmac_f32_e32 v181, v116, v162
	v_add_f32_e32 v177, v177, v180
	v_add_f32_e32 v107, v107, v108
	v_mul_f32_e32 v108, v130, v152
	;; [unrolled: 8-line block ×7, first 2 shown]
	v_fmac_f32_e32 v192, v138, v173
	v_add_f32_e32 v177, v177, v191
	s_waitcnt vmcnt(2)
	v_fma_f32 v108, v139, v174, -v108
	v_fmac_f32_e32 v193, v140, v174
	v_add_f32_e32 v177, v177, v192
	v_add_f32_e32 v107, v107, v108
	;; [unrolled: 1-line block ×3, first 2 shown]
	s_waitcnt vmcnt(1)
	v_sub_f32_e32 v107, v175, v107
	s_waitcnt vmcnt(0)
	v_sub_f32_e32 v108, v176, v177
	buffer_store_dword v107, off, s[0:3], 0 offset:272
	buffer_store_dword v108, off, s[0:3], 0 offset:276
	s_and_saveexec_b64 s[4:5], vcc
	s_cbranch_execz .LBB51_259
; %bb.258:
	buffer_load_dword v107, off, s[0:3], 0 offset:264
	buffer_load_dword v108, off, s[0:3], 0 offset:268
	s_waitcnt vmcnt(0)
	ds_write_b64 v105, v[107:108]
	buffer_store_dword v106, off, s[0:3], 0 offset:264
	buffer_store_dword v106, off, s[0:3], 0 offset:268
.LBB51_259:
	s_or_b64 exec, exec, s[4:5]
	s_waitcnt lgkmcnt(0)
	; wave barrier
	buffer_load_dword v143, off, s[0:3], 0 offset:276
	buffer_load_dword v144, off, s[0:3], 0 offset:284
	;; [unrolled: 1-line block ×38, first 2 shown]
	ds_read_b128 v[107:110], v106 offset:688
	ds_read_b128 v[111:114], v106 offset:704
	;; [unrolled: 1-line block ×9, first 2 shown]
	v_cmp_lt_u32_e32 vcc, 32, v0
	s_waitcnt vmcnt(37) lgkmcnt(8)
	v_mul_f32_e32 v106, v107, v143
	s_waitcnt vmcnt(36)
	v_mul_f32_e32 v181, v109, v144
	s_waitcnt vmcnt(35) lgkmcnt(7)
	v_mul_f32_e32 v182, v111, v145
	s_waitcnt vmcnt(34)
	v_mul_f32_e32 v183, v113, v146
	;; [unrolled: 4-line block ×8, first 2 shown]
	s_waitcnt vmcnt(21) lgkmcnt(0)
	v_mul_f32_e32 v196, v139, v159
	s_waitcnt vmcnt(20)
	v_fmac_f32_e32 v106, v108, v160
	v_mul_f32_e32 v108, v108, v143
	v_fma_f32 v107, v107, v160, -v108
	v_mul_f32_e32 v108, v110, v144
	v_add_f32_e32 v107, 0, v107
	s_waitcnt vmcnt(19)
	v_fma_f32 v108, v109, v161, -v108
	v_add_f32_e32 v107, v107, v108
	v_mul_f32_e32 v108, v112, v145
	s_waitcnt vmcnt(18)
	v_fma_f32 v108, v111, v162, -v108
	v_add_f32_e32 v107, v107, v108
	v_mul_f32_e32 v108, v114, v146
	;; [unrolled: 4-line block ×8, first 2 shown]
	s_waitcnt vmcnt(11)
	v_fma_f32 v108, v125, v169, -v108
	v_fmac_f32_e32 v181, v110, v161
	v_add_f32_e32 v106, 0, v106
	v_add_f32_e32 v107, v107, v108
	v_mul_f32_e32 v108, v128, v153
	v_fmac_f32_e32 v182, v112, v162
	v_add_f32_e32 v106, v106, v181
	s_waitcnt vmcnt(10)
	v_fma_f32 v108, v127, v170, -v108
	v_fmac_f32_e32 v183, v114, v163
	v_add_f32_e32 v106, v106, v182
	v_add_f32_e32 v107, v107, v108
	v_mul_f32_e32 v108, v130, v154
	v_fmac_f32_e32 v184, v116, v164
	v_add_f32_e32 v106, v106, v183
	;; [unrolled: 8-line block ×7, first 2 shown]
	s_waitcnt vmcnt(4)
	v_fma_f32 v108, v139, v176, -v108
	v_fmac_f32_e32 v195, v138, v175
	v_add_f32_e32 v106, v106, v194
	v_add_f32_e32 v107, v107, v108
	s_waitcnt vmcnt(3)
	v_mul_f32_e32 v108, v142, v177
	v_add_f32_e32 v106, v106, v195
	v_fmac_f32_e32 v196, v140, v176
	v_mul_f32_e32 v181, v141, v177
	s_waitcnt vmcnt(2)
	v_fma_f32 v108, v141, v178, -v108
	v_add_f32_e32 v106, v106, v196
	v_fmac_f32_e32 v181, v142, v178
	v_add_f32_e32 v107, v107, v108
	v_add_f32_e32 v106, v106, v181
	s_waitcnt vmcnt(1)
	v_sub_f32_e32 v107, v179, v107
	s_waitcnt vmcnt(0)
	v_sub_f32_e32 v106, v180, v106
	buffer_store_dword v107, off, s[0:3], 0 offset:264
	buffer_store_dword v106, off, s[0:3], 0 offset:268
	s_and_saveexec_b64 s[4:5], vcc
	s_cbranch_execz .LBB51_261
; %bb.260:
	buffer_load_dword v106, off, s[0:3], 0 offset:256
	buffer_load_dword v107, off, s[0:3], 0 offset:260
	v_mov_b32_e32 v108, 0
	buffer_store_dword v108, off, s[0:3], 0 offset:256
	buffer_store_dword v108, off, s[0:3], 0 offset:260
	s_waitcnt vmcnt(2)
	ds_write_b64 v105, v[106:107]
.LBB51_261:
	s_or_b64 exec, exec, s[4:5]
	s_waitcnt lgkmcnt(0)
	; wave barrier
	buffer_load_dword v145, off, s[0:3], 0 offset:268
	buffer_load_dword v146, off, s[0:3], 0 offset:276
	;; [unrolled: 1-line block ×40, first 2 shown]
	v_mov_b32_e32 v106, 0
	ds_read2_b64 v[107:110], v106 offset0:85 offset1:86
	ds_read2_b64 v[111:114], v106 offset0:87 offset1:88
	;; [unrolled: 1-line block ×9, first 2 shown]
	v_cmp_lt_u32_e32 vcc, 31, v0
	s_waitcnt vmcnt(39) lgkmcnt(8)
	v_mul_f32_e32 v143, v107, v145
	s_waitcnt vmcnt(38)
	v_mul_f32_e32 v144, v109, v146
	s_waitcnt vmcnt(37) lgkmcnt(7)
	v_mul_f32_e32 v185, v111, v147
	s_waitcnt vmcnt(36)
	v_mul_f32_e32 v186, v113, v148
	;; [unrolled: 4-line block ×7, first 2 shown]
	s_waitcnt vmcnt(25) lgkmcnt(1)
	v_mul_f32_e32 v197, v135, v159
	s_waitcnt vmcnt(24)
	v_fmac_f32_e32 v143, v108, v160
	v_mul_f32_e32 v108, v108, v145
	v_fma_f32 v107, v107, v160, -v108
	v_mul_f32_e32 v108, v110, v146
	v_add_f32_e32 v107, 0, v107
	s_waitcnt vmcnt(23)
	v_fma_f32 v108, v109, v161, -v108
	v_add_f32_e32 v107, v107, v108
	v_mul_f32_e32 v108, v112, v147
	s_waitcnt vmcnt(22)
	v_fma_f32 v108, v111, v162, -v108
	v_add_f32_e32 v107, v107, v108
	v_mul_f32_e32 v108, v114, v148
	;; [unrolled: 4-line block ×6, first 2 shown]
	s_waitcnt vmcnt(17)
	v_fma_f32 v108, v121, v167, -v108
	v_fmac_f32_e32 v144, v110, v161
	v_add_f32_e32 v143, 0, v143
	v_add_f32_e32 v107, v107, v108
	v_mul_f32_e32 v108, v124, v153
	v_fmac_f32_e32 v185, v112, v162
	v_add_f32_e32 v143, v143, v144
	s_waitcnt vmcnt(16)
	v_fma_f32 v108, v123, v168, -v108
	v_fmac_f32_e32 v186, v114, v163
	v_add_f32_e32 v143, v143, v185
	v_add_f32_e32 v107, v107, v108
	v_mul_f32_e32 v108, v126, v154
	v_fmac_f32_e32 v187, v116, v164
	v_add_f32_e32 v143, v143, v186
	;; [unrolled: 8-line block ×6, first 2 shown]
	s_waitcnt vmcnt(11)
	v_fma_f32 v108, v133, v173, -v108
	v_fmac_f32_e32 v196, v134, v173
	v_add_f32_e32 v143, v143, v195
	v_add_f32_e32 v107, v107, v108
	v_mul_f32_e32 v108, v136, v159
	s_waitcnt vmcnt(10)
	v_fmac_f32_e32 v197, v136, v174
	v_add_f32_e32 v143, v143, v196
	s_waitcnt vmcnt(9)
	v_mul_f32_e32 v144, v137, v175
	v_fma_f32 v108, v135, v174, -v108
	v_add_f32_e32 v143, v143, v197
	s_waitcnt vmcnt(8)
	v_fmac_f32_e32 v144, v138, v176
	v_add_f32_e32 v107, v107, v108
	v_mul_f32_e32 v108, v138, v175
	v_add_f32_e32 v185, v143, v144
	ds_read_b64 v[143:144], v106 offset:824
	v_fma_f32 v108, v137, v176, -v108
	v_add_f32_e32 v107, v107, v108
	s_waitcnt vmcnt(7) lgkmcnt(1)
	v_mul_f32_e32 v108, v140, v177
	v_mul_f32_e32 v186, v139, v177
	s_waitcnt vmcnt(6)
	v_fma_f32 v108, v139, v178, -v108
	v_fmac_f32_e32 v186, v140, v178
	v_add_f32_e32 v107, v107, v108
	s_waitcnt vmcnt(5)
	v_mul_f32_e32 v108, v142, v179
	v_add_f32_e32 v185, v185, v186
	v_mul_f32_e32 v186, v141, v179
	s_waitcnt vmcnt(4)
	v_fma_f32 v108, v141, v180, -v108
	v_fmac_f32_e32 v186, v142, v180
	v_add_f32_e32 v107, v107, v108
	s_waitcnt vmcnt(3) lgkmcnt(0)
	v_mul_f32_e32 v108, v144, v181
	v_add_f32_e32 v185, v185, v186
	v_mul_f32_e32 v186, v143, v181
	s_waitcnt vmcnt(2)
	v_fma_f32 v108, v143, v182, -v108
	v_fmac_f32_e32 v186, v144, v182
	v_add_f32_e32 v107, v107, v108
	v_add_f32_e32 v185, v185, v186
	s_waitcnt vmcnt(1)
	v_sub_f32_e32 v107, v183, v107
	s_waitcnt vmcnt(0)
	v_sub_f32_e32 v108, v184, v185
	buffer_store_dword v107, off, s[0:3], 0 offset:256
	buffer_store_dword v108, off, s[0:3], 0 offset:260
	s_and_saveexec_b64 s[4:5], vcc
	s_cbranch_execz .LBB51_263
; %bb.262:
	buffer_load_dword v107, off, s[0:3], 0 offset:248
	buffer_load_dword v108, off, s[0:3], 0 offset:252
	s_waitcnt vmcnt(0)
	ds_write_b64 v105, v[107:108]
	buffer_store_dword v106, off, s[0:3], 0 offset:248
	buffer_store_dword v106, off, s[0:3], 0 offset:252
.LBB51_263:
	s_or_b64 exec, exec, s[4:5]
	s_waitcnt lgkmcnt(0)
	; wave barrier
	buffer_load_dword v147, off, s[0:3], 0 offset:260
	buffer_load_dword v148, off, s[0:3], 0 offset:268
	;; [unrolled: 1-line block ×42, first 2 shown]
	ds_read_b128 v[107:110], v106 offset:672
	ds_read_b128 v[111:114], v106 offset:688
	;; [unrolled: 1-line block ×8, first 2 shown]
	v_cmp_lt_u32_e32 vcc, 30, v0
	s_waitcnt vmcnt(41) lgkmcnt(7)
	v_mul_f32_e32 v139, v107, v147
	s_waitcnt vmcnt(40)
	v_mul_f32_e32 v140, v109, v148
	s_waitcnt vmcnt(39) lgkmcnt(6)
	v_mul_f32_e32 v141, v111, v149
	s_waitcnt vmcnt(38)
	v_mul_f32_e32 v142, v113, v150
	s_waitcnt vmcnt(37) lgkmcnt(5)
	v_mul_f32_e32 v143, v115, v151
	s_waitcnt vmcnt(36)
	v_mul_f32_e32 v144, v117, v152
	s_waitcnt vmcnt(35) lgkmcnt(4)
	v_mul_f32_e32 v145, v119, v153
	s_waitcnt vmcnt(34)
	v_mul_f32_e32 v146, v121, v154
	s_waitcnt vmcnt(33) lgkmcnt(3)
	v_mul_f32_e32 v189, v123, v155
	s_waitcnt vmcnt(32)
	v_mul_f32_e32 v190, v125, v156
	s_waitcnt vmcnt(31) lgkmcnt(2)
	v_mul_f32_e32 v191, v127, v157
	s_waitcnt vmcnt(30)
	v_mul_f32_e32 v192, v129, v158
	s_waitcnt vmcnt(29) lgkmcnt(1)
	v_mul_f32_e32 v193, v131, v159
	s_waitcnt vmcnt(28)
	v_mul_f32_e32 v194, v133, v160
	s_waitcnt vmcnt(27) lgkmcnt(0)
	v_mul_f32_e32 v195, v135, v161
	s_waitcnt vmcnt(26)
	v_fmac_f32_e32 v139, v108, v162
	v_mul_f32_e32 v108, v108, v147
	v_fma_f32 v107, v107, v162, -v108
	v_mul_f32_e32 v108, v110, v148
	v_add_f32_e32 v107, 0, v107
	s_waitcnt vmcnt(25)
	v_fma_f32 v108, v109, v163, -v108
	v_add_f32_e32 v107, v107, v108
	v_mul_f32_e32 v108, v112, v149
	s_waitcnt vmcnt(24)
	v_fma_f32 v108, v111, v164, -v108
	v_add_f32_e32 v107, v107, v108
	v_mul_f32_e32 v108, v114, v150
	;; [unrolled: 4-line block ×5, first 2 shown]
	v_fmac_f32_e32 v140, v110, v163
	v_add_f32_e32 v139, 0, v139
	s_waitcnt vmcnt(20)
	v_fma_f32 v108, v119, v168, -v108
	v_fmac_f32_e32 v141, v112, v164
	v_add_f32_e32 v139, v139, v140
	v_add_f32_e32 v107, v107, v108
	v_mul_f32_e32 v108, v122, v154
	v_fmac_f32_e32 v142, v114, v165
	v_add_f32_e32 v139, v139, v141
	s_waitcnt vmcnt(19)
	v_fma_f32 v108, v121, v169, -v108
	v_fmac_f32_e32 v143, v116, v166
	v_add_f32_e32 v139, v139, v142
	v_add_f32_e32 v107, v107, v108
	v_mul_f32_e32 v108, v124, v155
	;; [unrolled: 8-line block ×5, first 2 shown]
	s_waitcnt vmcnt(15)
	v_fmac_f32_e32 v192, v130, v173
	v_add_f32_e32 v139, v139, v191
	v_fma_f32 v108, v129, v173, -v108
	s_waitcnt vmcnt(14)
	v_fmac_f32_e32 v193, v132, v174
	v_add_f32_e32 v139, v139, v192
	v_add_f32_e32 v107, v107, v108
	v_mul_f32_e32 v108, v132, v159
	s_waitcnt vmcnt(13)
	v_fmac_f32_e32 v194, v134, v175
	v_add_f32_e32 v139, v139, v193
	v_fma_f32 v108, v131, v174, -v108
	s_waitcnt vmcnt(12)
	v_fmac_f32_e32 v195, v136, v176
	v_add_f32_e32 v139, v139, v194
	v_add_f32_e32 v107, v107, v108
	v_mul_f32_e32 v108, v134, v160
	v_add_f32_e32 v143, v139, v195
	ds_read_b128 v[139:142], v106 offset:800
	v_fma_f32 v108, v133, v175, -v108
	v_add_f32_e32 v107, v107, v108
	v_mul_f32_e32 v108, v136, v161
	s_waitcnt vmcnt(11)
	v_mul_f32_e32 v144, v137, v177
	v_fma_f32 v108, v135, v176, -v108
	s_waitcnt vmcnt(10)
	v_fmac_f32_e32 v144, v138, v178
	v_add_f32_e32 v107, v107, v108
	v_mul_f32_e32 v108, v138, v177
	v_add_f32_e32 v189, v143, v144
	ds_read_b128 v[143:146], v106 offset:816
	v_fma_f32 v108, v137, v178, -v108
	v_add_f32_e32 v107, v107, v108
	s_waitcnt vmcnt(9) lgkmcnt(1)
	v_mul_f32_e32 v108, v140, v179
	v_mul_f32_e32 v106, v139, v179
	s_waitcnt vmcnt(8)
	v_fma_f32 v108, v139, v180, -v108
	v_fmac_f32_e32 v106, v140, v180
	v_add_f32_e32 v107, v107, v108
	s_waitcnt vmcnt(7)
	v_mul_f32_e32 v108, v142, v181
	v_add_f32_e32 v106, v189, v106
	v_mul_f32_e32 v189, v141, v181
	s_waitcnt vmcnt(6)
	v_fma_f32 v108, v141, v182, -v108
	v_fmac_f32_e32 v189, v142, v182
	v_add_f32_e32 v107, v107, v108
	s_waitcnt vmcnt(5) lgkmcnt(0)
	v_mul_f32_e32 v108, v144, v183
	v_add_f32_e32 v106, v106, v189
	v_mul_f32_e32 v189, v143, v183
	s_waitcnt vmcnt(4)
	v_fma_f32 v108, v143, v184, -v108
	v_fmac_f32_e32 v189, v144, v184
	v_add_f32_e32 v107, v107, v108
	s_waitcnt vmcnt(3)
	v_mul_f32_e32 v108, v146, v185
	v_add_f32_e32 v106, v106, v189
	v_mul_f32_e32 v189, v145, v185
	s_waitcnt vmcnt(2)
	v_fma_f32 v108, v145, v186, -v108
	v_fmac_f32_e32 v189, v146, v186
	v_add_f32_e32 v107, v107, v108
	v_add_f32_e32 v106, v106, v189
	s_waitcnt vmcnt(1)
	v_sub_f32_e32 v107, v187, v107
	s_waitcnt vmcnt(0)
	v_sub_f32_e32 v106, v188, v106
	buffer_store_dword v107, off, s[0:3], 0 offset:248
	buffer_store_dword v106, off, s[0:3], 0 offset:252
	s_and_saveexec_b64 s[4:5], vcc
	s_cbranch_execz .LBB51_265
; %bb.264:
	buffer_load_dword v106, off, s[0:3], 0 offset:240
	buffer_load_dword v107, off, s[0:3], 0 offset:244
	v_mov_b32_e32 v108, 0
	buffer_store_dword v108, off, s[0:3], 0 offset:240
	buffer_store_dword v108, off, s[0:3], 0 offset:244
	s_waitcnt vmcnt(2)
	ds_write_b64 v105, v[106:107]
.LBB51_265:
	s_or_b64 exec, exec, s[4:5]
	s_waitcnt lgkmcnt(0)
	; wave barrier
	buffer_load_dword v149, off, s[0:3], 0 offset:252
	buffer_load_dword v150, off, s[0:3], 0 offset:260
	;; [unrolled: 1-line block ×44, first 2 shown]
	v_mov_b32_e32 v106, 0
	ds_read2_b64 v[107:110], v106 offset0:83 offset1:84
	ds_read2_b64 v[111:114], v106 offset0:85 offset1:86
	;; [unrolled: 1-line block ×8, first 2 shown]
	v_cmp_lt_u32_e32 vcc, 29, v0
	s_waitcnt vmcnt(43) lgkmcnt(7)
	v_mul_f32_e32 v139, v107, v149
	s_waitcnt vmcnt(42)
	v_mul_f32_e32 v140, v109, v150
	s_waitcnt vmcnt(41) lgkmcnt(6)
	v_mul_f32_e32 v141, v111, v151
	s_waitcnt vmcnt(40)
	v_mul_f32_e32 v142, v113, v152
	;; [unrolled: 4-line block ×7, first 2 shown]
	s_waitcnt vmcnt(29)
	v_fmac_f32_e32 v139, v108, v163
	v_mul_f32_e32 v108, v108, v149
	v_fma_f32 v107, v107, v163, -v108
	v_mul_f32_e32 v108, v110, v150
	v_add_f32_e32 v107, 0, v107
	s_waitcnt vmcnt(28)
	v_fma_f32 v108, v109, v164, -v108
	v_add_f32_e32 v107, v107, v108
	v_mul_f32_e32 v108, v112, v151
	s_waitcnt vmcnt(27)
	v_fma_f32 v108, v111, v165, -v108
	v_add_f32_e32 v107, v107, v108
	v_mul_f32_e32 v108, v114, v152
	;; [unrolled: 4-line block ×4, first 2 shown]
	s_waitcnt vmcnt(24)
	v_fma_f32 v108, v117, v168, -v108
	v_fmac_f32_e32 v140, v110, v164
	v_add_f32_e32 v139, 0, v139
	v_add_f32_e32 v107, v107, v108
	v_mul_f32_e32 v108, v120, v155
	v_fmac_f32_e32 v141, v112, v165
	v_add_f32_e32 v139, v139, v140
	s_waitcnt vmcnt(23)
	v_fma_f32 v108, v119, v169, -v108
	v_fmac_f32_e32 v142, v114, v166
	v_add_f32_e32 v139, v139, v141
	v_add_f32_e32 v107, v107, v108
	v_mul_f32_e32 v108, v122, v156
	v_fmac_f32_e32 v143, v116, v167
	v_add_f32_e32 v139, v139, v142
	;; [unrolled: 8-line block ×4, first 2 shown]
	s_waitcnt vmcnt(20)
	v_fma_f32 v108, v125, v172, -v108
	v_fmac_f32_e32 v148, v126, v172
	v_add_f32_e32 v139, v139, v147
	v_add_f32_e32 v107, v107, v108
	v_mul_f32_e32 v108, v128, v159
	s_waitcnt vmcnt(19)
	v_fmac_f32_e32 v193, v128, v173
	v_add_f32_e32 v139, v139, v148
	v_fma_f32 v108, v127, v173, -v108
	s_waitcnt vmcnt(18)
	v_fmac_f32_e32 v194, v130, v174
	v_add_f32_e32 v139, v139, v193
	v_add_f32_e32 v107, v107, v108
	v_mul_f32_e32 v108, v130, v160
	s_waitcnt vmcnt(17)
	v_fmac_f32_e32 v195, v132, v175
	v_add_f32_e32 v139, v139, v194
	v_fma_f32 v108, v129, v174, -v108
	v_add_f32_e32 v139, v139, v195
	s_waitcnt vmcnt(16)
	v_fmac_f32_e32 v196, v134, v176
	s_waitcnt vmcnt(15) lgkmcnt(0)
	v_mul_f32_e32 v140, v135, v177
	v_add_f32_e32 v107, v107, v108
	v_mul_f32_e32 v108, v132, v161
	v_add_f32_e32 v139, v139, v196
	s_waitcnt vmcnt(14)
	v_fmac_f32_e32 v140, v136, v178
	v_fma_f32 v108, v131, v175, -v108
	v_add_f32_e32 v143, v139, v140
	ds_read2_b64 v[139:142], v106 offset0:99 offset1:100
	v_add_f32_e32 v107, v107, v108
	v_mul_f32_e32 v108, v134, v162
	v_fma_f32 v108, v133, v176, -v108
	v_add_f32_e32 v107, v107, v108
	v_mul_f32_e32 v108, v136, v177
	s_waitcnt vmcnt(13)
	v_mul_f32_e32 v144, v137, v179
	v_fma_f32 v108, v135, v178, -v108
	s_waitcnt vmcnt(12)
	v_fmac_f32_e32 v144, v138, v180
	v_add_f32_e32 v107, v107, v108
	v_mul_f32_e32 v108, v138, v179
	v_add_f32_e32 v147, v143, v144
	ds_read2_b64 v[143:146], v106 offset0:101 offset1:102
	s_waitcnt vmcnt(11) lgkmcnt(1)
	v_mul_f32_e32 v148, v139, v181
	v_fma_f32 v108, v137, v180, -v108
	s_waitcnt vmcnt(10)
	v_fmac_f32_e32 v148, v140, v182
	v_add_f32_e32 v107, v107, v108
	v_mul_f32_e32 v108, v140, v181
	v_add_f32_e32 v147, v147, v148
	s_waitcnt vmcnt(9)
	v_mul_f32_e32 v148, v141, v183
	v_fma_f32 v108, v139, v182, -v108
	s_waitcnt vmcnt(8)
	v_fmac_f32_e32 v148, v142, v184
	v_add_f32_e32 v107, v107, v108
	v_mul_f32_e32 v108, v142, v183
	v_add_f32_e32 v193, v147, v148
	ds_read_b64 v[147:148], v106 offset:824
	v_fma_f32 v108, v141, v184, -v108
	v_add_f32_e32 v107, v107, v108
	s_waitcnt vmcnt(7) lgkmcnt(1)
	v_mul_f32_e32 v108, v144, v185
	v_mul_f32_e32 v194, v143, v185
	s_waitcnt vmcnt(6)
	v_fma_f32 v108, v143, v186, -v108
	v_fmac_f32_e32 v194, v144, v186
	v_add_f32_e32 v107, v107, v108
	s_waitcnt vmcnt(5)
	v_mul_f32_e32 v108, v146, v187
	v_add_f32_e32 v193, v193, v194
	v_mul_f32_e32 v194, v145, v187
	s_waitcnt vmcnt(4)
	v_fma_f32 v108, v145, v188, -v108
	v_fmac_f32_e32 v194, v146, v188
	v_add_f32_e32 v107, v107, v108
	s_waitcnt vmcnt(3) lgkmcnt(0)
	v_mul_f32_e32 v108, v148, v189
	v_add_f32_e32 v193, v193, v194
	v_mul_f32_e32 v194, v147, v189
	s_waitcnt vmcnt(2)
	v_fma_f32 v108, v147, v190, -v108
	v_fmac_f32_e32 v194, v148, v190
	v_add_f32_e32 v107, v107, v108
	v_add_f32_e32 v193, v193, v194
	s_waitcnt vmcnt(1)
	v_sub_f32_e32 v107, v191, v107
	s_waitcnt vmcnt(0)
	v_sub_f32_e32 v108, v192, v193
	buffer_store_dword v107, off, s[0:3], 0 offset:240
	buffer_store_dword v108, off, s[0:3], 0 offset:244
	s_and_saveexec_b64 s[4:5], vcc
	s_cbranch_execz .LBB51_267
; %bb.266:
	buffer_load_dword v107, off, s[0:3], 0 offset:232
	buffer_load_dword v108, off, s[0:3], 0 offset:236
	s_waitcnt vmcnt(0)
	ds_write_b64 v105, v[107:108]
	buffer_store_dword v106, off, s[0:3], 0 offset:232
	buffer_store_dword v106, off, s[0:3], 0 offset:236
.LBB51_267:
	s_or_b64 exec, exec, s[4:5]
	s_waitcnt lgkmcnt(0)
	; wave barrier
	buffer_load_dword v151, off, s[0:3], 0 offset:244
	buffer_load_dword v152, off, s[0:3], 0 offset:252
	;; [unrolled: 1-line block ×46, first 2 shown]
	ds_read_b128 v[107:110], v106 offset:656
	ds_read_b128 v[111:114], v106 offset:672
	;; [unrolled: 1-line block ×8, first 2 shown]
	v_cmp_lt_u32_e32 vcc, 28, v0
	s_waitcnt vmcnt(45) lgkmcnt(7)
	v_mul_f32_e32 v139, v107, v151
	s_waitcnt vmcnt(44)
	v_mul_f32_e32 v140, v109, v152
	s_waitcnt vmcnt(43) lgkmcnt(6)
	v_mul_f32_e32 v141, v111, v153
	s_waitcnt vmcnt(42)
	v_mul_f32_e32 v142, v113, v154
	;; [unrolled: 4-line block ×6, first 2 shown]
	s_waitcnt vmcnt(33) lgkmcnt(1)
	v_mul_f32_e32 v197, v131, v163
	s_waitcnt vmcnt(32)
	v_fmac_f32_e32 v139, v108, v164
	v_mul_f32_e32 v108, v108, v151
	v_fma_f32 v107, v107, v164, -v108
	v_mul_f32_e32 v108, v110, v152
	v_add_f32_e32 v107, 0, v107
	s_waitcnt vmcnt(31)
	v_fma_f32 v108, v109, v165, -v108
	v_add_f32_e32 v107, v107, v108
	v_mul_f32_e32 v108, v112, v153
	s_waitcnt vmcnt(30)
	v_fma_f32 v108, v111, v166, -v108
	v_add_f32_e32 v107, v107, v108
	v_mul_f32_e32 v108, v114, v154
	;; [unrolled: 4-line block ×4, first 2 shown]
	v_fmac_f32_e32 v140, v110, v165
	v_add_f32_e32 v139, 0, v139
	s_waitcnt vmcnt(27)
	v_fma_f32 v108, v117, v169, -v108
	v_fmac_f32_e32 v141, v112, v166
	v_add_f32_e32 v139, v139, v140
	v_add_f32_e32 v107, v107, v108
	v_mul_f32_e32 v108, v120, v157
	v_fmac_f32_e32 v142, v114, v167
	v_add_f32_e32 v139, v139, v141
	s_waitcnt vmcnt(26)
	v_fma_f32 v108, v119, v170, -v108
	v_fmac_f32_e32 v143, v116, v168
	v_add_f32_e32 v139, v139, v142
	v_add_f32_e32 v107, v107, v108
	v_mul_f32_e32 v108, v122, v158
	;; [unrolled: 8-line block ×4, first 2 shown]
	s_waitcnt vmcnt(23)
	v_fmac_f32_e32 v148, v126, v173
	v_add_f32_e32 v139, v139, v147
	v_fma_f32 v108, v125, v173, -v108
	s_waitcnt vmcnt(22)
	v_fmac_f32_e32 v149, v128, v174
	v_add_f32_e32 v139, v139, v148
	v_add_f32_e32 v107, v107, v108
	v_mul_f32_e32 v108, v128, v161
	s_waitcnt vmcnt(21)
	v_fmac_f32_e32 v150, v130, v175
	v_add_f32_e32 v139, v139, v149
	v_fma_f32 v108, v127, v174, -v108
	s_waitcnt vmcnt(20)
	v_fmac_f32_e32 v197, v132, v176
	v_add_f32_e32 v139, v139, v150
	s_waitcnt vmcnt(19)
	v_mul_f32_e32 v140, v133, v177
	v_add_f32_e32 v107, v107, v108
	v_mul_f32_e32 v108, v130, v162
	v_add_f32_e32 v139, v139, v197
	s_waitcnt vmcnt(18)
	v_fmac_f32_e32 v140, v134, v178
	v_fma_f32 v108, v129, v175, -v108
	v_add_f32_e32 v139, v139, v140
	s_waitcnt vmcnt(17) lgkmcnt(0)
	v_mul_f32_e32 v140, v135, v179
	v_add_f32_e32 v107, v107, v108
	v_mul_f32_e32 v108, v132, v163
	s_waitcnt vmcnt(16)
	v_fmac_f32_e32 v140, v136, v180
	v_fma_f32 v108, v131, v176, -v108
	v_add_f32_e32 v143, v139, v140
	ds_read_b128 v[139:142], v106 offset:784
	v_add_f32_e32 v107, v107, v108
	v_mul_f32_e32 v108, v134, v177
	v_fma_f32 v108, v133, v178, -v108
	v_add_f32_e32 v107, v107, v108
	v_mul_f32_e32 v108, v136, v179
	s_waitcnt vmcnt(15)
	v_mul_f32_e32 v144, v137, v181
	v_fma_f32 v108, v135, v180, -v108
	s_waitcnt vmcnt(14)
	v_fmac_f32_e32 v144, v138, v182
	v_add_f32_e32 v107, v107, v108
	v_mul_f32_e32 v108, v138, v181
	v_add_f32_e32 v147, v143, v144
	ds_read_b128 v[143:146], v106 offset:800
	s_waitcnt vmcnt(13) lgkmcnt(1)
	v_mul_f32_e32 v148, v139, v183
	v_fma_f32 v108, v137, v182, -v108
	s_waitcnt vmcnt(12)
	v_fmac_f32_e32 v148, v140, v184
	v_add_f32_e32 v107, v107, v108
	v_mul_f32_e32 v108, v140, v183
	v_add_f32_e32 v147, v147, v148
	s_waitcnt vmcnt(11)
	v_mul_f32_e32 v148, v141, v185
	v_fma_f32 v108, v139, v184, -v108
	s_waitcnt vmcnt(10)
	v_fmac_f32_e32 v148, v142, v186
	v_add_f32_e32 v107, v107, v108
	v_mul_f32_e32 v108, v142, v185
	v_add_f32_e32 v197, v147, v148
	ds_read_b128 v[147:150], v106 offset:816
	v_fma_f32 v108, v141, v186, -v108
	v_add_f32_e32 v107, v107, v108
	s_waitcnt vmcnt(9) lgkmcnt(1)
	v_mul_f32_e32 v108, v144, v187
	v_mul_f32_e32 v198, v143, v187
	s_waitcnt vmcnt(8)
	v_fma_f32 v108, v143, v188, -v108
	v_fmac_f32_e32 v198, v144, v188
	v_add_f32_e32 v107, v107, v108
	s_waitcnt vmcnt(7)
	v_mul_f32_e32 v108, v146, v189
	v_add_f32_e32 v106, v197, v198
	v_mul_f32_e32 v197, v145, v189
	s_waitcnt vmcnt(6)
	v_fma_f32 v108, v145, v190, -v108
	v_fmac_f32_e32 v197, v146, v190
	v_add_f32_e32 v107, v107, v108
	s_waitcnt vmcnt(5) lgkmcnt(0)
	v_mul_f32_e32 v108, v148, v191
	v_add_f32_e32 v106, v106, v197
	v_mul_f32_e32 v197, v147, v191
	s_waitcnt vmcnt(4)
	v_fma_f32 v108, v147, v192, -v108
	v_fmac_f32_e32 v197, v148, v192
	v_add_f32_e32 v107, v107, v108
	s_waitcnt vmcnt(3)
	v_mul_f32_e32 v108, v150, v193
	v_add_f32_e32 v106, v106, v197
	v_mul_f32_e32 v197, v149, v193
	s_waitcnt vmcnt(2)
	v_fma_f32 v108, v149, v194, -v108
	v_fmac_f32_e32 v197, v150, v194
	v_add_f32_e32 v107, v107, v108
	v_add_f32_e32 v106, v106, v197
	s_waitcnt vmcnt(1)
	v_sub_f32_e32 v107, v195, v107
	s_waitcnt vmcnt(0)
	v_sub_f32_e32 v106, v196, v106
	buffer_store_dword v107, off, s[0:3], 0 offset:232
	buffer_store_dword v106, off, s[0:3], 0 offset:236
	s_and_saveexec_b64 s[4:5], vcc
	s_cbranch_execz .LBB51_269
; %bb.268:
	buffer_load_dword v106, off, s[0:3], 0 offset:224
	buffer_load_dword v107, off, s[0:3], 0 offset:228
	v_mov_b32_e32 v108, 0
	buffer_store_dword v108, off, s[0:3], 0 offset:224
	buffer_store_dword v108, off, s[0:3], 0 offset:228
	s_waitcnt vmcnt(2)
	ds_write_b64 v105, v[106:107]
.LBB51_269:
	s_or_b64 exec, exec, s[4:5]
	s_waitcnt lgkmcnt(0)
	; wave barrier
	buffer_load_dword v153, off, s[0:3], 0 offset:236
	buffer_load_dword v154, off, s[0:3], 0 offset:244
	;; [unrolled: 1-line block ×48, first 2 shown]
	v_mov_b32_e32 v106, 0
	ds_read2_b64 v[107:110], v106 offset0:81 offset1:82
	ds_read2_b64 v[111:114], v106 offset0:83 offset1:84
	;; [unrolled: 1-line block ×7, first 2 shown]
	v_cmp_lt_u32_e32 vcc, 27, v0
	s_waitcnt vmcnt(47) lgkmcnt(6)
	v_mul_f32_e32 v135, v107, v153
	s_waitcnt vmcnt(46)
	v_mul_f32_e32 v136, v109, v154
	s_waitcnt vmcnt(45) lgkmcnt(5)
	v_mul_f32_e32 v137, v111, v155
	s_waitcnt vmcnt(44)
	v_mul_f32_e32 v138, v113, v156
	;; [unrolled: 4-line block ×6, first 2 shown]
	s_waitcnt vmcnt(35)
	v_fmac_f32_e32 v135, v108, v165
	v_mul_f32_e32 v108, v108, v153
	v_fma_f32 v107, v107, v165, -v108
	v_mul_f32_e32 v108, v110, v154
	v_add_f32_e32 v107, 0, v107
	s_waitcnt vmcnt(34)
	v_fma_f32 v108, v109, v166, -v108
	v_add_f32_e32 v107, v107, v108
	v_mul_f32_e32 v108, v112, v155
	s_waitcnt vmcnt(33)
	v_fma_f32 v108, v111, v167, -v108
	v_fmac_f32_e32 v136, v110, v166
	v_add_f32_e32 v135, 0, v135
	v_add_f32_e32 v107, v107, v108
	v_mul_f32_e32 v108, v114, v156
	v_fmac_f32_e32 v137, v112, v167
	v_add_f32_e32 v135, v135, v136
	s_waitcnt vmcnt(32)
	v_fma_f32 v108, v113, v168, -v108
	v_fmac_f32_e32 v138, v114, v168
	v_add_f32_e32 v135, v135, v137
	v_add_f32_e32 v107, v107, v108
	v_mul_f32_e32 v108, v116, v157
	s_waitcnt vmcnt(31)
	v_fmac_f32_e32 v139, v116, v169
	v_add_f32_e32 v135, v135, v138
	v_fma_f32 v108, v115, v169, -v108
	s_waitcnt vmcnt(30)
	v_fmac_f32_e32 v140, v118, v170
	v_add_f32_e32 v135, v135, v139
	v_add_f32_e32 v107, v107, v108
	v_mul_f32_e32 v108, v118, v158
	s_waitcnt vmcnt(29)
	v_fmac_f32_e32 v141, v120, v171
	v_add_f32_e32 v135, v135, v140
	v_fma_f32 v108, v117, v170, -v108
	s_waitcnt vmcnt(28)
	;; [unrolled: 9-line block ×4, first 2 shown]
	v_fmac_f32_e32 v146, v130, v176
	v_add_f32_e32 v135, v135, v145
	v_add_f32_e32 v107, v107, v108
	v_mul_f32_e32 v108, v124, v161
	v_add_f32_e32 v139, v135, v146
	ds_read2_b64 v[135:138], v106 offset0:95 offset1:96
	v_fma_f32 v108, v123, v173, -v108
	s_waitcnt vmcnt(23) lgkmcnt(1)
	v_mul_f32_e32 v140, v131, v177
	v_add_f32_e32 v107, v107, v108
	v_mul_f32_e32 v108, v126, v162
	s_waitcnt vmcnt(22)
	v_fmac_f32_e32 v140, v132, v178
	v_fma_f32 v108, v125, v174, -v108
	v_add_f32_e32 v139, v139, v140
	s_waitcnt vmcnt(21)
	v_mul_f32_e32 v140, v133, v179
	v_add_f32_e32 v107, v107, v108
	v_mul_f32_e32 v108, v128, v163
	s_waitcnt vmcnt(20)
	v_fmac_f32_e32 v140, v134, v180
	v_fma_f32 v108, v127, v175, -v108
	v_add_f32_e32 v139, v139, v140
	s_waitcnt vmcnt(19) lgkmcnt(0)
	v_mul_f32_e32 v140, v135, v181
	v_add_f32_e32 v107, v107, v108
	v_mul_f32_e32 v108, v130, v164
	s_waitcnt vmcnt(18)
	v_fmac_f32_e32 v140, v136, v182
	v_fma_f32 v108, v129, v176, -v108
	v_add_f32_e32 v143, v139, v140
	ds_read2_b64 v[139:142], v106 offset0:97 offset1:98
	v_add_f32_e32 v107, v107, v108
	v_mul_f32_e32 v108, v132, v177
	v_fma_f32 v108, v131, v178, -v108
	s_waitcnt vmcnt(17)
	v_mul_f32_e32 v144, v137, v183
	v_add_f32_e32 v107, v107, v108
	v_mul_f32_e32 v108, v134, v179
	s_waitcnt vmcnt(16)
	v_fmac_f32_e32 v144, v138, v184
	v_fma_f32 v108, v133, v180, -v108
	v_add_f32_e32 v147, v143, v144
	ds_read2_b64 v[143:146], v106 offset0:99 offset1:100
	v_add_f32_e32 v107, v107, v108
	v_mul_f32_e32 v108, v136, v181
	s_waitcnt vmcnt(15) lgkmcnt(1)
	v_mul_f32_e32 v148, v139, v185
	v_fma_f32 v108, v135, v182, -v108
	s_waitcnt vmcnt(14)
	v_fmac_f32_e32 v148, v140, v186
	v_add_f32_e32 v107, v107, v108
	v_mul_f32_e32 v108, v138, v183
	v_add_f32_e32 v147, v147, v148
	s_waitcnt vmcnt(13)
	v_mul_f32_e32 v148, v141, v187
	v_fma_f32 v108, v137, v184, -v108
	s_waitcnt vmcnt(12)
	v_fmac_f32_e32 v148, v142, v188
	v_add_f32_e32 v107, v107, v108
	v_mul_f32_e32 v108, v140, v185
	v_add_f32_e32 v147, v147, v148
	s_waitcnt vmcnt(11) lgkmcnt(0)
	v_mul_f32_e32 v148, v143, v189
	v_fma_f32 v108, v139, v186, -v108
	s_waitcnt vmcnt(10)
	v_fmac_f32_e32 v148, v144, v190
	v_add_f32_e32 v107, v107, v108
	v_mul_f32_e32 v108, v142, v187
	v_add_f32_e32 v151, v147, v148
	ds_read2_b64 v[147:150], v106 offset0:101 offset1:102
	v_fma_f32 v108, v141, v188, -v108
	v_add_f32_e32 v107, v107, v108
	v_mul_f32_e32 v108, v144, v189
	s_waitcnt vmcnt(9)
	v_mul_f32_e32 v152, v145, v191
	v_fma_f32 v108, v143, v190, -v108
	s_waitcnt vmcnt(8)
	v_fmac_f32_e32 v152, v146, v192
	v_add_f32_e32 v107, v107, v108
	v_mul_f32_e32 v108, v146, v191
	v_add_f32_e32 v201, v151, v152
	ds_read_b64 v[151:152], v106 offset:824
	v_fma_f32 v108, v145, v192, -v108
	v_add_f32_e32 v107, v107, v108
	s_waitcnt vmcnt(6) lgkmcnt(1)
	v_mul_f32_e32 v108, v148, v194
	v_mul_f32_e32 v202, v147, v194
	v_fma_f32 v108, v147, v193, -v108
	v_fmac_f32_e32 v202, v148, v193
	v_add_f32_e32 v107, v107, v108
	s_waitcnt vmcnt(3)
	v_mul_f32_e32 v108, v150, v197
	v_add_f32_e32 v201, v201, v202
	v_mul_f32_e32 v202, v149, v197
	s_waitcnt vmcnt(2)
	v_fma_f32 v108, v149, v198, -v108
	v_fmac_f32_e32 v202, v150, v198
	v_add_f32_e32 v107, v107, v108
	s_waitcnt vmcnt(0) lgkmcnt(0)
	v_mul_f32_e32 v108, v152, v200
	v_add_f32_e32 v201, v201, v202
	v_mul_f32_e32 v202, v151, v200
	v_fma_f32 v108, v151, v199, -v108
	v_fmac_f32_e32 v202, v152, v199
	v_add_f32_e32 v107, v107, v108
	v_add_f32_e32 v201, v201, v202
	v_sub_f32_e32 v107, v195, v107
	v_sub_f32_e32 v108, v196, v201
	buffer_store_dword v107, off, s[0:3], 0 offset:224
	buffer_store_dword v108, off, s[0:3], 0 offset:228
	s_and_saveexec_b64 s[4:5], vcc
	s_cbranch_execz .LBB51_271
; %bb.270:
	buffer_load_dword v107, off, s[0:3], 0 offset:216
	buffer_load_dword v108, off, s[0:3], 0 offset:220
	s_waitcnt vmcnt(0)
	ds_write_b64 v105, v[107:108]
	buffer_store_dword v106, off, s[0:3], 0 offset:216
	buffer_store_dword v106, off, s[0:3], 0 offset:220
.LBB51_271:
	s_or_b64 exec, exec, s[4:5]
	s_waitcnt lgkmcnt(0)
	; wave barrier
	buffer_load_dword v155, off, s[0:3], 0 offset:228
	buffer_load_dword v156, off, s[0:3], 0 offset:236
	;; [unrolled: 1-line block ×48, first 2 shown]
	ds_read_b128 v[107:110], v106 offset:640
	ds_read_b128 v[111:114], v106 offset:656
	buffer_load_dword v203, off, s[0:3], 0 offset:408
	buffer_load_dword v204, off, s[0:3], 0 offset:412
	ds_read_b128 v[115:118], v106 offset:672
	ds_read_b128 v[119:122], v106 offset:688
	;; [unrolled: 1-line block ×5, first 2 shown]
	v_cmp_lt_u32_e32 vcc, 26, v0
	s_waitcnt vmcnt(49) lgkmcnt(6)
	v_mul_f32_e32 v135, v107, v155
	s_waitcnt vmcnt(48)
	v_mul_f32_e32 v136, v109, v156
	s_waitcnt vmcnt(47) lgkmcnt(5)
	v_mul_f32_e32 v137, v111, v157
	s_waitcnt vmcnt(46)
	v_mul_f32_e32 v138, v113, v158
	;; [unrolled: 4-line block ×6, first 2 shown]
	s_waitcnt vmcnt(37)
	v_fmac_f32_e32 v135, v108, v167
	v_mul_f32_e32 v108, v108, v155
	v_fma_f32 v107, v107, v167, -v108
	v_mul_f32_e32 v108, v110, v156
	v_add_f32_e32 v107, 0, v107
	s_waitcnt vmcnt(36)
	v_fma_f32 v108, v109, v168, -v108
	v_add_f32_e32 v107, v107, v108
	v_mul_f32_e32 v108, v112, v157
	s_waitcnt vmcnt(35)
	v_fma_f32 v108, v111, v169, -v108
	v_fmac_f32_e32 v136, v110, v168
	v_add_f32_e32 v135, 0, v135
	v_add_f32_e32 v107, v107, v108
	v_mul_f32_e32 v108, v114, v158
	v_fmac_f32_e32 v137, v112, v169
	v_add_f32_e32 v135, v135, v136
	s_waitcnt vmcnt(34)
	v_fma_f32 v108, v113, v170, -v108
	v_fmac_f32_e32 v138, v114, v170
	v_add_f32_e32 v135, v135, v137
	v_add_f32_e32 v107, v107, v108
	v_mul_f32_e32 v108, v116, v159
	s_waitcnt vmcnt(33)
	v_fmac_f32_e32 v139, v116, v171
	v_add_f32_e32 v135, v135, v138
	v_fma_f32 v108, v115, v171, -v108
	s_waitcnt vmcnt(32)
	v_fmac_f32_e32 v140, v118, v172
	v_add_f32_e32 v135, v135, v139
	v_add_f32_e32 v107, v107, v108
	v_mul_f32_e32 v108, v118, v160
	s_waitcnt vmcnt(31)
	v_fmac_f32_e32 v141, v120, v173
	v_add_f32_e32 v135, v135, v140
	v_fma_f32 v108, v117, v172, -v108
	s_waitcnt vmcnt(30)
	;; [unrolled: 9-line block ×3, first 2 shown]
	v_fmac_f32_e32 v144, v126, v176
	v_add_f32_e32 v135, v135, v143
	v_add_f32_e32 v107, v107, v108
	v_mul_f32_e32 v108, v122, v162
	s_waitcnt vmcnt(27)
	v_fmac_f32_e32 v145, v128, v177
	v_add_f32_e32 v135, v135, v144
	v_fma_f32 v108, v121, v174, -v108
	v_add_f32_e32 v135, v135, v145
	s_waitcnt vmcnt(26)
	v_fmac_f32_e32 v146, v130, v178
	v_add_f32_e32 v107, v107, v108
	v_mul_f32_e32 v108, v124, v163
	v_add_f32_e32 v139, v135, v146
	ds_read_b128 v[135:138], v106 offset:752
	v_fma_f32 v108, v123, v175, -v108
	s_waitcnt vmcnt(25) lgkmcnt(1)
	v_mul_f32_e32 v140, v131, v179
	v_add_f32_e32 v107, v107, v108
	v_mul_f32_e32 v108, v126, v164
	s_waitcnt vmcnt(24)
	v_fmac_f32_e32 v140, v132, v180
	v_fma_f32 v108, v125, v176, -v108
	v_add_f32_e32 v139, v139, v140
	s_waitcnt vmcnt(23)
	v_mul_f32_e32 v140, v133, v181
	v_add_f32_e32 v107, v107, v108
	v_mul_f32_e32 v108, v128, v165
	s_waitcnt vmcnt(22)
	v_fmac_f32_e32 v140, v134, v182
	v_fma_f32 v108, v127, v177, -v108
	v_add_f32_e32 v139, v139, v140
	s_waitcnt vmcnt(21) lgkmcnt(0)
	v_mul_f32_e32 v140, v135, v183
	v_add_f32_e32 v107, v107, v108
	v_mul_f32_e32 v108, v130, v166
	s_waitcnt vmcnt(20)
	v_fmac_f32_e32 v140, v136, v184
	v_fma_f32 v108, v129, v178, -v108
	v_add_f32_e32 v143, v139, v140
	ds_read_b128 v[139:142], v106 offset:768
	v_add_f32_e32 v107, v107, v108
	v_mul_f32_e32 v108, v132, v179
	v_fma_f32 v108, v131, v180, -v108
	s_waitcnt vmcnt(19)
	v_mul_f32_e32 v144, v137, v185
	v_add_f32_e32 v107, v107, v108
	v_mul_f32_e32 v108, v134, v181
	s_waitcnt vmcnt(18)
	v_fmac_f32_e32 v144, v138, v186
	v_fma_f32 v108, v133, v182, -v108
	v_add_f32_e32 v147, v143, v144
	ds_read_b128 v[143:146], v106 offset:784
	v_add_f32_e32 v107, v107, v108
	v_mul_f32_e32 v108, v136, v183
	s_waitcnt vmcnt(17) lgkmcnt(1)
	v_mul_f32_e32 v148, v139, v187
	v_fma_f32 v108, v135, v184, -v108
	s_waitcnt vmcnt(16)
	v_fmac_f32_e32 v148, v140, v188
	v_add_f32_e32 v107, v107, v108
	v_mul_f32_e32 v108, v138, v185
	v_add_f32_e32 v147, v147, v148
	s_waitcnt vmcnt(15)
	v_mul_f32_e32 v148, v141, v189
	v_fma_f32 v108, v137, v186, -v108
	s_waitcnt vmcnt(14)
	v_fmac_f32_e32 v148, v142, v190
	v_add_f32_e32 v107, v107, v108
	v_mul_f32_e32 v108, v140, v187
	v_add_f32_e32 v147, v147, v148
	s_waitcnt vmcnt(13) lgkmcnt(0)
	v_mul_f32_e32 v148, v143, v191
	v_fma_f32 v108, v139, v188, -v108
	s_waitcnt vmcnt(12)
	v_fmac_f32_e32 v148, v144, v192
	v_add_f32_e32 v107, v107, v108
	v_mul_f32_e32 v108, v142, v189
	v_add_f32_e32 v151, v147, v148
	ds_read_b128 v[147:150], v106 offset:800
	v_fma_f32 v108, v141, v190, -v108
	v_add_f32_e32 v107, v107, v108
	v_mul_f32_e32 v108, v144, v191
	s_waitcnt vmcnt(11)
	v_mul_f32_e32 v152, v145, v193
	v_fma_f32 v108, v143, v192, -v108
	s_waitcnt vmcnt(10)
	v_fmac_f32_e32 v152, v146, v194
	v_add_f32_e32 v107, v107, v108
	v_mul_f32_e32 v108, v146, v193
	v_add_f32_e32 v205, v151, v152
	ds_read_b128 v[151:154], v106 offset:816
	v_fma_f32 v108, v145, v194, -v108
	v_add_f32_e32 v107, v107, v108
	s_waitcnt vmcnt(7) lgkmcnt(1)
	v_mul_f32_e32 v108, v148, v197
	v_mul_f32_e32 v106, v147, v197
	s_waitcnt vmcnt(6)
	v_fma_f32 v108, v147, v198, -v108
	v_fmac_f32_e32 v106, v148, v198
	v_add_f32_e32 v107, v107, v108
	s_waitcnt vmcnt(4)
	v_mul_f32_e32 v108, v150, v200
	v_add_f32_e32 v106, v205, v106
	v_mul_f32_e32 v205, v149, v200
	v_fma_f32 v108, v149, v199, -v108
	v_fmac_f32_e32 v205, v150, v199
	v_add_f32_e32 v107, v107, v108
	s_waitcnt vmcnt(2) lgkmcnt(0)
	v_mul_f32_e32 v108, v152, v202
	v_add_f32_e32 v106, v106, v205
	v_mul_f32_e32 v205, v151, v202
	v_fma_f32 v108, v151, v201, -v108
	v_fmac_f32_e32 v205, v152, v201
	v_add_f32_e32 v107, v107, v108
	s_waitcnt vmcnt(0)
	v_mul_f32_e32 v108, v154, v204
	v_add_f32_e32 v106, v106, v205
	v_mul_f32_e32 v205, v153, v204
	v_fma_f32 v108, v153, v203, -v108
	v_fmac_f32_e32 v205, v154, v203
	v_add_f32_e32 v107, v107, v108
	v_add_f32_e32 v106, v106, v205
	v_sub_f32_e32 v107, v195, v107
	v_sub_f32_e32 v106, v196, v106
	buffer_store_dword v107, off, s[0:3], 0 offset:216
	buffer_store_dword v106, off, s[0:3], 0 offset:220
	s_and_saveexec_b64 s[4:5], vcc
	s_cbranch_execz .LBB51_273
; %bb.272:
	buffer_load_dword v106, off, s[0:3], 0 offset:208
	buffer_load_dword v107, off, s[0:3], 0 offset:212
	v_mov_b32_e32 v108, 0
	buffer_store_dword v108, off, s[0:3], 0 offset:208
	buffer_store_dword v108, off, s[0:3], 0 offset:212
	s_waitcnt vmcnt(2)
	ds_write_b64 v105, v[106:107]
.LBB51_273:
	s_or_b64 exec, exec, s[4:5]
	s_waitcnt lgkmcnt(0)
	; wave barrier
	buffer_load_dword v157, off, s[0:3], 0 offset:220
	buffer_load_dword v158, off, s[0:3], 0 offset:228
	;; [unrolled: 1-line block ×52, first 2 shown]
	v_mov_b32_e32 v106, 0
	ds_read2_b64 v[107:110], v106 offset0:79 offset1:80
	ds_read2_b64 v[111:114], v106 offset0:81 offset1:82
	;; [unrolled: 1-line block ×6, first 2 shown]
	v_cmp_lt_u32_e32 vcc, 25, v0
	s_waitcnt vmcnt(51) lgkmcnt(5)
	v_mul_f32_e32 v131, v107, v157
	s_waitcnt vmcnt(50)
	v_mul_f32_e32 v132, v109, v158
	s_waitcnt vmcnt(49) lgkmcnt(4)
	v_mul_f32_e32 v133, v111, v159
	s_waitcnt vmcnt(48)
	v_mul_f32_e32 v134, v113, v160
	;; [unrolled: 4-line block ×5, first 2 shown]
	s_waitcnt vmcnt(41) lgkmcnt(0)
	v_mul_f32_e32 v141, v127, v167
	s_waitcnt vmcnt(40)
	v_fmac_f32_e32 v131, v108, v168
	v_mul_f32_e32 v108, v108, v157
	s_waitcnt vmcnt(39)
	v_fmac_f32_e32 v132, v110, v169
	v_add_f32_e32 v131, 0, v131
	v_fma_f32 v107, v107, v168, -v108
	v_mul_f32_e32 v108, v110, v158
	s_waitcnt vmcnt(38)
	v_fmac_f32_e32 v133, v112, v170
	v_add_f32_e32 v131, v131, v132
	v_add_f32_e32 v107, 0, v107
	v_fma_f32 v108, v109, v169, -v108
	s_waitcnt vmcnt(37)
	v_fmac_f32_e32 v134, v114, v171
	v_add_f32_e32 v131, v131, v133
	v_add_f32_e32 v107, v107, v108
	v_mul_f32_e32 v108, v112, v159
	s_waitcnt vmcnt(36)
	v_fmac_f32_e32 v135, v116, v172
	v_add_f32_e32 v131, v131, v134
	v_fma_f32 v108, v111, v170, -v108
	s_waitcnt vmcnt(35)
	v_fmac_f32_e32 v136, v118, v173
	v_add_f32_e32 v131, v131, v135
	v_add_f32_e32 v107, v107, v108
	v_mul_f32_e32 v108, v114, v160
	s_waitcnt vmcnt(34)
	v_fmac_f32_e32 v137, v120, v174
	;; [unrolled: 9-line block ×3, first 2 shown]
	v_add_f32_e32 v131, v131, v138
	v_fma_f32 v108, v115, v172, -v108
	s_waitcnt vmcnt(31)
	v_fmac_f32_e32 v140, v126, v177
	v_add_f32_e32 v131, v131, v139
	v_add_f32_e32 v107, v107, v108
	v_mul_f32_e32 v108, v118, v162
	v_add_f32_e32 v131, v131, v140
	s_waitcnt vmcnt(30)
	v_fmac_f32_e32 v141, v128, v178
	v_fma_f32 v108, v117, v173, -v108
	v_add_f32_e32 v135, v131, v141
	ds_read2_b64 v[131:134], v106 offset0:91 offset1:92
	v_add_f32_e32 v107, v107, v108
	v_mul_f32_e32 v108, v120, v163
	v_fma_f32 v108, v119, v174, -v108
	s_waitcnt vmcnt(29)
	v_mul_f32_e32 v136, v129, v179
	v_add_f32_e32 v107, v107, v108
	v_mul_f32_e32 v108, v122, v164
	s_waitcnt vmcnt(28)
	v_fmac_f32_e32 v136, v130, v180
	v_fma_f32 v108, v121, v175, -v108
	v_add_f32_e32 v139, v135, v136
	ds_read2_b64 v[135:138], v106 offset0:93 offset1:94
	v_add_f32_e32 v107, v107, v108
	v_mul_f32_e32 v108, v124, v165
	s_waitcnt vmcnt(27) lgkmcnt(1)
	v_mul_f32_e32 v140, v131, v181
	v_fma_f32 v108, v123, v176, -v108
	s_waitcnt vmcnt(26)
	v_fmac_f32_e32 v140, v132, v182
	v_add_f32_e32 v107, v107, v108
	v_mul_f32_e32 v108, v126, v166
	v_add_f32_e32 v139, v139, v140
	s_waitcnt vmcnt(25)
	v_mul_f32_e32 v140, v133, v183
	v_fma_f32 v108, v125, v177, -v108
	s_waitcnt vmcnt(24)
	v_fmac_f32_e32 v140, v134, v184
	v_add_f32_e32 v107, v107, v108
	v_mul_f32_e32 v108, v128, v167
	v_add_f32_e32 v139, v139, v140
	s_waitcnt vmcnt(23) lgkmcnt(0)
	v_mul_f32_e32 v140, v135, v185
	v_fma_f32 v108, v127, v178, -v108
	s_waitcnt vmcnt(22)
	v_fmac_f32_e32 v140, v136, v186
	v_add_f32_e32 v107, v107, v108
	v_mul_f32_e32 v108, v130, v179
	v_add_f32_e32 v143, v139, v140
	ds_read2_b64 v[139:142], v106 offset0:95 offset1:96
	v_fma_f32 v108, v129, v180, -v108
	v_add_f32_e32 v107, v107, v108
	v_mul_f32_e32 v108, v132, v181
	s_waitcnt vmcnt(21)
	v_mul_f32_e32 v144, v137, v187
	v_fma_f32 v108, v131, v182, -v108
	s_waitcnt vmcnt(20)
	v_fmac_f32_e32 v144, v138, v188
	v_add_f32_e32 v107, v107, v108
	v_mul_f32_e32 v108, v134, v183
	v_add_f32_e32 v147, v143, v144
	ds_read2_b64 v[143:146], v106 offset0:97 offset1:98
	v_fma_f32 v108, v133, v184, -v108
	s_waitcnt vmcnt(19) lgkmcnt(1)
	v_mul_f32_e32 v148, v139, v189
	v_add_f32_e32 v107, v107, v108
	v_mul_f32_e32 v108, v136, v185
	s_waitcnt vmcnt(18)
	v_fmac_f32_e32 v148, v140, v190
	v_fma_f32 v108, v135, v186, -v108
	v_add_f32_e32 v147, v147, v148
	s_waitcnt vmcnt(17)
	v_mul_f32_e32 v148, v141, v191
	v_add_f32_e32 v107, v107, v108
	v_mul_f32_e32 v108, v138, v187
	s_waitcnt vmcnt(16)
	v_fmac_f32_e32 v148, v142, v192
	v_fma_f32 v108, v137, v188, -v108
	v_add_f32_e32 v147, v147, v148
	s_waitcnt vmcnt(14) lgkmcnt(0)
	v_mul_f32_e32 v148, v143, v194
	v_add_f32_e32 v107, v107, v108
	v_mul_f32_e32 v108, v140, v189
	v_fmac_f32_e32 v148, v144, v193
	v_fma_f32 v108, v139, v190, -v108
	v_add_f32_e32 v151, v147, v148
	ds_read2_b64 v[147:150], v106 offset0:99 offset1:100
	v_add_f32_e32 v107, v107, v108
	v_mul_f32_e32 v108, v142, v191
	v_fma_f32 v108, v141, v192, -v108
	v_add_f32_e32 v107, v107, v108
	v_mul_f32_e32 v108, v144, v194
	s_waitcnt vmcnt(11)
	v_mul_f32_e32 v152, v145, v197
	v_fma_f32 v108, v143, v193, -v108
	s_waitcnt vmcnt(10)
	v_fmac_f32_e32 v152, v146, v198
	v_add_f32_e32 v107, v107, v108
	v_mul_f32_e32 v108, v146, v197
	v_add_f32_e32 v155, v151, v152
	ds_read2_b64 v[151:154], v106 offset0:101 offset1:102
	s_waitcnt vmcnt(8) lgkmcnt(1)
	v_mul_f32_e32 v156, v147, v200
	v_fma_f32 v108, v145, v198, -v108
	v_fmac_f32_e32 v156, v148, v199
	v_add_f32_e32 v107, v107, v108
	v_mul_f32_e32 v108, v148, v200
	v_add_f32_e32 v155, v155, v156
	s_waitcnt vmcnt(6)
	v_mul_f32_e32 v156, v149, v202
	v_fma_f32 v108, v147, v199, -v108
	v_fmac_f32_e32 v156, v150, v201
	v_add_f32_e32 v107, v107, v108
	v_mul_f32_e32 v108, v150, v202
	v_add_f32_e32 v209, v155, v156
	ds_read_b64 v[155:156], v106 offset:824
	v_fma_f32 v108, v149, v201, -v108
	v_add_f32_e32 v107, v107, v108
	s_waitcnt vmcnt(4) lgkmcnt(1)
	v_mul_f32_e32 v108, v152, v204
	v_mul_f32_e32 v210, v151, v204
	v_fma_f32 v108, v151, v203, -v108
	v_fmac_f32_e32 v210, v152, v203
	v_add_f32_e32 v107, v107, v108
	s_waitcnt vmcnt(2)
	v_mul_f32_e32 v108, v154, v206
	v_add_f32_e32 v209, v209, v210
	v_mul_f32_e32 v210, v153, v206
	v_fma_f32 v108, v153, v205, -v108
	v_fmac_f32_e32 v210, v154, v205
	v_add_f32_e32 v107, v107, v108
	s_waitcnt vmcnt(0) lgkmcnt(0)
	v_mul_f32_e32 v108, v156, v208
	v_add_f32_e32 v209, v209, v210
	v_mul_f32_e32 v210, v155, v208
	v_fma_f32 v108, v155, v207, -v108
	v_fmac_f32_e32 v210, v156, v207
	v_add_f32_e32 v107, v107, v108
	v_add_f32_e32 v209, v209, v210
	v_sub_f32_e32 v107, v195, v107
	v_sub_f32_e32 v108, v196, v209
	buffer_store_dword v107, off, s[0:3], 0 offset:208
	buffer_store_dword v108, off, s[0:3], 0 offset:212
	s_and_saveexec_b64 s[4:5], vcc
	s_cbranch_execz .LBB51_275
; %bb.274:
	buffer_load_dword v107, off, s[0:3], 0 offset:200
	buffer_load_dword v108, off, s[0:3], 0 offset:204
	s_waitcnt vmcnt(0)
	ds_write_b64 v105, v[107:108]
	buffer_store_dword v106, off, s[0:3], 0 offset:200
	buffer_store_dword v106, off, s[0:3], 0 offset:204
.LBB51_275:
	s_or_b64 exec, exec, s[4:5]
	s_waitcnt lgkmcnt(0)
	; wave barrier
	buffer_load_dword v159, off, s[0:3], 0 offset:212
	buffer_load_dword v160, off, s[0:3], 0 offset:220
	;; [unrolled: 1-line block ×42, first 2 shown]
	ds_read_b128 v[107:110], v106 offset:624
	ds_read_b128 v[111:114], v106 offset:640
	;; [unrolled: 1-line block ×4, first 2 shown]
	buffer_load_dword v201, off, s[0:3], 0 offset:372
	buffer_load_dword v202, off, s[0:3], 0 offset:368
	buffer_load_dword v203, off, s[0:3], 0 offset:376
	buffer_load_dword v204, off, s[0:3], 0 offset:380
	buffer_load_dword v205, off, s[0:3], 0 offset:384
	buffer_load_dword v206, off, s[0:3], 0 offset:388
	ds_read_b128 v[123:126], v106 offset:688
	ds_read_b128 v[127:130], v106 offset:704
	buffer_load_dword v207, off, s[0:3], 0 offset:392
	buffer_load_dword v208, off, s[0:3], 0 offset:396
	;; [unrolled: 1-line block ×6, first 2 shown]
	v_cmp_lt_u32_e32 vcc, 24, v0
	s_waitcnt vmcnt(53) lgkmcnt(5)
	v_mul_f32_e32 v131, v107, v159
	s_waitcnt vmcnt(52)
	v_mul_f32_e32 v132, v109, v160
	s_waitcnt vmcnt(51) lgkmcnt(4)
	v_mul_f32_e32 v133, v111, v161
	s_waitcnt vmcnt(50)
	v_mul_f32_e32 v134, v113, v162
	;; [unrolled: 4-line block ×5, first 2 shown]
	s_waitcnt vmcnt(43)
	v_fmac_f32_e32 v131, v108, v169
	v_mul_f32_e32 v108, v108, v159
	s_waitcnt vmcnt(42)
	v_fmac_f32_e32 v132, v110, v170
	v_add_f32_e32 v131, 0, v131
	v_fma_f32 v107, v107, v169, -v108
	v_mul_f32_e32 v108, v110, v160
	s_waitcnt vmcnt(41)
	v_fmac_f32_e32 v133, v112, v171
	v_add_f32_e32 v131, v131, v132
	v_add_f32_e32 v107, 0, v107
	v_fma_f32 v108, v109, v170, -v108
	s_waitcnt vmcnt(40)
	v_fmac_f32_e32 v134, v114, v172
	v_add_f32_e32 v131, v131, v133
	v_add_f32_e32 v107, v107, v108
	v_mul_f32_e32 v108, v112, v161
	s_waitcnt vmcnt(39)
	v_fmac_f32_e32 v135, v116, v173
	v_add_f32_e32 v131, v131, v134
	v_fma_f32 v108, v111, v171, -v108
	s_waitcnt vmcnt(38)
	v_fmac_f32_e32 v136, v118, v174
	v_add_f32_e32 v131, v131, v135
	v_add_f32_e32 v107, v107, v108
	v_mul_f32_e32 v108, v114, v162
	s_waitcnt vmcnt(37)
	v_fmac_f32_e32 v137, v120, v175
	;; [unrolled: 9-line block ×3, first 2 shown]
	v_add_f32_e32 v131, v131, v138
	v_fma_f32 v108, v115, v173, -v108
	s_waitcnt vmcnt(34)
	v_fmac_f32_e32 v140, v126, v178
	v_add_f32_e32 v131, v131, v139
	s_waitcnt vmcnt(33) lgkmcnt(0)
	v_mul_f32_e32 v132, v127, v179
	v_add_f32_e32 v107, v107, v108
	v_mul_f32_e32 v108, v118, v164
	v_add_f32_e32 v131, v131, v140
	s_waitcnt vmcnt(32)
	v_fmac_f32_e32 v132, v128, v180
	v_fma_f32 v108, v117, v174, -v108
	v_add_f32_e32 v135, v131, v132
	ds_read_b128 v[131:134], v106 offset:720
	v_add_f32_e32 v107, v107, v108
	v_mul_f32_e32 v108, v120, v165
	v_fma_f32 v108, v119, v175, -v108
	s_waitcnt vmcnt(31)
	v_mul_f32_e32 v136, v129, v181
	v_add_f32_e32 v107, v107, v108
	v_mul_f32_e32 v108, v122, v166
	s_waitcnt vmcnt(30)
	v_fmac_f32_e32 v136, v130, v182
	v_fma_f32 v108, v121, v176, -v108
	v_add_f32_e32 v139, v135, v136
	ds_read_b128 v[135:138], v106 offset:736
	v_add_f32_e32 v107, v107, v108
	v_mul_f32_e32 v108, v124, v167
	s_waitcnt vmcnt(29) lgkmcnt(1)
	v_mul_f32_e32 v140, v131, v183
	v_fma_f32 v108, v123, v177, -v108
	s_waitcnt vmcnt(28)
	v_fmac_f32_e32 v140, v132, v184
	v_add_f32_e32 v107, v107, v108
	v_mul_f32_e32 v108, v126, v168
	v_add_f32_e32 v139, v139, v140
	s_waitcnt vmcnt(27)
	v_mul_f32_e32 v140, v133, v185
	v_fma_f32 v108, v125, v178, -v108
	s_waitcnt vmcnt(26)
	v_fmac_f32_e32 v140, v134, v186
	v_add_f32_e32 v107, v107, v108
	v_mul_f32_e32 v108, v128, v179
	v_add_f32_e32 v139, v139, v140
	s_waitcnt vmcnt(25) lgkmcnt(0)
	v_mul_f32_e32 v140, v135, v187
	v_fma_f32 v108, v127, v180, -v108
	s_waitcnt vmcnt(24)
	v_fmac_f32_e32 v140, v136, v188
	v_add_f32_e32 v107, v107, v108
	v_mul_f32_e32 v108, v130, v181
	v_add_f32_e32 v143, v139, v140
	ds_read_b128 v[139:142], v106 offset:752
	v_fma_f32 v108, v129, v182, -v108
	v_add_f32_e32 v107, v107, v108
	v_mul_f32_e32 v108, v132, v183
	s_waitcnt vmcnt(23)
	v_mul_f32_e32 v144, v137, v189
	v_fma_f32 v108, v131, v184, -v108
	s_waitcnt vmcnt(22)
	v_fmac_f32_e32 v144, v138, v190
	v_add_f32_e32 v107, v107, v108
	v_mul_f32_e32 v108, v134, v185
	v_add_f32_e32 v147, v143, v144
	ds_read_b128 v[143:146], v106 offset:768
	v_fma_f32 v108, v133, v186, -v108
	s_waitcnt vmcnt(21) lgkmcnt(1)
	v_mul_f32_e32 v148, v139, v191
	v_add_f32_e32 v107, v107, v108
	v_mul_f32_e32 v108, v136, v187
	s_waitcnt vmcnt(20)
	v_fmac_f32_e32 v148, v140, v192
	v_fma_f32 v108, v135, v188, -v108
	v_add_f32_e32 v147, v147, v148
	s_waitcnt vmcnt(18)
	v_mul_f32_e32 v148, v141, v194
	v_add_f32_e32 v107, v107, v108
	v_mul_f32_e32 v108, v138, v189
	v_fmac_f32_e32 v148, v142, v193
	v_fma_f32 v108, v137, v190, -v108
	v_add_f32_e32 v147, v147, v148
	s_waitcnt vmcnt(15) lgkmcnt(0)
	v_mul_f32_e32 v148, v143, v197
	v_add_f32_e32 v107, v107, v108
	v_mul_f32_e32 v108, v140, v191
	s_waitcnt vmcnt(14)
	v_fmac_f32_e32 v148, v144, v198
	v_fma_f32 v108, v139, v192, -v108
	v_add_f32_e32 v151, v147, v148
	ds_read_b128 v[147:150], v106 offset:784
	v_add_f32_e32 v107, v107, v108
	v_mul_f32_e32 v108, v142, v194
	v_fma_f32 v108, v141, v193, -v108
	v_add_f32_e32 v107, v107, v108
	v_mul_f32_e32 v108, v144, v197
	s_waitcnt vmcnt(12)
	v_mul_f32_e32 v152, v145, v200
	v_fma_f32 v108, v143, v198, -v108
	v_fmac_f32_e32 v152, v146, v199
	v_add_f32_e32 v107, v107, v108
	v_mul_f32_e32 v108, v146, v200
	v_add_f32_e32 v155, v151, v152
	ds_read_b128 v[151:154], v106 offset:800
	s_waitcnt vmcnt(11) lgkmcnt(1)
	v_mul_f32_e32 v156, v147, v201
	v_fma_f32 v108, v145, v199, -v108
	s_waitcnt vmcnt(10)
	v_fmac_f32_e32 v156, v148, v202
	v_add_f32_e32 v107, v107, v108
	v_mul_f32_e32 v108, v148, v201
	v_add_f32_e32 v155, v155, v156
	s_waitcnt vmcnt(8)
	v_mul_f32_e32 v156, v149, v204
	v_fma_f32 v108, v147, v202, -v108
	v_fmac_f32_e32 v156, v150, v203
	v_add_f32_e32 v107, v107, v108
	v_mul_f32_e32 v108, v150, v204
	v_add_f32_e32 v213, v155, v156
	ds_read_b128 v[155:158], v106 offset:816
	v_fma_f32 v108, v149, v203, -v108
	v_add_f32_e32 v107, v107, v108
	s_waitcnt vmcnt(6) lgkmcnt(1)
	v_mul_f32_e32 v108, v152, v206
	v_mul_f32_e32 v214, v151, v206
	v_fma_f32 v108, v151, v205, -v108
	v_fmac_f32_e32 v214, v152, v205
	v_add_f32_e32 v107, v107, v108
	s_waitcnt vmcnt(4)
	v_mul_f32_e32 v108, v154, v208
	v_add_f32_e32 v106, v213, v214
	v_mul_f32_e32 v213, v153, v208
	v_fma_f32 v108, v153, v207, -v108
	v_fmac_f32_e32 v213, v154, v207
	v_add_f32_e32 v107, v107, v108
	s_waitcnt vmcnt(2) lgkmcnt(0)
	v_mul_f32_e32 v108, v156, v210
	v_add_f32_e32 v106, v106, v213
	v_mul_f32_e32 v213, v155, v210
	v_fma_f32 v108, v155, v209, -v108
	v_fmac_f32_e32 v213, v156, v209
	v_add_f32_e32 v107, v107, v108
	s_waitcnt vmcnt(0)
	v_mul_f32_e32 v108, v158, v212
	v_add_f32_e32 v106, v106, v213
	v_mul_f32_e32 v213, v157, v212
	v_fma_f32 v108, v157, v211, -v108
	v_fmac_f32_e32 v213, v158, v211
	v_add_f32_e32 v107, v107, v108
	v_add_f32_e32 v106, v106, v213
	v_sub_f32_e32 v107, v195, v107
	v_sub_f32_e32 v106, v196, v106
	buffer_store_dword v107, off, s[0:3], 0 offset:200
	buffer_store_dword v106, off, s[0:3], 0 offset:204
	s_and_saveexec_b64 s[4:5], vcc
	s_cbranch_execz .LBB51_277
; %bb.276:
	buffer_load_dword v106, off, s[0:3], 0 offset:192
	buffer_load_dword v107, off, s[0:3], 0 offset:196
	v_mov_b32_e32 v108, 0
	buffer_store_dword v108, off, s[0:3], 0 offset:192
	buffer_store_dword v108, off, s[0:3], 0 offset:196
	s_waitcnt vmcnt(2)
	ds_write_b64 v105, v[106:107]
.LBB51_277:
	s_or_b64 exec, exec, s[4:5]
	s_waitcnt lgkmcnt(0)
	; wave barrier
	buffer_load_dword v161, off, s[0:3], 0 offset:204
	buffer_load_dword v162, off, s[0:3], 0 offset:212
	;; [unrolled: 1-line block ×56, first 2 shown]
	v_mov_b32_e32 v106, 0
	ds_read2_b64 v[107:110], v106 offset0:77 offset1:78
	ds_read2_b64 v[111:114], v106 offset0:79 offset1:80
	;; [unrolled: 1-line block ×6, first 2 shown]
	v_cmp_lt_u32_e32 vcc, 23, v0
	s_waitcnt vmcnt(55) lgkmcnt(5)
	v_mul_f32_e32 v131, v107, v161
	s_waitcnt vmcnt(54)
	v_mul_f32_e32 v132, v109, v162
	s_waitcnt vmcnt(53) lgkmcnt(4)
	v_mul_f32_e32 v133, v111, v163
	s_waitcnt vmcnt(52)
	v_mul_f32_e32 v134, v113, v164
	;; [unrolled: 4-line block ×4, first 2 shown]
	s_waitcnt vmcnt(47) lgkmcnt(1)
	v_mul_f32_e32 v139, v123, v169
	s_waitcnt vmcnt(46)
	v_fmac_f32_e32 v131, v108, v170
	s_waitcnt vmcnt(45)
	v_fmac_f32_e32 v132, v110, v171
	v_add_f32_e32 v131, 0, v131
	s_waitcnt vmcnt(44)
	v_fmac_f32_e32 v133, v112, v172
	v_add_f32_e32 v131, v131, v132
	;; [unrolled: 3-line block ×3, first 2 shown]
	v_mul_f32_e32 v108, v108, v161
	s_waitcnt vmcnt(42)
	v_fmac_f32_e32 v135, v116, v174
	v_add_f32_e32 v131, v131, v134
	v_fma_f32 v107, v107, v170, -v108
	v_mul_f32_e32 v108, v110, v162
	s_waitcnt vmcnt(41)
	v_fmac_f32_e32 v136, v118, v175
	v_add_f32_e32 v131, v131, v135
	v_add_f32_e32 v107, 0, v107
	v_fma_f32 v108, v109, v171, -v108
	s_waitcnt vmcnt(40)
	v_fmac_f32_e32 v137, v120, v176
	v_add_f32_e32 v131, v131, v136
	v_add_f32_e32 v107, v107, v108
	v_mul_f32_e32 v108, v112, v163
	s_waitcnt vmcnt(39)
	v_fmac_f32_e32 v138, v122, v177
	v_add_f32_e32 v131, v131, v137
	v_fma_f32 v108, v111, v172, -v108
	v_add_f32_e32 v131, v131, v138
	s_waitcnt vmcnt(38)
	v_fmac_f32_e32 v139, v124, v178
	s_waitcnt vmcnt(37)
	v_mul_f32_e32 v132, v125, v179
	v_add_f32_e32 v107, v107, v108
	v_mul_f32_e32 v108, v114, v164
	v_add_f32_e32 v131, v131, v139
	s_waitcnt vmcnt(36)
	v_fmac_f32_e32 v132, v126, v180
	v_fma_f32 v108, v113, v173, -v108
	v_add_f32_e32 v131, v131, v132
	s_waitcnt vmcnt(35) lgkmcnt(0)
	v_mul_f32_e32 v132, v127, v181
	v_add_f32_e32 v107, v107, v108
	v_mul_f32_e32 v108, v116, v165
	s_waitcnt vmcnt(34)
	v_fmac_f32_e32 v132, v128, v182
	v_fma_f32 v108, v115, v174, -v108
	v_add_f32_e32 v135, v131, v132
	ds_read2_b64 v[131:134], v106 offset0:89 offset1:90
	v_add_f32_e32 v107, v107, v108
	v_mul_f32_e32 v108, v118, v166
	v_fma_f32 v108, v117, v175, -v108
	s_waitcnt vmcnt(33)
	v_mul_f32_e32 v136, v129, v183
	v_add_f32_e32 v107, v107, v108
	v_mul_f32_e32 v108, v120, v167
	s_waitcnt vmcnt(32)
	v_fmac_f32_e32 v136, v130, v184
	v_fma_f32 v108, v119, v176, -v108
	v_add_f32_e32 v139, v135, v136
	ds_read2_b64 v[135:138], v106 offset0:91 offset1:92
	v_add_f32_e32 v107, v107, v108
	v_mul_f32_e32 v108, v122, v168
	s_waitcnt vmcnt(31) lgkmcnt(1)
	v_mul_f32_e32 v140, v131, v185
	v_fma_f32 v108, v121, v177, -v108
	s_waitcnt vmcnt(30)
	v_fmac_f32_e32 v140, v132, v186
	v_add_f32_e32 v107, v107, v108
	v_mul_f32_e32 v108, v124, v169
	v_add_f32_e32 v139, v139, v140
	s_waitcnt vmcnt(29)
	v_mul_f32_e32 v140, v133, v187
	v_fma_f32 v108, v123, v178, -v108
	s_waitcnt vmcnt(28)
	v_fmac_f32_e32 v140, v134, v188
	v_add_f32_e32 v107, v107, v108
	v_mul_f32_e32 v108, v126, v179
	v_add_f32_e32 v139, v139, v140
	s_waitcnt vmcnt(27) lgkmcnt(0)
	v_mul_f32_e32 v140, v135, v189
	v_fma_f32 v108, v125, v180, -v108
	s_waitcnt vmcnt(26)
	v_fmac_f32_e32 v140, v136, v190
	v_add_f32_e32 v107, v107, v108
	v_mul_f32_e32 v108, v128, v181
	v_add_f32_e32 v143, v139, v140
	ds_read2_b64 v[139:142], v106 offset0:93 offset1:94
	v_fma_f32 v108, v127, v182, -v108
	v_add_f32_e32 v107, v107, v108
	v_mul_f32_e32 v108, v130, v183
	s_waitcnt vmcnt(24)
	v_mul_f32_e32 v144, v137, v192
	v_fma_f32 v108, v129, v184, -v108
	v_fmac_f32_e32 v144, v138, v191
	v_add_f32_e32 v107, v107, v108
	v_mul_f32_e32 v108, v132, v185
	v_add_f32_e32 v147, v143, v144
	ds_read2_b64 v[143:146], v106 offset0:95 offset1:96
	v_fma_f32 v108, v131, v186, -v108
	s_waitcnt vmcnt(21) lgkmcnt(1)
	v_mul_f32_e32 v148, v139, v195
	v_add_f32_e32 v107, v107, v108
	v_mul_f32_e32 v108, v134, v187
	s_waitcnt vmcnt(20)
	v_fmac_f32_e32 v148, v140, v196
	v_fma_f32 v108, v133, v188, -v108
	v_add_f32_e32 v147, v147, v148
	s_waitcnt vmcnt(18)
	v_mul_f32_e32 v148, v141, v198
	v_add_f32_e32 v107, v107, v108
	v_mul_f32_e32 v108, v136, v189
	v_fmac_f32_e32 v148, v142, v197
	v_fma_f32 v108, v135, v190, -v108
	v_add_f32_e32 v147, v147, v148
	s_waitcnt vmcnt(16) lgkmcnt(0)
	v_mul_f32_e32 v148, v143, v200
	v_add_f32_e32 v107, v107, v108
	v_mul_f32_e32 v108, v138, v192
	v_fmac_f32_e32 v148, v144, v199
	v_fma_f32 v108, v137, v191, -v108
	v_add_f32_e32 v151, v147, v148
	ds_read2_b64 v[147:150], v106 offset0:97 offset1:98
	v_add_f32_e32 v107, v107, v108
	v_mul_f32_e32 v108, v140, v195
	v_fma_f32 v108, v139, v196, -v108
	s_waitcnt vmcnt(14)
	v_mul_f32_e32 v152, v145, v202
	v_add_f32_e32 v107, v107, v108
	v_mul_f32_e32 v108, v142, v198
	v_fmac_f32_e32 v152, v146, v201
	v_fma_f32 v108, v141, v197, -v108
	v_add_f32_e32 v155, v151, v152
	ds_read2_b64 v[151:154], v106 offset0:99 offset1:100
	v_add_f32_e32 v107, v107, v108
	v_mul_f32_e32 v108, v144, v200
	s_waitcnt vmcnt(12) lgkmcnt(1)
	v_mul_f32_e32 v156, v147, v204
	v_fma_f32 v108, v143, v199, -v108
	v_fmac_f32_e32 v156, v148, v203
	v_add_f32_e32 v107, v107, v108
	v_mul_f32_e32 v108, v146, v202
	v_add_f32_e32 v155, v155, v156
	s_waitcnt vmcnt(10)
	v_mul_f32_e32 v156, v149, v206
	v_fma_f32 v108, v145, v201, -v108
	v_fmac_f32_e32 v156, v150, v205
	v_add_f32_e32 v107, v107, v108
	v_mul_f32_e32 v108, v148, v204
	v_add_f32_e32 v155, v155, v156
	s_waitcnt vmcnt(8) lgkmcnt(0)
	v_mul_f32_e32 v156, v151, v208
	v_fma_f32 v108, v147, v203, -v108
	v_fmac_f32_e32 v156, v152, v207
	v_add_f32_e32 v107, v107, v108
	v_mul_f32_e32 v108, v150, v206
	v_add_f32_e32 v159, v155, v156
	ds_read2_b64 v[155:158], v106 offset0:101 offset1:102
	v_fma_f32 v108, v149, v205, -v108
	v_add_f32_e32 v107, v107, v108
	v_mul_f32_e32 v108, v152, v208
	s_waitcnt vmcnt(6)
	v_mul_f32_e32 v160, v153, v210
	v_fma_f32 v108, v151, v207, -v108
	v_fmac_f32_e32 v160, v154, v209
	v_add_f32_e32 v107, v107, v108
	v_mul_f32_e32 v108, v154, v210
	v_add_f32_e32 v217, v159, v160
	ds_read_b64 v[159:160], v106 offset:824
	v_fma_f32 v108, v153, v209, -v108
	v_add_f32_e32 v107, v107, v108
	s_waitcnt vmcnt(4) lgkmcnt(1)
	v_mul_f32_e32 v108, v156, v212
	v_mul_f32_e32 v218, v155, v212
	v_fma_f32 v108, v155, v211, -v108
	v_fmac_f32_e32 v218, v156, v211
	v_add_f32_e32 v107, v107, v108
	s_waitcnt vmcnt(2)
	v_mul_f32_e32 v108, v158, v214
	v_add_f32_e32 v217, v217, v218
	v_mul_f32_e32 v218, v157, v214
	v_fma_f32 v108, v157, v213, -v108
	v_fmac_f32_e32 v218, v158, v213
	v_add_f32_e32 v107, v107, v108
	s_waitcnt vmcnt(0) lgkmcnt(0)
	v_mul_f32_e32 v108, v160, v216
	v_add_f32_e32 v217, v217, v218
	v_mul_f32_e32 v218, v159, v216
	v_fma_f32 v108, v159, v215, -v108
	v_fmac_f32_e32 v218, v160, v215
	v_add_f32_e32 v107, v107, v108
	v_add_f32_e32 v217, v217, v218
	v_sub_f32_e32 v107, v193, v107
	v_sub_f32_e32 v108, v194, v217
	buffer_store_dword v107, off, s[0:3], 0 offset:192
	buffer_store_dword v108, off, s[0:3], 0 offset:196
	s_and_saveexec_b64 s[4:5], vcc
	s_cbranch_execz .LBB51_279
; %bb.278:
	buffer_load_dword v107, off, s[0:3], 0 offset:184
	buffer_load_dword v108, off, s[0:3], 0 offset:188
	s_waitcnt vmcnt(0)
	ds_write_b64 v105, v[107:108]
	buffer_store_dword v106, off, s[0:3], 0 offset:184
	buffer_store_dword v106, off, s[0:3], 0 offset:188
.LBB51_279:
	s_or_b64 exec, exec, s[4:5]
	s_waitcnt lgkmcnt(0)
	; wave barrier
	buffer_load_dword v163, off, s[0:3], 0 offset:196
	buffer_load_dword v164, off, s[0:3], 0 offset:204
	;; [unrolled: 1-line block ×34, first 2 shown]
	ds_read_b128 v[107:110], v106 offset:608
	ds_read_b128 v[111:114], v106 offset:624
	buffer_load_dword v197, off, s[0:3], 0 offset:324
	buffer_load_dword v198, off, s[0:3], 0 offset:320
	;; [unrolled: 1-line block ×6, first 2 shown]
	ds_read_b128 v[115:118], v106 offset:640
	ds_read_b128 v[119:122], v106 offset:656
	ds_read_b128 v[123:126], v106 offset:672
	ds_read_b128 v[127:130], v106 offset:688
	buffer_load_dword v203, off, s[0:3], 0 offset:348
	buffer_load_dword v204, off, s[0:3], 0 offset:344
	;; [unrolled: 1-line block ×18, first 2 shown]
	v_cmp_lt_u32_e32 vcc, 22, v0
	s_waitcnt vmcnt(57) lgkmcnt(5)
	v_mul_f32_e32 v131, v107, v163
	s_waitcnt vmcnt(56)
	v_mul_f32_e32 v132, v109, v164
	s_waitcnt vmcnt(55) lgkmcnt(4)
	v_mul_f32_e32 v133, v111, v165
	s_waitcnt vmcnt(54)
	v_mul_f32_e32 v134, v113, v166
	;; [unrolled: 4-line block ×4, first 2 shown]
	s_waitcnt vmcnt(49)
	v_fmac_f32_e32 v131, v108, v171
	s_waitcnt vmcnt(48)
	v_fmac_f32_e32 v132, v110, v172
	v_add_f32_e32 v131, 0, v131
	s_waitcnt vmcnt(47)
	v_fmac_f32_e32 v133, v112, v173
	v_add_f32_e32 v131, v131, v132
	;; [unrolled: 3-line block ×4, first 2 shown]
	v_mul_f32_e32 v108, v108, v163
	s_waitcnt vmcnt(44)
	v_fmac_f32_e32 v136, v118, v176
	v_add_f32_e32 v131, v131, v135
	v_fma_f32 v107, v107, v171, -v108
	v_mul_f32_e32 v108, v110, v164
	s_waitcnt vmcnt(43)
	v_fmac_f32_e32 v137, v120, v177
	v_add_f32_e32 v131, v131, v136
	v_add_f32_e32 v107, 0, v107
	v_fma_f32 v108, v109, v172, -v108
	s_waitcnt vmcnt(42)
	v_fmac_f32_e32 v138, v122, v178
	v_add_f32_e32 v131, v131, v137
	s_waitcnt vmcnt(41) lgkmcnt(1)
	v_mul_f32_e32 v132, v123, v179
	v_add_f32_e32 v107, v107, v108
	v_mul_f32_e32 v108, v112, v165
	v_add_f32_e32 v131, v131, v138
	s_waitcnt vmcnt(40)
	v_fmac_f32_e32 v132, v124, v180
	v_fma_f32 v108, v111, v173, -v108
	v_add_f32_e32 v131, v131, v132
	s_waitcnt vmcnt(39)
	v_mul_f32_e32 v132, v125, v181
	v_add_f32_e32 v107, v107, v108
	v_mul_f32_e32 v108, v114, v166
	s_waitcnt vmcnt(38)
	v_fmac_f32_e32 v132, v126, v182
	v_fma_f32 v108, v113, v174, -v108
	v_add_f32_e32 v131, v131, v132
	s_waitcnt vmcnt(37) lgkmcnt(0)
	v_mul_f32_e32 v132, v127, v183
	v_add_f32_e32 v107, v107, v108
	v_mul_f32_e32 v108, v116, v167
	s_waitcnt vmcnt(36)
	v_fmac_f32_e32 v132, v128, v184
	v_fma_f32 v108, v115, v175, -v108
	v_add_f32_e32 v135, v131, v132
	ds_read_b128 v[131:134], v106 offset:704
	v_add_f32_e32 v107, v107, v108
	v_mul_f32_e32 v108, v118, v168
	v_fma_f32 v108, v117, v176, -v108
	s_waitcnt vmcnt(35)
	v_mul_f32_e32 v136, v129, v185
	v_add_f32_e32 v107, v107, v108
	v_mul_f32_e32 v108, v120, v169
	s_waitcnt vmcnt(34)
	v_fmac_f32_e32 v136, v130, v186
	v_fma_f32 v108, v119, v177, -v108
	v_add_f32_e32 v139, v135, v136
	ds_read_b128 v[135:138], v106 offset:720
	v_add_f32_e32 v107, v107, v108
	v_mul_f32_e32 v108, v122, v170
	s_waitcnt vmcnt(33) lgkmcnt(1)
	v_mul_f32_e32 v140, v131, v187
	v_fma_f32 v108, v121, v178, -v108
	s_waitcnt vmcnt(32)
	v_fmac_f32_e32 v140, v132, v188
	v_add_f32_e32 v107, v107, v108
	v_mul_f32_e32 v108, v124, v179
	v_add_f32_e32 v139, v139, v140
	s_waitcnt vmcnt(31)
	v_mul_f32_e32 v140, v133, v189
	v_fma_f32 v108, v123, v180, -v108
	s_waitcnt vmcnt(30)
	v_fmac_f32_e32 v140, v134, v190
	v_add_f32_e32 v107, v107, v108
	v_mul_f32_e32 v108, v126, v181
	v_add_f32_e32 v139, v139, v140
	s_waitcnt vmcnt(29) lgkmcnt(0)
	v_mul_f32_e32 v140, v135, v191
	v_fma_f32 v108, v125, v182, -v108
	s_waitcnt vmcnt(28)
	v_fmac_f32_e32 v140, v136, v192
	v_add_f32_e32 v107, v107, v108
	v_mul_f32_e32 v108, v128, v183
	v_add_f32_e32 v143, v139, v140
	ds_read_b128 v[139:142], v106 offset:736
	v_fma_f32 v108, v127, v184, -v108
	v_add_f32_e32 v107, v107, v108
	v_mul_f32_e32 v108, v130, v185
	s_waitcnt vmcnt(25)
	v_mul_f32_e32 v144, v137, v195
	v_fma_f32 v108, v129, v186, -v108
	s_waitcnt vmcnt(24)
	v_fmac_f32_e32 v144, v138, v196
	v_add_f32_e32 v107, v107, v108
	v_mul_f32_e32 v108, v132, v187
	v_add_f32_e32 v147, v143, v144
	ds_read_b128 v[143:146], v106 offset:752
	v_fma_f32 v108, v131, v188, -v108
	s_waitcnt vmcnt(23) lgkmcnt(1)
	v_mul_f32_e32 v148, v139, v197
	v_add_f32_e32 v107, v107, v108
	v_mul_f32_e32 v108, v134, v189
	s_waitcnt vmcnt(22)
	v_fmac_f32_e32 v148, v140, v198
	v_fma_f32 v108, v133, v190, -v108
	v_add_f32_e32 v147, v147, v148
	s_waitcnt vmcnt(20)
	v_mul_f32_e32 v148, v141, v200
	v_add_f32_e32 v107, v107, v108
	v_mul_f32_e32 v108, v136, v191
	v_fmac_f32_e32 v148, v142, v199
	v_fma_f32 v108, v135, v192, -v108
	v_add_f32_e32 v147, v147, v148
	s_waitcnt vmcnt(18) lgkmcnt(0)
	v_mul_f32_e32 v148, v143, v202
	v_add_f32_e32 v107, v107, v108
	v_mul_f32_e32 v108, v138, v195
	v_fmac_f32_e32 v148, v144, v201
	v_fma_f32 v108, v137, v196, -v108
	v_add_f32_e32 v151, v147, v148
	ds_read_b128 v[147:150], v106 offset:768
	v_add_f32_e32 v107, v107, v108
	v_mul_f32_e32 v108, v140, v197
	v_fma_f32 v108, v139, v198, -v108
	s_waitcnt vmcnt(17)
	v_mul_f32_e32 v152, v145, v203
	v_add_f32_e32 v107, v107, v108
	v_mul_f32_e32 v108, v142, v200
	s_waitcnt vmcnt(16)
	v_fmac_f32_e32 v152, v146, v204
	v_fma_f32 v108, v141, v199, -v108
	v_add_f32_e32 v155, v151, v152
	ds_read_b128 v[151:154], v106 offset:784
	v_add_f32_e32 v107, v107, v108
	v_mul_f32_e32 v108, v144, v202
	s_waitcnt vmcnt(14) lgkmcnt(1)
	v_mul_f32_e32 v156, v147, v206
	v_fma_f32 v108, v143, v201, -v108
	v_fmac_f32_e32 v156, v148, v205
	v_add_f32_e32 v107, v107, v108
	v_mul_f32_e32 v108, v146, v203
	v_add_f32_e32 v155, v155, v156
	s_waitcnt vmcnt(12)
	v_mul_f32_e32 v156, v149, v208
	v_fma_f32 v108, v145, v204, -v108
	v_fmac_f32_e32 v156, v150, v207
	v_add_f32_e32 v107, v107, v108
	v_mul_f32_e32 v108, v148, v206
	v_add_f32_e32 v155, v155, v156
	s_waitcnt vmcnt(10) lgkmcnt(0)
	v_mul_f32_e32 v156, v151, v210
	v_fma_f32 v108, v147, v205, -v108
	v_fmac_f32_e32 v156, v152, v209
	v_add_f32_e32 v107, v107, v108
	v_mul_f32_e32 v108, v150, v208
	v_add_f32_e32 v159, v155, v156
	ds_read_b128 v[155:158], v106 offset:800
	v_fma_f32 v108, v149, v207, -v108
	v_add_f32_e32 v107, v107, v108
	v_mul_f32_e32 v108, v152, v210
	s_waitcnt vmcnt(8)
	v_mul_f32_e32 v160, v153, v212
	v_fma_f32 v108, v151, v209, -v108
	v_fmac_f32_e32 v160, v154, v211
	v_add_f32_e32 v107, v107, v108
	v_mul_f32_e32 v108, v154, v212
	v_add_f32_e32 v221, v159, v160
	ds_read_b128 v[159:162], v106 offset:816
	v_fma_f32 v108, v153, v211, -v108
	v_add_f32_e32 v107, v107, v108
	s_waitcnt vmcnt(6) lgkmcnt(1)
	v_mul_f32_e32 v108, v156, v214
	v_mul_f32_e32 v106, v155, v214
	v_fma_f32 v108, v155, v213, -v108
	v_fmac_f32_e32 v106, v156, v213
	v_add_f32_e32 v107, v107, v108
	s_waitcnt vmcnt(4)
	v_mul_f32_e32 v108, v158, v216
	v_add_f32_e32 v106, v221, v106
	v_mul_f32_e32 v221, v157, v216
	v_fma_f32 v108, v157, v215, -v108
	v_fmac_f32_e32 v221, v158, v215
	v_add_f32_e32 v107, v107, v108
	s_waitcnt vmcnt(2) lgkmcnt(0)
	v_mul_f32_e32 v108, v160, v218
	v_add_f32_e32 v106, v106, v221
	v_mul_f32_e32 v221, v159, v218
	v_fma_f32 v108, v159, v217, -v108
	v_fmac_f32_e32 v221, v160, v217
	v_add_f32_e32 v107, v107, v108
	s_waitcnt vmcnt(0)
	v_mul_f32_e32 v108, v162, v220
	v_add_f32_e32 v106, v106, v221
	v_mul_f32_e32 v221, v161, v220
	v_fma_f32 v108, v161, v219, -v108
	v_fmac_f32_e32 v221, v162, v219
	v_add_f32_e32 v107, v107, v108
	v_add_f32_e32 v106, v106, v221
	v_sub_f32_e32 v107, v193, v107
	v_sub_f32_e32 v106, v194, v106
	buffer_store_dword v107, off, s[0:3], 0 offset:184
	buffer_store_dword v106, off, s[0:3], 0 offset:188
	s_and_saveexec_b64 s[4:5], vcc
	s_cbranch_execz .LBB51_281
; %bb.280:
	buffer_load_dword v106, off, s[0:3], 0 offset:176
	buffer_load_dword v107, off, s[0:3], 0 offset:180
	v_mov_b32_e32 v108, 0
	buffer_store_dword v108, off, s[0:3], 0 offset:176
	buffer_store_dword v108, off, s[0:3], 0 offset:180
	s_waitcnt vmcnt(2)
	ds_write_b64 v105, v[106:107]
.LBB51_281:
	s_or_b64 exec, exec, s[4:5]
	s_waitcnt lgkmcnt(0)
	; wave barrier
	buffer_load_dword v165, off, s[0:3], 0 offset:188
	buffer_load_dword v166, off, s[0:3], 0 offset:196
	;; [unrolled: 1-line block ×60, first 2 shown]
	v_mov_b32_e32 v106, 0
	ds_read2_b64 v[107:110], v106 offset0:75 offset1:76
	ds_read2_b64 v[111:114], v106 offset0:77 offset1:78
	;; [unrolled: 1-line block ×5, first 2 shown]
	v_cmp_lt_u32_e32 vcc, 21, v0
	s_waitcnt vmcnt(59) lgkmcnt(4)
	v_mul_f32_e32 v127, v107, v165
	s_waitcnt vmcnt(58)
	v_mul_f32_e32 v128, v109, v166
	s_waitcnt vmcnt(57) lgkmcnt(3)
	v_mul_f32_e32 v129, v111, v167
	s_waitcnt vmcnt(56)
	v_mul_f32_e32 v130, v113, v168
	;; [unrolled: 4-line block ×3, first 2 shown]
	s_waitcnt vmcnt(53) lgkmcnt(1)
	v_mul_f32_e32 v133, v119, v171
	s_waitcnt vmcnt(52)
	v_fmac_f32_e32 v127, v108, v172
	s_waitcnt vmcnt(51)
	v_fmac_f32_e32 v128, v110, v173
	v_add_f32_e32 v127, 0, v127
	s_waitcnt vmcnt(50)
	v_fmac_f32_e32 v129, v112, v174
	v_add_f32_e32 v127, v127, v128
	;; [unrolled: 3-line block ×6, first 2 shown]
	s_waitcnt vmcnt(45)
	v_mul_f32_e32 v128, v121, v179
	v_add_f32_e32 v127, v127, v133
	s_waitcnt vmcnt(44)
	v_fmac_f32_e32 v128, v122, v180
	v_mul_f32_e32 v108, v108, v165
	v_add_f32_e32 v131, v127, v128
	ds_read2_b64 v[127:130], v106 offset0:85 offset1:86
	v_fma_f32 v107, v107, v172, -v108
	v_mul_f32_e32 v108, v110, v166
	s_waitcnt vmcnt(43) lgkmcnt(1)
	v_mul_f32_e32 v132, v123, v181
	v_add_f32_e32 v107, 0, v107
	v_fma_f32 v108, v109, v173, -v108
	s_waitcnt vmcnt(42)
	v_fmac_f32_e32 v132, v124, v182
	v_add_f32_e32 v107, v107, v108
	v_mul_f32_e32 v108, v112, v167
	v_add_f32_e32 v131, v131, v132
	s_waitcnt vmcnt(41)
	v_mul_f32_e32 v132, v125, v183
	v_fma_f32 v108, v111, v174, -v108
	s_waitcnt vmcnt(40)
	v_fmac_f32_e32 v132, v126, v184
	v_add_f32_e32 v107, v107, v108
	v_mul_f32_e32 v108, v114, v168
	v_add_f32_e32 v131, v131, v132
	s_waitcnt vmcnt(39) lgkmcnt(0)
	v_mul_f32_e32 v132, v127, v185
	v_fma_f32 v108, v113, v175, -v108
	s_waitcnt vmcnt(38)
	v_fmac_f32_e32 v132, v128, v186
	v_add_f32_e32 v107, v107, v108
	v_mul_f32_e32 v108, v116, v169
	v_add_f32_e32 v135, v131, v132
	ds_read2_b64 v[131:134], v106 offset0:87 offset1:88
	v_fma_f32 v108, v115, v176, -v108
	v_add_f32_e32 v107, v107, v108
	v_mul_f32_e32 v108, v118, v170
	s_waitcnt vmcnt(37)
	v_mul_f32_e32 v136, v129, v187
	v_fma_f32 v108, v117, v177, -v108
	s_waitcnt vmcnt(36)
	v_fmac_f32_e32 v136, v130, v188
	v_add_f32_e32 v107, v107, v108
	v_mul_f32_e32 v108, v120, v171
	v_add_f32_e32 v139, v135, v136
	ds_read2_b64 v[135:138], v106 offset0:89 offset1:90
	v_fma_f32 v108, v119, v178, -v108
	s_waitcnt vmcnt(34) lgkmcnt(1)
	v_mul_f32_e32 v140, v131, v190
	v_add_f32_e32 v107, v107, v108
	v_mul_f32_e32 v108, v122, v179
	v_fmac_f32_e32 v140, v132, v189
	v_fma_f32 v108, v121, v180, -v108
	v_add_f32_e32 v139, v139, v140
	s_waitcnt vmcnt(31)
	v_mul_f32_e32 v140, v133, v193
	v_add_f32_e32 v107, v107, v108
	v_mul_f32_e32 v108, v124, v181
	s_waitcnt vmcnt(30)
	v_fmac_f32_e32 v140, v134, v194
	v_fma_f32 v108, v123, v182, -v108
	v_add_f32_e32 v139, v139, v140
	s_waitcnt vmcnt(28) lgkmcnt(0)
	v_mul_f32_e32 v140, v135, v196
	v_add_f32_e32 v107, v107, v108
	v_mul_f32_e32 v108, v126, v183
	v_fmac_f32_e32 v140, v136, v195
	v_fma_f32 v108, v125, v184, -v108
	v_add_f32_e32 v143, v139, v140
	ds_read2_b64 v[139:142], v106 offset0:91 offset1:92
	v_add_f32_e32 v107, v107, v108
	v_mul_f32_e32 v108, v128, v185
	v_fma_f32 v108, v127, v186, -v108
	s_waitcnt vmcnt(26)
	v_mul_f32_e32 v144, v137, v198
	v_add_f32_e32 v107, v107, v108
	v_mul_f32_e32 v108, v130, v187
	v_fmac_f32_e32 v144, v138, v197
	v_fma_f32 v108, v129, v188, -v108
	v_add_f32_e32 v147, v143, v144
	ds_read2_b64 v[143:146], v106 offset0:93 offset1:94
	v_add_f32_e32 v107, v107, v108
	v_mul_f32_e32 v108, v132, v190
	s_waitcnt vmcnt(24) lgkmcnt(1)
	v_mul_f32_e32 v148, v139, v200
	v_fma_f32 v108, v131, v189, -v108
	v_fmac_f32_e32 v148, v140, v199
	v_add_f32_e32 v107, v107, v108
	v_mul_f32_e32 v108, v134, v193
	v_add_f32_e32 v147, v147, v148
	s_waitcnt vmcnt(22)
	v_mul_f32_e32 v148, v141, v202
	v_fma_f32 v108, v133, v194, -v108
	v_fmac_f32_e32 v148, v142, v201
	v_add_f32_e32 v107, v107, v108
	v_mul_f32_e32 v108, v136, v196
	v_add_f32_e32 v147, v147, v148
	s_waitcnt vmcnt(20) lgkmcnt(0)
	v_mul_f32_e32 v148, v143, v204
	v_fma_f32 v108, v135, v195, -v108
	v_fmac_f32_e32 v148, v144, v203
	v_add_f32_e32 v107, v107, v108
	v_mul_f32_e32 v108, v138, v198
	v_add_f32_e32 v151, v147, v148
	ds_read2_b64 v[147:150], v106 offset0:95 offset1:96
	v_fma_f32 v108, v137, v197, -v108
	v_add_f32_e32 v107, v107, v108
	v_mul_f32_e32 v108, v140, v200
	s_waitcnt vmcnt(18)
	v_mul_f32_e32 v152, v145, v206
	v_fma_f32 v108, v139, v199, -v108
	v_fmac_f32_e32 v152, v146, v205
	v_add_f32_e32 v107, v107, v108
	v_mul_f32_e32 v108, v142, v202
	v_add_f32_e32 v155, v151, v152
	ds_read2_b64 v[151:154], v106 offset0:97 offset1:98
	v_fma_f32 v108, v141, v201, -v108
	s_waitcnt vmcnt(16) lgkmcnt(1)
	v_mul_f32_e32 v156, v147, v208
	v_add_f32_e32 v107, v107, v108
	v_mul_f32_e32 v108, v144, v204
	v_fmac_f32_e32 v156, v148, v207
	v_fma_f32 v108, v143, v203, -v108
	v_add_f32_e32 v155, v155, v156
	s_waitcnt vmcnt(14)
	v_mul_f32_e32 v156, v149, v210
	v_add_f32_e32 v107, v107, v108
	v_mul_f32_e32 v108, v146, v206
	v_fmac_f32_e32 v156, v150, v209
	v_fma_f32 v108, v145, v205, -v108
	v_add_f32_e32 v155, v155, v156
	s_waitcnt vmcnt(12) lgkmcnt(0)
	v_mul_f32_e32 v156, v151, v212
	v_add_f32_e32 v107, v107, v108
	v_mul_f32_e32 v108, v148, v208
	v_fmac_f32_e32 v156, v152, v211
	v_fma_f32 v108, v147, v207, -v108
	v_add_f32_e32 v159, v155, v156
	ds_read2_b64 v[155:158], v106 offset0:99 offset1:100
	v_add_f32_e32 v107, v107, v108
	v_mul_f32_e32 v108, v150, v210
	v_fma_f32 v108, v149, v209, -v108
	v_add_f32_e32 v107, v107, v108
	v_mul_f32_e32 v108, v152, v212
	s_waitcnt vmcnt(10)
	v_mul_f32_e32 v160, v153, v214
	v_fma_f32 v108, v151, v211, -v108
	v_fmac_f32_e32 v160, v154, v213
	v_add_f32_e32 v107, v107, v108
	v_mul_f32_e32 v108, v154, v214
	v_add_f32_e32 v163, v159, v160
	ds_read2_b64 v[159:162], v106 offset0:101 offset1:102
	s_waitcnt vmcnt(8) lgkmcnt(1)
	v_mul_f32_e32 v164, v155, v216
	v_fma_f32 v108, v153, v213, -v108
	v_fmac_f32_e32 v164, v156, v215
	v_add_f32_e32 v107, v107, v108
	v_mul_f32_e32 v108, v156, v216
	v_add_f32_e32 v163, v163, v164
	s_waitcnt vmcnt(6)
	v_mul_f32_e32 v164, v157, v218
	v_fma_f32 v108, v155, v215, -v108
	v_fmac_f32_e32 v164, v158, v217
	v_add_f32_e32 v107, v107, v108
	v_mul_f32_e32 v108, v158, v218
	v_add_f32_e32 v225, v163, v164
	ds_read_b64 v[163:164], v106 offset:824
	v_fma_f32 v108, v157, v217, -v108
	v_add_f32_e32 v107, v107, v108
	s_waitcnt vmcnt(4) lgkmcnt(1)
	v_mul_f32_e32 v108, v160, v220
	v_mul_f32_e32 v226, v159, v220
	v_fma_f32 v108, v159, v219, -v108
	v_fmac_f32_e32 v226, v160, v219
	v_add_f32_e32 v107, v107, v108
	s_waitcnt vmcnt(2)
	v_mul_f32_e32 v108, v162, v222
	v_add_f32_e32 v225, v225, v226
	v_mul_f32_e32 v226, v161, v222
	v_fma_f32 v108, v161, v221, -v108
	v_fmac_f32_e32 v226, v162, v221
	v_add_f32_e32 v107, v107, v108
	s_waitcnt vmcnt(0) lgkmcnt(0)
	v_mul_f32_e32 v108, v164, v224
	v_add_f32_e32 v225, v225, v226
	v_mul_f32_e32 v226, v163, v224
	v_fma_f32 v108, v163, v223, -v108
	v_fmac_f32_e32 v226, v164, v223
	v_add_f32_e32 v107, v107, v108
	v_add_f32_e32 v225, v225, v226
	v_sub_f32_e32 v107, v191, v107
	v_sub_f32_e32 v108, v192, v225
	buffer_store_dword v107, off, s[0:3], 0 offset:176
	buffer_store_dword v108, off, s[0:3], 0 offset:180
	s_and_saveexec_b64 s[4:5], vcc
	s_cbranch_execz .LBB51_283
; %bb.282:
	buffer_load_dword v107, off, s[0:3], 0 offset:168
	buffer_load_dword v108, off, s[0:3], 0 offset:172
	s_waitcnt vmcnt(0)
	ds_write_b64 v105, v[107:108]
	buffer_store_dword v106, off, s[0:3], 0 offset:168
	buffer_store_dword v106, off, s[0:3], 0 offset:172
.LBB51_283:
	s_or_b64 exec, exec, s[4:5]
	s_waitcnt lgkmcnt(0)
	; wave barrier
	buffer_load_dword v167, off, s[0:3], 0 offset:180
	buffer_load_dword v168, off, s[0:3], 0 offset:188
	;; [unrolled: 1-line block ×32, first 2 shown]
	ds_read_b128 v[107:110], v106 offset:592
	ds_read_b128 v[111:114], v106 offset:608
	;; [unrolled: 1-line block ×4, first 2 shown]
	buffer_load_dword v199, off, s[0:3], 0 offset:300
	buffer_load_dword v200, off, s[0:3], 0 offset:296
	;; [unrolled: 1-line block ×30, first 2 shown]
	v_cmp_lt_u32_e32 vcc, 20, v0
	s_waitcnt vmcnt(61) lgkmcnt(3)
	v_mul_f32_e32 v123, v107, v167
	s_waitcnt vmcnt(60)
	v_mul_f32_e32 v124, v109, v168
	s_waitcnt vmcnt(59) lgkmcnt(2)
	v_mul_f32_e32 v125, v111, v169
	s_waitcnt vmcnt(58)
	v_mul_f32_e32 v126, v113, v170
	;; [unrolled: 4-line block ×3, first 2 shown]
	s_waitcnt vmcnt(55) lgkmcnt(0)
	v_mul_f32_e32 v129, v119, v173
	s_waitcnt vmcnt(54)
	v_fmac_f32_e32 v123, v108, v174
	s_waitcnt vmcnt(53)
	v_fmac_f32_e32 v124, v110, v175
	v_add_f32_e32 v123, 0, v123
	s_waitcnt vmcnt(52)
	v_fmac_f32_e32 v125, v112, v176
	v_add_f32_e32 v123, v123, v124
	;; [unrolled: 3-line block ×6, first 2 shown]
	v_add_f32_e32 v127, v123, v129
	ds_read_b128 v[123:126], v106 offset:656
	s_waitcnt vmcnt(47)
	v_mul_f32_e32 v128, v121, v181
	s_waitcnt vmcnt(46)
	v_fmac_f32_e32 v128, v122, v182
	v_mul_f32_e32 v108, v108, v167
	v_add_f32_e32 v131, v127, v128
	ds_read_b128 v[127:130], v106 offset:672
	v_fma_f32 v107, v107, v174, -v108
	v_mul_f32_e32 v108, v110, v168
	s_waitcnt vmcnt(45) lgkmcnt(1)
	v_mul_f32_e32 v132, v123, v183
	v_add_f32_e32 v107, 0, v107
	v_fma_f32 v108, v109, v175, -v108
	s_waitcnt vmcnt(44)
	v_fmac_f32_e32 v132, v124, v184
	v_add_f32_e32 v107, v107, v108
	v_mul_f32_e32 v108, v112, v169
	v_add_f32_e32 v131, v131, v132
	s_waitcnt vmcnt(43)
	v_mul_f32_e32 v132, v125, v185
	v_fma_f32 v108, v111, v176, -v108
	s_waitcnt vmcnt(42)
	v_fmac_f32_e32 v132, v126, v186
	v_add_f32_e32 v107, v107, v108
	v_mul_f32_e32 v108, v114, v170
	v_add_f32_e32 v131, v131, v132
	s_waitcnt vmcnt(41) lgkmcnt(0)
	v_mul_f32_e32 v132, v127, v187
	v_fma_f32 v108, v113, v177, -v108
	s_waitcnt vmcnt(40)
	v_fmac_f32_e32 v132, v128, v188
	v_add_f32_e32 v107, v107, v108
	v_mul_f32_e32 v108, v116, v171
	v_add_f32_e32 v135, v131, v132
	ds_read_b128 v[131:134], v106 offset:688
	v_fma_f32 v108, v115, v178, -v108
	v_add_f32_e32 v107, v107, v108
	v_mul_f32_e32 v108, v118, v172
	s_waitcnt vmcnt(39)
	v_mul_f32_e32 v136, v129, v189
	v_fma_f32 v108, v117, v179, -v108
	s_waitcnt vmcnt(38)
	v_fmac_f32_e32 v136, v130, v190
	v_add_f32_e32 v107, v107, v108
	v_mul_f32_e32 v108, v120, v173
	v_add_f32_e32 v139, v135, v136
	ds_read_b128 v[135:138], v106 offset:704
	v_fma_f32 v108, v119, v180, -v108
	s_waitcnt vmcnt(35) lgkmcnt(1)
	v_mul_f32_e32 v140, v131, v193
	v_add_f32_e32 v107, v107, v108
	v_mul_f32_e32 v108, v122, v181
	s_waitcnt vmcnt(34)
	v_fmac_f32_e32 v140, v132, v194
	v_fma_f32 v108, v121, v182, -v108
	v_add_f32_e32 v139, v139, v140
	s_waitcnt vmcnt(32)
	v_mul_f32_e32 v140, v133, v196
	v_add_f32_e32 v107, v107, v108
	v_mul_f32_e32 v108, v124, v183
	v_fmac_f32_e32 v140, v134, v195
	v_fma_f32 v108, v123, v184, -v108
	v_add_f32_e32 v139, v139, v140
	s_waitcnt vmcnt(30) lgkmcnt(0)
	v_mul_f32_e32 v140, v135, v198
	v_add_f32_e32 v107, v107, v108
	v_mul_f32_e32 v108, v126, v185
	v_fmac_f32_e32 v140, v136, v197
	v_fma_f32 v108, v125, v186, -v108
	v_add_f32_e32 v143, v139, v140
	ds_read_b128 v[139:142], v106 offset:720
	v_add_f32_e32 v107, v107, v108
	v_mul_f32_e32 v108, v128, v187
	v_fma_f32 v108, v127, v188, -v108
	s_waitcnt vmcnt(29)
	v_mul_f32_e32 v144, v137, v199
	v_add_f32_e32 v107, v107, v108
	v_mul_f32_e32 v108, v130, v189
	s_waitcnt vmcnt(28)
	v_fmac_f32_e32 v144, v138, v200
	v_fma_f32 v108, v129, v190, -v108
	v_add_f32_e32 v147, v143, v144
	ds_read_b128 v[143:146], v106 offset:736
	v_add_f32_e32 v107, v107, v108
	v_mul_f32_e32 v108, v132, v193
	s_waitcnt vmcnt(26) lgkmcnt(1)
	v_mul_f32_e32 v148, v139, v202
	v_fma_f32 v108, v131, v194, -v108
	v_fmac_f32_e32 v148, v140, v201
	v_add_f32_e32 v107, v107, v108
	v_mul_f32_e32 v108, v134, v196
	v_add_f32_e32 v147, v147, v148
	s_waitcnt vmcnt(24)
	v_mul_f32_e32 v148, v141, v204
	v_fma_f32 v108, v133, v195, -v108
	v_fmac_f32_e32 v148, v142, v203
	v_add_f32_e32 v107, v107, v108
	v_mul_f32_e32 v108, v136, v198
	v_add_f32_e32 v147, v147, v148
	s_waitcnt vmcnt(22) lgkmcnt(0)
	v_mul_f32_e32 v148, v143, v206
	v_fma_f32 v108, v135, v197, -v108
	v_fmac_f32_e32 v148, v144, v205
	v_add_f32_e32 v107, v107, v108
	v_mul_f32_e32 v108, v138, v199
	v_add_f32_e32 v151, v147, v148
	ds_read_b128 v[147:150], v106 offset:752
	v_fma_f32 v108, v137, v200, -v108
	v_add_f32_e32 v107, v107, v108
	v_mul_f32_e32 v108, v140, v202
	s_waitcnt vmcnt(20)
	v_mul_f32_e32 v152, v145, v208
	v_fma_f32 v108, v139, v201, -v108
	v_fmac_f32_e32 v152, v146, v207
	v_add_f32_e32 v107, v107, v108
	v_mul_f32_e32 v108, v142, v204
	v_add_f32_e32 v155, v151, v152
	ds_read_b128 v[151:154], v106 offset:768
	v_fma_f32 v108, v141, v203, -v108
	s_waitcnt vmcnt(18) lgkmcnt(1)
	v_mul_f32_e32 v156, v147, v210
	v_add_f32_e32 v107, v107, v108
	v_mul_f32_e32 v108, v144, v206
	v_fmac_f32_e32 v156, v148, v209
	v_fma_f32 v108, v143, v205, -v108
	v_add_f32_e32 v155, v155, v156
	s_waitcnt vmcnt(16)
	v_mul_f32_e32 v156, v149, v212
	v_add_f32_e32 v107, v107, v108
	v_mul_f32_e32 v108, v146, v208
	v_fmac_f32_e32 v156, v150, v211
	v_fma_f32 v108, v145, v207, -v108
	v_add_f32_e32 v155, v155, v156
	s_waitcnt vmcnt(14) lgkmcnt(0)
	v_mul_f32_e32 v156, v151, v214
	v_add_f32_e32 v107, v107, v108
	v_mul_f32_e32 v108, v148, v210
	v_fmac_f32_e32 v156, v152, v213
	v_fma_f32 v108, v147, v209, -v108
	v_add_f32_e32 v159, v155, v156
	ds_read_b128 v[155:158], v106 offset:784
	v_add_f32_e32 v107, v107, v108
	v_mul_f32_e32 v108, v150, v212
	v_fma_f32 v108, v149, v211, -v108
	v_add_f32_e32 v107, v107, v108
	v_mul_f32_e32 v108, v152, v214
	s_waitcnt vmcnt(12)
	v_mul_f32_e32 v160, v153, v216
	v_fma_f32 v108, v151, v213, -v108
	v_fmac_f32_e32 v160, v154, v215
	v_add_f32_e32 v107, v107, v108
	v_mul_f32_e32 v108, v154, v216
	v_add_f32_e32 v163, v159, v160
	ds_read_b128 v[159:162], v106 offset:800
	s_waitcnt vmcnt(10) lgkmcnt(1)
	v_mul_f32_e32 v164, v155, v218
	v_fma_f32 v108, v153, v215, -v108
	v_fmac_f32_e32 v164, v156, v217
	v_add_f32_e32 v107, v107, v108
	v_mul_f32_e32 v108, v156, v218
	v_add_f32_e32 v163, v163, v164
	s_waitcnt vmcnt(8)
	v_mul_f32_e32 v164, v157, v220
	v_fma_f32 v108, v155, v217, -v108
	v_fmac_f32_e32 v164, v158, v219
	v_add_f32_e32 v107, v107, v108
	v_mul_f32_e32 v108, v158, v220
	v_add_f32_e32 v229, v163, v164
	ds_read_b128 v[163:166], v106 offset:816
	v_fma_f32 v108, v157, v219, -v108
	v_add_f32_e32 v107, v107, v108
	s_waitcnt vmcnt(6) lgkmcnt(1)
	v_mul_f32_e32 v108, v160, v222
	v_mul_f32_e32 v230, v159, v222
	v_fma_f32 v108, v159, v221, -v108
	v_fmac_f32_e32 v230, v160, v221
	v_add_f32_e32 v107, v107, v108
	s_waitcnt vmcnt(4)
	v_mul_f32_e32 v108, v162, v224
	v_add_f32_e32 v106, v229, v230
	v_mul_f32_e32 v229, v161, v224
	v_fma_f32 v108, v161, v223, -v108
	v_fmac_f32_e32 v229, v162, v223
	v_add_f32_e32 v107, v107, v108
	s_waitcnt vmcnt(2) lgkmcnt(0)
	v_mul_f32_e32 v108, v164, v226
	v_add_f32_e32 v106, v106, v229
	v_mul_f32_e32 v229, v163, v226
	v_fma_f32 v108, v163, v225, -v108
	v_fmac_f32_e32 v229, v164, v225
	v_add_f32_e32 v107, v107, v108
	s_waitcnt vmcnt(0)
	v_mul_f32_e32 v108, v166, v228
	v_add_f32_e32 v106, v106, v229
	v_mul_f32_e32 v229, v165, v228
	v_fma_f32 v108, v165, v227, -v108
	v_fmac_f32_e32 v229, v166, v227
	v_add_f32_e32 v107, v107, v108
	v_add_f32_e32 v106, v106, v229
	v_sub_f32_e32 v107, v191, v107
	v_sub_f32_e32 v106, v192, v106
	buffer_store_dword v107, off, s[0:3], 0 offset:168
	buffer_store_dword v106, off, s[0:3], 0 offset:172
	s_and_saveexec_b64 s[4:5], vcc
	s_cbranch_execz .LBB51_285
; %bb.284:
	buffer_load_dword v106, off, s[0:3], 0 offset:160
	buffer_load_dword v107, off, s[0:3], 0 offset:164
	v_mov_b32_e32 v108, 0
	buffer_store_dword v108, off, s[0:3], 0 offset:160
	buffer_store_dword v108, off, s[0:3], 0 offset:164
	s_waitcnt vmcnt(2)
	ds_write_b64 v105, v[106:107]
.LBB51_285:
	s_or_b64 exec, exec, s[4:5]
	s_waitcnt lgkmcnt(0)
	; wave barrier
	buffer_load_dword v169, off, s[0:3], 0 offset:172
	buffer_load_dword v170, off, s[0:3], 0 offset:180
	;; [unrolled: 1-line block ×56, first 2 shown]
	v_mov_b32_e32 v106, 0
	ds_read2_b64 v[107:110], v106 offset0:73 offset1:74
	buffer_load_dword v225, off, s[0:3], 0 offset:384
	buffer_load_dword v226, off, s[0:3], 0 offset:388
	;; [unrolled: 1-line block ×4, first 2 shown]
	ds_read2_b64 v[111:114], v106 offset0:75 offset1:76
	ds_read2_b64 v[115:118], v106 offset0:77 offset1:78
	;; [unrolled: 1-line block ×3, first 2 shown]
	v_cmp_lt_u32_e32 vcc, 19, v0
	s_waitcnt vmcnt(59) lgkmcnt(3)
	v_mul_f32_e32 v123, v107, v169
	s_waitcnt vmcnt(58)
	v_mul_f32_e32 v124, v109, v170
	s_waitcnt vmcnt(57) lgkmcnt(2)
	v_mul_f32_e32 v125, v111, v171
	s_waitcnt vmcnt(56)
	v_mul_f32_e32 v126, v113, v172
	;; [unrolled: 4-line block ×4, first 2 shown]
	s_waitcnt vmcnt(51)
	v_fmac_f32_e32 v123, v108, v177
	s_waitcnt vmcnt(50)
	v_fmac_f32_e32 v124, v110, v178
	v_add_f32_e32 v123, 0, v123
	s_waitcnt vmcnt(49)
	v_fmac_f32_e32 v125, v112, v179
	v_add_f32_e32 v123, v123, v124
	;; [unrolled: 3-line block ×6, first 2 shown]
	v_add_f32_e32 v127, v123, v129
	ds_read2_b64 v[123:126], v106 offset0:81 offset1:82
	buffer_load_dword v229, off, s[0:3], 0 offset:404
	buffer_load_dword v230, off, s[0:3], 0 offset:400
	;; [unrolled: 1-line block ×4, first 2 shown]
	s_waitcnt vmcnt(48)
	v_fmac_f32_e32 v130, v122, v184
	v_add_f32_e32 v131, v127, v130
	ds_read2_b64 v[127:130], v106 offset0:83 offset1:84
	s_waitcnt vmcnt(47) lgkmcnt(1)
	v_mul_f32_e32 v132, v123, v185
	v_mul_f32_e32 v108, v108, v169
	s_waitcnt vmcnt(46)
	v_fmac_f32_e32 v132, v124, v186
	v_fma_f32 v107, v107, v177, -v108
	v_mul_f32_e32 v108, v110, v170
	v_add_f32_e32 v131, v131, v132
	s_waitcnt vmcnt(45)
	v_mul_f32_e32 v132, v125, v187
	v_add_f32_e32 v107, 0, v107
	v_fma_f32 v108, v109, v178, -v108
	s_waitcnt vmcnt(44)
	v_fmac_f32_e32 v132, v126, v188
	v_add_f32_e32 v107, v107, v108
	v_mul_f32_e32 v108, v112, v171
	v_add_f32_e32 v131, v131, v132
	s_waitcnt vmcnt(42) lgkmcnt(0)
	v_mul_f32_e32 v132, v127, v190
	v_fma_f32 v108, v111, v179, -v108
	v_fmac_f32_e32 v132, v128, v189
	v_add_f32_e32 v107, v107, v108
	v_mul_f32_e32 v108, v114, v172
	v_add_f32_e32 v135, v131, v132
	ds_read2_b64 v[131:134], v106 offset0:85 offset1:86
	v_fma_f32 v108, v113, v180, -v108
	v_add_f32_e32 v107, v107, v108
	v_mul_f32_e32 v108, v116, v173
	s_waitcnt vmcnt(39)
	v_mul_f32_e32 v136, v129, v193
	v_fma_f32 v108, v115, v181, -v108
	s_waitcnt vmcnt(38)
	v_fmac_f32_e32 v136, v130, v194
	v_add_f32_e32 v107, v107, v108
	v_mul_f32_e32 v108, v118, v174
	v_add_f32_e32 v139, v135, v136
	ds_read2_b64 v[135:138], v106 offset0:87 offset1:88
	v_fma_f32 v108, v117, v182, -v108
	s_waitcnt vmcnt(36) lgkmcnt(1)
	v_mul_f32_e32 v140, v131, v196
	v_add_f32_e32 v107, v107, v108
	v_mul_f32_e32 v108, v120, v175
	v_fmac_f32_e32 v140, v132, v195
	v_fma_f32 v108, v119, v183, -v108
	v_add_f32_e32 v139, v139, v140
	s_waitcnt vmcnt(34)
	v_mul_f32_e32 v140, v133, v198
	v_add_f32_e32 v107, v107, v108
	v_mul_f32_e32 v108, v122, v176
	v_fmac_f32_e32 v140, v134, v197
	v_fma_f32 v108, v121, v184, -v108
	v_add_f32_e32 v139, v139, v140
	s_waitcnt vmcnt(32) lgkmcnt(0)
	v_mul_f32_e32 v140, v135, v200
	v_add_f32_e32 v107, v107, v108
	v_mul_f32_e32 v108, v124, v185
	v_fmac_f32_e32 v140, v136, v199
	v_fma_f32 v108, v123, v186, -v108
	v_add_f32_e32 v143, v139, v140
	ds_read2_b64 v[139:142], v106 offset0:89 offset1:90
	v_add_f32_e32 v107, v107, v108
	v_mul_f32_e32 v108, v126, v187
	v_fma_f32 v108, v125, v188, -v108
	s_waitcnt vmcnt(30)
	v_mul_f32_e32 v144, v137, v202
	v_add_f32_e32 v107, v107, v108
	v_mul_f32_e32 v108, v128, v190
	v_fmac_f32_e32 v144, v138, v201
	v_fma_f32 v108, v127, v189, -v108
	v_add_f32_e32 v147, v143, v144
	ds_read2_b64 v[143:146], v106 offset0:91 offset1:92
	v_add_f32_e32 v107, v107, v108
	v_mul_f32_e32 v108, v130, v193
	s_waitcnt vmcnt(28) lgkmcnt(1)
	v_mul_f32_e32 v148, v139, v204
	v_fma_f32 v108, v129, v194, -v108
	v_fmac_f32_e32 v148, v140, v203
	v_add_f32_e32 v107, v107, v108
	v_mul_f32_e32 v108, v132, v196
	v_add_f32_e32 v147, v147, v148
	s_waitcnt vmcnt(26)
	v_mul_f32_e32 v148, v141, v206
	v_fma_f32 v108, v131, v195, -v108
	v_fmac_f32_e32 v148, v142, v205
	v_add_f32_e32 v107, v107, v108
	v_mul_f32_e32 v108, v134, v198
	v_add_f32_e32 v147, v147, v148
	s_waitcnt vmcnt(24) lgkmcnt(0)
	v_mul_f32_e32 v148, v143, v208
	v_fma_f32 v108, v133, v197, -v108
	v_fmac_f32_e32 v148, v144, v207
	v_add_f32_e32 v107, v107, v108
	v_mul_f32_e32 v108, v136, v200
	v_add_f32_e32 v151, v147, v148
	ds_read2_b64 v[147:150], v106 offset0:93 offset1:94
	v_fma_f32 v108, v135, v199, -v108
	v_add_f32_e32 v107, v107, v108
	v_mul_f32_e32 v108, v138, v202
	s_waitcnt vmcnt(22)
	v_mul_f32_e32 v152, v145, v210
	v_fma_f32 v108, v137, v201, -v108
	v_fmac_f32_e32 v152, v146, v209
	v_add_f32_e32 v107, v107, v108
	v_mul_f32_e32 v108, v140, v204
	v_add_f32_e32 v155, v151, v152
	ds_read2_b64 v[151:154], v106 offset0:95 offset1:96
	v_fma_f32 v108, v139, v203, -v108
	s_waitcnt vmcnt(20) lgkmcnt(1)
	v_mul_f32_e32 v156, v147, v212
	v_add_f32_e32 v107, v107, v108
	v_mul_f32_e32 v108, v142, v206
	v_fmac_f32_e32 v156, v148, v211
	v_fma_f32 v108, v141, v205, -v108
	v_add_f32_e32 v155, v155, v156
	s_waitcnt vmcnt(18)
	v_mul_f32_e32 v156, v149, v214
	v_add_f32_e32 v107, v107, v108
	v_mul_f32_e32 v108, v144, v208
	v_fmac_f32_e32 v156, v150, v213
	v_fma_f32 v108, v143, v207, -v108
	v_add_f32_e32 v155, v155, v156
	s_waitcnt vmcnt(16) lgkmcnt(0)
	v_mul_f32_e32 v156, v151, v216
	v_add_f32_e32 v107, v107, v108
	v_mul_f32_e32 v108, v146, v210
	v_fmac_f32_e32 v156, v152, v215
	v_fma_f32 v108, v145, v209, -v108
	v_add_f32_e32 v159, v155, v156
	ds_read2_b64 v[155:158], v106 offset0:97 offset1:98
	v_add_f32_e32 v107, v107, v108
	v_mul_f32_e32 v108, v148, v212
	v_fma_f32 v108, v147, v211, -v108
	s_waitcnt vmcnt(14)
	v_mul_f32_e32 v160, v153, v218
	v_add_f32_e32 v107, v107, v108
	v_mul_f32_e32 v108, v150, v214
	v_fmac_f32_e32 v160, v154, v217
	v_fma_f32 v108, v149, v213, -v108
	v_add_f32_e32 v163, v159, v160
	ds_read2_b64 v[159:162], v106 offset0:99 offset1:100
	v_add_f32_e32 v107, v107, v108
	v_mul_f32_e32 v108, v152, v216
	s_waitcnt vmcnt(12) lgkmcnt(1)
	v_mul_f32_e32 v164, v155, v220
	v_fma_f32 v108, v151, v215, -v108
	v_fmac_f32_e32 v164, v156, v219
	v_add_f32_e32 v107, v107, v108
	v_mul_f32_e32 v108, v154, v218
	v_add_f32_e32 v163, v163, v164
	s_waitcnt vmcnt(10)
	v_mul_f32_e32 v164, v157, v222
	v_fma_f32 v108, v153, v217, -v108
	v_fmac_f32_e32 v164, v158, v221
	v_add_f32_e32 v107, v107, v108
	v_mul_f32_e32 v108, v156, v220
	v_add_f32_e32 v163, v163, v164
	s_waitcnt vmcnt(8) lgkmcnt(0)
	v_mul_f32_e32 v164, v159, v224
	v_fma_f32 v108, v155, v219, -v108
	v_fmac_f32_e32 v164, v160, v223
	v_add_f32_e32 v107, v107, v108
	v_mul_f32_e32 v108, v158, v222
	v_add_f32_e32 v167, v163, v164
	ds_read2_b64 v[163:166], v106 offset0:101 offset1:102
	v_fma_f32 v108, v157, v221, -v108
	v_add_f32_e32 v107, v107, v108
	v_mul_f32_e32 v108, v160, v224
	s_waitcnt vmcnt(6)
	v_mul_f32_e32 v168, v161, v226
	v_fma_f32 v108, v159, v223, -v108
	v_fmac_f32_e32 v168, v162, v225
	v_add_f32_e32 v107, v107, v108
	v_mul_f32_e32 v108, v162, v226
	v_add_f32_e32 v233, v167, v168
	ds_read_b64 v[167:168], v106 offset:824
	v_fma_f32 v108, v161, v225, -v108
	v_add_f32_e32 v107, v107, v108
	s_waitcnt vmcnt(4) lgkmcnt(1)
	v_mul_f32_e32 v108, v164, v228
	v_mul_f32_e32 v234, v163, v228
	v_fma_f32 v108, v163, v227, -v108
	v_fmac_f32_e32 v234, v164, v227
	v_add_f32_e32 v107, v107, v108
	s_waitcnt vmcnt(3)
	v_mul_f32_e32 v108, v166, v229
	v_add_f32_e32 v233, v233, v234
	v_mul_f32_e32 v234, v165, v229
	s_waitcnt vmcnt(2)
	v_fma_f32 v108, v165, v230, -v108
	v_fmac_f32_e32 v234, v166, v230
	v_add_f32_e32 v107, v107, v108
	s_waitcnt vmcnt(0) lgkmcnt(0)
	v_mul_f32_e32 v108, v168, v232
	v_add_f32_e32 v233, v233, v234
	v_mul_f32_e32 v234, v167, v232
	v_fma_f32 v108, v167, v231, -v108
	v_fmac_f32_e32 v234, v168, v231
	v_add_f32_e32 v107, v107, v108
	v_add_f32_e32 v233, v233, v234
	v_sub_f32_e32 v107, v191, v107
	v_sub_f32_e32 v108, v192, v233
	buffer_store_dword v107, off, s[0:3], 0 offset:160
	buffer_store_dword v108, off, s[0:3], 0 offset:164
	s_and_saveexec_b64 s[4:5], vcc
	s_cbranch_execz .LBB51_287
; %bb.286:
	buffer_load_dword v107, off, s[0:3], 0 offset:152
	buffer_load_dword v108, off, s[0:3], 0 offset:156
	s_waitcnt vmcnt(0)
	ds_write_b64 v105, v[107:108]
	buffer_store_dword v106, off, s[0:3], 0 offset:152
	buffer_store_dword v106, off, s[0:3], 0 offset:156
.LBB51_287:
	s_or_b64 exec, exec, s[4:5]
	s_waitcnt lgkmcnt(0)
	; wave barrier
	buffer_load_dword v171, off, s[0:3], 0 offset:164
	buffer_load_dword v172, off, s[0:3], 0 offset:172
	;; [unrolled: 1-line block ×26, first 2 shown]
	ds_read_b128 v[107:110], v106 offset:576
	ds_read_b128 v[111:114], v106 offset:592
	;; [unrolled: 1-line block ×4, first 2 shown]
	buffer_load_dword v197, off, s[0:3], 0 offset:260
	buffer_load_dword v198, off, s[0:3], 0 offset:256
	;; [unrolled: 1-line block ×34, first 2 shown]
	v_cmp_lt_u32_e32 vcc, 18, v0
	s_waitcnt vmcnt(59) lgkmcnt(3)
	v_mul_f32_e32 v123, v107, v171
	s_waitcnt vmcnt(58)
	v_mul_f32_e32 v124, v109, v172
	s_waitcnt vmcnt(57) lgkmcnt(2)
	v_mul_f32_e32 v125, v111, v173
	s_waitcnt vmcnt(56)
	v_mul_f32_e32 v126, v113, v174
	;; [unrolled: 4-line block ×4, first 2 shown]
	s_waitcnt vmcnt(51)
	v_fmac_f32_e32 v123, v108, v179
	s_waitcnt vmcnt(50)
	v_fmac_f32_e32 v124, v110, v180
	v_add_f32_e32 v123, 0, v123
	s_waitcnt vmcnt(49)
	v_fmac_f32_e32 v125, v112, v181
	v_add_f32_e32 v123, v123, v124
	;; [unrolled: 3-line block ×7, first 2 shown]
	v_add_f32_e32 v131, v123, v130
	ds_read_b128 v[123:126], v106 offset:640
	buffer_load_dword v231, off, s[0:3], 0 offset:396
	buffer_load_dword v232, off, s[0:3], 0 offset:392
	;; [unrolled: 1-line block ×4, first 2 shown]
	ds_read_b128 v[127:130], v106 offset:656
	buffer_load_dword v235, off, s[0:3], 0 offset:408
	buffer_load_dword v236, off, s[0:3], 0 offset:412
	v_mul_f32_e32 v108, v108, v171
	s_waitcnt vmcnt(49) lgkmcnt(1)
	v_mul_f32_e32 v132, v123, v187
	s_waitcnt vmcnt(48)
	v_fmac_f32_e32 v132, v124, v188
	v_fma_f32 v107, v107, v179, -v108
	v_mul_f32_e32 v108, v110, v172
	v_add_f32_e32 v131, v131, v132
	s_waitcnt vmcnt(46)
	v_mul_f32_e32 v132, v125, v190
	v_add_f32_e32 v107, 0, v107
	v_fma_f32 v108, v109, v180, -v108
	v_fmac_f32_e32 v132, v126, v189
	v_add_f32_e32 v107, v107, v108
	v_mul_f32_e32 v108, v112, v173
	v_add_f32_e32 v131, v131, v132
	s_waitcnt vmcnt(43) lgkmcnt(0)
	v_mul_f32_e32 v132, v127, v193
	v_fma_f32 v108, v111, v181, -v108
	s_waitcnt vmcnt(42)
	v_fmac_f32_e32 v132, v128, v194
	v_add_f32_e32 v107, v107, v108
	v_mul_f32_e32 v108, v114, v174
	v_add_f32_e32 v135, v131, v132
	ds_read_b128 v[131:134], v106 offset:672
	v_fma_f32 v108, v113, v182, -v108
	v_add_f32_e32 v107, v107, v108
	v_mul_f32_e32 v108, v116, v175
	s_waitcnt vmcnt(40)
	v_mul_f32_e32 v136, v129, v196
	v_fma_f32 v108, v115, v183, -v108
	v_fmac_f32_e32 v136, v130, v195
	v_add_f32_e32 v107, v107, v108
	v_mul_f32_e32 v108, v118, v176
	v_add_f32_e32 v139, v135, v136
	ds_read_b128 v[135:138], v106 offset:688
	v_fma_f32 v108, v117, v184, -v108
	s_waitcnt vmcnt(39) lgkmcnt(1)
	v_mul_f32_e32 v140, v131, v197
	v_add_f32_e32 v107, v107, v108
	v_mul_f32_e32 v108, v120, v177
	s_waitcnt vmcnt(38)
	v_fmac_f32_e32 v140, v132, v198
	v_fma_f32 v108, v119, v185, -v108
	v_add_f32_e32 v139, v139, v140
	s_waitcnt vmcnt(36)
	v_mul_f32_e32 v140, v133, v200
	v_add_f32_e32 v107, v107, v108
	v_mul_f32_e32 v108, v122, v178
	v_fmac_f32_e32 v140, v134, v199
	v_fma_f32 v108, v121, v186, -v108
	v_add_f32_e32 v139, v139, v140
	s_waitcnt vmcnt(34) lgkmcnt(0)
	v_mul_f32_e32 v140, v135, v202
	v_add_f32_e32 v107, v107, v108
	v_mul_f32_e32 v108, v124, v187
	v_fmac_f32_e32 v140, v136, v201
	v_fma_f32 v108, v123, v188, -v108
	v_add_f32_e32 v143, v139, v140
	ds_read_b128 v[139:142], v106 offset:704
	v_add_f32_e32 v107, v107, v108
	v_mul_f32_e32 v108, v126, v190
	v_fma_f32 v108, v125, v189, -v108
	s_waitcnt vmcnt(32)
	v_mul_f32_e32 v144, v137, v204
	v_add_f32_e32 v107, v107, v108
	v_mul_f32_e32 v108, v128, v193
	v_fmac_f32_e32 v144, v138, v203
	v_fma_f32 v108, v127, v194, -v108
	v_add_f32_e32 v147, v143, v144
	ds_read_b128 v[143:146], v106 offset:720
	v_add_f32_e32 v107, v107, v108
	v_mul_f32_e32 v108, v130, v196
	s_waitcnt vmcnt(30) lgkmcnt(1)
	v_mul_f32_e32 v148, v139, v206
	v_fma_f32 v108, v129, v195, -v108
	v_fmac_f32_e32 v148, v140, v205
	v_add_f32_e32 v107, v107, v108
	v_mul_f32_e32 v108, v132, v197
	v_add_f32_e32 v147, v147, v148
	s_waitcnt vmcnt(28)
	v_mul_f32_e32 v148, v141, v208
	v_fma_f32 v108, v131, v198, -v108
	v_fmac_f32_e32 v148, v142, v207
	v_add_f32_e32 v107, v107, v108
	v_mul_f32_e32 v108, v134, v200
	v_add_f32_e32 v147, v147, v148
	s_waitcnt vmcnt(26) lgkmcnt(0)
	v_mul_f32_e32 v148, v143, v210
	v_fma_f32 v108, v133, v199, -v108
	v_fmac_f32_e32 v148, v144, v209
	v_add_f32_e32 v107, v107, v108
	v_mul_f32_e32 v108, v136, v202
	v_add_f32_e32 v151, v147, v148
	ds_read_b128 v[147:150], v106 offset:736
	v_fma_f32 v108, v135, v201, -v108
	v_add_f32_e32 v107, v107, v108
	v_mul_f32_e32 v108, v138, v204
	s_waitcnt vmcnt(24)
	v_mul_f32_e32 v152, v145, v212
	v_fma_f32 v108, v137, v203, -v108
	v_fmac_f32_e32 v152, v146, v211
	v_add_f32_e32 v107, v107, v108
	v_mul_f32_e32 v108, v140, v206
	v_add_f32_e32 v155, v151, v152
	ds_read_b128 v[151:154], v106 offset:752
	v_fma_f32 v108, v139, v205, -v108
	s_waitcnt vmcnt(22) lgkmcnt(1)
	v_mul_f32_e32 v156, v147, v214
	v_add_f32_e32 v107, v107, v108
	v_mul_f32_e32 v108, v142, v208
	v_fmac_f32_e32 v156, v148, v213
	v_fma_f32 v108, v141, v207, -v108
	v_add_f32_e32 v155, v155, v156
	s_waitcnt vmcnt(20)
	v_mul_f32_e32 v156, v149, v216
	v_add_f32_e32 v107, v107, v108
	v_mul_f32_e32 v108, v144, v210
	v_fmac_f32_e32 v156, v150, v215
	v_fma_f32 v108, v143, v209, -v108
	v_add_f32_e32 v155, v155, v156
	s_waitcnt vmcnt(18) lgkmcnt(0)
	v_mul_f32_e32 v156, v151, v218
	v_add_f32_e32 v107, v107, v108
	v_mul_f32_e32 v108, v146, v212
	v_fmac_f32_e32 v156, v152, v217
	v_fma_f32 v108, v145, v211, -v108
	v_add_f32_e32 v159, v155, v156
	ds_read_b128 v[155:158], v106 offset:768
	v_add_f32_e32 v107, v107, v108
	v_mul_f32_e32 v108, v148, v214
	v_fma_f32 v108, v147, v213, -v108
	s_waitcnt vmcnt(16)
	v_mul_f32_e32 v160, v153, v220
	v_add_f32_e32 v107, v107, v108
	v_mul_f32_e32 v108, v150, v216
	v_fmac_f32_e32 v160, v154, v219
	v_fma_f32 v108, v149, v215, -v108
	v_add_f32_e32 v163, v159, v160
	ds_read_b128 v[159:162], v106 offset:784
	v_add_f32_e32 v107, v107, v108
	v_mul_f32_e32 v108, v152, v218
	s_waitcnt vmcnt(14) lgkmcnt(1)
	v_mul_f32_e32 v164, v155, v222
	v_fma_f32 v108, v151, v217, -v108
	v_fmac_f32_e32 v164, v156, v221
	v_add_f32_e32 v107, v107, v108
	v_mul_f32_e32 v108, v154, v220
	v_add_f32_e32 v163, v163, v164
	s_waitcnt vmcnt(12)
	v_mul_f32_e32 v164, v157, v224
	v_fma_f32 v108, v153, v219, -v108
	v_fmac_f32_e32 v164, v158, v223
	v_add_f32_e32 v107, v107, v108
	v_mul_f32_e32 v108, v156, v222
	v_add_f32_e32 v163, v163, v164
	s_waitcnt vmcnt(10) lgkmcnt(0)
	v_mul_f32_e32 v164, v159, v226
	v_fma_f32 v108, v155, v221, -v108
	v_fmac_f32_e32 v164, v160, v225
	v_add_f32_e32 v107, v107, v108
	v_mul_f32_e32 v108, v158, v224
	v_add_f32_e32 v167, v163, v164
	ds_read_b128 v[163:166], v106 offset:800
	v_fma_f32 v108, v157, v223, -v108
	v_add_f32_e32 v107, v107, v108
	v_mul_f32_e32 v108, v160, v226
	s_waitcnt vmcnt(8)
	v_mul_f32_e32 v168, v161, v228
	v_fma_f32 v108, v159, v225, -v108
	v_fmac_f32_e32 v168, v162, v227
	v_add_f32_e32 v107, v107, v108
	v_mul_f32_e32 v108, v162, v228
	v_add_f32_e32 v237, v167, v168
	ds_read_b128 v[167:170], v106 offset:816
	v_fma_f32 v108, v161, v227, -v108
	v_add_f32_e32 v107, v107, v108
	s_waitcnt vmcnt(6) lgkmcnt(1)
	v_mul_f32_e32 v108, v164, v230
	v_mul_f32_e32 v106, v163, v230
	v_fma_f32 v108, v163, v229, -v108
	v_fmac_f32_e32 v106, v164, v229
	v_add_f32_e32 v107, v107, v108
	s_waitcnt vmcnt(5)
	v_mul_f32_e32 v108, v166, v231
	v_add_f32_e32 v106, v237, v106
	v_mul_f32_e32 v237, v165, v231
	s_waitcnt vmcnt(4)
	v_fma_f32 v108, v165, v232, -v108
	v_fmac_f32_e32 v237, v166, v232
	v_add_f32_e32 v107, v107, v108
	s_waitcnt vmcnt(2) lgkmcnt(0)
	v_mul_f32_e32 v108, v168, v234
	v_add_f32_e32 v106, v106, v237
	v_mul_f32_e32 v237, v167, v234
	v_fma_f32 v108, v167, v233, -v108
	v_fmac_f32_e32 v237, v168, v233
	v_add_f32_e32 v107, v107, v108
	s_waitcnt vmcnt(0)
	v_mul_f32_e32 v108, v170, v236
	v_add_f32_e32 v106, v106, v237
	v_mul_f32_e32 v237, v169, v236
	v_fma_f32 v108, v169, v235, -v108
	v_fmac_f32_e32 v237, v170, v235
	v_add_f32_e32 v107, v107, v108
	v_add_f32_e32 v106, v106, v237
	v_sub_f32_e32 v107, v191, v107
	v_sub_f32_e32 v106, v192, v106
	buffer_store_dword v107, off, s[0:3], 0 offset:152
	buffer_store_dword v106, off, s[0:3], 0 offset:156
	s_and_saveexec_b64 s[4:5], vcc
	s_cbranch_execz .LBB51_289
; %bb.288:
	buffer_load_dword v106, off, s[0:3], 0 offset:144
	buffer_load_dword v107, off, s[0:3], 0 offset:148
	v_mov_b32_e32 v108, 0
	buffer_store_dword v108, off, s[0:3], 0 offset:144
	buffer_store_dword v108, off, s[0:3], 0 offset:148
	s_waitcnt vmcnt(2)
	ds_write_b64 v105, v[106:107]
.LBB51_289:
	s_or_b64 exec, exec, s[4:5]
	s_waitcnt lgkmcnt(0)
	; wave barrier
	buffer_load_dword v173, off, s[0:3], 0 offset:156
	buffer_load_dword v174, off, s[0:3], 0 offset:164
	;; [unrolled: 1-line block ×58, first 2 shown]
	v_mov_b32_e32 v106, 0
	ds_read2_b64 v[107:110], v106 offset0:71 offset1:72
	ds_read2_b64 v[111:114], v106 offset0:73 offset1:74
	ds_read2_b64 v[115:118], v106 offset0:75 offset1:76
	ds_read2_b64 v[119:122], v106 offset0:77 offset1:78
	ds_read2_b64 v[123:126], v106 offset0:79 offset1:80
	buffer_load_dword v231, off, s[0:3], 0 offset:376
	buffer_load_dword v232, off, s[0:3], 0 offset:380
	v_cmp_lt_u32_e32 vcc, 17, v0
	s_waitcnt vmcnt(59) lgkmcnt(4)
	v_mul_f32_e32 v127, v107, v173
	s_waitcnt vmcnt(58)
	v_mul_f32_e32 v128, v109, v174
	s_waitcnt vmcnt(57) lgkmcnt(3)
	v_mul_f32_e32 v129, v111, v175
	s_waitcnt vmcnt(56)
	v_mul_f32_e32 v130, v113, v176
	;; [unrolled: 4-line block ×4, first 2 shown]
	s_waitcnt vmcnt(51)
	v_fmac_f32_e32 v127, v108, v181
	s_waitcnt vmcnt(50)
	v_fmac_f32_e32 v128, v110, v182
	v_add_f32_e32 v127, 0, v127
	s_waitcnt vmcnt(49)
	v_fmac_f32_e32 v129, v112, v183
	v_add_f32_e32 v127, v127, v128
	s_waitcnt vmcnt(48)
	v_fmac_f32_e32 v130, v114, v184
	v_add_f32_e32 v127, v127, v129
	s_waitcnt vmcnt(47)
	v_fmac_f32_e32 v131, v116, v185
	v_add_f32_e32 v127, v127, v130
	s_waitcnt vmcnt(46)
	v_fmac_f32_e32 v132, v118, v186
	v_add_f32_e32 v127, v127, v131
	s_waitcnt vmcnt(45)
	v_fmac_f32_e32 v133, v120, v187
	v_add_f32_e32 v127, v127, v132
	s_waitcnt vmcnt(44)
	v_fmac_f32_e32 v134, v122, v188
	v_add_f32_e32 v127, v127, v133
	v_add_f32_e32 v131, v127, v134
	ds_read2_b64 v[127:130], v106 offset0:81 offset1:82
	buffer_load_dword v233, off, s[0:3], 0 offset:388
	buffer_load_dword v234, off, s[0:3], 0 offset:384
	buffer_load_dword v235, off, s[0:3], 0 offset:392
	buffer_load_dword v236, off, s[0:3], 0 offset:396
	buffer_load_dword v237, off, s[0:3], 0 offset:404
	buffer_load_dword v238, off, s[0:3], 0 offset:400
	buffer_load_dword v239, off, s[0:3], 0 offset:408
	buffer_load_dword v240, off, s[0:3], 0 offset:412
	s_waitcnt vmcnt(51) lgkmcnt(1)
	v_mul_f32_e32 v132, v123, v189
	s_waitcnt vmcnt(50)
	v_fmac_f32_e32 v132, v124, v190
	v_mul_f32_e32 v108, v108, v173
	v_add_f32_e32 v131, v131, v132
	s_waitcnt vmcnt(49)
	v_mul_f32_e32 v132, v125, v191
	v_fma_f32 v107, v107, v181, -v108
	v_mul_f32_e32 v108, v110, v174
	s_waitcnt vmcnt(46)
	v_fmac_f32_e32 v132, v126, v194
	v_add_f32_e32 v107, 0, v107
	v_fma_f32 v108, v109, v182, -v108
	v_add_f32_e32 v131, v131, v132
	s_waitcnt vmcnt(44) lgkmcnt(0)
	v_mul_f32_e32 v132, v127, v196
	v_add_f32_e32 v107, v107, v108
	v_mul_f32_e32 v108, v112, v175
	v_fmac_f32_e32 v132, v128, v195
	v_fma_f32 v108, v111, v183, -v108
	v_add_f32_e32 v135, v131, v132
	ds_read2_b64 v[131:134], v106 offset0:83 offset1:84
	v_add_f32_e32 v107, v107, v108
	v_mul_f32_e32 v108, v114, v176
	v_fma_f32 v108, v113, v184, -v108
	s_waitcnt vmcnt(42)
	v_mul_f32_e32 v136, v129, v198
	v_add_f32_e32 v107, v107, v108
	v_mul_f32_e32 v108, v116, v177
	v_fmac_f32_e32 v136, v130, v197
	v_fma_f32 v108, v115, v185, -v108
	v_add_f32_e32 v139, v135, v136
	ds_read2_b64 v[135:138], v106 offset0:85 offset1:86
	v_add_f32_e32 v107, v107, v108
	v_mul_f32_e32 v108, v118, v178
	s_waitcnt vmcnt(40) lgkmcnt(1)
	v_mul_f32_e32 v140, v131, v200
	v_fma_f32 v108, v117, v186, -v108
	v_fmac_f32_e32 v140, v132, v199
	v_add_f32_e32 v107, v107, v108
	v_mul_f32_e32 v108, v120, v179
	v_add_f32_e32 v139, v139, v140
	s_waitcnt vmcnt(38)
	v_mul_f32_e32 v140, v133, v202
	v_fma_f32 v108, v119, v187, -v108
	v_fmac_f32_e32 v140, v134, v201
	v_add_f32_e32 v107, v107, v108
	v_mul_f32_e32 v108, v122, v180
	v_add_f32_e32 v139, v139, v140
	s_waitcnt vmcnt(36) lgkmcnt(0)
	v_mul_f32_e32 v140, v135, v204
	v_fma_f32 v108, v121, v188, -v108
	v_fmac_f32_e32 v140, v136, v203
	v_add_f32_e32 v107, v107, v108
	v_mul_f32_e32 v108, v124, v189
	v_add_f32_e32 v143, v139, v140
	ds_read2_b64 v[139:142], v106 offset0:87 offset1:88
	v_fma_f32 v108, v123, v190, -v108
	v_add_f32_e32 v107, v107, v108
	v_mul_f32_e32 v108, v126, v191
	s_waitcnt vmcnt(34)
	v_mul_f32_e32 v144, v137, v206
	v_fma_f32 v108, v125, v194, -v108
	v_fmac_f32_e32 v144, v138, v205
	v_add_f32_e32 v107, v107, v108
	v_mul_f32_e32 v108, v128, v196
	v_add_f32_e32 v147, v143, v144
	ds_read2_b64 v[143:146], v106 offset0:89 offset1:90
	v_fma_f32 v108, v127, v195, -v108
	s_waitcnt vmcnt(32) lgkmcnt(1)
	v_mul_f32_e32 v148, v139, v208
	v_add_f32_e32 v107, v107, v108
	v_mul_f32_e32 v108, v130, v198
	v_fmac_f32_e32 v148, v140, v207
	v_fma_f32 v108, v129, v197, -v108
	v_add_f32_e32 v147, v147, v148
	s_waitcnt vmcnt(30)
	v_mul_f32_e32 v148, v141, v210
	v_add_f32_e32 v107, v107, v108
	v_mul_f32_e32 v108, v132, v200
	v_fmac_f32_e32 v148, v142, v209
	v_fma_f32 v108, v131, v199, -v108
	v_add_f32_e32 v147, v147, v148
	s_waitcnt vmcnt(28) lgkmcnt(0)
	v_mul_f32_e32 v148, v143, v212
	v_add_f32_e32 v107, v107, v108
	v_mul_f32_e32 v108, v134, v202
	v_fmac_f32_e32 v148, v144, v211
	v_fma_f32 v108, v133, v201, -v108
	v_add_f32_e32 v151, v147, v148
	ds_read2_b64 v[147:150], v106 offset0:91 offset1:92
	v_add_f32_e32 v107, v107, v108
	v_mul_f32_e32 v108, v136, v204
	v_fma_f32 v108, v135, v203, -v108
	s_waitcnt vmcnt(26)
	v_mul_f32_e32 v152, v145, v214
	v_add_f32_e32 v107, v107, v108
	v_mul_f32_e32 v108, v138, v206
	v_fmac_f32_e32 v152, v146, v213
	v_fma_f32 v108, v137, v205, -v108
	v_add_f32_e32 v155, v151, v152
	ds_read2_b64 v[151:154], v106 offset0:93 offset1:94
	v_add_f32_e32 v107, v107, v108
	v_mul_f32_e32 v108, v140, v208
	s_waitcnt vmcnt(24) lgkmcnt(1)
	v_mul_f32_e32 v156, v147, v216
	v_fma_f32 v108, v139, v207, -v108
	v_fmac_f32_e32 v156, v148, v215
	v_add_f32_e32 v107, v107, v108
	v_mul_f32_e32 v108, v142, v210
	v_add_f32_e32 v155, v155, v156
	s_waitcnt vmcnt(22)
	v_mul_f32_e32 v156, v149, v218
	v_fma_f32 v108, v141, v209, -v108
	v_fmac_f32_e32 v156, v150, v217
	v_add_f32_e32 v107, v107, v108
	v_mul_f32_e32 v108, v144, v212
	v_add_f32_e32 v155, v155, v156
	s_waitcnt vmcnt(20) lgkmcnt(0)
	v_mul_f32_e32 v156, v151, v220
	v_fma_f32 v108, v143, v211, -v108
	v_fmac_f32_e32 v156, v152, v219
	v_add_f32_e32 v107, v107, v108
	v_mul_f32_e32 v108, v146, v214
	v_add_f32_e32 v159, v155, v156
	ds_read2_b64 v[155:158], v106 offset0:95 offset1:96
	v_fma_f32 v108, v145, v213, -v108
	v_add_f32_e32 v107, v107, v108
	v_mul_f32_e32 v108, v148, v216
	s_waitcnt vmcnt(18)
	v_mul_f32_e32 v160, v153, v222
	v_fma_f32 v108, v147, v215, -v108
	v_fmac_f32_e32 v160, v154, v221
	v_add_f32_e32 v107, v107, v108
	v_mul_f32_e32 v108, v150, v218
	v_add_f32_e32 v163, v159, v160
	ds_read2_b64 v[159:162], v106 offset0:97 offset1:98
	v_fma_f32 v108, v149, v217, -v108
	s_waitcnt vmcnt(16) lgkmcnt(1)
	v_mul_f32_e32 v164, v155, v224
	v_add_f32_e32 v107, v107, v108
	v_mul_f32_e32 v108, v152, v220
	v_fmac_f32_e32 v164, v156, v223
	v_fma_f32 v108, v151, v219, -v108
	v_add_f32_e32 v163, v163, v164
	s_waitcnt vmcnt(14)
	v_mul_f32_e32 v164, v157, v226
	v_add_f32_e32 v107, v107, v108
	v_mul_f32_e32 v108, v154, v222
	v_fmac_f32_e32 v164, v158, v225
	v_fma_f32 v108, v153, v221, -v108
	v_add_f32_e32 v163, v163, v164
	s_waitcnt vmcnt(12) lgkmcnt(0)
	v_mul_f32_e32 v164, v159, v228
	v_add_f32_e32 v107, v107, v108
	v_mul_f32_e32 v108, v156, v224
	v_fmac_f32_e32 v164, v160, v227
	v_fma_f32 v108, v155, v223, -v108
	v_add_f32_e32 v167, v163, v164
	ds_read2_b64 v[163:166], v106 offset0:99 offset1:100
	v_add_f32_e32 v107, v107, v108
	v_mul_f32_e32 v108, v158, v226
	v_fma_f32 v108, v157, v225, -v108
	v_add_f32_e32 v107, v107, v108
	v_mul_f32_e32 v108, v160, v228
	s_waitcnt vmcnt(10)
	v_mul_f32_e32 v168, v161, v230
	v_fma_f32 v108, v159, v227, -v108
	v_fmac_f32_e32 v168, v162, v229
	v_add_f32_e32 v107, v107, v108
	v_mul_f32_e32 v108, v162, v230
	v_add_f32_e32 v171, v167, v168
	ds_read2_b64 v[167:170], v106 offset0:101 offset1:102
	s_waitcnt vmcnt(8) lgkmcnt(1)
	v_mul_f32_e32 v172, v163, v232
	v_fma_f32 v108, v161, v229, -v108
	v_fmac_f32_e32 v172, v164, v231
	v_add_f32_e32 v107, v107, v108
	v_mul_f32_e32 v108, v164, v232
	v_add_f32_e32 v171, v171, v172
	s_waitcnt vmcnt(7)
	v_mul_f32_e32 v172, v165, v233
	v_fma_f32 v108, v163, v231, -v108
	s_waitcnt vmcnt(6)
	v_fmac_f32_e32 v172, v166, v234
	v_add_f32_e32 v107, v107, v108
	v_mul_f32_e32 v108, v166, v233
	v_add_f32_e32 v241, v171, v172
	ds_read_b64 v[171:172], v106 offset:824
	v_fma_f32 v108, v165, v234, -v108
	v_add_f32_e32 v107, v107, v108
	s_waitcnt vmcnt(4) lgkmcnt(1)
	v_mul_f32_e32 v108, v168, v236
	v_mul_f32_e32 v242, v167, v236
	v_fma_f32 v108, v167, v235, -v108
	v_fmac_f32_e32 v242, v168, v235
	v_add_f32_e32 v107, v107, v108
	s_waitcnt vmcnt(3)
	v_mul_f32_e32 v108, v170, v237
	v_add_f32_e32 v241, v241, v242
	v_mul_f32_e32 v242, v169, v237
	s_waitcnt vmcnt(2)
	v_fma_f32 v108, v169, v238, -v108
	v_fmac_f32_e32 v242, v170, v238
	v_add_f32_e32 v107, v107, v108
	s_waitcnt vmcnt(0) lgkmcnt(0)
	v_mul_f32_e32 v108, v172, v240
	v_add_f32_e32 v241, v241, v242
	v_mul_f32_e32 v242, v171, v240
	v_fma_f32 v108, v171, v239, -v108
	v_fmac_f32_e32 v242, v172, v239
	v_add_f32_e32 v107, v107, v108
	v_add_f32_e32 v241, v241, v242
	v_sub_f32_e32 v107, v192, v107
	v_sub_f32_e32 v108, v193, v241
	buffer_store_dword v107, off, s[0:3], 0 offset:144
	buffer_store_dword v108, off, s[0:3], 0 offset:148
	s_and_saveexec_b64 s[4:5], vcc
	s_cbranch_execz .LBB51_291
; %bb.290:
	buffer_load_dword v107, off, s[0:3], 0 offset:136
	buffer_load_dword v108, off, s[0:3], 0 offset:140
	s_waitcnt vmcnt(0)
	ds_write_b64 v105, v[107:108]
	buffer_store_dword v106, off, s[0:3], 0 offset:136
	buffer_store_dword v106, off, s[0:3], 0 offset:140
.LBB51_291:
	s_or_b64 exec, exec, s[4:5]
	s_waitcnt lgkmcnt(0)
	; wave barrier
	buffer_load_dword v175, off, s[0:3], 0 offset:148
	buffer_load_dword v176, off, s[0:3], 0 offset:156
	;; [unrolled: 1-line block ×24, first 2 shown]
	ds_read_b128 v[107:110], v106 offset:560
	ds_read_b128 v[111:114], v106 offset:576
	;; [unrolled: 1-line block ×6, first 2 shown]
	buffer_load_dword v199, off, s[0:3], 0 offset:236
	buffer_load_dword v200, off, s[0:3], 0 offset:232
	;; [unrolled: 1-line block ×46, first 2 shown]
	v_cmp_lt_u32_e32 vcc, 16, v0
	s_waitcnt vmcnt(62) lgkmcnt(5)
	v_mul_f32_e32 v131, v107, v175
	v_mul_f32_e32 v132, v109, v176
	s_waitcnt lgkmcnt(4)
	v_mul_f32_e32 v133, v111, v177
	v_mul_f32_e32 v134, v113, v178
	s_waitcnt lgkmcnt(3)
	;; [unrolled: 3-line block ×3, first 2 shown]
	v_mul_f32_e32 v137, v119, v181
	v_mul_f32_e32 v138, v121, v182
	s_waitcnt vmcnt(61)
	v_fmac_f32_e32 v131, v108, v183
	s_waitcnt vmcnt(60)
	v_fmac_f32_e32 v132, v110, v184
	v_add_f32_e32 v131, 0, v131
	s_waitcnt vmcnt(59)
	v_fmac_f32_e32 v133, v112, v185
	v_add_f32_e32 v131, v131, v132
	;; [unrolled: 3-line block ×7, first 2 shown]
	s_waitcnt vmcnt(53) lgkmcnt(1)
	v_mul_f32_e32 v132, v123, v191
	v_add_f32_e32 v131, v131, v138
	s_waitcnt vmcnt(52)
	v_fmac_f32_e32 v132, v124, v192
	v_mul_f32_e32 v108, v108, v175
	v_add_f32_e32 v131, v131, v132
	s_waitcnt vmcnt(51)
	v_mul_f32_e32 v132, v125, v193
	v_fma_f32 v107, v107, v183, -v108
	v_mul_f32_e32 v108, v110, v176
	s_waitcnt vmcnt(50)
	v_fmac_f32_e32 v132, v126, v194
	v_add_f32_e32 v107, 0, v107
	v_fma_f32 v108, v109, v184, -v108
	v_add_f32_e32 v131, v131, v132
	s_waitcnt vmcnt(47) lgkmcnt(0)
	v_mul_f32_e32 v132, v127, v197
	v_add_f32_e32 v107, v107, v108
	v_mul_f32_e32 v108, v112, v177
	s_waitcnt vmcnt(46)
	v_fmac_f32_e32 v132, v128, v198
	v_fma_f32 v108, v111, v185, -v108
	v_add_f32_e32 v135, v131, v132
	ds_read_b128 v[131:134], v106 offset:656
	v_add_f32_e32 v107, v107, v108
	v_mul_f32_e32 v108, v114, v178
	v_fma_f32 v108, v113, v186, -v108
	s_waitcnt vmcnt(45)
	v_mul_f32_e32 v136, v129, v199
	v_add_f32_e32 v107, v107, v108
	v_mul_f32_e32 v108, v116, v179
	s_waitcnt vmcnt(44)
	v_fmac_f32_e32 v136, v130, v200
	v_fma_f32 v108, v115, v187, -v108
	v_add_f32_e32 v139, v135, v136
	ds_read_b128 v[135:138], v106 offset:672
	v_add_f32_e32 v107, v107, v108
	v_mul_f32_e32 v108, v118, v180
	s_waitcnt vmcnt(42) lgkmcnt(1)
	v_mul_f32_e32 v140, v131, v202
	v_fma_f32 v108, v117, v188, -v108
	v_fmac_f32_e32 v140, v132, v201
	v_add_f32_e32 v107, v107, v108
	v_mul_f32_e32 v108, v120, v181
	v_add_f32_e32 v139, v139, v140
	s_waitcnt vmcnt(40)
	v_mul_f32_e32 v140, v133, v204
	v_fma_f32 v108, v119, v189, -v108
	v_fmac_f32_e32 v140, v134, v203
	v_add_f32_e32 v107, v107, v108
	v_mul_f32_e32 v108, v122, v182
	v_add_f32_e32 v139, v139, v140
	s_waitcnt vmcnt(38) lgkmcnt(0)
	v_mul_f32_e32 v140, v135, v206
	v_fma_f32 v108, v121, v190, -v108
	v_fmac_f32_e32 v140, v136, v205
	v_add_f32_e32 v107, v107, v108
	v_mul_f32_e32 v108, v124, v191
	v_add_f32_e32 v143, v139, v140
	ds_read_b128 v[139:142], v106 offset:688
	v_fma_f32 v108, v123, v192, -v108
	v_add_f32_e32 v107, v107, v108
	v_mul_f32_e32 v108, v126, v193
	s_waitcnt vmcnt(36)
	v_mul_f32_e32 v144, v137, v208
	v_fma_f32 v108, v125, v194, -v108
	v_fmac_f32_e32 v144, v138, v207
	v_add_f32_e32 v107, v107, v108
	v_mul_f32_e32 v108, v128, v197
	v_add_f32_e32 v147, v143, v144
	ds_read_b128 v[143:146], v106 offset:704
	v_fma_f32 v108, v127, v198, -v108
	s_waitcnt vmcnt(34) lgkmcnt(1)
	v_mul_f32_e32 v148, v139, v210
	v_add_f32_e32 v107, v107, v108
	v_mul_f32_e32 v108, v130, v199
	v_fmac_f32_e32 v148, v140, v209
	v_fma_f32 v108, v129, v200, -v108
	v_add_f32_e32 v147, v147, v148
	s_waitcnt vmcnt(32)
	v_mul_f32_e32 v148, v141, v212
	v_add_f32_e32 v107, v107, v108
	v_mul_f32_e32 v108, v132, v202
	v_fmac_f32_e32 v148, v142, v211
	v_fma_f32 v108, v131, v201, -v108
	v_add_f32_e32 v147, v147, v148
	s_waitcnt vmcnt(30) lgkmcnt(0)
	v_mul_f32_e32 v148, v143, v214
	v_add_f32_e32 v107, v107, v108
	v_mul_f32_e32 v108, v134, v204
	v_fmac_f32_e32 v148, v144, v213
	v_fma_f32 v108, v133, v203, -v108
	v_add_f32_e32 v151, v147, v148
	ds_read_b128 v[147:150], v106 offset:720
	v_add_f32_e32 v107, v107, v108
	v_mul_f32_e32 v108, v136, v206
	v_fma_f32 v108, v135, v205, -v108
	s_waitcnt vmcnt(28)
	v_mul_f32_e32 v152, v145, v216
	v_add_f32_e32 v107, v107, v108
	v_mul_f32_e32 v108, v138, v208
	v_fmac_f32_e32 v152, v146, v215
	v_fma_f32 v108, v137, v207, -v108
	v_add_f32_e32 v155, v151, v152
	ds_read_b128 v[151:154], v106 offset:736
	v_add_f32_e32 v107, v107, v108
	v_mul_f32_e32 v108, v140, v210
	s_waitcnt vmcnt(26) lgkmcnt(1)
	v_mul_f32_e32 v156, v147, v218
	v_fma_f32 v108, v139, v209, -v108
	v_fmac_f32_e32 v156, v148, v217
	v_add_f32_e32 v107, v107, v108
	v_mul_f32_e32 v108, v142, v212
	v_add_f32_e32 v155, v155, v156
	s_waitcnt vmcnt(24)
	v_mul_f32_e32 v156, v149, v220
	v_fma_f32 v108, v141, v211, -v108
	v_fmac_f32_e32 v156, v150, v219
	v_add_f32_e32 v107, v107, v108
	v_mul_f32_e32 v108, v144, v214
	v_add_f32_e32 v155, v155, v156
	s_waitcnt vmcnt(22) lgkmcnt(0)
	v_mul_f32_e32 v156, v151, v222
	v_fma_f32 v108, v143, v213, -v108
	v_fmac_f32_e32 v156, v152, v221
	v_add_f32_e32 v107, v107, v108
	v_mul_f32_e32 v108, v146, v216
	v_add_f32_e32 v159, v155, v156
	ds_read_b128 v[155:158], v106 offset:752
	v_fma_f32 v108, v145, v215, -v108
	v_add_f32_e32 v107, v107, v108
	v_mul_f32_e32 v108, v148, v218
	s_waitcnt vmcnt(20)
	v_mul_f32_e32 v160, v153, v224
	v_fma_f32 v108, v147, v217, -v108
	v_fmac_f32_e32 v160, v154, v223
	v_add_f32_e32 v107, v107, v108
	v_mul_f32_e32 v108, v150, v220
	v_add_f32_e32 v163, v159, v160
	ds_read_b128 v[159:162], v106 offset:768
	v_fma_f32 v108, v149, v219, -v108
	s_waitcnt vmcnt(18) lgkmcnt(1)
	v_mul_f32_e32 v164, v155, v226
	v_add_f32_e32 v107, v107, v108
	v_mul_f32_e32 v108, v152, v222
	v_fmac_f32_e32 v164, v156, v225
	v_fma_f32 v108, v151, v221, -v108
	v_add_f32_e32 v163, v163, v164
	s_waitcnt vmcnt(16)
	v_mul_f32_e32 v164, v157, v228
	v_add_f32_e32 v107, v107, v108
	v_mul_f32_e32 v108, v154, v224
	v_fmac_f32_e32 v164, v158, v227
	v_fma_f32 v108, v153, v223, -v108
	v_add_f32_e32 v163, v163, v164
	s_waitcnt vmcnt(14) lgkmcnt(0)
	v_mul_f32_e32 v164, v159, v230
	v_add_f32_e32 v107, v107, v108
	v_mul_f32_e32 v108, v156, v226
	v_fmac_f32_e32 v164, v160, v229
	v_fma_f32 v108, v155, v225, -v108
	v_add_f32_e32 v167, v163, v164
	ds_read_b128 v[163:166], v106 offset:784
	v_add_f32_e32 v107, v107, v108
	v_mul_f32_e32 v108, v158, v228
	v_fma_f32 v108, v157, v227, -v108
	v_add_f32_e32 v107, v107, v108
	v_mul_f32_e32 v108, v160, v230
	s_waitcnt vmcnt(12)
	v_mul_f32_e32 v168, v161, v232
	v_fma_f32 v108, v159, v229, -v108
	v_fmac_f32_e32 v168, v162, v231
	v_add_f32_e32 v107, v107, v108
	v_mul_f32_e32 v108, v162, v232
	v_add_f32_e32 v171, v167, v168
	ds_read_b128 v[167:170], v106 offset:800
	s_waitcnt vmcnt(10) lgkmcnt(1)
	v_mul_f32_e32 v172, v163, v234
	v_fma_f32 v108, v161, v231, -v108
	v_fmac_f32_e32 v172, v164, v233
	v_add_f32_e32 v107, v107, v108
	v_mul_f32_e32 v108, v164, v234
	v_add_f32_e32 v171, v171, v172
	s_waitcnt vmcnt(9)
	v_mul_f32_e32 v172, v165, v235
	v_fma_f32 v108, v163, v233, -v108
	s_waitcnt vmcnt(8)
	v_fmac_f32_e32 v172, v166, v236
	v_add_f32_e32 v107, v107, v108
	v_mul_f32_e32 v108, v166, v235
	v_add_f32_e32 v245, v171, v172
	ds_read_b128 v[171:174], v106 offset:816
	v_fma_f32 v108, v165, v236, -v108
	v_add_f32_e32 v107, v107, v108
	s_waitcnt vmcnt(6) lgkmcnt(1)
	v_mul_f32_e32 v108, v168, v238
	v_mul_f32_e32 v246, v167, v238
	v_fma_f32 v108, v167, v237, -v108
	v_fmac_f32_e32 v246, v168, v237
	v_add_f32_e32 v107, v107, v108
	s_waitcnt vmcnt(4)
	v_mul_f32_e32 v108, v170, v240
	v_add_f32_e32 v106, v245, v246
	v_mul_f32_e32 v245, v169, v240
	v_fma_f32 v108, v169, v239, -v108
	v_fmac_f32_e32 v245, v170, v239
	v_add_f32_e32 v107, v107, v108
	s_waitcnt vmcnt(3) lgkmcnt(0)
	v_mul_f32_e32 v108, v172, v241
	v_add_f32_e32 v106, v106, v245
	v_mul_f32_e32 v245, v171, v241
	s_waitcnt vmcnt(2)
	v_fma_f32 v108, v171, v242, -v108
	v_fmac_f32_e32 v245, v172, v242
	v_add_f32_e32 v107, v107, v108
	s_waitcnt vmcnt(0)
	v_mul_f32_e32 v108, v174, v244
	v_add_f32_e32 v106, v106, v245
	v_mul_f32_e32 v245, v173, v244
	v_fma_f32 v108, v173, v243, -v108
	v_fmac_f32_e32 v245, v174, v243
	v_add_f32_e32 v107, v107, v108
	v_add_f32_e32 v106, v106, v245
	v_sub_f32_e32 v107, v195, v107
	v_sub_f32_e32 v106, v196, v106
	buffer_store_dword v107, off, s[0:3], 0 offset:136
	buffer_store_dword v106, off, s[0:3], 0 offset:140
	s_and_saveexec_b64 s[4:5], vcc
	s_cbranch_execz .LBB51_293
; %bb.292:
	buffer_load_dword v106, off, s[0:3], 0 offset:128
	buffer_load_dword v107, off, s[0:3], 0 offset:132
	v_mov_b32_e32 v108, 0
	buffer_store_dword v108, off, s[0:3], 0 offset:128
	buffer_store_dword v108, off, s[0:3], 0 offset:132
	s_waitcnt vmcnt(2)
	ds_write_b64 v105, v[106:107]
.LBB51_293:
	s_or_b64 exec, exec, s[4:5]
	s_waitcnt lgkmcnt(0)
	; wave barrier
	buffer_load_dword v177, off, s[0:3], 0 offset:140
	buffer_load_dword v178, off, s[0:3], 0 offset:148
	;; [unrolled: 1-line block ×56, first 2 shown]
	v_mov_b32_e32 v106, 0
	ds_read2_b64 v[107:110], v106 offset0:69 offset1:70
	ds_read2_b64 v[111:114], v106 offset0:71 offset1:72
	;; [unrolled: 1-line block ×6, first 2 shown]
	buffer_load_dword v233, off, s[0:3], 0 offset:352
	buffer_load_dword v234, off, s[0:3], 0 offset:356
	;; [unrolled: 1-line block ×12, first 2 shown]
	v_cmp_lt_u32_e32 vcc, 15, v0
	s_waitcnt vmcnt(62) lgkmcnt(5)
	v_mul_f32_e32 v131, v107, v177
	v_mul_f32_e32 v132, v109, v178
	s_waitcnt lgkmcnt(4)
	v_mul_f32_e32 v133, v111, v179
	v_mul_f32_e32 v134, v113, v180
	s_waitcnt lgkmcnt(3)
	v_mul_f32_e32 v135, v115, v181
	v_mul_f32_e32 v136, v117, v182
	s_waitcnt vmcnt(61) lgkmcnt(2)
	v_mul_f32_e32 v137, v119, v183
	s_waitcnt vmcnt(60)
	v_mul_f32_e32 v138, v121, v184
	s_waitcnt vmcnt(59) lgkmcnt(1)
	v_mul_f32_e32 v139, v123, v185
	s_waitcnt vmcnt(58)
	v_fmac_f32_e32 v131, v108, v186
	s_waitcnt vmcnt(57)
	v_fmac_f32_e32 v132, v110, v187
	v_add_f32_e32 v131, 0, v131
	s_waitcnt vmcnt(56)
	v_fmac_f32_e32 v133, v112, v188
	v_add_f32_e32 v131, v131, v132
	s_waitcnt vmcnt(55)
	v_fmac_f32_e32 v134, v114, v189
	v_add_f32_e32 v131, v131, v133
	s_waitcnt vmcnt(54)
	v_fmac_f32_e32 v135, v116, v190
	v_add_f32_e32 v131, v131, v134
	s_waitcnt vmcnt(53)
	v_fmac_f32_e32 v136, v118, v191
	v_add_f32_e32 v131, v131, v135
	s_waitcnt vmcnt(52)
	v_fmac_f32_e32 v137, v120, v192
	v_add_f32_e32 v131, v131, v136
	s_waitcnt vmcnt(51)
	v_fmac_f32_e32 v138, v122, v193
	v_add_f32_e32 v131, v131, v137
	v_add_f32_e32 v131, v131, v138
	s_waitcnt vmcnt(50)
	v_fmac_f32_e32 v139, v124, v194
	s_waitcnt vmcnt(49)
	v_mul_f32_e32 v132, v125, v195
	v_add_f32_e32 v131, v131, v139
	s_waitcnt vmcnt(48)
	v_fmac_f32_e32 v132, v126, v196
	v_add_f32_e32 v131, v131, v132
	s_waitcnt vmcnt(47) lgkmcnt(0)
	v_mul_f32_e32 v132, v127, v197
	s_waitcnt vmcnt(44)
	v_fmac_f32_e32 v132, v128, v200
	v_add_f32_e32 v135, v131, v132
	ds_read2_b64 v[131:134], v106 offset0:81 offset1:82
	buffer_load_dword v245, off, s[0:3], 0 offset:404
	buffer_load_dword v246, off, s[0:3], 0 offset:400
	;; [unrolled: 1-line block ×4, first 2 shown]
	v_mul_f32_e32 v108, v108, v177
	v_fma_f32 v107, v107, v186, -v108
	v_mul_f32_e32 v108, v110, v178
	v_add_f32_e32 v107, 0, v107
	v_fma_f32 v108, v109, v187, -v108
	v_add_f32_e32 v107, v107, v108
	v_mul_f32_e32 v108, v112, v179
	v_fma_f32 v108, v111, v188, -v108
	s_waitcnt vmcnt(46)
	v_mul_f32_e32 v136, v129, v202
	v_add_f32_e32 v107, v107, v108
	v_mul_f32_e32 v108, v114, v180
	v_fmac_f32_e32 v136, v130, v201
	v_fma_f32 v108, v113, v189, -v108
	v_add_f32_e32 v139, v135, v136
	ds_read2_b64 v[135:138], v106 offset0:83 offset1:84
	v_add_f32_e32 v107, v107, v108
	v_mul_f32_e32 v108, v116, v181
	s_waitcnt vmcnt(44) lgkmcnt(1)
	v_mul_f32_e32 v140, v131, v204
	v_fma_f32 v108, v115, v190, -v108
	v_fmac_f32_e32 v140, v132, v203
	v_add_f32_e32 v107, v107, v108
	v_mul_f32_e32 v108, v118, v182
	v_add_f32_e32 v139, v139, v140
	s_waitcnt vmcnt(42)
	v_mul_f32_e32 v140, v133, v206
	v_fma_f32 v108, v117, v191, -v108
	v_fmac_f32_e32 v140, v134, v205
	v_add_f32_e32 v107, v107, v108
	v_mul_f32_e32 v108, v120, v183
	v_add_f32_e32 v139, v139, v140
	s_waitcnt vmcnt(40) lgkmcnt(0)
	v_mul_f32_e32 v140, v135, v208
	v_fma_f32 v108, v119, v192, -v108
	v_fmac_f32_e32 v140, v136, v207
	v_add_f32_e32 v107, v107, v108
	v_mul_f32_e32 v108, v122, v184
	v_add_f32_e32 v143, v139, v140
	ds_read2_b64 v[139:142], v106 offset0:85 offset1:86
	v_fma_f32 v108, v121, v193, -v108
	v_add_f32_e32 v107, v107, v108
	v_mul_f32_e32 v108, v124, v185
	s_waitcnt vmcnt(38)
	v_mul_f32_e32 v144, v137, v210
	v_fma_f32 v108, v123, v194, -v108
	v_fmac_f32_e32 v144, v138, v209
	v_add_f32_e32 v107, v107, v108
	v_mul_f32_e32 v108, v126, v195
	v_add_f32_e32 v147, v143, v144
	ds_read2_b64 v[143:146], v106 offset0:87 offset1:88
	v_fma_f32 v108, v125, v196, -v108
	s_waitcnt vmcnt(36) lgkmcnt(1)
	v_mul_f32_e32 v148, v139, v212
	v_add_f32_e32 v107, v107, v108
	v_mul_f32_e32 v108, v128, v197
	v_fmac_f32_e32 v148, v140, v211
	v_fma_f32 v108, v127, v200, -v108
	v_add_f32_e32 v147, v147, v148
	s_waitcnt vmcnt(34)
	v_mul_f32_e32 v148, v141, v214
	v_add_f32_e32 v107, v107, v108
	v_mul_f32_e32 v108, v130, v202
	v_fmac_f32_e32 v148, v142, v213
	v_fma_f32 v108, v129, v201, -v108
	v_add_f32_e32 v147, v147, v148
	s_waitcnt vmcnt(32) lgkmcnt(0)
	v_mul_f32_e32 v148, v143, v216
	v_add_f32_e32 v107, v107, v108
	v_mul_f32_e32 v108, v132, v204
	v_fmac_f32_e32 v148, v144, v215
	v_fma_f32 v108, v131, v203, -v108
	v_add_f32_e32 v151, v147, v148
	ds_read2_b64 v[147:150], v106 offset0:89 offset1:90
	v_add_f32_e32 v107, v107, v108
	v_mul_f32_e32 v108, v134, v206
	v_fma_f32 v108, v133, v205, -v108
	s_waitcnt vmcnt(30)
	v_mul_f32_e32 v152, v145, v218
	v_add_f32_e32 v107, v107, v108
	v_mul_f32_e32 v108, v136, v208
	v_fmac_f32_e32 v152, v146, v217
	v_fma_f32 v108, v135, v207, -v108
	v_add_f32_e32 v155, v151, v152
	ds_read2_b64 v[151:154], v106 offset0:91 offset1:92
	v_add_f32_e32 v107, v107, v108
	v_mul_f32_e32 v108, v138, v210
	s_waitcnt vmcnt(28) lgkmcnt(1)
	v_mul_f32_e32 v156, v147, v220
	v_fma_f32 v108, v137, v209, -v108
	v_fmac_f32_e32 v156, v148, v219
	v_add_f32_e32 v107, v107, v108
	v_mul_f32_e32 v108, v140, v212
	v_add_f32_e32 v155, v155, v156
	s_waitcnt vmcnt(26)
	v_mul_f32_e32 v156, v149, v222
	v_fma_f32 v108, v139, v211, -v108
	v_fmac_f32_e32 v156, v150, v221
	v_add_f32_e32 v107, v107, v108
	v_mul_f32_e32 v108, v142, v214
	v_add_f32_e32 v155, v155, v156
	s_waitcnt vmcnt(24) lgkmcnt(0)
	v_mul_f32_e32 v156, v151, v224
	v_fma_f32 v108, v141, v213, -v108
	v_fmac_f32_e32 v156, v152, v223
	v_add_f32_e32 v107, v107, v108
	v_mul_f32_e32 v108, v144, v216
	v_add_f32_e32 v159, v155, v156
	ds_read2_b64 v[155:158], v106 offset0:93 offset1:94
	v_fma_f32 v108, v143, v215, -v108
	v_add_f32_e32 v107, v107, v108
	v_mul_f32_e32 v108, v146, v218
	s_waitcnt vmcnt(22)
	v_mul_f32_e32 v160, v153, v226
	v_fma_f32 v108, v145, v217, -v108
	v_fmac_f32_e32 v160, v154, v225
	v_add_f32_e32 v107, v107, v108
	v_mul_f32_e32 v108, v148, v220
	v_add_f32_e32 v163, v159, v160
	ds_read2_b64 v[159:162], v106 offset0:95 offset1:96
	v_fma_f32 v108, v147, v219, -v108
	s_waitcnt vmcnt(20) lgkmcnt(1)
	v_mul_f32_e32 v164, v155, v228
	v_add_f32_e32 v107, v107, v108
	v_mul_f32_e32 v108, v150, v222
	v_fmac_f32_e32 v164, v156, v227
	v_fma_f32 v108, v149, v221, -v108
	v_add_f32_e32 v163, v163, v164
	s_waitcnt vmcnt(18)
	v_mul_f32_e32 v164, v157, v230
	v_add_f32_e32 v107, v107, v108
	v_mul_f32_e32 v108, v152, v224
	v_fmac_f32_e32 v164, v158, v229
	v_fma_f32 v108, v151, v223, -v108
	v_add_f32_e32 v163, v163, v164
	s_waitcnt vmcnt(16) lgkmcnt(0)
	v_mul_f32_e32 v164, v159, v232
	v_add_f32_e32 v107, v107, v108
	v_mul_f32_e32 v108, v154, v226
	v_fmac_f32_e32 v164, v160, v231
	v_fma_f32 v108, v153, v225, -v108
	v_add_f32_e32 v167, v163, v164
	ds_read2_b64 v[163:166], v106 offset0:97 offset1:98
	v_add_f32_e32 v107, v107, v108
	v_mul_f32_e32 v108, v156, v228
	v_fma_f32 v108, v155, v227, -v108
	s_waitcnt vmcnt(14)
	v_mul_f32_e32 v168, v161, v234
	v_add_f32_e32 v107, v107, v108
	v_mul_f32_e32 v108, v158, v230
	v_fmac_f32_e32 v168, v162, v233
	v_fma_f32 v108, v157, v229, -v108
	v_add_f32_e32 v171, v167, v168
	ds_read2_b64 v[167:170], v106 offset0:99 offset1:100
	v_add_f32_e32 v107, v107, v108
	v_mul_f32_e32 v108, v160, v232
	s_waitcnt vmcnt(12) lgkmcnt(1)
	v_mul_f32_e32 v172, v163, v236
	v_fma_f32 v108, v159, v231, -v108
	v_fmac_f32_e32 v172, v164, v235
	v_add_f32_e32 v107, v107, v108
	v_mul_f32_e32 v108, v162, v234
	v_add_f32_e32 v171, v171, v172
	s_waitcnt vmcnt(11)
	v_mul_f32_e32 v172, v165, v237
	v_fma_f32 v108, v161, v233, -v108
	s_waitcnt vmcnt(10)
	v_fmac_f32_e32 v172, v166, v238
	v_add_f32_e32 v107, v107, v108
	v_mul_f32_e32 v108, v164, v236
	v_add_f32_e32 v171, v171, v172
	s_waitcnt vmcnt(8) lgkmcnt(0)
	v_mul_f32_e32 v172, v167, v240
	v_fma_f32 v108, v163, v235, -v108
	v_fmac_f32_e32 v172, v168, v239
	v_add_f32_e32 v107, v107, v108
	v_mul_f32_e32 v108, v166, v237
	v_add_f32_e32 v175, v171, v172
	ds_read2_b64 v[171:174], v106 offset0:101 offset1:102
	v_fma_f32 v108, v165, v238, -v108
	v_add_f32_e32 v107, v107, v108
	v_mul_f32_e32 v108, v168, v240
	s_waitcnt vmcnt(6)
	v_mul_f32_e32 v176, v169, v242
	v_fma_f32 v108, v167, v239, -v108
	v_fmac_f32_e32 v176, v170, v241
	v_add_f32_e32 v107, v107, v108
	v_mul_f32_e32 v108, v170, v242
	v_add_f32_e32 v249, v175, v176
	ds_read_b64 v[175:176], v106 offset:824
	v_fma_f32 v108, v169, v241, -v108
	v_add_f32_e32 v107, v107, v108
	s_waitcnt vmcnt(4) lgkmcnt(1)
	v_mul_f32_e32 v108, v172, v244
	v_mul_f32_e32 v250, v171, v244
	v_fma_f32 v108, v171, v243, -v108
	v_fmac_f32_e32 v250, v172, v243
	v_add_f32_e32 v107, v107, v108
	s_waitcnt vmcnt(3)
	v_mul_f32_e32 v108, v174, v245
	v_add_f32_e32 v249, v249, v250
	v_mul_f32_e32 v250, v173, v245
	s_waitcnt vmcnt(2)
	v_fma_f32 v108, v173, v246, -v108
	v_fmac_f32_e32 v250, v174, v246
	v_add_f32_e32 v107, v107, v108
	s_waitcnt vmcnt(0) lgkmcnt(0)
	v_mul_f32_e32 v108, v176, v248
	v_add_f32_e32 v249, v249, v250
	v_mul_f32_e32 v250, v175, v248
	v_fma_f32 v108, v175, v247, -v108
	v_fmac_f32_e32 v250, v176, v247
	v_add_f32_e32 v107, v107, v108
	v_add_f32_e32 v249, v249, v250
	v_sub_f32_e32 v107, v198, v107
	v_sub_f32_e32 v108, v199, v249
	buffer_store_dword v107, off, s[0:3], 0 offset:128
	buffer_store_dword v108, off, s[0:3], 0 offset:132
	s_and_saveexec_b64 s[4:5], vcc
	s_cbranch_execz .LBB51_295
; %bb.294:
	buffer_load_dword v107, off, s[0:3], 0 offset:120
	buffer_load_dword v108, off, s[0:3], 0 offset:124
	s_waitcnt vmcnt(0)
	ds_write_b64 v105, v[107:108]
	buffer_store_dword v106, off, s[0:3], 0 offset:120
	buffer_store_dword v106, off, s[0:3], 0 offset:124
.LBB51_295:
	s_or_b64 exec, exec, s[4:5]
	s_waitcnt lgkmcnt(0)
	; wave barrier
	buffer_load_dword v179, off, s[0:3], 0 offset:132
	buffer_load_dword v180, off, s[0:3], 0 offset:140
	;; [unrolled: 1-line block ×26, first 2 shown]
	ds_read_b128 v[107:110], v106 offset:544
	ds_read_b128 v[111:114], v106 offset:560
	;; [unrolled: 1-line block ×6, first 2 shown]
	buffer_load_dword v205, off, s[0:3], 0 offset:224
	buffer_load_dword v206, off, s[0:3], 0 offset:228
	;; [unrolled: 1-line block ×42, first 2 shown]
	v_cmp_lt_u32_e32 vcc, 14, v0
	s_waitcnt vmcnt(62) lgkmcnt(5)
	v_mul_f32_e32 v131, v107, v179
	v_mul_f32_e32 v132, v109, v180
	s_waitcnt lgkmcnt(4)
	v_mul_f32_e32 v133, v111, v181
	v_mul_f32_e32 v134, v113, v182
	s_waitcnt lgkmcnt(3)
	v_mul_f32_e32 v135, v115, v183
	v_mul_f32_e32 v136, v117, v184
	s_waitcnt vmcnt(61) lgkmcnt(2)
	v_mul_f32_e32 v137, v119, v185
	s_waitcnt vmcnt(60)
	v_mul_f32_e32 v138, v121, v186
	s_waitcnt vmcnt(59) lgkmcnt(1)
	v_mul_f32_e32 v139, v123, v187
	s_waitcnt vmcnt(58)
	v_fmac_f32_e32 v131, v108, v188
	s_waitcnt vmcnt(57)
	v_fmac_f32_e32 v132, v110, v189
	v_add_f32_e32 v131, 0, v131
	s_waitcnt vmcnt(56)
	v_fmac_f32_e32 v133, v112, v190
	v_add_f32_e32 v131, v131, v132
	;; [unrolled: 3-line block ×8, first 2 shown]
	s_waitcnt vmcnt(49)
	v_mul_f32_e32 v132, v125, v197
	v_add_f32_e32 v131, v131, v139
	s_waitcnt vmcnt(48)
	v_fmac_f32_e32 v132, v126, v198
	v_add_f32_e32 v131, v131, v132
	s_waitcnt vmcnt(47) lgkmcnt(0)
	v_mul_f32_e32 v132, v127, v199
	s_waitcnt vmcnt(46)
	v_fmac_f32_e32 v132, v128, v200
	v_add_f32_e32 v131, v131, v132
	s_waitcnt vmcnt(42)
	v_mul_f32_e32 v132, v129, v204
	v_fmac_f32_e32 v132, v130, v203
	v_add_f32_e32 v139, v131, v132
	ds_read_b128 v[131:134], v106 offset:640
	buffer_load_dword v247, off, s[0:3], 0 offset:396
	buffer_load_dword v248, off, s[0:3], 0 offset:392
	;; [unrolled: 1-line block ×4, first 2 shown]
	ds_read_b128 v[135:138], v106 offset:656
	buffer_load_dword v251, off, s[0:3], 0 offset:408
	buffer_load_dword v252, off, s[0:3], 0 offset:412
	v_mul_f32_e32 v108, v108, v179
	v_fma_f32 v107, v107, v188, -v108
	v_mul_f32_e32 v108, v110, v180
	v_add_f32_e32 v107, 0, v107
	v_fma_f32 v108, v109, v189, -v108
	v_add_f32_e32 v107, v107, v108
	v_mul_f32_e32 v108, v112, v181
	v_fma_f32 v108, v111, v190, -v108
	v_add_f32_e32 v107, v107, v108
	v_mul_f32_e32 v108, v114, v182
	v_fma_f32 v108, v113, v191, -v108
	v_add_f32_e32 v107, v107, v108
	v_mul_f32_e32 v108, v116, v183
	s_waitcnt vmcnt(46) lgkmcnt(1)
	v_mul_f32_e32 v140, v131, v206
	v_fma_f32 v108, v115, v192, -v108
	v_fmac_f32_e32 v140, v132, v205
	v_add_f32_e32 v107, v107, v108
	v_mul_f32_e32 v108, v118, v184
	v_add_f32_e32 v139, v139, v140
	s_waitcnt vmcnt(44)
	v_mul_f32_e32 v140, v133, v208
	v_fma_f32 v108, v117, v193, -v108
	v_fmac_f32_e32 v140, v134, v207
	v_add_f32_e32 v107, v107, v108
	v_mul_f32_e32 v108, v120, v185
	v_add_f32_e32 v139, v139, v140
	s_waitcnt vmcnt(42) lgkmcnt(0)
	v_mul_f32_e32 v140, v135, v210
	v_fma_f32 v108, v119, v194, -v108
	v_fmac_f32_e32 v140, v136, v209
	v_add_f32_e32 v107, v107, v108
	v_mul_f32_e32 v108, v122, v186
	v_add_f32_e32 v143, v139, v140
	ds_read_b128 v[139:142], v106 offset:672
	v_fma_f32 v108, v121, v195, -v108
	v_add_f32_e32 v107, v107, v108
	v_mul_f32_e32 v108, v124, v187
	s_waitcnt vmcnt(40)
	v_mul_f32_e32 v144, v137, v212
	v_fma_f32 v108, v123, v196, -v108
	v_fmac_f32_e32 v144, v138, v211
	v_add_f32_e32 v107, v107, v108
	v_mul_f32_e32 v108, v126, v197
	v_add_f32_e32 v147, v143, v144
	ds_read_b128 v[143:146], v106 offset:688
	v_fma_f32 v108, v125, v198, -v108
	s_waitcnt vmcnt(38) lgkmcnt(1)
	v_mul_f32_e32 v148, v139, v214
	v_add_f32_e32 v107, v107, v108
	v_mul_f32_e32 v108, v128, v199
	v_fmac_f32_e32 v148, v140, v213
	v_fma_f32 v108, v127, v200, -v108
	v_add_f32_e32 v147, v147, v148
	s_waitcnt vmcnt(36)
	v_mul_f32_e32 v148, v141, v216
	v_add_f32_e32 v107, v107, v108
	v_mul_f32_e32 v108, v130, v204
	v_fmac_f32_e32 v148, v142, v215
	v_fma_f32 v108, v129, v203, -v108
	v_add_f32_e32 v147, v147, v148
	s_waitcnt vmcnt(34) lgkmcnt(0)
	v_mul_f32_e32 v148, v143, v218
	v_add_f32_e32 v107, v107, v108
	v_mul_f32_e32 v108, v132, v206
	v_fmac_f32_e32 v148, v144, v217
	v_fma_f32 v108, v131, v205, -v108
	v_add_f32_e32 v151, v147, v148
	ds_read_b128 v[147:150], v106 offset:704
	v_add_f32_e32 v107, v107, v108
	v_mul_f32_e32 v108, v134, v208
	v_fma_f32 v108, v133, v207, -v108
	s_waitcnt vmcnt(32)
	v_mul_f32_e32 v152, v145, v220
	v_add_f32_e32 v107, v107, v108
	v_mul_f32_e32 v108, v136, v210
	v_fmac_f32_e32 v152, v146, v219
	v_fma_f32 v108, v135, v209, -v108
	v_add_f32_e32 v155, v151, v152
	ds_read_b128 v[151:154], v106 offset:720
	v_add_f32_e32 v107, v107, v108
	v_mul_f32_e32 v108, v138, v212
	s_waitcnt vmcnt(30) lgkmcnt(1)
	v_mul_f32_e32 v156, v147, v222
	v_fma_f32 v108, v137, v211, -v108
	v_fmac_f32_e32 v156, v148, v221
	v_add_f32_e32 v107, v107, v108
	v_mul_f32_e32 v108, v140, v214
	v_add_f32_e32 v155, v155, v156
	s_waitcnt vmcnt(28)
	v_mul_f32_e32 v156, v149, v224
	v_fma_f32 v108, v139, v213, -v108
	v_fmac_f32_e32 v156, v150, v223
	v_add_f32_e32 v107, v107, v108
	v_mul_f32_e32 v108, v142, v216
	v_add_f32_e32 v155, v155, v156
	s_waitcnt vmcnt(26) lgkmcnt(0)
	v_mul_f32_e32 v156, v151, v226
	v_fma_f32 v108, v141, v215, -v108
	v_fmac_f32_e32 v156, v152, v225
	v_add_f32_e32 v107, v107, v108
	v_mul_f32_e32 v108, v144, v218
	v_add_f32_e32 v159, v155, v156
	ds_read_b128 v[155:158], v106 offset:736
	v_fma_f32 v108, v143, v217, -v108
	v_add_f32_e32 v107, v107, v108
	v_mul_f32_e32 v108, v146, v220
	s_waitcnt vmcnt(24)
	v_mul_f32_e32 v160, v153, v228
	v_fma_f32 v108, v145, v219, -v108
	v_fmac_f32_e32 v160, v154, v227
	v_add_f32_e32 v107, v107, v108
	v_mul_f32_e32 v108, v148, v222
	v_add_f32_e32 v163, v159, v160
	ds_read_b128 v[159:162], v106 offset:752
	v_fma_f32 v108, v147, v221, -v108
	s_waitcnt vmcnt(22) lgkmcnt(1)
	v_mul_f32_e32 v164, v155, v230
	v_add_f32_e32 v107, v107, v108
	v_mul_f32_e32 v108, v150, v224
	v_fmac_f32_e32 v164, v156, v229
	v_fma_f32 v108, v149, v223, -v108
	v_add_f32_e32 v163, v163, v164
	s_waitcnt vmcnt(20)
	v_mul_f32_e32 v164, v157, v232
	v_add_f32_e32 v107, v107, v108
	v_mul_f32_e32 v108, v152, v226
	v_fmac_f32_e32 v164, v158, v231
	v_fma_f32 v108, v151, v225, -v108
	v_add_f32_e32 v163, v163, v164
	s_waitcnt vmcnt(18) lgkmcnt(0)
	v_mul_f32_e32 v164, v159, v234
	v_add_f32_e32 v107, v107, v108
	v_mul_f32_e32 v108, v154, v228
	v_fmac_f32_e32 v164, v160, v233
	v_fma_f32 v108, v153, v227, -v108
	v_add_f32_e32 v167, v163, v164
	ds_read_b128 v[163:166], v106 offset:768
	v_add_f32_e32 v107, v107, v108
	v_mul_f32_e32 v108, v156, v230
	v_fma_f32 v108, v155, v229, -v108
	s_waitcnt vmcnt(16)
	v_mul_f32_e32 v168, v161, v236
	v_add_f32_e32 v107, v107, v108
	v_mul_f32_e32 v108, v158, v232
	v_fmac_f32_e32 v168, v162, v235
	v_fma_f32 v108, v157, v231, -v108
	v_add_f32_e32 v171, v167, v168
	ds_read_b128 v[167:170], v106 offset:784
	v_add_f32_e32 v107, v107, v108
	v_mul_f32_e32 v108, v160, v234
	s_waitcnt vmcnt(14) lgkmcnt(1)
	v_mul_f32_e32 v172, v163, v238
	v_fma_f32 v108, v159, v233, -v108
	v_fmac_f32_e32 v172, v164, v237
	v_add_f32_e32 v107, v107, v108
	v_mul_f32_e32 v108, v162, v236
	v_add_f32_e32 v171, v171, v172
	s_waitcnt vmcnt(13)
	v_mul_f32_e32 v172, v165, v239
	v_fma_f32 v108, v161, v235, -v108
	s_waitcnt vmcnt(12)
	v_fmac_f32_e32 v172, v166, v240
	v_add_f32_e32 v107, v107, v108
	v_mul_f32_e32 v108, v164, v238
	v_add_f32_e32 v171, v171, v172
	s_waitcnt vmcnt(10) lgkmcnt(0)
	v_mul_f32_e32 v172, v167, v242
	v_fma_f32 v108, v163, v237, -v108
	v_fmac_f32_e32 v172, v168, v241
	v_add_f32_e32 v107, v107, v108
	v_mul_f32_e32 v108, v166, v239
	v_add_f32_e32 v175, v171, v172
	ds_read_b128 v[171:174], v106 offset:800
	v_fma_f32 v108, v165, v240, -v108
	v_add_f32_e32 v107, v107, v108
	v_mul_f32_e32 v108, v168, v242
	s_waitcnt vmcnt(8)
	v_mul_f32_e32 v176, v169, v244
	v_fma_f32 v108, v167, v241, -v108
	v_fmac_f32_e32 v176, v170, v243
	v_add_f32_e32 v107, v107, v108
	v_mul_f32_e32 v108, v170, v244
	v_add_f32_e32 v253, v175, v176
	ds_read_b128 v[175:178], v106 offset:816
	v_fma_f32 v108, v169, v243, -v108
	v_add_f32_e32 v107, v107, v108
	s_waitcnt vmcnt(6) lgkmcnt(1)
	v_mul_f32_e32 v108, v172, v246
	v_mul_f32_e32 v106, v171, v246
	v_fma_f32 v108, v171, v245, -v108
	v_fmac_f32_e32 v106, v172, v245
	v_add_f32_e32 v107, v107, v108
	s_waitcnt vmcnt(5)
	v_mul_f32_e32 v108, v174, v247
	v_add_f32_e32 v106, v253, v106
	v_mul_f32_e32 v253, v173, v247
	s_waitcnt vmcnt(4)
	v_fma_f32 v108, v173, v248, -v108
	v_fmac_f32_e32 v253, v174, v248
	v_add_f32_e32 v107, v107, v108
	s_waitcnt vmcnt(2) lgkmcnt(0)
	v_mul_f32_e32 v108, v176, v250
	v_add_f32_e32 v106, v106, v253
	v_mul_f32_e32 v253, v175, v250
	v_fma_f32 v108, v175, v249, -v108
	v_fmac_f32_e32 v253, v176, v249
	v_add_f32_e32 v107, v107, v108
	s_waitcnt vmcnt(0)
	v_mul_f32_e32 v108, v178, v252
	v_add_f32_e32 v106, v106, v253
	v_mul_f32_e32 v253, v177, v252
	v_fma_f32 v108, v177, v251, -v108
	v_fmac_f32_e32 v253, v178, v251
	v_add_f32_e32 v107, v107, v108
	v_add_f32_e32 v106, v106, v253
	v_sub_f32_e32 v107, v201, v107
	v_sub_f32_e32 v106, v202, v106
	buffer_store_dword v107, off, s[0:3], 0 offset:120
	buffer_store_dword v106, off, s[0:3], 0 offset:124
	s_and_saveexec_b64 s[4:5], vcc
	s_cbranch_execz .LBB51_297
; %bb.296:
	buffer_load_dword v106, off, s[0:3], 0 offset:112
	buffer_load_dword v107, off, s[0:3], 0 offset:116
	v_mov_b32_e32 v108, 0
	buffer_store_dword v108, off, s[0:3], 0 offset:112
	buffer_store_dword v108, off, s[0:3], 0 offset:116
	s_waitcnt vmcnt(2)
	ds_write_b64 v105, v[106:107]
.LBB51_297:
	s_or_b64 exec, exec, s[4:5]
	s_waitcnt lgkmcnt(0)
	; wave barrier
	buffer_load_dword v181, off, s[0:3], 0 offset:124
	buffer_load_dword v182, off, s[0:3], 0 offset:132
	;; [unrolled: 1-line block ×50, first 2 shown]
	v_mov_b32_e32 v106, 0
	ds_read2_b64 v[107:110], v106 offset0:67 offset1:68
	ds_read2_b64 v[111:114], v106 offset0:69 offset1:70
	;; [unrolled: 1-line block ×6, first 2 shown]
	buffer_load_dword v231, off, s[0:3], 0 offset:312
	buffer_load_dword v232, off, s[0:3], 0 offset:316
	buffer_load_dword v233, off, s[0:3], 0 offset:324
	buffer_load_dword v234, off, s[0:3], 0 offset:328
	buffer_load_dword v235, off, s[0:3], 0 offset:332
	buffer_load_dword v236, off, s[0:3], 0 offset:320
	buffer_load_dword v237, off, s[0:3], 0 offset:336
	buffer_load_dword v238, off, s[0:3], 0 offset:340
	buffer_load_dword v239, off, s[0:3], 0 offset:344
	buffer_load_dword v240, off, s[0:3], 0 offset:348
	buffer_load_dword v241, off, s[0:3], 0 offset:356
	buffer_load_dword v242, off, s[0:3], 0 offset:360
	buffer_load_dword v243, off, s[0:3], 0 offset:364
	buffer_load_dword v244, off, s[0:3], 0 offset:352
	buffer_load_dword v245, off, s[0:3], 0 offset:368
	buffer_load_dword v246, off, s[0:3], 0 offset:372
	v_cmp_lt_u32_e32 vcc, 13, v0
	s_waitcnt vmcnt(62) lgkmcnt(5)
	v_mul_f32_e32 v131, v107, v181
	v_mul_f32_e32 v132, v109, v182
	s_waitcnt lgkmcnt(4)
	v_mul_f32_e32 v133, v111, v183
	v_mul_f32_e32 v134, v113, v184
	s_waitcnt vmcnt(61) lgkmcnt(3)
	v_mul_f32_e32 v135, v115, v185
	s_waitcnt vmcnt(60)
	v_mul_f32_e32 v136, v117, v186
	s_waitcnt vmcnt(59) lgkmcnt(2)
	v_mul_f32_e32 v137, v119, v187
	s_waitcnt vmcnt(58)
	;; [unrolled: 4-line block ×3, first 2 shown]
	v_fmac_f32_e32 v133, v112, v190
	s_waitcnt vmcnt(55)
	v_fmac_f32_e32 v132, v110, v191
	s_waitcnt vmcnt(54)
	v_fmac_f32_e32 v131, v108, v192
	v_add_f32_e32 v131, 0, v131
	v_add_f32_e32 v131, v131, v132
	;; [unrolled: 1-line block ×3, first 2 shown]
	s_waitcnt vmcnt(50)
	v_fmac_f32_e32 v134, v114, v196
	v_fmac_f32_e32 v135, v116, v195
	v_add_f32_e32 v131, v131, v134
	v_fmac_f32_e32 v136, v118, v194
	v_add_f32_e32 v131, v131, v135
	;; [unrolled: 2-line block ×3, first 2 shown]
	s_waitcnt vmcnt(46)
	v_fmac_f32_e32 v138, v122, v200
	v_add_f32_e32 v131, v131, v137
	v_fmac_f32_e32 v139, v124, v199
	v_add_f32_e32 v131, v131, v138
	s_waitcnt vmcnt(45)
	v_mul_f32_e32 v132, v125, v201
	v_add_f32_e32 v131, v131, v139
	v_fmac_f32_e32 v132, v126, v198
	v_add_f32_e32 v131, v131, v132
	s_waitcnt vmcnt(44) lgkmcnt(0)
	v_mul_f32_e32 v132, v127, v202
	v_fmac_f32_e32 v132, v128, v197
	v_add_f32_e32 v135, v131, v132
	ds_read2_b64 v[131:134], v106 offset0:79 offset1:80
	buffer_load_dword v247, off, s[0:3], 0 offset:376
	buffer_load_dword v248, off, s[0:3], 0 offset:380
	buffer_load_dword v249, off, s[0:3], 0 offset:388
	buffer_load_dword v250, off, s[0:3], 0 offset:392
	buffer_load_dword v251, off, s[0:3], 0 offset:396
	buffer_load_dword v252, off, s[0:3], 0 offset:384
	s_waitcnt vmcnt(49)
	v_mul_f32_e32 v136, v129, v203
	s_waitcnt vmcnt(42)
	v_fmac_f32_e32 v136, v130, v210
	v_add_f32_e32 v139, v135, v136
	ds_read2_b64 v[135:138], v106 offset0:81 offset1:82
	buffer_load_dword v253, off, s[0:3], 0 offset:404
	buffer_load_dword v254, off, s[0:3], 0 offset:408
	;; [unrolled: 1-line block ×4, first 2 shown]
	s_waitcnt lgkmcnt(1)
	v_mul_f32_e32 v140, v131, v205
	v_fmac_f32_e32 v140, v132, v204
	v_add_f32_e32 v2, v139, v140
	v_mul_f32_e32 v139, v133, v207
	v_fmac_f32_e32 v139, v134, v206
	v_add_f32_e32 v2, v2, v139
	s_waitcnt lgkmcnt(0)
	v_mul_f32_e32 v139, v135, v209
	v_fmac_f32_e32 v139, v136, v208
	v_add_f32_e32 v2, v2, v139
	ds_read2_b64 v[139:142], v106 offset0:83 offset1:84
	s_waitcnt vmcnt(42)
	v_mul_f32_e32 v143, v137, v214
	v_fmac_f32_e32 v143, v138, v213
	v_add_f32_e32 v2, v2, v143
	ds_read2_b64 v[143:146], v106 offset0:85 offset1:86
	s_waitcnt vmcnt(40) lgkmcnt(1)
	v_mul_f32_e32 v147, v139, v216
	v_fmac_f32_e32 v147, v140, v215
	v_add_f32_e32 v2, v2, v147
	s_waitcnt vmcnt(38)
	v_mul_f32_e32 v147, v141, v218
	v_fmac_f32_e32 v147, v142, v217
	v_add_f32_e32 v2, v2, v147
	s_waitcnt vmcnt(36) lgkmcnt(0)
	v_mul_f32_e32 v147, v143, v220
	v_fmac_f32_e32 v147, v144, v219
	v_add_f32_e32 v2, v2, v147
	ds_read2_b64 v[147:150], v106 offset0:87 offset1:88
	s_waitcnt vmcnt(34)
	v_mul_f32_e32 v151, v145, v222
	v_fmac_f32_e32 v151, v146, v221
	v_add_f32_e32 v2, v2, v151
	ds_read2_b64 v[151:154], v106 offset0:89 offset1:90
	s_waitcnt vmcnt(32) lgkmcnt(1)
	v_mul_f32_e32 v155, v147, v224
	v_fmac_f32_e32 v155, v148, v223
	v_add_f32_e32 v2, v2, v155
	s_waitcnt vmcnt(30)
	v_mul_f32_e32 v155, v149, v226
	v_fmac_f32_e32 v155, v150, v225
	v_add_f32_e32 v2, v2, v155
	s_waitcnt vmcnt(28) lgkmcnt(0)
	v_mul_f32_e32 v155, v151, v228
	v_fmac_f32_e32 v155, v152, v227
	v_add_f32_e32 v2, v2, v155
	ds_read2_b64 v[155:158], v106 offset0:91 offset1:92
	s_waitcnt vmcnt(26)
	v_mul_f32_e32 v159, v153, v230
	v_fmac_f32_e32 v159, v154, v229
	v_add_f32_e32 v2, v2, v159
	ds_read2_b64 v[159:162], v106 offset0:93 offset1:94
	s_waitcnt vmcnt(24) lgkmcnt(1)
	v_mul_f32_e32 v163, v155, v232
	v_fmac_f32_e32 v163, v156, v231
	v_add_f32_e32 v2, v2, v163
	s_waitcnt vmcnt(23)
	v_mul_f32_e32 v163, v157, v233
	s_waitcnt vmcnt(20)
	v_fmac_f32_e32 v163, v158, v236
	v_add_f32_e32 v2, v2, v163
	s_waitcnt lgkmcnt(0)
	v_mul_f32_e32 v163, v159, v235
	v_fmac_f32_e32 v163, v160, v234
	v_add_f32_e32 v2, v2, v163
	ds_read2_b64 v[163:166], v106 offset0:95 offset1:96
	s_waitcnt vmcnt(18)
	v_mul_f32_e32 v167, v161, v238
	v_fmac_f32_e32 v167, v162, v237
	v_add_f32_e32 v2, v2, v167
	ds_read2_b64 v[167:170], v106 offset0:97 offset1:98
	s_waitcnt vmcnt(16) lgkmcnt(1)
	v_mul_f32_e32 v171, v163, v240
	v_fmac_f32_e32 v171, v164, v239
	v_add_f32_e32 v2, v2, v171
	s_waitcnt vmcnt(15)
	v_mul_f32_e32 v171, v165, v241
	s_waitcnt vmcnt(12)
	v_fmac_f32_e32 v171, v166, v244
	v_add_f32_e32 v2, v2, v171
	s_waitcnt lgkmcnt(0)
	v_mul_f32_e32 v171, v167, v243
	v_fmac_f32_e32 v171, v168, v242
	v_add_f32_e32 v2, v2, v171
	ds_read2_b64 v[171:174], v106 offset0:99 offset1:100
	s_waitcnt vmcnt(10)
	v_mul_f32_e32 v175, v169, v246
	v_fmac_f32_e32 v175, v170, v245
	v_add_f32_e32 v2, v2, v175
	ds_read2_b64 v[175:178], v106 offset0:101 offset1:102
	s_waitcnt vmcnt(8) lgkmcnt(1)
	v_mul_f32_e32 v179, v171, v248
	v_fmac_f32_e32 v179, v172, v247
	v_add_f32_e32 v2, v2, v179
	s_waitcnt vmcnt(7)
	v_mul_f32_e32 v179, v173, v249
	s_waitcnt vmcnt(4)
	v_fmac_f32_e32 v179, v174, v252
	v_add_f32_e32 v2, v2, v179
	ds_read_b64 v[179:180], v106 offset:824
	s_waitcnt lgkmcnt(1)
	v_mul_f32_e32 v3, v175, v251
	v_fmac_f32_e32 v3, v176, v250
	v_add_f32_e32 v2, v2, v3
	s_waitcnt vmcnt(3)
	v_mul_f32_e32 v3, v177, v253
	s_waitcnt vmcnt(0)
	v_fmac_f32_e32 v3, v178, v1
	v_add_f32_e32 v2, v2, v3
	s_waitcnt lgkmcnt(0)
	v_mul_f32_e32 v3, v179, v255
	v_fmac_f32_e32 v3, v180, v254
	v_add_f32_e32 v2, v2, v3
	v_mul_f32_e32 v3, v108, v181
	v_fma_f32 v3, v107, v192, -v3
	v_mul_f32_e32 v4, v110, v182
	v_add_f32_e32 v3, 0, v3
	v_fma_f32 v4, v109, v191, -v4
	v_add_f32_e32 v3, v3, v4
	v_mul_f32_e32 v4, v112, v183
	v_fma_f32 v4, v111, v190, -v4
	v_add_f32_e32 v3, v3, v4
	v_mul_f32_e32 v4, v114, v184
	;; [unrolled: 3-line block ×35, first 2 shown]
	v_fma_f32 v3, v179, v254, -v3
	v_add_f32_e32 v1, v1, v3
	v_sub_f32_e32 v1, v211, v1
	v_sub_f32_e32 v2, v212, v2
	buffer_store_dword v1, off, s[0:3], 0 offset:112
	buffer_store_dword v2, off, s[0:3], 0 offset:116
	s_and_saveexec_b64 s[4:5], vcc
	s_cbranch_execz .LBB51_299
; %bb.298:
	buffer_load_dword v107, off, s[0:3], 0 offset:104
	buffer_load_dword v108, off, s[0:3], 0 offset:108
	s_waitcnt vmcnt(0)
	ds_write_b64 v105, v[107:108]
	buffer_store_dword v106, off, s[0:3], 0 offset:104
	buffer_store_dword v106, off, s[0:3], 0 offset:108
.LBB51_299:
	s_or_b64 exec, exec, s[4:5]
	s_waitcnt lgkmcnt(0)
	; wave barrier
	buffer_load_dword v1, off, s[0:3], 0 offset:116
	buffer_load_dword v2, off, s[0:3], 0 offset:124
	;; [unrolled: 1-line block ×32, first 2 shown]
	ds_read_b128 v[107:110], v106 offset:528
	ds_read_b128 v[111:114], v106 offset:544
	;; [unrolled: 1-line block ×6, first 2 shown]
	buffer_load_dword v211, off, s[0:3], 0 offset:232
	buffer_load_dword v212, off, s[0:3], 0 offset:236
	;; [unrolled: 1-line block ×32, first 2 shown]
	v_cmp_lt_u32_e32 vcc, 12, v0
	s_waitcnt vmcnt(62) lgkmcnt(5)
	v_mul_f32_e32 v131, v107, v1
	v_mul_f32_e32 v132, v109, v2
	s_waitcnt vmcnt(61) lgkmcnt(4)
	v_mul_f32_e32 v133, v111, v3
	s_waitcnt vmcnt(60)
	v_mul_f32_e32 v134, v113, v4
	s_waitcnt vmcnt(59) lgkmcnt(3)
	v_mul_f32_e32 v135, v115, v183
	s_waitcnt vmcnt(58)
	;; [unrolled: 4-line block ×4, first 2 shown]
	v_mul_f32_e32 v140, v125, v188
	s_waitcnt vmcnt(53)
	v_fmac_f32_e32 v133, v112, v189
	s_waitcnt vmcnt(52)
	v_fmac_f32_e32 v132, v110, v190
	;; [unrolled: 2-line block ×3, first 2 shown]
	v_add_f32_e32 v131, 0, v131
	v_add_f32_e32 v131, v131, v132
	;; [unrolled: 1-line block ×3, first 2 shown]
	s_waitcnt vmcnt(47)
	v_fmac_f32_e32 v134, v114, v195
	v_fmac_f32_e32 v135, v116, v194
	v_add_f32_e32 v131, v131, v134
	v_fmac_f32_e32 v136, v118, v193
	v_add_f32_e32 v131, v131, v135
	;; [unrolled: 2-line block ×3, first 2 shown]
	s_waitcnt vmcnt(43)
	v_fmac_f32_e32 v138, v122, v199
	v_add_f32_e32 v131, v131, v137
	v_fmac_f32_e32 v139, v124, v198
	v_add_f32_e32 v131, v131, v138
	v_fmac_f32_e32 v140, v126, v197
	v_add_f32_e32 v131, v131, v139
	s_waitcnt vmcnt(42) lgkmcnt(0)
	v_mul_f32_e32 v132, v127, v200
	v_add_f32_e32 v131, v131, v140
	v_fmac_f32_e32 v132, v128, v196
	v_add_f32_e32 v135, v131, v132
	ds_read_b128 v[131:134], v106 offset:624
	buffer_load_dword v243, off, s[0:3], 0 offset:360
	buffer_load_dword v244, off, s[0:3], 0 offset:364
	s_waitcnt vmcnt(43)
	v_mul_f32_e32 v136, v129, v201
	s_waitcnt vmcnt(37)
	v_fmac_f32_e32 v136, v130, v207
	v_add_f32_e32 v139, v135, v136
	ds_read_b128 v[135:138], v106 offset:640
	buffer_load_dword v245, off, s[0:3], 0 offset:368
	buffer_load_dword v246, off, s[0:3], 0 offset:372
	;; [unrolled: 1-line block ×12, first 2 shown]
	v_mul_f32_e32 v1, v108, v1
	v_fma_f32 v1, v107, v191, -v1
	v_mul_f32_e32 v2, v110, v2
	v_add_f32_e32 v1, 0, v1
	v_fma_f32 v2, v109, v190, -v2
	v_add_f32_e32 v1, v1, v2
	v_mul_f32_e32 v2, v112, v3
	v_fma_f32 v2, v111, v189, -v2
	v_add_f32_e32 v1, v1, v2
	v_mul_f32_e32 v2, v114, v4
	v_fma_f32 v2, v113, v195, -v2
	s_waitcnt vmcnt(48) lgkmcnt(1)
	v_mul_f32_e32 v140, v131, v208
	v_add_f32_e32 v1, v1, v2
	v_mul_f32_e32 v2, v116, v183
	v_fmac_f32_e32 v140, v132, v206
	v_fma_f32 v2, v115, v194, -v2
	v_add_f32_e32 v139, v139, v140
	v_mul_f32_e32 v140, v133, v203
	v_add_f32_e32 v1, v1, v2
	v_mul_f32_e32 v2, v118, v184
	v_fmac_f32_e32 v140, v134, v202
	v_fma_f32 v2, v117, v193, -v2
	v_add_f32_e32 v6, v139, v140
	s_waitcnt lgkmcnt(0)
	v_mul_f32_e32 v139, v135, v205
	v_add_f32_e32 v1, v1, v2
	v_mul_f32_e32 v2, v120, v185
	v_fmac_f32_e32 v139, v136, v204
	v_fma_f32 v2, v119, v192, -v2
	v_add_f32_e32 v6, v6, v139
	ds_read_b128 v[139:142], v106 offset:656
	v_add_f32_e32 v1, v1, v2
	v_mul_f32_e32 v2, v122, v186
	v_fma_f32 v2, v121, v199, -v2
	s_waitcnt vmcnt(44)
	v_mul_f32_e32 v143, v137, v212
	v_add_f32_e32 v1, v1, v2
	v_mul_f32_e32 v2, v124, v187
	v_fmac_f32_e32 v143, v138, v211
	v_fma_f32 v2, v123, v198, -v2
	v_add_f32_e32 v6, v6, v143
	ds_read_b128 v[143:146], v106 offset:672
	v_add_f32_e32 v1, v1, v2
	v_mul_f32_e32 v2, v126, v188
	s_waitcnt vmcnt(42) lgkmcnt(1)
	v_mul_f32_e32 v147, v139, v214
	v_fma_f32 v2, v125, v197, -v2
	v_fmac_f32_e32 v147, v140, v213
	v_add_f32_e32 v1, v1, v2
	v_mul_f32_e32 v2, v128, v200
	v_add_f32_e32 v6, v6, v147
	s_waitcnt vmcnt(40)
	v_mul_f32_e32 v147, v141, v216
	v_fma_f32 v2, v127, v196, -v2
	v_fmac_f32_e32 v147, v142, v215
	v_add_f32_e32 v1, v1, v2
	v_mul_f32_e32 v2, v130, v201
	v_add_f32_e32 v6, v6, v147
	s_waitcnt vmcnt(38) lgkmcnt(0)
	v_mul_f32_e32 v147, v143, v218
	v_fma_f32 v2, v129, v207, -v2
	v_fmac_f32_e32 v147, v144, v217
	v_add_f32_e32 v1, v1, v2
	v_mul_f32_e32 v2, v132, v208
	v_add_f32_e32 v6, v6, v147
	ds_read_b128 v[147:150], v106 offset:688
	v_fma_f32 v2, v131, v206, -v2
	v_add_f32_e32 v1, v1, v2
	v_mul_f32_e32 v2, v134, v203
	s_waitcnt vmcnt(36)
	v_mul_f32_e32 v151, v145, v220
	v_fma_f32 v2, v133, v202, -v2
	v_fmac_f32_e32 v151, v146, v219
	v_add_f32_e32 v1, v1, v2
	v_mul_f32_e32 v2, v136, v205
	v_add_f32_e32 v6, v6, v151
	ds_read_b128 v[151:154], v106 offset:704
	v_fma_f32 v2, v135, v204, -v2
	s_waitcnt vmcnt(34) lgkmcnt(1)
	v_mul_f32_e32 v155, v147, v222
	v_add_f32_e32 v1, v1, v2
	v_mul_f32_e32 v2, v138, v212
	v_fmac_f32_e32 v155, v148, v221
	v_fma_f32 v2, v137, v211, -v2
	v_add_f32_e32 v6, v6, v155
	s_waitcnt vmcnt(32)
	v_mul_f32_e32 v155, v149, v224
	v_add_f32_e32 v1, v1, v2
	v_mul_f32_e32 v2, v140, v214
	v_fmac_f32_e32 v155, v150, v223
	v_fma_f32 v2, v139, v213, -v2
	v_add_f32_e32 v6, v6, v155
	s_waitcnt vmcnt(30) lgkmcnt(0)
	v_mul_f32_e32 v155, v151, v226
	v_add_f32_e32 v1, v1, v2
	v_mul_f32_e32 v2, v142, v216
	v_fmac_f32_e32 v155, v152, v225
	v_fma_f32 v2, v141, v215, -v2
	v_add_f32_e32 v6, v6, v155
	ds_read_b128 v[155:158], v106 offset:720
	v_add_f32_e32 v1, v1, v2
	v_mul_f32_e32 v2, v144, v218
	v_fma_f32 v2, v143, v217, -v2
	s_waitcnt vmcnt(28)
	v_mul_f32_e32 v159, v153, v228
	v_add_f32_e32 v1, v1, v2
	v_mul_f32_e32 v2, v146, v220
	v_fmac_f32_e32 v159, v154, v227
	v_fma_f32 v2, v145, v219, -v2
	v_add_f32_e32 v6, v6, v159
	ds_read_b128 v[159:162], v106 offset:736
	v_add_f32_e32 v1, v1, v2
	v_mul_f32_e32 v2, v148, v222
	s_waitcnt vmcnt(26) lgkmcnt(1)
	v_mul_f32_e32 v163, v155, v230
	v_fma_f32 v2, v147, v221, -v2
	v_fmac_f32_e32 v163, v156, v229
	v_add_f32_e32 v1, v1, v2
	v_mul_f32_e32 v2, v150, v224
	v_add_f32_e32 v6, v6, v163
	s_waitcnt vmcnt(25)
	v_mul_f32_e32 v163, v157, v231
	v_fma_f32 v2, v149, v223, -v2
	s_waitcnt vmcnt(22)
	v_fmac_f32_e32 v163, v158, v234
	v_add_f32_e32 v1, v1, v2
	v_mul_f32_e32 v2, v152, v226
	v_add_f32_e32 v6, v6, v163
	s_waitcnt lgkmcnt(0)
	v_mul_f32_e32 v163, v159, v233
	v_fma_f32 v2, v151, v225, -v2
	v_fmac_f32_e32 v163, v160, v232
	v_add_f32_e32 v1, v1, v2
	v_mul_f32_e32 v2, v154, v228
	v_add_f32_e32 v6, v6, v163
	ds_read_b128 v[163:166], v106 offset:752
	v_fma_f32 v2, v153, v227, -v2
	v_add_f32_e32 v1, v1, v2
	v_mul_f32_e32 v2, v156, v230
	s_waitcnt vmcnt(20)
	v_mul_f32_e32 v167, v161, v236
	v_fma_f32 v2, v155, v229, -v2
	v_fmac_f32_e32 v167, v162, v235
	v_add_f32_e32 v1, v1, v2
	v_mul_f32_e32 v2, v158, v231
	v_add_f32_e32 v6, v6, v167
	ds_read_b128 v[167:170], v106 offset:768
	v_fma_f32 v2, v157, v234, -v2
	s_waitcnt vmcnt(18) lgkmcnt(1)
	v_mul_f32_e32 v171, v163, v238
	v_add_f32_e32 v1, v1, v2
	v_mul_f32_e32 v2, v160, v233
	v_fmac_f32_e32 v171, v164, v237
	v_fma_f32 v2, v159, v232, -v2
	v_add_f32_e32 v6, v6, v171
	s_waitcnt vmcnt(17)
	v_mul_f32_e32 v171, v165, v239
	v_add_f32_e32 v1, v1, v2
	v_mul_f32_e32 v2, v162, v236
	s_waitcnt vmcnt(14)
	v_fmac_f32_e32 v171, v166, v242
	v_fma_f32 v2, v161, v235, -v2
	v_add_f32_e32 v6, v6, v171
	s_waitcnt lgkmcnt(0)
	v_mul_f32_e32 v171, v167, v241
	v_add_f32_e32 v1, v1, v2
	v_mul_f32_e32 v2, v164, v238
	v_fmac_f32_e32 v171, v168, v240
	v_fma_f32 v2, v163, v237, -v2
	v_add_f32_e32 v6, v6, v171
	ds_read_b128 v[171:174], v106 offset:784
	v_add_f32_e32 v1, v1, v2
	v_mul_f32_e32 v2, v166, v239
	v_fma_f32 v2, v165, v242, -v2
	v_add_f32_e32 v1, v1, v2
	v_mul_f32_e32 v2, v168, v241
	s_waitcnt vmcnt(12)
	v_mul_f32_e32 v175, v169, v244
	v_fma_f32 v2, v167, v240, -v2
	v_fmac_f32_e32 v175, v170, v243
	v_add_f32_e32 v1, v1, v2
	v_mul_f32_e32 v2, v170, v244
	v_add_f32_e32 v6, v6, v175
	ds_read_b128 v[175:178], v106 offset:800
	s_waitcnt vmcnt(10) lgkmcnt(1)
	v_mul_f32_e32 v179, v171, v246
	v_fma_f32 v2, v169, v243, -v2
	v_fmac_f32_e32 v179, v172, v245
	v_add_f32_e32 v1, v1, v2
	v_mul_f32_e32 v2, v172, v246
	v_add_f32_e32 v6, v6, v179
	s_waitcnt vmcnt(9)
	v_mul_f32_e32 v179, v173, v247
	v_fma_f32 v2, v171, v245, -v2
	s_waitcnt vmcnt(6)
	v_fmac_f32_e32 v179, v174, v250
	v_add_f32_e32 v1, v1, v2
	v_mul_f32_e32 v2, v174, v247
	v_add_f32_e32 v6, v6, v179
	ds_read_b128 v[179:182], v106 offset:816
	v_fma_f32 v2, v173, v250, -v2
	v_add_f32_e32 v1, v1, v2
	s_waitcnt lgkmcnt(1)
	v_mul_f32_e32 v2, v176, v249
	v_mul_f32_e32 v7, v175, v249
	v_fma_f32 v2, v175, v248, -v2
	v_fmac_f32_e32 v7, v176, v248
	v_add_f32_e32 v1, v1, v2
	s_waitcnt vmcnt(4)
	v_mul_f32_e32 v2, v178, v252
	v_add_f32_e32 v6, v6, v7
	v_mul_f32_e32 v7, v177, v252
	v_fma_f32 v2, v177, v251, -v2
	v_fmac_f32_e32 v7, v178, v251
	v_add_f32_e32 v1, v1, v2
	s_waitcnt vmcnt(3) lgkmcnt(0)
	v_mul_f32_e32 v2, v180, v253
	v_add_f32_e32 v6, v6, v7
	v_mul_f32_e32 v7, v179, v253
	s_waitcnt vmcnt(0)
	v_fma_f32 v2, v179, v5, -v2
	v_fmac_f32_e32 v7, v180, v5
	v_add_f32_e32 v1, v1, v2
	v_mul_f32_e32 v2, v182, v255
	v_add_f32_e32 v6, v6, v7
	v_mul_f32_e32 v7, v181, v255
	v_fma_f32 v2, v181, v254, -v2
	v_fmac_f32_e32 v7, v182, v254
	v_add_f32_e32 v1, v1, v2
	v_add_f32_e32 v6, v6, v7
	v_sub_f32_e32 v1, v209, v1
	v_sub_f32_e32 v2, v210, v6
	buffer_store_dword v1, off, s[0:3], 0 offset:104
	buffer_store_dword v2, off, s[0:3], 0 offset:108
	s_and_saveexec_b64 s[4:5], vcc
	s_cbranch_execz .LBB51_301
; %bb.300:
	buffer_load_dword v106, off, s[0:3], 0 offset:96
	buffer_load_dword v107, off, s[0:3], 0 offset:100
	v_mov_b32_e32 v1, 0
	buffer_store_dword v1, off, s[0:3], 0 offset:96
	buffer_store_dword v1, off, s[0:3], 0 offset:100
	s_waitcnt vmcnt(2)
	ds_write_b64 v105, v[106:107]
.LBB51_301:
	s_or_b64 exec, exec, s[4:5]
	s_waitcnt lgkmcnt(0)
	; wave barrier
	buffer_load_dword v1, off, s[0:3], 0 offset:108
	buffer_load_dword v2, off, s[0:3], 0 offset:116
	;; [unrolled: 1-line block ×50, first 2 shown]
	v_mov_b32_e32 v106, 0
	ds_read2_b64 v[107:110], v106 offset0:65 offset1:66
	ds_read2_b64 v[111:114], v106 offset0:67 offset1:68
	;; [unrolled: 1-line block ×6, first 2 shown]
	buffer_load_dword v227, off, s[0:3], 0 offset:296
	buffer_load_dword v228, off, s[0:3], 0 offset:300
	;; [unrolled: 1-line block ×8, first 2 shown]
	v_cmp_lt_u32_e32 vcc, 11, v0
	s_waitcnt vmcnt(57) lgkmcnt(5)
	v_mul_f32_e32 v131, v107, v1
	s_waitcnt vmcnt(56)
	v_mul_f32_e32 v132, v109, v2
	s_waitcnt vmcnt(55) lgkmcnt(4)
	v_mul_f32_e32 v133, v111, v3
	s_waitcnt vmcnt(54)
	v_mul_f32_e32 v134, v113, v4
	;; [unrolled: 4-line block ×5, first 2 shown]
	s_waitcnt vmcnt(47) lgkmcnt(0)
	v_mul_f32_e32 v141, v127, v187
	s_waitcnt vmcnt(46)
	v_fmac_f32_e32 v133, v112, v188
	s_waitcnt vmcnt(45)
	v_fmac_f32_e32 v132, v110, v189
	;; [unrolled: 2-line block ×3, first 2 shown]
	v_add_f32_e32 v131, 0, v131
	v_add_f32_e32 v131, v131, v132
	;; [unrolled: 1-line block ×3, first 2 shown]
	s_waitcnt vmcnt(40)
	v_fmac_f32_e32 v134, v114, v194
	v_fmac_f32_e32 v135, v116, v193
	v_add_f32_e32 v131, v131, v134
	v_fmac_f32_e32 v136, v118, v192
	v_add_f32_e32 v131, v131, v135
	v_fmac_f32_e32 v137, v120, v191
	v_add_f32_e32 v131, v131, v136
	s_waitcnt vmcnt(36)
	v_fmac_f32_e32 v138, v122, v198
	v_add_f32_e32 v131, v131, v137
	v_fmac_f32_e32 v139, v124, v197
	v_add_f32_e32 v131, v131, v138
	;; [unrolled: 2-line block ×3, first 2 shown]
	v_add_f32_e32 v131, v131, v140
	v_fmac_f32_e32 v141, v128, v195
	v_add_f32_e32 v135, v131, v141
	ds_read2_b64 v[131:134], v106 offset0:77 offset1:78
	buffer_load_dword v235, off, s[0:3], 0 offset:328
	buffer_load_dword v236, off, s[0:3], 0 offset:332
	;; [unrolled: 1-line block ×6, first 2 shown]
	s_waitcnt vmcnt(41)
	v_mul_f32_e32 v136, v129, v199
	s_waitcnt vmcnt(34)
	v_fmac_f32_e32 v136, v130, v206
	v_add_f32_e32 v139, v135, v136
	ds_read2_b64 v[135:138], v106 offset0:79 offset1:80
	buffer_load_dword v241, off, s[0:3], 0 offset:352
	buffer_load_dword v242, off, s[0:3], 0 offset:356
	;; [unrolled: 1-line block ×16, first 2 shown]
	v_mul_f32_e32 v1, v108, v1
	v_fma_f32 v1, v107, v190, -v1
	v_mul_f32_e32 v2, v110, v2
	v_add_f32_e32 v1, 0, v1
	v_fma_f32 v2, v109, v189, -v2
	v_add_f32_e32 v1, v1, v2
	v_mul_f32_e32 v2, v112, v3
	v_fma_f32 v2, v111, v188, -v2
	s_waitcnt lgkmcnt(1)
	v_mul_f32_e32 v140, v131, v201
	v_add_f32_e32 v1, v1, v2
	v_mul_f32_e32 v2, v114, v4
	v_fmac_f32_e32 v140, v132, v200
	v_fma_f32 v2, v113, v194, -v2
	v_add_f32_e32 v139, v139, v140
	v_mul_f32_e32 v140, v133, v203
	v_add_f32_e32 v1, v1, v2
	v_mul_f32_e32 v2, v116, v5
	v_fmac_f32_e32 v140, v134, v202
	v_fma_f32 v2, v115, v193, -v2
	v_add_f32_e32 v139, v139, v140
	s_waitcnt lgkmcnt(0)
	v_mul_f32_e32 v140, v135, v205
	v_add_f32_e32 v1, v1, v2
	v_mul_f32_e32 v2, v118, v6
	v_fmac_f32_e32 v140, v136, v204
	v_fma_f32 v2, v117, v192, -v2
	v_add_f32_e32 v143, v139, v140
	ds_read2_b64 v[139:142], v106 offset0:81 offset1:82
	v_add_f32_e32 v1, v1, v2
	v_mul_f32_e32 v2, v120, v7
	v_fma_f32 v2, v119, v191, -v2
	s_waitcnt vmcnt(46)
	v_mul_f32_e32 v10, v137, v210
	v_add_f32_e32 v1, v1, v2
	v_mul_f32_e32 v2, v122, v8
	v_fmac_f32_e32 v10, v138, v209
	v_fma_f32 v2, v121, v198, -v2
	v_add_f32_e32 v10, v143, v10
	ds_read2_b64 v[143:146], v106 offset0:83 offset1:84
	v_add_f32_e32 v1, v1, v2
	v_mul_f32_e32 v2, v124, v185
	s_waitcnt vmcnt(44) lgkmcnt(1)
	v_mul_f32_e32 v147, v139, v212
	v_fma_f32 v2, v123, v197, -v2
	v_fmac_f32_e32 v147, v140, v211
	v_add_f32_e32 v1, v1, v2
	v_mul_f32_e32 v2, v126, v186
	v_add_f32_e32 v10, v10, v147
	s_waitcnt vmcnt(42)
	v_mul_f32_e32 v147, v141, v214
	v_fma_f32 v2, v125, v196, -v2
	v_fmac_f32_e32 v147, v142, v213
	v_add_f32_e32 v1, v1, v2
	v_mul_f32_e32 v2, v128, v187
	v_add_f32_e32 v10, v10, v147
	s_waitcnt vmcnt(40) lgkmcnt(0)
	v_mul_f32_e32 v147, v143, v216
	v_fma_f32 v2, v127, v195, -v2
	v_fmac_f32_e32 v147, v144, v215
	v_add_f32_e32 v1, v1, v2
	v_mul_f32_e32 v2, v130, v199
	v_add_f32_e32 v10, v10, v147
	ds_read2_b64 v[147:150], v106 offset0:85 offset1:86
	v_fma_f32 v2, v129, v206, -v2
	v_add_f32_e32 v1, v1, v2
	v_mul_f32_e32 v2, v132, v201
	s_waitcnt vmcnt(38)
	v_mul_f32_e32 v151, v145, v218
	v_fma_f32 v2, v131, v200, -v2
	v_fmac_f32_e32 v151, v146, v217
	v_add_f32_e32 v1, v1, v2
	v_mul_f32_e32 v2, v134, v203
	v_add_f32_e32 v10, v10, v151
	ds_read2_b64 v[151:154], v106 offset0:87 offset1:88
	v_fma_f32 v2, v133, v202, -v2
	s_waitcnt vmcnt(36) lgkmcnt(1)
	v_mul_f32_e32 v155, v147, v220
	v_add_f32_e32 v1, v1, v2
	v_mul_f32_e32 v2, v136, v205
	v_fmac_f32_e32 v155, v148, v219
	v_fma_f32 v2, v135, v204, -v2
	v_add_f32_e32 v10, v10, v155
	s_waitcnt vmcnt(34)
	v_mul_f32_e32 v155, v149, v222
	v_add_f32_e32 v1, v1, v2
	v_mul_f32_e32 v2, v138, v210
	v_fmac_f32_e32 v155, v150, v221
	v_fma_f32 v2, v137, v209, -v2
	v_add_f32_e32 v10, v10, v155
	s_waitcnt vmcnt(32) lgkmcnt(0)
	v_mul_f32_e32 v155, v151, v224
	v_add_f32_e32 v1, v1, v2
	v_mul_f32_e32 v2, v140, v212
	v_fmac_f32_e32 v155, v152, v223
	v_fma_f32 v2, v139, v211, -v2
	v_add_f32_e32 v10, v10, v155
	ds_read2_b64 v[155:158], v106 offset0:89 offset1:90
	v_add_f32_e32 v1, v1, v2
	v_mul_f32_e32 v2, v142, v214
	v_fma_f32 v2, v141, v213, -v2
	s_waitcnt vmcnt(30)
	v_mul_f32_e32 v159, v153, v226
	v_add_f32_e32 v1, v1, v2
	v_mul_f32_e32 v2, v144, v216
	v_fmac_f32_e32 v159, v154, v225
	v_fma_f32 v2, v143, v215, -v2
	v_add_f32_e32 v10, v10, v159
	ds_read2_b64 v[159:162], v106 offset0:91 offset1:92
	v_add_f32_e32 v1, v1, v2
	v_mul_f32_e32 v2, v146, v218
	s_waitcnt vmcnt(28) lgkmcnt(1)
	v_mul_f32_e32 v163, v155, v228
	v_fma_f32 v2, v145, v217, -v2
	v_fmac_f32_e32 v163, v156, v227
	v_add_f32_e32 v1, v1, v2
	v_mul_f32_e32 v2, v148, v220
	v_add_f32_e32 v10, v10, v163
	s_waitcnt vmcnt(27)
	v_mul_f32_e32 v163, v157, v229
	v_fma_f32 v2, v147, v219, -v2
	s_waitcnt vmcnt(24)
	v_fmac_f32_e32 v163, v158, v232
	v_add_f32_e32 v1, v1, v2
	v_mul_f32_e32 v2, v150, v222
	v_add_f32_e32 v10, v10, v163
	s_waitcnt lgkmcnt(0)
	v_mul_f32_e32 v163, v159, v231
	v_fma_f32 v2, v149, v221, -v2
	v_fmac_f32_e32 v163, v160, v230
	v_add_f32_e32 v1, v1, v2
	v_mul_f32_e32 v2, v152, v224
	v_add_f32_e32 v10, v10, v163
	ds_read2_b64 v[163:166], v106 offset0:93 offset1:94
	v_fma_f32 v2, v151, v223, -v2
	v_add_f32_e32 v1, v1, v2
	v_mul_f32_e32 v2, v154, v226
	s_waitcnt vmcnt(22)
	v_mul_f32_e32 v167, v161, v234
	v_fma_f32 v2, v153, v225, -v2
	v_fmac_f32_e32 v167, v162, v233
	v_add_f32_e32 v1, v1, v2
	v_mul_f32_e32 v2, v156, v228
	v_add_f32_e32 v10, v10, v167
	ds_read2_b64 v[167:170], v106 offset0:95 offset1:96
	v_fma_f32 v2, v155, v227, -v2
	s_waitcnt vmcnt(20) lgkmcnt(1)
	v_mul_f32_e32 v171, v163, v236
	v_add_f32_e32 v1, v1, v2
	v_mul_f32_e32 v2, v158, v229
	v_fmac_f32_e32 v171, v164, v235
	v_fma_f32 v2, v157, v232, -v2
	v_add_f32_e32 v10, v10, v171
	s_waitcnt vmcnt(19)
	v_mul_f32_e32 v171, v165, v237
	v_add_f32_e32 v1, v1, v2
	v_mul_f32_e32 v2, v160, v231
	s_waitcnt vmcnt(16)
	v_fmac_f32_e32 v171, v166, v240
	v_fma_f32 v2, v159, v230, -v2
	v_add_f32_e32 v10, v10, v171
	s_waitcnt lgkmcnt(0)
	v_mul_f32_e32 v171, v167, v239
	v_add_f32_e32 v1, v1, v2
	v_mul_f32_e32 v2, v162, v234
	v_fmac_f32_e32 v171, v168, v238
	v_fma_f32 v2, v161, v233, -v2
	v_add_f32_e32 v10, v10, v171
	ds_read2_b64 v[171:174], v106 offset0:97 offset1:98
	v_add_f32_e32 v1, v1, v2
	v_mul_f32_e32 v2, v164, v236
	v_fma_f32 v2, v163, v235, -v2
	s_waitcnt vmcnt(14)
	v_mul_f32_e32 v175, v169, v242
	v_add_f32_e32 v1, v1, v2
	v_mul_f32_e32 v2, v166, v237
	v_fmac_f32_e32 v175, v170, v241
	v_fma_f32 v2, v165, v240, -v2
	v_add_f32_e32 v10, v10, v175
	ds_read2_b64 v[175:178], v106 offset0:99 offset1:100
	v_add_f32_e32 v1, v1, v2
	v_mul_f32_e32 v2, v168, v239
	s_waitcnt vmcnt(12) lgkmcnt(1)
	v_mul_f32_e32 v179, v171, v244
	v_fma_f32 v2, v167, v238, -v2
	v_fmac_f32_e32 v179, v172, v243
	v_add_f32_e32 v1, v1, v2
	v_mul_f32_e32 v2, v170, v242
	v_add_f32_e32 v10, v10, v179
	s_waitcnt vmcnt(11)
	v_mul_f32_e32 v179, v173, v245
	v_fma_f32 v2, v169, v241, -v2
	s_waitcnt vmcnt(8)
	v_fmac_f32_e32 v179, v174, v248
	v_add_f32_e32 v1, v1, v2
	v_mul_f32_e32 v2, v172, v244
	v_add_f32_e32 v10, v10, v179
	s_waitcnt lgkmcnt(0)
	v_mul_f32_e32 v179, v175, v247
	v_fma_f32 v2, v171, v243, -v2
	v_fmac_f32_e32 v179, v176, v246
	v_add_f32_e32 v1, v1, v2
	v_mul_f32_e32 v2, v174, v245
	v_add_f32_e32 v10, v10, v179
	ds_read2_b64 v[179:182], v106 offset0:101 offset1:102
	v_fma_f32 v2, v173, v248, -v2
	v_add_f32_e32 v1, v1, v2
	v_mul_f32_e32 v2, v176, v247
	s_waitcnt vmcnt(6)
	v_mul_f32_e32 v183, v177, v250
	v_fma_f32 v2, v175, v246, -v2
	v_fmac_f32_e32 v183, v178, v249
	v_add_f32_e32 v1, v1, v2
	v_mul_f32_e32 v2, v178, v250
	v_add_f32_e32 v10, v10, v183
	ds_read_b64 v[183:184], v106 offset:824
	v_fma_f32 v2, v177, v249, -v2
	v_add_f32_e32 v1, v1, v2
	s_waitcnt vmcnt(4) lgkmcnt(1)
	v_mul_f32_e32 v2, v180, v252
	v_mul_f32_e32 v11, v179, v252
	v_fma_f32 v2, v179, v251, -v2
	v_fmac_f32_e32 v11, v180, v251
	v_add_f32_e32 v1, v1, v2
	s_waitcnt vmcnt(3)
	v_mul_f32_e32 v2, v182, v253
	v_add_f32_e32 v10, v10, v11
	v_mul_f32_e32 v11, v181, v253
	s_waitcnt vmcnt(0)
	v_fma_f32 v2, v181, v9, -v2
	v_fmac_f32_e32 v11, v182, v9
	v_add_f32_e32 v1, v1, v2
	s_waitcnt lgkmcnt(0)
	v_mul_f32_e32 v2, v184, v255
	v_add_f32_e32 v10, v10, v11
	v_mul_f32_e32 v11, v183, v255
	v_fma_f32 v2, v183, v254, -v2
	v_fmac_f32_e32 v11, v184, v254
	v_add_f32_e32 v1, v1, v2
	v_add_f32_e32 v10, v10, v11
	v_sub_f32_e32 v1, v207, v1
	v_sub_f32_e32 v2, v208, v10
	buffer_store_dword v1, off, s[0:3], 0 offset:96
	buffer_store_dword v2, off, s[0:3], 0 offset:100
	s_and_saveexec_b64 s[4:5], vcc
	s_cbranch_execz .LBB51_303
; %bb.302:
	buffer_load_dword v107, off, s[0:3], 0 offset:88
	buffer_load_dword v108, off, s[0:3], 0 offset:92
	s_waitcnt vmcnt(0)
	ds_write_b64 v105, v[107:108]
	buffer_store_dword v106, off, s[0:3], 0 offset:88
	buffer_store_dword v106, off, s[0:3], 0 offset:92
.LBB51_303:
	s_or_b64 exec, exec, s[4:5]
	s_waitcnt lgkmcnt(0)
	; wave barrier
	buffer_load_dword v1, off, s[0:3], 0 offset:100
	buffer_load_dword v2, off, s[0:3], 0 offset:108
	;; [unrolled: 1-line block ×32, first 2 shown]
	ds_read_b128 v[107:110], v106 offset:512
	ds_read_b128 v[111:114], v106 offset:528
	;; [unrolled: 1-line block ×6, first 2 shown]
	buffer_load_dword v207, off, s[0:3], 0 offset:216
	buffer_load_dword v208, off, s[0:3], 0 offset:220
	;; [unrolled: 1-line block ×26, first 2 shown]
	v_cmp_lt_u32_e32 vcc, 10, v0
	s_waitcnt vmcnt(57) lgkmcnt(5)
	v_mul_f32_e32 v131, v107, v1
	s_waitcnt vmcnt(56)
	v_mul_f32_e32 v132, v109, v2
	s_waitcnt vmcnt(55) lgkmcnt(4)
	v_mul_f32_e32 v133, v111, v3
	s_waitcnt vmcnt(54)
	v_mul_f32_e32 v134, v113, v4
	;; [unrolled: 4-line block ×5, first 2 shown]
	s_waitcnt vmcnt(47) lgkmcnt(0)
	v_mul_f32_e32 v141, v127, v11
	s_waitcnt vmcnt(46)
	v_fmac_f32_e32 v133, v112, v12
	s_waitcnt vmcnt(45)
	v_fmac_f32_e32 v132, v110, v187
	;; [unrolled: 2-line block ×3, first 2 shown]
	v_add_f32_e32 v131, 0, v131
	v_add_f32_e32 v131, v131, v132
	;; [unrolled: 1-line block ×3, first 2 shown]
	s_waitcnt vmcnt(40)
	v_fmac_f32_e32 v134, v114, v192
	v_fmac_f32_e32 v135, v116, v191
	v_add_f32_e32 v131, v131, v134
	v_fmac_f32_e32 v136, v118, v190
	v_add_f32_e32 v131, v131, v135
	;; [unrolled: 2-line block ×3, first 2 shown]
	s_waitcnt vmcnt(36)
	v_fmac_f32_e32 v138, v122, v196
	v_add_f32_e32 v131, v131, v137
	v_fmac_f32_e32 v139, v124, v195
	v_add_f32_e32 v131, v131, v138
	;; [unrolled: 2-line block ×4, first 2 shown]
	v_add_f32_e32 v135, v131, v141
	ds_read_b128 v[131:134], v106 offset:608
	buffer_load_dword v233, off, s[0:3], 0 offset:320
	buffer_load_dword v234, off, s[0:3], 0 offset:324
	;; [unrolled: 1-line block ×6, first 2 shown]
	s_waitcnt vmcnt(41)
	v_mul_f32_e32 v136, v129, v197
	s_waitcnt vmcnt(35)
	v_fmac_f32_e32 v136, v130, v203
	v_add_f32_e32 v139, v135, v136
	ds_read_b128 v[135:138], v106 offset:624
	buffer_load_dword v239, off, s[0:3], 0 offset:344
	buffer_load_dword v240, off, s[0:3], 0 offset:348
	;; [unrolled: 1-line block ×10, first 2 shown]
	s_waitcnt vmcnt(44) lgkmcnt(1)
	v_mul_f32_e32 v140, v131, v204
	v_fmac_f32_e32 v140, v132, v202
	v_add_f32_e32 v139, v139, v140
	v_mul_f32_e32 v140, v133, v199
	v_fmac_f32_e32 v140, v134, v198
	v_add_f32_e32 v139, v139, v140
	s_waitcnt lgkmcnt(0)
	v_mul_f32_e32 v140, v135, v201
	buffer_load_dword v249, off, s[0:3], 0 offset:384
	buffer_load_dword v250, off, s[0:3], 0 offset:388
	;; [unrolled: 1-line block ×6, first 2 shown]
	v_fmac_f32_e32 v140, v136, v200
	s_waitcnt vmcnt(46)
	v_mul_f32_e32 v144, v137, v208
	v_add_f32_e32 v143, v139, v140
	v_fmac_f32_e32 v144, v138, v207
	ds_read_b128 v[139:142], v106 offset:640
	v_add_f32_e32 v147, v143, v144
	ds_read_b128 v[143:146], v106 offset:656
	buffer_load_dword v255, off, s[0:3], 0 offset:408
	buffer_load_dword v13, off, s[0:3], 0 offset:412
	v_mul_f32_e32 v1, v108, v1
	v_fma_f32 v1, v107, v188, -v1
	v_mul_f32_e32 v2, v110, v2
	v_add_f32_e32 v1, 0, v1
	v_fma_f32 v2, v109, v187, -v2
	v_add_f32_e32 v1, v1, v2
	v_mul_f32_e32 v2, v112, v3
	v_fma_f32 v2, v111, v12, -v2
	v_add_f32_e32 v1, v1, v2
	v_mul_f32_e32 v2, v114, v4
	;; [unrolled: 3-line block ×7, first 2 shown]
	s_waitcnt vmcnt(46) lgkmcnt(1)
	v_mul_f32_e32 v14, v139, v210
	v_fma_f32 v2, v123, v195, -v2
	v_fmac_f32_e32 v14, v140, v209
	v_add_f32_e32 v1, v1, v2
	v_mul_f32_e32 v2, v126, v10
	v_add_f32_e32 v14, v147, v14
	s_waitcnt vmcnt(44)
	v_mul_f32_e32 v147, v141, v212
	v_fma_f32 v2, v125, v194, -v2
	v_fmac_f32_e32 v147, v142, v211
	v_add_f32_e32 v1, v1, v2
	v_mul_f32_e32 v2, v128, v11
	v_add_f32_e32 v14, v14, v147
	s_waitcnt vmcnt(42) lgkmcnt(0)
	v_mul_f32_e32 v147, v143, v214
	v_fma_f32 v2, v127, v193, -v2
	v_fmac_f32_e32 v147, v144, v213
	v_add_f32_e32 v1, v1, v2
	v_mul_f32_e32 v2, v130, v197
	v_add_f32_e32 v14, v14, v147
	ds_read_b128 v[147:150], v106 offset:672
	v_fma_f32 v2, v129, v203, -v2
	v_add_f32_e32 v1, v1, v2
	v_mul_f32_e32 v2, v132, v204
	s_waitcnt vmcnt(40)
	v_mul_f32_e32 v151, v145, v216
	v_fma_f32 v2, v131, v202, -v2
	v_fmac_f32_e32 v151, v146, v215
	v_add_f32_e32 v1, v1, v2
	v_mul_f32_e32 v2, v134, v199
	v_add_f32_e32 v14, v14, v151
	ds_read_b128 v[151:154], v106 offset:688
	v_fma_f32 v2, v133, v198, -v2
	s_waitcnt vmcnt(38) lgkmcnt(1)
	v_mul_f32_e32 v155, v147, v218
	v_add_f32_e32 v1, v1, v2
	v_mul_f32_e32 v2, v136, v201
	v_fmac_f32_e32 v155, v148, v217
	v_fma_f32 v2, v135, v200, -v2
	v_add_f32_e32 v14, v14, v155
	s_waitcnt vmcnt(36)
	v_mul_f32_e32 v155, v149, v220
	v_add_f32_e32 v1, v1, v2
	v_mul_f32_e32 v2, v138, v208
	v_fmac_f32_e32 v155, v150, v219
	v_fma_f32 v2, v137, v207, -v2
	v_add_f32_e32 v14, v14, v155
	s_waitcnt vmcnt(34) lgkmcnt(0)
	v_mul_f32_e32 v155, v151, v222
	v_add_f32_e32 v1, v1, v2
	v_mul_f32_e32 v2, v140, v210
	v_fmac_f32_e32 v155, v152, v221
	v_fma_f32 v2, v139, v209, -v2
	v_add_f32_e32 v14, v14, v155
	ds_read_b128 v[155:158], v106 offset:704
	v_add_f32_e32 v1, v1, v2
	v_mul_f32_e32 v2, v142, v212
	v_fma_f32 v2, v141, v211, -v2
	s_waitcnt vmcnt(32)
	v_mul_f32_e32 v159, v153, v224
	v_add_f32_e32 v1, v1, v2
	v_mul_f32_e32 v2, v144, v214
	v_fmac_f32_e32 v159, v154, v223
	v_fma_f32 v2, v143, v213, -v2
	v_add_f32_e32 v14, v14, v159
	ds_read_b128 v[159:162], v106 offset:720
	v_add_f32_e32 v1, v1, v2
	v_mul_f32_e32 v2, v146, v216
	s_waitcnt vmcnt(30) lgkmcnt(1)
	v_mul_f32_e32 v163, v155, v226
	v_fma_f32 v2, v145, v215, -v2
	v_fmac_f32_e32 v163, v156, v225
	v_add_f32_e32 v1, v1, v2
	v_mul_f32_e32 v2, v148, v218
	v_add_f32_e32 v14, v14, v163
	s_waitcnt vmcnt(29)
	v_mul_f32_e32 v163, v157, v227
	v_fma_f32 v2, v147, v217, -v2
	s_waitcnt vmcnt(26)
	v_fmac_f32_e32 v163, v158, v230
	v_add_f32_e32 v1, v1, v2
	v_mul_f32_e32 v2, v150, v220
	v_add_f32_e32 v14, v14, v163
	s_waitcnt lgkmcnt(0)
	v_mul_f32_e32 v163, v159, v229
	v_fma_f32 v2, v149, v219, -v2
	v_fmac_f32_e32 v163, v160, v228
	v_add_f32_e32 v1, v1, v2
	v_mul_f32_e32 v2, v152, v222
	v_add_f32_e32 v14, v14, v163
	ds_read_b128 v[163:166], v106 offset:736
	v_fma_f32 v2, v151, v221, -v2
	v_add_f32_e32 v1, v1, v2
	v_mul_f32_e32 v2, v154, v224
	s_waitcnt vmcnt(24)
	v_mul_f32_e32 v167, v161, v232
	v_fma_f32 v2, v153, v223, -v2
	v_fmac_f32_e32 v167, v162, v231
	v_add_f32_e32 v1, v1, v2
	v_mul_f32_e32 v2, v156, v226
	v_add_f32_e32 v14, v14, v167
	ds_read_b128 v[167:170], v106 offset:752
	v_fma_f32 v2, v155, v225, -v2
	s_waitcnt vmcnt(22) lgkmcnt(1)
	v_mul_f32_e32 v171, v163, v234
	v_add_f32_e32 v1, v1, v2
	v_mul_f32_e32 v2, v158, v227
	v_fmac_f32_e32 v171, v164, v233
	v_fma_f32 v2, v157, v230, -v2
	v_add_f32_e32 v14, v14, v171
	s_waitcnt vmcnt(21)
	v_mul_f32_e32 v171, v165, v235
	v_add_f32_e32 v1, v1, v2
	v_mul_f32_e32 v2, v160, v229
	s_waitcnt vmcnt(18)
	v_fmac_f32_e32 v171, v166, v238
	v_fma_f32 v2, v159, v228, -v2
	v_add_f32_e32 v14, v14, v171
	s_waitcnt lgkmcnt(0)
	v_mul_f32_e32 v171, v167, v237
	v_add_f32_e32 v1, v1, v2
	v_mul_f32_e32 v2, v162, v232
	v_fmac_f32_e32 v171, v168, v236
	v_fma_f32 v2, v161, v231, -v2
	v_add_f32_e32 v14, v14, v171
	ds_read_b128 v[171:174], v106 offset:768
	v_add_f32_e32 v1, v1, v2
	v_mul_f32_e32 v2, v164, v234
	v_fma_f32 v2, v163, v233, -v2
	s_waitcnt vmcnt(16)
	v_mul_f32_e32 v175, v169, v240
	v_add_f32_e32 v1, v1, v2
	v_mul_f32_e32 v2, v166, v235
	v_fmac_f32_e32 v175, v170, v239
	v_fma_f32 v2, v165, v238, -v2
	v_add_f32_e32 v14, v14, v175
	ds_read_b128 v[175:178], v106 offset:784
	v_add_f32_e32 v1, v1, v2
	v_mul_f32_e32 v2, v168, v237
	s_waitcnt vmcnt(14) lgkmcnt(1)
	v_mul_f32_e32 v179, v171, v242
	v_fma_f32 v2, v167, v236, -v2
	v_fmac_f32_e32 v179, v172, v241
	v_add_f32_e32 v1, v1, v2
	v_mul_f32_e32 v2, v170, v240
	v_add_f32_e32 v14, v14, v179
	s_waitcnt vmcnt(13)
	v_mul_f32_e32 v179, v173, v243
	v_fma_f32 v2, v169, v239, -v2
	s_waitcnt vmcnt(10)
	v_fmac_f32_e32 v179, v174, v246
	v_add_f32_e32 v1, v1, v2
	v_mul_f32_e32 v2, v172, v242
	v_add_f32_e32 v14, v14, v179
	s_waitcnt lgkmcnt(0)
	v_mul_f32_e32 v179, v175, v245
	v_fma_f32 v2, v171, v241, -v2
	v_fmac_f32_e32 v179, v176, v244
	v_add_f32_e32 v1, v1, v2
	v_mul_f32_e32 v2, v174, v243
	v_add_f32_e32 v14, v14, v179
	ds_read_b128 v[179:182], v106 offset:800
	v_fma_f32 v2, v173, v246, -v2
	v_add_f32_e32 v1, v1, v2
	v_mul_f32_e32 v2, v176, v245
	s_waitcnt vmcnt(8)
	v_mul_f32_e32 v183, v177, v248
	v_fma_f32 v2, v175, v244, -v2
	v_fmac_f32_e32 v183, v178, v247
	v_add_f32_e32 v1, v1, v2
	v_mul_f32_e32 v2, v178, v248
	v_add_f32_e32 v14, v14, v183
	ds_read_b128 v[183:186], v106 offset:816
	v_fma_f32 v2, v177, v247, -v2
	v_add_f32_e32 v1, v1, v2
	s_waitcnt vmcnt(6) lgkmcnt(1)
	v_mul_f32_e32 v2, v180, v250
	v_mul_f32_e32 v106, v179, v250
	v_fma_f32 v2, v179, v249, -v2
	v_fmac_f32_e32 v106, v180, v249
	v_add_f32_e32 v1, v1, v2
	s_waitcnt vmcnt(5)
	v_mul_f32_e32 v2, v182, v251
	v_add_f32_e32 v14, v14, v106
	v_mul_f32_e32 v106, v181, v251
	s_waitcnt vmcnt(2)
	v_fma_f32 v2, v181, v254, -v2
	v_fmac_f32_e32 v106, v182, v254
	v_add_f32_e32 v1, v1, v2
	s_waitcnt lgkmcnt(0)
	v_mul_f32_e32 v2, v184, v253
	v_add_f32_e32 v14, v14, v106
	v_mul_f32_e32 v106, v183, v253
	v_fma_f32 v2, v183, v252, -v2
	v_fmac_f32_e32 v106, v184, v252
	v_add_f32_e32 v1, v1, v2
	s_waitcnt vmcnt(0)
	v_mul_f32_e32 v2, v186, v13
	v_add_f32_e32 v14, v14, v106
	v_mul_f32_e32 v106, v185, v13
	v_fma_f32 v2, v185, v255, -v2
	v_fmac_f32_e32 v106, v186, v255
	v_add_f32_e32 v1, v1, v2
	v_add_f32_e32 v14, v14, v106
	v_sub_f32_e32 v1, v205, v1
	v_sub_f32_e32 v2, v206, v14
	buffer_store_dword v1, off, s[0:3], 0 offset:88
	buffer_store_dword v2, off, s[0:3], 0 offset:92
	s_and_saveexec_b64 s[4:5], vcc
	s_cbranch_execz .LBB51_305
; %bb.304:
	buffer_load_dword v106, off, s[0:3], 0 offset:80
	buffer_load_dword v107, off, s[0:3], 0 offset:84
	v_mov_b32_e32 v1, 0
	buffer_store_dword v1, off, s[0:3], 0 offset:80
	buffer_store_dword v1, off, s[0:3], 0 offset:84
	s_waitcnt vmcnt(2)
	ds_write_b64 v105, v[106:107]
.LBB51_305:
	s_or_b64 exec, exec, s[4:5]
	s_waitcnt lgkmcnt(0)
	; wave barrier
	buffer_load_dword v115, off, s[0:3], 0 offset:92
	buffer_load_dword v114, off, s[0:3], 0 offset:100
	;; [unrolled: 1-line block ×50, first 2 shown]
	v_mov_b32_e32 v106, 0
	ds_read2_b64 v[116:119], v106 offset0:63 offset1:64
	ds_read2_b64 v[120:123], v106 offset0:65 offset1:66
	;; [unrolled: 1-line block ×6, first 2 shown]
	buffer_load_dword v225, off, s[0:3], 0 offset:280
	buffer_load_dword v226, off, s[0:3], 0 offset:284
	;; [unrolled: 1-line block ×6, first 2 shown]
	v_cmp_lt_u32_e32 vcc, 9, v0
	s_waitcnt vmcnt(55) lgkmcnt(5)
	v_mul_f32_e32 v140, v116, v115
	s_waitcnt vmcnt(54)
	v_mul_f32_e32 v141, v118, v114
	s_waitcnt vmcnt(53) lgkmcnt(4)
	v_mul_f32_e32 v142, v120, v113
	s_waitcnt vmcnt(52)
	v_mul_f32_e32 v143, v122, v112
	;; [unrolled: 4-line block ×5, first 2 shown]
	s_waitcnt vmcnt(45) lgkmcnt(0)
	v_mul_f32_e32 v150, v136, v4
	s_waitcnt vmcnt(44)
	v_fmac_f32_e32 v142, v121, v5
	s_waitcnt vmcnt(43)
	v_fmac_f32_e32 v141, v119, v6
	;; [unrolled: 2-line block ×3, first 2 shown]
	v_add_f32_e32 v140, 0, v140
	v_add_f32_e32 v140, v140, v141
	;; [unrolled: 1-line block ×3, first 2 shown]
	s_waitcnt vmcnt(38)
	v_fmac_f32_e32 v143, v123, v11
	v_fmac_f32_e32 v144, v125, v10
	v_add_f32_e32 v140, v140, v143
	v_fmac_f32_e32 v145, v127, v9
	v_add_f32_e32 v140, v140, v144
	;; [unrolled: 2-line block ×3, first 2 shown]
	s_waitcnt vmcnt(34)
	v_fmac_f32_e32 v147, v131, v198
	v_add_f32_e32 v140, v140, v146
	v_fmac_f32_e32 v148, v133, v14
	v_add_f32_e32 v140, v140, v147
	;; [unrolled: 2-line block ×4, first 2 shown]
	v_add_f32_e32 v144, v140, v150
	ds_read2_b64 v[140:143], v106 offset0:75 offset1:76
	buffer_load_dword v231, off, s[0:3], 0 offset:304
	buffer_load_dword v232, off, s[0:3], 0 offset:308
	s_waitcnt vmcnt(35)
	v_mul_f32_e32 v145, v138, v199
	s_waitcnt vmcnt(29)
	v_fmac_f32_e32 v145, v139, v205
	v_add_f32_e32 v148, v144, v145
	ds_read2_b64 v[144:147], v106 offset0:77 offset1:78
	buffer_load_dword v233, off, s[0:3], 0 offset:312
	buffer_load_dword v234, off, s[0:3], 0 offset:316
	;; [unrolled: 1-line block ×14, first 2 shown]
	s_waitcnt vmcnt(42) lgkmcnt(1)
	v_mul_f32_e32 v149, v140, v206
	v_fmac_f32_e32 v149, v141, v204
	buffer_load_dword v247, off, s[0:3], 0 offset:368
	buffer_load_dword v248, off, s[0:3], 0 offset:372
	v_add_f32_e32 v148, v148, v149
	v_mul_f32_e32 v149, v142, v201
	v_fmac_f32_e32 v149, v143, v200
	v_add_f32_e32 v148, v148, v149
	s_waitcnt lgkmcnt(0)
	v_mul_f32_e32 v149, v144, v203
	v_fmac_f32_e32 v149, v145, v202
	v_add_f32_e32 v152, v148, v149
	ds_read2_b64 v[148:151], v106 offset0:79 offset1:80
	buffer_load_dword v249, off, s[0:3], 0 offset:376
	buffer_load_dword v250, off, s[0:3], 0 offset:380
	;; [unrolled: 1-line block ×6, first 2 shown]
	s_waitcnt vmcnt(46)
	v_mul_f32_e32 v153, v146, v208
	v_fmac_f32_e32 v153, v147, v207
	v_add_f32_e32 v156, v152, v153
	ds_read2_b64 v[152:155], v106 offset0:81 offset1:82
	buffer_load_dword v255, off, s[0:3], 0 offset:404
	buffer_load_dword v15, off, s[0:3], 0 offset:408
	;; [unrolled: 1-line block ×4, first 2 shown]
	s_waitcnt vmcnt(48) lgkmcnt(1)
	v_mul_f32_e32 v157, v148, v210
	v_fmac_f32_e32 v157, v149, v209
	v_add_f32_e32 v18, v156, v157
	s_waitcnt vmcnt(46)
	v_mul_f32_e32 v156, v150, v212
	v_fmac_f32_e32 v156, v151, v211
	v_add_f32_e32 v18, v18, v156
	s_waitcnt vmcnt(44) lgkmcnt(0)
	v_mul_f32_e32 v156, v152, v214
	v_fmac_f32_e32 v156, v153, v213
	v_add_f32_e32 v18, v18, v156
	ds_read2_b64 v[156:159], v106 offset0:83 offset1:84
	s_waitcnt vmcnt(42)
	v_mul_f32_e32 v160, v154, v216
	v_fmac_f32_e32 v160, v155, v215
	v_add_f32_e32 v18, v18, v160
	ds_read2_b64 v[160:163], v106 offset0:85 offset1:86
	s_waitcnt vmcnt(40) lgkmcnt(1)
	v_mul_f32_e32 v164, v156, v218
	v_fmac_f32_e32 v164, v157, v217
	v_add_f32_e32 v18, v18, v164
	s_waitcnt vmcnt(38)
	v_mul_f32_e32 v164, v158, v220
	v_fmac_f32_e32 v164, v159, v219
	v_add_f32_e32 v18, v18, v164
	s_waitcnt vmcnt(36) lgkmcnt(0)
	v_mul_f32_e32 v164, v160, v222
	v_fmac_f32_e32 v164, v161, v221
	v_add_f32_e32 v18, v18, v164
	ds_read2_b64 v[164:167], v106 offset0:87 offset1:88
	s_waitcnt vmcnt(34)
	v_mul_f32_e32 v168, v162, v224
	v_fmac_f32_e32 v168, v163, v223
	v_add_f32_e32 v18, v18, v168
	ds_read2_b64 v[168:171], v106 offset0:89 offset1:90
	s_waitcnt vmcnt(32) lgkmcnt(1)
	v_mul_f32_e32 v172, v164, v226
	v_fmac_f32_e32 v172, v165, v225
	v_add_f32_e32 v18, v18, v172
	s_waitcnt vmcnt(31)
	v_mul_f32_e32 v172, v166, v227
	s_waitcnt vmcnt(28)
	v_fmac_f32_e32 v172, v167, v230
	v_add_f32_e32 v18, v18, v172
	s_waitcnt lgkmcnt(0)
	v_mul_f32_e32 v172, v168, v229
	v_fmac_f32_e32 v172, v169, v228
	v_add_f32_e32 v18, v18, v172
	ds_read2_b64 v[172:175], v106 offset0:91 offset1:92
	v_mul_f32_e32 v1, v131, v1
	v_fma_f32 v1, v130, v198, -v1
	v_mul_f32_e32 v2, v133, v2
	v_fma_f32 v2, v132, v14, -v2
	s_waitcnt vmcnt(26)
	v_mul_f32_e32 v176, v170, v232
	v_fmac_f32_e32 v176, v171, v231
	v_add_f32_e32 v18, v18, v176
	ds_read2_b64 v[176:179], v106 offset0:93 offset1:94
	s_waitcnt vmcnt(24) lgkmcnt(1)
	v_mul_f32_e32 v180, v172, v234
	v_fmac_f32_e32 v180, v173, v233
	v_add_f32_e32 v18, v18, v180
	s_waitcnt vmcnt(23)
	v_mul_f32_e32 v180, v174, v235
	s_waitcnt vmcnt(20)
	v_fmac_f32_e32 v180, v175, v238
	v_add_f32_e32 v18, v18, v180
	s_waitcnt lgkmcnt(0)
	v_mul_f32_e32 v180, v176, v237
	v_fmac_f32_e32 v180, v177, v236
	v_add_f32_e32 v18, v18, v180
	ds_read2_b64 v[180:183], v106 offset0:95 offset1:96
	s_waitcnt vmcnt(18)
	v_mul_f32_e32 v184, v178, v240
	v_fmac_f32_e32 v184, v179, v239
	v_add_f32_e32 v18, v18, v184
	ds_read2_b64 v[184:187], v106 offset0:97 offset1:98
	s_waitcnt vmcnt(16) lgkmcnt(1)
	v_mul_f32_e32 v188, v180, v242
	v_fmac_f32_e32 v188, v181, v241
	v_add_f32_e32 v18, v18, v188
	s_waitcnt vmcnt(15)
	v_mul_f32_e32 v188, v182, v243
	s_waitcnt vmcnt(12)
	v_fmac_f32_e32 v188, v183, v246
	v_add_f32_e32 v18, v18, v188
	s_waitcnt lgkmcnt(0)
	v_mul_f32_e32 v188, v184, v245
	v_fmac_f32_e32 v188, v185, v244
	v_add_f32_e32 v18, v18, v188
	ds_read2_b64 v[188:191], v106 offset0:99 offset1:100
	s_waitcnt vmcnt(10)
	v_mul_f32_e32 v192, v186, v248
	v_fmac_f32_e32 v192, v187, v247
	v_add_f32_e32 v18, v18, v192
	ds_read2_b64 v[192:195], v106 offset0:101 offset1:102
	s_waitcnt vmcnt(8) lgkmcnt(1)
	v_mul_f32_e32 v196, v188, v250
	v_fmac_f32_e32 v196, v189, v249
	v_add_f32_e32 v18, v18, v196
	s_waitcnt vmcnt(7)
	v_mul_f32_e32 v196, v190, v251
	s_waitcnt vmcnt(4)
	v_fmac_f32_e32 v196, v191, v254
	v_add_f32_e32 v18, v18, v196
	ds_read_b64 v[196:197], v106 offset:824
	s_waitcnt lgkmcnt(1)
	v_mul_f32_e32 v19, v192, v253
	v_fmac_f32_e32 v19, v193, v252
	v_add_f32_e32 v18, v18, v19
	s_waitcnt vmcnt(3)
	v_mul_f32_e32 v19, v194, v255
	s_waitcnt vmcnt(0)
	v_fmac_f32_e32 v19, v195, v17
	v_add_f32_e32 v18, v18, v19
	s_waitcnt lgkmcnt(0)
	v_mul_f32_e32 v19, v196, v16
	v_fmac_f32_e32 v19, v197, v15
	v_add_f32_e32 v18, v18, v19
	v_mul_f32_e32 v19, v117, v115
	v_fma_f32 v7, v116, v7, -v19
	v_mul_f32_e32 v19, v119, v114
	v_add_f32_e32 v7, 0, v7
	v_fma_f32 v6, v118, v6, -v19
	v_add_f32_e32 v6, v7, v6
	v_mul_f32_e32 v7, v121, v113
	v_fma_f32 v5, v120, v5, -v7
	v_add_f32_e32 v5, v6, v5
	v_mul_f32_e32 v6, v123, v112
	;; [unrolled: 3-line block ×5, first 2 shown]
	v_fma_f32 v6, v128, v8, -v6
	v_add_f32_e32 v5, v5, v6
	v_add_f32_e32 v1, v5, v1
	v_add_f32_e32 v1, v1, v2
	v_mul_f32_e32 v2, v135, v3
	v_fma_f32 v2, v134, v13, -v2
	v_add_f32_e32 v1, v1, v2
	v_mul_f32_e32 v2, v137, v4
	v_fma_f32 v2, v136, v12, -v2
	v_add_f32_e32 v1, v1, v2
	;; [unrolled: 3-line block ×32, first 2 shown]
	v_sub_f32_e32 v1, v109, v1
	v_sub_f32_e32 v2, v110, v18
	buffer_store_dword v1, off, s[0:3], 0 offset:80
	buffer_store_dword v2, off, s[0:3], 0 offset:84
	s_and_saveexec_b64 s[4:5], vcc
	s_cbranch_execz .LBB51_307
; %bb.306:
	buffer_load_dword v107, off, s[0:3], 0 offset:72
	buffer_load_dword v108, off, s[0:3], 0 offset:76
	s_waitcnt vmcnt(0)
	ds_write_b64 v105, v[107:108]
	buffer_store_dword v106, off, s[0:3], 0 offset:72
	buffer_store_dword v106, off, s[0:3], 0 offset:76
.LBB51_307:
	s_or_b64 exec, exec, s[4:5]
	s_waitcnt lgkmcnt(0)
	; wave barrier
	buffer_load_dword v1, off, s[0:3], 0 offset:84
	buffer_load_dword v2, off, s[0:3], 0 offset:92
	;; [unrolled: 1-line block ×32, first 2 shown]
	ds_read_b128 v[107:110], v106 offset:496
	ds_read_b128 v[111:114], v106 offset:512
	;; [unrolled: 1-line block ×6, first 2 shown]
	buffer_load_dword v203, off, s[0:3], 0 offset:200
	buffer_load_dword v204, off, s[0:3], 0 offset:204
	;; [unrolled: 1-line block ×18, first 2 shown]
	v_cmp_lt_u32_e32 vcc, 8, v0
	s_waitcnt vmcnt(49) lgkmcnt(5)
	v_mul_f32_e32 v131, v107, v1
	s_waitcnt vmcnt(48)
	v_mul_f32_e32 v132, v109, v2
	s_waitcnt vmcnt(47) lgkmcnt(4)
	v_mul_f32_e32 v133, v111, v3
	s_waitcnt vmcnt(46)
	v_mul_f32_e32 v134, v113, v4
	;; [unrolled: 4-line block ×6, first 2 shown]
	s_waitcnt vmcnt(37)
	v_fmac_f32_e32 v133, v112, v13
	s_waitcnt vmcnt(36)
	v_fmac_f32_e32 v132, v110, v14
	;; [unrolled: 2-line block ×3, first 2 shown]
	v_add_f32_e32 v131, 0, v131
	v_add_f32_e32 v131, v131, v132
	;; [unrolled: 1-line block ×3, first 2 shown]
	s_waitcnt vmcnt(31)
	v_fmac_f32_e32 v134, v114, v19
	v_fmac_f32_e32 v135, v116, v18
	v_add_f32_e32 v131, v131, v134
	v_fmac_f32_e32 v136, v118, v17
	v_add_f32_e32 v131, v131, v135
	;; [unrolled: 2-line block ×3, first 2 shown]
	s_waitcnt vmcnt(27)
	v_fmac_f32_e32 v138, v122, v193
	v_add_f32_e32 v131, v131, v137
	v_fmac_f32_e32 v139, v124, v192
	v_add_f32_e32 v131, v131, v138
	;; [unrolled: 2-line block ×3, first 2 shown]
	v_add_f32_e32 v135, v131, v140
	ds_read_b128 v[131:134], v106 offset:592
	buffer_load_dword v221, off, s[0:3], 0 offset:272
	buffer_load_dword v222, off, s[0:3], 0 offset:276
	;; [unrolled: 1-line block ×6, first 2 shown]
	v_fmac_f32_e32 v141, v128, v20
	s_waitcnt vmcnt(27)
	v_fmac_f32_e32 v142, v130, v199
	v_add_f32_e32 v135, v135, v141
	v_add_f32_e32 v139, v135, v142
	ds_read_b128 v[135:138], v106 offset:608
	buffer_load_dword v227, off, s[0:3], 0 offset:296
	buffer_load_dword v228, off, s[0:3], 0 offset:300
	;; [unrolled: 1-line block ×10, first 2 shown]
	s_waitcnt vmcnt(36) lgkmcnt(1)
	v_mul_f32_e32 v140, v131, v200
	buffer_load_dword v237, off, s[0:3], 0 offset:336
	buffer_load_dword v238, off, s[0:3], 0 offset:340
	;; [unrolled: 1-line block ×6, first 2 shown]
	v_fmac_f32_e32 v140, v132, v198
	v_add_f32_e32 v139, v139, v140
	v_mul_f32_e32 v140, v133, v195
	v_fmac_f32_e32 v140, v134, v194
	v_add_f32_e32 v139, v139, v140
	s_waitcnt lgkmcnt(0)
	v_mul_f32_e32 v140, v135, v197
	v_fmac_f32_e32 v140, v136, v196
	v_add_f32_e32 v143, v139, v140
	ds_read_b128 v[139:142], v106 offset:624
	buffer_load_dword v243, off, s[0:3], 0 offset:360
	buffer_load_dword v244, off, s[0:3], 0 offset:364
	s_waitcnt vmcnt(40)
	v_mul_f32_e32 v144, v137, v204
	v_fmac_f32_e32 v144, v138, v203
	v_add_f32_e32 v147, v143, v144
	ds_read_b128 v[143:146], v106 offset:640
	buffer_load_dword v245, off, s[0:3], 0 offset:368
	buffer_load_dword v246, off, s[0:3], 0 offset:372
	buffer_load_dword v247, off, s[0:3], 0 offset:380
	buffer_load_dword v248, off, s[0:3], 0 offset:384
	buffer_load_dword v249, off, s[0:3], 0 offset:388
	buffer_load_dword v250, off, s[0:3], 0 offset:376
	buffer_load_dword v251, off, s[0:3], 0 offset:392
	buffer_load_dword v252, off, s[0:3], 0 offset:396
	buffer_load_dword v253, off, s[0:3], 0 offset:404
	buffer_load_dword v254, off, s[0:3], 0 offset:408
	buffer_load_dword v255, off, s[0:3], 0 offset:412
	buffer_load_dword v21, off, s[0:3], 0 offset:400
	v_mul_f32_e32 v1, v108, v1
	v_fma_f32 v1, v107, v15, -v1
	v_mul_f32_e32 v2, v110, v2
	v_add_f32_e32 v1, 0, v1
	v_fma_f32 v2, v109, v14, -v2
	v_add_f32_e32 v1, v1, v2
	v_mul_f32_e32 v2, v112, v3
	v_fma_f32 v2, v111, v13, -v2
	v_add_f32_e32 v1, v1, v2
	v_mul_f32_e32 v2, v114, v4
	;; [unrolled: 3-line block ×6, first 2 shown]
	v_fma_f32 v2, v121, v193, -v2
	s_waitcnt vmcnt(50) lgkmcnt(1)
	v_mul_f32_e32 v148, v139, v206
	v_add_f32_e32 v1, v1, v2
	v_mul_f32_e32 v2, v124, v9
	v_fmac_f32_e32 v148, v140, v205
	v_fma_f32 v2, v123, v192, -v2
	v_add_f32_e32 v147, v147, v148
	s_waitcnt vmcnt(48)
	v_mul_f32_e32 v148, v141, v208
	v_add_f32_e32 v1, v1, v2
	v_mul_f32_e32 v2, v126, v10
	v_fmac_f32_e32 v148, v142, v207
	v_fma_f32 v2, v125, v191, -v2
	v_add_f32_e32 v22, v147, v148
	s_waitcnt vmcnt(46) lgkmcnt(0)
	v_mul_f32_e32 v147, v143, v210
	v_add_f32_e32 v1, v1, v2
	v_mul_f32_e32 v2, v128, v11
	v_fmac_f32_e32 v147, v144, v209
	v_fma_f32 v2, v127, v20, -v2
	v_add_f32_e32 v22, v22, v147
	ds_read_b128 v[147:150], v106 offset:656
	v_add_f32_e32 v1, v1, v2
	v_mul_f32_e32 v2, v130, v12
	v_fma_f32 v2, v129, v199, -v2
	s_waitcnt vmcnt(44)
	v_mul_f32_e32 v151, v145, v212
	v_add_f32_e32 v1, v1, v2
	v_mul_f32_e32 v2, v132, v200
	v_fmac_f32_e32 v151, v146, v211
	v_fma_f32 v2, v131, v198, -v2
	v_add_f32_e32 v22, v22, v151
	ds_read_b128 v[151:154], v106 offset:672
	v_add_f32_e32 v1, v1, v2
	v_mul_f32_e32 v2, v134, v195
	s_waitcnt vmcnt(42) lgkmcnt(1)
	v_mul_f32_e32 v155, v147, v214
	v_fma_f32 v2, v133, v194, -v2
	v_fmac_f32_e32 v155, v148, v213
	v_add_f32_e32 v1, v1, v2
	v_mul_f32_e32 v2, v136, v197
	v_add_f32_e32 v22, v22, v155
	s_waitcnt vmcnt(40)
	v_mul_f32_e32 v155, v149, v216
	v_fma_f32 v2, v135, v196, -v2
	v_fmac_f32_e32 v155, v150, v215
	v_add_f32_e32 v1, v1, v2
	v_mul_f32_e32 v2, v138, v204
	v_add_f32_e32 v22, v22, v155
	s_waitcnt vmcnt(38) lgkmcnt(0)
	v_mul_f32_e32 v155, v151, v218
	v_fma_f32 v2, v137, v203, -v2
	v_fmac_f32_e32 v155, v152, v217
	v_add_f32_e32 v1, v1, v2
	v_mul_f32_e32 v2, v140, v206
	v_add_f32_e32 v22, v22, v155
	ds_read_b128 v[155:158], v106 offset:688
	v_fma_f32 v2, v139, v205, -v2
	v_add_f32_e32 v1, v1, v2
	v_mul_f32_e32 v2, v142, v208
	s_waitcnt vmcnt(36)
	v_mul_f32_e32 v159, v153, v220
	v_fma_f32 v2, v141, v207, -v2
	v_fmac_f32_e32 v159, v154, v219
	v_add_f32_e32 v1, v1, v2
	v_mul_f32_e32 v2, v144, v210
	v_add_f32_e32 v22, v22, v159
	ds_read_b128 v[159:162], v106 offset:704
	v_fma_f32 v2, v143, v209, -v2
	s_waitcnt vmcnt(34) lgkmcnt(1)
	v_mul_f32_e32 v163, v155, v222
	v_add_f32_e32 v1, v1, v2
	v_mul_f32_e32 v2, v146, v212
	v_fmac_f32_e32 v163, v156, v221
	v_fma_f32 v2, v145, v211, -v2
	v_add_f32_e32 v22, v22, v163
	s_waitcnt vmcnt(33)
	v_mul_f32_e32 v163, v157, v223
	v_add_f32_e32 v1, v1, v2
	v_mul_f32_e32 v2, v148, v214
	s_waitcnt vmcnt(30)
	v_fmac_f32_e32 v163, v158, v226
	v_fma_f32 v2, v147, v213, -v2
	v_add_f32_e32 v22, v22, v163
	s_waitcnt lgkmcnt(0)
	v_mul_f32_e32 v163, v159, v225
	v_add_f32_e32 v1, v1, v2
	v_mul_f32_e32 v2, v150, v216
	v_fmac_f32_e32 v163, v160, v224
	v_fma_f32 v2, v149, v215, -v2
	v_add_f32_e32 v22, v22, v163
	ds_read_b128 v[163:166], v106 offset:720
	v_add_f32_e32 v1, v1, v2
	v_mul_f32_e32 v2, v152, v218
	v_fma_f32 v2, v151, v217, -v2
	s_waitcnt vmcnt(28)
	v_mul_f32_e32 v167, v161, v228
	v_add_f32_e32 v1, v1, v2
	v_mul_f32_e32 v2, v154, v220
	v_fmac_f32_e32 v167, v162, v227
	v_fma_f32 v2, v153, v219, -v2
	v_add_f32_e32 v22, v22, v167
	ds_read_b128 v[167:170], v106 offset:736
	v_add_f32_e32 v1, v1, v2
	v_mul_f32_e32 v2, v156, v222
	s_waitcnt vmcnt(26) lgkmcnt(1)
	v_mul_f32_e32 v171, v163, v230
	v_fma_f32 v2, v155, v221, -v2
	v_fmac_f32_e32 v171, v164, v229
	v_add_f32_e32 v1, v1, v2
	v_mul_f32_e32 v2, v158, v223
	v_add_f32_e32 v22, v22, v171
	s_waitcnt vmcnt(25)
	v_mul_f32_e32 v171, v165, v231
	v_fma_f32 v2, v157, v226, -v2
	s_waitcnt vmcnt(22)
	v_fmac_f32_e32 v171, v166, v234
	v_add_f32_e32 v1, v1, v2
	v_mul_f32_e32 v2, v160, v225
	v_add_f32_e32 v22, v22, v171
	s_waitcnt lgkmcnt(0)
	v_mul_f32_e32 v171, v167, v233
	v_fma_f32 v2, v159, v224, -v2
	v_fmac_f32_e32 v171, v168, v232
	v_add_f32_e32 v1, v1, v2
	v_mul_f32_e32 v2, v162, v228
	v_add_f32_e32 v22, v22, v171
	ds_read_b128 v[171:174], v106 offset:752
	v_fma_f32 v2, v161, v227, -v2
	v_add_f32_e32 v1, v1, v2
	v_mul_f32_e32 v2, v164, v230
	s_waitcnt vmcnt(20)
	v_mul_f32_e32 v175, v169, v236
	v_fma_f32 v2, v163, v229, -v2
	v_fmac_f32_e32 v175, v170, v235
	v_add_f32_e32 v1, v1, v2
	v_mul_f32_e32 v2, v166, v231
	v_add_f32_e32 v22, v22, v175
	ds_read_b128 v[175:178], v106 offset:768
	v_fma_f32 v2, v165, v234, -v2
	s_waitcnt vmcnt(18) lgkmcnt(1)
	v_mul_f32_e32 v179, v171, v238
	v_add_f32_e32 v1, v1, v2
	v_mul_f32_e32 v2, v168, v233
	v_fmac_f32_e32 v179, v172, v237
	v_fma_f32 v2, v167, v232, -v2
	v_add_f32_e32 v22, v22, v179
	s_waitcnt vmcnt(17)
	v_mul_f32_e32 v179, v173, v239
	v_add_f32_e32 v1, v1, v2
	v_mul_f32_e32 v2, v170, v236
	s_waitcnt vmcnt(14)
	v_fmac_f32_e32 v179, v174, v242
	v_fma_f32 v2, v169, v235, -v2
	v_add_f32_e32 v22, v22, v179
	s_waitcnt lgkmcnt(0)
	v_mul_f32_e32 v179, v175, v241
	v_add_f32_e32 v1, v1, v2
	v_mul_f32_e32 v2, v172, v238
	v_fmac_f32_e32 v179, v176, v240
	v_fma_f32 v2, v171, v237, -v2
	v_add_f32_e32 v22, v22, v179
	ds_read_b128 v[179:182], v106 offset:784
	v_add_f32_e32 v1, v1, v2
	v_mul_f32_e32 v2, v174, v239
	v_fma_f32 v2, v173, v242, -v2
	v_add_f32_e32 v1, v1, v2
	v_mul_f32_e32 v2, v176, v241
	s_waitcnt vmcnt(12)
	v_mul_f32_e32 v183, v177, v244
	v_fma_f32 v2, v175, v240, -v2
	v_fmac_f32_e32 v183, v178, v243
	v_add_f32_e32 v1, v1, v2
	v_mul_f32_e32 v2, v178, v244
	v_add_f32_e32 v22, v22, v183
	ds_read_b128 v[183:186], v106 offset:800
	s_waitcnt vmcnt(10) lgkmcnt(1)
	v_mul_f32_e32 v187, v179, v246
	v_fma_f32 v2, v177, v243, -v2
	v_fmac_f32_e32 v187, v180, v245
	v_add_f32_e32 v1, v1, v2
	v_mul_f32_e32 v2, v180, v246
	v_add_f32_e32 v22, v22, v187
	s_waitcnt vmcnt(9)
	v_mul_f32_e32 v187, v181, v247
	v_fma_f32 v2, v179, v245, -v2
	s_waitcnt vmcnt(6)
	v_fmac_f32_e32 v187, v182, v250
	v_add_f32_e32 v1, v1, v2
	v_mul_f32_e32 v2, v182, v247
	v_add_f32_e32 v22, v22, v187
	ds_read_b128 v[187:190], v106 offset:816
	v_fma_f32 v2, v181, v250, -v2
	v_add_f32_e32 v1, v1, v2
	s_waitcnt lgkmcnt(1)
	v_mul_f32_e32 v2, v184, v249
	v_mul_f32_e32 v23, v183, v249
	v_fma_f32 v2, v183, v248, -v2
	v_fmac_f32_e32 v23, v184, v248
	v_add_f32_e32 v1, v1, v2
	s_waitcnt vmcnt(4)
	v_mul_f32_e32 v2, v186, v252
	v_add_f32_e32 v22, v22, v23
	v_mul_f32_e32 v23, v185, v252
	v_fma_f32 v2, v185, v251, -v2
	v_fmac_f32_e32 v23, v186, v251
	v_add_f32_e32 v1, v1, v2
	s_waitcnt vmcnt(3) lgkmcnt(0)
	v_mul_f32_e32 v2, v188, v253
	v_add_f32_e32 v22, v22, v23
	v_mul_f32_e32 v23, v187, v253
	s_waitcnt vmcnt(0)
	v_fma_f32 v2, v187, v21, -v2
	v_fmac_f32_e32 v23, v188, v21
	v_add_f32_e32 v1, v1, v2
	v_mul_f32_e32 v2, v190, v255
	v_add_f32_e32 v22, v22, v23
	v_mul_f32_e32 v23, v189, v255
	v_fma_f32 v2, v189, v254, -v2
	v_fmac_f32_e32 v23, v190, v254
	v_add_f32_e32 v1, v1, v2
	v_add_f32_e32 v22, v22, v23
	v_sub_f32_e32 v1, v201, v1
	v_sub_f32_e32 v2, v202, v22
	buffer_store_dword v1, off, s[0:3], 0 offset:72
	buffer_store_dword v2, off, s[0:3], 0 offset:76
	s_and_saveexec_b64 s[4:5], vcc
	s_cbranch_execz .LBB51_309
; %bb.308:
	buffer_load_dword v106, off, s[0:3], 0 offset:64
	buffer_load_dword v107, off, s[0:3], 0 offset:68
	v_mov_b32_e32 v1, 0
	buffer_store_dword v1, off, s[0:3], 0 offset:64
	buffer_store_dword v1, off, s[0:3], 0 offset:68
	s_waitcnt vmcnt(2)
	ds_write_b64 v105, v[106:107]
.LBB51_309:
	s_or_b64 exec, exec, s[4:5]
	s_waitcnt lgkmcnt(0)
	; wave barrier
	buffer_load_dword v115, off, s[0:3], 0 offset:76
	buffer_load_dword v114, off, s[0:3], 0 offset:84
	;; [unrolled: 1-line block ×48, first 2 shown]
	v_mov_b32_e32 v106, 0
	ds_read2_b64 v[121:124], v106 offset0:61 offset1:62
	ds_read2_b64 v[125:128], v106 offset0:63 offset1:64
	;; [unrolled: 1-line block ×6, first 2 shown]
	buffer_load_dword v217, off, s[0:3], 0 offset:256
	buffer_load_dword v218, off, s[0:3], 0 offset:260
	v_cmp_lt_u32_e32 vcc, 7, v0
	s_waitcnt vmcnt(49) lgkmcnt(5)
	v_mul_f32_e32 v145, v121, v115
	s_waitcnt vmcnt(48)
	v_mul_f32_e32 v146, v123, v114
	s_waitcnt vmcnt(47) lgkmcnt(4)
	v_mul_f32_e32 v147, v125, v113
	s_waitcnt vmcnt(46)
	v_mul_f32_e32 v148, v127, v112
	;; [unrolled: 4-line block ×6, first 2 shown]
	s_waitcnt vmcnt(37)
	v_fmac_f32_e32 v147, v126, v1
	s_waitcnt vmcnt(36)
	v_fmac_f32_e32 v146, v124, v2
	;; [unrolled: 2-line block ×3, first 2 shown]
	v_add_f32_e32 v145, 0, v145
	v_add_f32_e32 v145, v145, v146
	;; [unrolled: 1-line block ×3, first 2 shown]
	s_waitcnt vmcnt(31)
	v_fmac_f32_e32 v148, v128, v7
	v_fmac_f32_e32 v149, v130, v6
	v_add_f32_e32 v145, v145, v148
	v_fmac_f32_e32 v150, v132, v5
	v_add_f32_e32 v145, v145, v149
	;; [unrolled: 2-line block ×3, first 2 shown]
	s_waitcnt vmcnt(27)
	v_fmac_f32_e32 v152, v136, v11
	v_add_f32_e32 v145, v145, v151
	v_fmac_f32_e32 v153, v138, v10
	v_add_f32_e32 v145, v145, v152
	;; [unrolled: 2-line block ×4, first 2 shown]
	v_add_f32_e32 v149, v145, v155
	ds_read2_b64 v[145:148], v106 offset0:73 offset1:74
	buffer_load_dword v219, off, s[0:3], 0 offset:264
	buffer_load_dword v220, off, s[0:3], 0 offset:268
	;; [unrolled: 1-line block ×6, first 2 shown]
	s_waitcnt vmcnt(28)
	v_fmac_f32_e32 v156, v144, v16
	v_add_f32_e32 v153, v149, v156
	ds_read2_b64 v[149:152], v106 offset0:75 offset1:76
	buffer_load_dword v225, off, s[0:3], 0 offset:288
	buffer_load_dword v226, off, s[0:3], 0 offset:292
	;; [unrolled: 1-line block ×8, first 2 shown]
	s_waitcnt vmcnt(35) lgkmcnt(1)
	v_mul_f32_e32 v154, v145, v17
	buffer_load_dword v233, off, s[0:3], 0 offset:320
	buffer_load_dword v234, off, s[0:3], 0 offset:324
	v_fmac_f32_e32 v154, v146, v15
	v_add_f32_e32 v153, v153, v154
	s_waitcnt vmcnt(36)
	v_mul_f32_e32 v154, v147, v18
	v_fmac_f32_e32 v154, v148, v14
	v_add_f32_e32 v153, v153, v154
	s_waitcnt lgkmcnt(0)
	v_mul_f32_e32 v154, v149, v13
	v_fmac_f32_e32 v154, v150, v12
	v_add_f32_e32 v157, v153, v154
	ds_read2_b64 v[153:156], v106 offset0:77 offset1:78
	buffer_load_dword v235, off, s[0:3], 0 offset:328
	buffer_load_dword v236, off, s[0:3], 0 offset:332
	;; [unrolled: 1-line block ×6, first 2 shown]
	s_waitcnt vmcnt(38)
	v_mul_f32_e32 v158, v151, v20
	v_fmac_f32_e32 v158, v152, v19
	v_add_f32_e32 v161, v157, v158
	ds_read2_b64 v[157:160], v106 offset0:79 offset1:80
	buffer_load_dword v241, off, s[0:3], 0 offset:352
	buffer_load_dword v242, off, s[0:3], 0 offset:356
	;; [unrolled: 1-line block ×16, first 2 shown]
	s_waitcnt vmcnt(52) lgkmcnt(1)
	v_mul_f32_e32 v162, v153, v22
	v_fmac_f32_e32 v162, v154, v21
	v_add_f32_e32 v161, v161, v162
	s_waitcnt vmcnt(50)
	v_mul_f32_e32 v162, v155, v24
	v_fmac_f32_e32 v162, v156, v23
	v_add_f32_e32 v161, v161, v162
	s_waitcnt vmcnt(48) lgkmcnt(0)
	v_mul_f32_e32 v162, v157, v208
	v_fmac_f32_e32 v162, v158, v207
	v_add_f32_e32 v165, v161, v162
	ds_read2_b64 v[161:164], v106 offset0:81 offset1:82
	s_waitcnt vmcnt(46)
	v_mul_f32_e32 v26, v159, v210
	v_fmac_f32_e32 v26, v160, v209
	v_add_f32_e32 v26, v165, v26
	ds_read2_b64 v[165:168], v106 offset0:83 offset1:84
	s_waitcnt vmcnt(44) lgkmcnt(1)
	v_mul_f32_e32 v169, v161, v212
	v_fmac_f32_e32 v169, v162, v211
	v_add_f32_e32 v26, v26, v169
	s_waitcnt vmcnt(42)
	v_mul_f32_e32 v169, v163, v214
	v_fmac_f32_e32 v169, v164, v213
	v_add_f32_e32 v26, v26, v169
	s_waitcnt vmcnt(40) lgkmcnt(0)
	v_mul_f32_e32 v169, v165, v216
	v_fmac_f32_e32 v169, v166, v215
	v_add_f32_e32 v26, v26, v169
	ds_read2_b64 v[169:172], v106 offset0:85 offset1:86
	s_waitcnt vmcnt(38)
	v_mul_f32_e32 v173, v167, v218
	v_fmac_f32_e32 v173, v168, v217
	v_add_f32_e32 v26, v26, v173
	ds_read2_b64 v[173:176], v106 offset0:87 offset1:88
	s_waitcnt vmcnt(36) lgkmcnt(1)
	v_mul_f32_e32 v177, v169, v220
	v_fmac_f32_e32 v177, v170, v219
	v_add_f32_e32 v26, v26, v177
	s_waitcnt vmcnt(35)
	v_mul_f32_e32 v177, v171, v221
	s_waitcnt vmcnt(32)
	v_fmac_f32_e32 v177, v172, v224
	v_add_f32_e32 v26, v26, v177
	s_waitcnt lgkmcnt(0)
	v_mul_f32_e32 v177, v173, v223
	v_fmac_f32_e32 v177, v174, v222
	v_add_f32_e32 v26, v26, v177
	ds_read2_b64 v[177:180], v106 offset0:89 offset1:90
	s_waitcnt vmcnt(30)
	v_mul_f32_e32 v181, v175, v226
	v_fmac_f32_e32 v181, v176, v225
	v_add_f32_e32 v26, v26, v181
	ds_read2_b64 v[181:184], v106 offset0:91 offset1:92
	s_waitcnt vmcnt(28) lgkmcnt(1)
	v_mul_f32_e32 v185, v177, v228
	v_fmac_f32_e32 v185, v178, v227
	v_add_f32_e32 v26, v26, v185
	s_waitcnt vmcnt(27)
	v_mul_f32_e32 v185, v179, v229
	s_waitcnt vmcnt(24)
	v_fmac_f32_e32 v185, v180, v232
	v_add_f32_e32 v26, v26, v185
	s_waitcnt lgkmcnt(0)
	;; [unrolled: 19-line block ×4, first 2 shown]
	v_mul_f32_e32 v201, v197, v247
	v_fmac_f32_e32 v201, v198, v246
	v_add_f32_e32 v26, v26, v201
	ds_read2_b64 v[201:204], v106 offset0:101 offset1:102
	s_waitcnt vmcnt(6)
	v_mul_f32_e32 v205, v199, v250
	v_fmac_f32_e32 v205, v200, v249
	v_add_f32_e32 v26, v26, v205
	ds_read_b64 v[205:206], v106 offset:824
	s_waitcnt vmcnt(4) lgkmcnt(1)
	v_mul_f32_e32 v27, v201, v252
	v_fmac_f32_e32 v27, v202, v251
	v_add_f32_e32 v26, v26, v27
	s_waitcnt vmcnt(3)
	v_mul_f32_e32 v27, v203, v253
	s_waitcnt vmcnt(0)
	v_fmac_f32_e32 v27, v204, v25
	v_add_f32_e32 v26, v26, v27
	s_waitcnt lgkmcnt(0)
	v_mul_f32_e32 v27, v205, v255
	v_fmac_f32_e32 v27, v206, v254
	v_add_f32_e32 v26, v26, v27
	v_mul_f32_e32 v27, v122, v115
	v_fma_f32 v3, v121, v3, -v27
	v_mul_f32_e32 v27, v124, v114
	v_add_f32_e32 v3, 0, v3
	v_fma_f32 v2, v123, v2, -v27
	v_add_f32_e32 v2, v3, v2
	v_mul_f32_e32 v3, v126, v113
	v_fma_f32 v1, v125, v1, -v3
	v_add_f32_e32 v1, v2, v1
	v_mul_f32_e32 v2, v128, v112
	;; [unrolled: 3-line block ×41, first 2 shown]
	v_fma_f32 v2, v205, v254, -v2
	v_add_f32_e32 v1, v1, v2
	v_sub_f32_e32 v1, v107, v1
	v_sub_f32_e32 v2, v108, v26
	buffer_store_dword v1, off, s[0:3], 0 offset:64
	buffer_store_dword v2, off, s[0:3], 0 offset:68
	s_and_saveexec_b64 s[4:5], vcc
	s_cbranch_execz .LBB51_311
; %bb.310:
	buffer_load_dword v107, off, s[0:3], 0 offset:56
	buffer_load_dword v108, off, s[0:3], 0 offset:60
	s_waitcnt vmcnt(0)
	ds_write_b64 v105, v[107:108]
	buffer_store_dword v106, off, s[0:3], 0 offset:56
	buffer_store_dword v106, off, s[0:3], 0 offset:60
.LBB51_311:
	s_or_b64 exec, exec, s[4:5]
	s_waitcnt lgkmcnt(0)
	; wave barrier
	buffer_load_dword v115, off, s[0:3], 0 offset:68
	buffer_load_dword v114, off, s[0:3], 0 offset:76
	;; [unrolled: 1-line block ×32, first 2 shown]
	ds_read_b128 v[121:124], v106 offset:480
	ds_read_b128 v[125:128], v106 offset:496
	;; [unrolled: 1-line block ×4, first 2 shown]
	buffer_load_dword v19, off, s[0:3], 0 offset:184
	buffer_load_dword v20, off, s[0:3], 0 offset:188
	ds_read_b128 v[137:140], v106 offset:544
	ds_read_b128 v[141:144], v106 offset:560
	;; [unrolled: 1-line block ×3, first 2 shown]
	buffer_load_dword v21, off, s[0:3], 0 offset:192
	buffer_load_dword v22, off, s[0:3], 0 offset:196
	;; [unrolled: 1-line block ×16, first 2 shown]
	v_cmp_lt_u32_e32 vcc, 6, v0
	s_waitcnt vmcnt(49) lgkmcnt(6)
	v_mul_f32_e32 v149, v121, v115
	s_waitcnt vmcnt(48)
	v_mul_f32_e32 v150, v123, v114
	s_waitcnt vmcnt(47) lgkmcnt(5)
	v_mul_f32_e32 v151, v125, v113
	s_waitcnt vmcnt(46)
	v_mul_f32_e32 v152, v127, v112
	;; [unrolled: 4-line block ×6, first 2 shown]
	s_waitcnt vmcnt(37)
	v_fmac_f32_e32 v151, v126, v1
	s_waitcnt vmcnt(36)
	v_fmac_f32_e32 v150, v124, v2
	;; [unrolled: 2-line block ×3, first 2 shown]
	v_add_f32_e32 v149, 0, v149
	v_add_f32_e32 v149, v149, v150
	;; [unrolled: 1-line block ×3, first 2 shown]
	s_waitcnt vmcnt(31)
	v_fmac_f32_e32 v152, v128, v7
	v_fmac_f32_e32 v153, v130, v6
	v_add_f32_e32 v149, v149, v152
	v_fmac_f32_e32 v154, v132, v5
	v_add_f32_e32 v149, v149, v153
	;; [unrolled: 2-line block ×3, first 2 shown]
	s_waitcnt vmcnt(27)
	v_fmac_f32_e32 v156, v136, v11
	v_add_f32_e32 v149, v149, v155
	v_fmac_f32_e32 v157, v138, v10
	v_add_f32_e32 v149, v149, v156
	;; [unrolled: 2-line block ×4, first 2 shown]
	s_waitcnt vmcnt(23)
	v_fmac_f32_e32 v160, v144, v15
	v_add_f32_e32 v149, v149, v159
	v_add_f32_e32 v153, v149, v160
	ds_read_b128 v[149:152], v106 offset:592
	buffer_load_dword v217, off, s[0:3], 0 offset:256
	buffer_load_dword v218, off, s[0:3], 0 offset:260
	;; [unrolled: 1-line block ×14, first 2 shown]
	s_waitcnt vmcnt(36) lgkmcnt(1)
	v_mul_f32_e32 v154, v145, v16
	buffer_load_dword v231, off, s[0:3], 0 offset:312
	buffer_load_dword v232, off, s[0:3], 0 offset:316
	v_fmac_f32_e32 v154, v146, v14
	v_add_f32_e32 v153, v153, v154
	s_waitcnt vmcnt(37)
	v_mul_f32_e32 v154, v147, v17
	v_fmac_f32_e32 v154, v148, v13
	v_add_f32_e32 v153, v153, v154
	s_waitcnt vmcnt(36) lgkmcnt(0)
	v_mul_f32_e32 v154, v149, v18
	v_fmac_f32_e32 v154, v150, v12
	v_add_f32_e32 v157, v153, v154
	ds_read_b128 v[153:156], v106 offset:608
	buffer_load_dword v233, off, s[0:3], 0 offset:320
	buffer_load_dword v234, off, s[0:3], 0 offset:324
	;; [unrolled: 1-line block ×6, first 2 shown]
	s_waitcnt vmcnt(38)
	v_mul_f32_e32 v158, v151, v20
	v_fmac_f32_e32 v158, v152, v19
	v_add_f32_e32 v161, v157, v158
	ds_read_b128 v[157:160], v106 offset:624
	buffer_load_dword v239, off, s[0:3], 0 offset:344
	buffer_load_dword v240, off, s[0:3], 0 offset:348
	;; [unrolled: 1-line block ×10, first 2 shown]
	s_waitcnt vmcnt(46) lgkmcnt(1)
	v_mul_f32_e32 v162, v153, v22
	v_fmac_f32_e32 v162, v154, v21
	v_add_f32_e32 v161, v161, v162
	s_waitcnt vmcnt(44)
	v_mul_f32_e32 v162, v155, v24
	v_fmac_f32_e32 v162, v156, v23
	v_add_f32_e32 v161, v161, v162
	s_waitcnt vmcnt(42) lgkmcnt(0)
	v_mul_f32_e32 v162, v157, v26
	buffer_load_dword v249, off, s[0:3], 0 offset:384
	buffer_load_dword v250, off, s[0:3], 0 offset:388
	;; [unrolled: 1-line block ×6, first 2 shown]
	v_fmac_f32_e32 v162, v158, v25
	s_waitcnt vmcnt(46)
	v_mul_f32_e32 v166, v159, v28
	v_add_f32_e32 v165, v161, v162
	v_fmac_f32_e32 v166, v160, v27
	ds_read_b128 v[161:164], v106 offset:640
	v_add_f32_e32 v169, v165, v166
	ds_read_b128 v[165:168], v106 offset:656
	buffer_load_dword v255, off, s[0:3], 0 offset:408
	buffer_load_dword v29, off, s[0:3], 0 offset:412
	s_waitcnt vmcnt(46) lgkmcnt(1)
	v_mul_f32_e32 v30, v161, v210
	v_fmac_f32_e32 v30, v162, v209
	v_add_f32_e32 v30, v169, v30
	s_waitcnt vmcnt(44)
	v_mul_f32_e32 v169, v163, v212
	v_fmac_f32_e32 v169, v164, v211
	v_add_f32_e32 v30, v30, v169
	s_waitcnt vmcnt(42) lgkmcnt(0)
	v_mul_f32_e32 v169, v165, v214
	v_fmac_f32_e32 v169, v166, v213
	v_add_f32_e32 v30, v30, v169
	ds_read_b128 v[169:172], v106 offset:672
	s_waitcnt vmcnt(40)
	v_mul_f32_e32 v173, v167, v216
	v_fmac_f32_e32 v173, v168, v215
	v_add_f32_e32 v30, v30, v173
	ds_read_b128 v[173:176], v106 offset:688
	s_waitcnt vmcnt(38) lgkmcnt(1)
	v_mul_f32_e32 v177, v169, v218
	v_fmac_f32_e32 v177, v170, v217
	v_add_f32_e32 v30, v30, v177
	s_waitcnt vmcnt(37)
	v_mul_f32_e32 v177, v171, v219
	s_waitcnt vmcnt(34)
	v_fmac_f32_e32 v177, v172, v222
	v_add_f32_e32 v30, v30, v177
	s_waitcnt lgkmcnt(0)
	v_mul_f32_e32 v177, v173, v221
	v_fmac_f32_e32 v177, v174, v220
	v_add_f32_e32 v30, v30, v177
	ds_read_b128 v[177:180], v106 offset:704
	s_waitcnt vmcnt(32)
	v_mul_f32_e32 v181, v175, v224
	v_fmac_f32_e32 v181, v176, v223
	v_add_f32_e32 v30, v30, v181
	ds_read_b128 v[181:184], v106 offset:720
	s_waitcnt vmcnt(30) lgkmcnt(1)
	v_mul_f32_e32 v185, v177, v226
	v_fmac_f32_e32 v185, v178, v225
	v_add_f32_e32 v30, v30, v185
	s_waitcnt vmcnt(29)
	v_mul_f32_e32 v185, v179, v227
	s_waitcnt vmcnt(26)
	v_fmac_f32_e32 v185, v180, v230
	v_add_f32_e32 v30, v30, v185
	s_waitcnt lgkmcnt(0)
	;; [unrolled: 19-line block ×5, first 2 shown]
	v_mul_f32_e32 v106, v205, v253
	v_fmac_f32_e32 v106, v206, v252
	v_add_f32_e32 v30, v30, v106
	s_waitcnt vmcnt(0)
	v_mul_f32_e32 v106, v207, v29
	v_fmac_f32_e32 v106, v208, v255
	v_add_f32_e32 v30, v30, v106
	v_mul_f32_e32 v106, v122, v115
	v_fma_f32 v3, v121, v3, -v106
	v_mul_f32_e32 v106, v124, v114
	v_add_f32_e32 v3, 0, v3
	v_fma_f32 v2, v123, v2, -v106
	v_add_f32_e32 v2, v3, v2
	v_mul_f32_e32 v3, v126, v113
	v_fma_f32 v1, v125, v1, -v3
	v_add_f32_e32 v1, v2, v1
	v_mul_f32_e32 v2, v128, v112
	;; [unrolled: 3-line block ×42, first 2 shown]
	v_fma_f32 v2, v207, v255, -v2
	v_add_f32_e32 v1, v1, v2
	v_sub_f32_e32 v1, v107, v1
	v_sub_f32_e32 v2, v108, v30
	buffer_store_dword v1, off, s[0:3], 0 offset:56
	buffer_store_dword v2, off, s[0:3], 0 offset:60
	s_and_saveexec_b64 s[4:5], vcc
	s_cbranch_execz .LBB51_313
; %bb.312:
	buffer_load_dword v106, off, s[0:3], 0 offset:48
	buffer_load_dword v107, off, s[0:3], 0 offset:52
	v_mov_b32_e32 v1, 0
	buffer_store_dword v1, off, s[0:3], 0 offset:48
	buffer_store_dword v1, off, s[0:3], 0 offset:52
	s_waitcnt vmcnt(2)
	ds_write_b64 v105, v[106:107]
.LBB51_313:
	s_or_b64 exec, exec, s[4:5]
	s_waitcnt lgkmcnt(0)
	; wave barrier
	buffer_load_dword v1, off, s[0:3], 0 offset:60
	buffer_load_dword v2, off, s[0:3], 0 offset:68
	;; [unrolled: 1-line block ×48, first 2 shown]
	v_mov_b32_e32 v106, 0
	ds_read2_b64 v[109:112], v106 offset0:59 offset1:60
	ds_read2_b64 v[113:116], v106 offset0:61 offset1:62
	;; [unrolled: 1-line block ×7, first 2 shown]
	v_cmp_lt_u32_e32 vcc, 5, v0
	s_waitcnt vmcnt(47) lgkmcnt(6)
	v_mul_f32_e32 v137, v109, v1
	s_waitcnt vmcnt(46)
	v_mul_f32_e32 v138, v111, v2
	s_waitcnt vmcnt(45) lgkmcnt(5)
	v_mul_f32_e32 v139, v113, v3
	s_waitcnt vmcnt(44)
	v_mul_f32_e32 v140, v115, v4
	s_waitcnt vmcnt(43) lgkmcnt(4)
	v_mul_f32_e32 v141, v117, v5
	s_waitcnt vmcnt(42)
	v_mul_f32_e32 v142, v119, v6
	s_waitcnt vmcnt(41) lgkmcnt(3)
	v_mul_f32_e32 v143, v121, v7
	s_waitcnt vmcnt(40)
	v_mul_f32_e32 v144, v123, v8
	s_waitcnt vmcnt(39) lgkmcnt(2)
	v_mul_f32_e32 v145, v125, v9
	s_waitcnt vmcnt(38)
	v_mul_f32_e32 v146, v127, v10
	s_waitcnt vmcnt(37) lgkmcnt(1)
	v_mul_f32_e32 v147, v129, v11
	s_waitcnt vmcnt(36)
	v_mul_f32_e32 v148, v131, v12
	s_waitcnt vmcnt(35)
	v_fmac_f32_e32 v139, v114, v13
	s_waitcnt vmcnt(34)
	v_fmac_f32_e32 v138, v112, v14
	s_waitcnt vmcnt(33)
	v_fmac_f32_e32 v137, v110, v15
	v_add_f32_e32 v137, 0, v137
	v_add_f32_e32 v137, v137, v138
	;; [unrolled: 1-line block ×3, first 2 shown]
	s_waitcnt vmcnt(29)
	v_fmac_f32_e32 v140, v116, v19
	v_fmac_f32_e32 v141, v118, v18
	v_add_f32_e32 v137, v137, v140
	v_fmac_f32_e32 v142, v120, v17
	v_add_f32_e32 v137, v137, v141
	;; [unrolled: 2-line block ×3, first 2 shown]
	s_waitcnt vmcnt(25)
	v_fmac_f32_e32 v144, v124, v23
	v_add_f32_e32 v137, v137, v143
	v_fmac_f32_e32 v145, v126, v22
	v_add_f32_e32 v137, v137, v144
	;; [unrolled: 2-line block ×4, first 2 shown]
	s_waitcnt vmcnt(21)
	v_fmac_f32_e32 v148, v132, v27
	v_add_f32_e32 v137, v137, v147
	v_add_f32_e32 v141, v137, v148
	ds_read2_b64 v[137:140], v106 offset0:73 offset1:74
	buffer_load_dword v215, off, s[0:3], 0 offset:240
	buffer_load_dword v216, off, s[0:3], 0 offset:244
	;; [unrolled: 1-line block ×10, first 2 shown]
	s_waitcnt vmcnt(30) lgkmcnt(1)
	v_mul_f32_e32 v142, v133, v28
	v_fmac_f32_e32 v142, v134, v26
	buffer_load_dword v225, off, s[0:3], 0 offset:280
	buffer_load_dword v226, off, s[0:3], 0 offset:284
	;; [unrolled: 1-line block ×6, first 2 shown]
	v_add_f32_e32 v141, v141, v142
	s_waitcnt vmcnt(35)
	v_mul_f32_e32 v142, v135, v29
	v_fmac_f32_e32 v142, v136, v25
	v_add_f32_e32 v141, v141, v142
	s_waitcnt vmcnt(34) lgkmcnt(0)
	v_mul_f32_e32 v142, v137, v30
	v_fmac_f32_e32 v142, v138, v24
	v_add_f32_e32 v145, v141, v142
	ds_read2_b64 v[141:144], v106 offset0:75 offset1:76
	buffer_load_dword v231, off, s[0:3], 0 offset:304
	buffer_load_dword v232, off, s[0:3], 0 offset:308
	s_waitcnt vmcnt(32)
	v_mul_f32_e32 v146, v139, v200
	v_fmac_f32_e32 v146, v140, v199
	v_add_f32_e32 v149, v145, v146
	ds_read2_b64 v[145:148], v106 offset0:77 offset1:78
	buffer_load_dword v233, off, s[0:3], 0 offset:312
	buffer_load_dword v234, off, s[0:3], 0 offset:316
	;; [unrolled: 1-line block ×14, first 2 shown]
	s_waitcnt vmcnt(44) lgkmcnt(1)
	v_mul_f32_e32 v150, v141, v202
	v_fmac_f32_e32 v150, v142, v201
	buffer_load_dword v247, off, s[0:3], 0 offset:368
	buffer_load_dword v248, off, s[0:3], 0 offset:372
	v_add_f32_e32 v149, v149, v150
	s_waitcnt vmcnt(44)
	v_mul_f32_e32 v150, v143, v204
	v_fmac_f32_e32 v150, v144, v203
	v_add_f32_e32 v149, v149, v150
	s_waitcnt vmcnt(42) lgkmcnt(0)
	v_mul_f32_e32 v150, v145, v206
	v_fmac_f32_e32 v150, v146, v205
	v_mul_f32_e32 v1, v110, v1
	v_add_f32_e32 v153, v149, v150
	ds_read2_b64 v[149:152], v106 offset0:79 offset1:80
	buffer_load_dword v249, off, s[0:3], 0 offset:376
	buffer_load_dword v250, off, s[0:3], 0 offset:380
	;; [unrolled: 1-line block ×6, first 2 shown]
	v_fma_f32 v1, v109, v15, -v1
	v_mul_f32_e32 v2, v112, v2
	v_add_f32_e32 v1, 0, v1
	v_fma_f32 v2, v111, v14, -v2
	v_add_f32_e32 v1, v1, v2
	v_mul_f32_e32 v2, v114, v3
	s_waitcnt vmcnt(46)
	v_mul_f32_e32 v154, v147, v208
	v_fma_f32 v2, v113, v13, -v2
	v_fmac_f32_e32 v154, v148, v207
	v_add_f32_e32 v1, v1, v2
	v_mul_f32_e32 v2, v116, v4
	v_add_f32_e32 v157, v153, v154
	ds_read2_b64 v[153:156], v106 offset0:81 offset1:82
	buffer_load_dword v255, off, s[0:3], 0 offset:404
	buffer_load_dword v31, off, s[0:3], 0 offset:408
	;; [unrolled: 1-line block ×4, first 2 shown]
	v_fma_f32 v2, v115, v19, -v2
	v_add_f32_e32 v1, v1, v2
	v_mul_f32_e32 v2, v118, v5
	v_fma_f32 v2, v117, v18, -v2
	v_add_f32_e32 v1, v1, v2
	v_mul_f32_e32 v2, v120, v6
	;; [unrolled: 3-line block ×8, first 2 shown]
	v_fma_f32 v2, v131, v27, -v2
	s_waitcnt vmcnt(48) lgkmcnt(1)
	v_mul_f32_e32 v158, v149, v210
	v_add_f32_e32 v1, v1, v2
	v_mul_f32_e32 v2, v134, v28
	v_fmac_f32_e32 v158, v150, v209
	v_fma_f32 v2, v133, v26, -v2
	v_add_f32_e32 v34, v157, v158
	s_waitcnt vmcnt(46)
	v_mul_f32_e32 v157, v151, v212
	v_add_f32_e32 v1, v1, v2
	v_mul_f32_e32 v2, v136, v29
	v_fmac_f32_e32 v157, v152, v211
	v_fma_f32 v2, v135, v25, -v2
	v_add_f32_e32 v34, v34, v157
	s_waitcnt vmcnt(44) lgkmcnt(0)
	v_mul_f32_e32 v157, v153, v214
	v_add_f32_e32 v1, v1, v2
	v_mul_f32_e32 v2, v138, v30
	v_fmac_f32_e32 v157, v154, v213
	v_fma_f32 v2, v137, v24, -v2
	v_add_f32_e32 v34, v34, v157
	ds_read2_b64 v[157:160], v106 offset0:83 offset1:84
	v_add_f32_e32 v1, v1, v2
	v_mul_f32_e32 v2, v140, v200
	v_fma_f32 v2, v139, v199, -v2
	s_waitcnt vmcnt(42)
	v_mul_f32_e32 v161, v155, v216
	v_add_f32_e32 v1, v1, v2
	v_mul_f32_e32 v2, v142, v202
	v_fmac_f32_e32 v161, v156, v215
	v_fma_f32 v2, v141, v201, -v2
	v_add_f32_e32 v34, v34, v161
	ds_read2_b64 v[161:164], v106 offset0:85 offset1:86
	v_add_f32_e32 v1, v1, v2
	v_mul_f32_e32 v2, v144, v204
	s_waitcnt vmcnt(40) lgkmcnt(1)
	v_mul_f32_e32 v165, v157, v218
	v_fma_f32 v2, v143, v203, -v2
	v_fmac_f32_e32 v165, v158, v217
	v_add_f32_e32 v1, v1, v2
	v_mul_f32_e32 v2, v146, v206
	v_add_f32_e32 v34, v34, v165
	s_waitcnt vmcnt(39)
	v_mul_f32_e32 v165, v159, v219
	v_fma_f32 v2, v145, v205, -v2
	s_waitcnt vmcnt(36)
	v_fmac_f32_e32 v165, v160, v222
	v_add_f32_e32 v1, v1, v2
	v_mul_f32_e32 v2, v148, v208
	v_add_f32_e32 v34, v34, v165
	s_waitcnt lgkmcnt(0)
	v_mul_f32_e32 v165, v161, v221
	v_fma_f32 v2, v147, v207, -v2
	v_fmac_f32_e32 v165, v162, v220
	v_add_f32_e32 v1, v1, v2
	v_mul_f32_e32 v2, v150, v210
	v_add_f32_e32 v34, v34, v165
	ds_read2_b64 v[165:168], v106 offset0:87 offset1:88
	v_fma_f32 v2, v149, v209, -v2
	v_add_f32_e32 v1, v1, v2
	v_mul_f32_e32 v2, v152, v212
	s_waitcnt vmcnt(34)
	v_mul_f32_e32 v169, v163, v224
	v_fma_f32 v2, v151, v211, -v2
	v_fmac_f32_e32 v169, v164, v223
	v_add_f32_e32 v1, v1, v2
	v_mul_f32_e32 v2, v154, v214
	v_add_f32_e32 v34, v34, v169
	ds_read2_b64 v[169:172], v106 offset0:89 offset1:90
	v_fma_f32 v2, v153, v213, -v2
	s_waitcnt vmcnt(32) lgkmcnt(1)
	v_mul_f32_e32 v173, v165, v226
	v_add_f32_e32 v1, v1, v2
	v_mul_f32_e32 v2, v156, v216
	v_fmac_f32_e32 v173, v166, v225
	v_fma_f32 v2, v155, v215, -v2
	v_add_f32_e32 v34, v34, v173
	s_waitcnt vmcnt(31)
	v_mul_f32_e32 v173, v167, v227
	v_add_f32_e32 v1, v1, v2
	v_mul_f32_e32 v2, v158, v218
	s_waitcnt vmcnt(28)
	v_fmac_f32_e32 v173, v168, v230
	v_fma_f32 v2, v157, v217, -v2
	v_add_f32_e32 v34, v34, v173
	s_waitcnt lgkmcnt(0)
	v_mul_f32_e32 v173, v169, v229
	v_add_f32_e32 v1, v1, v2
	v_mul_f32_e32 v2, v160, v219
	v_fmac_f32_e32 v173, v170, v228
	v_fma_f32 v2, v159, v222, -v2
	v_add_f32_e32 v34, v34, v173
	ds_read2_b64 v[173:176], v106 offset0:91 offset1:92
	v_add_f32_e32 v1, v1, v2
	v_mul_f32_e32 v2, v162, v221
	v_fma_f32 v2, v161, v220, -v2
	s_waitcnt vmcnt(26)
	v_mul_f32_e32 v177, v171, v232
	v_add_f32_e32 v1, v1, v2
	v_mul_f32_e32 v2, v164, v224
	v_fmac_f32_e32 v177, v172, v231
	v_fma_f32 v2, v163, v223, -v2
	v_add_f32_e32 v34, v34, v177
	ds_read2_b64 v[177:180], v106 offset0:93 offset1:94
	v_add_f32_e32 v1, v1, v2
	v_mul_f32_e32 v2, v166, v226
	s_waitcnt vmcnt(24) lgkmcnt(1)
	v_mul_f32_e32 v181, v173, v234
	v_fma_f32 v2, v165, v225, -v2
	v_fmac_f32_e32 v181, v174, v233
	v_add_f32_e32 v1, v1, v2
	v_mul_f32_e32 v2, v168, v227
	v_add_f32_e32 v34, v34, v181
	s_waitcnt vmcnt(23)
	v_mul_f32_e32 v181, v175, v235
	v_fma_f32 v2, v167, v230, -v2
	s_waitcnt vmcnt(20)
	v_fmac_f32_e32 v181, v176, v238
	v_add_f32_e32 v1, v1, v2
	v_mul_f32_e32 v2, v170, v229
	v_add_f32_e32 v34, v34, v181
	s_waitcnt lgkmcnt(0)
	v_mul_f32_e32 v181, v177, v237
	v_fma_f32 v2, v169, v228, -v2
	v_fmac_f32_e32 v181, v178, v236
	v_add_f32_e32 v1, v1, v2
	v_mul_f32_e32 v2, v172, v232
	v_add_f32_e32 v34, v34, v181
	ds_read2_b64 v[181:184], v106 offset0:95 offset1:96
	v_fma_f32 v2, v171, v231, -v2
	v_add_f32_e32 v1, v1, v2
	v_mul_f32_e32 v2, v174, v234
	s_waitcnt vmcnt(18)
	v_mul_f32_e32 v185, v179, v240
	v_fma_f32 v2, v173, v233, -v2
	v_fmac_f32_e32 v185, v180, v239
	v_add_f32_e32 v1, v1, v2
	v_mul_f32_e32 v2, v176, v235
	v_add_f32_e32 v34, v34, v185
	ds_read2_b64 v[185:188], v106 offset0:97 offset1:98
	v_fma_f32 v2, v175, v238, -v2
	s_waitcnt vmcnt(16) lgkmcnt(1)
	v_mul_f32_e32 v189, v181, v242
	v_add_f32_e32 v1, v1, v2
	v_mul_f32_e32 v2, v178, v237
	v_fmac_f32_e32 v189, v182, v241
	v_fma_f32 v2, v177, v236, -v2
	v_add_f32_e32 v34, v34, v189
	s_waitcnt vmcnt(15)
	v_mul_f32_e32 v189, v183, v243
	v_add_f32_e32 v1, v1, v2
	v_mul_f32_e32 v2, v180, v240
	s_waitcnt vmcnt(12)
	v_fmac_f32_e32 v189, v184, v246
	v_fma_f32 v2, v179, v239, -v2
	v_add_f32_e32 v34, v34, v189
	s_waitcnt lgkmcnt(0)
	v_mul_f32_e32 v189, v185, v245
	v_add_f32_e32 v1, v1, v2
	v_mul_f32_e32 v2, v182, v242
	v_fmac_f32_e32 v189, v186, v244
	v_fma_f32 v2, v181, v241, -v2
	v_add_f32_e32 v34, v34, v189
	ds_read2_b64 v[189:192], v106 offset0:99 offset1:100
	v_add_f32_e32 v1, v1, v2
	v_mul_f32_e32 v2, v184, v243
	v_fma_f32 v2, v183, v246, -v2
	v_add_f32_e32 v1, v1, v2
	v_mul_f32_e32 v2, v186, v245
	s_waitcnt vmcnt(10)
	v_mul_f32_e32 v193, v187, v248
	v_fma_f32 v2, v185, v244, -v2
	v_fmac_f32_e32 v193, v188, v247
	v_add_f32_e32 v1, v1, v2
	v_mul_f32_e32 v2, v188, v248
	v_add_f32_e32 v34, v34, v193
	ds_read2_b64 v[193:196], v106 offset0:101 offset1:102
	s_waitcnt vmcnt(8) lgkmcnt(1)
	v_mul_f32_e32 v197, v189, v250
	v_fma_f32 v2, v187, v247, -v2
	v_fmac_f32_e32 v197, v190, v249
	v_add_f32_e32 v1, v1, v2
	v_mul_f32_e32 v2, v190, v250
	v_add_f32_e32 v34, v34, v197
	s_waitcnt vmcnt(7)
	v_mul_f32_e32 v197, v191, v251
	v_fma_f32 v2, v189, v249, -v2
	s_waitcnt vmcnt(4)
	v_fmac_f32_e32 v197, v192, v254
	v_add_f32_e32 v1, v1, v2
	v_mul_f32_e32 v2, v192, v251
	v_add_f32_e32 v34, v34, v197
	ds_read_b64 v[197:198], v106 offset:824
	v_fma_f32 v2, v191, v254, -v2
	v_add_f32_e32 v1, v1, v2
	s_waitcnt lgkmcnt(1)
	v_mul_f32_e32 v2, v194, v253
	v_mul_f32_e32 v35, v193, v253
	v_fma_f32 v2, v193, v252, -v2
	v_fmac_f32_e32 v35, v194, v252
	v_add_f32_e32 v1, v1, v2
	s_waitcnt vmcnt(3)
	v_mul_f32_e32 v2, v196, v255
	v_add_f32_e32 v34, v34, v35
	v_mul_f32_e32 v35, v195, v255
	s_waitcnt vmcnt(0)
	v_fma_f32 v2, v195, v33, -v2
	v_fmac_f32_e32 v35, v196, v33
	v_add_f32_e32 v1, v1, v2
	s_waitcnt lgkmcnt(0)
	v_mul_f32_e32 v2, v198, v32
	v_add_f32_e32 v34, v34, v35
	v_mul_f32_e32 v35, v197, v32
	v_fma_f32 v2, v197, v31, -v2
	v_fmac_f32_e32 v35, v198, v31
	v_add_f32_e32 v1, v1, v2
	v_add_f32_e32 v34, v34, v35
	v_sub_f32_e32 v1, v107, v1
	v_sub_f32_e32 v2, v108, v34
	buffer_store_dword v1, off, s[0:3], 0 offset:48
	buffer_store_dword v2, off, s[0:3], 0 offset:52
	s_and_saveexec_b64 s[4:5], vcc
	s_cbranch_execz .LBB51_315
; %bb.314:
	buffer_load_dword v107, off, s[0:3], 0 offset:40
	buffer_load_dword v108, off, s[0:3], 0 offset:44
	s_waitcnt vmcnt(0)
	ds_write_b64 v105, v[107:108]
	buffer_store_dword v106, off, s[0:3], 0 offset:40
	buffer_store_dword v106, off, s[0:3], 0 offset:44
.LBB51_315:
	s_or_b64 exec, exec, s[4:5]
	s_waitcnt lgkmcnt(0)
	; wave barrier
	buffer_load_dword v115, off, s[0:3], 0 offset:52
	buffer_load_dword v114, off, s[0:3], 0 offset:60
	;; [unrolled: 1-line block ×33, first 2 shown]
	ds_read_b128 v[116:119], v106 offset:464
	ds_read_b128 v[120:123], v106 offset:480
	;; [unrolled: 1-line block ×6, first 2 shown]
	buffer_load_dword v25, off, s[0:3], 0 offset:168
	buffer_load_dword v26, off, s[0:3], 0 offset:180
	buffer_load_dword v27, off, s[0:3], 0 offset:184
	buffer_load_dword v28, off, s[0:3], 0 offset:188
	buffer_load_dword v29, off, s[0:3], 0 offset:192
	buffer_load_dword v30, off, s[0:3], 0 offset:196
	buffer_load_dword v31, off, s[0:3], 0 offset:176
	ds_read_b128 v[140:143], v106 offset:560
	ds_read_b128 v[144:147], v106 offset:576
	buffer_load_dword v32, off, s[0:3], 0 offset:200
	buffer_load_dword v33, off, s[0:3], 0 offset:204
	;; [unrolled: 1-line block ×18, first 2 shown]
	v_cmp_lt_u32_e32 vcc, 4, v0
	s_waitcnt vmcnt(57) lgkmcnt(7)
	v_mul_f32_e32 v148, v116, v115
	s_waitcnt vmcnt(56)
	v_mul_f32_e32 v149, v118, v114
	s_waitcnt vmcnt(55) lgkmcnt(6)
	v_mul_f32_e32 v150, v120, v113
	s_waitcnt vmcnt(54)
	v_mul_f32_e32 v151, v122, v112
	;; [unrolled: 4-line block ×6, first 2 shown]
	s_waitcnt vmcnt(45)
	v_fmac_f32_e32 v150, v121, v6
	s_waitcnt vmcnt(44)
	v_fmac_f32_e32 v149, v119, v7
	;; [unrolled: 2-line block ×3, first 2 shown]
	v_add_f32_e32 v148, 0, v148
	v_add_f32_e32 v148, v148, v149
	;; [unrolled: 1-line block ×3, first 2 shown]
	s_waitcnt vmcnt(39)
	v_fmac_f32_e32 v151, v123, v12
	v_fmac_f32_e32 v152, v125, v11
	v_add_f32_e32 v148, v148, v151
	v_fmac_f32_e32 v153, v127, v10
	v_add_f32_e32 v148, v148, v152
	;; [unrolled: 2-line block ×3, first 2 shown]
	s_waitcnt vmcnt(35)
	v_fmac_f32_e32 v155, v131, v16
	v_add_f32_e32 v148, v148, v154
	v_fmac_f32_e32 v156, v133, v15
	v_add_f32_e32 v148, v148, v155
	;; [unrolled: 2-line block ×4, first 2 shown]
	s_waitcnt vmcnt(31)
	v_fmac_f32_e32 v159, v139, v20
	v_add_f32_e32 v148, v148, v158
	s_waitcnt vmcnt(30) lgkmcnt(1)
	v_mul_f32_e32 v149, v140, v21
	v_add_f32_e32 v148, v148, v159
	v_fmac_f32_e32 v149, v141, v19
	v_add_f32_e32 v148, v148, v149
	s_waitcnt vmcnt(29)
	v_mul_f32_e32 v149, v142, v22
	v_fmac_f32_e32 v149, v143, v18
	v_add_f32_e32 v148, v148, v149
	s_waitcnt vmcnt(28) lgkmcnt(0)
	v_mul_f32_e32 v149, v144, v23
	v_fmac_f32_e32 v149, v145, v17
	v_add_f32_e32 v152, v148, v149
	ds_read_b128 v[148:151], v106 offset:592
	buffer_load_dword v221, off, s[0:3], 0 offset:272
	buffer_load_dword v222, off, s[0:3], 0 offset:276
	;; [unrolled: 1-line block ×6, first 2 shown]
	s_waitcnt vmcnt(33)
	v_mul_f32_e32 v153, v146, v24
	s_waitcnt vmcnt(30)
	v_fmac_f32_e32 v153, v147, v25
	v_add_f32_e32 v156, v152, v153
	ds_read_b128 v[152:155], v106 offset:608
	buffer_load_dword v227, off, s[0:3], 0 offset:296
	buffer_load_dword v228, off, s[0:3], 0 offset:300
	;; [unrolled: 1-line block ×10, first 2 shown]
	s_waitcnt vmcnt(39) lgkmcnt(1)
	v_mul_f32_e32 v157, v148, v26
	buffer_load_dword v237, off, s[0:3], 0 offset:336
	buffer_load_dword v238, off, s[0:3], 0 offset:340
	;; [unrolled: 1-line block ×6, first 2 shown]
	s_waitcnt vmcnt(40)
	v_fmac_f32_e32 v157, v149, v31
	v_add_f32_e32 v156, v156, v157
	v_mul_f32_e32 v157, v150, v28
	v_fmac_f32_e32 v157, v151, v27
	v_add_f32_e32 v156, v156, v157
	s_waitcnt lgkmcnt(0)
	v_mul_f32_e32 v157, v152, v30
	v_fmac_f32_e32 v157, v153, v29
	v_add_f32_e32 v160, v156, v157
	ds_read_b128 v[156:159], v106 offset:624
	buffer_load_dword v243, off, s[0:3], 0 offset:360
	buffer_load_dword v244, off, s[0:3], 0 offset:364
	s_waitcnt vmcnt(40)
	v_mul_f32_e32 v161, v154, v33
	v_fmac_f32_e32 v161, v155, v32
	v_add_f32_e32 v164, v160, v161
	ds_read_b128 v[160:163], v106 offset:640
	buffer_load_dword v245, off, s[0:3], 0 offset:368
	buffer_load_dword v246, off, s[0:3], 0 offset:372
	;; [unrolled: 1-line block ×12, first 2 shown]
	s_waitcnt vmcnt(50) lgkmcnt(1)
	v_mul_f32_e32 v165, v156, v35
	v_fmac_f32_e32 v165, v157, v34
	v_add_f32_e32 v164, v164, v165
	s_waitcnt vmcnt(48)
	v_mul_f32_e32 v165, v158, v208
	v_fmac_f32_e32 v165, v159, v36
	v_add_f32_e32 v38, v164, v165
	s_waitcnt vmcnt(46) lgkmcnt(0)
	v_mul_f32_e32 v164, v160, v210
	v_fmac_f32_e32 v164, v161, v209
	v_add_f32_e32 v38, v38, v164
	ds_read_b128 v[164:167], v106 offset:656
	s_waitcnt vmcnt(44)
	v_mul_f32_e32 v168, v162, v212
	v_fmac_f32_e32 v168, v163, v211
	v_add_f32_e32 v38, v38, v168
	ds_read_b128 v[168:171], v106 offset:672
	s_waitcnt vmcnt(42) lgkmcnt(1)
	v_mul_f32_e32 v172, v164, v214
	v_fmac_f32_e32 v172, v165, v213
	v_add_f32_e32 v38, v38, v172
	s_waitcnt vmcnt(41)
	v_mul_f32_e32 v172, v166, v215
	s_waitcnt vmcnt(38)
	v_fmac_f32_e32 v172, v167, v218
	v_add_f32_e32 v38, v38, v172
	s_waitcnt lgkmcnt(0)
	v_mul_f32_e32 v172, v168, v217
	v_fmac_f32_e32 v172, v169, v216
	v_add_f32_e32 v38, v38, v172
	ds_read_b128 v[172:175], v106 offset:688
	s_waitcnt vmcnt(36)
	v_mul_f32_e32 v176, v170, v220
	v_fmac_f32_e32 v176, v171, v219
	v_add_f32_e32 v38, v38, v176
	ds_read_b128 v[176:179], v106 offset:704
	v_mul_f32_e32 v1, v131, v1
	v_fma_f32 v1, v130, v16, -v1
	v_mul_f32_e32 v2, v133, v2
	v_fma_f32 v2, v132, v15, -v2
	s_waitcnt vmcnt(34) lgkmcnt(1)
	v_mul_f32_e32 v180, v172, v222
	v_fmac_f32_e32 v180, v173, v221
	v_add_f32_e32 v38, v38, v180
	s_waitcnt vmcnt(33)
	v_mul_f32_e32 v180, v174, v223
	s_waitcnt vmcnt(30)
	v_fmac_f32_e32 v180, v175, v226
	v_add_f32_e32 v38, v38, v180
	s_waitcnt lgkmcnt(0)
	v_mul_f32_e32 v180, v176, v225
	v_fmac_f32_e32 v180, v177, v224
	v_add_f32_e32 v38, v38, v180
	ds_read_b128 v[180:183], v106 offset:720
	s_waitcnt vmcnt(28)
	v_mul_f32_e32 v184, v178, v228
	v_fmac_f32_e32 v184, v179, v227
	v_add_f32_e32 v38, v38, v184
	ds_read_b128 v[184:187], v106 offset:736
	s_waitcnt vmcnt(26) lgkmcnt(1)
	v_mul_f32_e32 v188, v180, v230
	v_fmac_f32_e32 v188, v181, v229
	v_add_f32_e32 v38, v38, v188
	s_waitcnt vmcnt(25)
	v_mul_f32_e32 v188, v182, v231
	s_waitcnt vmcnt(22)
	v_fmac_f32_e32 v188, v183, v234
	v_add_f32_e32 v38, v38, v188
	s_waitcnt lgkmcnt(0)
	v_mul_f32_e32 v188, v184, v233
	v_fmac_f32_e32 v188, v185, v232
	v_add_f32_e32 v38, v38, v188
	ds_read_b128 v[188:191], v106 offset:752
	s_waitcnt vmcnt(20)
	v_mul_f32_e32 v192, v186, v236
	v_fmac_f32_e32 v192, v187, v235
	v_add_f32_e32 v38, v38, v192
	ds_read_b128 v[192:195], v106 offset:768
	;; [unrolled: 19-line block ×3, first 2 shown]
	s_waitcnt vmcnt(10) lgkmcnt(1)
	v_mul_f32_e32 v204, v196, v246
	v_fmac_f32_e32 v204, v197, v245
	v_add_f32_e32 v38, v38, v204
	s_waitcnt vmcnt(9)
	v_mul_f32_e32 v204, v198, v247
	s_waitcnt vmcnt(6)
	v_fmac_f32_e32 v204, v199, v250
	v_add_f32_e32 v38, v38, v204
	ds_read_b128 v[204:207], v106 offset:816
	s_waitcnt lgkmcnt(1)
	v_mul_f32_e32 v39, v200, v249
	v_fmac_f32_e32 v39, v201, v248
	v_add_f32_e32 v38, v38, v39
	s_waitcnt vmcnt(4)
	v_mul_f32_e32 v39, v202, v252
	v_fmac_f32_e32 v39, v203, v251
	v_add_f32_e32 v38, v38, v39
	s_waitcnt vmcnt(3) lgkmcnt(0)
	v_mul_f32_e32 v39, v204, v253
	s_waitcnt vmcnt(0)
	v_fmac_f32_e32 v39, v205, v37
	v_add_f32_e32 v38, v38, v39
	v_mul_f32_e32 v39, v206, v255
	v_fmac_f32_e32 v39, v207, v254
	v_add_f32_e32 v38, v38, v39
	v_mul_f32_e32 v39, v117, v115
	v_fma_f32 v8, v116, v8, -v39
	v_mul_f32_e32 v39, v119, v114
	v_add_f32_e32 v8, 0, v8
	v_fma_f32 v7, v118, v7, -v39
	v_add_f32_e32 v7, v8, v7
	v_mul_f32_e32 v8, v121, v113
	v_fma_f32 v6, v120, v6, -v8
	v_add_f32_e32 v6, v7, v6
	v_mul_f32_e32 v7, v123, v112
	;; [unrolled: 3-line block ×5, first 2 shown]
	v_fma_f32 v7, v128, v9, -v7
	v_add_f32_e32 v6, v6, v7
	v_add_f32_e32 v1, v6, v1
	;; [unrolled: 1-line block ×3, first 2 shown]
	v_mul_f32_e32 v2, v135, v3
	v_fma_f32 v2, v134, v14, -v2
	v_add_f32_e32 v1, v1, v2
	v_mul_f32_e32 v2, v137, v4
	v_fma_f32 v2, v136, v13, -v2
	v_add_f32_e32 v1, v1, v2
	;; [unrolled: 3-line block ×37, first 2 shown]
	v_sub_f32_e32 v1, v107, v1
	v_sub_f32_e32 v2, v108, v38
	buffer_store_dword v1, off, s[0:3], 0 offset:40
	buffer_store_dword v2, off, s[0:3], 0 offset:44
	s_and_saveexec_b64 s[4:5], vcc
	s_cbranch_execz .LBB51_317
; %bb.316:
	buffer_load_dword v106, off, s[0:3], 0 offset:32
	buffer_load_dword v107, off, s[0:3], 0 offset:36
	v_mov_b32_e32 v1, 0
	buffer_store_dword v1, off, s[0:3], 0 offset:32
	buffer_store_dword v1, off, s[0:3], 0 offset:36
	s_waitcnt vmcnt(2)
	ds_write_b64 v105, v[106:107]
.LBB51_317:
	s_or_b64 exec, exec, s[4:5]
	s_waitcnt lgkmcnt(0)
	; wave barrier
	buffer_load_dword v113, off, s[0:3], 0 offset:44
	buffer_load_dword v112, off, s[0:3], 0 offset:52
	;; [unrolled: 1-line block ×48, first 2 shown]
	v_mov_b32_e32 v106, 0
	ds_read2_b64 v[116:119], v106 offset0:57 offset1:58
	ds_read2_b64 v[120:123], v106 offset0:59 offset1:60
	;; [unrolled: 1-line block ×7, first 2 shown]
	v_cmp_lt_u32_e32 vcc, 3, v0
	s_waitcnt vmcnt(47) lgkmcnt(6)
	v_mul_f32_e32 v40, v116, v113
	s_waitcnt vmcnt(46)
	v_mul_f32_e32 v144, v118, v112
	s_waitcnt vmcnt(45) lgkmcnt(5)
	v_mul_f32_e32 v145, v120, v111
	s_waitcnt vmcnt(44)
	v_mul_f32_e32 v146, v122, v110
	;; [unrolled: 4-line block ×6, first 2 shown]
	s_waitcnt vmcnt(35)
	v_fmac_f32_e32 v145, v121, v6
	s_waitcnt vmcnt(34)
	v_fmac_f32_e32 v144, v119, v7
	;; [unrolled: 2-line block ×3, first 2 shown]
	v_add_f32_e32 v40, 0, v40
	v_add_f32_e32 v40, v40, v144
	;; [unrolled: 1-line block ×3, first 2 shown]
	s_waitcnt vmcnt(29)
	v_fmac_f32_e32 v146, v123, v12
	v_fmac_f32_e32 v147, v125, v11
	v_add_f32_e32 v40, v40, v146
	v_add_f32_e32 v40, v40, v147
	ds_read2_b64 v[144:147], v106 offset0:71 offset1:72
	buffer_load_dword v210, off, s[0:3], 0 offset:224
	buffer_load_dword v211, off, s[0:3], 0 offset:228
	v_fmac_f32_e32 v148, v127, v10
	v_fmac_f32_e32 v149, v129, v9
	v_add_f32_e32 v40, v40, v148
	buffer_load_dword v212, off, s[0:3], 0 offset:232
	buffer_load_dword v213, off, s[0:3], 0 offset:236
	;; [unrolled: 1-line block ×6, first 2 shown]
	s_waitcnt vmcnt(33)
	v_fmac_f32_e32 v150, v131, v16
	v_add_f32_e32 v40, v40, v149
	v_fmac_f32_e32 v151, v133, v15
	v_add_f32_e32 v40, v40, v150
	;; [unrolled: 2-line block ×4, first 2 shown]
	s_waitcnt vmcnt(29)
	v_fmac_f32_e32 v154, v139, v20
	v_add_f32_e32 v40, v40, v153
	s_waitcnt vmcnt(28) lgkmcnt(1)
	v_mul_f32_e32 v148, v140, v21
	buffer_load_dword v218, off, s[0:3], 0 offset:256
	buffer_load_dword v219, off, s[0:3], 0 offset:260
	v_add_f32_e32 v40, v40, v154
	v_fmac_f32_e32 v148, v141, v19
	v_add_f32_e32 v40, v40, v148
	s_waitcnt vmcnt(29)
	v_mul_f32_e32 v148, v142, v22
	v_fmac_f32_e32 v148, v143, v18
	v_add_f32_e32 v40, v40, v148
	s_waitcnt vmcnt(28) lgkmcnt(0)
	v_mul_f32_e32 v148, v144, v23
	v_fmac_f32_e32 v148, v145, v17
	v_add_f32_e32 v40, v40, v148
	ds_read2_b64 v[148:151], v106 offset0:73 offset1:74
	buffer_load_dword v220, off, s[0:3], 0 offset:264
	buffer_load_dword v221, off, s[0:3], 0 offset:268
	buffer_load_dword v222, off, s[0:3], 0 offset:276
	buffer_load_dword v223, off, s[0:3], 0 offset:280
	buffer_load_dword v224, off, s[0:3], 0 offset:284
	buffer_load_dword v225, off, s[0:3], 0 offset:272
	s_waitcnt vmcnt(33)
	v_mul_f32_e32 v152, v146, v24
	s_waitcnt vmcnt(26)
	v_fmac_f32_e32 v152, v147, v31
	v_add_f32_e32 v40, v40, v152
	ds_read2_b64 v[152:155], v106 offset0:75 offset1:76
	buffer_load_dword v226, off, s[0:3], 0 offset:288
	buffer_load_dword v227, off, s[0:3], 0 offset:292
	;; [unrolled: 1-line block ×8, first 2 shown]
	s_waitcnt lgkmcnt(1)
	v_mul_f32_e32 v156, v148, v26
	buffer_load_dword v234, off, s[0:3], 0 offset:320
	buffer_load_dword v235, off, s[0:3], 0 offset:324
	v_fmac_f32_e32 v156, v149, v25
	v_add_f32_e32 v40, v40, v156
	v_mul_f32_e32 v156, v150, v28
	v_fmac_f32_e32 v156, v151, v27
	v_add_f32_e32 v40, v40, v156
	s_waitcnt lgkmcnt(0)
	v_mul_f32_e32 v156, v152, v30
	v_fmac_f32_e32 v156, v153, v29
	v_add_f32_e32 v40, v40, v156
	ds_read2_b64 v[156:159], v106 offset0:77 offset1:78
	buffer_load_dword v236, off, s[0:3], 0 offset:328
	buffer_load_dword v237, off, s[0:3], 0 offset:332
	;; [unrolled: 1-line block ×6, first 2 shown]
	s_waitcnt vmcnt(38)
	v_mul_f32_e32 v160, v154, v33
	v_fmac_f32_e32 v160, v155, v32
	v_add_f32_e32 v40, v40, v160
	ds_read2_b64 v[160:163], v106 offset0:79 offset1:80
	buffer_load_dword v242, off, s[0:3], 0 offset:352
	buffer_load_dword v243, off, s[0:3], 0 offset:356
	;; [unrolled: 1-line block ×16, first 2 shown]
	s_waitcnt vmcnt(52) lgkmcnt(1)
	v_mul_f32_e32 v164, v156, v35
	v_fmac_f32_e32 v164, v157, v34
	v_add_f32_e32 v40, v40, v164
	s_waitcnt vmcnt(50)
	v_mul_f32_e32 v164, v158, v37
	v_fmac_f32_e32 v164, v159, v36
	v_add_f32_e32 v40, v40, v164
	s_waitcnt vmcnt(48) lgkmcnt(0)
	v_mul_f32_e32 v164, v160, v39
	v_fmac_f32_e32 v164, v161, v38
	v_add_f32_e32 v40, v40, v164
	ds_read2_b64 v[164:167], v106 offset0:81 offset1:82
	v_mul_f32_e32 v1, v131, v1
	v_fma_f32 v1, v130, v16, -v1
	v_mul_f32_e32 v2, v133, v2
	v_fma_f32 v2, v132, v15, -v2
	s_waitcnt vmcnt(46)
	v_mul_f32_e32 v168, v162, v211
	v_fmac_f32_e32 v168, v163, v210
	v_add_f32_e32 v40, v40, v168
	ds_read2_b64 v[168:171], v106 offset0:83 offset1:84
	s_waitcnt vmcnt(44) lgkmcnt(1)
	v_mul_f32_e32 v172, v164, v213
	v_fmac_f32_e32 v172, v165, v212
	v_add_f32_e32 v40, v40, v172
	s_waitcnt vmcnt(43)
	v_mul_f32_e32 v172, v166, v214
	s_waitcnt vmcnt(40)
	v_fmac_f32_e32 v172, v167, v217
	v_add_f32_e32 v40, v40, v172
	s_waitcnt lgkmcnt(0)
	v_mul_f32_e32 v172, v168, v216
	v_fmac_f32_e32 v172, v169, v215
	v_add_f32_e32 v40, v40, v172
	ds_read2_b64 v[172:175], v106 offset0:85 offset1:86
	s_waitcnt vmcnt(38)
	v_mul_f32_e32 v176, v170, v219
	v_fmac_f32_e32 v176, v171, v218
	v_add_f32_e32 v40, v40, v176
	ds_read2_b64 v[176:179], v106 offset0:87 offset1:88
	s_waitcnt vmcnt(36) lgkmcnt(1)
	v_mul_f32_e32 v180, v172, v221
	v_fmac_f32_e32 v180, v173, v220
	v_add_f32_e32 v40, v40, v180
	s_waitcnt vmcnt(35)
	v_mul_f32_e32 v180, v174, v222
	s_waitcnt vmcnt(32)
	v_fmac_f32_e32 v180, v175, v225
	v_add_f32_e32 v40, v40, v180
	s_waitcnt lgkmcnt(0)
	v_mul_f32_e32 v180, v176, v224
	v_fmac_f32_e32 v180, v177, v223
	v_add_f32_e32 v40, v40, v180
	ds_read2_b64 v[180:183], v106 offset0:89 offset1:90
	;; [unrolled: 19-line block ×5, first 2 shown]
	s_waitcnt vmcnt(6)
	v_mul_f32_e32 v208, v202, v251
	v_fmac_f32_e32 v208, v203, v250
	v_add_f32_e32 v40, v40, v208
	ds_read_b64 v[208:209], v106 offset:824
	s_waitcnt vmcnt(4) lgkmcnt(1)
	v_mul_f32_e32 v43, v204, v253
	v_fmac_f32_e32 v43, v205, v252
	v_add_f32_e32 v40, v40, v43
	s_waitcnt vmcnt(3)
	v_mul_f32_e32 v43, v206, v254
	s_waitcnt vmcnt(0)
	v_fmac_f32_e32 v43, v207, v42
	v_add_f32_e32 v40, v40, v43
	s_waitcnt lgkmcnt(0)
	v_mul_f32_e32 v43, v208, v41
	v_fmac_f32_e32 v43, v209, v255
	v_add_f32_e32 v40, v40, v43
	v_mul_f32_e32 v43, v117, v113
	v_fma_f32 v8, v116, v8, -v43
	v_mul_f32_e32 v43, v119, v112
	v_add_f32_e32 v8, 0, v8
	v_fma_f32 v7, v118, v7, -v43
	v_add_f32_e32 v7, v8, v7
	v_mul_f32_e32 v8, v121, v111
	v_fma_f32 v6, v120, v6, -v8
	v_add_f32_e32 v6, v7, v6
	v_mul_f32_e32 v7, v123, v110
	;; [unrolled: 3-line block ×5, first 2 shown]
	v_fma_f32 v7, v128, v9, -v7
	v_add_f32_e32 v6, v6, v7
	v_add_f32_e32 v1, v6, v1
	;; [unrolled: 1-line block ×3, first 2 shown]
	v_mul_f32_e32 v2, v135, v3
	v_fma_f32 v2, v134, v14, -v2
	v_add_f32_e32 v1, v1, v2
	v_mul_f32_e32 v2, v137, v4
	v_fma_f32 v2, v136, v13, -v2
	v_add_f32_e32 v1, v1, v2
	;; [unrolled: 3-line block ×38, first 2 shown]
	v_sub_f32_e32 v1, v114, v1
	v_sub_f32_e32 v2, v115, v40
	buffer_store_dword v1, off, s[0:3], 0 offset:32
	buffer_store_dword v2, off, s[0:3], 0 offset:36
	s_and_saveexec_b64 s[4:5], vcc
	s_cbranch_execz .LBB51_319
; %bb.318:
	buffer_load_dword v107, off, s[0:3], 0 offset:24
	buffer_load_dword v108, off, s[0:3], 0 offset:28
	s_waitcnt vmcnt(0)
	ds_write_b64 v105, v[107:108]
	buffer_store_dword v106, off, s[0:3], 0 offset:24
	buffer_store_dword v106, off, s[0:3], 0 offset:28
.LBB51_319:
	s_or_b64 exec, exec, s[4:5]
	s_waitcnt lgkmcnt(0)
	; wave barrier
	buffer_load_dword v113, off, s[0:3], 0 offset:36
	buffer_load_dword v112, off, s[0:3], 0 offset:44
	;; [unrolled: 1-line block ×40, first 2 shown]
	ds_read_b128 v[144:147], v106 offset:448
	ds_read_b128 v[148:151], v106 offset:464
	;; [unrolled: 1-line block ×7, first 2 shown]
	buffer_load_dword v4, off, s[0:3], 0 offset:184
	buffer_load_dword v5, off, s[0:3], 0 offset:188
	;; [unrolled: 1-line block ×8, first 2 shown]
	v_cmp_lt_u32_e32 vcc, 2, v0
	s_waitcnt vmcnt(47) lgkmcnt(6)
	v_mul_f32_e32 v12, v144, v113
	s_waitcnt vmcnt(46)
	v_mul_f32_e32 v13, v146, v112
	s_waitcnt vmcnt(45) lgkmcnt(5)
	v_mul_f32_e32 v14, v148, v111
	s_waitcnt vmcnt(44)
	v_mul_f32_e32 v15, v150, v110
	s_waitcnt vmcnt(43) lgkmcnt(4)
	v_mul_f32_e32 v16, v152, v109
	s_waitcnt vmcnt(42)
	v_mul_f32_e32 v17, v154, v108
	s_waitcnt vmcnt(41) lgkmcnt(3)
	v_mul_f32_e32 v18, v156, v107
	s_waitcnt vmcnt(40)
	v_mul_f32_e32 v19, v158, v116
	s_waitcnt vmcnt(39) lgkmcnt(2)
	v_mul_f32_e32 v20, v160, v117
	s_waitcnt vmcnt(38)
	v_mul_f32_e32 v21, v162, v118
	s_waitcnt vmcnt(37) lgkmcnt(1)
	v_mul_f32_e32 v22, v164, v119
	s_waitcnt vmcnt(36)
	v_mul_f32_e32 v23, v166, v120
	s_waitcnt vmcnt(35)
	v_fmac_f32_e32 v14, v149, v126
	s_waitcnt vmcnt(34)
	v_fmac_f32_e32 v13, v147, v129
	s_waitcnt vmcnt(33)
	v_fmac_f32_e32 v12, v145, v132
	v_add_f32_e32 v12, 0, v12
	v_add_f32_e32 v12, v12, v13
	;; [unrolled: 1-line block ×3, first 2 shown]
	buffer_load_dword v13, off, s[0:3], 0 offset:216
	buffer_load_dword v14, off, s[0:3], 0 offset:220
	s_waitcnt vmcnt(31)
	v_fmac_f32_e32 v15, v151, v131
	v_fmac_f32_e32 v16, v153, v128
	v_add_f32_e32 v12, v12, v15
	v_fmac_f32_e32 v17, v155, v125
	v_add_f32_e32 v12, v12, v16
	;; [unrolled: 2-line block ×3, first 2 shown]
	s_waitcnt vmcnt(27)
	v_fmac_f32_e32 v19, v159, v127
	v_add_f32_e32 v12, v12, v18
	v_fmac_f32_e32 v20, v161, v124
	v_add_f32_e32 v12, v12, v19
	v_fmac_f32_e32 v21, v163, v122
	v_add_f32_e32 v12, v12, v20
	v_fmac_f32_e32 v22, v165, v121
	v_add_f32_e32 v12, v12, v21
	ds_read_b128 v[172:175], v106 offset:560
	s_waitcnt vmcnt(23)
	v_fmac_f32_e32 v23, v167, v139
	v_add_f32_e32 v12, v12, v22
	s_waitcnt vmcnt(22) lgkmcnt(1)
	v_mul_f32_e32 v15, v168, v138
	v_add_f32_e32 v12, v12, v23
	v_fmac_f32_e32 v15, v169, v135
	v_add_f32_e32 v12, v12, v15
	s_waitcnt vmcnt(21)
	v_mul_f32_e32 v15, v170, v136
	v_fmac_f32_e32 v15, v171, v133
	v_add_f32_e32 v12, v12, v15
	s_waitcnt vmcnt(20) lgkmcnt(0)
	v_mul_f32_e32 v15, v172, v134
	v_fmac_f32_e32 v15, v173, v130
	v_add_f32_e32 v12, v12, v15
	buffer_load_dword v15, off, s[0:3], 0 offset:224
	buffer_load_dword v16, off, s[0:3], 0 offset:228
	;; [unrolled: 1-line block ×6, first 2 shown]
	s_waitcnt vmcnt(25)
	v_mul_f32_e32 v21, v174, v137
	s_waitcnt vmcnt(18)
	v_fmac_f32_e32 v21, v175, v3
	ds_read_b128 v[176:179], v106 offset:576
	v_add_f32_e32 v12, v12, v21
	buffer_load_dword v21, off, s[0:3], 0 offset:248
	buffer_load_dword v22, off, s[0:3], 0 offset:252
	ds_read_b128 v[180:183], v106 offset:592
	buffer_load_dword v24, off, s[0:3], 0 offset:256
	buffer_load_dword v25, off, s[0:3], 0 offset:260
	;; [unrolled: 1-line block ×14, first 2 shown]
	s_waitcnt lgkmcnt(1)
	v_mul_f32_e32 v23, v176, v141
	v_fmac_f32_e32 v23, v177, v140
	v_add_f32_e32 v12, v12, v23
	v_mul_f32_e32 v23, v178, v143
	buffer_load_dword v38, off, s[0:3], 0 offset:312
	buffer_load_dword v39, off, s[0:3], 0 offset:316
	v_fmac_f32_e32 v23, v179, v142
	v_add_f32_e32 v12, v12, v23
	s_waitcnt lgkmcnt(0)
	v_mul_f32_e32 v23, v180, v2
	v_fmac_f32_e32 v23, v181, v1
	v_add_f32_e32 v12, v12, v23
	s_waitcnt vmcnt(32)
	v_mul_f32_e32 v23, v182, v5
	v_fmac_f32_e32 v23, v183, v4
	ds_read_b128 v[184:187], v106 offset:608
	v_add_f32_e32 v12, v12, v23
	buffer_load_dword v23, off, s[0:3], 0 offset:320
	buffer_load_dword v40, off, s[0:3], 0 offset:324
	;; [unrolled: 1-line block ×6, first 2 shown]
	ds_read_b128 v[188:191], v106 offset:624
	buffer_load_dword v240, off, s[0:3], 0 offset:344
	buffer_load_dword v241, off, s[0:3], 0 offset:348
	buffer_load_dword v242, off, s[0:3], 0 offset:352
	buffer_load_dword v243, off, s[0:3], 0 offset:356
	buffer_load_dword v244, off, s[0:3], 0 offset:364
	buffer_load_dword v245, off, s[0:3], 0 offset:368
	buffer_load_dword v246, off, s[0:3], 0 offset:372
	buffer_load_dword v247, off, s[0:3], 0 offset:360
	buffer_load_dword v248, off, s[0:3], 0 offset:376
	buffer_load_dword v249, off, s[0:3], 0 offset:380
	s_waitcnt vmcnt(46) lgkmcnt(1)
	v_mul_f32_e32 v192, v184, v7
	v_fmac_f32_e32 v192, v185, v6
	v_add_f32_e32 v12, v12, v192
	s_waitcnt vmcnt(44)
	v_mul_f32_e32 v192, v186, v9
	v_fmac_f32_e32 v192, v187, v8
	v_add_f32_e32 v12, v12, v192
	s_waitcnt vmcnt(42) lgkmcnt(0)
	v_mul_f32_e32 v192, v188, v11
	buffer_load_dword v250, off, s[0:3], 0 offset:384
	buffer_load_dword v251, off, s[0:3], 0 offset:388
	;; [unrolled: 1-line block ×6, first 2 shown]
	v_fmac_f32_e32 v192, v189, v10
	v_add_f32_e32 v12, v12, v192
	ds_read_b128 v[192:195], v106 offset:640
	v_mul_f32_e32 v112, v147, v112
	v_fma_f32 v112, v146, v129, -v112
	v_mul_f32_e32 v111, v149, v111
	v_fma_f32 v111, v148, v126, -v111
	;; [unrolled: 2-line block ×5, first 2 shown]
	v_mul_f32_e32 v107, v157, v107
	s_waitcnt vmcnt(46)
	v_mul_f32_e32 v196, v190, v14
	v_fmac_f32_e32 v196, v191, v13
	v_add_f32_e32 v12, v12, v196
	ds_read_b128 v[196:199], v106 offset:656
	buffer_load_dword v45, off, s[0:3], 0 offset:408
	buffer_load_dword v46, off, s[0:3], 0 offset:412
	v_fma_f32 v107, v156, v123, -v107
	v_mul_f32_e32 v2, v181, v2
	v_fma_f32 v1, v180, v1, -v2
	v_mul_f32_e32 v2, v183, v5
	v_fma_f32 v2, v182, v4, -v2
	s_waitcnt vmcnt(46) lgkmcnt(1)
	v_mul_f32_e32 v200, v192, v16
	v_fmac_f32_e32 v200, v193, v15
	v_add_f32_e32 v12, v12, v200
	s_waitcnt vmcnt(45)
	v_mul_f32_e32 v200, v194, v17
	s_waitcnt vmcnt(42)
	v_fmac_f32_e32 v200, v195, v20
	v_add_f32_e32 v12, v12, v200
	s_waitcnt lgkmcnt(0)
	v_mul_f32_e32 v200, v196, v19
	v_fmac_f32_e32 v200, v197, v18
	v_add_f32_e32 v12, v12, v200
	ds_read_b128 v[200:203], v106 offset:672
	s_waitcnt vmcnt(40)
	v_mul_f32_e32 v204, v198, v22
	v_fmac_f32_e32 v204, v199, v21
	v_add_f32_e32 v12, v12, v204
	ds_read_b128 v[204:207], v106 offset:688
	s_waitcnt vmcnt(38) lgkmcnt(1)
	v_mul_f32_e32 v208, v200, v25
	v_fmac_f32_e32 v208, v201, v24
	v_add_f32_e32 v12, v12, v208
	s_waitcnt vmcnt(37)
	v_mul_f32_e32 v208, v202, v26
	s_waitcnt vmcnt(34)
	v_fmac_f32_e32 v208, v203, v29
	v_add_f32_e32 v12, v12, v208
	s_waitcnt lgkmcnt(0)
	v_mul_f32_e32 v208, v204, v28
	v_fmac_f32_e32 v208, v205, v27
	v_add_f32_e32 v12, v12, v208
	ds_read_b128 v[208:211], v106 offset:704
	s_waitcnt vmcnt(32)
	v_mul_f32_e32 v212, v206, v31
	v_fmac_f32_e32 v212, v207, v30
	v_add_f32_e32 v12, v12, v212
	ds_read_b128 v[212:215], v106 offset:720
	;; [unrolled: 19-line block ×5, first 2 shown]
	s_waitcnt vmcnt(6) lgkmcnt(1)
	v_mul_f32_e32 v106, v232, v251
	v_fmac_f32_e32 v106, v233, v250
	v_add_f32_e32 v12, v12, v106
	s_waitcnt vmcnt(5)
	v_mul_f32_e32 v106, v234, v252
	s_waitcnt vmcnt(2)
	v_fmac_f32_e32 v106, v235, v255
	v_add_f32_e32 v12, v12, v106
	s_waitcnt lgkmcnt(0)
	v_mul_f32_e32 v106, v236, v254
	v_fmac_f32_e32 v106, v237, v253
	v_add_f32_e32 v12, v12, v106
	s_waitcnt vmcnt(0)
	v_mul_f32_e32 v106, v238, v46
	v_fmac_f32_e32 v106, v239, v45
	v_add_f32_e32 v12, v12, v106
	v_mul_f32_e32 v106, v145, v113
	v_fma_f32 v106, v144, v132, -v106
	v_add_f32_e32 v106, 0, v106
	v_add_f32_e32 v106, v106, v112
	;; [unrolled: 1-line block ×7, first 2 shown]
	v_mul_f32_e32 v107, v159, v116
	v_fma_f32 v107, v158, v127, -v107
	v_add_f32_e32 v106, v106, v107
	v_mul_f32_e32 v107, v161, v117
	v_fma_f32 v107, v160, v124, -v107
	v_add_f32_e32 v106, v106, v107
	;; [unrolled: 3-line block ×11, first 2 shown]
	v_add_f32_e32 v1, v3, v1
	v_add_f32_e32 v1, v1, v2
	v_mul_f32_e32 v2, v185, v7
	v_fma_f32 v2, v184, v6, -v2
	v_add_f32_e32 v1, v1, v2
	v_mul_f32_e32 v2, v187, v9
	v_fma_f32 v2, v186, v8, -v2
	;; [unrolled: 3-line block ×28, first 2 shown]
	v_add_f32_e32 v1, v1, v2
	v_sub_f32_e32 v1, v114, v1
	v_sub_f32_e32 v2, v115, v12
	buffer_store_dword v1, off, s[0:3], 0 offset:24
	buffer_store_dword v2, off, s[0:3], 0 offset:28
	s_and_saveexec_b64 s[4:5], vcc
	s_cbranch_execz .LBB51_321
; %bb.320:
	buffer_load_dword v106, off, s[0:3], 0 offset:16
	buffer_load_dword v107, off, s[0:3], 0 offset:20
	v_mov_b32_e32 v1, 0
	buffer_store_dword v1, off, s[0:3], 0 offset:16
	buffer_store_dword v1, off, s[0:3], 0 offset:20
	s_waitcnt vmcnt(2)
	ds_write_b64 v105, v[106:107]
.LBB51_321:
	s_or_b64 exec, exec, s[4:5]
	s_waitcnt lgkmcnt(0)
	; wave barrier
	buffer_load_dword v113, off, s[0:3], 0 offset:28
	buffer_load_dword v112, off, s[0:3], 0 offset:36
	;; [unrolled: 1-line block ×50, first 2 shown]
	v_mov_b32_e32 v106, 0
	ds_read2_b64 v[120:123], v106 offset0:55 offset1:56
	ds_read2_b64 v[124:127], v106 offset0:57 offset1:58
	;; [unrolled: 1-line block ×7, first 2 shown]
	v_cmp_lt_u32_e32 vcc, 1, v0
	s_waitcnt vmcnt(49) lgkmcnt(6)
	v_mul_f32_e32 v38, v120, v113
	s_waitcnt vmcnt(48)
	v_mul_f32_e32 v39, v122, v112
	s_waitcnt vmcnt(47) lgkmcnt(5)
	v_mul_f32_e32 v40, v124, v111
	s_waitcnt vmcnt(46)
	v_mul_f32_e32 v41, v126, v110
	;; [unrolled: 4-line block ×5, first 2 shown]
	s_waitcnt vmcnt(39) lgkmcnt(1)
	v_mul_f32_e32 v149, v140, v119
	s_waitcnt vmcnt(38)
	v_fmac_f32_e32 v40, v125, v1
	s_waitcnt vmcnt(37)
	v_fmac_f32_e32 v39, v123, v2
	;; [unrolled: 2-line block ×3, first 2 shown]
	v_add_f32_e32 v38, 0, v38
	v_add_f32_e32 v38, v38, v39
	;; [unrolled: 1-line block ×3, first 2 shown]
	s_waitcnt vmcnt(32)
	v_fmac_f32_e32 v41, v127, v7
	v_fmac_f32_e32 v42, v129, v6
	v_add_f32_e32 v38, v38, v41
	v_fmac_f32_e32 v43, v131, v5
	v_add_f32_e32 v38, v38, v42
	;; [unrolled: 2-line block ×3, first 2 shown]
	s_waitcnt vmcnt(28)
	v_fmac_f32_e32 v45, v135, v11
	v_add_f32_e32 v38, v38, v44
	v_fmac_f32_e32 v46, v137, v10
	v_add_f32_e32 v38, v38, v45
	;; [unrolled: 2-line block ×4, first 2 shown]
	s_waitcnt vmcnt(27)
	v_mul_f32_e32 v39, v142, v12
	v_add_f32_e32 v38, v38, v149
	s_waitcnt vmcnt(23)
	v_fmac_f32_e32 v39, v143, v16
	v_add_f32_e32 v38, v38, v39
	s_waitcnt vmcnt(22) lgkmcnt(0)
	v_mul_f32_e32 v39, v144, v17
	v_fmac_f32_e32 v39, v145, v15
	ds_read2_b64 v[148:151], v106 offset0:69 offset1:70
	v_add_f32_e32 v38, v38, v39
	buffer_load_dword v39, off, s[0:3], 0 offset:216
	buffer_load_dword v40, off, s[0:3], 0 offset:220
	ds_read2_b64 v[152:155], v106 offset0:71 offset1:72
	buffer_load_dword v42, off, s[0:3], 0 offset:228
	buffer_load_dword v43, off, s[0:3], 0 offset:232
	;; [unrolled: 1-line block ×4, first 2 shown]
	s_waitcnt vmcnt(27)
	v_mul_f32_e32 v41, v146, v18
	v_fmac_f32_e32 v41, v147, v14
	v_add_f32_e32 v38, v38, v41
	s_waitcnt vmcnt(26) lgkmcnt(1)
	v_mul_f32_e32 v41, v148, v19
	ds_read2_b64 v[156:159], v106 offset0:73 offset1:74
	buffer_load_dword v46, off, s[0:3], 0 offset:240
	buffer_load_dword v218, off, s[0:3], 0 offset:244
	v_fmac_f32_e32 v41, v149, v13
	v_add_f32_e32 v38, v38, v41
	s_waitcnt vmcnt(27)
	v_mul_f32_e32 v41, v150, v20
	s_waitcnt vmcnt(21)
	v_fmac_f32_e32 v41, v151, v26
	v_add_f32_e32 v38, v38, v41
	s_waitcnt vmcnt(20) lgkmcnt(1)
	v_mul_f32_e32 v41, v152, v27
	v_fmac_f32_e32 v41, v153, v25
	v_add_f32_e32 v38, v38, v41
	buffer_load_dword v41, off, s[0:3], 0 offset:248
	buffer_load_dword v219, off, s[0:3], 0 offset:252
	;; [unrolled: 1-line block ×14, first 2 shown]
	v_mul_f32_e32 v160, v154, v22
	v_fmac_f32_e32 v160, v155, v21
	v_add_f32_e32 v38, v38, v160
	s_waitcnt lgkmcnt(0)
	v_mul_f32_e32 v160, v156, v24
	v_fmac_f32_e32 v160, v157, v23
	v_add_f32_e32 v38, v38, v160
	ds_read2_b64 v[160:163], v106 offset0:75 offset1:76
	buffer_load_dword v232, off, s[0:3], 0 offset:304
	buffer_load_dword v233, off, s[0:3], 0 offset:308
	s_waitcnt vmcnt(32)
	v_mul_f32_e32 v164, v158, v29
	v_fmac_f32_e32 v164, v159, v28
	v_add_f32_e32 v38, v38, v164
	ds_read2_b64 v[164:167], v106 offset0:77 offset1:78
	buffer_load_dword v234, off, s[0:3], 0 offset:312
	buffer_load_dword v235, off, s[0:3], 0 offset:316
	;; [unrolled: 1-line block ×14, first 2 shown]
	s_waitcnt vmcnt(44) lgkmcnt(1)
	v_mul_f32_e32 v168, v160, v31
	v_fmac_f32_e32 v168, v161, v30
	buffer_load_dword v248, off, s[0:3], 0 offset:368
	buffer_load_dword v249, off, s[0:3], 0 offset:372
	v_add_f32_e32 v38, v38, v168
	s_waitcnt vmcnt(44)
	v_mul_f32_e32 v168, v162, v33
	v_fmac_f32_e32 v168, v163, v32
	v_add_f32_e32 v38, v38, v168
	s_waitcnt vmcnt(42) lgkmcnt(0)
	v_mul_f32_e32 v168, v164, v35
	v_fmac_f32_e32 v168, v165, v34
	v_add_f32_e32 v38, v38, v168
	ds_read2_b64 v[168:171], v106 offset0:79 offset1:80
	buffer_load_dword v250, off, s[0:3], 0 offset:376
	buffer_load_dword v251, off, s[0:3], 0 offset:380
	;; [unrolled: 1-line block ×6, first 2 shown]
	s_waitcnt vmcnt(46)
	v_mul_f32_e32 v172, v166, v37
	v_fmac_f32_e32 v172, v167, v36
	v_add_f32_e32 v38, v38, v172
	ds_read2_b64 v[172:175], v106 offset0:81 offset1:82
	buffer_load_dword v47, off, s[0:3], 0 offset:404
	buffer_load_dword v48, off, s[0:3], 0 offset:408
	buffer_load_dword v49, off, s[0:3], 0 offset:412
	buffer_load_dword v50, off, s[0:3], 0 offset:400
	s_waitcnt vmcnt(48) lgkmcnt(1)
	v_mul_f32_e32 v176, v168, v40
	v_fmac_f32_e32 v176, v169, v39
	v_add_f32_e32 v38, v38, v176
	s_waitcnt vmcnt(47)
	v_mul_f32_e32 v176, v170, v42
	s_waitcnt vmcnt(44)
	v_fmac_f32_e32 v176, v171, v45
	v_add_f32_e32 v38, v38, v176
	s_waitcnt lgkmcnt(0)
	v_mul_f32_e32 v176, v172, v44
	v_fmac_f32_e32 v176, v173, v43
	v_add_f32_e32 v38, v38, v176
	ds_read2_b64 v[176:179], v106 offset0:83 offset1:84
	s_waitcnt vmcnt(42)
	v_mul_f32_e32 v180, v174, v218
	v_fmac_f32_e32 v180, v175, v46
	v_add_f32_e32 v38, v38, v180
	ds_read2_b64 v[180:183], v106 offset0:85 offset1:86
	s_waitcnt vmcnt(40) lgkmcnt(1)
	v_mul_f32_e32 v184, v176, v219
	v_fmac_f32_e32 v184, v177, v41
	v_add_f32_e32 v38, v38, v184
	s_waitcnt vmcnt(39)
	v_mul_f32_e32 v184, v178, v220
	s_waitcnt vmcnt(36)
	v_fmac_f32_e32 v184, v179, v223
	v_add_f32_e32 v38, v38, v184
	s_waitcnt lgkmcnt(0)
	v_mul_f32_e32 v184, v180, v222
	v_fmac_f32_e32 v184, v181, v221
	v_add_f32_e32 v38, v38, v184
	ds_read2_b64 v[184:187], v106 offset0:87 offset1:88
	s_waitcnt vmcnt(34)
	v_mul_f32_e32 v188, v182, v225
	v_fmac_f32_e32 v188, v183, v224
	v_add_f32_e32 v38, v38, v188
	ds_read2_b64 v[188:191], v106 offset0:89 offset1:90
	;; [unrolled: 19-line block ×5, first 2 shown]
	s_waitcnt vmcnt(8) lgkmcnt(1)
	v_mul_f32_e32 v216, v208, v251
	v_fmac_f32_e32 v216, v209, v250
	v_add_f32_e32 v38, v38, v216
	s_waitcnt vmcnt(7)
	v_mul_f32_e32 v216, v210, v252
	s_waitcnt vmcnt(4)
	v_fmac_f32_e32 v216, v211, v255
	v_add_f32_e32 v38, v38, v216
	ds_read_b64 v[216:217], v106 offset:824
	s_waitcnt lgkmcnt(1)
	v_mul_f32_e32 v51, v212, v254
	v_fmac_f32_e32 v51, v213, v253
	v_add_f32_e32 v38, v38, v51
	s_waitcnt vmcnt(3)
	v_mul_f32_e32 v51, v214, v47
	s_waitcnt vmcnt(0)
	v_fmac_f32_e32 v51, v215, v50
	v_add_f32_e32 v38, v38, v51
	s_waitcnt lgkmcnt(0)
	v_mul_f32_e32 v51, v216, v49
	v_fmac_f32_e32 v51, v217, v48
	v_add_f32_e32 v38, v38, v51
	v_mul_f32_e32 v51, v121, v113
	v_fma_f32 v3, v120, v3, -v51
	v_mul_f32_e32 v51, v123, v112
	v_add_f32_e32 v3, 0, v3
	v_fma_f32 v2, v122, v2, -v51
	v_add_f32_e32 v2, v3, v2
	v_mul_f32_e32 v3, v125, v111
	v_fma_f32 v1, v124, v1, -v3
	v_add_f32_e32 v1, v2, v1
	v_mul_f32_e32 v2, v127, v110
	v_fma_f32 v2, v126, v7, -v2
	v_add_f32_e32 v1, v1, v2
	v_mul_f32_e32 v2, v129, v109
	v_fma_f32 v2, v128, v6, -v2
	v_add_f32_e32 v1, v1, v2
	v_mul_f32_e32 v2, v131, v108
	v_fma_f32 v2, v130, v5, -v2
	v_add_f32_e32 v1, v1, v2
	v_mul_f32_e32 v2, v133, v107
	v_fma_f32 v2, v132, v4, -v2
	v_add_f32_e32 v1, v1, v2
	v_mul_f32_e32 v2, v135, v116
	v_fma_f32 v2, v134, v11, -v2
	v_add_f32_e32 v1, v1, v2
	v_mul_f32_e32 v2, v137, v117
	v_fma_f32 v2, v136, v10, -v2
	v_add_f32_e32 v1, v1, v2
	v_mul_f32_e32 v2, v139, v118
	v_fma_f32 v2, v138, v9, -v2
	v_add_f32_e32 v1, v1, v2
	v_mul_f32_e32 v2, v141, v119
	v_fma_f32 v2, v140, v8, -v2
	v_add_f32_e32 v1, v1, v2
	v_mul_f32_e32 v2, v143, v12
	v_fma_f32 v2, v142, v16, -v2
	v_add_f32_e32 v1, v1, v2
	v_mul_f32_e32 v2, v145, v17
	v_fma_f32 v2, v144, v15, -v2
	v_add_f32_e32 v1, v1, v2
	v_mul_f32_e32 v2, v147, v18
	v_fma_f32 v2, v146, v14, -v2
	v_add_f32_e32 v1, v1, v2
	v_mul_f32_e32 v2, v149, v19
	v_fma_f32 v2, v148, v13, -v2
	v_add_f32_e32 v1, v1, v2
	v_mul_f32_e32 v2, v151, v20
	v_fma_f32 v2, v150, v26, -v2
	v_add_f32_e32 v1, v1, v2
	v_mul_f32_e32 v2, v153, v27
	v_fma_f32 v2, v152, v25, -v2
	v_add_f32_e32 v1, v1, v2
	v_mul_f32_e32 v2, v155, v22
	v_fma_f32 v2, v154, v21, -v2
	v_add_f32_e32 v1, v1, v2
	v_mul_f32_e32 v2, v157, v24
	v_fma_f32 v2, v156, v23, -v2
	v_add_f32_e32 v1, v1, v2
	v_mul_f32_e32 v2, v159, v29
	v_fma_f32 v2, v158, v28, -v2
	v_add_f32_e32 v1, v1, v2
	v_mul_f32_e32 v2, v161, v31
	v_fma_f32 v2, v160, v30, -v2
	v_add_f32_e32 v1, v1, v2
	v_mul_f32_e32 v2, v163, v33
	v_fma_f32 v2, v162, v32, -v2
	v_add_f32_e32 v1, v1, v2
	v_mul_f32_e32 v2, v165, v35
	v_fma_f32 v2, v164, v34, -v2
	v_add_f32_e32 v1, v1, v2
	v_mul_f32_e32 v2, v167, v37
	v_fma_f32 v2, v166, v36, -v2
	v_add_f32_e32 v1, v1, v2
	v_mul_f32_e32 v2, v169, v40
	v_fma_f32 v2, v168, v39, -v2
	v_add_f32_e32 v1, v1, v2
	v_mul_f32_e32 v2, v171, v42
	v_fma_f32 v2, v170, v45, -v2
	v_add_f32_e32 v1, v1, v2
	v_mul_f32_e32 v2, v173, v44
	v_fma_f32 v2, v172, v43, -v2
	v_add_f32_e32 v1, v1, v2
	v_mul_f32_e32 v2, v175, v218
	v_fma_f32 v2, v174, v46, -v2
	v_add_f32_e32 v1, v1, v2
	v_mul_f32_e32 v2, v177, v219
	v_fma_f32 v2, v176, v41, -v2
	v_add_f32_e32 v1, v1, v2
	v_mul_f32_e32 v2, v179, v220
	v_fma_f32 v2, v178, v223, -v2
	v_add_f32_e32 v1, v1, v2
	v_mul_f32_e32 v2, v181, v222
	v_fma_f32 v2, v180, v221, -v2
	v_add_f32_e32 v1, v1, v2
	v_mul_f32_e32 v2, v183, v225
	v_fma_f32 v2, v182, v224, -v2
	v_add_f32_e32 v1, v1, v2
	v_mul_f32_e32 v2, v185, v227
	v_fma_f32 v2, v184, v226, -v2
	v_add_f32_e32 v1, v1, v2
	v_mul_f32_e32 v2, v187, v228
	v_fma_f32 v2, v186, v231, -v2
	v_add_f32_e32 v1, v1, v2
	v_mul_f32_e32 v2, v189, v230
	v_fma_f32 v2, v188, v229, -v2
	v_add_f32_e32 v1, v1, v2
	v_mul_f32_e32 v2, v191, v233
	v_fma_f32 v2, v190, v232, -v2
	v_add_f32_e32 v1, v1, v2
	v_mul_f32_e32 v2, v193, v235
	v_fma_f32 v2, v192, v234, -v2
	v_add_f32_e32 v1, v1, v2
	v_mul_f32_e32 v2, v195, v236
	v_fma_f32 v2, v194, v239, -v2
	v_add_f32_e32 v1, v1, v2
	v_mul_f32_e32 v2, v197, v238
	v_fma_f32 v2, v196, v237, -v2
	v_add_f32_e32 v1, v1, v2
	v_mul_f32_e32 v2, v199, v241
	v_fma_f32 v2, v198, v240, -v2
	v_add_f32_e32 v1, v1, v2
	v_mul_f32_e32 v2, v201, v243
	v_fma_f32 v2, v200, v242, -v2
	v_add_f32_e32 v1, v1, v2
	v_mul_f32_e32 v2, v203, v244
	v_fma_f32 v2, v202, v247, -v2
	v_add_f32_e32 v1, v1, v2
	v_mul_f32_e32 v2, v205, v246
	v_fma_f32 v2, v204, v245, -v2
	v_add_f32_e32 v1, v1, v2
	v_mul_f32_e32 v2, v207, v249
	v_fma_f32 v2, v206, v248, -v2
	v_add_f32_e32 v1, v1, v2
	v_mul_f32_e32 v2, v209, v251
	v_fma_f32 v2, v208, v250, -v2
	v_add_f32_e32 v1, v1, v2
	v_mul_f32_e32 v2, v211, v252
	v_fma_f32 v2, v210, v255, -v2
	v_add_f32_e32 v1, v1, v2
	v_mul_f32_e32 v2, v213, v254
	v_fma_f32 v2, v212, v253, -v2
	v_add_f32_e32 v1, v1, v2
	v_mul_f32_e32 v2, v215, v47
	v_fma_f32 v2, v214, v50, -v2
	v_add_f32_e32 v1, v1, v2
	v_mul_f32_e32 v2, v217, v49
	v_fma_f32 v2, v216, v48, -v2
	v_add_f32_e32 v1, v1, v2
	v_sub_f32_e32 v1, v114, v1
	v_sub_f32_e32 v2, v115, v38
	buffer_store_dword v1, off, s[0:3], 0 offset:16
	buffer_store_dword v2, off, s[0:3], 0 offset:20
	s_and_saveexec_b64 s[4:5], vcc
	s_cbranch_execz .LBB51_323
; %bb.322:
	buffer_load_dword v107, off, s[0:3], 0 offset:8
	buffer_load_dword v108, off, s[0:3], 0 offset:12
	s_waitcnt vmcnt(0)
	ds_write_b64 v105, v[107:108]
	buffer_store_dword v106, off, s[0:3], 0 offset:8
	buffer_store_dword v106, off, s[0:3], 0 offset:12
.LBB51_323:
	s_or_b64 exec, exec, s[4:5]
	s_waitcnt lgkmcnt(0)
	; wave barrier
	buffer_load_dword v113, off, s[0:3], 0 offset:20
	buffer_load_dword v112, off, s[0:3], 0 offset:28
	;; [unrolled: 1-line block ×40, first 2 shown]
	ds_read_b128 v[121:124], v106 offset:432
	ds_read_b128 v[125:128], v106 offset:448
	;; [unrolled: 1-line block ×7, first 2 shown]
	buffer_load_dword v27, off, s[0:3], 0 offset:168
	buffer_load_dword v28, off, s[0:3], 0 offset:172
	;; [unrolled: 1-line block ×10, first 2 shown]
	ds_read_b128 v[149:152], v106 offset:544
	v_cmp_ne_u32_e32 vcc, 0, v0
	s_waitcnt vmcnt(49) lgkmcnt(7)
	v_mul_f32_e32 v37, v121, v113
	s_waitcnt vmcnt(48)
	v_mul_f32_e32 v38, v123, v112
	s_waitcnt vmcnt(47) lgkmcnt(6)
	v_mul_f32_e32 v39, v125, v111
	s_waitcnt vmcnt(46)
	v_mul_f32_e32 v40, v127, v110
	;; [unrolled: 4-line block ×6, first 2 shown]
	s_waitcnt vmcnt(37)
	v_fmac_f32_e32 v39, v126, v1
	s_waitcnt vmcnt(36)
	v_fmac_f32_e32 v38, v124, v2
	;; [unrolled: 2-line block ×3, first 2 shown]
	v_add_f32_e32 v37, 0, v37
	v_add_f32_e32 v37, v37, v38
	;; [unrolled: 1-line block ×3, first 2 shown]
	s_waitcnt vmcnt(31)
	v_fmac_f32_e32 v40, v128, v7
	v_fmac_f32_e32 v41, v130, v6
	v_add_f32_e32 v37, v37, v40
	v_fmac_f32_e32 v42, v132, v5
	v_add_f32_e32 v37, v37, v41
	;; [unrolled: 2-line block ×3, first 2 shown]
	s_waitcnt vmcnt(27)
	v_fmac_f32_e32 v44, v136, v11
	v_add_f32_e32 v37, v37, v43
	v_fmac_f32_e32 v45, v138, v10
	v_add_f32_e32 v37, v37, v44
	;; [unrolled: 2-line block ×4, first 2 shown]
	v_add_f32_e32 v37, v37, v47
	s_waitcnt vmcnt(23)
	v_fmac_f32_e32 v48, v144, v15
	s_waitcnt vmcnt(22) lgkmcnt(1)
	v_mul_f32_e32 v38, v145, v16
	v_add_f32_e32 v37, v37, v48
	v_fmac_f32_e32 v38, v146, v14
	buffer_load_dword v39, off, s[0:3], 0 offset:212
	v_add_f32_e32 v37, v37, v38
	s_waitcnt vmcnt(22)
	v_mul_f32_e32 v38, v147, v17
	v_fmac_f32_e32 v38, v148, v13
	buffer_load_dword v40, off, s[0:3], 0 offset:208
	buffer_load_dword v41, off, s[0:3], 0 offset:216
	;; [unrolled: 1-line block ×3, first 2 shown]
	ds_read_b128 v[153:156], v106 offset:560
	v_add_f32_e32 v37, v37, v38
	s_waitcnt vmcnt(24) lgkmcnt(1)
	v_mul_f32_e32 v38, v149, v18
	v_fmac_f32_e32 v38, v150, v12
	v_add_f32_e32 v37, v37, v38
	s_waitcnt vmcnt(23)
	v_mul_f32_e32 v38, v151, v19
	buffer_load_dword v43, off, s[0:3], 0 offset:224
	buffer_load_dword v44, off, s[0:3], 0 offset:228
	s_waitcnt vmcnt(19)
	v_fmac_f32_e32 v38, v152, v25
	v_add_f32_e32 v37, v37, v38
	s_waitcnt vmcnt(18) lgkmcnt(0)
	v_mul_f32_e32 v38, v153, v26
	v_fmac_f32_e32 v38, v154, v24
	ds_read_b128 v[157:160], v106 offset:576
	v_add_f32_e32 v37, v37, v38
	buffer_load_dword v38, off, s[0:3], 0 offset:232
	buffer_load_dword v45, off, s[0:3], 0 offset:236
	;; [unrolled: 1-line block ×8, first 2 shown]
	v_mul_f32_e32 v46, v155, v21
	v_fmac_f32_e32 v46, v156, v20
	v_add_f32_e32 v37, v37, v46
	s_waitcnt lgkmcnt(0)
	v_mul_f32_e32 v46, v157, v23
	v_fmac_f32_e32 v46, v158, v22
	v_add_f32_e32 v37, v37, v46
	buffer_load_dword v46, off, s[0:3], 0 offset:264
	buffer_load_dword v221, off, s[0:3], 0 offset:268
	ds_read_b128 v[161:164], v106 offset:592
	buffer_load_dword v222, off, s[0:3], 0 offset:272
	buffer_load_dword v223, off, s[0:3], 0 offset:276
	;; [unrolled: 1-line block ×6, first 2 shown]
	s_waitcnt vmcnt(30)
	v_mul_f32_e32 v165, v159, v28
	v_fmac_f32_e32 v165, v160, v27
	v_add_f32_e32 v37, v37, v165
	ds_read_b128 v[165:168], v106 offset:608
	buffer_load_dword v228, off, s[0:3], 0 offset:296
	buffer_load_dword v229, off, s[0:3], 0 offset:300
	;; [unrolled: 1-line block ×10, first 2 shown]
	s_waitcnt vmcnt(38) lgkmcnt(1)
	v_mul_f32_e32 v169, v161, v30
	buffer_load_dword v238, off, s[0:3], 0 offset:336
	buffer_load_dword v239, off, s[0:3], 0 offset:340
	;; [unrolled: 1-line block ×6, first 2 shown]
	v_fmac_f32_e32 v169, v162, v29
	v_add_f32_e32 v37, v37, v169
	s_waitcnt vmcnt(42)
	v_mul_f32_e32 v169, v163, v32
	v_fmac_f32_e32 v169, v164, v31
	v_add_f32_e32 v37, v37, v169
	s_waitcnt vmcnt(40) lgkmcnt(0)
	v_mul_f32_e32 v169, v165, v34
	v_fmac_f32_e32 v169, v166, v33
	v_add_f32_e32 v37, v37, v169
	ds_read_b128 v[169:172], v106 offset:624
	buffer_load_dword v244, off, s[0:3], 0 offset:360
	buffer_load_dword v245, off, s[0:3], 0 offset:364
	s_waitcnt vmcnt(40)
	v_mul_f32_e32 v173, v167, v36
	v_fmac_f32_e32 v173, v168, v35
	v_add_f32_e32 v37, v37, v173
	ds_read_b128 v[173:176], v106 offset:640
	buffer_load_dword v246, off, s[0:3], 0 offset:368
	buffer_load_dword v247, off, s[0:3], 0 offset:372
	;; [unrolled: 1-line block ×12, first 2 shown]
	s_waitcnt vmcnt(51) lgkmcnt(1)
	v_mul_f32_e32 v177, v169, v39
	s_waitcnt vmcnt(50)
	v_fmac_f32_e32 v177, v170, v40
	v_add_f32_e32 v37, v37, v177
	s_waitcnt vmcnt(48)
	v_mul_f32_e32 v177, v171, v42
	v_fmac_f32_e32 v177, v172, v41
	v_add_f32_e32 v37, v37, v177
	s_waitcnt vmcnt(46) lgkmcnt(0)
	v_mul_f32_e32 v177, v173, v44
	v_fmac_f32_e32 v177, v174, v43
	v_add_f32_e32 v37, v37, v177
	ds_read_b128 v[177:180], v106 offset:656
	s_waitcnt vmcnt(44)
	v_mul_f32_e32 v181, v175, v45
	v_fmac_f32_e32 v181, v176, v38
	v_add_f32_e32 v37, v37, v181
	ds_read_b128 v[181:184], v106 offset:672
	s_waitcnt vmcnt(42) lgkmcnt(1)
	v_mul_f32_e32 v185, v177, v48
	v_fmac_f32_e32 v185, v178, v47
	v_add_f32_e32 v37, v37, v185
	s_waitcnt vmcnt(41)
	v_mul_f32_e32 v185, v179, v49
	s_waitcnt vmcnt(38)
	v_fmac_f32_e32 v185, v180, v52
	v_add_f32_e32 v37, v37, v185
	s_waitcnt lgkmcnt(0)
	v_mul_f32_e32 v185, v181, v51
	v_fmac_f32_e32 v185, v182, v50
	v_add_f32_e32 v37, v37, v185
	ds_read_b128 v[185:188], v106 offset:688
	s_waitcnt vmcnt(36)
	v_mul_f32_e32 v189, v183, v221
	v_fmac_f32_e32 v189, v184, v46
	v_add_f32_e32 v37, v37, v189
	ds_read_b128 v[189:192], v106 offset:704
	s_waitcnt vmcnt(34) lgkmcnt(1)
	v_mul_f32_e32 v193, v185, v223
	v_fmac_f32_e32 v193, v186, v222
	v_add_f32_e32 v37, v37, v193
	s_waitcnt vmcnt(33)
	v_mul_f32_e32 v193, v187, v224
	s_waitcnt vmcnt(30)
	v_fmac_f32_e32 v193, v188, v227
	v_add_f32_e32 v37, v37, v193
	s_waitcnt lgkmcnt(0)
	;; [unrolled: 19-line block ×4, first 2 shown]
	v_mul_f32_e32 v209, v205, v242
	v_fmac_f32_e32 v209, v206, v241
	v_add_f32_e32 v37, v37, v209
	ds_read_b128 v[209:212], v106 offset:784
	s_waitcnt vmcnt(12)
	v_mul_f32_e32 v213, v207, v245
	v_fmac_f32_e32 v213, v208, v244
	v_add_f32_e32 v37, v37, v213
	ds_read_b128 v[213:216], v106 offset:800
	s_waitcnt vmcnt(10) lgkmcnt(1)
	v_mul_f32_e32 v217, v209, v247
	v_fmac_f32_e32 v217, v210, v246
	v_add_f32_e32 v37, v37, v217
	s_waitcnt vmcnt(9)
	v_mul_f32_e32 v217, v211, v248
	s_waitcnt vmcnt(6)
	v_fmac_f32_e32 v217, v212, v251
	v_add_f32_e32 v37, v37, v217
	ds_read_b128 v[217:220], v106 offset:816
	s_waitcnt lgkmcnt(1)
	v_mul_f32_e32 v55, v213, v250
	v_fmac_f32_e32 v55, v214, v249
	v_add_f32_e32 v37, v37, v55
	s_waitcnt vmcnt(4)
	v_mul_f32_e32 v55, v215, v253
	v_fmac_f32_e32 v55, v216, v252
	v_add_f32_e32 v37, v37, v55
	s_waitcnt vmcnt(3) lgkmcnt(0)
	v_mul_f32_e32 v55, v217, v254
	s_waitcnt vmcnt(0)
	v_fmac_f32_e32 v55, v218, v54
	v_add_f32_e32 v37, v37, v55
	v_mul_f32_e32 v55, v219, v53
	v_fmac_f32_e32 v55, v220, v255
	v_add_f32_e32 v37, v37, v55
	v_mul_f32_e32 v55, v122, v113
	v_fma_f32 v3, v121, v3, -v55
	v_mul_f32_e32 v55, v124, v112
	v_add_f32_e32 v3, 0, v3
	v_fma_f32 v2, v123, v2, -v55
	v_add_f32_e32 v2, v3, v2
	v_mul_f32_e32 v3, v126, v111
	v_fma_f32 v1, v125, v1, -v3
	v_add_f32_e32 v1, v2, v1
	v_mul_f32_e32 v2, v128, v110
	;; [unrolled: 3-line block ×48, first 2 shown]
	v_fma_f32 v2, v219, v255, -v2
	v_add_f32_e32 v1, v1, v2
	v_sub_f32_e32 v1, v114, v1
	v_sub_f32_e32 v2, v115, v37
	buffer_store_dword v1, off, s[0:3], 0 offset:8
	buffer_store_dword v2, off, s[0:3], 0 offset:12
	s_and_saveexec_b64 s[4:5], vcc
	s_cbranch_execz .LBB51_325
; %bb.324:
	buffer_load_dword v106, off, s[0:3], 0
	buffer_load_dword v107, off, s[0:3], 0 offset:4
	v_mov_b32_e32 v0, 0
	buffer_store_dword v0, off, s[0:3], 0
	buffer_store_dword v0, off, s[0:3], 0 offset:4
	s_waitcnt vmcnt(2)
	ds_write_b64 v105, v[106:107]
.LBB51_325:
	s_or_b64 exec, exec, s[4:5]
	s_waitcnt lgkmcnt(0)
	; wave barrier
	buffer_load_dword v113, off, s[0:3], 0 offset:12
	buffer_load_dword v112, off, s[0:3], 0 offset:20
	;; [unrolled: 1-line block ×38, first 2 shown]
	buffer_load_dword v110, off, s[0:3], 0
	buffer_load_dword v111, off, s[0:3], 0 offset:4
	buffer_load_dword v26, off, s[0:3], 0 offset:160
	;; [unrolled: 1-line block ×11, first 2 shown]
	v_mov_b32_e32 v0, 0
	ds_read2_b64 v[120:123], v0 offset0:53 offset1:54
	ds_read2_b64 v[124:127], v0 offset0:55 offset1:56
	ds_read2_b64 v[128:131], v0 offset0:57 offset1:58
	ds_read2_b64 v[132:135], v0 offset0:59 offset1:60
	ds_read2_b64 v[136:139], v0 offset0:61 offset1:62
	ds_read2_b64 v[140:143], v0 offset0:63 offset1:64
	ds_read2_b64 v[144:147], v0 offset0:65 offset1:66
	s_and_b64 vcc, exec, s[22:23]
	s_waitcnt vmcnt(49) lgkmcnt(6)
	v_mul_f32_e32 v36, v120, v113
	s_waitcnt vmcnt(48)
	v_mul_f32_e32 v37, v122, v112
	s_waitcnt vmcnt(47) lgkmcnt(5)
	v_mul_f32_e32 v38, v124, v109
	s_waitcnt vmcnt(46)
	v_mul_f32_e32 v39, v126, v108
	;; [unrolled: 4-line block ×6, first 2 shown]
	s_waitcnt vmcnt(37)
	v_fmac_f32_e32 v38, v125, v1
	s_waitcnt vmcnt(36)
	v_fmac_f32_e32 v37, v123, v2
	;; [unrolled: 2-line block ×3, first 2 shown]
	v_add_f32_e32 v36, 0, v36
	v_add_f32_e32 v36, v36, v37
	v_add_f32_e32 v36, v36, v38
	s_waitcnt vmcnt(31)
	v_fmac_f32_e32 v39, v127, v7
	v_fmac_f32_e32 v40, v129, v6
	v_add_f32_e32 v36, v36, v39
	v_fmac_f32_e32 v41, v131, v5
	v_add_f32_e32 v36, v36, v40
	;; [unrolled: 2-line block ×3, first 2 shown]
	s_waitcnt vmcnt(27)
	v_fmac_f32_e32 v43, v135, v10
	v_add_f32_e32 v36, v36, v42
	v_fmac_f32_e32 v44, v137, v9
	v_add_f32_e32 v36, v36, v43
	;; [unrolled: 2-line block ×4, first 2 shown]
	buffer_load_dword v37, off, s[0:3], 0 offset:200
	buffer_load_dword v38, off, s[0:3], 0 offset:204
	ds_read2_b64 v[148:151], v0 offset0:67 offset1:68
	v_add_f32_e32 v36, v36, v46
	s_waitcnt vmcnt(25)
	v_fmac_f32_e32 v47, v143, v14
	s_waitcnt vmcnt(24) lgkmcnt(1)
	v_mul_f32_e32 v39, v144, v15
	v_add_f32_e32 v36, v36, v47
	v_fmac_f32_e32 v39, v145, v13
	v_add_f32_e32 v36, v36, v39
	s_waitcnt vmcnt(23)
	v_mul_f32_e32 v39, v146, v16
	v_fmac_f32_e32 v39, v147, v12
	v_add_f32_e32 v36, v36, v39
	s_waitcnt vmcnt(22) lgkmcnt(0)
	v_mul_f32_e32 v39, v148, v17
	v_fmac_f32_e32 v39, v149, v11
	v_add_f32_e32 v36, v36, v39
	buffer_load_dword v39, off, s[0:3], 0 offset:212
	buffer_load_dword v40, off, s[0:3], 0 offset:208
	buffer_load_dword v41, off, s[0:3], 0 offset:216
	buffer_load_dword v42, off, s[0:3], 0 offset:220
	s_waitcnt vmcnt(25)
	v_mul_f32_e32 v43, v150, v18
	s_waitcnt vmcnt(18)
	v_fmac_f32_e32 v43, v151, v25
	ds_read2_b64 v[152:155], v0 offset0:69 offset1:70
	ds_read2_b64 v[156:159], v0 offset0:71 offset1:72
	v_add_f32_e32 v36, v36, v43
	buffer_load_dword v43, off, s[0:3], 0 offset:224
	buffer_load_dword v44, off, s[0:3], 0 offset:228
	;; [unrolled: 1-line block ×8, first 2 shown]
	s_waitcnt lgkmcnt(1)
	v_mul_f32_e32 v45, v152, v20
	v_fmac_f32_e32 v45, v153, v19
	v_add_f32_e32 v36, v36, v45
	v_mul_f32_e32 v45, v154, v22
	buffer_load_dword v52, off, s[0:3], 0 offset:256
	buffer_load_dword v53, off, s[0:3], 0 offset:260
	v_fmac_f32_e32 v45, v155, v21
	v_add_f32_e32 v36, v36, v45
	s_waitcnt lgkmcnt(0)
	v_mul_f32_e32 v45, v156, v24
	v_fmac_f32_e32 v45, v157, v23
	v_add_f32_e32 v36, v36, v45
	s_waitcnt vmcnt(24)
	v_mul_f32_e32 v45, v158, v27
	v_fmac_f32_e32 v45, v159, v26
	ds_read2_b64 v[160:163], v0 offset0:73 offset1:74
	v_add_f32_e32 v36, v36, v45
	buffer_load_dword v45, off, s[0:3], 0 offset:264
	buffer_load_dword v54, off, s[0:3], 0 offset:268
	;; [unrolled: 1-line block ×6, first 2 shown]
	ds_read2_b64 v[164:167], v0 offset0:75 offset1:76
	buffer_load_dword v224, off, s[0:3], 0 offset:288
	buffer_load_dword v225, off, s[0:3], 0 offset:292
	;; [unrolled: 1-line block ×8, first 2 shown]
	s_waitcnt vmcnt(36) lgkmcnt(1)
	v_mul_f32_e32 v168, v160, v29
	buffer_load_dword v232, off, s[0:3], 0 offset:320
	buffer_load_dword v233, off, s[0:3], 0 offset:324
	v_fmac_f32_e32 v168, v161, v28
	v_add_f32_e32 v36, v36, v168
	s_waitcnt vmcnt(36)
	v_mul_f32_e32 v168, v162, v31
	v_fmac_f32_e32 v168, v163, v30
	v_add_f32_e32 v36, v36, v168
	s_waitcnt vmcnt(34) lgkmcnt(0)
	v_mul_f32_e32 v168, v164, v33
	v_fmac_f32_e32 v168, v165, v32
	v_add_f32_e32 v36, v36, v168
	ds_read2_b64 v[168:171], v0 offset0:77 offset1:78
	buffer_load_dword v234, off, s[0:3], 0 offset:328
	buffer_load_dword v235, off, s[0:3], 0 offset:332
	;; [unrolled: 1-line block ×6, first 2 shown]
	s_waitcnt vmcnt(38)
	v_mul_f32_e32 v172, v166, v35
	v_fmac_f32_e32 v172, v167, v34
	v_add_f32_e32 v36, v36, v172
	ds_read2_b64 v[172:175], v0 offset0:79 offset1:80
	buffer_load_dword v240, off, s[0:3], 0 offset:352
	buffer_load_dword v241, off, s[0:3], 0 offset:356
	;; [unrolled: 1-line block ×16, first 2 shown]
	s_waitcnt vmcnt(52) lgkmcnt(1)
	v_mul_f32_e32 v176, v168, v38
	v_fmac_f32_e32 v176, v169, v37
	v_add_f32_e32 v36, v36, v176
	s_waitcnt vmcnt(51)
	v_mul_f32_e32 v176, v170, v39
	s_waitcnt vmcnt(50)
	v_fmac_f32_e32 v176, v171, v40
	v_add_f32_e32 v36, v36, v176
	s_waitcnt vmcnt(48) lgkmcnt(0)
	v_mul_f32_e32 v176, v172, v42
	v_fmac_f32_e32 v176, v173, v41
	v_add_f32_e32 v36, v36, v176
	ds_read2_b64 v[176:179], v0 offset0:81 offset1:82
	s_waitcnt vmcnt(46)
	v_mul_f32_e32 v180, v174, v44
	v_fmac_f32_e32 v180, v175, v43
	v_add_f32_e32 v36, v36, v180
	ds_read2_b64 v[180:183], v0 offset0:83 offset1:84
	s_waitcnt vmcnt(44) lgkmcnt(1)
	v_mul_f32_e32 v184, v176, v47
	v_fmac_f32_e32 v184, v177, v46
	v_add_f32_e32 v36, v36, v184
	s_waitcnt vmcnt(43)
	v_mul_f32_e32 v184, v178, v48
	s_waitcnt vmcnt(40)
	v_fmac_f32_e32 v184, v179, v51
	v_add_f32_e32 v36, v36, v184
	s_waitcnt lgkmcnt(0)
	v_mul_f32_e32 v184, v180, v50
	v_fmac_f32_e32 v184, v181, v49
	v_add_f32_e32 v36, v36, v184
	ds_read2_b64 v[184:187], v0 offset0:85 offset1:86
	s_waitcnt vmcnt(38)
	v_mul_f32_e32 v188, v182, v53
	v_fmac_f32_e32 v188, v183, v52
	v_add_f32_e32 v36, v36, v188
	ds_read2_b64 v[188:191], v0 offset0:87 offset1:88
	s_waitcnt vmcnt(36) lgkmcnt(1)
	v_mul_f32_e32 v192, v184, v54
	v_fmac_f32_e32 v192, v185, v45
	v_add_f32_e32 v36, v36, v192
	s_waitcnt vmcnt(35)
	v_mul_f32_e32 v192, v186, v55
	s_waitcnt vmcnt(32)
	v_fmac_f32_e32 v192, v187, v223
	v_add_f32_e32 v36, v36, v192
	s_waitcnt lgkmcnt(0)
	;; [unrolled: 19-line block ×5, first 2 shown]
	v_mul_f32_e32 v216, v212, v246
	v_fmac_f32_e32 v216, v213, v245
	v_add_f32_e32 v36, v36, v216
	ds_read2_b64 v[216:219], v0 offset0:101 offset1:102
	s_waitcnt vmcnt(6)
	v_mul_f32_e32 v220, v214, v249
	v_fmac_f32_e32 v220, v215, v248
	v_add_f32_e32 v36, v36, v220
	ds_read_b64 v[220:221], v0 offset:824
	s_waitcnt vmcnt(4) lgkmcnt(1)
	v_mul_f32_e32 v57, v216, v251
	v_fmac_f32_e32 v57, v217, v250
	v_add_f32_e32 v36, v36, v57
	s_waitcnt vmcnt(3)
	v_mul_f32_e32 v57, v218, v252
	s_waitcnt vmcnt(0)
	v_fmac_f32_e32 v57, v219, v255
	v_add_f32_e32 v36, v36, v57
	s_waitcnt lgkmcnt(0)
	v_mul_f32_e32 v57, v220, v254
	v_fmac_f32_e32 v57, v221, v253
	v_add_f32_e32 v36, v36, v57
	v_mul_f32_e32 v57, v121, v113
	v_fma_f32 v3, v120, v3, -v57
	v_mul_f32_e32 v57, v123, v112
	v_add_f32_e32 v3, 0, v3
	v_fma_f32 v2, v122, v2, -v57
	v_add_f32_e32 v2, v3, v2
	v_mul_f32_e32 v3, v125, v109
	v_fma_f32 v1, v124, v1, -v3
	v_add_f32_e32 v1, v2, v1
	v_mul_f32_e32 v2, v127, v108
	;; [unrolled: 3-line block ×49, first 2 shown]
	v_fma_f32 v2, v220, v253, -v2
	v_add_f32_e32 v1, v1, v2
	v_sub_f32_e32 v1, v110, v1
	v_sub_f32_e32 v2, v111, v36
	buffer_store_dword v1, off, s[0:3], 0
	buffer_store_dword v2, off, s[0:3], 0 offset:4
	s_cbranch_vccz .LBB51_428
; %bb.326:
	global_load_dword v0, v0, s[20:21] offset:200
	s_waitcnt vmcnt(0)
	v_add_u32_e32 v0, -1, v0
	v_cmp_ne_u32_e32 vcc, 50, v0
	s_cbranch_vccz .LBB51_328
; %bb.327:
	v_lshlrev_b32_e32 v0, 3, v0
	buffer_load_dword v1, v0, s[0:3], 0 offen
	buffer_load_dword v2, v0, s[0:3], 0 offen offset:4
	buffer_load_dword v3, off, s[0:3], 0 offset:404
	buffer_load_dword v4, off, s[0:3], 0 offset:400
	s_waitcnt vmcnt(3)
	buffer_store_dword v1, off, s[0:3], 0 offset:400
	s_waitcnt vmcnt(3)
	buffer_store_dword v2, off, s[0:3], 0 offset:404
	s_waitcnt vmcnt(3)
	buffer_store_dword v3, v0, s[0:3], 0 offen offset:4
	s_waitcnt vmcnt(3)
	buffer_store_dword v4, v0, s[0:3], 0 offen
.LBB51_328:
	v_mov_b32_e32 v0, 0
	global_load_dword v1, v0, s[20:21] offset:196
	s_waitcnt vmcnt(0)
	v_add_u32_e32 v105, -1, v1
	v_cmp_eq_u32_e32 vcc, 49, v105
	s_cbranch_vccnz .LBB51_330
; %bb.329:
	v_lshlrev_b32_e32 v1, 3, v105
	buffer_load_dword v2, v1, s[0:3], 0 offen
	buffer_load_dword v3, v1, s[0:3], 0 offen offset:4
	buffer_load_dword v4, off, s[0:3], 0 offset:392
	buffer_load_dword v5, off, s[0:3], 0 offset:396
	s_waitcnt vmcnt(3)
	buffer_store_dword v2, off, s[0:3], 0 offset:392
	s_waitcnt vmcnt(3)
	buffer_store_dword v3, off, s[0:3], 0 offset:396
	s_waitcnt vmcnt(3)
	buffer_store_dword v4, v1, s[0:3], 0 offen
	s_waitcnt vmcnt(3)
	buffer_store_dword v5, v1, s[0:3], 0 offen offset:4
.LBB51_330:
	global_load_dword v0, v0, s[20:21] offset:192
	s_waitcnt vmcnt(0)
	v_add_u32_e32 v0, -1, v0
	v_cmp_eq_u32_e32 vcc, 48, v0
	s_cbranch_vccnz .LBB51_332
; %bb.331:
	v_lshlrev_b32_e32 v0, 3, v0
	buffer_load_dword v1, v0, s[0:3], 0 offen
	buffer_load_dword v2, v0, s[0:3], 0 offen offset:4
	buffer_load_dword v3, off, s[0:3], 0 offset:388
	buffer_load_dword v4, off, s[0:3], 0 offset:384
	s_waitcnt vmcnt(3)
	buffer_store_dword v1, off, s[0:3], 0 offset:384
	s_waitcnt vmcnt(3)
	buffer_store_dword v2, off, s[0:3], 0 offset:388
	s_waitcnt vmcnt(3)
	buffer_store_dword v3, v0, s[0:3], 0 offen offset:4
	s_waitcnt vmcnt(3)
	buffer_store_dword v4, v0, s[0:3], 0 offen
.LBB51_332:
	v_mov_b32_e32 v0, 0
	global_load_dword v1, v0, s[20:21] offset:188
	s_waitcnt vmcnt(0)
	v_add_u32_e32 v105, -1, v1
	v_cmp_eq_u32_e32 vcc, 47, v105
	s_cbranch_vccnz .LBB51_334
; %bb.333:
	v_lshlrev_b32_e32 v1, 3, v105
	buffer_load_dword v2, v1, s[0:3], 0 offen
	buffer_load_dword v3, v1, s[0:3], 0 offen offset:4
	buffer_load_dword v4, off, s[0:3], 0 offset:376
	buffer_load_dword v5, off, s[0:3], 0 offset:380
	s_waitcnt vmcnt(3)
	buffer_store_dword v2, off, s[0:3], 0 offset:376
	s_waitcnt vmcnt(3)
	buffer_store_dword v3, off, s[0:3], 0 offset:380
	s_waitcnt vmcnt(3)
	buffer_store_dword v4, v1, s[0:3], 0 offen
	s_waitcnt vmcnt(3)
	buffer_store_dword v5, v1, s[0:3], 0 offen offset:4
.LBB51_334:
	global_load_dword v0, v0, s[20:21] offset:184
	s_waitcnt vmcnt(0)
	v_add_u32_e32 v0, -1, v0
	v_cmp_eq_u32_e32 vcc, 46, v0
	s_cbranch_vccnz .LBB51_336
; %bb.335:
	v_lshlrev_b32_e32 v0, 3, v0
	buffer_load_dword v1, v0, s[0:3], 0 offen
	buffer_load_dword v2, v0, s[0:3], 0 offen offset:4
	buffer_load_dword v3, off, s[0:3], 0 offset:372
	buffer_load_dword v4, off, s[0:3], 0 offset:368
	s_waitcnt vmcnt(3)
	buffer_store_dword v1, off, s[0:3], 0 offset:368
	s_waitcnt vmcnt(3)
	buffer_store_dword v2, off, s[0:3], 0 offset:372
	s_waitcnt vmcnt(3)
	buffer_store_dword v3, v0, s[0:3], 0 offen offset:4
	s_waitcnt vmcnt(3)
	buffer_store_dword v4, v0, s[0:3], 0 offen
.LBB51_336:
	v_mov_b32_e32 v0, 0
	global_load_dword v1, v0, s[20:21] offset:180
	s_waitcnt vmcnt(0)
	v_add_u32_e32 v105, -1, v1
	v_cmp_eq_u32_e32 vcc, 45, v105
	s_cbranch_vccnz .LBB51_338
; %bb.337:
	v_lshlrev_b32_e32 v1, 3, v105
	buffer_load_dword v2, v1, s[0:3], 0 offen
	buffer_load_dword v3, v1, s[0:3], 0 offen offset:4
	buffer_load_dword v4, off, s[0:3], 0 offset:360
	buffer_load_dword v5, off, s[0:3], 0 offset:364
	s_waitcnt vmcnt(3)
	buffer_store_dword v2, off, s[0:3], 0 offset:360
	s_waitcnt vmcnt(3)
	buffer_store_dword v3, off, s[0:3], 0 offset:364
	s_waitcnt vmcnt(3)
	buffer_store_dword v4, v1, s[0:3], 0 offen
	s_waitcnt vmcnt(3)
	buffer_store_dword v5, v1, s[0:3], 0 offen offset:4
.LBB51_338:
	global_load_dword v0, v0, s[20:21] offset:176
	s_waitcnt vmcnt(0)
	v_add_u32_e32 v0, -1, v0
	v_cmp_eq_u32_e32 vcc, 44, v0
	s_cbranch_vccnz .LBB51_340
; %bb.339:
	v_lshlrev_b32_e32 v0, 3, v0
	buffer_load_dword v1, v0, s[0:3], 0 offen
	buffer_load_dword v2, v0, s[0:3], 0 offen offset:4
	buffer_load_dword v3, off, s[0:3], 0 offset:356
	buffer_load_dword v4, off, s[0:3], 0 offset:352
	s_waitcnt vmcnt(3)
	buffer_store_dword v1, off, s[0:3], 0 offset:352
	s_waitcnt vmcnt(3)
	buffer_store_dword v2, off, s[0:3], 0 offset:356
	s_waitcnt vmcnt(3)
	buffer_store_dword v3, v0, s[0:3], 0 offen offset:4
	s_waitcnt vmcnt(3)
	buffer_store_dword v4, v0, s[0:3], 0 offen
.LBB51_340:
	v_mov_b32_e32 v0, 0
	global_load_dword v1, v0, s[20:21] offset:172
	s_waitcnt vmcnt(0)
	v_add_u32_e32 v105, -1, v1
	v_cmp_eq_u32_e32 vcc, 43, v105
	s_cbranch_vccnz .LBB51_342
; %bb.341:
	v_lshlrev_b32_e32 v1, 3, v105
	buffer_load_dword v2, v1, s[0:3], 0 offen
	buffer_load_dword v3, v1, s[0:3], 0 offen offset:4
	buffer_load_dword v4, off, s[0:3], 0 offset:344
	buffer_load_dword v5, off, s[0:3], 0 offset:348
	s_waitcnt vmcnt(3)
	buffer_store_dword v2, off, s[0:3], 0 offset:344
	s_waitcnt vmcnt(3)
	buffer_store_dword v3, off, s[0:3], 0 offset:348
	s_waitcnt vmcnt(3)
	buffer_store_dword v4, v1, s[0:3], 0 offen
	s_waitcnt vmcnt(3)
	buffer_store_dword v5, v1, s[0:3], 0 offen offset:4
.LBB51_342:
	global_load_dword v0, v0, s[20:21] offset:168
	s_waitcnt vmcnt(0)
	v_add_u32_e32 v0, -1, v0
	v_cmp_eq_u32_e32 vcc, 42, v0
	s_cbranch_vccnz .LBB51_344
; %bb.343:
	v_lshlrev_b32_e32 v0, 3, v0
	buffer_load_dword v1, v0, s[0:3], 0 offen
	buffer_load_dword v2, v0, s[0:3], 0 offen offset:4
	buffer_load_dword v3, off, s[0:3], 0 offset:340
	buffer_load_dword v4, off, s[0:3], 0 offset:336
	s_waitcnt vmcnt(3)
	buffer_store_dword v1, off, s[0:3], 0 offset:336
	s_waitcnt vmcnt(3)
	buffer_store_dword v2, off, s[0:3], 0 offset:340
	s_waitcnt vmcnt(3)
	buffer_store_dword v3, v0, s[0:3], 0 offen offset:4
	s_waitcnt vmcnt(3)
	buffer_store_dword v4, v0, s[0:3], 0 offen
.LBB51_344:
	v_mov_b32_e32 v0, 0
	global_load_dword v1, v0, s[20:21] offset:164
	s_waitcnt vmcnt(0)
	v_add_u32_e32 v105, -1, v1
	v_cmp_eq_u32_e32 vcc, 41, v105
	s_cbranch_vccnz .LBB51_346
; %bb.345:
	v_lshlrev_b32_e32 v1, 3, v105
	buffer_load_dword v2, v1, s[0:3], 0 offen
	buffer_load_dword v3, v1, s[0:3], 0 offen offset:4
	buffer_load_dword v4, off, s[0:3], 0 offset:328
	buffer_load_dword v5, off, s[0:3], 0 offset:332
	s_waitcnt vmcnt(3)
	buffer_store_dword v2, off, s[0:3], 0 offset:328
	s_waitcnt vmcnt(3)
	buffer_store_dword v3, off, s[0:3], 0 offset:332
	s_waitcnt vmcnt(3)
	buffer_store_dword v4, v1, s[0:3], 0 offen
	s_waitcnt vmcnt(3)
	buffer_store_dword v5, v1, s[0:3], 0 offen offset:4
.LBB51_346:
	global_load_dword v0, v0, s[20:21] offset:160
	s_waitcnt vmcnt(0)
	v_add_u32_e32 v0, -1, v0
	v_cmp_eq_u32_e32 vcc, 40, v0
	s_cbranch_vccnz .LBB51_348
; %bb.347:
	v_lshlrev_b32_e32 v0, 3, v0
	buffer_load_dword v1, v0, s[0:3], 0 offen
	buffer_load_dword v2, v0, s[0:3], 0 offen offset:4
	buffer_load_dword v3, off, s[0:3], 0 offset:324
	buffer_load_dword v4, off, s[0:3], 0 offset:320
	s_waitcnt vmcnt(3)
	buffer_store_dword v1, off, s[0:3], 0 offset:320
	s_waitcnt vmcnt(3)
	buffer_store_dword v2, off, s[0:3], 0 offset:324
	s_waitcnt vmcnt(3)
	buffer_store_dword v3, v0, s[0:3], 0 offen offset:4
	s_waitcnt vmcnt(3)
	buffer_store_dword v4, v0, s[0:3], 0 offen
.LBB51_348:
	v_mov_b32_e32 v0, 0
	global_load_dword v1, v0, s[20:21] offset:156
	s_waitcnt vmcnt(0)
	v_add_u32_e32 v105, -1, v1
	v_cmp_eq_u32_e32 vcc, 39, v105
	s_cbranch_vccnz .LBB51_350
; %bb.349:
	v_lshlrev_b32_e32 v1, 3, v105
	buffer_load_dword v2, v1, s[0:3], 0 offen
	buffer_load_dword v3, v1, s[0:3], 0 offen offset:4
	buffer_load_dword v4, off, s[0:3], 0 offset:312
	buffer_load_dword v5, off, s[0:3], 0 offset:316
	s_waitcnt vmcnt(3)
	buffer_store_dword v2, off, s[0:3], 0 offset:312
	s_waitcnt vmcnt(3)
	buffer_store_dword v3, off, s[0:3], 0 offset:316
	s_waitcnt vmcnt(3)
	buffer_store_dword v4, v1, s[0:3], 0 offen
	s_waitcnt vmcnt(3)
	buffer_store_dword v5, v1, s[0:3], 0 offen offset:4
.LBB51_350:
	global_load_dword v0, v0, s[20:21] offset:152
	s_waitcnt vmcnt(0)
	v_add_u32_e32 v0, -1, v0
	v_cmp_eq_u32_e32 vcc, 38, v0
	s_cbranch_vccnz .LBB51_352
; %bb.351:
	v_lshlrev_b32_e32 v0, 3, v0
	buffer_load_dword v1, v0, s[0:3], 0 offen
	buffer_load_dword v2, v0, s[0:3], 0 offen offset:4
	buffer_load_dword v3, off, s[0:3], 0 offset:308
	buffer_load_dword v4, off, s[0:3], 0 offset:304
	s_waitcnt vmcnt(3)
	buffer_store_dword v1, off, s[0:3], 0 offset:304
	s_waitcnt vmcnt(3)
	buffer_store_dword v2, off, s[0:3], 0 offset:308
	s_waitcnt vmcnt(3)
	buffer_store_dword v3, v0, s[0:3], 0 offen offset:4
	s_waitcnt vmcnt(3)
	buffer_store_dword v4, v0, s[0:3], 0 offen
.LBB51_352:
	v_mov_b32_e32 v0, 0
	global_load_dword v1, v0, s[20:21] offset:148
	s_waitcnt vmcnt(0)
	v_add_u32_e32 v105, -1, v1
	v_cmp_eq_u32_e32 vcc, 37, v105
	s_cbranch_vccnz .LBB51_354
; %bb.353:
	v_lshlrev_b32_e32 v1, 3, v105
	buffer_load_dword v2, v1, s[0:3], 0 offen
	buffer_load_dword v3, v1, s[0:3], 0 offen offset:4
	buffer_load_dword v4, off, s[0:3], 0 offset:296
	buffer_load_dword v5, off, s[0:3], 0 offset:300
	s_waitcnt vmcnt(3)
	buffer_store_dword v2, off, s[0:3], 0 offset:296
	s_waitcnt vmcnt(3)
	buffer_store_dword v3, off, s[0:3], 0 offset:300
	s_waitcnt vmcnt(3)
	buffer_store_dword v4, v1, s[0:3], 0 offen
	s_waitcnt vmcnt(3)
	buffer_store_dword v5, v1, s[0:3], 0 offen offset:4
.LBB51_354:
	global_load_dword v0, v0, s[20:21] offset:144
	s_waitcnt vmcnt(0)
	v_add_u32_e32 v0, -1, v0
	v_cmp_eq_u32_e32 vcc, 36, v0
	s_cbranch_vccnz .LBB51_356
; %bb.355:
	v_lshlrev_b32_e32 v0, 3, v0
	buffer_load_dword v1, v0, s[0:3], 0 offen
	buffer_load_dword v2, v0, s[0:3], 0 offen offset:4
	buffer_load_dword v3, off, s[0:3], 0 offset:292
	buffer_load_dword v4, off, s[0:3], 0 offset:288
	s_waitcnt vmcnt(3)
	buffer_store_dword v1, off, s[0:3], 0 offset:288
	s_waitcnt vmcnt(3)
	buffer_store_dword v2, off, s[0:3], 0 offset:292
	s_waitcnt vmcnt(3)
	buffer_store_dword v3, v0, s[0:3], 0 offen offset:4
	s_waitcnt vmcnt(3)
	buffer_store_dword v4, v0, s[0:3], 0 offen
.LBB51_356:
	v_mov_b32_e32 v0, 0
	global_load_dword v1, v0, s[20:21] offset:140
	s_waitcnt vmcnt(0)
	v_add_u32_e32 v105, -1, v1
	v_cmp_eq_u32_e32 vcc, 35, v105
	s_cbranch_vccnz .LBB51_358
; %bb.357:
	v_lshlrev_b32_e32 v1, 3, v105
	buffer_load_dword v2, v1, s[0:3], 0 offen
	buffer_load_dword v3, v1, s[0:3], 0 offen offset:4
	buffer_load_dword v4, off, s[0:3], 0 offset:280
	buffer_load_dword v5, off, s[0:3], 0 offset:284
	s_waitcnt vmcnt(3)
	buffer_store_dword v2, off, s[0:3], 0 offset:280
	s_waitcnt vmcnt(3)
	buffer_store_dword v3, off, s[0:3], 0 offset:284
	s_waitcnt vmcnt(3)
	buffer_store_dword v4, v1, s[0:3], 0 offen
	s_waitcnt vmcnt(3)
	buffer_store_dword v5, v1, s[0:3], 0 offen offset:4
.LBB51_358:
	global_load_dword v0, v0, s[20:21] offset:136
	s_waitcnt vmcnt(0)
	v_add_u32_e32 v0, -1, v0
	v_cmp_eq_u32_e32 vcc, 34, v0
	s_cbranch_vccnz .LBB51_360
; %bb.359:
	v_lshlrev_b32_e32 v0, 3, v0
	buffer_load_dword v1, v0, s[0:3], 0 offen
	buffer_load_dword v2, v0, s[0:3], 0 offen offset:4
	buffer_load_dword v3, off, s[0:3], 0 offset:276
	buffer_load_dword v4, off, s[0:3], 0 offset:272
	s_waitcnt vmcnt(3)
	buffer_store_dword v1, off, s[0:3], 0 offset:272
	s_waitcnt vmcnt(3)
	buffer_store_dword v2, off, s[0:3], 0 offset:276
	s_waitcnt vmcnt(3)
	buffer_store_dword v3, v0, s[0:3], 0 offen offset:4
	s_waitcnt vmcnt(3)
	buffer_store_dword v4, v0, s[0:3], 0 offen
.LBB51_360:
	v_mov_b32_e32 v0, 0
	global_load_dword v1, v0, s[20:21] offset:132
	s_waitcnt vmcnt(0)
	v_add_u32_e32 v105, -1, v1
	v_cmp_eq_u32_e32 vcc, 33, v105
	s_cbranch_vccnz .LBB51_362
; %bb.361:
	v_lshlrev_b32_e32 v1, 3, v105
	buffer_load_dword v2, v1, s[0:3], 0 offen
	buffer_load_dword v3, v1, s[0:3], 0 offen offset:4
	buffer_load_dword v4, off, s[0:3], 0 offset:264
	buffer_load_dword v5, off, s[0:3], 0 offset:268
	s_waitcnt vmcnt(3)
	buffer_store_dword v2, off, s[0:3], 0 offset:264
	s_waitcnt vmcnt(3)
	buffer_store_dword v3, off, s[0:3], 0 offset:268
	s_waitcnt vmcnt(3)
	buffer_store_dword v4, v1, s[0:3], 0 offen
	s_waitcnt vmcnt(3)
	buffer_store_dword v5, v1, s[0:3], 0 offen offset:4
.LBB51_362:
	global_load_dword v0, v0, s[20:21] offset:128
	s_waitcnt vmcnt(0)
	v_add_u32_e32 v0, -1, v0
	v_cmp_eq_u32_e32 vcc, 32, v0
	s_cbranch_vccnz .LBB51_364
; %bb.363:
	v_lshlrev_b32_e32 v0, 3, v0
	buffer_load_dword v1, v0, s[0:3], 0 offen
	buffer_load_dword v2, v0, s[0:3], 0 offen offset:4
	buffer_load_dword v3, off, s[0:3], 0 offset:260
	buffer_load_dword v4, off, s[0:3], 0 offset:256
	s_waitcnt vmcnt(3)
	buffer_store_dword v1, off, s[0:3], 0 offset:256
	s_waitcnt vmcnt(3)
	buffer_store_dword v2, off, s[0:3], 0 offset:260
	s_waitcnt vmcnt(3)
	buffer_store_dword v3, v0, s[0:3], 0 offen offset:4
	s_waitcnt vmcnt(3)
	buffer_store_dword v4, v0, s[0:3], 0 offen
.LBB51_364:
	v_mov_b32_e32 v0, 0
	global_load_dword v1, v0, s[20:21] offset:124
	s_waitcnt vmcnt(0)
	v_add_u32_e32 v105, -1, v1
	v_cmp_eq_u32_e32 vcc, 31, v105
	s_cbranch_vccnz .LBB51_366
; %bb.365:
	v_lshlrev_b32_e32 v1, 3, v105
	buffer_load_dword v2, v1, s[0:3], 0 offen
	buffer_load_dword v3, v1, s[0:3], 0 offen offset:4
	buffer_load_dword v4, off, s[0:3], 0 offset:248
	buffer_load_dword v5, off, s[0:3], 0 offset:252
	s_waitcnt vmcnt(3)
	buffer_store_dword v2, off, s[0:3], 0 offset:248
	s_waitcnt vmcnt(3)
	buffer_store_dword v3, off, s[0:3], 0 offset:252
	s_waitcnt vmcnt(3)
	buffer_store_dword v4, v1, s[0:3], 0 offen
	s_waitcnt vmcnt(3)
	buffer_store_dword v5, v1, s[0:3], 0 offen offset:4
.LBB51_366:
	global_load_dword v0, v0, s[20:21] offset:120
	s_waitcnt vmcnt(0)
	v_add_u32_e32 v0, -1, v0
	v_cmp_eq_u32_e32 vcc, 30, v0
	s_cbranch_vccnz .LBB51_368
; %bb.367:
	v_lshlrev_b32_e32 v0, 3, v0
	buffer_load_dword v1, v0, s[0:3], 0 offen
	buffer_load_dword v2, v0, s[0:3], 0 offen offset:4
	buffer_load_dword v3, off, s[0:3], 0 offset:244
	buffer_load_dword v4, off, s[0:3], 0 offset:240
	s_waitcnt vmcnt(3)
	buffer_store_dword v1, off, s[0:3], 0 offset:240
	s_waitcnt vmcnt(3)
	buffer_store_dword v2, off, s[0:3], 0 offset:244
	s_waitcnt vmcnt(3)
	buffer_store_dword v3, v0, s[0:3], 0 offen offset:4
	s_waitcnt vmcnt(3)
	buffer_store_dword v4, v0, s[0:3], 0 offen
.LBB51_368:
	v_mov_b32_e32 v0, 0
	global_load_dword v1, v0, s[20:21] offset:116
	s_waitcnt vmcnt(0)
	v_add_u32_e32 v105, -1, v1
	v_cmp_eq_u32_e32 vcc, 29, v105
	s_cbranch_vccnz .LBB51_370
; %bb.369:
	v_lshlrev_b32_e32 v1, 3, v105
	buffer_load_dword v2, v1, s[0:3], 0 offen
	buffer_load_dword v3, v1, s[0:3], 0 offen offset:4
	buffer_load_dword v4, off, s[0:3], 0 offset:232
	buffer_load_dword v5, off, s[0:3], 0 offset:236
	s_waitcnt vmcnt(3)
	buffer_store_dword v2, off, s[0:3], 0 offset:232
	s_waitcnt vmcnt(3)
	buffer_store_dword v3, off, s[0:3], 0 offset:236
	s_waitcnt vmcnt(3)
	buffer_store_dword v4, v1, s[0:3], 0 offen
	s_waitcnt vmcnt(3)
	buffer_store_dword v5, v1, s[0:3], 0 offen offset:4
.LBB51_370:
	global_load_dword v0, v0, s[20:21] offset:112
	s_waitcnt vmcnt(0)
	v_add_u32_e32 v0, -1, v0
	v_cmp_eq_u32_e32 vcc, 28, v0
	s_cbranch_vccnz .LBB51_372
; %bb.371:
	v_lshlrev_b32_e32 v0, 3, v0
	buffer_load_dword v1, v0, s[0:3], 0 offen
	buffer_load_dword v2, v0, s[0:3], 0 offen offset:4
	buffer_load_dword v3, off, s[0:3], 0 offset:228
	buffer_load_dword v4, off, s[0:3], 0 offset:224
	s_waitcnt vmcnt(3)
	buffer_store_dword v1, off, s[0:3], 0 offset:224
	s_waitcnt vmcnt(3)
	buffer_store_dword v2, off, s[0:3], 0 offset:228
	s_waitcnt vmcnt(3)
	buffer_store_dword v3, v0, s[0:3], 0 offen offset:4
	s_waitcnt vmcnt(3)
	buffer_store_dword v4, v0, s[0:3], 0 offen
.LBB51_372:
	v_mov_b32_e32 v0, 0
	global_load_dword v1, v0, s[20:21] offset:108
	s_waitcnt vmcnt(0)
	v_add_u32_e32 v105, -1, v1
	v_cmp_eq_u32_e32 vcc, 27, v105
	s_cbranch_vccnz .LBB51_374
; %bb.373:
	v_lshlrev_b32_e32 v1, 3, v105
	buffer_load_dword v2, v1, s[0:3], 0 offen
	buffer_load_dword v3, v1, s[0:3], 0 offen offset:4
	buffer_load_dword v4, off, s[0:3], 0 offset:216
	buffer_load_dword v5, off, s[0:3], 0 offset:220
	s_waitcnt vmcnt(3)
	buffer_store_dword v2, off, s[0:3], 0 offset:216
	s_waitcnt vmcnt(3)
	buffer_store_dword v3, off, s[0:3], 0 offset:220
	s_waitcnt vmcnt(3)
	buffer_store_dword v4, v1, s[0:3], 0 offen
	s_waitcnt vmcnt(3)
	buffer_store_dword v5, v1, s[0:3], 0 offen offset:4
.LBB51_374:
	global_load_dword v0, v0, s[20:21] offset:104
	s_waitcnt vmcnt(0)
	v_add_u32_e32 v0, -1, v0
	v_cmp_eq_u32_e32 vcc, 26, v0
	s_cbranch_vccnz .LBB51_376
; %bb.375:
	v_lshlrev_b32_e32 v0, 3, v0
	buffer_load_dword v1, v0, s[0:3], 0 offen
	buffer_load_dword v2, v0, s[0:3], 0 offen offset:4
	buffer_load_dword v3, off, s[0:3], 0 offset:212
	buffer_load_dword v4, off, s[0:3], 0 offset:208
	s_waitcnt vmcnt(3)
	buffer_store_dword v1, off, s[0:3], 0 offset:208
	s_waitcnt vmcnt(3)
	buffer_store_dword v2, off, s[0:3], 0 offset:212
	s_waitcnt vmcnt(3)
	buffer_store_dword v3, v0, s[0:3], 0 offen offset:4
	s_waitcnt vmcnt(3)
	buffer_store_dword v4, v0, s[0:3], 0 offen
.LBB51_376:
	v_mov_b32_e32 v0, 0
	global_load_dword v1, v0, s[20:21] offset:100
	s_waitcnt vmcnt(0)
	v_add_u32_e32 v105, -1, v1
	v_cmp_eq_u32_e32 vcc, 25, v105
	s_cbranch_vccnz .LBB51_378
; %bb.377:
	v_lshlrev_b32_e32 v1, 3, v105
	buffer_load_dword v2, v1, s[0:3], 0 offen
	buffer_load_dword v3, v1, s[0:3], 0 offen offset:4
	buffer_load_dword v4, off, s[0:3], 0 offset:200
	buffer_load_dword v5, off, s[0:3], 0 offset:204
	s_waitcnt vmcnt(3)
	buffer_store_dword v2, off, s[0:3], 0 offset:200
	s_waitcnt vmcnt(3)
	buffer_store_dword v3, off, s[0:3], 0 offset:204
	s_waitcnt vmcnt(3)
	buffer_store_dword v4, v1, s[0:3], 0 offen
	s_waitcnt vmcnt(3)
	buffer_store_dword v5, v1, s[0:3], 0 offen offset:4
.LBB51_378:
	global_load_dword v0, v0, s[20:21] offset:96
	s_waitcnt vmcnt(0)
	v_add_u32_e32 v0, -1, v0
	v_cmp_eq_u32_e32 vcc, 24, v0
	s_cbranch_vccnz .LBB51_380
; %bb.379:
	v_lshlrev_b32_e32 v0, 3, v0
	buffer_load_dword v1, v0, s[0:3], 0 offen
	buffer_load_dword v2, v0, s[0:3], 0 offen offset:4
	buffer_load_dword v3, off, s[0:3], 0 offset:196
	buffer_load_dword v4, off, s[0:3], 0 offset:192
	s_waitcnt vmcnt(3)
	buffer_store_dword v1, off, s[0:3], 0 offset:192
	s_waitcnt vmcnt(3)
	buffer_store_dword v2, off, s[0:3], 0 offset:196
	s_waitcnt vmcnt(3)
	buffer_store_dword v3, v0, s[0:3], 0 offen offset:4
	s_waitcnt vmcnt(3)
	buffer_store_dword v4, v0, s[0:3], 0 offen
.LBB51_380:
	v_mov_b32_e32 v0, 0
	global_load_dword v1, v0, s[20:21] offset:92
	s_waitcnt vmcnt(0)
	v_add_u32_e32 v105, -1, v1
	v_cmp_eq_u32_e32 vcc, 23, v105
	s_cbranch_vccnz .LBB51_382
; %bb.381:
	v_lshlrev_b32_e32 v1, 3, v105
	buffer_load_dword v2, v1, s[0:3], 0 offen
	buffer_load_dword v3, v1, s[0:3], 0 offen offset:4
	buffer_load_dword v4, off, s[0:3], 0 offset:184
	buffer_load_dword v5, off, s[0:3], 0 offset:188
	s_waitcnt vmcnt(3)
	buffer_store_dword v2, off, s[0:3], 0 offset:184
	s_waitcnt vmcnt(3)
	buffer_store_dword v3, off, s[0:3], 0 offset:188
	s_waitcnt vmcnt(3)
	buffer_store_dword v4, v1, s[0:3], 0 offen
	s_waitcnt vmcnt(3)
	buffer_store_dword v5, v1, s[0:3], 0 offen offset:4
.LBB51_382:
	global_load_dword v0, v0, s[20:21] offset:88
	s_waitcnt vmcnt(0)
	v_add_u32_e32 v0, -1, v0
	v_cmp_eq_u32_e32 vcc, 22, v0
	s_cbranch_vccnz .LBB51_384
; %bb.383:
	v_lshlrev_b32_e32 v0, 3, v0
	buffer_load_dword v1, v0, s[0:3], 0 offen
	buffer_load_dword v2, v0, s[0:3], 0 offen offset:4
	buffer_load_dword v3, off, s[0:3], 0 offset:180
	buffer_load_dword v4, off, s[0:3], 0 offset:176
	s_waitcnt vmcnt(3)
	buffer_store_dword v1, off, s[0:3], 0 offset:176
	s_waitcnt vmcnt(3)
	buffer_store_dword v2, off, s[0:3], 0 offset:180
	s_waitcnt vmcnt(3)
	buffer_store_dword v3, v0, s[0:3], 0 offen offset:4
	s_waitcnt vmcnt(3)
	buffer_store_dword v4, v0, s[0:3], 0 offen
.LBB51_384:
	v_mov_b32_e32 v0, 0
	global_load_dword v1, v0, s[20:21] offset:84
	s_waitcnt vmcnt(0)
	v_add_u32_e32 v105, -1, v1
	v_cmp_eq_u32_e32 vcc, 21, v105
	s_cbranch_vccnz .LBB51_386
; %bb.385:
	v_lshlrev_b32_e32 v1, 3, v105
	buffer_load_dword v2, v1, s[0:3], 0 offen
	buffer_load_dword v3, v1, s[0:3], 0 offen offset:4
	buffer_load_dword v4, off, s[0:3], 0 offset:168
	buffer_load_dword v5, off, s[0:3], 0 offset:172
	s_waitcnt vmcnt(3)
	buffer_store_dword v2, off, s[0:3], 0 offset:168
	s_waitcnt vmcnt(3)
	buffer_store_dword v3, off, s[0:3], 0 offset:172
	s_waitcnt vmcnt(3)
	buffer_store_dword v4, v1, s[0:3], 0 offen
	s_waitcnt vmcnt(3)
	buffer_store_dword v5, v1, s[0:3], 0 offen offset:4
.LBB51_386:
	global_load_dword v0, v0, s[20:21] offset:80
	s_waitcnt vmcnt(0)
	v_add_u32_e32 v0, -1, v0
	v_cmp_eq_u32_e32 vcc, 20, v0
	s_cbranch_vccnz .LBB51_388
; %bb.387:
	v_lshlrev_b32_e32 v0, 3, v0
	buffer_load_dword v1, v0, s[0:3], 0 offen
	buffer_load_dword v2, v0, s[0:3], 0 offen offset:4
	buffer_load_dword v3, off, s[0:3], 0 offset:164
	buffer_load_dword v4, off, s[0:3], 0 offset:160
	s_waitcnt vmcnt(3)
	buffer_store_dword v1, off, s[0:3], 0 offset:160
	s_waitcnt vmcnt(3)
	buffer_store_dword v2, off, s[0:3], 0 offset:164
	s_waitcnt vmcnt(3)
	buffer_store_dword v3, v0, s[0:3], 0 offen offset:4
	s_waitcnt vmcnt(3)
	buffer_store_dword v4, v0, s[0:3], 0 offen
.LBB51_388:
	v_mov_b32_e32 v0, 0
	global_load_dword v1, v0, s[20:21] offset:76
	s_waitcnt vmcnt(0)
	v_add_u32_e32 v105, -1, v1
	v_cmp_eq_u32_e32 vcc, 19, v105
	s_cbranch_vccnz .LBB51_390
; %bb.389:
	v_lshlrev_b32_e32 v1, 3, v105
	buffer_load_dword v2, v1, s[0:3], 0 offen
	buffer_load_dword v3, v1, s[0:3], 0 offen offset:4
	buffer_load_dword v4, off, s[0:3], 0 offset:152
	buffer_load_dword v5, off, s[0:3], 0 offset:156
	s_waitcnt vmcnt(3)
	buffer_store_dword v2, off, s[0:3], 0 offset:152
	s_waitcnt vmcnt(3)
	buffer_store_dword v3, off, s[0:3], 0 offset:156
	s_waitcnt vmcnt(3)
	buffer_store_dword v4, v1, s[0:3], 0 offen
	s_waitcnt vmcnt(3)
	buffer_store_dword v5, v1, s[0:3], 0 offen offset:4
.LBB51_390:
	global_load_dword v0, v0, s[20:21] offset:72
	s_waitcnt vmcnt(0)
	v_add_u32_e32 v0, -1, v0
	v_cmp_eq_u32_e32 vcc, 18, v0
	s_cbranch_vccnz .LBB51_392
; %bb.391:
	v_lshlrev_b32_e32 v0, 3, v0
	buffer_load_dword v1, v0, s[0:3], 0 offen
	buffer_load_dword v2, v0, s[0:3], 0 offen offset:4
	buffer_load_dword v3, off, s[0:3], 0 offset:148
	buffer_load_dword v4, off, s[0:3], 0 offset:144
	s_waitcnt vmcnt(3)
	buffer_store_dword v1, off, s[0:3], 0 offset:144
	s_waitcnt vmcnt(3)
	buffer_store_dword v2, off, s[0:3], 0 offset:148
	s_waitcnt vmcnt(3)
	buffer_store_dword v3, v0, s[0:3], 0 offen offset:4
	s_waitcnt vmcnt(3)
	buffer_store_dword v4, v0, s[0:3], 0 offen
.LBB51_392:
	v_mov_b32_e32 v0, 0
	global_load_dword v1, v0, s[20:21] offset:68
	s_waitcnt vmcnt(0)
	v_add_u32_e32 v105, -1, v1
	v_cmp_eq_u32_e32 vcc, 17, v105
	s_cbranch_vccnz .LBB51_394
; %bb.393:
	v_lshlrev_b32_e32 v1, 3, v105
	buffer_load_dword v2, v1, s[0:3], 0 offen
	buffer_load_dword v3, v1, s[0:3], 0 offen offset:4
	buffer_load_dword v4, off, s[0:3], 0 offset:136
	buffer_load_dword v5, off, s[0:3], 0 offset:140
	s_waitcnt vmcnt(3)
	buffer_store_dword v2, off, s[0:3], 0 offset:136
	s_waitcnt vmcnt(3)
	buffer_store_dword v3, off, s[0:3], 0 offset:140
	s_waitcnt vmcnt(3)
	buffer_store_dword v4, v1, s[0:3], 0 offen
	s_waitcnt vmcnt(3)
	buffer_store_dword v5, v1, s[0:3], 0 offen offset:4
.LBB51_394:
	global_load_dword v0, v0, s[20:21] offset:64
	s_waitcnt vmcnt(0)
	v_add_u32_e32 v0, -1, v0
	v_cmp_eq_u32_e32 vcc, 16, v0
	s_cbranch_vccnz .LBB51_396
; %bb.395:
	v_lshlrev_b32_e32 v0, 3, v0
	buffer_load_dword v1, v0, s[0:3], 0 offen
	buffer_load_dword v2, v0, s[0:3], 0 offen offset:4
	buffer_load_dword v3, off, s[0:3], 0 offset:132
	buffer_load_dword v4, off, s[0:3], 0 offset:128
	s_waitcnt vmcnt(3)
	buffer_store_dword v1, off, s[0:3], 0 offset:128
	s_waitcnt vmcnt(3)
	buffer_store_dword v2, off, s[0:3], 0 offset:132
	s_waitcnt vmcnt(3)
	buffer_store_dword v3, v0, s[0:3], 0 offen offset:4
	s_waitcnt vmcnt(3)
	buffer_store_dword v4, v0, s[0:3], 0 offen
.LBB51_396:
	v_mov_b32_e32 v0, 0
	global_load_dword v1, v0, s[20:21] offset:60
	s_waitcnt vmcnt(0)
	v_add_u32_e32 v105, -1, v1
	v_cmp_eq_u32_e32 vcc, 15, v105
	s_cbranch_vccnz .LBB51_398
; %bb.397:
	v_lshlrev_b32_e32 v1, 3, v105
	buffer_load_dword v2, v1, s[0:3], 0 offen
	buffer_load_dword v3, v1, s[0:3], 0 offen offset:4
	buffer_load_dword v4, off, s[0:3], 0 offset:120
	buffer_load_dword v5, off, s[0:3], 0 offset:124
	s_waitcnt vmcnt(3)
	buffer_store_dword v2, off, s[0:3], 0 offset:120
	s_waitcnt vmcnt(3)
	buffer_store_dword v3, off, s[0:3], 0 offset:124
	s_waitcnt vmcnt(3)
	buffer_store_dword v4, v1, s[0:3], 0 offen
	s_waitcnt vmcnt(3)
	buffer_store_dword v5, v1, s[0:3], 0 offen offset:4
.LBB51_398:
	global_load_dword v0, v0, s[20:21] offset:56
	s_waitcnt vmcnt(0)
	v_add_u32_e32 v0, -1, v0
	v_cmp_eq_u32_e32 vcc, 14, v0
	s_cbranch_vccnz .LBB51_400
; %bb.399:
	v_lshlrev_b32_e32 v0, 3, v0
	buffer_load_dword v1, v0, s[0:3], 0 offen
	buffer_load_dword v2, v0, s[0:3], 0 offen offset:4
	buffer_load_dword v3, off, s[0:3], 0 offset:116
	buffer_load_dword v4, off, s[0:3], 0 offset:112
	s_waitcnt vmcnt(3)
	buffer_store_dword v1, off, s[0:3], 0 offset:112
	s_waitcnt vmcnt(3)
	buffer_store_dword v2, off, s[0:3], 0 offset:116
	s_waitcnt vmcnt(3)
	buffer_store_dword v3, v0, s[0:3], 0 offen offset:4
	s_waitcnt vmcnt(3)
	buffer_store_dword v4, v0, s[0:3], 0 offen
.LBB51_400:
	v_mov_b32_e32 v0, 0
	global_load_dword v1, v0, s[20:21] offset:52
	s_waitcnt vmcnt(0)
	v_add_u32_e32 v105, -1, v1
	v_cmp_eq_u32_e32 vcc, 13, v105
	s_cbranch_vccnz .LBB51_402
; %bb.401:
	v_lshlrev_b32_e32 v1, 3, v105
	buffer_load_dword v2, v1, s[0:3], 0 offen
	buffer_load_dword v3, v1, s[0:3], 0 offen offset:4
	buffer_load_dword v4, off, s[0:3], 0 offset:104
	buffer_load_dword v5, off, s[0:3], 0 offset:108
	s_waitcnt vmcnt(3)
	buffer_store_dword v2, off, s[0:3], 0 offset:104
	s_waitcnt vmcnt(3)
	buffer_store_dword v3, off, s[0:3], 0 offset:108
	s_waitcnt vmcnt(3)
	buffer_store_dword v4, v1, s[0:3], 0 offen
	s_waitcnt vmcnt(3)
	buffer_store_dword v5, v1, s[0:3], 0 offen offset:4
.LBB51_402:
	global_load_dword v0, v0, s[20:21] offset:48
	s_waitcnt vmcnt(0)
	v_add_u32_e32 v0, -1, v0
	v_cmp_eq_u32_e32 vcc, 12, v0
	s_cbranch_vccnz .LBB51_404
; %bb.403:
	v_lshlrev_b32_e32 v0, 3, v0
	buffer_load_dword v1, v0, s[0:3], 0 offen
	buffer_load_dword v2, v0, s[0:3], 0 offen offset:4
	buffer_load_dword v3, off, s[0:3], 0 offset:100
	buffer_load_dword v4, off, s[0:3], 0 offset:96
	s_waitcnt vmcnt(3)
	buffer_store_dword v1, off, s[0:3], 0 offset:96
	s_waitcnt vmcnt(3)
	buffer_store_dword v2, off, s[0:3], 0 offset:100
	s_waitcnt vmcnt(3)
	buffer_store_dword v3, v0, s[0:3], 0 offen offset:4
	s_waitcnt vmcnt(3)
	buffer_store_dword v4, v0, s[0:3], 0 offen
.LBB51_404:
	v_mov_b32_e32 v0, 0
	global_load_dword v1, v0, s[20:21] offset:44
	s_waitcnt vmcnt(0)
	v_add_u32_e32 v105, -1, v1
	v_cmp_eq_u32_e32 vcc, 11, v105
	s_cbranch_vccnz .LBB51_406
; %bb.405:
	v_lshlrev_b32_e32 v1, 3, v105
	buffer_load_dword v2, v1, s[0:3], 0 offen
	buffer_load_dword v3, v1, s[0:3], 0 offen offset:4
	buffer_load_dword v4, off, s[0:3], 0 offset:88
	buffer_load_dword v5, off, s[0:3], 0 offset:92
	s_waitcnt vmcnt(3)
	buffer_store_dword v2, off, s[0:3], 0 offset:88
	s_waitcnt vmcnt(3)
	buffer_store_dword v3, off, s[0:3], 0 offset:92
	s_waitcnt vmcnt(3)
	buffer_store_dword v4, v1, s[0:3], 0 offen
	s_waitcnt vmcnt(3)
	buffer_store_dword v5, v1, s[0:3], 0 offen offset:4
.LBB51_406:
	global_load_dword v0, v0, s[20:21] offset:40
	s_waitcnt vmcnt(0)
	v_add_u32_e32 v0, -1, v0
	v_cmp_eq_u32_e32 vcc, 10, v0
	s_cbranch_vccnz .LBB51_408
; %bb.407:
	v_lshlrev_b32_e32 v0, 3, v0
	buffer_load_dword v1, v0, s[0:3], 0 offen
	buffer_load_dword v2, v0, s[0:3], 0 offen offset:4
	buffer_load_dword v3, off, s[0:3], 0 offset:84
	buffer_load_dword v4, off, s[0:3], 0 offset:80
	s_waitcnt vmcnt(3)
	buffer_store_dword v1, off, s[0:3], 0 offset:80
	s_waitcnt vmcnt(3)
	buffer_store_dword v2, off, s[0:3], 0 offset:84
	s_waitcnt vmcnt(3)
	buffer_store_dword v3, v0, s[0:3], 0 offen offset:4
	s_waitcnt vmcnt(3)
	buffer_store_dword v4, v0, s[0:3], 0 offen
.LBB51_408:
	v_mov_b32_e32 v0, 0
	global_load_dword v1, v0, s[20:21] offset:36
	s_waitcnt vmcnt(0)
	v_add_u32_e32 v105, -1, v1
	v_cmp_eq_u32_e32 vcc, 9, v105
	s_cbranch_vccnz .LBB51_410
; %bb.409:
	v_lshlrev_b32_e32 v1, 3, v105
	buffer_load_dword v2, v1, s[0:3], 0 offen
	buffer_load_dword v3, v1, s[0:3], 0 offen offset:4
	buffer_load_dword v4, off, s[0:3], 0 offset:72
	buffer_load_dword v5, off, s[0:3], 0 offset:76
	s_waitcnt vmcnt(3)
	buffer_store_dword v2, off, s[0:3], 0 offset:72
	s_waitcnt vmcnt(3)
	buffer_store_dword v3, off, s[0:3], 0 offset:76
	s_waitcnt vmcnt(3)
	buffer_store_dword v4, v1, s[0:3], 0 offen
	s_waitcnt vmcnt(3)
	buffer_store_dword v5, v1, s[0:3], 0 offen offset:4
.LBB51_410:
	global_load_dword v0, v0, s[20:21] offset:32
	s_waitcnt vmcnt(0)
	v_add_u32_e32 v0, -1, v0
	v_cmp_eq_u32_e32 vcc, 8, v0
	s_cbranch_vccnz .LBB51_412
; %bb.411:
	v_lshlrev_b32_e32 v0, 3, v0
	buffer_load_dword v1, v0, s[0:3], 0 offen
	buffer_load_dword v2, v0, s[0:3], 0 offen offset:4
	buffer_load_dword v3, off, s[0:3], 0 offset:68
	buffer_load_dword v4, off, s[0:3], 0 offset:64
	s_waitcnt vmcnt(3)
	buffer_store_dword v1, off, s[0:3], 0 offset:64
	s_waitcnt vmcnt(3)
	buffer_store_dword v2, off, s[0:3], 0 offset:68
	s_waitcnt vmcnt(3)
	buffer_store_dword v3, v0, s[0:3], 0 offen offset:4
	s_waitcnt vmcnt(3)
	buffer_store_dword v4, v0, s[0:3], 0 offen
.LBB51_412:
	v_mov_b32_e32 v0, 0
	global_load_dword v1, v0, s[20:21] offset:28
	s_waitcnt vmcnt(0)
	v_add_u32_e32 v105, -1, v1
	v_cmp_eq_u32_e32 vcc, 7, v105
	s_cbranch_vccnz .LBB51_414
; %bb.413:
	v_lshlrev_b32_e32 v1, 3, v105
	buffer_load_dword v2, v1, s[0:3], 0 offen
	buffer_load_dword v3, v1, s[0:3], 0 offen offset:4
	buffer_load_dword v4, off, s[0:3], 0 offset:56
	buffer_load_dword v5, off, s[0:3], 0 offset:60
	s_waitcnt vmcnt(3)
	buffer_store_dword v2, off, s[0:3], 0 offset:56
	s_waitcnt vmcnt(3)
	buffer_store_dword v3, off, s[0:3], 0 offset:60
	s_waitcnt vmcnt(3)
	buffer_store_dword v4, v1, s[0:3], 0 offen
	s_waitcnt vmcnt(3)
	buffer_store_dword v5, v1, s[0:3], 0 offen offset:4
.LBB51_414:
	global_load_dword v0, v0, s[20:21] offset:24
	s_waitcnt vmcnt(0)
	v_add_u32_e32 v0, -1, v0
	v_cmp_eq_u32_e32 vcc, 6, v0
	s_cbranch_vccnz .LBB51_416
; %bb.415:
	v_lshlrev_b32_e32 v0, 3, v0
	buffer_load_dword v1, v0, s[0:3], 0 offen
	buffer_load_dword v2, v0, s[0:3], 0 offen offset:4
	buffer_load_dword v3, off, s[0:3], 0 offset:52
	buffer_load_dword v4, off, s[0:3], 0 offset:48
	s_waitcnt vmcnt(3)
	buffer_store_dword v1, off, s[0:3], 0 offset:48
	s_waitcnt vmcnt(3)
	buffer_store_dword v2, off, s[0:3], 0 offset:52
	s_waitcnt vmcnt(3)
	buffer_store_dword v3, v0, s[0:3], 0 offen offset:4
	s_waitcnt vmcnt(3)
	buffer_store_dword v4, v0, s[0:3], 0 offen
.LBB51_416:
	v_mov_b32_e32 v0, 0
	global_load_dword v1, v0, s[20:21] offset:20
	s_waitcnt vmcnt(0)
	v_add_u32_e32 v105, -1, v1
	v_cmp_eq_u32_e32 vcc, 5, v105
	s_cbranch_vccnz .LBB51_418
; %bb.417:
	v_lshlrev_b32_e32 v1, 3, v105
	buffer_load_dword v2, v1, s[0:3], 0 offen
	buffer_load_dword v3, v1, s[0:3], 0 offen offset:4
	buffer_load_dword v4, off, s[0:3], 0 offset:40
	buffer_load_dword v5, off, s[0:3], 0 offset:44
	s_waitcnt vmcnt(3)
	buffer_store_dword v2, off, s[0:3], 0 offset:40
	s_waitcnt vmcnt(3)
	buffer_store_dword v3, off, s[0:3], 0 offset:44
	s_waitcnt vmcnt(3)
	buffer_store_dword v4, v1, s[0:3], 0 offen
	s_waitcnt vmcnt(3)
	buffer_store_dword v5, v1, s[0:3], 0 offen offset:4
.LBB51_418:
	global_load_dword v0, v0, s[20:21] offset:16
	s_waitcnt vmcnt(0)
	v_add_u32_e32 v0, -1, v0
	v_cmp_eq_u32_e32 vcc, 4, v0
	s_cbranch_vccnz .LBB51_420
; %bb.419:
	v_lshlrev_b32_e32 v0, 3, v0
	buffer_load_dword v1, v0, s[0:3], 0 offen
	buffer_load_dword v2, v0, s[0:3], 0 offen offset:4
	buffer_load_dword v3, off, s[0:3], 0 offset:36
	buffer_load_dword v4, off, s[0:3], 0 offset:32
	s_waitcnt vmcnt(3)
	buffer_store_dword v1, off, s[0:3], 0 offset:32
	s_waitcnt vmcnt(3)
	buffer_store_dword v2, off, s[0:3], 0 offset:36
	s_waitcnt vmcnt(3)
	buffer_store_dword v3, v0, s[0:3], 0 offen offset:4
	s_waitcnt vmcnt(3)
	buffer_store_dword v4, v0, s[0:3], 0 offen
.LBB51_420:
	v_mov_b32_e32 v0, 0
	global_load_dword v1, v0, s[20:21] offset:12
	s_waitcnt vmcnt(0)
	v_add_u32_e32 v105, -1, v1
	v_cmp_eq_u32_e32 vcc, 3, v105
	s_cbranch_vccnz .LBB51_422
; %bb.421:
	v_lshlrev_b32_e32 v1, 3, v105
	buffer_load_dword v2, v1, s[0:3], 0 offen
	buffer_load_dword v3, v1, s[0:3], 0 offen offset:4
	buffer_load_dword v4, off, s[0:3], 0 offset:24
	buffer_load_dword v5, off, s[0:3], 0 offset:28
	s_waitcnt vmcnt(3)
	buffer_store_dword v2, off, s[0:3], 0 offset:24
	s_waitcnt vmcnt(3)
	buffer_store_dword v3, off, s[0:3], 0 offset:28
	s_waitcnt vmcnt(3)
	buffer_store_dword v4, v1, s[0:3], 0 offen
	s_waitcnt vmcnt(3)
	buffer_store_dword v5, v1, s[0:3], 0 offen offset:4
.LBB51_422:
	global_load_dword v0, v0, s[20:21] offset:8
	s_waitcnt vmcnt(0)
	v_add_u32_e32 v0, -1, v0
	v_cmp_eq_u32_e32 vcc, 2, v0
	s_cbranch_vccnz .LBB51_424
; %bb.423:
	v_lshlrev_b32_e32 v0, 3, v0
	buffer_load_dword v1, v0, s[0:3], 0 offen
	buffer_load_dword v2, v0, s[0:3], 0 offen offset:4
	buffer_load_dword v3, off, s[0:3], 0 offset:20
	buffer_load_dword v4, off, s[0:3], 0 offset:16
	s_waitcnt vmcnt(3)
	buffer_store_dword v1, off, s[0:3], 0 offset:16
	s_waitcnt vmcnt(3)
	buffer_store_dword v2, off, s[0:3], 0 offset:20
	s_waitcnt vmcnt(3)
	buffer_store_dword v3, v0, s[0:3], 0 offen offset:4
	s_waitcnt vmcnt(3)
	buffer_store_dword v4, v0, s[0:3], 0 offen
.LBB51_424:
	v_mov_b32_e32 v0, 0
	global_load_dword v1, v0, s[20:21] offset:4
	s_waitcnt vmcnt(0)
	v_add_u32_e32 v105, -1, v1
	v_cmp_eq_u32_e32 vcc, 1, v105
	s_cbranch_vccnz .LBB51_426
; %bb.425:
	v_lshlrev_b32_e32 v1, 3, v105
	buffer_load_dword v2, v1, s[0:3], 0 offen
	buffer_load_dword v3, v1, s[0:3], 0 offen offset:4
	buffer_load_dword v4, off, s[0:3], 0 offset:8
	buffer_load_dword v5, off, s[0:3], 0 offset:12
	s_waitcnt vmcnt(3)
	buffer_store_dword v2, off, s[0:3], 0 offset:8
	s_waitcnt vmcnt(3)
	buffer_store_dword v3, off, s[0:3], 0 offset:12
	s_waitcnt vmcnt(3)
	buffer_store_dword v4, v1, s[0:3], 0 offen
	s_waitcnt vmcnt(3)
	buffer_store_dword v5, v1, s[0:3], 0 offen offset:4
.LBB51_426:
	global_load_dword v0, v0, s[20:21]
	s_waitcnt vmcnt(0)
	v_add_u32_e32 v0, -1, v0
	v_cmp_eq_u32_e32 vcc, 0, v0
	s_cbranch_vccnz .LBB51_428
; %bb.427:
	v_lshlrev_b32_e32 v0, 3, v0
	buffer_load_dword v1, v0, s[0:3], 0 offen
	buffer_load_dword v2, v0, s[0:3], 0 offen offset:4
	buffer_load_dword v3, off, s[0:3], 0 offset:4
	buffer_load_dword v4, off, s[0:3], 0
	s_waitcnt vmcnt(3)
	buffer_store_dword v1, off, s[0:3], 0
	s_waitcnt vmcnt(3)
	buffer_store_dword v2, off, s[0:3], 0 offset:4
	s_waitcnt vmcnt(3)
	buffer_store_dword v3, v0, s[0:3], 0 offen offset:4
	s_waitcnt vmcnt(3)
	buffer_store_dword v4, v0, s[0:3], 0 offen
.LBB51_428:
	buffer_load_dword v105, off, s[0:3], 0
	buffer_load_dword v106, off, s[0:3], 0 offset:4
	buffer_load_dword v107, off, s[0:3], 0 offset:8
	;; [unrolled: 1-line block ×103, first 2 shown]
	s_waitcnt vmcnt(62)
	global_store_dwordx2 v[95:96], v[105:106], off
	global_store_dwordx2 v[97:98], v[107:108], off
	buffer_load_dword v0, off, s[0:3], 0 offset:416 ; 4-byte Folded Reload
	buffer_load_dword v1, off, s[0:3], 0 offset:420 ; 4-byte Folded Reload
	s_waitcnt vmcnt(0)
	global_store_dwordx2 v[0:1], v[109:110], off
	buffer_load_dword v0, off, s[0:3], 0 offset:424 ; 4-byte Folded Reload
	s_nop 0
	buffer_load_dword v1, off, s[0:3], 0 offset:428 ; 4-byte Folded Reload
	s_waitcnt vmcnt(0)
	global_store_dwordx2 v[0:1], v[111:112], off
	buffer_load_dword v0, off, s[0:3], 0 offset:432 ; 4-byte Folded Reload
	s_nop 0
	;; [unrolled: 5-line block ×28, first 2 shown]
	buffer_load_dword v1, off, s[0:3], 0 offset:644 ; 4-byte Folded Reload
	s_waitcnt vmcnt(0)
	global_store_dwordx2 v[0:1], v[165:166], off
	global_store_dwordx2 v[59:60], v[167:168], off
	;; [unrolled: 1-line block ×22, first 2 shown]
	s_endpgm
	.section	.rodata,"a",@progbits
	.p2align	6, 0x0
	.amdhsa_kernel _ZN9rocsolver6v33100L18getri_kernel_smallILi52E19rocblas_complex_numIfEPS3_EEvT1_iilPiilS6_bb
		.amdhsa_group_segment_fixed_size 836
		.amdhsa_private_segment_fixed_size 656
		.amdhsa_kernarg_size 60
		.amdhsa_user_sgpr_count 6
		.amdhsa_user_sgpr_private_segment_buffer 1
		.amdhsa_user_sgpr_dispatch_ptr 0
		.amdhsa_user_sgpr_queue_ptr 0
		.amdhsa_user_sgpr_kernarg_segment_ptr 1
		.amdhsa_user_sgpr_dispatch_id 0
		.amdhsa_user_sgpr_flat_scratch_init 0
		.amdhsa_user_sgpr_private_segment_size 0
		.amdhsa_uses_dynamic_stack 0
		.amdhsa_system_sgpr_private_segment_wavefront_offset 1
		.amdhsa_system_sgpr_workgroup_id_x 1
		.amdhsa_system_sgpr_workgroup_id_y 0
		.amdhsa_system_sgpr_workgroup_id_z 0
		.amdhsa_system_sgpr_workgroup_info 0
		.amdhsa_system_vgpr_workitem_id 0
		.amdhsa_next_free_vgpr 256
		.amdhsa_next_free_sgpr 24
		.amdhsa_reserve_vcc 1
		.amdhsa_reserve_flat_scratch 0
		.amdhsa_float_round_mode_32 0
		.amdhsa_float_round_mode_16_64 0
		.amdhsa_float_denorm_mode_32 3
		.amdhsa_float_denorm_mode_16_64 3
		.amdhsa_dx10_clamp 1
		.amdhsa_ieee_mode 1
		.amdhsa_fp16_overflow 0
		.amdhsa_exception_fp_ieee_invalid_op 0
		.amdhsa_exception_fp_denorm_src 0
		.amdhsa_exception_fp_ieee_div_zero 0
		.amdhsa_exception_fp_ieee_overflow 0
		.amdhsa_exception_fp_ieee_underflow 0
		.amdhsa_exception_fp_ieee_inexact 0
		.amdhsa_exception_int_div_zero 0
	.end_amdhsa_kernel
	.section	.text._ZN9rocsolver6v33100L18getri_kernel_smallILi52E19rocblas_complex_numIfEPS3_EEvT1_iilPiilS6_bb,"axG",@progbits,_ZN9rocsolver6v33100L18getri_kernel_smallILi52E19rocblas_complex_numIfEPS3_EEvT1_iilPiilS6_bb,comdat
.Lfunc_end51:
	.size	_ZN9rocsolver6v33100L18getri_kernel_smallILi52E19rocblas_complex_numIfEPS3_EEvT1_iilPiilS6_bb, .Lfunc_end51-_ZN9rocsolver6v33100L18getri_kernel_smallILi52E19rocblas_complex_numIfEPS3_EEvT1_iilPiilS6_bb
                                        ; -- End function
	.set _ZN9rocsolver6v33100L18getri_kernel_smallILi52E19rocblas_complex_numIfEPS3_EEvT1_iilPiilS6_bb.num_vgpr, 256
	.set _ZN9rocsolver6v33100L18getri_kernel_smallILi52E19rocblas_complex_numIfEPS3_EEvT1_iilPiilS6_bb.num_agpr, 0
	.set _ZN9rocsolver6v33100L18getri_kernel_smallILi52E19rocblas_complex_numIfEPS3_EEvT1_iilPiilS6_bb.numbered_sgpr, 24
	.set _ZN9rocsolver6v33100L18getri_kernel_smallILi52E19rocblas_complex_numIfEPS3_EEvT1_iilPiilS6_bb.num_named_barrier, 0
	.set _ZN9rocsolver6v33100L18getri_kernel_smallILi52E19rocblas_complex_numIfEPS3_EEvT1_iilPiilS6_bb.private_seg_size, 656
	.set _ZN9rocsolver6v33100L18getri_kernel_smallILi52E19rocblas_complex_numIfEPS3_EEvT1_iilPiilS6_bb.uses_vcc, 1
	.set _ZN9rocsolver6v33100L18getri_kernel_smallILi52E19rocblas_complex_numIfEPS3_EEvT1_iilPiilS6_bb.uses_flat_scratch, 0
	.set _ZN9rocsolver6v33100L18getri_kernel_smallILi52E19rocblas_complex_numIfEPS3_EEvT1_iilPiilS6_bb.has_dyn_sized_stack, 0
	.set _ZN9rocsolver6v33100L18getri_kernel_smallILi52E19rocblas_complex_numIfEPS3_EEvT1_iilPiilS6_bb.has_recursion, 0
	.set _ZN9rocsolver6v33100L18getri_kernel_smallILi52E19rocblas_complex_numIfEPS3_EEvT1_iilPiilS6_bb.has_indirect_call, 0
	.section	.AMDGPU.csdata,"",@progbits
; Kernel info:
; codeLenInByte = 100236
; TotalNumSgprs: 28
; NumVgprs: 256
; ScratchSize: 656
; MemoryBound: 0
; FloatMode: 240
; IeeeMode: 1
; LDSByteSize: 836 bytes/workgroup (compile time only)
; SGPRBlocks: 3
; VGPRBlocks: 63
; NumSGPRsForWavesPerEU: 28
; NumVGPRsForWavesPerEU: 256
; Occupancy: 1
; WaveLimiterHint : 1
; COMPUTE_PGM_RSRC2:SCRATCH_EN: 1
; COMPUTE_PGM_RSRC2:USER_SGPR: 6
; COMPUTE_PGM_RSRC2:TRAP_HANDLER: 0
; COMPUTE_PGM_RSRC2:TGID_X_EN: 1
; COMPUTE_PGM_RSRC2:TGID_Y_EN: 0
; COMPUTE_PGM_RSRC2:TGID_Z_EN: 0
; COMPUTE_PGM_RSRC2:TIDIG_COMP_CNT: 0
	.section	.text._ZN9rocsolver6v33100L18getri_kernel_smallILi53E19rocblas_complex_numIfEPS3_EEvT1_iilPiilS6_bb,"axG",@progbits,_ZN9rocsolver6v33100L18getri_kernel_smallILi53E19rocblas_complex_numIfEPS3_EEvT1_iilPiilS6_bb,comdat
	.globl	_ZN9rocsolver6v33100L18getri_kernel_smallILi53E19rocblas_complex_numIfEPS3_EEvT1_iilPiilS6_bb ; -- Begin function _ZN9rocsolver6v33100L18getri_kernel_smallILi53E19rocblas_complex_numIfEPS3_EEvT1_iilPiilS6_bb
	.p2align	8
	.type	_ZN9rocsolver6v33100L18getri_kernel_smallILi53E19rocblas_complex_numIfEPS3_EEvT1_iilPiilS6_bb,@function
_ZN9rocsolver6v33100L18getri_kernel_smallILi53E19rocblas_complex_numIfEPS3_EEvT1_iilPiilS6_bb: ; @_ZN9rocsolver6v33100L18getri_kernel_smallILi53E19rocblas_complex_numIfEPS3_EEvT1_iilPiilS6_bb
; %bb.0:
	s_add_u32 s0, s0, s7
	s_addc_u32 s1, s1, 0
	v_cmp_gt_u32_e32 vcc, 53, v0
	s_and_saveexec_b64 s[8:9], vcc
	s_cbranch_execz .LBB52_226
; %bb.1:
	s_load_dword s12, s[4:5], 0x38
	s_load_dwordx4 s[16:19], s[4:5], 0x10
	s_load_dwordx4 s[8:11], s[4:5], 0x28
                                        ; implicit-def: $sgpr20_sgpr21
	s_waitcnt lgkmcnt(0)
	s_bitcmp1_b32 s12, 8
	s_cselect_b64 s[22:23], -1, 0
	s_ashr_i32 s7, s6, 31
	s_bfe_u32 s12, s12, 0x10008
	s_cmp_eq_u32 s12, 0
	s_cbranch_scc1 .LBB52_3
; %bb.2:
	s_load_dword s12, s[4:5], 0x20
	s_mul_i32 s13, s8, s7
	s_mul_hi_u32 s14, s8, s6
	s_mul_i32 s9, s9, s6
	s_add_i32 s14, s14, s13
	s_add_i32 s9, s14, s9
	s_mul_i32 s8, s8, s6
	s_waitcnt lgkmcnt(0)
	s_ashr_i32 s13, s12, 31
	s_lshl_b64 s[8:9], s[8:9], 2
	s_add_u32 s14, s18, s8
	s_addc_u32 s15, s19, s9
	s_lshl_b64 s[8:9], s[12:13], 2
	s_add_u32 s20, s14, s8
	s_addc_u32 s21, s15, s9
.LBB52_3:
	s_load_dwordx4 s[12:15], s[4:5], 0x0
	s_load_dword s8, s[4:5], 0x38
	s_mul_i32 s9, s16, s7
	s_mul_hi_u32 s18, s16, s6
	s_add_i32 s9, s18, s9
	s_waitcnt lgkmcnt(0)
	s_ashr_i32 s5, s14, 31
	s_mov_b32 s4, s14
	s_mul_i32 s14, s17, s6
	s_add_i32 s17, s9, s14
	s_mul_i32 s16, s16, s6
	s_lshl_b64 s[16:17], s[16:17], 3
	s_add_u32 s9, s12, s16
	s_addc_u32 s12, s13, s17
	s_lshl_b64 s[4:5], s[4:5], 3
	s_add_u32 s4, s9, s4
	s_addc_u32 s5, s12, s5
	s_add_i32 s9, s15, s15
	v_add_u32_e32 v3, s9, v0
	v_ashrrev_i32_e32 v4, 31, v3
	v_lshlrev_b64 v[1:2], 3, v[3:4]
	v_add_u32_e32 v5, s15, v3
	v_mov_b32_e32 v4, s5
	v_add_co_u32_e32 v1, vcc, s4, v1
	v_ashrrev_i32_e32 v6, 31, v5
	v_addc_co_u32_e32 v2, vcc, v4, v2, vcc
	v_lshlrev_b64 v[3:4], 3, v[5:6]
	v_add_u32_e32 v7, s15, v5
	v_mov_b32_e32 v6, s5
	v_add_co_u32_e32 v3, vcc, s4, v3
	v_ashrrev_i32_e32 v8, 31, v7
	v_addc_co_u32_e32 v4, vcc, v6, v4, vcc
	;; [unrolled: 6-line block ×8, first 2 shown]
	v_lshlrev_b64 v[17:18], 3, v[19:20]
	v_mov_b32_e32 v21, s5
	v_add_co_u32_e32 v17, vcc, s4, v17
	v_addc_co_u32_e32 v18, vcc, v21, v18, vcc
	v_add_u32_e32 v21, s15, v19
	v_ashrrev_i32_e32 v22, 31, v21
	v_lshlrev_b64 v[19:20], 3, v[21:22]
	v_mov_b32_e32 v23, s5
	v_add_co_u32_e32 v19, vcc, s4, v19
	v_addc_co_u32_e32 v20, vcc, v23, v20, vcc
	v_add_u32_e32 v23, s15, v21
	v_ashrrev_i32_e32 v24, 31, v23
	;; [unrolled: 6-line block ×36, first 2 shown]
	v_lshlrev_b32_e32 v109, 3, v0
	v_lshlrev_b64 v[89:90], 3, v[91:92]
	v_mov_b32_e32 v92, s5
	v_add_co_u32_e32 v95, vcc, s4, v109
	s_ashr_i32 s13, s15, 31
	s_mov_b32 s12, s15
	v_addc_co_u32_e32 v96, vcc, 0, v92, vcc
	s_lshl_b64 s[12:13], s[12:13], 3
	v_mov_b32_e32 v92, s13
	v_add_co_u32_e32 v99, vcc, s12, v95
	v_addc_co_u32_e32 v100, vcc, v96, v92, vcc
	global_load_dwordx2 v[107:108], v109, s[4:5]
	global_load_dwordx2 v[110:111], v[99:100], off
	s_nop 0
	buffer_store_dword v1, off, s[0:3], 0 offset:424 ; 4-byte Folded Spill
	s_nop 0
	buffer_store_dword v2, off, s[0:3], 0 offset:428 ; 4-byte Folded Spill
	v_mov_b32_e32 v93, s5
	v_add_co_u32_e32 v89, vcc, s4, v89
	v_addc_co_u32_e32 v90, vcc, v93, v90, vcc
	v_add_u32_e32 v93, s15, v91
	v_ashrrev_i32_e32 v94, 31, v93
	v_lshlrev_b64 v[91:92], 3, v[93:94]
	v_mov_b32_e32 v97, s5
	v_add_co_u32_e32 v91, vcc, s4, v91
	v_addc_co_u32_e32 v92, vcc, v97, v92, vcc
	v_add_u32_e32 v97, s15, v93
	v_ashrrev_i32_e32 v98, 31, v97
	v_lshlrev_b64 v[93:94], 3, v[97:98]
	;; [unrolled: 6-line block ×6, first 2 shown]
	v_mov_b32_e32 v162, s5
	v_add_co_u32_e32 v105, vcc, s4, v105
	v_addc_co_u32_e32 v106, vcc, v162, v106, vcc
	s_bitcmp0_b32 s8, 0
	s_mov_b64 s[8:9], -1
	global_load_dwordx2 v[112:113], v[1:2], off
	s_nop 0
	buffer_store_dword v3, off, s[0:3], 0 offset:432 ; 4-byte Folded Spill
	s_nop 0
	buffer_store_dword v4, off, s[0:3], 0 offset:436 ; 4-byte Folded Spill
	global_load_dwordx2 v[114:115], v[3:4], off
	s_nop 0
	buffer_store_dword v5, off, s[0:3], 0 offset:440 ; 4-byte Folded Spill
	s_nop 0
	buffer_store_dword v6, off, s[0:3], 0 offset:444 ; 4-byte Folded Spill
	global_load_dwordx2 v[116:117], v[5:6], off
	s_nop 0
	buffer_store_dword v7, off, s[0:3], 0 offset:448 ; 4-byte Folded Spill
	s_nop 0
	buffer_store_dword v8, off, s[0:3], 0 offset:452 ; 4-byte Folded Spill
	global_load_dwordx2 v[118:119], v[7:8], off
	s_nop 0
	buffer_store_dword v9, off, s[0:3], 0 offset:456 ; 4-byte Folded Spill
	s_nop 0
	buffer_store_dword v10, off, s[0:3], 0 offset:460 ; 4-byte Folded Spill
	global_load_dwordx2 v[120:121], v[9:10], off
	s_nop 0
	buffer_store_dword v11, off, s[0:3], 0 offset:464 ; 4-byte Folded Spill
	s_nop 0
	buffer_store_dword v12, off, s[0:3], 0 offset:468 ; 4-byte Folded Spill
	global_load_dwordx2 v[122:123], v[11:12], off
	s_nop 0
	buffer_store_dword v13, off, s[0:3], 0 offset:472 ; 4-byte Folded Spill
	s_nop 0
	buffer_store_dword v14, off, s[0:3], 0 offset:476 ; 4-byte Folded Spill
	global_load_dwordx2 v[124:125], v[13:14], off
	s_nop 0
	buffer_store_dword v15, off, s[0:3], 0 offset:480 ; 4-byte Folded Spill
	s_nop 0
	buffer_store_dword v16, off, s[0:3], 0 offset:484 ; 4-byte Folded Spill
	global_load_dwordx2 v[126:127], v[15:16], off
	s_nop 0
	buffer_store_dword v17, off, s[0:3], 0 offset:488 ; 4-byte Folded Spill
	s_nop 0
	buffer_store_dword v18, off, s[0:3], 0 offset:492 ; 4-byte Folded Spill
	global_load_dwordx2 v[128:129], v[17:18], off
	s_nop 0
	buffer_store_dword v19, off, s[0:3], 0 offset:496 ; 4-byte Folded Spill
	s_nop 0
	buffer_store_dword v20, off, s[0:3], 0 offset:500 ; 4-byte Folded Spill
	global_load_dwordx2 v[130:131], v[19:20], off
	s_nop 0
	buffer_store_dword v21, off, s[0:3], 0 offset:504 ; 4-byte Folded Spill
	s_nop 0
	buffer_store_dword v22, off, s[0:3], 0 offset:508 ; 4-byte Folded Spill
	global_load_dwordx2 v[132:133], v[21:22], off
	s_nop 0
	buffer_store_dword v23, off, s[0:3], 0 offset:512 ; 4-byte Folded Spill
	s_nop 0
	buffer_store_dword v24, off, s[0:3], 0 offset:516 ; 4-byte Folded Spill
	global_load_dwordx2 v[134:135], v[23:24], off
	s_nop 0
	buffer_store_dword v25, off, s[0:3], 0 offset:520 ; 4-byte Folded Spill
	s_nop 0
	buffer_store_dword v26, off, s[0:3], 0 offset:524 ; 4-byte Folded Spill
	global_load_dwordx2 v[136:137], v[25:26], off
	s_nop 0
	buffer_store_dword v27, off, s[0:3], 0 offset:528 ; 4-byte Folded Spill
	s_nop 0
	buffer_store_dword v28, off, s[0:3], 0 offset:532 ; 4-byte Folded Spill
	global_load_dwordx2 v[138:139], v[27:28], off
	s_nop 0
	buffer_store_dword v29, off, s[0:3], 0 offset:536 ; 4-byte Folded Spill
	s_nop 0
	buffer_store_dword v30, off, s[0:3], 0 offset:540 ; 4-byte Folded Spill
	global_load_dwordx2 v[140:141], v[29:30], off
	s_nop 0
	buffer_store_dword v31, off, s[0:3], 0 offset:544 ; 4-byte Folded Spill
	s_nop 0
	buffer_store_dword v32, off, s[0:3], 0 offset:548 ; 4-byte Folded Spill
	global_load_dwordx2 v[142:143], v[31:32], off
	s_nop 0
	buffer_store_dword v33, off, s[0:3], 0 offset:552 ; 4-byte Folded Spill
	s_nop 0
	buffer_store_dword v34, off, s[0:3], 0 offset:556 ; 4-byte Folded Spill
	global_load_dwordx2 v[144:145], v[33:34], off
	s_nop 0
	buffer_store_dword v35, off, s[0:3], 0 offset:560 ; 4-byte Folded Spill
	s_nop 0
	buffer_store_dword v36, off, s[0:3], 0 offset:564 ; 4-byte Folded Spill
	global_load_dwordx2 v[146:147], v[35:36], off
	s_nop 0
	buffer_store_dword v37, off, s[0:3], 0 offset:568 ; 4-byte Folded Spill
	s_nop 0
	buffer_store_dword v38, off, s[0:3], 0 offset:572 ; 4-byte Folded Spill
	global_load_dwordx2 v[148:149], v[37:38], off
	s_nop 0
	buffer_store_dword v39, off, s[0:3], 0 offset:576 ; 4-byte Folded Spill
	s_nop 0
	buffer_store_dword v40, off, s[0:3], 0 offset:580 ; 4-byte Folded Spill
	global_load_dwordx2 v[150:151], v[39:40], off
	s_nop 0
	buffer_store_dword v41, off, s[0:3], 0 offset:584 ; 4-byte Folded Spill
	s_nop 0
	buffer_store_dword v42, off, s[0:3], 0 offset:588 ; 4-byte Folded Spill
	global_load_dwordx2 v[152:153], v[41:42], off
	s_nop 0
	buffer_store_dword v43, off, s[0:3], 0 offset:592 ; 4-byte Folded Spill
	s_nop 0
	buffer_store_dword v44, off, s[0:3], 0 offset:596 ; 4-byte Folded Spill
	global_load_dwordx2 v[154:155], v[43:44], off
	s_nop 0
	buffer_store_dword v45, off, s[0:3], 0 offset:600 ; 4-byte Folded Spill
	s_nop 0
	buffer_store_dword v46, off, s[0:3], 0 offset:604 ; 4-byte Folded Spill
	global_load_dwordx2 v[156:157], v[45:46], off
	s_nop 0
	buffer_store_dword v47, off, s[0:3], 0 offset:608 ; 4-byte Folded Spill
	s_nop 0
	buffer_store_dword v48, off, s[0:3], 0 offset:612 ; 4-byte Folded Spill
	global_load_dwordx2 v[158:159], v[47:48], off
	s_nop 0
	buffer_store_dword v49, off, s[0:3], 0 offset:616 ; 4-byte Folded Spill
	s_nop 0
	buffer_store_dword v50, off, s[0:3], 0 offset:620 ; 4-byte Folded Spill
	global_load_dwordx2 v[160:161], v[49:50], off
	s_nop 0
	buffer_store_dword v51, off, s[0:3], 0 offset:624 ; 4-byte Folded Spill
	s_nop 0
	buffer_store_dword v52, off, s[0:3], 0 offset:628 ; 4-byte Folded Spill
	global_load_dwordx2 v[162:163], v[51:52], off
	s_waitcnt vmcnt(62)
	buffer_store_dword v108, off, s[0:3], 0 offset:4
	buffer_store_dword v53, off, s[0:3], 0 offset:632 ; 4-byte Folded Spill
	s_nop 0
	buffer_store_dword v54, off, s[0:3], 0 offset:636 ; 4-byte Folded Spill
	global_load_dwordx2 v[164:165], v[53:54], off
	s_nop 0
	buffer_store_dword v107, off, s[0:3], 0
	buffer_store_dword v55, off, s[0:3], 0 offset:640 ; 4-byte Folded Spill
	s_nop 0
	buffer_store_dword v56, off, s[0:3], 0 offset:644 ; 4-byte Folded Spill
	global_load_dwordx2 v[107:108], v[55:56], off
	s_nop 0
	buffer_store_dword v111, off, s[0:3], 0 offset:12
	buffer_store_dword v57, off, s[0:3], 0 offset:648 ; 4-byte Folded Spill
	s_nop 0
	buffer_store_dword v58, off, s[0:3], 0 offset:652 ; 4-byte Folded Spill
	global_load_dwordx2 v[166:167], v[57:58], off
	s_nop 0
	buffer_store_dword v110, off, s[0:3], 0 offset:8
	;; [unrolled: 6-line block ×3, first 2 shown]
	buffer_store_dword v61, off, s[0:3], 0 offset:664 ; 4-byte Folded Spill
	s_nop 0
	buffer_store_dword v62, off, s[0:3], 0 offset:668 ; 4-byte Folded Spill
	buffer_store_dword v112, off, s[0:3], 0 offset:16
	global_load_dwordx2 v[112:113], v[63:64], off
	s_nop 0
	global_load_dwordx2 v[170:171], v[65:66], off
	global_load_dwordx2 v[172:173], v[69:70], off
	;; [unrolled: 1-line block ×11, first 2 shown]
	s_nop 0
	buffer_store_dword v115, off, s[0:3], 0 offset:28
	buffer_store_dword v114, off, s[0:3], 0 offset:24
	global_load_dwordx2 v[114:115], v[67:68], off
	s_nop 0
	buffer_store_dword v117, off, s[0:3], 0 offset:36
	buffer_store_dword v116, off, s[0:3], 0 offset:32
	global_load_dwordx2 v[116:117], v[71:72], off
	;; [unrolled: 4-line block ×4, first 2 shown]
	s_waitcnt vmcnt(62)
	buffer_store_dword v123, off, s[0:3], 0 offset:60
	buffer_store_dword v122, off, s[0:3], 0 offset:56
	global_load_dwordx2 v[122:123], v[83:84], off
	s_nop 0
	buffer_store_dword v125, off, s[0:3], 0 offset:68
	buffer_store_dword v124, off, s[0:3], 0 offset:64
	global_load_dwordx2 v[124:125], v[87:88], off
	s_nop 0
	;; [unrolled: 4-line block ×5, first 2 shown]
	buffer_store_dword v132, off, s[0:3], 0 offset:96
	buffer_store_dword v133, off, s[0:3], 0 offset:100
	;; [unrolled: 1-line block ×20, first 2 shown]
	s_waitcnt vmcnt(62)
	buffer_store_dword v152, off, s[0:3], 0 offset:176
	buffer_store_dword v153, off, s[0:3], 0 offset:180
	;; [unrolled: 1-line block ×20, first 2 shown]
	s_waitcnt vmcnt(62)
	buffer_store_dword v169, off, s[0:3], 0 offset:260
	buffer_store_dword v168, off, s[0:3], 0 offset:256
	;; [unrolled: 1-line block ×10, first 2 shown]
	s_waitcnt vmcnt(62)
	buffer_store_dword v117, off, s[0:3], 0 offset:300
	buffer_store_dword v116, off, s[0:3], 0 offset:296
	;; [unrolled: 1-line block ×16, first 2 shown]
	s_waitcnt vmcnt(62)
	buffer_store_dword v124, off, s[0:3], 0 offset:360
	buffer_store_dword v125, off, s[0:3], 0 offset:364
	;; [unrolled: 1-line block ×16, first 2 shown]
	s_cbranch_scc1 .LBB52_224
; %bb.4:
	v_cmp_eq_u32_e64 s[4:5], 0, v0
	s_and_saveexec_b64 s[8:9], s[4:5]
; %bb.5:
	v_mov_b32_e32 v107, 0
	ds_write_b32 v107, v107 offset:424
; %bb.6:
	s_or_b64 exec, exec, s[8:9]
	v_mov_b32_e32 v107, 0
	v_lshl_add_u32 v111, v0, 3, v107
	s_waitcnt lgkmcnt(0)
	; wave barrier
	buffer_load_dword v107, v111, s[0:3], 0 offen
	buffer_load_dword v108, v111, s[0:3], 0 offen offset:4
	s_waitcnt vmcnt(1)
	v_cmp_eq_f32_e32 vcc, 0, v107
	s_waitcnt vmcnt(0)
	v_cmp_eq_f32_e64 s[8:9], 0, v108
	s_and_b64 s[8:9], vcc, s[8:9]
	s_and_saveexec_b64 s[12:13], s[8:9]
	s_cbranch_execz .LBB52_10
; %bb.7:
	v_mov_b32_e32 v107, 0
	ds_read_b32 v110, v107 offset:424
	v_add_u32_e32 v108, 1, v0
	s_waitcnt lgkmcnt(0)
	v_readfirstlane_b32 s8, v110
	s_cmp_eq_u32 s8, 0
	s_cselect_b64 s[14:15], -1, 0
	v_cmp_gt_i32_e32 vcc, s8, v108
	s_or_b64 s[14:15], s[14:15], vcc
	s_and_b64 exec, exec, s[14:15]
	s_cbranch_execz .LBB52_10
; %bb.8:
	s_mov_b64 s[14:15], 0
	v_mov_b32_e32 v110, s8
.LBB52_9:                               ; =>This Inner Loop Header: Depth=1
	ds_cmpst_rtn_b32 v110, v107, v110, v108 offset:424
	s_waitcnt lgkmcnt(0)
	v_cmp_ne_u32_e32 vcc, 0, v110
	v_cmp_le_i32_e64 s[8:9], v110, v108
	s_and_b64 s[8:9], vcc, s[8:9]
	s_and_b64 s[8:9], exec, s[8:9]
	s_or_b64 s[14:15], s[8:9], s[14:15]
	s_andn2_b64 exec, exec, s[14:15]
	s_cbranch_execnz .LBB52_9
.LBB52_10:
	s_or_b64 exec, exec, s[12:13]
	v_mov_b32_e32 v108, 0
	; wave barrier
	ds_read_b32 v107, v108 offset:424
	s_and_saveexec_b64 s[8:9], s[4:5]
	s_cbranch_execz .LBB52_12
; %bb.11:
	s_lshl_b64 s[12:13], s[6:7], 2
	s_add_u32 s12, s10, s12
	s_addc_u32 s13, s11, s13
	s_waitcnt lgkmcnt(0)
	global_store_dword v108, v107, s[12:13]
.LBB52_12:
	s_or_b64 exec, exec, s[8:9]
	s_waitcnt lgkmcnt(0)
	v_cmp_ne_u32_e32 vcc, 0, v107
	s_mov_b64 s[8:9], 0
	s_cbranch_vccnz .LBB52_224
; %bb.13:
	buffer_load_dword v108, v111, s[0:3], 0 offen
	buffer_load_dword v110, v111, s[0:3], 0 offen offset:4
                                        ; implicit-def: $vgpr113
                                        ; implicit-def: $vgpr112
                                        ; implicit-def: $vgpr107
	s_waitcnt vmcnt(0)
	v_cmp_ngt_f32_e64 s[8:9], |v108|, |v110|
	s_and_saveexec_b64 s[12:13], s[8:9]
	s_xor_b64 s[8:9], exec, s[12:13]
	s_cbranch_execz .LBB52_15
; %bb.14:
	v_div_scale_f32 v107, s[12:13], v110, v110, v108
	v_div_scale_f32 v112, vcc, v108, v110, v108
	v_rcp_f32_e32 v113, v107
	v_fma_f32 v114, -v107, v113, 1.0
	v_fmac_f32_e32 v113, v114, v113
	v_mul_f32_e32 v114, v112, v113
	v_fma_f32 v115, -v107, v114, v112
	v_fmac_f32_e32 v114, v115, v113
	v_fma_f32 v107, -v107, v114, v112
	v_div_fmas_f32 v107, v107, v113, v114
	v_div_fixup_f32 v107, v107, v110, v108
	v_fmac_f32_e32 v110, v108, v107
	v_div_scale_f32 v108, s[12:13], v110, v110, 1.0
	v_div_scale_f32 v112, vcc, 1.0, v110, 1.0
	v_rcp_f32_e32 v113, v108
	v_fma_f32 v114, -v108, v113, 1.0
	v_fmac_f32_e32 v113, v114, v113
	v_mul_f32_e32 v114, v112, v113
	v_fma_f32 v115, -v108, v114, v112
	v_fmac_f32_e32 v114, v115, v113
	v_fma_f32 v108, -v108, v114, v112
	v_div_fmas_f32 v108, v108, v113, v114
	v_div_fixup_f32 v108, v108, v110, 1.0
	v_mul_f32_e32 v113, v107, v108
	v_xor_b32_e32 v112, 0x80000000, v108
	v_xor_b32_e32 v107, 0x80000000, v113
                                        ; implicit-def: $vgpr108
                                        ; implicit-def: $vgpr110
.LBB52_15:
	s_andn2_saveexec_b64 s[8:9], s[8:9]
	s_cbranch_execz .LBB52_17
; %bb.16:
	v_div_scale_f32 v107, s[12:13], v108, v108, v110
	v_div_scale_f32 v112, vcc, v110, v108, v110
	v_rcp_f32_e32 v113, v107
	v_fma_f32 v114, -v107, v113, 1.0
	v_fmac_f32_e32 v113, v114, v113
	v_mul_f32_e32 v114, v112, v113
	v_fma_f32 v115, -v107, v114, v112
	v_fmac_f32_e32 v114, v115, v113
	v_fma_f32 v107, -v107, v114, v112
	v_div_fmas_f32 v107, v107, v113, v114
	v_div_fixup_f32 v112, v107, v108, v110
	v_fmac_f32_e32 v108, v110, v112
	v_div_scale_f32 v107, s[12:13], v108, v108, 1.0
	v_div_scale_f32 v110, vcc, 1.0, v108, 1.0
	v_rcp_f32_e32 v113, v107
	v_fma_f32 v114, -v107, v113, 1.0
	v_fmac_f32_e32 v113, v114, v113
	v_mul_f32_e32 v114, v110, v113
	v_fma_f32 v115, -v107, v114, v110
	v_fmac_f32_e32 v114, v115, v113
	v_fma_f32 v107, -v107, v114, v110
	v_div_fmas_f32 v107, v107, v113, v114
	v_div_fixup_f32 v113, v107, v108, 1.0
	v_xor_b32_e32 v107, 0x80000000, v113
	v_mul_f32_e64 v112, v112, -v113
.LBB52_17:
	s_or_b64 exec, exec, s[8:9]
	buffer_store_dword v113, v111, s[0:3], 0 offen
	buffer_store_dword v112, v111, s[0:3], 0 offen offset:4
	buffer_load_dword v114, off, s[0:3], 0 offset:12
	s_nop 0
	buffer_load_dword v113, off, s[0:3], 0 offset:8
	v_xor_b32_e32 v108, 0x80000000, v112
	v_add_u32_e32 v110, 0x1b0, v109
	s_waitcnt vmcnt(0)
	ds_write2_b64 v109, v[107:108], v[113:114] offset1:54
	s_waitcnt lgkmcnt(0)
	; wave barrier
	s_and_saveexec_b64 s[8:9], s[4:5]
	s_cbranch_execz .LBB52_19
; %bb.18:
	buffer_load_dword v114, v111, s[0:3], 0 offen offset:4
	buffer_load_dword v115, v111, s[0:3], 0 offen
	ds_read_b64 v[107:108], v110
	v_mov_b32_e32 v112, 0
	ds_read_b64 v[112:113], v112 offset:8
	s_waitcnt vmcnt(1) lgkmcnt(1)
	v_mul_f32_e32 v116, v108, v114
	v_mul_f32_e32 v114, v107, v114
	s_waitcnt vmcnt(0)
	v_fmac_f32_e32 v114, v108, v115
	v_fma_f32 v107, v107, v115, -v116
	v_add_f32_e32 v108, 0, v114
	v_add_f32_e32 v107, 0, v107
	s_waitcnt lgkmcnt(0)
	v_mul_f32_e32 v114, v108, v113
	v_mul_f32_e32 v113, v107, v113
	v_fma_f32 v107, v107, v112, -v114
	v_fmac_f32_e32 v113, v108, v112
	buffer_store_dword v107, off, s[0:3], 0 offset:8
	buffer_store_dword v113, off, s[0:3], 0 offset:12
.LBB52_19:
	s_or_b64 exec, exec, s[8:9]
	; wave barrier
	buffer_load_dword v107, off, s[0:3], 0 offset:16
	buffer_load_dword v108, off, s[0:3], 0 offset:20
	v_cmp_gt_u32_e32 vcc, 2, v0
	s_waitcnt vmcnt(0)
	ds_write_b64 v110, v[107:108]
	s_waitcnt lgkmcnt(0)
	; wave barrier
	s_and_saveexec_b64 s[8:9], vcc
	s_cbranch_execz .LBB52_23
; %bb.20:
	buffer_load_dword v112, v111, s[0:3], 0 offen offset:4
	buffer_load_dword v113, v111, s[0:3], 0 offen
	ds_read_b64 v[107:108], v110
	s_waitcnt vmcnt(1) lgkmcnt(0)
	v_mul_f32_e32 v111, v108, v112
	v_mul_f32_e32 v112, v107, v112
	s_waitcnt vmcnt(0)
	v_fma_f32 v107, v107, v113, -v111
	v_fmac_f32_e32 v112, v108, v113
	v_add_f32_e32 v108, 0, v107
	v_add_f32_e32 v107, 0, v112
	s_and_saveexec_b64 s[12:13], s[4:5]
	s_cbranch_execz .LBB52_22
; %bb.21:
	buffer_load_dword v113, off, s[0:3], 0 offset:12
	buffer_load_dword v114, off, s[0:3], 0 offset:8
	v_mov_b32_e32 v111, 0
	ds_read_b64 v[111:112], v111 offset:440
	s_waitcnt vmcnt(1) lgkmcnt(0)
	v_mul_f32_e32 v115, v111, v113
	v_mul_f32_e32 v113, v112, v113
	s_waitcnt vmcnt(0)
	v_fmac_f32_e32 v115, v112, v114
	v_fma_f32 v111, v111, v114, -v113
	v_add_f32_e32 v107, v107, v115
	v_add_f32_e32 v108, v108, v111
.LBB52_22:
	s_or_b64 exec, exec, s[12:13]
	v_mov_b32_e32 v111, 0
	ds_read_b64 v[111:112], v111 offset:16
	s_waitcnt lgkmcnt(0)
	v_mul_f32_e32 v113, v107, v112
	v_mul_f32_e32 v112, v108, v112
	v_fma_f32 v108, v108, v111, -v113
	v_fmac_f32_e32 v112, v107, v111
	buffer_store_dword v108, off, s[0:3], 0 offset:16
	buffer_store_dword v112, off, s[0:3], 0 offset:20
.LBB52_23:
	s_or_b64 exec, exec, s[8:9]
	; wave barrier
	buffer_load_dword v107, off, s[0:3], 0 offset:24
	buffer_load_dword v108, off, s[0:3], 0 offset:28
	v_cmp_gt_u32_e32 vcc, 3, v0
	s_waitcnt vmcnt(0)
	ds_write_b64 v110, v[107:108]
	v_add_u32_e32 v107, -1, v0
	s_waitcnt lgkmcnt(0)
	; wave barrier
	s_and_saveexec_b64 s[4:5], vcc
	s_cbranch_execz .LBB52_27
; %bb.24:
	v_add_u32_e32 v111, -1, v0
	v_add_u32_e32 v112, 0x1b0, v109
	v_mov_b32_e32 v113, v109
	v_mov_b32_e32 v108, 0
	s_mov_b64 s[8:9], 0
	v_mov_b32_e32 v114, 0
.LBB52_25:                              ; =>This Inner Loop Header: Depth=1
	buffer_load_dword v117, v113, s[0:3], 0 offen offset:4
	buffer_load_dword v118, v113, s[0:3], 0 offen
	ds_read_b64 v[115:116], v112
	v_add_u32_e32 v111, 1, v111
	v_cmp_lt_u32_e32 vcc, 1, v111
	v_add_u32_e32 v112, 8, v112
	v_add_u32_e32 v113, 8, v113
	s_or_b64 s[8:9], vcc, s[8:9]
	s_waitcnt vmcnt(1) lgkmcnt(0)
	v_mul_f32_e32 v119, v116, v117
	v_mul_f32_e32 v117, v115, v117
	s_waitcnt vmcnt(0)
	v_fma_f32 v115, v115, v118, -v119
	v_fmac_f32_e32 v117, v116, v118
	v_add_f32_e32 v114, v114, v115
	v_add_f32_e32 v108, v108, v117
	s_andn2_b64 exec, exec, s[8:9]
	s_cbranch_execnz .LBB52_25
; %bb.26:
	s_or_b64 exec, exec, s[8:9]
	v_mov_b32_e32 v111, 0
	ds_read_b64 v[111:112], v111 offset:24
	s_waitcnt lgkmcnt(0)
	v_mul_f32_e32 v113, v108, v112
	v_mul_f32_e32 v112, v114, v112
	v_fma_f32 v113, v114, v111, -v113
	v_fmac_f32_e32 v112, v108, v111
	buffer_store_dword v113, off, s[0:3], 0 offset:24
	buffer_store_dword v112, off, s[0:3], 0 offset:28
.LBB52_27:
	s_or_b64 exec, exec, s[4:5]
	; wave barrier
	buffer_load_dword v111, off, s[0:3], 0 offset:32
	buffer_load_dword v112, off, s[0:3], 0 offset:36
	v_cmp_gt_u32_e32 vcc, 4, v0
	s_waitcnt vmcnt(0)
	ds_write_b64 v110, v[111:112]
	s_waitcnt lgkmcnt(0)
	; wave barrier
	s_and_saveexec_b64 s[4:5], vcc
	s_cbranch_execz .LBB52_31
; %bb.28:
	v_add_u32_e32 v111, -1, v0
	v_add_u32_e32 v112, 0x1b0, v109
	v_mov_b32_e32 v113, v109
	v_mov_b32_e32 v108, 0
	s_mov_b64 s[8:9], 0
	v_mov_b32_e32 v114, 0
.LBB52_29:                              ; =>This Inner Loop Header: Depth=1
	buffer_load_dword v117, v113, s[0:3], 0 offen offset:4
	buffer_load_dword v118, v113, s[0:3], 0 offen
	ds_read_b64 v[115:116], v112
	v_add_u32_e32 v111, 1, v111
	v_cmp_lt_u32_e32 vcc, 2, v111
	v_add_u32_e32 v112, 8, v112
	v_add_u32_e32 v113, 8, v113
	s_or_b64 s[8:9], vcc, s[8:9]
	s_waitcnt vmcnt(1) lgkmcnt(0)
	v_mul_f32_e32 v119, v116, v117
	v_mul_f32_e32 v117, v115, v117
	s_waitcnt vmcnt(0)
	v_fma_f32 v115, v115, v118, -v119
	v_fmac_f32_e32 v117, v116, v118
	v_add_f32_e32 v114, v114, v115
	v_add_f32_e32 v108, v108, v117
	s_andn2_b64 exec, exec, s[8:9]
	s_cbranch_execnz .LBB52_29
; %bb.30:
	s_or_b64 exec, exec, s[8:9]
	v_mov_b32_e32 v111, 0
	ds_read_b64 v[111:112], v111 offset:32
	s_waitcnt lgkmcnt(0)
	v_mul_f32_e32 v113, v108, v112
	v_mul_f32_e32 v112, v114, v112
	v_fma_f32 v113, v114, v111, -v113
	v_fmac_f32_e32 v112, v108, v111
	buffer_store_dword v113, off, s[0:3], 0 offset:32
	buffer_store_dword v112, off, s[0:3], 0 offset:36
.LBB52_31:
	s_or_b64 exec, exec, s[4:5]
	; wave barrier
	buffer_load_dword v111, off, s[0:3], 0 offset:40
	buffer_load_dword v112, off, s[0:3], 0 offset:44
	v_cmp_gt_u32_e32 vcc, 5, v0
	s_waitcnt vmcnt(0)
	ds_write_b64 v110, v[111:112]
	;; [unrolled: 49-line block ×19, first 2 shown]
	s_waitcnt lgkmcnt(0)
	; wave barrier
	s_and_saveexec_b64 s[4:5], vcc
	s_cbranch_execz .LBB52_103
; %bb.100:
	v_add_u32_e32 v111, -1, v0
	v_add_u32_e32 v112, 0x1b0, v109
	v_mov_b32_e32 v113, v109
	v_mov_b32_e32 v108, 0
	s_mov_b64 s[8:9], 0
	v_mov_b32_e32 v114, 0
.LBB52_101:                             ; =>This Inner Loop Header: Depth=1
	buffer_load_dword v117, v113, s[0:3], 0 offen offset:4
	buffer_load_dword v118, v113, s[0:3], 0 offen
	ds_read_b64 v[115:116], v112
	v_add_u32_e32 v111, 1, v111
	v_cmp_lt_u32_e32 vcc, 20, v111
	v_add_u32_e32 v112, 8, v112
	v_add_u32_e32 v113, 8, v113
	s_or_b64 s[8:9], vcc, s[8:9]
	s_waitcnt vmcnt(1) lgkmcnt(0)
	v_mul_f32_e32 v119, v116, v117
	v_mul_f32_e32 v117, v115, v117
	s_waitcnt vmcnt(0)
	v_fma_f32 v115, v115, v118, -v119
	v_fmac_f32_e32 v117, v116, v118
	v_add_f32_e32 v114, v114, v115
	v_add_f32_e32 v108, v108, v117
	s_andn2_b64 exec, exec, s[8:9]
	s_cbranch_execnz .LBB52_101
; %bb.102:
	s_or_b64 exec, exec, s[8:9]
	v_mov_b32_e32 v111, 0
	ds_read_b64 v[111:112], v111 offset:176
	s_waitcnt lgkmcnt(0)
	v_mul_f32_e32 v113, v108, v112
	v_mul_f32_e32 v112, v114, v112
	v_fma_f32 v113, v114, v111, -v113
	v_fmac_f32_e32 v112, v108, v111
	buffer_store_dword v113, off, s[0:3], 0 offset:176
	buffer_store_dword v112, off, s[0:3], 0 offset:180
.LBB52_103:
	s_or_b64 exec, exec, s[4:5]
	; wave barrier
	buffer_load_dword v111, off, s[0:3], 0 offset:184
	buffer_load_dword v112, off, s[0:3], 0 offset:188
	v_cmp_gt_u32_e32 vcc, 23, v0
	s_waitcnt vmcnt(0)
	ds_write_b64 v110, v[111:112]
	s_waitcnt lgkmcnt(0)
	; wave barrier
	s_and_saveexec_b64 s[4:5], vcc
	s_cbranch_execz .LBB52_107
; %bb.104:
	v_add_u32_e32 v111, -1, v0
	v_add_u32_e32 v112, 0x1b0, v109
	v_mov_b32_e32 v113, v109
	v_mov_b32_e32 v108, 0
	s_mov_b64 s[8:9], 0
	v_mov_b32_e32 v114, 0
.LBB52_105:                             ; =>This Inner Loop Header: Depth=1
	buffer_load_dword v117, v113, s[0:3], 0 offen offset:4
	buffer_load_dword v118, v113, s[0:3], 0 offen
	ds_read_b64 v[115:116], v112
	v_add_u32_e32 v111, 1, v111
	v_cmp_lt_u32_e32 vcc, 21, v111
	v_add_u32_e32 v112, 8, v112
	v_add_u32_e32 v113, 8, v113
	s_or_b64 s[8:9], vcc, s[8:9]
	s_waitcnt vmcnt(1) lgkmcnt(0)
	v_mul_f32_e32 v119, v116, v117
	v_mul_f32_e32 v117, v115, v117
	s_waitcnt vmcnt(0)
	v_fma_f32 v115, v115, v118, -v119
	v_fmac_f32_e32 v117, v116, v118
	v_add_f32_e32 v114, v114, v115
	v_add_f32_e32 v108, v108, v117
	s_andn2_b64 exec, exec, s[8:9]
	s_cbranch_execnz .LBB52_105
; %bb.106:
	s_or_b64 exec, exec, s[8:9]
	v_mov_b32_e32 v111, 0
	ds_read_b64 v[111:112], v111 offset:184
	s_waitcnt lgkmcnt(0)
	v_mul_f32_e32 v113, v108, v112
	v_mul_f32_e32 v112, v114, v112
	v_fma_f32 v113, v114, v111, -v113
	v_fmac_f32_e32 v112, v108, v111
	buffer_store_dword v113, off, s[0:3], 0 offset:184
	buffer_store_dword v112, off, s[0:3], 0 offset:188
.LBB52_107:
	s_or_b64 exec, exec, s[4:5]
	; wave barrier
	buffer_load_dword v111, off, s[0:3], 0 offset:192
	buffer_load_dword v112, off, s[0:3], 0 offset:196
	v_cmp_gt_u32_e32 vcc, 24, v0
	s_waitcnt vmcnt(0)
	ds_write_b64 v110, v[111:112]
	;; [unrolled: 49-line block ×29, first 2 shown]
	s_waitcnt lgkmcnt(0)
	; wave barrier
	s_and_saveexec_b64 s[4:5], vcc
	s_cbranch_execz .LBB52_219
; %bb.216:
	v_add_u32_e32 v111, -1, v0
	v_add_u32_e32 v112, 0x1b0, v109
	v_mov_b32_e32 v113, v109
	v_mov_b32_e32 v108, 0
	s_mov_b64 s[8:9], 0
	v_mov_b32_e32 v114, 0
.LBB52_217:                             ; =>This Inner Loop Header: Depth=1
	buffer_load_dword v117, v113, s[0:3], 0 offen offset:4
	buffer_load_dword v118, v113, s[0:3], 0 offen
	ds_read_b64 v[115:116], v112
	v_add_u32_e32 v111, 1, v111
	v_cmp_lt_u32_e32 vcc, 49, v111
	v_add_u32_e32 v112, 8, v112
	v_add_u32_e32 v113, 8, v113
	s_or_b64 s[8:9], vcc, s[8:9]
	s_waitcnt vmcnt(1) lgkmcnt(0)
	v_mul_f32_e32 v119, v116, v117
	v_mul_f32_e32 v117, v115, v117
	s_waitcnt vmcnt(0)
	v_fma_f32 v115, v115, v118, -v119
	v_fmac_f32_e32 v117, v116, v118
	v_add_f32_e32 v114, v114, v115
	v_add_f32_e32 v108, v108, v117
	s_andn2_b64 exec, exec, s[8:9]
	s_cbranch_execnz .LBB52_217
; %bb.218:
	s_or_b64 exec, exec, s[8:9]
	v_mov_b32_e32 v111, 0
	ds_read_b64 v[111:112], v111 offset:408
	s_waitcnt lgkmcnt(0)
	v_mul_f32_e32 v113, v108, v112
	v_mul_f32_e32 v112, v114, v112
	v_fma_f32 v113, v114, v111, -v113
	v_fmac_f32_e32 v112, v108, v111
	buffer_store_dword v113, off, s[0:3], 0 offset:408
	buffer_store_dword v112, off, s[0:3], 0 offset:412
.LBB52_219:
	s_or_b64 exec, exec, s[4:5]
	; wave barrier
	buffer_load_dword v111, off, s[0:3], 0 offset:416
	buffer_load_dword v112, off, s[0:3], 0 offset:420
	v_cmp_ne_u32_e32 vcc, 52, v0
	s_waitcnt vmcnt(0)
	ds_write_b64 v110, v[111:112]
	s_waitcnt lgkmcnt(0)
	; wave barrier
	s_and_saveexec_b64 s[4:5], vcc
	s_cbranch_execz .LBB52_223
; %bb.220:
	v_add_u32_e32 v110, 0x1b0, v109
	v_mov_b32_e32 v108, 0
	s_mov_b64 s[8:9], 0
	v_mov_b32_e32 v111, 0
.LBB52_221:                             ; =>This Inner Loop Header: Depth=1
	buffer_load_dword v114, v109, s[0:3], 0 offen offset:4
	buffer_load_dword v115, v109, s[0:3], 0 offen
	ds_read_b64 v[112:113], v110
	v_add_u32_e32 v107, 1, v107
	v_cmp_lt_u32_e32 vcc, 50, v107
	v_add_u32_e32 v110, 8, v110
	v_add_u32_e32 v109, 8, v109
	s_or_b64 s[8:9], vcc, s[8:9]
	s_waitcnt vmcnt(1) lgkmcnt(0)
	v_mul_f32_e32 v116, v113, v114
	v_mul_f32_e32 v114, v112, v114
	s_waitcnt vmcnt(0)
	v_fma_f32 v112, v112, v115, -v116
	v_fmac_f32_e32 v114, v113, v115
	v_add_f32_e32 v111, v111, v112
	v_add_f32_e32 v108, v108, v114
	s_andn2_b64 exec, exec, s[8:9]
	s_cbranch_execnz .LBB52_221
; %bb.222:
	s_or_b64 exec, exec, s[8:9]
	v_mov_b32_e32 v107, 0
	ds_read_b64 v[109:110], v107 offset:416
	s_waitcnt lgkmcnt(0)
	v_mul_f32_e32 v107, v108, v110
	v_mul_f32_e32 v110, v111, v110
	v_fma_f32 v107, v111, v109, -v107
	v_fmac_f32_e32 v110, v108, v109
	buffer_store_dword v107, off, s[0:3], 0 offset:416
	buffer_store_dword v110, off, s[0:3], 0 offset:420
.LBB52_223:
	s_or_b64 exec, exec, s[4:5]
	s_mov_b64 s[8:9], -1
	; wave barrier
.LBB52_224:
	s_and_b64 vcc, exec, s[8:9]
	s_cbranch_vccz .LBB52_226
; %bb.225:
	s_lshl_b64 s[4:5], s[6:7], 2
	s_add_u32 s4, s10, s4
	s_addc_u32 s5, s11, s5
	v_mov_b32_e32 v107, 0
	global_load_dword v107, v107, s[4:5]
	s_waitcnt vmcnt(0)
	v_cmp_ne_u32_e32 vcc, 0, v107
	s_cbranch_vccz .LBB52_227
.LBB52_226:
	s_endpgm
.LBB52_227:
	v_mov_b32_e32 v107, 0x1b0
	v_lshl_add_u32 v107, v0, 3, v107
	v_cmp_eq_u32_e32 vcc, 52, v0
	s_and_saveexec_b64 s[4:5], vcc
	s_cbranch_execz .LBB52_229
; %bb.228:
	buffer_load_dword v108, off, s[0:3], 0 offset:408
	buffer_load_dword v109, off, s[0:3], 0 offset:412
	v_mov_b32_e32 v110, 0
	buffer_store_dword v110, off, s[0:3], 0 offset:408
	buffer_store_dword v110, off, s[0:3], 0 offset:412
	s_waitcnt vmcnt(2)
	ds_write_b64 v107, v[108:109]
.LBB52_229:
	s_or_b64 exec, exec, s[4:5]
	s_waitcnt lgkmcnt(0)
	; wave barrier
	buffer_load_dword v111, off, s[0:3], 0 offset:420
	buffer_load_dword v112, off, s[0:3], 0 offset:416
	;; [unrolled: 1-line block ×4, first 2 shown]
	v_mov_b32_e32 v108, 0
	ds_read_b64 v[109:110], v108 offset:848
	v_cmp_lt_u32_e32 vcc, 50, v0
	s_waitcnt vmcnt(3) lgkmcnt(0)
	v_mul_f32_e32 v115, v109, v111
	v_mul_f32_e32 v111, v110, v111
	s_waitcnt vmcnt(2)
	v_fma_f32 v109, v109, v112, -v111
	v_fmac_f32_e32 v115, v110, v112
	v_add_f32_e32 v109, 0, v109
	v_add_f32_e32 v110, 0, v115
	s_waitcnt vmcnt(1)
	v_sub_f32_e32 v109, v113, v109
	s_waitcnt vmcnt(0)
	v_sub_f32_e32 v110, v114, v110
	buffer_store_dword v109, off, s[0:3], 0 offset:408
	buffer_store_dword v110, off, s[0:3], 0 offset:412
	s_and_saveexec_b64 s[4:5], vcc
	s_cbranch_execz .LBB52_231
; %bb.230:
	buffer_load_dword v109, off, s[0:3], 0 offset:400
	buffer_load_dword v110, off, s[0:3], 0 offset:404
	s_waitcnt vmcnt(0)
	ds_write_b64 v107, v[109:110]
	buffer_store_dword v108, off, s[0:3], 0 offset:400
	buffer_store_dword v108, off, s[0:3], 0 offset:404
.LBB52_231:
	s_or_b64 exec, exec, s[4:5]
	s_waitcnt lgkmcnt(0)
	; wave barrier
	buffer_load_dword v112, off, s[0:3], 0 offset:412
	buffer_load_dword v113, off, s[0:3], 0 offset:420
	;; [unrolled: 1-line block ×6, first 2 shown]
	ds_read2_b64 v[108:111], v108 offset0:105 offset1:106
	v_cmp_lt_u32_e32 vcc, 49, v0
	s_waitcnt vmcnt(5) lgkmcnt(0)
	v_mul_f32_e32 v118, v108, v112
	v_mul_f32_e32 v112, v109, v112
	s_waitcnt vmcnt(4)
	v_mul_f32_e32 v119, v110, v113
	v_mul_f32_e32 v113, v111, v113
	s_waitcnt vmcnt(3)
	v_fma_f32 v108, v108, v114, -v112
	v_fmac_f32_e32 v118, v109, v114
	s_waitcnt vmcnt(2)
	v_fma_f32 v109, v110, v115, -v113
	v_add_f32_e32 v108, 0, v108
	v_fmac_f32_e32 v119, v111, v115
	v_add_f32_e32 v110, 0, v118
	v_add_f32_e32 v108, v108, v109
	;; [unrolled: 1-line block ×3, first 2 shown]
	s_waitcnt vmcnt(1)
	v_sub_f32_e32 v108, v116, v108
	s_waitcnt vmcnt(0)
	v_sub_f32_e32 v109, v117, v110
	buffer_store_dword v108, off, s[0:3], 0 offset:400
	buffer_store_dword v109, off, s[0:3], 0 offset:404
	s_and_saveexec_b64 s[4:5], vcc
	s_cbranch_execz .LBB52_233
; %bb.232:
	buffer_load_dword v108, off, s[0:3], 0 offset:392
	buffer_load_dword v109, off, s[0:3], 0 offset:396
	v_mov_b32_e32 v110, 0
	buffer_store_dword v110, off, s[0:3], 0 offset:392
	buffer_store_dword v110, off, s[0:3], 0 offset:396
	s_waitcnt vmcnt(2)
	ds_write_b64 v107, v[108:109]
.LBB52_233:
	s_or_b64 exec, exec, s[4:5]
	s_waitcnt lgkmcnt(0)
	; wave barrier
	buffer_load_dword v115, off, s[0:3], 0 offset:404
	buffer_load_dword v116, off, s[0:3], 0 offset:412
	;; [unrolled: 1-line block ×8, first 2 shown]
	v_mov_b32_e32 v108, 0
	ds_read_b128 v[109:112], v108 offset:832
	ds_read_b64 v[113:114], v108 offset:848
	v_cmp_lt_u32_e32 vcc, 48, v0
	s_waitcnt vmcnt(7) lgkmcnt(1)
	v_mul_f32_e32 v123, v109, v115
	v_mul_f32_e32 v115, v110, v115
	s_waitcnt vmcnt(6)
	v_mul_f32_e32 v124, v111, v116
	v_mul_f32_e32 v116, v112, v116
	s_waitcnt vmcnt(4)
	v_fma_f32 v109, v109, v118, -v115
	s_waitcnt lgkmcnt(0)
	v_mul_f32_e32 v125, v113, v117
	v_mul_f32_e32 v117, v114, v117
	v_fmac_f32_e32 v123, v110, v118
	s_waitcnt vmcnt(3)
	v_fma_f32 v110, v111, v119, -v116
	v_add_f32_e32 v109, 0, v109
	v_fmac_f32_e32 v124, v112, v119
	s_waitcnt vmcnt(2)
	v_fma_f32 v111, v113, v120, -v117
	v_add_f32_e32 v112, 0, v123
	v_add_f32_e32 v109, v109, v110
	v_fmac_f32_e32 v125, v114, v120
	v_add_f32_e32 v112, v112, v124
	v_add_f32_e32 v109, v109, v111
	;; [unrolled: 1-line block ×3, first 2 shown]
	s_waitcnt vmcnt(1)
	v_sub_f32_e32 v109, v121, v109
	s_waitcnt vmcnt(0)
	v_sub_f32_e32 v110, v122, v110
	buffer_store_dword v109, off, s[0:3], 0 offset:392
	buffer_store_dword v110, off, s[0:3], 0 offset:396
	s_and_saveexec_b64 s[4:5], vcc
	s_cbranch_execz .LBB52_235
; %bb.234:
	buffer_load_dword v109, off, s[0:3], 0 offset:384
	buffer_load_dword v110, off, s[0:3], 0 offset:388
	s_waitcnt vmcnt(0)
	ds_write_b64 v107, v[109:110]
	buffer_store_dword v108, off, s[0:3], 0 offset:384
	buffer_store_dword v108, off, s[0:3], 0 offset:388
.LBB52_235:
	s_or_b64 exec, exec, s[4:5]
	s_waitcnt lgkmcnt(0)
	; wave barrier
	buffer_load_dword v117, off, s[0:3], 0 offset:396
	buffer_load_dword v118, off, s[0:3], 0 offset:404
	;; [unrolled: 1-line block ×10, first 2 shown]
	ds_read2_b64 v[109:112], v108 offset0:103 offset1:104
	ds_read2_b64 v[113:116], v108 offset0:105 offset1:106
	v_cmp_lt_u32_e32 vcc, 47, v0
	s_waitcnt vmcnt(9) lgkmcnt(1)
	v_mul_f32_e32 v108, v109, v117
	v_mul_f32_e32 v117, v110, v117
	s_waitcnt vmcnt(8)
	v_mul_f32_e32 v127, v111, v118
	v_mul_f32_e32 v118, v112, v118
	s_waitcnt vmcnt(5)
	v_fma_f32 v109, v109, v121, -v117
	s_waitcnt lgkmcnt(0)
	v_mul_f32_e32 v128, v113, v119
	v_mul_f32_e32 v119, v114, v119
	v_fmac_f32_e32 v108, v110, v121
	s_waitcnt vmcnt(4)
	v_fma_f32 v110, v111, v122, -v118
	v_add_f32_e32 v109, 0, v109
	v_mul_f32_e32 v129, v115, v120
	v_mul_f32_e32 v120, v116, v120
	v_fmac_f32_e32 v127, v112, v122
	s_waitcnt vmcnt(3)
	v_fma_f32 v111, v113, v123, -v119
	v_add_f32_e32 v108, 0, v108
	v_add_f32_e32 v109, v109, v110
	v_fmac_f32_e32 v128, v114, v123
	s_waitcnt vmcnt(2)
	v_fma_f32 v112, v115, v124, -v120
	v_add_f32_e32 v108, v108, v127
	v_add_f32_e32 v109, v109, v111
	v_fmac_f32_e32 v129, v116, v124
	v_add_f32_e32 v108, v108, v128
	v_add_f32_e32 v109, v109, v112
	;; [unrolled: 1-line block ×3, first 2 shown]
	s_waitcnt vmcnt(1)
	v_sub_f32_e32 v109, v125, v109
	s_waitcnt vmcnt(0)
	v_sub_f32_e32 v108, v126, v108
	buffer_store_dword v109, off, s[0:3], 0 offset:384
	buffer_store_dword v108, off, s[0:3], 0 offset:388
	s_and_saveexec_b64 s[4:5], vcc
	s_cbranch_execz .LBB52_237
; %bb.236:
	buffer_load_dword v108, off, s[0:3], 0 offset:376
	buffer_load_dword v109, off, s[0:3], 0 offset:380
	v_mov_b32_e32 v110, 0
	buffer_store_dword v110, off, s[0:3], 0 offset:376
	buffer_store_dword v110, off, s[0:3], 0 offset:380
	s_waitcnt vmcnt(2)
	ds_write_b64 v107, v[108:109]
.LBB52_237:
	s_or_b64 exec, exec, s[4:5]
	s_waitcnt lgkmcnt(0)
	; wave barrier
	buffer_load_dword v119, off, s[0:3], 0 offset:388
	buffer_load_dword v120, off, s[0:3], 0 offset:396
	;; [unrolled: 1-line block ×12, first 2 shown]
	v_mov_b32_e32 v108, 0
	ds_read_b128 v[109:112], v108 offset:816
	ds_read_b128 v[113:116], v108 offset:832
	ds_read_b64 v[117:118], v108 offset:848
	v_cmp_lt_u32_e32 vcc, 46, v0
	s_waitcnt vmcnt(11) lgkmcnt(2)
	v_mul_f32_e32 v131, v109, v119
	v_mul_f32_e32 v119, v110, v119
	s_waitcnt vmcnt(10)
	v_mul_f32_e32 v132, v111, v120
	v_mul_f32_e32 v120, v112, v120
	s_waitcnt vmcnt(9) lgkmcnt(1)
	v_mul_f32_e32 v133, v113, v121
	s_waitcnt vmcnt(6)
	v_fma_f32 v109, v109, v124, -v119
	v_mul_f32_e32 v121, v114, v121
	v_fmac_f32_e32 v131, v110, v124
	s_waitcnt vmcnt(5)
	v_fma_f32 v110, v111, v125, -v120
	v_add_f32_e32 v109, 0, v109
	v_mul_f32_e32 v134, v115, v122
	v_mul_f32_e32 v122, v116, v122
	v_fmac_f32_e32 v132, v112, v125
	s_waitcnt vmcnt(4)
	v_fmac_f32_e32 v133, v114, v126
	v_fma_f32 v111, v113, v126, -v121
	v_add_f32_e32 v114, 0, v131
	v_add_f32_e32 v109, v109, v110
	s_waitcnt lgkmcnt(0)
	v_mul_f32_e32 v135, v117, v123
	v_mul_f32_e32 v123, v118, v123
	s_waitcnt vmcnt(3)
	v_fma_f32 v112, v115, v127, -v122
	v_add_f32_e32 v114, v114, v132
	v_add_f32_e32 v109, v109, v111
	v_fmac_f32_e32 v134, v116, v127
	s_waitcnt vmcnt(2)
	v_fma_f32 v113, v117, v128, -v123
	v_add_f32_e32 v110, v114, v133
	v_add_f32_e32 v109, v109, v112
	v_fmac_f32_e32 v135, v118, v128
	v_add_f32_e32 v110, v110, v134
	v_add_f32_e32 v109, v109, v113
	;; [unrolled: 1-line block ×3, first 2 shown]
	s_waitcnt vmcnt(1)
	v_sub_f32_e32 v109, v129, v109
	s_waitcnt vmcnt(0)
	v_sub_f32_e32 v110, v130, v110
	buffer_store_dword v109, off, s[0:3], 0 offset:376
	buffer_store_dword v110, off, s[0:3], 0 offset:380
	s_and_saveexec_b64 s[4:5], vcc
	s_cbranch_execz .LBB52_239
; %bb.238:
	buffer_load_dword v109, off, s[0:3], 0 offset:368
	buffer_load_dword v110, off, s[0:3], 0 offset:372
	s_waitcnt vmcnt(0)
	ds_write_b64 v107, v[109:110]
	buffer_store_dword v108, off, s[0:3], 0 offset:368
	buffer_store_dword v108, off, s[0:3], 0 offset:372
.LBB52_239:
	s_or_b64 exec, exec, s[4:5]
	s_waitcnt lgkmcnt(0)
	; wave barrier
	buffer_load_dword v121, off, s[0:3], 0 offset:380
	buffer_load_dword v122, off, s[0:3], 0 offset:388
	;; [unrolled: 1-line block ×14, first 2 shown]
	ds_read2_b64 v[109:112], v108 offset0:101 offset1:102
	ds_read2_b64 v[113:116], v108 offset0:103 offset1:104
	;; [unrolled: 1-line block ×3, first 2 shown]
	v_cmp_lt_u32_e32 vcc, 45, v0
	s_waitcnt vmcnt(13) lgkmcnt(2)
	v_mul_f32_e32 v108, v109, v121
	v_mul_f32_e32 v121, v110, v121
	s_waitcnt vmcnt(12)
	v_mul_f32_e32 v135, v111, v122
	v_mul_f32_e32 v122, v112, v122
	s_waitcnt vmcnt(11) lgkmcnt(1)
	v_mul_f32_e32 v136, v113, v123
	v_mul_f32_e32 v123, v114, v123
	s_waitcnt vmcnt(7)
	v_fma_f32 v109, v109, v127, -v121
	v_fmac_f32_e32 v108, v110, v127
	s_waitcnt vmcnt(6)
	v_fma_f32 v110, v111, v128, -v122
	v_add_f32_e32 v109, 0, v109
	v_mul_f32_e32 v137, v115, v124
	v_mul_f32_e32 v124, v116, v124
	v_fmac_f32_e32 v135, v112, v128
	s_waitcnt vmcnt(5)
	v_fma_f32 v111, v113, v129, -v123
	v_add_f32_e32 v108, 0, v108
	v_add_f32_e32 v109, v109, v110
	s_waitcnt lgkmcnt(0)
	v_mul_f32_e32 v138, v117, v125
	v_mul_f32_e32 v125, v118, v125
	v_fmac_f32_e32 v136, v114, v129
	s_waitcnt vmcnt(4)
	v_fma_f32 v112, v115, v130, -v124
	v_add_f32_e32 v108, v108, v135
	v_add_f32_e32 v109, v109, v111
	v_mul_f32_e32 v139, v119, v126
	v_mul_f32_e32 v126, v120, v126
	v_fmac_f32_e32 v137, v116, v130
	s_waitcnt vmcnt(3)
	v_fma_f32 v113, v117, v131, -v125
	v_add_f32_e32 v108, v108, v136
	v_add_f32_e32 v109, v109, v112
	v_fmac_f32_e32 v138, v118, v131
	s_waitcnt vmcnt(2)
	v_fma_f32 v114, v119, v132, -v126
	v_add_f32_e32 v108, v108, v137
	v_add_f32_e32 v109, v109, v113
	v_fmac_f32_e32 v139, v120, v132
	v_add_f32_e32 v108, v108, v138
	v_add_f32_e32 v109, v109, v114
	;; [unrolled: 1-line block ×3, first 2 shown]
	s_waitcnt vmcnt(1)
	v_sub_f32_e32 v109, v133, v109
	s_waitcnt vmcnt(0)
	v_sub_f32_e32 v108, v134, v108
	buffer_store_dword v109, off, s[0:3], 0 offset:368
	buffer_store_dword v108, off, s[0:3], 0 offset:372
	s_and_saveexec_b64 s[4:5], vcc
	s_cbranch_execz .LBB52_241
; %bb.240:
	buffer_load_dword v108, off, s[0:3], 0 offset:360
	buffer_load_dword v109, off, s[0:3], 0 offset:364
	v_mov_b32_e32 v110, 0
	buffer_store_dword v110, off, s[0:3], 0 offset:360
	buffer_store_dword v110, off, s[0:3], 0 offset:364
	s_waitcnt vmcnt(2)
	ds_write_b64 v107, v[108:109]
.LBB52_241:
	s_or_b64 exec, exec, s[4:5]
	s_waitcnt lgkmcnt(0)
	; wave barrier
	buffer_load_dword v123, off, s[0:3], 0 offset:372
	buffer_load_dword v124, off, s[0:3], 0 offset:380
	;; [unrolled: 1-line block ×16, first 2 shown]
	v_mov_b32_e32 v108, 0
	ds_read_b128 v[109:112], v108 offset:800
	ds_read_b128 v[113:116], v108 offset:816
	ds_read_b128 v[117:120], v108 offset:832
	ds_read_b64 v[121:122], v108 offset:848
	v_cmp_lt_u32_e32 vcc, 44, v0
	s_waitcnt vmcnt(15) lgkmcnt(3)
	v_mul_f32_e32 v139, v109, v123
	v_mul_f32_e32 v123, v110, v123
	s_waitcnt vmcnt(14)
	v_mul_f32_e32 v140, v111, v124
	v_mul_f32_e32 v124, v112, v124
	s_waitcnt vmcnt(13) lgkmcnt(2)
	v_mul_f32_e32 v141, v113, v125
	s_waitcnt vmcnt(12)
	v_mul_f32_e32 v142, v115, v126
	v_mul_f32_e32 v125, v114, v125
	s_waitcnt vmcnt(8)
	v_fma_f32 v109, v109, v130, -v123
	v_fmac_f32_e32 v139, v110, v130
	s_waitcnt vmcnt(7)
	v_fma_f32 v110, v111, v131, -v124
	v_add_f32_e32 v109, 0, v109
	v_mul_f32_e32 v126, v116, v126
	v_fmac_f32_e32 v140, v112, v131
	s_waitcnt vmcnt(5)
	v_fmac_f32_e32 v142, v116, v133
	v_fma_f32 v111, v113, v132, -v125
	v_add_f32_e32 v116, 0, v139
	v_add_f32_e32 v109, v109, v110
	s_waitcnt lgkmcnt(1)
	v_mul_f32_e32 v143, v117, v127
	v_mul_f32_e32 v127, v118, v127
	v_fmac_f32_e32 v141, v114, v132
	v_fma_f32 v112, v115, v133, -v126
	v_add_f32_e32 v116, v116, v140
	v_add_f32_e32 v109, v109, v111
	v_mul_f32_e32 v144, v119, v128
	v_mul_f32_e32 v128, v120, v128
	s_waitcnt vmcnt(4)
	v_fma_f32 v113, v117, v134, -v127
	v_add_f32_e32 v110, v116, v141
	v_add_f32_e32 v109, v109, v112
	s_waitcnt lgkmcnt(0)
	v_mul_f32_e32 v145, v121, v129
	v_mul_f32_e32 v129, v122, v129
	v_fmac_f32_e32 v143, v118, v134
	s_waitcnt vmcnt(3)
	v_fma_f32 v114, v119, v135, -v128
	v_add_f32_e32 v110, v110, v142
	v_add_f32_e32 v109, v109, v113
	v_fmac_f32_e32 v144, v120, v135
	s_waitcnt vmcnt(2)
	v_fma_f32 v115, v121, v136, -v129
	v_add_f32_e32 v110, v110, v143
	v_add_f32_e32 v109, v109, v114
	v_fmac_f32_e32 v145, v122, v136
	v_add_f32_e32 v110, v110, v144
	v_add_f32_e32 v109, v109, v115
	;; [unrolled: 1-line block ×3, first 2 shown]
	s_waitcnt vmcnt(1)
	v_sub_f32_e32 v109, v137, v109
	s_waitcnt vmcnt(0)
	v_sub_f32_e32 v110, v138, v110
	buffer_store_dword v109, off, s[0:3], 0 offset:360
	buffer_store_dword v110, off, s[0:3], 0 offset:364
	s_and_saveexec_b64 s[4:5], vcc
	s_cbranch_execz .LBB52_243
; %bb.242:
	buffer_load_dword v109, off, s[0:3], 0 offset:352
	buffer_load_dword v110, off, s[0:3], 0 offset:356
	s_waitcnt vmcnt(0)
	ds_write_b64 v107, v[109:110]
	buffer_store_dword v108, off, s[0:3], 0 offset:352
	buffer_store_dword v108, off, s[0:3], 0 offset:356
.LBB52_243:
	s_or_b64 exec, exec, s[4:5]
	s_waitcnt lgkmcnt(0)
	; wave barrier
	buffer_load_dword v125, off, s[0:3], 0 offset:364
	buffer_load_dword v126, off, s[0:3], 0 offset:372
	;; [unrolled: 1-line block ×18, first 2 shown]
	ds_read2_b64 v[109:112], v108 offset0:99 offset1:100
	ds_read2_b64 v[113:116], v108 offset0:101 offset1:102
	;; [unrolled: 1-line block ×4, first 2 shown]
	v_cmp_lt_u32_e32 vcc, 43, v0
	s_waitcnt vmcnt(17) lgkmcnt(3)
	v_mul_f32_e32 v108, v109, v125
	v_mul_f32_e32 v125, v110, v125
	s_waitcnt vmcnt(16)
	v_mul_f32_e32 v143, v111, v126
	v_mul_f32_e32 v126, v112, v126
	s_waitcnt vmcnt(15) lgkmcnt(2)
	v_mul_f32_e32 v144, v113, v127
	v_mul_f32_e32 v127, v114, v127
	s_waitcnt vmcnt(14)
	v_mul_f32_e32 v145, v115, v128
	v_mul_f32_e32 v128, v116, v128
	s_waitcnt vmcnt(9)
	v_fma_f32 v109, v109, v133, -v125
	v_fmac_f32_e32 v108, v110, v133
	s_waitcnt vmcnt(8)
	v_fma_f32 v110, v111, v134, -v126
	v_add_f32_e32 v109, 0, v109
	v_fmac_f32_e32 v143, v112, v134
	s_waitcnt vmcnt(7)
	v_fma_f32 v111, v113, v135, -v127
	v_add_f32_e32 v108, 0, v108
	v_add_f32_e32 v109, v109, v110
	s_waitcnt lgkmcnt(1)
	v_mul_f32_e32 v146, v117, v129
	v_mul_f32_e32 v129, v118, v129
	v_fmac_f32_e32 v144, v114, v135
	s_waitcnt vmcnt(6)
	v_fma_f32 v112, v115, v136, -v128
	v_add_f32_e32 v108, v108, v143
	v_add_f32_e32 v109, v109, v111
	v_mul_f32_e32 v147, v119, v130
	v_mul_f32_e32 v130, v120, v130
	v_fmac_f32_e32 v145, v116, v136
	s_waitcnt vmcnt(5)
	v_fma_f32 v113, v117, v137, -v129
	v_add_f32_e32 v108, v108, v144
	v_add_f32_e32 v109, v109, v112
	s_waitcnt lgkmcnt(0)
	v_mul_f32_e32 v148, v121, v131
	v_mul_f32_e32 v131, v122, v131
	v_fmac_f32_e32 v146, v118, v137
	s_waitcnt vmcnt(4)
	v_fma_f32 v114, v119, v138, -v130
	v_add_f32_e32 v108, v108, v145
	v_add_f32_e32 v109, v109, v113
	v_mul_f32_e32 v149, v123, v132
	v_mul_f32_e32 v132, v124, v132
	v_fmac_f32_e32 v147, v120, v138
	s_waitcnt vmcnt(3)
	v_fma_f32 v115, v121, v139, -v131
	v_add_f32_e32 v108, v108, v146
	v_add_f32_e32 v109, v109, v114
	v_fmac_f32_e32 v148, v122, v139
	s_waitcnt vmcnt(2)
	v_fma_f32 v116, v123, v140, -v132
	v_add_f32_e32 v108, v108, v147
	v_add_f32_e32 v109, v109, v115
	v_fmac_f32_e32 v149, v124, v140
	v_add_f32_e32 v108, v108, v148
	v_add_f32_e32 v109, v109, v116
	;; [unrolled: 1-line block ×3, first 2 shown]
	s_waitcnt vmcnt(1)
	v_sub_f32_e32 v109, v141, v109
	s_waitcnt vmcnt(0)
	v_sub_f32_e32 v108, v142, v108
	buffer_store_dword v109, off, s[0:3], 0 offset:352
	buffer_store_dword v108, off, s[0:3], 0 offset:356
	s_and_saveexec_b64 s[4:5], vcc
	s_cbranch_execz .LBB52_245
; %bb.244:
	buffer_load_dword v108, off, s[0:3], 0 offset:344
	buffer_load_dword v109, off, s[0:3], 0 offset:348
	v_mov_b32_e32 v110, 0
	buffer_store_dword v110, off, s[0:3], 0 offset:344
	buffer_store_dword v110, off, s[0:3], 0 offset:348
	s_waitcnt vmcnt(2)
	ds_write_b64 v107, v[108:109]
.LBB52_245:
	s_or_b64 exec, exec, s[4:5]
	s_waitcnt lgkmcnt(0)
	; wave barrier
	buffer_load_dword v127, off, s[0:3], 0 offset:356
	buffer_load_dword v128, off, s[0:3], 0 offset:364
	;; [unrolled: 1-line block ×20, first 2 shown]
	v_mov_b32_e32 v108, 0
	ds_read_b128 v[109:112], v108 offset:784
	ds_read_b128 v[113:116], v108 offset:800
	;; [unrolled: 1-line block ×4, first 2 shown]
	ds_read_b64 v[125:126], v108 offset:848
	v_cmp_lt_u32_e32 vcc, 42, v0
	s_waitcnt vmcnt(19) lgkmcnt(4)
	v_mul_f32_e32 v147, v109, v127
	v_mul_f32_e32 v127, v110, v127
	s_waitcnt vmcnt(18)
	v_mul_f32_e32 v148, v111, v128
	v_mul_f32_e32 v128, v112, v128
	s_waitcnt vmcnt(17) lgkmcnt(3)
	v_mul_f32_e32 v149, v113, v129
	s_waitcnt vmcnt(15) lgkmcnt(2)
	v_mul_f32_e32 v151, v117, v131
	v_mul_f32_e32 v129, v114, v129
	;; [unrolled: 1-line block ×4, first 2 shown]
	s_waitcnt vmcnt(10)
	v_fma_f32 v109, v109, v136, -v127
	v_fmac_f32_e32 v147, v110, v136
	s_waitcnt vmcnt(9)
	v_fma_f32 v110, v111, v137, -v128
	v_add_f32_e32 v109, 0, v109
	v_mul_f32_e32 v131, v118, v131
	v_fmac_f32_e32 v148, v112, v137
	s_waitcnt vmcnt(6)
	v_fmac_f32_e32 v151, v118, v140
	v_fma_f32 v111, v113, v138, -v129
	v_add_f32_e32 v118, 0, v147
	v_add_f32_e32 v109, v109, v110
	v_fmac_f32_e32 v149, v114, v138
	v_fma_f32 v112, v115, v139, -v130
	v_add_f32_e32 v118, v118, v148
	v_add_f32_e32 v109, v109, v111
	v_mul_f32_e32 v152, v119, v132
	v_mul_f32_e32 v132, v120, v132
	v_fmac_f32_e32 v150, v116, v139
	v_fma_f32 v113, v117, v140, -v131
	v_add_f32_e32 v110, v118, v149
	v_add_f32_e32 v109, v109, v112
	s_waitcnt lgkmcnt(1)
	v_mul_f32_e32 v153, v121, v133
	v_mul_f32_e32 v133, v122, v133
	s_waitcnt vmcnt(5)
	v_fma_f32 v114, v119, v141, -v132
	v_add_f32_e32 v110, v110, v150
	v_add_f32_e32 v109, v109, v113
	v_mul_f32_e32 v154, v123, v134
	v_mul_f32_e32 v134, v124, v134
	v_fmac_f32_e32 v152, v120, v141
	s_waitcnt vmcnt(4)
	v_fma_f32 v115, v121, v142, -v133
	v_add_f32_e32 v110, v110, v151
	v_add_f32_e32 v109, v109, v114
	s_waitcnt lgkmcnt(0)
	v_mul_f32_e32 v155, v125, v135
	v_mul_f32_e32 v135, v126, v135
	v_fmac_f32_e32 v153, v122, v142
	s_waitcnt vmcnt(3)
	v_fma_f32 v116, v123, v143, -v134
	v_add_f32_e32 v110, v110, v152
	v_add_f32_e32 v109, v109, v115
	v_fmac_f32_e32 v154, v124, v143
	s_waitcnt vmcnt(2)
	v_fma_f32 v117, v125, v144, -v135
	v_add_f32_e32 v110, v110, v153
	v_add_f32_e32 v109, v109, v116
	v_fmac_f32_e32 v155, v126, v144
	v_add_f32_e32 v110, v110, v154
	v_add_f32_e32 v109, v109, v117
	;; [unrolled: 1-line block ×3, first 2 shown]
	s_waitcnt vmcnt(1)
	v_sub_f32_e32 v109, v145, v109
	s_waitcnt vmcnt(0)
	v_sub_f32_e32 v110, v146, v110
	buffer_store_dword v109, off, s[0:3], 0 offset:344
	buffer_store_dword v110, off, s[0:3], 0 offset:348
	s_and_saveexec_b64 s[4:5], vcc
	s_cbranch_execz .LBB52_247
; %bb.246:
	buffer_load_dword v109, off, s[0:3], 0 offset:336
	buffer_load_dword v110, off, s[0:3], 0 offset:340
	s_waitcnt vmcnt(0)
	ds_write_b64 v107, v[109:110]
	buffer_store_dword v108, off, s[0:3], 0 offset:336
	buffer_store_dword v108, off, s[0:3], 0 offset:340
.LBB52_247:
	s_or_b64 exec, exec, s[4:5]
	s_waitcnt lgkmcnt(0)
	; wave barrier
	buffer_load_dword v129, off, s[0:3], 0 offset:348
	buffer_load_dword v130, off, s[0:3], 0 offset:356
	;; [unrolled: 1-line block ×22, first 2 shown]
	ds_read2_b64 v[109:112], v108 offset0:97 offset1:98
	ds_read2_b64 v[113:116], v108 offset0:99 offset1:100
	ds_read2_b64 v[117:120], v108 offset0:101 offset1:102
	ds_read2_b64 v[121:124], v108 offset0:103 offset1:104
	ds_read2_b64 v[125:128], v108 offset0:105 offset1:106
	v_cmp_lt_u32_e32 vcc, 41, v0
	s_waitcnt vmcnt(21) lgkmcnt(4)
	v_mul_f32_e32 v108, v109, v129
	v_mul_f32_e32 v129, v110, v129
	s_waitcnt vmcnt(20)
	v_mul_f32_e32 v151, v111, v130
	v_mul_f32_e32 v130, v112, v130
	s_waitcnt vmcnt(19) lgkmcnt(3)
	v_mul_f32_e32 v152, v113, v131
	v_mul_f32_e32 v131, v114, v131
	s_waitcnt vmcnt(18)
	v_mul_f32_e32 v153, v115, v132
	v_mul_f32_e32 v132, v116, v132
	s_waitcnt vmcnt(17) lgkmcnt(2)
	v_mul_f32_e32 v154, v117, v133
	v_mul_f32_e32 v133, v118, v133
	s_waitcnt vmcnt(11)
	v_fma_f32 v109, v109, v139, -v129
	v_fmac_f32_e32 v108, v110, v139
	s_waitcnt vmcnt(10)
	v_fma_f32 v110, v111, v140, -v130
	v_add_f32_e32 v109, 0, v109
	v_fmac_f32_e32 v151, v112, v140
	s_waitcnt vmcnt(9)
	v_fma_f32 v111, v113, v141, -v131
	v_add_f32_e32 v108, 0, v108
	v_add_f32_e32 v109, v109, v110
	v_fmac_f32_e32 v152, v114, v141
	s_waitcnt vmcnt(8)
	v_fma_f32 v112, v115, v142, -v132
	v_add_f32_e32 v108, v108, v151
	v_add_f32_e32 v109, v109, v111
	v_mul_f32_e32 v155, v119, v134
	v_mul_f32_e32 v134, v120, v134
	v_fmac_f32_e32 v153, v116, v142
	s_waitcnt vmcnt(7)
	v_fma_f32 v113, v117, v143, -v133
	v_add_f32_e32 v108, v108, v152
	v_add_f32_e32 v109, v109, v112
	s_waitcnt lgkmcnt(1)
	v_mul_f32_e32 v156, v121, v135
	v_mul_f32_e32 v135, v122, v135
	v_fmac_f32_e32 v154, v118, v143
	s_waitcnt vmcnt(6)
	v_fma_f32 v114, v119, v144, -v134
	v_add_f32_e32 v108, v108, v153
	v_add_f32_e32 v109, v109, v113
	v_mul_f32_e32 v157, v123, v136
	v_mul_f32_e32 v136, v124, v136
	v_fmac_f32_e32 v155, v120, v144
	s_waitcnt vmcnt(5)
	v_fma_f32 v115, v121, v145, -v135
	v_add_f32_e32 v108, v108, v154
	v_add_f32_e32 v109, v109, v114
	s_waitcnt lgkmcnt(0)
	v_mul_f32_e32 v158, v125, v137
	v_mul_f32_e32 v137, v126, v137
	v_fmac_f32_e32 v156, v122, v145
	s_waitcnt vmcnt(4)
	v_fma_f32 v116, v123, v146, -v136
	v_add_f32_e32 v108, v108, v155
	v_add_f32_e32 v109, v109, v115
	v_mul_f32_e32 v159, v127, v138
	v_mul_f32_e32 v138, v128, v138
	v_fmac_f32_e32 v157, v124, v146
	s_waitcnt vmcnt(3)
	v_fma_f32 v117, v125, v147, -v137
	v_add_f32_e32 v108, v108, v156
	v_add_f32_e32 v109, v109, v116
	v_fmac_f32_e32 v158, v126, v147
	s_waitcnt vmcnt(2)
	v_fma_f32 v118, v127, v148, -v138
	v_add_f32_e32 v108, v108, v157
	v_add_f32_e32 v109, v109, v117
	v_fmac_f32_e32 v159, v128, v148
	v_add_f32_e32 v108, v108, v158
	v_add_f32_e32 v109, v109, v118
	;; [unrolled: 1-line block ×3, first 2 shown]
	s_waitcnt vmcnt(1)
	v_sub_f32_e32 v109, v149, v109
	s_waitcnt vmcnt(0)
	v_sub_f32_e32 v108, v150, v108
	buffer_store_dword v109, off, s[0:3], 0 offset:336
	buffer_store_dword v108, off, s[0:3], 0 offset:340
	s_and_saveexec_b64 s[4:5], vcc
	s_cbranch_execz .LBB52_249
; %bb.248:
	buffer_load_dword v108, off, s[0:3], 0 offset:328
	buffer_load_dword v109, off, s[0:3], 0 offset:332
	v_mov_b32_e32 v110, 0
	buffer_store_dword v110, off, s[0:3], 0 offset:328
	buffer_store_dword v110, off, s[0:3], 0 offset:332
	s_waitcnt vmcnt(2)
	ds_write_b64 v107, v[108:109]
.LBB52_249:
	s_or_b64 exec, exec, s[4:5]
	s_waitcnt lgkmcnt(0)
	; wave barrier
	buffer_load_dword v131, off, s[0:3], 0 offset:340
	buffer_load_dword v132, off, s[0:3], 0 offset:348
	;; [unrolled: 1-line block ×24, first 2 shown]
	v_mov_b32_e32 v108, 0
	ds_read_b128 v[109:112], v108 offset:768
	ds_read_b128 v[113:116], v108 offset:784
	;; [unrolled: 1-line block ×5, first 2 shown]
	ds_read_b64 v[129:130], v108 offset:848
	v_cmp_lt_u32_e32 vcc, 40, v0
	s_waitcnt vmcnt(23) lgkmcnt(5)
	v_mul_f32_e32 v155, v109, v131
	v_mul_f32_e32 v131, v110, v131
	s_waitcnt vmcnt(22)
	v_mul_f32_e32 v156, v111, v132
	v_mul_f32_e32 v132, v112, v132
	s_waitcnt vmcnt(21) lgkmcnt(4)
	v_mul_f32_e32 v157, v113, v133
	v_mul_f32_e32 v133, v114, v133
	s_waitcnt vmcnt(20)
	v_mul_f32_e32 v158, v115, v134
	s_waitcnt vmcnt(19) lgkmcnt(3)
	v_mul_f32_e32 v159, v117, v135
	v_mul_f32_e32 v134, v116, v134
	;; [unrolled: 1-line block ×3, first 2 shown]
	s_waitcnt vmcnt(18)
	v_mul_f32_e32 v160, v119, v136
	s_waitcnt vmcnt(12)
	v_fma_f32 v109, v109, v142, -v131
	v_fmac_f32_e32 v155, v110, v142
	s_waitcnt vmcnt(11)
	v_fma_f32 v110, v111, v143, -v132
	v_add_f32_e32 v109, 0, v109
	s_waitcnt vmcnt(10)
	v_fma_f32 v111, v113, v144, -v133
	v_add_f32_e32 v109, v109, v110
	v_fmac_f32_e32 v156, v112, v143
	s_waitcnt vmcnt(8)
	v_fmac_f32_e32 v159, v118, v146
	v_fma_f32 v112, v115, v145, -v134
	v_add_f32_e32 v118, 0, v155
	v_add_f32_e32 v109, v109, v111
	v_mul_f32_e32 v136, v120, v136
	v_fmac_f32_e32 v157, v114, v144
	v_fma_f32 v113, v117, v146, -v135
	v_add_f32_e32 v118, v118, v156
	v_add_f32_e32 v109, v109, v112
	s_waitcnt lgkmcnt(2)
	v_mul_f32_e32 v161, v121, v137
	v_mul_f32_e32 v137, v122, v137
	v_fmac_f32_e32 v158, v116, v145
	s_waitcnt vmcnt(7)
	v_fma_f32 v114, v119, v147, -v136
	v_add_f32_e32 v110, v118, v157
	v_add_f32_e32 v109, v109, v113
	v_mul_f32_e32 v162, v123, v138
	v_mul_f32_e32 v138, v124, v138
	s_waitcnt vmcnt(6)
	v_fma_f32 v115, v121, v148, -v137
	v_add_f32_e32 v110, v110, v158
	v_add_f32_e32 v109, v109, v114
	s_waitcnt lgkmcnt(1)
	v_mul_f32_e32 v163, v125, v139
	v_mul_f32_e32 v139, v126, v139
	v_fmac_f32_e32 v160, v120, v147
	s_waitcnt vmcnt(5)
	v_fma_f32 v116, v123, v149, -v138
	v_add_f32_e32 v110, v110, v159
	v_add_f32_e32 v109, v109, v115
	v_fmac_f32_e32 v161, v122, v148
	s_waitcnt vmcnt(4)
	v_fma_f32 v117, v125, v150, -v139
	v_add_f32_e32 v110, v110, v160
	v_add_f32_e32 v109, v109, v116
	v_mul_f32_e32 v111, v128, v140
	v_fmac_f32_e32 v162, v124, v149
	v_add_f32_e32 v110, v110, v161
	v_add_f32_e32 v109, v109, v117
	s_waitcnt vmcnt(3)
	v_fma_f32 v111, v127, v151, -v111
	v_mul_f32_e32 v164, v127, v140
	v_fmac_f32_e32 v163, v126, v150
	v_add_f32_e32 v110, v110, v162
	v_add_f32_e32 v109, v109, v111
	s_waitcnt lgkmcnt(0)
	v_mul_f32_e32 v111, v130, v141
	v_mul_f32_e32 v165, v129, v141
	v_fmac_f32_e32 v164, v128, v151
	v_add_f32_e32 v110, v110, v163
	s_waitcnt vmcnt(2)
	v_fma_f32 v111, v129, v152, -v111
	v_fmac_f32_e32 v165, v130, v152
	v_add_f32_e32 v110, v110, v164
	v_add_f32_e32 v109, v109, v111
	;; [unrolled: 1-line block ×3, first 2 shown]
	s_waitcnt vmcnt(1)
	v_sub_f32_e32 v109, v153, v109
	s_waitcnt vmcnt(0)
	v_sub_f32_e32 v110, v154, v110
	buffer_store_dword v109, off, s[0:3], 0 offset:328
	buffer_store_dword v110, off, s[0:3], 0 offset:332
	s_and_saveexec_b64 s[4:5], vcc
	s_cbranch_execz .LBB52_251
; %bb.250:
	buffer_load_dword v109, off, s[0:3], 0 offset:320
	buffer_load_dword v110, off, s[0:3], 0 offset:324
	s_waitcnt vmcnt(0)
	ds_write_b64 v107, v[109:110]
	buffer_store_dword v108, off, s[0:3], 0 offset:320
	buffer_store_dword v108, off, s[0:3], 0 offset:324
.LBB52_251:
	s_or_b64 exec, exec, s[4:5]
	s_waitcnt lgkmcnt(0)
	; wave barrier
	buffer_load_dword v133, off, s[0:3], 0 offset:332
	buffer_load_dword v134, off, s[0:3], 0 offset:340
	;; [unrolled: 1-line block ×26, first 2 shown]
	ds_read2_b64 v[109:112], v108 offset0:95 offset1:96
	ds_read2_b64 v[113:116], v108 offset0:97 offset1:98
	ds_read2_b64 v[117:120], v108 offset0:99 offset1:100
	ds_read2_b64 v[121:124], v108 offset0:101 offset1:102
	ds_read2_b64 v[125:128], v108 offset0:103 offset1:104
	ds_read2_b64 v[129:132], v108 offset0:105 offset1:106
	v_cmp_lt_u32_e32 vcc, 39, v0
	s_waitcnt vmcnt(25) lgkmcnt(5)
	v_mul_f32_e32 v108, v109, v133
	v_mul_f32_e32 v133, v110, v133
	s_waitcnt vmcnt(24)
	v_mul_f32_e32 v159, v111, v134
	v_mul_f32_e32 v134, v112, v134
	s_waitcnt vmcnt(23) lgkmcnt(4)
	v_mul_f32_e32 v160, v113, v135
	v_mul_f32_e32 v135, v114, v135
	s_waitcnt vmcnt(22)
	v_mul_f32_e32 v161, v115, v136
	v_mul_f32_e32 v136, v116, v136
	;; [unrolled: 6-line block ×3, first 2 shown]
	s_waitcnt vmcnt(13)
	v_fma_f32 v109, v109, v145, -v133
	v_fmac_f32_e32 v108, v110, v145
	s_waitcnt vmcnt(12)
	v_fma_f32 v110, v111, v146, -v134
	v_add_f32_e32 v109, 0, v109
	s_waitcnt vmcnt(11)
	v_fma_f32 v111, v113, v147, -v135
	v_add_f32_e32 v109, v109, v110
	v_fmac_f32_e32 v159, v112, v146
	s_waitcnt vmcnt(10)
	v_fma_f32 v112, v115, v148, -v136
	v_add_f32_e32 v109, v109, v111
	s_waitcnt vmcnt(9)
	v_fma_f32 v113, v117, v149, -v137
	v_add_f32_e32 v109, v109, v112
	s_waitcnt lgkmcnt(2)
	v_mul_f32_e32 v164, v121, v139
	v_mul_f32_e32 v139, v122, v139
	v_fmac_f32_e32 v160, v114, v147
	s_waitcnt vmcnt(8)
	v_fma_f32 v114, v119, v150, -v138
	v_add_f32_e32 v108, 0, v108
	v_add_f32_e32 v109, v109, v113
	v_mul_f32_e32 v165, v123, v140
	v_mul_f32_e32 v140, v124, v140
	s_waitcnt vmcnt(7)
	v_fma_f32 v115, v121, v151, -v139
	v_add_f32_e32 v108, v108, v159
	v_add_f32_e32 v109, v109, v114
	v_fmac_f32_e32 v161, v116, v148
	s_waitcnt vmcnt(6)
	v_fma_f32 v116, v123, v152, -v140
	v_add_f32_e32 v108, v108, v160
	v_add_f32_e32 v109, v109, v115
	s_waitcnt lgkmcnt(1)
	v_mul_f32_e32 v110, v126, v141
	v_fmac_f32_e32 v162, v118, v149
	v_add_f32_e32 v108, v108, v161
	v_add_f32_e32 v109, v109, v116
	s_waitcnt vmcnt(5)
	v_fma_f32 v110, v125, v153, -v110
	v_fmac_f32_e32 v163, v120, v150
	v_add_f32_e32 v108, v108, v162
	v_add_f32_e32 v109, v109, v110
	v_mul_f32_e32 v110, v128, v142
	v_fmac_f32_e32 v164, v122, v151
	v_add_f32_e32 v108, v108, v163
	s_waitcnt vmcnt(4)
	v_fma_f32 v110, v127, v154, -v110
	v_mul_f32_e32 v166, v125, v141
	v_fmac_f32_e32 v165, v124, v152
	v_add_f32_e32 v108, v108, v164
	v_add_f32_e32 v109, v109, v110
	s_waitcnt lgkmcnt(0)
	v_mul_f32_e32 v110, v130, v143
	v_mul_f32_e32 v167, v127, v142
	v_fmac_f32_e32 v166, v126, v153
	v_add_f32_e32 v108, v108, v165
	s_waitcnt vmcnt(3)
	v_fma_f32 v110, v129, v155, -v110
	v_mul_f32_e32 v168, v129, v143
	v_fmac_f32_e32 v167, v128, v154
	v_add_f32_e32 v108, v108, v166
	v_add_f32_e32 v109, v109, v110
	v_mul_f32_e32 v110, v132, v144
	v_mul_f32_e32 v169, v131, v144
	v_fmac_f32_e32 v168, v130, v155
	v_add_f32_e32 v108, v108, v167
	s_waitcnt vmcnt(2)
	v_fma_f32 v110, v131, v156, -v110
	v_fmac_f32_e32 v169, v132, v156
	v_add_f32_e32 v108, v108, v168
	v_add_f32_e32 v109, v109, v110
	;; [unrolled: 1-line block ×3, first 2 shown]
	s_waitcnt vmcnt(1)
	v_sub_f32_e32 v109, v157, v109
	s_waitcnt vmcnt(0)
	v_sub_f32_e32 v108, v158, v108
	buffer_store_dword v109, off, s[0:3], 0 offset:320
	buffer_store_dword v108, off, s[0:3], 0 offset:324
	s_and_saveexec_b64 s[4:5], vcc
	s_cbranch_execz .LBB52_253
; %bb.252:
	buffer_load_dword v108, off, s[0:3], 0 offset:312
	buffer_load_dword v109, off, s[0:3], 0 offset:316
	v_mov_b32_e32 v110, 0
	buffer_store_dword v110, off, s[0:3], 0 offset:312
	buffer_store_dword v110, off, s[0:3], 0 offset:316
	s_waitcnt vmcnt(2)
	ds_write_b64 v107, v[108:109]
.LBB52_253:
	s_or_b64 exec, exec, s[4:5]
	s_waitcnt lgkmcnt(0)
	; wave barrier
	buffer_load_dword v135, off, s[0:3], 0 offset:324
	buffer_load_dword v136, off, s[0:3], 0 offset:332
	;; [unrolled: 1-line block ×28, first 2 shown]
	v_mov_b32_e32 v108, 0
	ds_read_b128 v[109:112], v108 offset:752
	ds_read_b128 v[113:116], v108 offset:768
	;; [unrolled: 1-line block ×6, first 2 shown]
	ds_read_b64 v[133:134], v108 offset:848
	v_cmp_lt_u32_e32 vcc, 38, v0
	s_waitcnt vmcnt(27) lgkmcnt(6)
	v_mul_f32_e32 v163, v109, v135
	v_mul_f32_e32 v135, v110, v135
	s_waitcnt vmcnt(26)
	v_mul_f32_e32 v164, v111, v136
	v_mul_f32_e32 v136, v112, v136
	s_waitcnt vmcnt(25) lgkmcnt(5)
	v_mul_f32_e32 v165, v113, v137
	v_mul_f32_e32 v137, v114, v137
	s_waitcnt vmcnt(24)
	v_mul_f32_e32 v166, v115, v138
	v_mul_f32_e32 v138, v116, v138
	;; [unrolled: 6-line block ×3, first 2 shown]
	s_waitcnt vmcnt(21) lgkmcnt(3)
	v_mul_f32_e32 v169, v121, v141
	s_waitcnt vmcnt(14)
	v_fma_f32 v109, v109, v148, -v135
	v_fmac_f32_e32 v163, v110, v148
	s_waitcnt vmcnt(13)
	v_fma_f32 v110, v111, v149, -v136
	v_add_f32_e32 v109, 0, v109
	s_waitcnt vmcnt(12)
	v_fma_f32 v111, v113, v150, -v137
	v_add_f32_e32 v109, v109, v110
	v_fmac_f32_e32 v164, v112, v149
	s_waitcnt vmcnt(11)
	v_fma_f32 v112, v115, v151, -v138
	v_add_f32_e32 v109, v109, v111
	s_waitcnt vmcnt(10)
	v_fma_f32 v113, v117, v152, -v139
	v_add_f32_e32 v109, v109, v112
	v_fmac_f32_e32 v165, v114, v150
	s_waitcnt vmcnt(9)
	v_fma_f32 v114, v119, v153, -v140
	v_add_f32_e32 v109, v109, v113
	v_mul_f32_e32 v111, v122, v141
	v_add_f32_e32 v109, v109, v114
	s_waitcnt vmcnt(8)
	v_fma_f32 v111, v121, v154, -v111
	v_add_f32_e32 v109, v109, v111
	v_mul_f32_e32 v111, v124, v142
	v_add_f32_e32 v115, 0, v163
	s_waitcnt vmcnt(7)
	v_fma_f32 v111, v123, v155, -v111
	v_add_f32_e32 v115, v115, v164
	v_add_f32_e32 v109, v109, v111
	s_waitcnt lgkmcnt(2)
	v_mul_f32_e32 v111, v126, v143
	v_fmac_f32_e32 v166, v116, v151
	v_add_f32_e32 v110, v115, v165
	s_waitcnt vmcnt(6)
	v_fma_f32 v111, v125, v156, -v111
	v_fmac_f32_e32 v167, v118, v152
	v_add_f32_e32 v110, v110, v166
	v_add_f32_e32 v109, v109, v111
	v_mul_f32_e32 v111, v128, v144
	v_fmac_f32_e32 v168, v120, v153
	v_add_f32_e32 v110, v110, v167
	s_waitcnt vmcnt(5)
	v_fma_f32 v111, v127, v157, -v111
	v_mul_f32_e32 v170, v123, v142
	v_fmac_f32_e32 v169, v122, v154
	v_add_f32_e32 v110, v110, v168
	v_add_f32_e32 v109, v109, v111
	s_waitcnt lgkmcnt(1)
	v_mul_f32_e32 v111, v130, v145
	v_mul_f32_e32 v171, v125, v143
	v_fmac_f32_e32 v170, v124, v155
	v_add_f32_e32 v110, v110, v169
	s_waitcnt vmcnt(4)
	v_fma_f32 v111, v129, v158, -v111
	v_mul_f32_e32 v172, v127, v144
	v_fmac_f32_e32 v171, v126, v156
	v_add_f32_e32 v110, v110, v170
	v_add_f32_e32 v109, v109, v111
	v_mul_f32_e32 v111, v132, v146
	v_mul_f32_e32 v173, v129, v145
	v_fmac_f32_e32 v172, v128, v157
	v_add_f32_e32 v110, v110, v171
	s_waitcnt vmcnt(3)
	v_fma_f32 v111, v131, v159, -v111
	v_mul_f32_e32 v174, v131, v146
	v_fmac_f32_e32 v173, v130, v158
	v_add_f32_e32 v110, v110, v172
	v_add_f32_e32 v109, v109, v111
	s_waitcnt lgkmcnt(0)
	v_mul_f32_e32 v111, v134, v147
	v_mul_f32_e32 v175, v133, v147
	v_fmac_f32_e32 v174, v132, v159
	v_add_f32_e32 v110, v110, v173
	s_waitcnt vmcnt(2)
	v_fma_f32 v111, v133, v160, -v111
	v_fmac_f32_e32 v175, v134, v160
	v_add_f32_e32 v110, v110, v174
	v_add_f32_e32 v109, v109, v111
	v_add_f32_e32 v110, v110, v175
	s_waitcnt vmcnt(1)
	v_sub_f32_e32 v109, v161, v109
	s_waitcnt vmcnt(0)
	v_sub_f32_e32 v110, v162, v110
	buffer_store_dword v109, off, s[0:3], 0 offset:312
	buffer_store_dword v110, off, s[0:3], 0 offset:316
	s_and_saveexec_b64 s[4:5], vcc
	s_cbranch_execz .LBB52_255
; %bb.254:
	buffer_load_dword v109, off, s[0:3], 0 offset:304
	buffer_load_dword v110, off, s[0:3], 0 offset:308
	s_waitcnt vmcnt(0)
	ds_write_b64 v107, v[109:110]
	buffer_store_dword v108, off, s[0:3], 0 offset:304
	buffer_store_dword v108, off, s[0:3], 0 offset:308
.LBB52_255:
	s_or_b64 exec, exec, s[4:5]
	s_waitcnt lgkmcnt(0)
	; wave barrier
	buffer_load_dword v137, off, s[0:3], 0 offset:316
	buffer_load_dword v138, off, s[0:3], 0 offset:324
	;; [unrolled: 1-line block ×30, first 2 shown]
	ds_read2_b64 v[109:112], v108 offset0:93 offset1:94
	ds_read2_b64 v[113:116], v108 offset0:95 offset1:96
	;; [unrolled: 1-line block ×7, first 2 shown]
	v_cmp_lt_u32_e32 vcc, 37, v0
	s_waitcnt vmcnt(29) lgkmcnt(6)
	v_mul_f32_e32 v108, v109, v137
	v_mul_f32_e32 v137, v110, v137
	s_waitcnt vmcnt(28)
	v_mul_f32_e32 v167, v111, v138
	v_mul_f32_e32 v138, v112, v138
	s_waitcnt vmcnt(27) lgkmcnt(5)
	v_mul_f32_e32 v168, v113, v139
	v_mul_f32_e32 v139, v114, v139
	s_waitcnt vmcnt(26)
	v_mul_f32_e32 v169, v115, v140
	v_mul_f32_e32 v140, v116, v140
	s_waitcnt vmcnt(25) lgkmcnt(4)
	v_mul_f32_e32 v170, v117, v141
	v_mul_f32_e32 v141, v118, v141
	s_waitcnt vmcnt(24)
	v_mul_f32_e32 v171, v119, v142
	s_waitcnt vmcnt(23) lgkmcnt(3)
	v_mul_f32_e32 v172, v121, v143
	s_waitcnt vmcnt(22)
	v_mul_f32_e32 v173, v123, v144
	s_waitcnt vmcnt(21) lgkmcnt(2)
	v_mul_f32_e32 v174, v125, v145
	s_waitcnt vmcnt(15)
	v_fma_f32 v109, v109, v151, -v137
	v_fmac_f32_e32 v108, v110, v151
	s_waitcnt vmcnt(14)
	v_fma_f32 v110, v111, v152, -v138
	v_add_f32_e32 v109, 0, v109
	s_waitcnt vmcnt(13)
	v_fma_f32 v111, v113, v153, -v139
	v_add_f32_e32 v109, v109, v110
	v_fmac_f32_e32 v167, v112, v152
	s_waitcnt vmcnt(12)
	v_fma_f32 v112, v115, v154, -v140
	v_add_f32_e32 v109, v109, v111
	s_waitcnt vmcnt(11)
	v_fma_f32 v113, v117, v155, -v141
	v_add_f32_e32 v109, v109, v112
	v_mul_f32_e32 v110, v120, v142
	v_add_f32_e32 v109, v109, v113
	s_waitcnt vmcnt(10)
	v_fma_f32 v110, v119, v156, -v110
	v_add_f32_e32 v109, v109, v110
	v_mul_f32_e32 v110, v122, v143
	s_waitcnt vmcnt(9)
	v_fma_f32 v110, v121, v157, -v110
	v_add_f32_e32 v109, v109, v110
	v_mul_f32_e32 v110, v124, v144
	s_waitcnt vmcnt(8)
	v_fma_f32 v110, v123, v158, -v110
	v_add_f32_e32 v108, 0, v108
	v_add_f32_e32 v109, v109, v110
	v_mul_f32_e32 v110, v126, v145
	v_fmac_f32_e32 v168, v114, v153
	v_add_f32_e32 v108, v108, v167
	s_waitcnt vmcnt(7)
	v_fma_f32 v110, v125, v159, -v110
	v_fmac_f32_e32 v169, v116, v154
	v_add_f32_e32 v108, v108, v168
	v_add_f32_e32 v109, v109, v110
	v_mul_f32_e32 v110, v128, v146
	v_fmac_f32_e32 v170, v118, v155
	v_add_f32_e32 v108, v108, v169
	s_waitcnt vmcnt(6)
	v_fma_f32 v110, v127, v160, -v110
	v_fmac_f32_e32 v171, v120, v156
	v_add_f32_e32 v108, v108, v170
	v_add_f32_e32 v109, v109, v110
	s_waitcnt lgkmcnt(1)
	v_mul_f32_e32 v110, v130, v147
	v_fmac_f32_e32 v172, v122, v157
	v_add_f32_e32 v108, v108, v171
	s_waitcnt vmcnt(5)
	v_fma_f32 v110, v129, v161, -v110
	v_fmac_f32_e32 v173, v124, v158
	v_add_f32_e32 v108, v108, v172
	v_add_f32_e32 v109, v109, v110
	v_mul_f32_e32 v110, v132, v148
	v_mul_f32_e32 v175, v127, v146
	v_fmac_f32_e32 v174, v126, v159
	v_add_f32_e32 v108, v108, v173
	s_waitcnt vmcnt(4)
	v_fma_f32 v110, v131, v162, -v110
	v_mul_f32_e32 v176, v129, v147
	v_fmac_f32_e32 v175, v128, v160
	v_add_f32_e32 v108, v108, v174
	v_add_f32_e32 v109, v109, v110
	s_waitcnt lgkmcnt(0)
	v_mul_f32_e32 v110, v134, v149
	v_mul_f32_e32 v177, v131, v148
	v_fmac_f32_e32 v176, v130, v161
	v_add_f32_e32 v108, v108, v175
	s_waitcnt vmcnt(3)
	v_fma_f32 v110, v133, v163, -v110
	v_mul_f32_e32 v178, v133, v149
	v_fmac_f32_e32 v177, v132, v162
	v_add_f32_e32 v108, v108, v176
	v_add_f32_e32 v109, v109, v110
	v_mul_f32_e32 v110, v136, v150
	v_mul_f32_e32 v179, v135, v150
	v_fmac_f32_e32 v178, v134, v163
	v_add_f32_e32 v108, v108, v177
	s_waitcnt vmcnt(2)
	v_fma_f32 v110, v135, v164, -v110
	v_fmac_f32_e32 v179, v136, v164
	v_add_f32_e32 v108, v108, v178
	v_add_f32_e32 v109, v109, v110
	;; [unrolled: 1-line block ×3, first 2 shown]
	s_waitcnt vmcnt(1)
	v_sub_f32_e32 v109, v165, v109
	s_waitcnt vmcnt(0)
	v_sub_f32_e32 v108, v166, v108
	buffer_store_dword v109, off, s[0:3], 0 offset:304
	buffer_store_dword v108, off, s[0:3], 0 offset:308
	s_and_saveexec_b64 s[4:5], vcc
	s_cbranch_execz .LBB52_257
; %bb.256:
	buffer_load_dword v108, off, s[0:3], 0 offset:296
	buffer_load_dword v109, off, s[0:3], 0 offset:300
	v_mov_b32_e32 v110, 0
	buffer_store_dword v110, off, s[0:3], 0 offset:296
	buffer_store_dword v110, off, s[0:3], 0 offset:300
	s_waitcnt vmcnt(2)
	ds_write_b64 v107, v[108:109]
.LBB52_257:
	s_or_b64 exec, exec, s[4:5]
	s_waitcnt lgkmcnt(0)
	; wave barrier
	buffer_load_dword v139, off, s[0:3], 0 offset:308
	buffer_load_dword v140, off, s[0:3], 0 offset:316
	;; [unrolled: 1-line block ×32, first 2 shown]
	v_mov_b32_e32 v108, 0
	ds_read_b128 v[109:112], v108 offset:736
	ds_read_b128 v[113:116], v108 offset:752
	ds_read_b128 v[117:120], v108 offset:768
	ds_read_b128 v[121:124], v108 offset:784
	ds_read_b128 v[125:128], v108 offset:800
	ds_read_b128 v[129:132], v108 offset:816
	ds_read_b128 v[133:136], v108 offset:832
	ds_read_b64 v[137:138], v108 offset:848
	v_cmp_lt_u32_e32 vcc, 36, v0
	s_waitcnt vmcnt(31) lgkmcnt(7)
	v_mul_f32_e32 v171, v109, v139
	v_mul_f32_e32 v139, v110, v139
	s_waitcnt vmcnt(30)
	v_mul_f32_e32 v172, v111, v140
	v_mul_f32_e32 v140, v112, v140
	s_waitcnt vmcnt(29) lgkmcnt(6)
	v_mul_f32_e32 v173, v113, v141
	v_mul_f32_e32 v141, v114, v141
	s_waitcnt vmcnt(28)
	v_mul_f32_e32 v174, v115, v142
	s_waitcnt vmcnt(27) lgkmcnt(5)
	v_mul_f32_e32 v175, v117, v143
	s_waitcnt vmcnt(26)
	v_mul_f32_e32 v176, v119, v144
	s_waitcnt vmcnt(25) lgkmcnt(4)
	;; [unrolled: 4-line block ×4, first 2 shown]
	v_mul_f32_e32 v181, v129, v149
	s_waitcnt vmcnt(20)
	v_mul_f32_e32 v182, v131, v150
	s_waitcnt vmcnt(16)
	v_fma_f32 v109, v109, v154, -v139
	v_fmac_f32_e32 v171, v110, v154
	s_waitcnt vmcnt(15)
	v_fma_f32 v110, v111, v155, -v140
	v_add_f32_e32 v109, 0, v109
	s_waitcnt vmcnt(14)
	v_fma_f32 v111, v113, v156, -v141
	v_add_f32_e32 v109, v109, v110
	v_add_f32_e32 v109, v109, v111
	v_mul_f32_e32 v111, v116, v142
	s_waitcnt vmcnt(13)
	v_fma_f32 v111, v115, v157, -v111
	v_add_f32_e32 v109, v109, v111
	v_mul_f32_e32 v111, v118, v143
	s_waitcnt vmcnt(12)
	v_fma_f32 v111, v117, v158, -v111
	;; [unrolled: 4-line block ×5, first 2 shown]
	v_add_f32_e32 v109, v109, v111
	v_mul_f32_e32 v111, v126, v147
	v_fmac_f32_e32 v172, v112, v155
	v_add_f32_e32 v112, 0, v171
	s_waitcnt vmcnt(8)
	v_fma_f32 v111, v125, v162, -v111
	v_fmac_f32_e32 v173, v114, v156
	v_add_f32_e32 v112, v112, v172
	v_add_f32_e32 v109, v109, v111
	v_mul_f32_e32 v111, v128, v148
	v_fmac_f32_e32 v174, v116, v157
	v_add_f32_e32 v110, v112, v173
	s_waitcnt vmcnt(7)
	v_fma_f32 v111, v127, v163, -v111
	v_fmac_f32_e32 v175, v118, v158
	v_add_f32_e32 v110, v110, v174
	;; [unrolled: 8-line block ×4, first 2 shown]
	v_add_f32_e32 v109, v109, v111
	s_waitcnt lgkmcnt(1)
	v_mul_f32_e32 v111, v134, v151
	v_fmac_f32_e32 v180, v128, v163
	v_add_f32_e32 v110, v110, v179
	s_waitcnt vmcnt(4)
	v_fma_f32 v111, v133, v166, -v111
	v_fmac_f32_e32 v181, v130, v164
	v_add_f32_e32 v110, v110, v180
	v_add_f32_e32 v109, v109, v111
	v_mul_f32_e32 v111, v136, v152
	v_mul_f32_e32 v183, v133, v151
	v_fmac_f32_e32 v182, v132, v165
	v_add_f32_e32 v110, v110, v181
	s_waitcnt vmcnt(3)
	v_fma_f32 v111, v135, v167, -v111
	v_mul_f32_e32 v184, v135, v152
	v_fmac_f32_e32 v183, v134, v166
	v_add_f32_e32 v110, v110, v182
	v_add_f32_e32 v109, v109, v111
	s_waitcnt lgkmcnt(0)
	v_mul_f32_e32 v111, v138, v153
	v_mul_f32_e32 v185, v137, v153
	v_fmac_f32_e32 v184, v136, v167
	v_add_f32_e32 v110, v110, v183
	s_waitcnt vmcnt(2)
	v_fma_f32 v111, v137, v168, -v111
	v_fmac_f32_e32 v185, v138, v168
	v_add_f32_e32 v110, v110, v184
	v_add_f32_e32 v109, v109, v111
	;; [unrolled: 1-line block ×3, first 2 shown]
	s_waitcnt vmcnt(1)
	v_sub_f32_e32 v109, v169, v109
	s_waitcnt vmcnt(0)
	v_sub_f32_e32 v110, v170, v110
	buffer_store_dword v109, off, s[0:3], 0 offset:296
	buffer_store_dword v110, off, s[0:3], 0 offset:300
	s_and_saveexec_b64 s[4:5], vcc
	s_cbranch_execz .LBB52_259
; %bb.258:
	buffer_load_dword v109, off, s[0:3], 0 offset:288
	buffer_load_dword v110, off, s[0:3], 0 offset:292
	s_waitcnt vmcnt(0)
	ds_write_b64 v107, v[109:110]
	buffer_store_dword v108, off, s[0:3], 0 offset:288
	buffer_store_dword v108, off, s[0:3], 0 offset:292
.LBB52_259:
	s_or_b64 exec, exec, s[4:5]
	s_waitcnt lgkmcnt(0)
	; wave barrier
	buffer_load_dword v141, off, s[0:3], 0 offset:300
	buffer_load_dword v142, off, s[0:3], 0 offset:308
	buffer_load_dword v143, off, s[0:3], 0 offset:316
	buffer_load_dword v144, off, s[0:3], 0 offset:324
	buffer_load_dword v145, off, s[0:3], 0 offset:332
	buffer_load_dword v146, off, s[0:3], 0 offset:340
	buffer_load_dword v147, off, s[0:3], 0 offset:348
	buffer_load_dword v148, off, s[0:3], 0 offset:356
	buffer_load_dword v149, off, s[0:3], 0 offset:364
	buffer_load_dword v150, off, s[0:3], 0 offset:372
	buffer_load_dword v151, off, s[0:3], 0 offset:380
	buffer_load_dword v152, off, s[0:3], 0 offset:388
	buffer_load_dword v153, off, s[0:3], 0 offset:396
	buffer_load_dword v154, off, s[0:3], 0 offset:404
	buffer_load_dword v155, off, s[0:3], 0 offset:412
	buffer_load_dword v156, off, s[0:3], 0 offset:420
	buffer_load_dword v157, off, s[0:3], 0 offset:296
	buffer_load_dword v158, off, s[0:3], 0 offset:304
	buffer_load_dword v159, off, s[0:3], 0 offset:312
	buffer_load_dword v160, off, s[0:3], 0 offset:320
	buffer_load_dword v161, off, s[0:3], 0 offset:328
	buffer_load_dword v162, off, s[0:3], 0 offset:336
	buffer_load_dword v163, off, s[0:3], 0 offset:344
	buffer_load_dword v164, off, s[0:3], 0 offset:352
	buffer_load_dword v165, off, s[0:3], 0 offset:360
	buffer_load_dword v166, off, s[0:3], 0 offset:368
	buffer_load_dword v167, off, s[0:3], 0 offset:376
	buffer_load_dword v168, off, s[0:3], 0 offset:384
	buffer_load_dword v169, off, s[0:3], 0 offset:392
	buffer_load_dword v170, off, s[0:3], 0 offset:400
	buffer_load_dword v171, off, s[0:3], 0 offset:408
	buffer_load_dword v172, off, s[0:3], 0 offset:416
	buffer_load_dword v173, off, s[0:3], 0 offset:288
	buffer_load_dword v174, off, s[0:3], 0 offset:292
	ds_read2_b64 v[109:112], v108 offset0:91 offset1:92
	ds_read2_b64 v[113:116], v108 offset0:93 offset1:94
	ds_read2_b64 v[117:120], v108 offset0:95 offset1:96
	ds_read2_b64 v[121:124], v108 offset0:97 offset1:98
	ds_read2_b64 v[125:128], v108 offset0:99 offset1:100
	ds_read2_b64 v[129:132], v108 offset0:101 offset1:102
	ds_read2_b64 v[133:136], v108 offset0:103 offset1:104
	ds_read2_b64 v[137:140], v108 offset0:105 offset1:106
	v_cmp_lt_u32_e32 vcc, 35, v0
	s_waitcnt vmcnt(33) lgkmcnt(7)
	v_mul_f32_e32 v108, v109, v141
	v_mul_f32_e32 v141, v110, v141
	s_waitcnt vmcnt(32)
	v_mul_f32_e32 v175, v111, v142
	v_mul_f32_e32 v142, v112, v142
	s_waitcnt vmcnt(31) lgkmcnt(6)
	v_mul_f32_e32 v176, v113, v143
	s_waitcnt vmcnt(30)
	v_mul_f32_e32 v177, v115, v144
	s_waitcnt vmcnt(29) lgkmcnt(5)
	v_mul_f32_e32 v178, v117, v145
	s_waitcnt vmcnt(28)
	;; [unrolled: 4-line block ×6, first 2 shown]
	v_mul_f32_e32 v187, v135, v154
	s_waitcnt vmcnt(17)
	v_fma_f32 v109, v109, v157, -v141
	v_fmac_f32_e32 v108, v110, v157
	s_waitcnt vmcnt(16)
	v_fma_f32 v110, v111, v158, -v142
	v_add_f32_e32 v109, 0, v109
	v_add_f32_e32 v109, v109, v110
	v_mul_f32_e32 v110, v114, v143
	s_waitcnt vmcnt(15)
	v_fma_f32 v110, v113, v159, -v110
	v_add_f32_e32 v109, v109, v110
	v_mul_f32_e32 v110, v116, v144
	s_waitcnt vmcnt(14)
	v_fma_f32 v110, v115, v160, -v110
	;; [unrolled: 4-line block ×7, first 2 shown]
	v_fmac_f32_e32 v175, v112, v158
	v_add_f32_e32 v108, 0, v108
	v_add_f32_e32 v109, v109, v110
	v_mul_f32_e32 v110, v128, v150
	v_fmac_f32_e32 v176, v114, v159
	v_add_f32_e32 v108, v108, v175
	s_waitcnt vmcnt(8)
	v_fma_f32 v110, v127, v166, -v110
	v_fmac_f32_e32 v177, v116, v160
	v_add_f32_e32 v108, v108, v176
	v_add_f32_e32 v109, v109, v110
	v_mul_f32_e32 v110, v130, v151
	v_fmac_f32_e32 v178, v118, v161
	v_add_f32_e32 v108, v108, v177
	s_waitcnt vmcnt(7)
	v_fma_f32 v110, v129, v167, -v110
	;; [unrolled: 8-line block ×5, first 2 shown]
	v_fmac_f32_e32 v185, v132, v168
	v_add_f32_e32 v108, v108, v184
	v_add_f32_e32 v109, v109, v110
	s_waitcnt lgkmcnt(0)
	v_mul_f32_e32 v110, v138, v155
	v_fmac_f32_e32 v186, v134, v169
	v_add_f32_e32 v108, v108, v185
	s_waitcnt vmcnt(3)
	v_fma_f32 v110, v137, v171, -v110
	v_mul_f32_e32 v188, v137, v155
	v_fmac_f32_e32 v187, v136, v170
	v_add_f32_e32 v108, v108, v186
	v_add_f32_e32 v109, v109, v110
	v_mul_f32_e32 v110, v140, v156
	v_mul_f32_e32 v189, v139, v156
	v_fmac_f32_e32 v188, v138, v171
	v_add_f32_e32 v108, v108, v187
	s_waitcnt vmcnt(2)
	v_fma_f32 v110, v139, v172, -v110
	v_fmac_f32_e32 v189, v140, v172
	v_add_f32_e32 v108, v108, v188
	v_add_f32_e32 v109, v109, v110
	;; [unrolled: 1-line block ×3, first 2 shown]
	s_waitcnt vmcnt(1)
	v_sub_f32_e32 v109, v173, v109
	s_waitcnt vmcnt(0)
	v_sub_f32_e32 v108, v174, v108
	buffer_store_dword v109, off, s[0:3], 0 offset:288
	buffer_store_dword v108, off, s[0:3], 0 offset:292
	s_and_saveexec_b64 s[4:5], vcc
	s_cbranch_execz .LBB52_261
; %bb.260:
	buffer_load_dword v108, off, s[0:3], 0 offset:280
	buffer_load_dword v109, off, s[0:3], 0 offset:284
	v_mov_b32_e32 v110, 0
	buffer_store_dword v110, off, s[0:3], 0 offset:280
	buffer_store_dword v110, off, s[0:3], 0 offset:284
	s_waitcnt vmcnt(2)
	ds_write_b64 v107, v[108:109]
.LBB52_261:
	s_or_b64 exec, exec, s[4:5]
	s_waitcnt lgkmcnt(0)
	; wave barrier
	buffer_load_dword v143, off, s[0:3], 0 offset:292
	buffer_load_dword v144, off, s[0:3], 0 offset:300
	;; [unrolled: 1-line block ×36, first 2 shown]
	v_mov_b32_e32 v108, 0
	ds_read_b128 v[109:112], v108 offset:720
	ds_read_b128 v[113:116], v108 offset:736
	;; [unrolled: 1-line block ×8, first 2 shown]
	ds_read_b64 v[141:142], v108 offset:848
	v_cmp_lt_u32_e32 vcc, 34, v0
	s_waitcnt vmcnt(35) lgkmcnt(8)
	v_mul_f32_e32 v179, v109, v143
	s_waitcnt vmcnt(34)
	v_mul_f32_e32 v180, v111, v144
	s_waitcnt vmcnt(33) lgkmcnt(7)
	v_mul_f32_e32 v181, v113, v145
	s_waitcnt vmcnt(32)
	v_mul_f32_e32 v182, v115, v146
	;; [unrolled: 4-line block ×8, first 2 shown]
	s_waitcnt vmcnt(19) lgkmcnt(0)
	v_mul_f32_e32 v195, v141, v159
	s_waitcnt vmcnt(18)
	v_fmac_f32_e32 v179, v110, v160
	v_mul_f32_e32 v110, v110, v143
	v_fma_f32 v109, v109, v160, -v110
	v_mul_f32_e32 v110, v112, v144
	v_add_f32_e32 v109, 0, v109
	s_waitcnt vmcnt(17)
	v_fma_f32 v110, v111, v161, -v110
	v_add_f32_e32 v109, v109, v110
	v_mul_f32_e32 v110, v114, v145
	s_waitcnt vmcnt(16)
	v_fma_f32 v110, v113, v162, -v110
	v_add_f32_e32 v109, v109, v110
	v_mul_f32_e32 v110, v116, v146
	;; [unrolled: 4-line block ×8, first 2 shown]
	v_fmac_f32_e32 v180, v112, v161
	v_add_f32_e32 v179, 0, v179
	s_waitcnt vmcnt(9)
	v_fma_f32 v110, v127, v169, -v110
	v_fmac_f32_e32 v181, v114, v162
	v_add_f32_e32 v179, v179, v180
	v_add_f32_e32 v109, v109, v110
	v_mul_f32_e32 v110, v130, v153
	v_fmac_f32_e32 v182, v116, v163
	v_add_f32_e32 v179, v179, v181
	s_waitcnt vmcnt(8)
	v_fma_f32 v110, v129, v170, -v110
	v_fmac_f32_e32 v183, v118, v164
	v_add_f32_e32 v179, v179, v182
	v_add_f32_e32 v109, v109, v110
	v_mul_f32_e32 v110, v132, v154
	;; [unrolled: 8-line block ×7, first 2 shown]
	v_fmac_f32_e32 v194, v140, v175
	v_add_f32_e32 v179, v179, v193
	s_waitcnt vmcnt(2)
	v_fma_f32 v110, v141, v176, -v110
	v_fmac_f32_e32 v195, v142, v176
	v_add_f32_e32 v179, v179, v194
	v_add_f32_e32 v109, v109, v110
	;; [unrolled: 1-line block ×3, first 2 shown]
	s_waitcnt vmcnt(1)
	v_sub_f32_e32 v109, v177, v109
	s_waitcnt vmcnt(0)
	v_sub_f32_e32 v110, v178, v179
	buffer_store_dword v109, off, s[0:3], 0 offset:280
	buffer_store_dword v110, off, s[0:3], 0 offset:284
	s_and_saveexec_b64 s[4:5], vcc
	s_cbranch_execz .LBB52_263
; %bb.262:
	buffer_load_dword v109, off, s[0:3], 0 offset:272
	buffer_load_dword v110, off, s[0:3], 0 offset:276
	s_waitcnt vmcnt(0)
	ds_write_b64 v107, v[109:110]
	buffer_store_dword v108, off, s[0:3], 0 offset:272
	buffer_store_dword v108, off, s[0:3], 0 offset:276
.LBB52_263:
	s_or_b64 exec, exec, s[4:5]
	s_waitcnt lgkmcnt(0)
	; wave barrier
	buffer_load_dword v145, off, s[0:3], 0 offset:284
	buffer_load_dword v146, off, s[0:3], 0 offset:292
	;; [unrolled: 1-line block ×38, first 2 shown]
	ds_read2_b64 v[109:112], v108 offset0:89 offset1:90
	ds_read2_b64 v[113:116], v108 offset0:91 offset1:92
	ds_read2_b64 v[117:120], v108 offset0:93 offset1:94
	ds_read2_b64 v[121:124], v108 offset0:95 offset1:96
	ds_read2_b64 v[125:128], v108 offset0:97 offset1:98
	ds_read2_b64 v[129:132], v108 offset0:99 offset1:100
	ds_read2_b64 v[133:136], v108 offset0:101 offset1:102
	ds_read2_b64 v[137:140], v108 offset0:103 offset1:104
	ds_read2_b64 v[141:144], v108 offset0:105 offset1:106
	v_cmp_lt_u32_e32 vcc, 33, v0
	s_waitcnt vmcnt(37) lgkmcnt(8)
	v_mul_f32_e32 v108, v109, v145
	s_waitcnt vmcnt(36)
	v_mul_f32_e32 v183, v111, v146
	s_waitcnt vmcnt(35) lgkmcnt(7)
	v_mul_f32_e32 v184, v113, v147
	s_waitcnt vmcnt(34)
	v_mul_f32_e32 v185, v115, v148
	s_waitcnt vmcnt(33) lgkmcnt(6)
	v_mul_f32_e32 v186, v117, v149
	s_waitcnt vmcnt(32)
	v_mul_f32_e32 v187, v119, v150
	s_waitcnt vmcnt(31) lgkmcnt(5)
	v_mul_f32_e32 v188, v121, v151
	s_waitcnt vmcnt(30)
	v_mul_f32_e32 v189, v123, v152
	s_waitcnt vmcnt(29) lgkmcnt(4)
	v_mul_f32_e32 v190, v125, v153
	s_waitcnt vmcnt(28)
	v_mul_f32_e32 v191, v127, v154
	s_waitcnt vmcnt(27) lgkmcnt(3)
	v_mul_f32_e32 v192, v129, v155
	s_waitcnt vmcnt(26)
	v_mul_f32_e32 v193, v131, v156
	s_waitcnt vmcnt(25) lgkmcnt(2)
	v_mul_f32_e32 v194, v133, v157
	s_waitcnt vmcnt(24)
	v_mul_f32_e32 v195, v135, v158
	s_waitcnt vmcnt(23) lgkmcnt(1)
	v_mul_f32_e32 v196, v137, v159
	s_waitcnt vmcnt(22)
	v_mul_f32_e32 v197, v139, v160
	s_waitcnt vmcnt(21) lgkmcnt(0)
	v_mul_f32_e32 v198, v141, v161
	s_waitcnt vmcnt(20)
	v_fmac_f32_e32 v108, v110, v162
	v_mul_f32_e32 v110, v110, v145
	v_fma_f32 v109, v109, v162, -v110
	v_mul_f32_e32 v110, v112, v146
	v_add_f32_e32 v109, 0, v109
	s_waitcnt vmcnt(19)
	v_fma_f32 v110, v111, v163, -v110
	v_add_f32_e32 v109, v109, v110
	v_mul_f32_e32 v110, v114, v147
	s_waitcnt vmcnt(18)
	v_fma_f32 v110, v113, v164, -v110
	v_add_f32_e32 v109, v109, v110
	v_mul_f32_e32 v110, v116, v148
	;; [unrolled: 4-line block ×8, first 2 shown]
	s_waitcnt vmcnt(11)
	v_fma_f32 v110, v127, v171, -v110
	v_fmac_f32_e32 v183, v112, v163
	v_add_f32_e32 v108, 0, v108
	v_add_f32_e32 v109, v109, v110
	v_mul_f32_e32 v110, v130, v155
	v_fmac_f32_e32 v184, v114, v164
	v_add_f32_e32 v108, v108, v183
	s_waitcnt vmcnt(10)
	v_fma_f32 v110, v129, v172, -v110
	v_fmac_f32_e32 v185, v116, v165
	v_add_f32_e32 v108, v108, v184
	v_add_f32_e32 v109, v109, v110
	v_mul_f32_e32 v110, v132, v156
	v_fmac_f32_e32 v186, v118, v166
	v_add_f32_e32 v108, v108, v185
	;; [unrolled: 8-line block ×7, first 2 shown]
	s_waitcnt vmcnt(4)
	v_fma_f32 v110, v141, v178, -v110
	v_fmac_f32_e32 v197, v140, v177
	v_add_f32_e32 v108, v108, v196
	v_add_f32_e32 v109, v109, v110
	s_waitcnt vmcnt(3)
	v_mul_f32_e32 v110, v144, v179
	v_add_f32_e32 v108, v108, v197
	v_fmac_f32_e32 v198, v142, v178
	v_mul_f32_e32 v183, v143, v179
	s_waitcnt vmcnt(2)
	v_fma_f32 v110, v143, v180, -v110
	v_add_f32_e32 v108, v108, v198
	v_fmac_f32_e32 v183, v144, v180
	v_add_f32_e32 v109, v109, v110
	v_add_f32_e32 v108, v108, v183
	s_waitcnt vmcnt(1)
	v_sub_f32_e32 v109, v181, v109
	s_waitcnt vmcnt(0)
	v_sub_f32_e32 v108, v182, v108
	buffer_store_dword v109, off, s[0:3], 0 offset:272
	buffer_store_dword v108, off, s[0:3], 0 offset:276
	s_and_saveexec_b64 s[4:5], vcc
	s_cbranch_execz .LBB52_265
; %bb.264:
	buffer_load_dword v108, off, s[0:3], 0 offset:264
	buffer_load_dword v109, off, s[0:3], 0 offset:268
	v_mov_b32_e32 v110, 0
	buffer_store_dword v110, off, s[0:3], 0 offset:264
	buffer_store_dword v110, off, s[0:3], 0 offset:268
	s_waitcnt vmcnt(2)
	ds_write_b64 v107, v[108:109]
.LBB52_265:
	s_or_b64 exec, exec, s[4:5]
	s_waitcnt lgkmcnt(0)
	; wave barrier
	buffer_load_dword v147, off, s[0:3], 0 offset:276
	buffer_load_dword v148, off, s[0:3], 0 offset:284
	;; [unrolled: 1-line block ×40, first 2 shown]
	v_mov_b32_e32 v108, 0
	ds_read_b128 v[109:112], v108 offset:704
	ds_read_b128 v[113:116], v108 offset:720
	;; [unrolled: 1-line block ×9, first 2 shown]
	v_cmp_lt_u32_e32 vcc, 32, v0
	s_waitcnt vmcnt(39) lgkmcnt(8)
	v_mul_f32_e32 v145, v109, v147
	s_waitcnt vmcnt(38)
	v_mul_f32_e32 v146, v111, v148
	s_waitcnt vmcnt(37) lgkmcnt(7)
	v_mul_f32_e32 v187, v113, v149
	s_waitcnt vmcnt(36)
	v_mul_f32_e32 v188, v115, v150
	;; [unrolled: 4-line block ×7, first 2 shown]
	s_waitcnt vmcnt(25) lgkmcnt(1)
	v_mul_f32_e32 v199, v137, v161
	s_waitcnt vmcnt(24)
	v_fmac_f32_e32 v145, v110, v162
	v_mul_f32_e32 v110, v110, v147
	v_fma_f32 v109, v109, v162, -v110
	v_mul_f32_e32 v110, v112, v148
	v_add_f32_e32 v109, 0, v109
	s_waitcnt vmcnt(23)
	v_fma_f32 v110, v111, v163, -v110
	v_add_f32_e32 v109, v109, v110
	v_mul_f32_e32 v110, v114, v149
	s_waitcnt vmcnt(22)
	v_fma_f32 v110, v113, v164, -v110
	v_add_f32_e32 v109, v109, v110
	v_mul_f32_e32 v110, v116, v150
	;; [unrolled: 4-line block ×6, first 2 shown]
	s_waitcnt vmcnt(17)
	v_fma_f32 v110, v123, v169, -v110
	v_fmac_f32_e32 v146, v112, v163
	v_add_f32_e32 v145, 0, v145
	v_add_f32_e32 v109, v109, v110
	v_mul_f32_e32 v110, v126, v155
	v_fmac_f32_e32 v187, v114, v164
	v_add_f32_e32 v145, v145, v146
	s_waitcnt vmcnt(16)
	v_fma_f32 v110, v125, v170, -v110
	v_fmac_f32_e32 v188, v116, v165
	v_add_f32_e32 v145, v145, v187
	v_add_f32_e32 v109, v109, v110
	v_mul_f32_e32 v110, v128, v156
	v_fmac_f32_e32 v189, v118, v166
	v_add_f32_e32 v145, v145, v188
	;; [unrolled: 8-line block ×6, first 2 shown]
	s_waitcnt vmcnt(11)
	v_fma_f32 v110, v135, v175, -v110
	v_fmac_f32_e32 v198, v136, v175
	v_add_f32_e32 v145, v145, v197
	v_add_f32_e32 v109, v109, v110
	v_mul_f32_e32 v110, v138, v161
	s_waitcnt vmcnt(10)
	v_fmac_f32_e32 v199, v138, v176
	v_add_f32_e32 v145, v145, v198
	s_waitcnt vmcnt(9)
	v_mul_f32_e32 v146, v139, v177
	v_fma_f32 v110, v137, v176, -v110
	v_add_f32_e32 v145, v145, v199
	s_waitcnt vmcnt(8)
	v_fmac_f32_e32 v146, v140, v178
	v_add_f32_e32 v109, v109, v110
	v_mul_f32_e32 v110, v140, v177
	v_add_f32_e32 v187, v145, v146
	ds_read_b64 v[145:146], v108 offset:848
	v_fma_f32 v110, v139, v178, -v110
	v_add_f32_e32 v109, v109, v110
	s_waitcnt vmcnt(7) lgkmcnt(1)
	v_mul_f32_e32 v110, v142, v179
	v_mul_f32_e32 v188, v141, v179
	s_waitcnt vmcnt(6)
	v_fma_f32 v110, v141, v180, -v110
	v_fmac_f32_e32 v188, v142, v180
	v_add_f32_e32 v109, v109, v110
	s_waitcnt vmcnt(5)
	v_mul_f32_e32 v110, v144, v181
	v_add_f32_e32 v187, v187, v188
	v_mul_f32_e32 v188, v143, v181
	s_waitcnt vmcnt(4)
	v_fma_f32 v110, v143, v182, -v110
	v_fmac_f32_e32 v188, v144, v182
	v_add_f32_e32 v109, v109, v110
	s_waitcnt vmcnt(3) lgkmcnt(0)
	v_mul_f32_e32 v110, v146, v183
	v_add_f32_e32 v187, v187, v188
	v_mul_f32_e32 v188, v145, v183
	s_waitcnt vmcnt(2)
	v_fma_f32 v110, v145, v184, -v110
	v_fmac_f32_e32 v188, v146, v184
	v_add_f32_e32 v109, v109, v110
	v_add_f32_e32 v187, v187, v188
	s_waitcnt vmcnt(1)
	v_sub_f32_e32 v109, v185, v109
	s_waitcnt vmcnt(0)
	v_sub_f32_e32 v110, v186, v187
	buffer_store_dword v109, off, s[0:3], 0 offset:264
	buffer_store_dword v110, off, s[0:3], 0 offset:268
	s_and_saveexec_b64 s[4:5], vcc
	s_cbranch_execz .LBB52_267
; %bb.266:
	buffer_load_dword v109, off, s[0:3], 0 offset:256
	buffer_load_dword v110, off, s[0:3], 0 offset:260
	s_waitcnt vmcnt(0)
	ds_write_b64 v107, v[109:110]
	buffer_store_dword v108, off, s[0:3], 0 offset:256
	buffer_store_dword v108, off, s[0:3], 0 offset:260
.LBB52_267:
	s_or_b64 exec, exec, s[4:5]
	s_waitcnt lgkmcnt(0)
	; wave barrier
	buffer_load_dword v149, off, s[0:3], 0 offset:268
	buffer_load_dword v150, off, s[0:3], 0 offset:276
	buffer_load_dword v151, off, s[0:3], 0 offset:284
	buffer_load_dword v152, off, s[0:3], 0 offset:292
	buffer_load_dword v153, off, s[0:3], 0 offset:300
	buffer_load_dword v154, off, s[0:3], 0 offset:308
	buffer_load_dword v155, off, s[0:3], 0 offset:316
	buffer_load_dword v156, off, s[0:3], 0 offset:324
	buffer_load_dword v157, off, s[0:3], 0 offset:332
	buffer_load_dword v158, off, s[0:3], 0 offset:340
	buffer_load_dword v159, off, s[0:3], 0 offset:348
	buffer_load_dword v160, off, s[0:3], 0 offset:356
	buffer_load_dword v161, off, s[0:3], 0 offset:364
	buffer_load_dword v162, off, s[0:3], 0 offset:372
	buffer_load_dword v163, off, s[0:3], 0 offset:380
	buffer_load_dword v164, off, s[0:3], 0 offset:264
	buffer_load_dword v165, off, s[0:3], 0 offset:272
	buffer_load_dword v166, off, s[0:3], 0 offset:280
	buffer_load_dword v167, off, s[0:3], 0 offset:288
	buffer_load_dword v168, off, s[0:3], 0 offset:296
	buffer_load_dword v169, off, s[0:3], 0 offset:304
	buffer_load_dword v170, off, s[0:3], 0 offset:312
	buffer_load_dword v171, off, s[0:3], 0 offset:320
	buffer_load_dword v172, off, s[0:3], 0 offset:328
	buffer_load_dword v173, off, s[0:3], 0 offset:336
	buffer_load_dword v174, off, s[0:3], 0 offset:344
	buffer_load_dword v175, off, s[0:3], 0 offset:352
	buffer_load_dword v176, off, s[0:3], 0 offset:360
	buffer_load_dword v177, off, s[0:3], 0 offset:368
	buffer_load_dword v178, off, s[0:3], 0 offset:376
	buffer_load_dword v179, off, s[0:3], 0 offset:388
	buffer_load_dword v180, off, s[0:3], 0 offset:384
	buffer_load_dword v181, off, s[0:3], 0 offset:396
	buffer_load_dword v182, off, s[0:3], 0 offset:392
	buffer_load_dword v183, off, s[0:3], 0 offset:404
	buffer_load_dword v184, off, s[0:3], 0 offset:400
	buffer_load_dword v185, off, s[0:3], 0 offset:412
	buffer_load_dword v186, off, s[0:3], 0 offset:408
	buffer_load_dword v187, off, s[0:3], 0 offset:420
	buffer_load_dword v188, off, s[0:3], 0 offset:416
	buffer_load_dword v189, off, s[0:3], 0 offset:256
	buffer_load_dword v190, off, s[0:3], 0 offset:260
	ds_read2_b64 v[109:112], v108 offset0:87 offset1:88
	ds_read2_b64 v[113:116], v108 offset0:89 offset1:90
	;; [unrolled: 1-line block ×8, first 2 shown]
	v_cmp_lt_u32_e32 vcc, 31, v0
	s_waitcnt vmcnt(41) lgkmcnt(7)
	v_mul_f32_e32 v141, v109, v149
	s_waitcnt vmcnt(40)
	v_mul_f32_e32 v142, v111, v150
	s_waitcnt vmcnt(39) lgkmcnt(6)
	v_mul_f32_e32 v143, v113, v151
	s_waitcnt vmcnt(38)
	v_mul_f32_e32 v144, v115, v152
	;; [unrolled: 4-line block ×7, first 2 shown]
	s_waitcnt vmcnt(27) lgkmcnt(0)
	v_mul_f32_e32 v197, v137, v163
	s_waitcnt vmcnt(26)
	v_fmac_f32_e32 v141, v110, v164
	v_mul_f32_e32 v110, v110, v149
	v_fma_f32 v109, v109, v164, -v110
	v_mul_f32_e32 v110, v112, v150
	v_add_f32_e32 v109, 0, v109
	s_waitcnt vmcnt(25)
	v_fma_f32 v110, v111, v165, -v110
	v_add_f32_e32 v109, v109, v110
	v_mul_f32_e32 v110, v114, v151
	s_waitcnt vmcnt(24)
	v_fma_f32 v110, v113, v166, -v110
	v_add_f32_e32 v109, v109, v110
	v_mul_f32_e32 v110, v116, v152
	s_waitcnt vmcnt(23)
	v_fma_f32 v110, v115, v167, -v110
	v_add_f32_e32 v109, v109, v110
	v_mul_f32_e32 v110, v118, v153
	s_waitcnt vmcnt(22)
	v_fma_f32 v110, v117, v168, -v110
	v_add_f32_e32 v109, v109, v110
	v_mul_f32_e32 v110, v120, v154
	s_waitcnt vmcnt(21)
	v_fma_f32 v110, v119, v169, -v110
	v_add_f32_e32 v109, v109, v110
	v_mul_f32_e32 v110, v122, v155
	v_fmac_f32_e32 v142, v112, v165
	v_add_f32_e32 v141, 0, v141
	s_waitcnt vmcnt(20)
	v_fma_f32 v110, v121, v170, -v110
	v_fmac_f32_e32 v143, v114, v166
	v_add_f32_e32 v141, v141, v142
	v_add_f32_e32 v109, v109, v110
	v_mul_f32_e32 v110, v124, v156
	v_fmac_f32_e32 v144, v116, v167
	v_add_f32_e32 v141, v141, v143
	s_waitcnt vmcnt(19)
	v_fma_f32 v110, v123, v171, -v110
	v_fmac_f32_e32 v145, v118, v168
	v_add_f32_e32 v141, v141, v144
	v_add_f32_e32 v109, v109, v110
	v_mul_f32_e32 v110, v126, v157
	;; [unrolled: 8-line block ×5, first 2 shown]
	s_waitcnt vmcnt(15)
	v_fmac_f32_e32 v194, v132, v175
	v_add_f32_e32 v141, v141, v193
	v_fma_f32 v110, v131, v175, -v110
	s_waitcnt vmcnt(14)
	v_fmac_f32_e32 v195, v134, v176
	v_add_f32_e32 v141, v141, v194
	v_add_f32_e32 v109, v109, v110
	v_mul_f32_e32 v110, v134, v161
	s_waitcnt vmcnt(13)
	v_fmac_f32_e32 v196, v136, v177
	v_add_f32_e32 v141, v141, v195
	v_fma_f32 v110, v133, v176, -v110
	s_waitcnt vmcnt(12)
	v_fmac_f32_e32 v197, v138, v178
	v_add_f32_e32 v141, v141, v196
	v_add_f32_e32 v109, v109, v110
	v_mul_f32_e32 v110, v136, v162
	v_add_f32_e32 v145, v141, v197
	ds_read2_b64 v[141:144], v108 offset0:103 offset1:104
	v_fma_f32 v110, v135, v177, -v110
	v_add_f32_e32 v109, v109, v110
	v_mul_f32_e32 v110, v138, v163
	s_waitcnt vmcnt(11)
	v_mul_f32_e32 v146, v139, v179
	v_fma_f32 v110, v137, v178, -v110
	s_waitcnt vmcnt(10)
	v_fmac_f32_e32 v146, v140, v180
	v_add_f32_e32 v109, v109, v110
	v_mul_f32_e32 v110, v140, v179
	v_add_f32_e32 v191, v145, v146
	ds_read2_b64 v[145:148], v108 offset0:105 offset1:106
	v_fma_f32 v110, v139, v180, -v110
	v_add_f32_e32 v109, v109, v110
	s_waitcnt vmcnt(9) lgkmcnt(1)
	v_mul_f32_e32 v110, v142, v181
	v_mul_f32_e32 v108, v141, v181
	s_waitcnt vmcnt(8)
	v_fma_f32 v110, v141, v182, -v110
	v_fmac_f32_e32 v108, v142, v182
	v_add_f32_e32 v109, v109, v110
	s_waitcnt vmcnt(7)
	v_mul_f32_e32 v110, v144, v183
	v_add_f32_e32 v108, v191, v108
	v_mul_f32_e32 v191, v143, v183
	s_waitcnt vmcnt(6)
	v_fma_f32 v110, v143, v184, -v110
	v_fmac_f32_e32 v191, v144, v184
	v_add_f32_e32 v109, v109, v110
	s_waitcnt vmcnt(5) lgkmcnt(0)
	v_mul_f32_e32 v110, v146, v185
	v_add_f32_e32 v108, v108, v191
	v_mul_f32_e32 v191, v145, v185
	s_waitcnt vmcnt(4)
	v_fma_f32 v110, v145, v186, -v110
	v_fmac_f32_e32 v191, v146, v186
	v_add_f32_e32 v109, v109, v110
	s_waitcnt vmcnt(3)
	v_mul_f32_e32 v110, v148, v187
	v_add_f32_e32 v108, v108, v191
	v_mul_f32_e32 v191, v147, v187
	s_waitcnt vmcnt(2)
	v_fma_f32 v110, v147, v188, -v110
	v_fmac_f32_e32 v191, v148, v188
	v_add_f32_e32 v109, v109, v110
	v_add_f32_e32 v108, v108, v191
	s_waitcnt vmcnt(1)
	v_sub_f32_e32 v109, v189, v109
	s_waitcnt vmcnt(0)
	v_sub_f32_e32 v108, v190, v108
	buffer_store_dword v109, off, s[0:3], 0 offset:256
	buffer_store_dword v108, off, s[0:3], 0 offset:260
	s_and_saveexec_b64 s[4:5], vcc
	s_cbranch_execz .LBB52_269
; %bb.268:
	buffer_load_dword v108, off, s[0:3], 0 offset:248
	buffer_load_dword v109, off, s[0:3], 0 offset:252
	v_mov_b32_e32 v110, 0
	buffer_store_dword v110, off, s[0:3], 0 offset:248
	buffer_store_dword v110, off, s[0:3], 0 offset:252
	s_waitcnt vmcnt(2)
	ds_write_b64 v107, v[108:109]
.LBB52_269:
	s_or_b64 exec, exec, s[4:5]
	s_waitcnt lgkmcnt(0)
	; wave barrier
	buffer_load_dword v151, off, s[0:3], 0 offset:260
	buffer_load_dword v152, off, s[0:3], 0 offset:268
	;; [unrolled: 1-line block ×44, first 2 shown]
	v_mov_b32_e32 v108, 0
	ds_read_b128 v[109:112], v108 offset:688
	ds_read_b128 v[113:116], v108 offset:704
	;; [unrolled: 1-line block ×8, first 2 shown]
	v_cmp_lt_u32_e32 vcc, 30, v0
	s_waitcnt vmcnt(43) lgkmcnt(7)
	v_mul_f32_e32 v141, v109, v151
	s_waitcnt vmcnt(42)
	v_mul_f32_e32 v142, v111, v152
	s_waitcnt vmcnt(41) lgkmcnt(6)
	v_mul_f32_e32 v143, v113, v153
	s_waitcnt vmcnt(40)
	v_mul_f32_e32 v144, v115, v154
	;; [unrolled: 4-line block ×7, first 2 shown]
	s_waitcnt vmcnt(29)
	v_fmac_f32_e32 v141, v110, v165
	v_mul_f32_e32 v110, v110, v151
	v_fma_f32 v109, v109, v165, -v110
	v_mul_f32_e32 v110, v112, v152
	v_add_f32_e32 v109, 0, v109
	s_waitcnt vmcnt(28)
	v_fma_f32 v110, v111, v166, -v110
	v_add_f32_e32 v109, v109, v110
	v_mul_f32_e32 v110, v114, v153
	s_waitcnt vmcnt(27)
	v_fma_f32 v110, v113, v167, -v110
	v_add_f32_e32 v109, v109, v110
	v_mul_f32_e32 v110, v116, v154
	;; [unrolled: 4-line block ×4, first 2 shown]
	s_waitcnt vmcnt(24)
	v_fma_f32 v110, v119, v170, -v110
	v_fmac_f32_e32 v142, v112, v166
	v_add_f32_e32 v141, 0, v141
	v_add_f32_e32 v109, v109, v110
	v_mul_f32_e32 v110, v122, v157
	v_fmac_f32_e32 v143, v114, v167
	v_add_f32_e32 v141, v141, v142
	s_waitcnt vmcnt(23)
	v_fma_f32 v110, v121, v171, -v110
	v_fmac_f32_e32 v144, v116, v168
	v_add_f32_e32 v141, v141, v143
	v_add_f32_e32 v109, v109, v110
	v_mul_f32_e32 v110, v124, v158
	v_fmac_f32_e32 v145, v118, v169
	v_add_f32_e32 v141, v141, v144
	s_waitcnt vmcnt(22)
	v_fma_f32 v110, v123, v172, -v110
	v_fmac_f32_e32 v146, v120, v170
	v_add_f32_e32 v141, v141, v145
	v_add_f32_e32 v109, v109, v110
	v_mul_f32_e32 v110, v126, v159
	v_fmac_f32_e32 v147, v122, v171
	v_add_f32_e32 v141, v141, v146
	s_waitcnt vmcnt(21)
	v_fma_f32 v110, v125, v173, -v110
	v_fmac_f32_e32 v148, v124, v172
	v_add_f32_e32 v141, v141, v147
	v_add_f32_e32 v109, v109, v110
	v_mul_f32_e32 v110, v128, v160
	v_fmac_f32_e32 v149, v126, v173
	v_add_f32_e32 v141, v141, v148
	s_waitcnt vmcnt(20)
	v_fma_f32 v110, v127, v174, -v110
	v_fmac_f32_e32 v150, v128, v174
	v_add_f32_e32 v141, v141, v149
	v_add_f32_e32 v109, v109, v110
	v_mul_f32_e32 v110, v130, v161
	s_waitcnt vmcnt(19)
	v_fmac_f32_e32 v195, v130, v175
	v_add_f32_e32 v141, v141, v150
	v_fma_f32 v110, v129, v175, -v110
	s_waitcnt vmcnt(18)
	v_fmac_f32_e32 v196, v132, v176
	v_add_f32_e32 v141, v141, v195
	v_add_f32_e32 v109, v109, v110
	v_mul_f32_e32 v110, v132, v162
	s_waitcnt vmcnt(17)
	v_fmac_f32_e32 v197, v134, v177
	v_add_f32_e32 v141, v141, v196
	v_fma_f32 v110, v131, v176, -v110
	v_add_f32_e32 v141, v141, v197
	s_waitcnt vmcnt(16)
	v_fmac_f32_e32 v198, v136, v178
	s_waitcnt vmcnt(15) lgkmcnt(0)
	v_mul_f32_e32 v142, v137, v179
	v_add_f32_e32 v109, v109, v110
	v_mul_f32_e32 v110, v134, v163
	v_add_f32_e32 v141, v141, v198
	s_waitcnt vmcnt(14)
	v_fmac_f32_e32 v142, v138, v180
	v_fma_f32 v110, v133, v177, -v110
	v_add_f32_e32 v145, v141, v142
	ds_read_b128 v[141:144], v108 offset:816
	v_add_f32_e32 v109, v109, v110
	v_mul_f32_e32 v110, v136, v164
	v_fma_f32 v110, v135, v178, -v110
	v_add_f32_e32 v109, v109, v110
	v_mul_f32_e32 v110, v138, v179
	s_waitcnt vmcnt(13)
	v_mul_f32_e32 v146, v139, v181
	v_fma_f32 v110, v137, v180, -v110
	s_waitcnt vmcnt(12)
	v_fmac_f32_e32 v146, v140, v182
	v_add_f32_e32 v109, v109, v110
	v_mul_f32_e32 v110, v140, v181
	v_add_f32_e32 v149, v145, v146
	ds_read_b128 v[145:148], v108 offset:832
	s_waitcnt vmcnt(11) lgkmcnt(1)
	v_mul_f32_e32 v150, v141, v183
	v_fma_f32 v110, v139, v182, -v110
	s_waitcnt vmcnt(10)
	v_fmac_f32_e32 v150, v142, v184
	v_add_f32_e32 v109, v109, v110
	v_mul_f32_e32 v110, v142, v183
	v_add_f32_e32 v149, v149, v150
	s_waitcnt vmcnt(9)
	v_mul_f32_e32 v150, v143, v185
	v_fma_f32 v110, v141, v184, -v110
	s_waitcnt vmcnt(8)
	v_fmac_f32_e32 v150, v144, v186
	v_add_f32_e32 v109, v109, v110
	v_mul_f32_e32 v110, v144, v185
	v_add_f32_e32 v195, v149, v150
	ds_read_b64 v[149:150], v108 offset:848
	v_fma_f32 v110, v143, v186, -v110
	v_add_f32_e32 v109, v109, v110
	s_waitcnt vmcnt(7) lgkmcnt(1)
	v_mul_f32_e32 v110, v146, v187
	v_mul_f32_e32 v196, v145, v187
	s_waitcnt vmcnt(6)
	v_fma_f32 v110, v145, v188, -v110
	v_fmac_f32_e32 v196, v146, v188
	v_add_f32_e32 v109, v109, v110
	s_waitcnt vmcnt(5)
	v_mul_f32_e32 v110, v148, v189
	v_add_f32_e32 v195, v195, v196
	v_mul_f32_e32 v196, v147, v189
	s_waitcnt vmcnt(4)
	v_fma_f32 v110, v147, v190, -v110
	v_fmac_f32_e32 v196, v148, v190
	v_add_f32_e32 v109, v109, v110
	s_waitcnt vmcnt(3) lgkmcnt(0)
	v_mul_f32_e32 v110, v150, v191
	v_add_f32_e32 v195, v195, v196
	v_mul_f32_e32 v196, v149, v191
	s_waitcnt vmcnt(2)
	v_fma_f32 v110, v149, v192, -v110
	v_fmac_f32_e32 v196, v150, v192
	v_add_f32_e32 v109, v109, v110
	v_add_f32_e32 v195, v195, v196
	s_waitcnt vmcnt(1)
	v_sub_f32_e32 v109, v193, v109
	s_waitcnt vmcnt(0)
	v_sub_f32_e32 v110, v194, v195
	buffer_store_dword v109, off, s[0:3], 0 offset:248
	buffer_store_dword v110, off, s[0:3], 0 offset:252
	s_and_saveexec_b64 s[4:5], vcc
	s_cbranch_execz .LBB52_271
; %bb.270:
	buffer_load_dword v109, off, s[0:3], 0 offset:240
	buffer_load_dword v110, off, s[0:3], 0 offset:244
	s_waitcnt vmcnt(0)
	ds_write_b64 v107, v[109:110]
	buffer_store_dword v108, off, s[0:3], 0 offset:240
	buffer_store_dword v108, off, s[0:3], 0 offset:244
.LBB52_271:
	s_or_b64 exec, exec, s[4:5]
	s_waitcnt lgkmcnt(0)
	; wave barrier
	buffer_load_dword v153, off, s[0:3], 0 offset:252
	buffer_load_dword v154, off, s[0:3], 0 offset:260
	;; [unrolled: 1-line block ×46, first 2 shown]
	ds_read2_b64 v[109:112], v108 offset0:85 offset1:86
	ds_read2_b64 v[113:116], v108 offset0:87 offset1:88
	;; [unrolled: 1-line block ×8, first 2 shown]
	v_cmp_lt_u32_e32 vcc, 29, v0
	s_waitcnt vmcnt(45) lgkmcnt(7)
	v_mul_f32_e32 v141, v109, v153
	s_waitcnt vmcnt(44)
	v_mul_f32_e32 v142, v111, v154
	s_waitcnt vmcnt(43) lgkmcnt(6)
	v_mul_f32_e32 v143, v113, v155
	s_waitcnt vmcnt(42)
	v_mul_f32_e32 v144, v115, v156
	;; [unrolled: 4-line block ×6, first 2 shown]
	s_waitcnt vmcnt(33) lgkmcnt(1)
	v_mul_f32_e32 v199, v133, v165
	s_waitcnt vmcnt(32)
	v_fmac_f32_e32 v141, v110, v166
	v_mul_f32_e32 v110, v110, v153
	v_fma_f32 v109, v109, v166, -v110
	v_mul_f32_e32 v110, v112, v154
	v_add_f32_e32 v109, 0, v109
	s_waitcnt vmcnt(31)
	v_fma_f32 v110, v111, v167, -v110
	v_add_f32_e32 v109, v109, v110
	v_mul_f32_e32 v110, v114, v155
	s_waitcnt vmcnt(30)
	v_fma_f32 v110, v113, v168, -v110
	v_add_f32_e32 v109, v109, v110
	v_mul_f32_e32 v110, v116, v156
	;; [unrolled: 4-line block ×4, first 2 shown]
	v_fmac_f32_e32 v142, v112, v167
	v_add_f32_e32 v141, 0, v141
	s_waitcnt vmcnt(27)
	v_fma_f32 v110, v119, v171, -v110
	v_fmac_f32_e32 v143, v114, v168
	v_add_f32_e32 v141, v141, v142
	v_add_f32_e32 v109, v109, v110
	v_mul_f32_e32 v110, v122, v159
	v_fmac_f32_e32 v144, v116, v169
	v_add_f32_e32 v141, v141, v143
	s_waitcnt vmcnt(26)
	v_fma_f32 v110, v121, v172, -v110
	v_fmac_f32_e32 v145, v118, v170
	v_add_f32_e32 v141, v141, v144
	v_add_f32_e32 v109, v109, v110
	v_mul_f32_e32 v110, v124, v160
	;; [unrolled: 8-line block ×4, first 2 shown]
	s_waitcnt vmcnt(23)
	v_fmac_f32_e32 v150, v128, v175
	v_add_f32_e32 v141, v141, v149
	v_fma_f32 v110, v127, v175, -v110
	s_waitcnt vmcnt(22)
	v_fmac_f32_e32 v151, v130, v176
	v_add_f32_e32 v141, v141, v150
	v_add_f32_e32 v109, v109, v110
	v_mul_f32_e32 v110, v130, v163
	s_waitcnt vmcnt(21)
	v_fmac_f32_e32 v152, v132, v177
	v_add_f32_e32 v141, v141, v151
	v_fma_f32 v110, v129, v176, -v110
	s_waitcnt vmcnt(20)
	v_fmac_f32_e32 v199, v134, v178
	v_add_f32_e32 v141, v141, v152
	s_waitcnt vmcnt(19)
	v_mul_f32_e32 v142, v135, v179
	v_add_f32_e32 v109, v109, v110
	v_mul_f32_e32 v110, v132, v164
	v_add_f32_e32 v141, v141, v199
	s_waitcnt vmcnt(18)
	v_fmac_f32_e32 v142, v136, v180
	v_fma_f32 v110, v131, v177, -v110
	v_add_f32_e32 v141, v141, v142
	s_waitcnt vmcnt(17) lgkmcnt(0)
	v_mul_f32_e32 v142, v137, v181
	v_add_f32_e32 v109, v109, v110
	v_mul_f32_e32 v110, v134, v165
	s_waitcnt vmcnt(16)
	v_fmac_f32_e32 v142, v138, v182
	v_fma_f32 v110, v133, v178, -v110
	v_add_f32_e32 v145, v141, v142
	ds_read2_b64 v[141:144], v108 offset0:101 offset1:102
	v_add_f32_e32 v109, v109, v110
	v_mul_f32_e32 v110, v136, v179
	v_fma_f32 v110, v135, v180, -v110
	v_add_f32_e32 v109, v109, v110
	v_mul_f32_e32 v110, v138, v181
	s_waitcnt vmcnt(15)
	v_mul_f32_e32 v146, v139, v183
	v_fma_f32 v110, v137, v182, -v110
	s_waitcnt vmcnt(14)
	v_fmac_f32_e32 v146, v140, v184
	v_add_f32_e32 v109, v109, v110
	v_mul_f32_e32 v110, v140, v183
	v_add_f32_e32 v149, v145, v146
	ds_read2_b64 v[145:148], v108 offset0:103 offset1:104
	s_waitcnt vmcnt(13) lgkmcnt(1)
	v_mul_f32_e32 v150, v141, v185
	v_fma_f32 v110, v139, v184, -v110
	s_waitcnt vmcnt(12)
	v_fmac_f32_e32 v150, v142, v186
	v_add_f32_e32 v109, v109, v110
	v_mul_f32_e32 v110, v142, v185
	v_add_f32_e32 v149, v149, v150
	s_waitcnt vmcnt(11)
	v_mul_f32_e32 v150, v143, v187
	v_fma_f32 v110, v141, v186, -v110
	s_waitcnt vmcnt(10)
	v_fmac_f32_e32 v150, v144, v188
	v_add_f32_e32 v109, v109, v110
	v_mul_f32_e32 v110, v144, v187
	v_add_f32_e32 v199, v149, v150
	ds_read2_b64 v[149:152], v108 offset0:105 offset1:106
	v_fma_f32 v110, v143, v188, -v110
	v_add_f32_e32 v109, v109, v110
	s_waitcnt vmcnt(9) lgkmcnt(1)
	v_mul_f32_e32 v110, v146, v189
	v_mul_f32_e32 v200, v145, v189
	s_waitcnt vmcnt(8)
	v_fma_f32 v110, v145, v190, -v110
	v_fmac_f32_e32 v200, v146, v190
	v_add_f32_e32 v109, v109, v110
	s_waitcnt vmcnt(7)
	v_mul_f32_e32 v110, v148, v191
	v_add_f32_e32 v108, v199, v200
	v_mul_f32_e32 v199, v147, v191
	s_waitcnt vmcnt(6)
	v_fma_f32 v110, v147, v192, -v110
	v_fmac_f32_e32 v199, v148, v192
	v_add_f32_e32 v109, v109, v110
	s_waitcnt vmcnt(5) lgkmcnt(0)
	v_mul_f32_e32 v110, v150, v193
	v_add_f32_e32 v108, v108, v199
	v_mul_f32_e32 v199, v149, v193
	s_waitcnt vmcnt(4)
	v_fma_f32 v110, v149, v194, -v110
	v_fmac_f32_e32 v199, v150, v194
	v_add_f32_e32 v109, v109, v110
	s_waitcnt vmcnt(3)
	v_mul_f32_e32 v110, v152, v195
	v_add_f32_e32 v108, v108, v199
	v_mul_f32_e32 v199, v151, v195
	s_waitcnt vmcnt(2)
	v_fma_f32 v110, v151, v196, -v110
	v_fmac_f32_e32 v199, v152, v196
	v_add_f32_e32 v109, v109, v110
	v_add_f32_e32 v108, v108, v199
	s_waitcnt vmcnt(1)
	v_sub_f32_e32 v109, v197, v109
	s_waitcnt vmcnt(0)
	v_sub_f32_e32 v108, v198, v108
	buffer_store_dword v109, off, s[0:3], 0 offset:240
	buffer_store_dword v108, off, s[0:3], 0 offset:244
	s_and_saveexec_b64 s[4:5], vcc
	s_cbranch_execz .LBB52_273
; %bb.272:
	buffer_load_dword v108, off, s[0:3], 0 offset:232
	buffer_load_dword v109, off, s[0:3], 0 offset:236
	v_mov_b32_e32 v110, 0
	buffer_store_dword v110, off, s[0:3], 0 offset:232
	buffer_store_dword v110, off, s[0:3], 0 offset:236
	s_waitcnt vmcnt(2)
	ds_write_b64 v107, v[108:109]
.LBB52_273:
	s_or_b64 exec, exec, s[4:5]
	s_waitcnt lgkmcnt(0)
	; wave barrier
	buffer_load_dword v155, off, s[0:3], 0 offset:244
	buffer_load_dword v156, off, s[0:3], 0 offset:252
	;; [unrolled: 1-line block ×48, first 2 shown]
	v_mov_b32_e32 v108, 0
	ds_read_b128 v[109:112], v108 offset:672
	ds_read_b128 v[113:116], v108 offset:688
	;; [unrolled: 1-line block ×7, first 2 shown]
	v_cmp_lt_u32_e32 vcc, 28, v0
	s_waitcnt vmcnt(47) lgkmcnt(6)
	v_mul_f32_e32 v137, v109, v155
	s_waitcnt vmcnt(46)
	v_mul_f32_e32 v138, v111, v156
	s_waitcnt vmcnt(45) lgkmcnt(5)
	v_mul_f32_e32 v139, v113, v157
	s_waitcnt vmcnt(44)
	v_mul_f32_e32 v140, v115, v158
	;; [unrolled: 4-line block ×6, first 2 shown]
	s_waitcnt vmcnt(35)
	v_fmac_f32_e32 v137, v110, v167
	v_mul_f32_e32 v110, v110, v155
	v_fma_f32 v109, v109, v167, -v110
	v_mul_f32_e32 v110, v112, v156
	v_add_f32_e32 v109, 0, v109
	s_waitcnt vmcnt(34)
	v_fma_f32 v110, v111, v168, -v110
	v_add_f32_e32 v109, v109, v110
	v_mul_f32_e32 v110, v114, v157
	s_waitcnt vmcnt(33)
	v_fma_f32 v110, v113, v169, -v110
	v_fmac_f32_e32 v138, v112, v168
	v_add_f32_e32 v137, 0, v137
	v_add_f32_e32 v109, v109, v110
	v_mul_f32_e32 v110, v116, v158
	v_fmac_f32_e32 v139, v114, v169
	v_add_f32_e32 v137, v137, v138
	s_waitcnt vmcnt(32)
	v_fma_f32 v110, v115, v170, -v110
	v_fmac_f32_e32 v140, v116, v170
	v_add_f32_e32 v137, v137, v139
	v_add_f32_e32 v109, v109, v110
	v_mul_f32_e32 v110, v118, v159
	s_waitcnt vmcnt(31)
	v_fmac_f32_e32 v141, v118, v171
	v_add_f32_e32 v137, v137, v140
	v_fma_f32 v110, v117, v171, -v110
	s_waitcnt vmcnt(30)
	v_fmac_f32_e32 v142, v120, v172
	v_add_f32_e32 v137, v137, v141
	v_add_f32_e32 v109, v109, v110
	v_mul_f32_e32 v110, v120, v160
	s_waitcnt vmcnt(29)
	v_fmac_f32_e32 v143, v122, v173
	v_add_f32_e32 v137, v137, v142
	v_fma_f32 v110, v119, v172, -v110
	s_waitcnt vmcnt(28)
	;; [unrolled: 9-line block ×4, first 2 shown]
	v_fmac_f32_e32 v148, v132, v178
	v_add_f32_e32 v137, v137, v147
	v_add_f32_e32 v109, v109, v110
	v_mul_f32_e32 v110, v126, v163
	v_add_f32_e32 v141, v137, v148
	ds_read_b128 v[137:140], v108 offset:784
	v_fma_f32 v110, v125, v175, -v110
	s_waitcnt vmcnt(23) lgkmcnt(1)
	v_mul_f32_e32 v142, v133, v179
	v_add_f32_e32 v109, v109, v110
	v_mul_f32_e32 v110, v128, v164
	s_waitcnt vmcnt(22)
	v_fmac_f32_e32 v142, v134, v180
	v_fma_f32 v110, v127, v176, -v110
	v_add_f32_e32 v141, v141, v142
	s_waitcnt vmcnt(21)
	v_mul_f32_e32 v142, v135, v181
	v_add_f32_e32 v109, v109, v110
	v_mul_f32_e32 v110, v130, v165
	s_waitcnt vmcnt(20)
	v_fmac_f32_e32 v142, v136, v182
	v_fma_f32 v110, v129, v177, -v110
	v_add_f32_e32 v141, v141, v142
	s_waitcnt vmcnt(19) lgkmcnt(0)
	v_mul_f32_e32 v142, v137, v183
	v_add_f32_e32 v109, v109, v110
	v_mul_f32_e32 v110, v132, v166
	s_waitcnt vmcnt(18)
	v_fmac_f32_e32 v142, v138, v184
	v_fma_f32 v110, v131, v178, -v110
	v_add_f32_e32 v145, v141, v142
	ds_read_b128 v[141:144], v108 offset:800
	v_add_f32_e32 v109, v109, v110
	v_mul_f32_e32 v110, v134, v179
	v_fma_f32 v110, v133, v180, -v110
	s_waitcnt vmcnt(17)
	v_mul_f32_e32 v146, v139, v185
	v_add_f32_e32 v109, v109, v110
	v_mul_f32_e32 v110, v136, v181
	s_waitcnt vmcnt(16)
	v_fmac_f32_e32 v146, v140, v186
	v_fma_f32 v110, v135, v182, -v110
	v_add_f32_e32 v149, v145, v146
	ds_read_b128 v[145:148], v108 offset:816
	v_add_f32_e32 v109, v109, v110
	v_mul_f32_e32 v110, v138, v183
	s_waitcnt vmcnt(15) lgkmcnt(1)
	v_mul_f32_e32 v150, v141, v187
	v_fma_f32 v110, v137, v184, -v110
	s_waitcnt vmcnt(14)
	v_fmac_f32_e32 v150, v142, v188
	v_add_f32_e32 v109, v109, v110
	v_mul_f32_e32 v110, v140, v185
	v_add_f32_e32 v149, v149, v150
	s_waitcnt vmcnt(13)
	v_mul_f32_e32 v150, v143, v189
	v_fma_f32 v110, v139, v186, -v110
	s_waitcnt vmcnt(12)
	v_fmac_f32_e32 v150, v144, v190
	v_add_f32_e32 v109, v109, v110
	v_mul_f32_e32 v110, v142, v187
	v_add_f32_e32 v149, v149, v150
	s_waitcnt vmcnt(11) lgkmcnt(0)
	v_mul_f32_e32 v150, v145, v191
	v_fma_f32 v110, v141, v188, -v110
	s_waitcnt vmcnt(10)
	v_fmac_f32_e32 v150, v146, v192
	v_add_f32_e32 v109, v109, v110
	v_mul_f32_e32 v110, v144, v189
	v_add_f32_e32 v153, v149, v150
	ds_read_b128 v[149:152], v108 offset:832
	v_fma_f32 v110, v143, v190, -v110
	v_add_f32_e32 v109, v109, v110
	v_mul_f32_e32 v110, v146, v191
	s_waitcnt vmcnt(9)
	v_mul_f32_e32 v154, v147, v193
	v_fma_f32 v110, v145, v192, -v110
	s_waitcnt vmcnt(8)
	v_fmac_f32_e32 v154, v148, v194
	v_add_f32_e32 v109, v109, v110
	v_mul_f32_e32 v110, v148, v193
	v_add_f32_e32 v203, v153, v154
	ds_read_b64 v[153:154], v108 offset:848
	v_fma_f32 v110, v147, v194, -v110
	v_add_f32_e32 v109, v109, v110
	s_waitcnt vmcnt(6) lgkmcnt(1)
	v_mul_f32_e32 v110, v150, v196
	v_mul_f32_e32 v204, v149, v196
	v_fma_f32 v110, v149, v195, -v110
	v_fmac_f32_e32 v204, v150, v195
	v_add_f32_e32 v109, v109, v110
	s_waitcnt vmcnt(3)
	v_mul_f32_e32 v110, v152, v199
	v_add_f32_e32 v203, v203, v204
	v_mul_f32_e32 v204, v151, v199
	s_waitcnt vmcnt(2)
	v_fma_f32 v110, v151, v200, -v110
	v_fmac_f32_e32 v204, v152, v200
	v_add_f32_e32 v109, v109, v110
	s_waitcnt vmcnt(0) lgkmcnt(0)
	v_mul_f32_e32 v110, v154, v202
	v_add_f32_e32 v203, v203, v204
	v_mul_f32_e32 v204, v153, v202
	v_fma_f32 v110, v153, v201, -v110
	v_fmac_f32_e32 v204, v154, v201
	v_add_f32_e32 v109, v109, v110
	v_add_f32_e32 v203, v203, v204
	v_sub_f32_e32 v109, v197, v109
	v_sub_f32_e32 v110, v198, v203
	buffer_store_dword v109, off, s[0:3], 0 offset:232
	buffer_store_dword v110, off, s[0:3], 0 offset:236
	s_and_saveexec_b64 s[4:5], vcc
	s_cbranch_execz .LBB52_275
; %bb.274:
	buffer_load_dword v109, off, s[0:3], 0 offset:224
	buffer_load_dword v110, off, s[0:3], 0 offset:228
	s_waitcnt vmcnt(0)
	ds_write_b64 v107, v[109:110]
	buffer_store_dword v108, off, s[0:3], 0 offset:224
	buffer_store_dword v108, off, s[0:3], 0 offset:228
.LBB52_275:
	s_or_b64 exec, exec, s[4:5]
	s_waitcnt lgkmcnt(0)
	; wave barrier
	buffer_load_dword v157, off, s[0:3], 0 offset:236
	buffer_load_dword v158, off, s[0:3], 0 offset:244
	;; [unrolled: 1-line block ×48, first 2 shown]
	ds_read2_b64 v[109:112], v108 offset0:83 offset1:84
	ds_read2_b64 v[113:116], v108 offset0:85 offset1:86
	buffer_load_dword v205, off, s[0:3], 0 offset:416
	buffer_load_dword v206, off, s[0:3], 0 offset:420
	ds_read2_b64 v[117:120], v108 offset0:87 offset1:88
	ds_read2_b64 v[121:124], v108 offset0:89 offset1:90
	;; [unrolled: 1-line block ×5, first 2 shown]
	v_cmp_lt_u32_e32 vcc, 27, v0
	s_waitcnt vmcnt(49) lgkmcnt(6)
	v_mul_f32_e32 v137, v109, v157
	s_waitcnt vmcnt(48)
	v_mul_f32_e32 v138, v111, v158
	s_waitcnt vmcnt(47) lgkmcnt(5)
	v_mul_f32_e32 v139, v113, v159
	s_waitcnt vmcnt(46)
	v_mul_f32_e32 v140, v115, v160
	;; [unrolled: 4-line block ×6, first 2 shown]
	s_waitcnt vmcnt(37)
	v_fmac_f32_e32 v137, v110, v169
	v_mul_f32_e32 v110, v110, v157
	v_fma_f32 v109, v109, v169, -v110
	v_mul_f32_e32 v110, v112, v158
	v_add_f32_e32 v109, 0, v109
	s_waitcnt vmcnt(36)
	v_fma_f32 v110, v111, v170, -v110
	v_add_f32_e32 v109, v109, v110
	v_mul_f32_e32 v110, v114, v159
	s_waitcnt vmcnt(35)
	v_fma_f32 v110, v113, v171, -v110
	v_fmac_f32_e32 v138, v112, v170
	v_add_f32_e32 v137, 0, v137
	v_add_f32_e32 v109, v109, v110
	v_mul_f32_e32 v110, v116, v160
	v_fmac_f32_e32 v139, v114, v171
	v_add_f32_e32 v137, v137, v138
	s_waitcnt vmcnt(34)
	v_fma_f32 v110, v115, v172, -v110
	v_fmac_f32_e32 v140, v116, v172
	v_add_f32_e32 v137, v137, v139
	v_add_f32_e32 v109, v109, v110
	v_mul_f32_e32 v110, v118, v161
	s_waitcnt vmcnt(33)
	v_fmac_f32_e32 v141, v118, v173
	v_add_f32_e32 v137, v137, v140
	v_fma_f32 v110, v117, v173, -v110
	s_waitcnt vmcnt(32)
	v_fmac_f32_e32 v142, v120, v174
	v_add_f32_e32 v137, v137, v141
	v_add_f32_e32 v109, v109, v110
	v_mul_f32_e32 v110, v120, v162
	s_waitcnt vmcnt(31)
	v_fmac_f32_e32 v143, v122, v175
	v_add_f32_e32 v137, v137, v142
	v_fma_f32 v110, v119, v174, -v110
	s_waitcnt vmcnt(30)
	;; [unrolled: 9-line block ×3, first 2 shown]
	v_fmac_f32_e32 v146, v128, v178
	v_add_f32_e32 v137, v137, v145
	v_add_f32_e32 v109, v109, v110
	v_mul_f32_e32 v110, v124, v164
	s_waitcnt vmcnt(27)
	v_fmac_f32_e32 v147, v130, v179
	v_add_f32_e32 v137, v137, v146
	v_fma_f32 v110, v123, v176, -v110
	v_add_f32_e32 v137, v137, v147
	s_waitcnt vmcnt(26)
	v_fmac_f32_e32 v148, v132, v180
	v_add_f32_e32 v109, v109, v110
	v_mul_f32_e32 v110, v126, v165
	v_add_f32_e32 v141, v137, v148
	ds_read2_b64 v[137:140], v108 offset0:97 offset1:98
	v_fma_f32 v110, v125, v177, -v110
	s_waitcnt vmcnt(25) lgkmcnt(1)
	v_mul_f32_e32 v142, v133, v181
	v_add_f32_e32 v109, v109, v110
	v_mul_f32_e32 v110, v128, v166
	s_waitcnt vmcnt(24)
	v_fmac_f32_e32 v142, v134, v182
	v_fma_f32 v110, v127, v178, -v110
	v_add_f32_e32 v141, v141, v142
	s_waitcnt vmcnt(23)
	v_mul_f32_e32 v142, v135, v183
	v_add_f32_e32 v109, v109, v110
	v_mul_f32_e32 v110, v130, v167
	s_waitcnt vmcnt(22)
	v_fmac_f32_e32 v142, v136, v184
	v_fma_f32 v110, v129, v179, -v110
	v_add_f32_e32 v141, v141, v142
	s_waitcnt vmcnt(21) lgkmcnt(0)
	v_mul_f32_e32 v142, v137, v185
	v_add_f32_e32 v109, v109, v110
	v_mul_f32_e32 v110, v132, v168
	s_waitcnt vmcnt(20)
	v_fmac_f32_e32 v142, v138, v186
	v_fma_f32 v110, v131, v180, -v110
	v_add_f32_e32 v145, v141, v142
	ds_read2_b64 v[141:144], v108 offset0:99 offset1:100
	v_add_f32_e32 v109, v109, v110
	v_mul_f32_e32 v110, v134, v181
	v_fma_f32 v110, v133, v182, -v110
	s_waitcnt vmcnt(19)
	v_mul_f32_e32 v146, v139, v187
	v_add_f32_e32 v109, v109, v110
	v_mul_f32_e32 v110, v136, v183
	s_waitcnt vmcnt(18)
	v_fmac_f32_e32 v146, v140, v188
	v_fma_f32 v110, v135, v184, -v110
	v_add_f32_e32 v149, v145, v146
	ds_read2_b64 v[145:148], v108 offset0:101 offset1:102
	v_add_f32_e32 v109, v109, v110
	v_mul_f32_e32 v110, v138, v185
	s_waitcnt vmcnt(17) lgkmcnt(1)
	v_mul_f32_e32 v150, v141, v189
	v_fma_f32 v110, v137, v186, -v110
	s_waitcnt vmcnt(16)
	v_fmac_f32_e32 v150, v142, v190
	v_add_f32_e32 v109, v109, v110
	v_mul_f32_e32 v110, v140, v187
	v_add_f32_e32 v149, v149, v150
	s_waitcnt vmcnt(15)
	v_mul_f32_e32 v150, v143, v191
	v_fma_f32 v110, v139, v188, -v110
	s_waitcnt vmcnt(14)
	v_fmac_f32_e32 v150, v144, v192
	v_add_f32_e32 v109, v109, v110
	v_mul_f32_e32 v110, v142, v189
	v_add_f32_e32 v149, v149, v150
	s_waitcnt vmcnt(13) lgkmcnt(0)
	v_mul_f32_e32 v150, v145, v193
	v_fma_f32 v110, v141, v190, -v110
	s_waitcnt vmcnt(12)
	v_fmac_f32_e32 v150, v146, v194
	v_add_f32_e32 v109, v109, v110
	v_mul_f32_e32 v110, v144, v191
	v_add_f32_e32 v153, v149, v150
	ds_read2_b64 v[149:152], v108 offset0:103 offset1:104
	v_fma_f32 v110, v143, v192, -v110
	v_add_f32_e32 v109, v109, v110
	v_mul_f32_e32 v110, v146, v193
	s_waitcnt vmcnt(11)
	v_mul_f32_e32 v154, v147, v195
	v_fma_f32 v110, v145, v194, -v110
	s_waitcnt vmcnt(10)
	v_fmac_f32_e32 v154, v148, v196
	v_add_f32_e32 v109, v109, v110
	v_mul_f32_e32 v110, v148, v195
	v_add_f32_e32 v207, v153, v154
	ds_read2_b64 v[153:156], v108 offset0:105 offset1:106
	v_fma_f32 v110, v147, v196, -v110
	v_add_f32_e32 v109, v109, v110
	s_waitcnt vmcnt(7) lgkmcnt(1)
	v_mul_f32_e32 v110, v150, v199
	v_mul_f32_e32 v108, v149, v199
	s_waitcnt vmcnt(6)
	v_fma_f32 v110, v149, v200, -v110
	v_fmac_f32_e32 v108, v150, v200
	v_add_f32_e32 v109, v109, v110
	s_waitcnt vmcnt(4)
	v_mul_f32_e32 v110, v152, v202
	v_add_f32_e32 v108, v207, v108
	v_mul_f32_e32 v207, v151, v202
	v_fma_f32 v110, v151, v201, -v110
	v_fmac_f32_e32 v207, v152, v201
	v_add_f32_e32 v109, v109, v110
	s_waitcnt vmcnt(2) lgkmcnt(0)
	v_mul_f32_e32 v110, v154, v204
	v_add_f32_e32 v108, v108, v207
	v_mul_f32_e32 v207, v153, v204
	v_fma_f32 v110, v153, v203, -v110
	v_fmac_f32_e32 v207, v154, v203
	v_add_f32_e32 v109, v109, v110
	s_waitcnt vmcnt(0)
	v_mul_f32_e32 v110, v156, v206
	v_add_f32_e32 v108, v108, v207
	v_mul_f32_e32 v207, v155, v206
	v_fma_f32 v110, v155, v205, -v110
	v_fmac_f32_e32 v207, v156, v205
	v_add_f32_e32 v109, v109, v110
	v_add_f32_e32 v108, v108, v207
	v_sub_f32_e32 v109, v197, v109
	v_sub_f32_e32 v108, v198, v108
	buffer_store_dword v109, off, s[0:3], 0 offset:224
	buffer_store_dword v108, off, s[0:3], 0 offset:228
	s_and_saveexec_b64 s[4:5], vcc
	s_cbranch_execz .LBB52_277
; %bb.276:
	buffer_load_dword v108, off, s[0:3], 0 offset:216
	buffer_load_dword v109, off, s[0:3], 0 offset:220
	v_mov_b32_e32 v110, 0
	buffer_store_dword v110, off, s[0:3], 0 offset:216
	buffer_store_dword v110, off, s[0:3], 0 offset:220
	s_waitcnt vmcnt(2)
	ds_write_b64 v107, v[108:109]
.LBB52_277:
	s_or_b64 exec, exec, s[4:5]
	s_waitcnt lgkmcnt(0)
	; wave barrier
	buffer_load_dword v159, off, s[0:3], 0 offset:228
	buffer_load_dword v160, off, s[0:3], 0 offset:236
	;; [unrolled: 1-line block ×52, first 2 shown]
	v_mov_b32_e32 v108, 0
	ds_read_b128 v[109:112], v108 offset:656
	ds_read_b128 v[113:116], v108 offset:672
	;; [unrolled: 1-line block ×6, first 2 shown]
	v_cmp_lt_u32_e32 vcc, 26, v0
	s_waitcnt vmcnt(51) lgkmcnt(5)
	v_mul_f32_e32 v133, v109, v159
	s_waitcnt vmcnt(50)
	v_mul_f32_e32 v134, v111, v160
	s_waitcnt vmcnt(49) lgkmcnt(4)
	v_mul_f32_e32 v135, v113, v161
	s_waitcnt vmcnt(48)
	v_mul_f32_e32 v136, v115, v162
	;; [unrolled: 4-line block ×5, first 2 shown]
	s_waitcnt vmcnt(41) lgkmcnt(0)
	v_mul_f32_e32 v143, v129, v169
	s_waitcnt vmcnt(40)
	v_fmac_f32_e32 v133, v110, v170
	v_mul_f32_e32 v110, v110, v159
	s_waitcnt vmcnt(39)
	v_fmac_f32_e32 v134, v112, v171
	v_add_f32_e32 v133, 0, v133
	v_fma_f32 v109, v109, v170, -v110
	v_mul_f32_e32 v110, v112, v160
	s_waitcnt vmcnt(38)
	v_fmac_f32_e32 v135, v114, v172
	v_add_f32_e32 v133, v133, v134
	v_add_f32_e32 v109, 0, v109
	v_fma_f32 v110, v111, v171, -v110
	s_waitcnt vmcnt(37)
	v_fmac_f32_e32 v136, v116, v173
	v_add_f32_e32 v133, v133, v135
	v_add_f32_e32 v109, v109, v110
	v_mul_f32_e32 v110, v114, v161
	s_waitcnt vmcnt(36)
	v_fmac_f32_e32 v137, v118, v174
	v_add_f32_e32 v133, v133, v136
	v_fma_f32 v110, v113, v172, -v110
	s_waitcnt vmcnt(35)
	v_fmac_f32_e32 v138, v120, v175
	v_add_f32_e32 v133, v133, v137
	v_add_f32_e32 v109, v109, v110
	v_mul_f32_e32 v110, v116, v162
	s_waitcnt vmcnt(34)
	v_fmac_f32_e32 v139, v122, v176
	;; [unrolled: 9-line block ×3, first 2 shown]
	v_add_f32_e32 v133, v133, v140
	v_fma_f32 v110, v117, v174, -v110
	s_waitcnt vmcnt(31)
	v_fmac_f32_e32 v142, v128, v179
	v_add_f32_e32 v133, v133, v141
	v_add_f32_e32 v109, v109, v110
	v_mul_f32_e32 v110, v120, v164
	v_add_f32_e32 v133, v133, v142
	s_waitcnt vmcnt(30)
	v_fmac_f32_e32 v143, v130, v180
	v_fma_f32 v110, v119, v175, -v110
	v_add_f32_e32 v137, v133, v143
	ds_read_b128 v[133:136], v108 offset:752
	v_add_f32_e32 v109, v109, v110
	v_mul_f32_e32 v110, v122, v165
	v_fma_f32 v110, v121, v176, -v110
	s_waitcnt vmcnt(29)
	v_mul_f32_e32 v138, v131, v181
	v_add_f32_e32 v109, v109, v110
	v_mul_f32_e32 v110, v124, v166
	s_waitcnt vmcnt(28)
	v_fmac_f32_e32 v138, v132, v182
	v_fma_f32 v110, v123, v177, -v110
	v_add_f32_e32 v141, v137, v138
	ds_read_b128 v[137:140], v108 offset:768
	v_add_f32_e32 v109, v109, v110
	v_mul_f32_e32 v110, v126, v167
	s_waitcnt vmcnt(27) lgkmcnt(1)
	v_mul_f32_e32 v142, v133, v183
	v_fma_f32 v110, v125, v178, -v110
	s_waitcnt vmcnt(26)
	v_fmac_f32_e32 v142, v134, v184
	v_add_f32_e32 v109, v109, v110
	v_mul_f32_e32 v110, v128, v168
	v_add_f32_e32 v141, v141, v142
	s_waitcnt vmcnt(25)
	v_mul_f32_e32 v142, v135, v185
	v_fma_f32 v110, v127, v179, -v110
	s_waitcnt vmcnt(24)
	v_fmac_f32_e32 v142, v136, v186
	v_add_f32_e32 v109, v109, v110
	v_mul_f32_e32 v110, v130, v169
	v_add_f32_e32 v141, v141, v142
	s_waitcnt vmcnt(23) lgkmcnt(0)
	v_mul_f32_e32 v142, v137, v187
	v_fma_f32 v110, v129, v180, -v110
	s_waitcnt vmcnt(22)
	v_fmac_f32_e32 v142, v138, v188
	v_add_f32_e32 v109, v109, v110
	v_mul_f32_e32 v110, v132, v181
	v_add_f32_e32 v145, v141, v142
	ds_read_b128 v[141:144], v108 offset:784
	v_fma_f32 v110, v131, v182, -v110
	v_add_f32_e32 v109, v109, v110
	v_mul_f32_e32 v110, v134, v183
	s_waitcnt vmcnt(21)
	v_mul_f32_e32 v146, v139, v189
	v_fma_f32 v110, v133, v184, -v110
	s_waitcnt vmcnt(20)
	v_fmac_f32_e32 v146, v140, v190
	v_add_f32_e32 v109, v109, v110
	v_mul_f32_e32 v110, v136, v185
	v_add_f32_e32 v149, v145, v146
	ds_read_b128 v[145:148], v108 offset:800
	v_fma_f32 v110, v135, v186, -v110
	s_waitcnt vmcnt(19) lgkmcnt(1)
	v_mul_f32_e32 v150, v141, v191
	v_add_f32_e32 v109, v109, v110
	v_mul_f32_e32 v110, v138, v187
	s_waitcnt vmcnt(18)
	v_fmac_f32_e32 v150, v142, v192
	v_fma_f32 v110, v137, v188, -v110
	v_add_f32_e32 v149, v149, v150
	s_waitcnt vmcnt(17)
	v_mul_f32_e32 v150, v143, v193
	v_add_f32_e32 v109, v109, v110
	v_mul_f32_e32 v110, v140, v189
	s_waitcnt vmcnt(16)
	v_fmac_f32_e32 v150, v144, v194
	v_fma_f32 v110, v139, v190, -v110
	v_add_f32_e32 v149, v149, v150
	s_waitcnt vmcnt(14) lgkmcnt(0)
	v_mul_f32_e32 v150, v145, v196
	v_add_f32_e32 v109, v109, v110
	v_mul_f32_e32 v110, v142, v191
	v_fmac_f32_e32 v150, v146, v195
	v_fma_f32 v110, v141, v192, -v110
	v_add_f32_e32 v153, v149, v150
	ds_read_b128 v[149:152], v108 offset:816
	v_add_f32_e32 v109, v109, v110
	v_mul_f32_e32 v110, v144, v193
	v_fma_f32 v110, v143, v194, -v110
	v_add_f32_e32 v109, v109, v110
	v_mul_f32_e32 v110, v146, v196
	s_waitcnt vmcnt(11)
	v_mul_f32_e32 v154, v147, v199
	v_fma_f32 v110, v145, v195, -v110
	s_waitcnt vmcnt(10)
	v_fmac_f32_e32 v154, v148, v200
	v_add_f32_e32 v109, v109, v110
	v_mul_f32_e32 v110, v148, v199
	v_add_f32_e32 v157, v153, v154
	ds_read_b128 v[153:156], v108 offset:832
	s_waitcnt vmcnt(8) lgkmcnt(1)
	v_mul_f32_e32 v158, v149, v202
	v_fma_f32 v110, v147, v200, -v110
	v_fmac_f32_e32 v158, v150, v201
	v_add_f32_e32 v109, v109, v110
	v_mul_f32_e32 v110, v150, v202
	v_add_f32_e32 v157, v157, v158
	s_waitcnt vmcnt(6)
	v_mul_f32_e32 v158, v151, v204
	v_fma_f32 v110, v149, v201, -v110
	v_fmac_f32_e32 v158, v152, v203
	v_add_f32_e32 v109, v109, v110
	v_mul_f32_e32 v110, v152, v204
	v_add_f32_e32 v211, v157, v158
	ds_read_b64 v[157:158], v108 offset:848
	v_fma_f32 v110, v151, v203, -v110
	v_add_f32_e32 v109, v109, v110
	s_waitcnt vmcnt(4) lgkmcnt(1)
	v_mul_f32_e32 v110, v154, v206
	v_mul_f32_e32 v212, v153, v206
	v_fma_f32 v110, v153, v205, -v110
	v_fmac_f32_e32 v212, v154, v205
	v_add_f32_e32 v109, v109, v110
	s_waitcnt vmcnt(2)
	v_mul_f32_e32 v110, v156, v208
	v_add_f32_e32 v211, v211, v212
	v_mul_f32_e32 v212, v155, v208
	v_fma_f32 v110, v155, v207, -v110
	v_fmac_f32_e32 v212, v156, v207
	v_add_f32_e32 v109, v109, v110
	s_waitcnt vmcnt(0) lgkmcnt(0)
	v_mul_f32_e32 v110, v158, v210
	v_add_f32_e32 v211, v211, v212
	v_mul_f32_e32 v212, v157, v210
	v_fma_f32 v110, v157, v209, -v110
	v_fmac_f32_e32 v212, v158, v209
	v_add_f32_e32 v109, v109, v110
	v_add_f32_e32 v211, v211, v212
	v_sub_f32_e32 v109, v197, v109
	v_sub_f32_e32 v110, v198, v211
	buffer_store_dword v109, off, s[0:3], 0 offset:216
	buffer_store_dword v110, off, s[0:3], 0 offset:220
	s_and_saveexec_b64 s[4:5], vcc
	s_cbranch_execz .LBB52_279
; %bb.278:
	buffer_load_dword v109, off, s[0:3], 0 offset:208
	buffer_load_dword v110, off, s[0:3], 0 offset:212
	s_waitcnt vmcnt(0)
	ds_write_b64 v107, v[109:110]
	buffer_store_dword v108, off, s[0:3], 0 offset:208
	buffer_store_dword v108, off, s[0:3], 0 offset:212
.LBB52_279:
	s_or_b64 exec, exec, s[4:5]
	s_waitcnt lgkmcnt(0)
	; wave barrier
	buffer_load_dword v161, off, s[0:3], 0 offset:220
	buffer_load_dword v162, off, s[0:3], 0 offset:228
	;; [unrolled: 1-line block ×42, first 2 shown]
	ds_read2_b64 v[109:112], v108 offset0:81 offset1:82
	ds_read2_b64 v[113:116], v108 offset0:83 offset1:84
	;; [unrolled: 1-line block ×4, first 2 shown]
	buffer_load_dword v203, off, s[0:3], 0 offset:380
	buffer_load_dword v204, off, s[0:3], 0 offset:376
	;; [unrolled: 1-line block ×6, first 2 shown]
	ds_read2_b64 v[125:128], v108 offset0:89 offset1:90
	ds_read2_b64 v[129:132], v108 offset0:91 offset1:92
	buffer_load_dword v209, off, s[0:3], 0 offset:400
	buffer_load_dword v210, off, s[0:3], 0 offset:404
	;; [unrolled: 1-line block ×6, first 2 shown]
	v_cmp_lt_u32_e32 vcc, 25, v0
	s_waitcnt vmcnt(53) lgkmcnt(5)
	v_mul_f32_e32 v133, v109, v161
	s_waitcnt vmcnt(52)
	v_mul_f32_e32 v134, v111, v162
	s_waitcnt vmcnt(51) lgkmcnt(4)
	v_mul_f32_e32 v135, v113, v163
	s_waitcnt vmcnt(50)
	v_mul_f32_e32 v136, v115, v164
	;; [unrolled: 4-line block ×5, first 2 shown]
	s_waitcnt vmcnt(43)
	v_fmac_f32_e32 v133, v110, v171
	v_mul_f32_e32 v110, v110, v161
	s_waitcnt vmcnt(42)
	v_fmac_f32_e32 v134, v112, v172
	v_add_f32_e32 v133, 0, v133
	v_fma_f32 v109, v109, v171, -v110
	v_mul_f32_e32 v110, v112, v162
	s_waitcnt vmcnt(41)
	v_fmac_f32_e32 v135, v114, v173
	v_add_f32_e32 v133, v133, v134
	v_add_f32_e32 v109, 0, v109
	v_fma_f32 v110, v111, v172, -v110
	s_waitcnt vmcnt(40)
	v_fmac_f32_e32 v136, v116, v174
	v_add_f32_e32 v133, v133, v135
	v_add_f32_e32 v109, v109, v110
	v_mul_f32_e32 v110, v114, v163
	s_waitcnt vmcnt(39)
	v_fmac_f32_e32 v137, v118, v175
	v_add_f32_e32 v133, v133, v136
	v_fma_f32 v110, v113, v173, -v110
	s_waitcnt vmcnt(38)
	v_fmac_f32_e32 v138, v120, v176
	v_add_f32_e32 v133, v133, v137
	v_add_f32_e32 v109, v109, v110
	v_mul_f32_e32 v110, v116, v164
	s_waitcnt vmcnt(37)
	v_fmac_f32_e32 v139, v122, v177
	v_add_f32_e32 v133, v133, v138
	v_fma_f32 v110, v115, v174, -v110
	s_waitcnt vmcnt(36)
	v_fmac_f32_e32 v140, v124, v178
	v_add_f32_e32 v133, v133, v139
	v_add_f32_e32 v109, v109, v110
	v_mul_f32_e32 v110, v118, v165
	s_waitcnt vmcnt(35)
	v_fmac_f32_e32 v141, v126, v179
	v_add_f32_e32 v133, v133, v140
	v_fma_f32 v110, v117, v175, -v110
	s_waitcnt vmcnt(34)
	v_fmac_f32_e32 v142, v128, v180
	v_add_f32_e32 v133, v133, v141
	s_waitcnt vmcnt(33) lgkmcnt(0)
	v_mul_f32_e32 v134, v129, v181
	v_add_f32_e32 v109, v109, v110
	v_mul_f32_e32 v110, v120, v166
	v_add_f32_e32 v133, v133, v142
	s_waitcnt vmcnt(32)
	v_fmac_f32_e32 v134, v130, v182
	v_fma_f32 v110, v119, v176, -v110
	v_add_f32_e32 v137, v133, v134
	ds_read2_b64 v[133:136], v108 offset0:93 offset1:94
	v_add_f32_e32 v109, v109, v110
	v_mul_f32_e32 v110, v122, v167
	v_fma_f32 v110, v121, v177, -v110
	s_waitcnt vmcnt(31)
	v_mul_f32_e32 v138, v131, v183
	v_add_f32_e32 v109, v109, v110
	v_mul_f32_e32 v110, v124, v168
	s_waitcnt vmcnt(30)
	v_fmac_f32_e32 v138, v132, v184
	v_fma_f32 v110, v123, v178, -v110
	v_add_f32_e32 v141, v137, v138
	ds_read2_b64 v[137:140], v108 offset0:95 offset1:96
	v_add_f32_e32 v109, v109, v110
	v_mul_f32_e32 v110, v126, v169
	s_waitcnt vmcnt(29) lgkmcnt(1)
	v_mul_f32_e32 v142, v133, v185
	v_fma_f32 v110, v125, v179, -v110
	s_waitcnt vmcnt(28)
	v_fmac_f32_e32 v142, v134, v186
	v_add_f32_e32 v109, v109, v110
	v_mul_f32_e32 v110, v128, v170
	v_add_f32_e32 v141, v141, v142
	s_waitcnt vmcnt(27)
	v_mul_f32_e32 v142, v135, v187
	v_fma_f32 v110, v127, v180, -v110
	s_waitcnt vmcnt(26)
	v_fmac_f32_e32 v142, v136, v188
	v_add_f32_e32 v109, v109, v110
	v_mul_f32_e32 v110, v130, v181
	v_add_f32_e32 v141, v141, v142
	s_waitcnt vmcnt(25) lgkmcnt(0)
	v_mul_f32_e32 v142, v137, v189
	v_fma_f32 v110, v129, v182, -v110
	s_waitcnt vmcnt(24)
	v_fmac_f32_e32 v142, v138, v190
	v_add_f32_e32 v109, v109, v110
	v_mul_f32_e32 v110, v132, v183
	v_add_f32_e32 v145, v141, v142
	ds_read2_b64 v[141:144], v108 offset0:97 offset1:98
	v_fma_f32 v110, v131, v184, -v110
	v_add_f32_e32 v109, v109, v110
	v_mul_f32_e32 v110, v134, v185
	s_waitcnt vmcnt(23)
	v_mul_f32_e32 v146, v139, v191
	v_fma_f32 v110, v133, v186, -v110
	s_waitcnt vmcnt(22)
	v_fmac_f32_e32 v146, v140, v192
	v_add_f32_e32 v109, v109, v110
	v_mul_f32_e32 v110, v136, v187
	v_add_f32_e32 v149, v145, v146
	ds_read2_b64 v[145:148], v108 offset0:99 offset1:100
	v_fma_f32 v110, v135, v188, -v110
	s_waitcnt vmcnt(21) lgkmcnt(1)
	v_mul_f32_e32 v150, v141, v193
	v_add_f32_e32 v109, v109, v110
	v_mul_f32_e32 v110, v138, v189
	s_waitcnt vmcnt(20)
	v_fmac_f32_e32 v150, v142, v194
	v_fma_f32 v110, v137, v190, -v110
	v_add_f32_e32 v149, v149, v150
	s_waitcnt vmcnt(18)
	v_mul_f32_e32 v150, v143, v196
	v_add_f32_e32 v109, v109, v110
	v_mul_f32_e32 v110, v140, v191
	v_fmac_f32_e32 v150, v144, v195
	v_fma_f32 v110, v139, v192, -v110
	v_add_f32_e32 v149, v149, v150
	s_waitcnt vmcnt(15) lgkmcnt(0)
	v_mul_f32_e32 v150, v145, v199
	v_add_f32_e32 v109, v109, v110
	v_mul_f32_e32 v110, v142, v193
	s_waitcnt vmcnt(14)
	v_fmac_f32_e32 v150, v146, v200
	v_fma_f32 v110, v141, v194, -v110
	v_add_f32_e32 v153, v149, v150
	ds_read2_b64 v[149:152], v108 offset0:101 offset1:102
	v_add_f32_e32 v109, v109, v110
	v_mul_f32_e32 v110, v144, v196
	v_fma_f32 v110, v143, v195, -v110
	v_add_f32_e32 v109, v109, v110
	v_mul_f32_e32 v110, v146, v199
	s_waitcnt vmcnt(12)
	v_mul_f32_e32 v154, v147, v202
	v_fma_f32 v110, v145, v200, -v110
	v_fmac_f32_e32 v154, v148, v201
	v_add_f32_e32 v109, v109, v110
	v_mul_f32_e32 v110, v148, v202
	v_add_f32_e32 v157, v153, v154
	ds_read2_b64 v[153:156], v108 offset0:103 offset1:104
	s_waitcnt vmcnt(11) lgkmcnt(1)
	v_mul_f32_e32 v158, v149, v203
	v_fma_f32 v110, v147, v201, -v110
	s_waitcnt vmcnt(10)
	v_fmac_f32_e32 v158, v150, v204
	v_add_f32_e32 v109, v109, v110
	v_mul_f32_e32 v110, v150, v203
	v_add_f32_e32 v157, v157, v158
	s_waitcnt vmcnt(8)
	v_mul_f32_e32 v158, v151, v206
	v_fma_f32 v110, v149, v204, -v110
	v_fmac_f32_e32 v158, v152, v205
	v_add_f32_e32 v109, v109, v110
	v_mul_f32_e32 v110, v152, v206
	v_add_f32_e32 v215, v157, v158
	ds_read2_b64 v[157:160], v108 offset0:105 offset1:106
	v_fma_f32 v110, v151, v205, -v110
	v_add_f32_e32 v109, v109, v110
	s_waitcnt vmcnt(6) lgkmcnt(1)
	v_mul_f32_e32 v110, v154, v208
	v_mul_f32_e32 v216, v153, v208
	v_fma_f32 v110, v153, v207, -v110
	v_fmac_f32_e32 v216, v154, v207
	v_add_f32_e32 v109, v109, v110
	s_waitcnt vmcnt(4)
	v_mul_f32_e32 v110, v156, v210
	v_add_f32_e32 v108, v215, v216
	v_mul_f32_e32 v215, v155, v210
	v_fma_f32 v110, v155, v209, -v110
	v_fmac_f32_e32 v215, v156, v209
	v_add_f32_e32 v109, v109, v110
	s_waitcnt vmcnt(2) lgkmcnt(0)
	v_mul_f32_e32 v110, v158, v212
	v_add_f32_e32 v108, v108, v215
	v_mul_f32_e32 v215, v157, v212
	v_fma_f32 v110, v157, v211, -v110
	v_fmac_f32_e32 v215, v158, v211
	v_add_f32_e32 v109, v109, v110
	s_waitcnt vmcnt(0)
	v_mul_f32_e32 v110, v160, v214
	v_add_f32_e32 v108, v108, v215
	v_mul_f32_e32 v215, v159, v214
	v_fma_f32 v110, v159, v213, -v110
	v_fmac_f32_e32 v215, v160, v213
	v_add_f32_e32 v109, v109, v110
	v_add_f32_e32 v108, v108, v215
	v_sub_f32_e32 v109, v197, v109
	v_sub_f32_e32 v108, v198, v108
	buffer_store_dword v109, off, s[0:3], 0 offset:208
	buffer_store_dword v108, off, s[0:3], 0 offset:212
	s_and_saveexec_b64 s[4:5], vcc
	s_cbranch_execz .LBB52_281
; %bb.280:
	buffer_load_dword v108, off, s[0:3], 0 offset:200
	buffer_load_dword v109, off, s[0:3], 0 offset:204
	v_mov_b32_e32 v110, 0
	buffer_store_dword v110, off, s[0:3], 0 offset:200
	buffer_store_dword v110, off, s[0:3], 0 offset:204
	s_waitcnt vmcnt(2)
	ds_write_b64 v107, v[108:109]
.LBB52_281:
	s_or_b64 exec, exec, s[4:5]
	s_waitcnt lgkmcnt(0)
	; wave barrier
	buffer_load_dword v163, off, s[0:3], 0 offset:212
	buffer_load_dword v164, off, s[0:3], 0 offset:220
	;; [unrolled: 1-line block ×56, first 2 shown]
	v_mov_b32_e32 v108, 0
	ds_read_b128 v[109:112], v108 offset:640
	ds_read_b128 v[113:116], v108 offset:656
	;; [unrolled: 1-line block ×6, first 2 shown]
	v_cmp_lt_u32_e32 vcc, 24, v0
	s_waitcnt vmcnt(55) lgkmcnt(5)
	v_mul_f32_e32 v133, v109, v163
	s_waitcnt vmcnt(54)
	v_mul_f32_e32 v134, v111, v164
	s_waitcnt vmcnt(53) lgkmcnt(4)
	v_mul_f32_e32 v135, v113, v165
	s_waitcnt vmcnt(52)
	v_mul_f32_e32 v136, v115, v166
	;; [unrolled: 4-line block ×4, first 2 shown]
	s_waitcnt vmcnt(47) lgkmcnt(1)
	v_mul_f32_e32 v141, v125, v171
	s_waitcnt vmcnt(46)
	v_fmac_f32_e32 v133, v110, v172
	s_waitcnt vmcnt(45)
	v_fmac_f32_e32 v134, v112, v173
	v_add_f32_e32 v133, 0, v133
	s_waitcnt vmcnt(44)
	v_fmac_f32_e32 v135, v114, v174
	v_add_f32_e32 v133, v133, v134
	;; [unrolled: 3-line block ×3, first 2 shown]
	v_mul_f32_e32 v110, v110, v163
	s_waitcnt vmcnt(42)
	v_fmac_f32_e32 v137, v118, v176
	v_add_f32_e32 v133, v133, v136
	v_fma_f32 v109, v109, v172, -v110
	v_mul_f32_e32 v110, v112, v164
	s_waitcnt vmcnt(41)
	v_fmac_f32_e32 v138, v120, v177
	v_add_f32_e32 v133, v133, v137
	v_add_f32_e32 v109, 0, v109
	v_fma_f32 v110, v111, v173, -v110
	s_waitcnt vmcnt(40)
	v_fmac_f32_e32 v139, v122, v178
	v_add_f32_e32 v133, v133, v138
	v_add_f32_e32 v109, v109, v110
	v_mul_f32_e32 v110, v114, v165
	s_waitcnt vmcnt(39)
	v_fmac_f32_e32 v140, v124, v179
	v_add_f32_e32 v133, v133, v139
	v_fma_f32 v110, v113, v174, -v110
	v_add_f32_e32 v133, v133, v140
	s_waitcnt vmcnt(38)
	v_fmac_f32_e32 v141, v126, v180
	s_waitcnt vmcnt(37)
	v_mul_f32_e32 v134, v127, v181
	v_add_f32_e32 v109, v109, v110
	v_mul_f32_e32 v110, v116, v166
	v_add_f32_e32 v133, v133, v141
	s_waitcnt vmcnt(36)
	v_fmac_f32_e32 v134, v128, v182
	v_fma_f32 v110, v115, v175, -v110
	v_add_f32_e32 v133, v133, v134
	s_waitcnt vmcnt(35) lgkmcnt(0)
	v_mul_f32_e32 v134, v129, v183
	v_add_f32_e32 v109, v109, v110
	v_mul_f32_e32 v110, v118, v167
	s_waitcnt vmcnt(34)
	v_fmac_f32_e32 v134, v130, v184
	v_fma_f32 v110, v117, v176, -v110
	v_add_f32_e32 v137, v133, v134
	ds_read_b128 v[133:136], v108 offset:736
	v_add_f32_e32 v109, v109, v110
	v_mul_f32_e32 v110, v120, v168
	v_fma_f32 v110, v119, v177, -v110
	s_waitcnt vmcnt(33)
	v_mul_f32_e32 v138, v131, v185
	v_add_f32_e32 v109, v109, v110
	v_mul_f32_e32 v110, v122, v169
	s_waitcnt vmcnt(32)
	v_fmac_f32_e32 v138, v132, v186
	v_fma_f32 v110, v121, v178, -v110
	v_add_f32_e32 v141, v137, v138
	ds_read_b128 v[137:140], v108 offset:752
	v_add_f32_e32 v109, v109, v110
	v_mul_f32_e32 v110, v124, v170
	s_waitcnt vmcnt(31) lgkmcnt(1)
	v_mul_f32_e32 v142, v133, v187
	v_fma_f32 v110, v123, v179, -v110
	s_waitcnt vmcnt(30)
	v_fmac_f32_e32 v142, v134, v188
	v_add_f32_e32 v109, v109, v110
	v_mul_f32_e32 v110, v126, v171
	v_add_f32_e32 v141, v141, v142
	s_waitcnt vmcnt(29)
	v_mul_f32_e32 v142, v135, v189
	v_fma_f32 v110, v125, v180, -v110
	s_waitcnt vmcnt(28)
	v_fmac_f32_e32 v142, v136, v190
	v_add_f32_e32 v109, v109, v110
	v_mul_f32_e32 v110, v128, v181
	v_add_f32_e32 v141, v141, v142
	s_waitcnt vmcnt(27) lgkmcnt(0)
	v_mul_f32_e32 v142, v137, v191
	v_fma_f32 v110, v127, v182, -v110
	s_waitcnt vmcnt(26)
	v_fmac_f32_e32 v142, v138, v192
	v_add_f32_e32 v109, v109, v110
	v_mul_f32_e32 v110, v130, v183
	v_add_f32_e32 v145, v141, v142
	ds_read_b128 v[141:144], v108 offset:768
	v_fma_f32 v110, v129, v184, -v110
	v_add_f32_e32 v109, v109, v110
	v_mul_f32_e32 v110, v132, v185
	s_waitcnt vmcnt(24)
	v_mul_f32_e32 v146, v139, v194
	v_fma_f32 v110, v131, v186, -v110
	v_fmac_f32_e32 v146, v140, v193
	v_add_f32_e32 v109, v109, v110
	v_mul_f32_e32 v110, v134, v187
	v_add_f32_e32 v149, v145, v146
	ds_read_b128 v[145:148], v108 offset:784
	v_fma_f32 v110, v133, v188, -v110
	s_waitcnt vmcnt(21) lgkmcnt(1)
	v_mul_f32_e32 v150, v141, v197
	v_add_f32_e32 v109, v109, v110
	v_mul_f32_e32 v110, v136, v189
	s_waitcnt vmcnt(20)
	v_fmac_f32_e32 v150, v142, v198
	v_fma_f32 v110, v135, v190, -v110
	v_add_f32_e32 v149, v149, v150
	s_waitcnt vmcnt(18)
	v_mul_f32_e32 v150, v143, v200
	v_add_f32_e32 v109, v109, v110
	v_mul_f32_e32 v110, v138, v191
	v_fmac_f32_e32 v150, v144, v199
	v_fma_f32 v110, v137, v192, -v110
	v_add_f32_e32 v149, v149, v150
	s_waitcnt vmcnt(16) lgkmcnt(0)
	v_mul_f32_e32 v150, v145, v202
	v_add_f32_e32 v109, v109, v110
	v_mul_f32_e32 v110, v140, v194
	v_fmac_f32_e32 v150, v146, v201
	v_fma_f32 v110, v139, v193, -v110
	v_add_f32_e32 v153, v149, v150
	ds_read_b128 v[149:152], v108 offset:800
	v_add_f32_e32 v109, v109, v110
	v_mul_f32_e32 v110, v142, v197
	v_fma_f32 v110, v141, v198, -v110
	s_waitcnt vmcnt(14)
	v_mul_f32_e32 v154, v147, v204
	v_add_f32_e32 v109, v109, v110
	v_mul_f32_e32 v110, v144, v200
	v_fmac_f32_e32 v154, v148, v203
	v_fma_f32 v110, v143, v199, -v110
	v_add_f32_e32 v157, v153, v154
	ds_read_b128 v[153:156], v108 offset:816
	v_add_f32_e32 v109, v109, v110
	v_mul_f32_e32 v110, v146, v202
	s_waitcnt vmcnt(12) lgkmcnt(1)
	v_mul_f32_e32 v158, v149, v206
	v_fma_f32 v110, v145, v201, -v110
	v_fmac_f32_e32 v158, v150, v205
	v_add_f32_e32 v109, v109, v110
	v_mul_f32_e32 v110, v148, v204
	v_add_f32_e32 v157, v157, v158
	s_waitcnt vmcnt(10)
	v_mul_f32_e32 v158, v151, v208
	v_fma_f32 v110, v147, v203, -v110
	v_fmac_f32_e32 v158, v152, v207
	v_add_f32_e32 v109, v109, v110
	v_mul_f32_e32 v110, v150, v206
	v_add_f32_e32 v157, v157, v158
	s_waitcnt vmcnt(8) lgkmcnt(0)
	v_mul_f32_e32 v158, v153, v210
	v_fma_f32 v110, v149, v205, -v110
	v_fmac_f32_e32 v158, v154, v209
	v_add_f32_e32 v109, v109, v110
	v_mul_f32_e32 v110, v152, v208
	v_add_f32_e32 v161, v157, v158
	ds_read_b128 v[157:160], v108 offset:832
	v_fma_f32 v110, v151, v207, -v110
	v_add_f32_e32 v109, v109, v110
	v_mul_f32_e32 v110, v154, v210
	s_waitcnt vmcnt(6)
	v_mul_f32_e32 v162, v155, v212
	v_fma_f32 v110, v153, v209, -v110
	v_fmac_f32_e32 v162, v156, v211
	v_add_f32_e32 v109, v109, v110
	v_mul_f32_e32 v110, v156, v212
	v_add_f32_e32 v219, v161, v162
	ds_read_b64 v[161:162], v108 offset:848
	v_fma_f32 v110, v155, v211, -v110
	v_add_f32_e32 v109, v109, v110
	s_waitcnt vmcnt(4) lgkmcnt(1)
	v_mul_f32_e32 v110, v158, v214
	v_mul_f32_e32 v220, v157, v214
	v_fma_f32 v110, v157, v213, -v110
	v_fmac_f32_e32 v220, v158, v213
	v_add_f32_e32 v109, v109, v110
	s_waitcnt vmcnt(2)
	v_mul_f32_e32 v110, v160, v216
	v_add_f32_e32 v219, v219, v220
	v_mul_f32_e32 v220, v159, v216
	v_fma_f32 v110, v159, v215, -v110
	v_fmac_f32_e32 v220, v160, v215
	v_add_f32_e32 v109, v109, v110
	s_waitcnt vmcnt(0) lgkmcnt(0)
	v_mul_f32_e32 v110, v162, v218
	v_add_f32_e32 v219, v219, v220
	v_mul_f32_e32 v220, v161, v218
	v_fma_f32 v110, v161, v217, -v110
	v_fmac_f32_e32 v220, v162, v217
	v_add_f32_e32 v109, v109, v110
	v_add_f32_e32 v219, v219, v220
	v_sub_f32_e32 v109, v195, v109
	v_sub_f32_e32 v110, v196, v219
	buffer_store_dword v109, off, s[0:3], 0 offset:200
	buffer_store_dword v110, off, s[0:3], 0 offset:204
	s_and_saveexec_b64 s[4:5], vcc
	s_cbranch_execz .LBB52_283
; %bb.282:
	buffer_load_dword v109, off, s[0:3], 0 offset:192
	buffer_load_dword v110, off, s[0:3], 0 offset:196
	s_waitcnt vmcnt(0)
	ds_write_b64 v107, v[109:110]
	buffer_store_dword v108, off, s[0:3], 0 offset:192
	buffer_store_dword v108, off, s[0:3], 0 offset:196
.LBB52_283:
	s_or_b64 exec, exec, s[4:5]
	s_waitcnt lgkmcnt(0)
	; wave barrier
	buffer_load_dword v165, off, s[0:3], 0 offset:204
	buffer_load_dword v166, off, s[0:3], 0 offset:212
	;; [unrolled: 1-line block ×34, first 2 shown]
	ds_read2_b64 v[109:112], v108 offset0:79 offset1:80
	ds_read2_b64 v[113:116], v108 offset0:81 offset1:82
	buffer_load_dword v199, off, s[0:3], 0 offset:332
	buffer_load_dword v200, off, s[0:3], 0 offset:328
	;; [unrolled: 1-line block ×6, first 2 shown]
	ds_read2_b64 v[117:120], v108 offset0:83 offset1:84
	ds_read2_b64 v[121:124], v108 offset0:85 offset1:86
	;; [unrolled: 1-line block ×4, first 2 shown]
	buffer_load_dword v205, off, s[0:3], 0 offset:356
	buffer_load_dword v206, off, s[0:3], 0 offset:352
	;; [unrolled: 1-line block ×18, first 2 shown]
	v_cmp_lt_u32_e32 vcc, 23, v0
	s_waitcnt vmcnt(57) lgkmcnt(5)
	v_mul_f32_e32 v133, v109, v165
	s_waitcnt vmcnt(56)
	v_mul_f32_e32 v134, v111, v166
	s_waitcnt vmcnt(55) lgkmcnt(4)
	v_mul_f32_e32 v135, v113, v167
	s_waitcnt vmcnt(54)
	v_mul_f32_e32 v136, v115, v168
	;; [unrolled: 4-line block ×4, first 2 shown]
	s_waitcnt vmcnt(49)
	v_fmac_f32_e32 v133, v110, v173
	s_waitcnt vmcnt(48)
	v_fmac_f32_e32 v134, v112, v174
	v_add_f32_e32 v133, 0, v133
	s_waitcnt vmcnt(47)
	v_fmac_f32_e32 v135, v114, v175
	v_add_f32_e32 v133, v133, v134
	s_waitcnt vmcnt(46)
	v_fmac_f32_e32 v136, v116, v176
	v_add_f32_e32 v133, v133, v135
	s_waitcnt vmcnt(45)
	v_fmac_f32_e32 v137, v118, v177
	v_add_f32_e32 v133, v133, v136
	v_mul_f32_e32 v110, v110, v165
	s_waitcnt vmcnt(44)
	v_fmac_f32_e32 v138, v120, v178
	v_add_f32_e32 v133, v133, v137
	v_fma_f32 v109, v109, v173, -v110
	v_mul_f32_e32 v110, v112, v166
	s_waitcnt vmcnt(43)
	v_fmac_f32_e32 v139, v122, v179
	v_add_f32_e32 v133, v133, v138
	v_add_f32_e32 v109, 0, v109
	v_fma_f32 v110, v111, v174, -v110
	s_waitcnt vmcnt(42)
	v_fmac_f32_e32 v140, v124, v180
	v_add_f32_e32 v133, v133, v139
	s_waitcnt vmcnt(41) lgkmcnt(1)
	v_mul_f32_e32 v134, v125, v181
	v_add_f32_e32 v109, v109, v110
	v_mul_f32_e32 v110, v114, v167
	v_add_f32_e32 v133, v133, v140
	s_waitcnt vmcnt(40)
	v_fmac_f32_e32 v134, v126, v182
	v_fma_f32 v110, v113, v175, -v110
	v_add_f32_e32 v133, v133, v134
	s_waitcnt vmcnt(39)
	v_mul_f32_e32 v134, v127, v183
	v_add_f32_e32 v109, v109, v110
	v_mul_f32_e32 v110, v116, v168
	s_waitcnt vmcnt(38)
	v_fmac_f32_e32 v134, v128, v184
	v_fma_f32 v110, v115, v176, -v110
	v_add_f32_e32 v133, v133, v134
	s_waitcnt vmcnt(37) lgkmcnt(0)
	v_mul_f32_e32 v134, v129, v185
	v_add_f32_e32 v109, v109, v110
	v_mul_f32_e32 v110, v118, v169
	s_waitcnt vmcnt(36)
	v_fmac_f32_e32 v134, v130, v186
	v_fma_f32 v110, v117, v177, -v110
	v_add_f32_e32 v137, v133, v134
	ds_read2_b64 v[133:136], v108 offset0:91 offset1:92
	v_add_f32_e32 v109, v109, v110
	v_mul_f32_e32 v110, v120, v170
	v_fma_f32 v110, v119, v178, -v110
	s_waitcnt vmcnt(35)
	v_mul_f32_e32 v138, v131, v187
	v_add_f32_e32 v109, v109, v110
	v_mul_f32_e32 v110, v122, v171
	s_waitcnt vmcnt(34)
	v_fmac_f32_e32 v138, v132, v188
	v_fma_f32 v110, v121, v179, -v110
	v_add_f32_e32 v141, v137, v138
	ds_read2_b64 v[137:140], v108 offset0:93 offset1:94
	v_add_f32_e32 v109, v109, v110
	v_mul_f32_e32 v110, v124, v172
	s_waitcnt vmcnt(33) lgkmcnt(1)
	v_mul_f32_e32 v142, v133, v189
	v_fma_f32 v110, v123, v180, -v110
	s_waitcnt vmcnt(32)
	v_fmac_f32_e32 v142, v134, v190
	v_add_f32_e32 v109, v109, v110
	v_mul_f32_e32 v110, v126, v181
	v_add_f32_e32 v141, v141, v142
	s_waitcnt vmcnt(31)
	v_mul_f32_e32 v142, v135, v191
	v_fma_f32 v110, v125, v182, -v110
	s_waitcnt vmcnt(30)
	v_fmac_f32_e32 v142, v136, v192
	v_add_f32_e32 v109, v109, v110
	v_mul_f32_e32 v110, v128, v183
	v_add_f32_e32 v141, v141, v142
	s_waitcnt vmcnt(29) lgkmcnt(0)
	v_mul_f32_e32 v142, v137, v193
	v_fma_f32 v110, v127, v184, -v110
	s_waitcnt vmcnt(28)
	v_fmac_f32_e32 v142, v138, v194
	v_add_f32_e32 v109, v109, v110
	v_mul_f32_e32 v110, v130, v185
	v_add_f32_e32 v145, v141, v142
	ds_read2_b64 v[141:144], v108 offset0:95 offset1:96
	v_fma_f32 v110, v129, v186, -v110
	v_add_f32_e32 v109, v109, v110
	v_mul_f32_e32 v110, v132, v187
	s_waitcnt vmcnt(25)
	v_mul_f32_e32 v146, v139, v197
	v_fma_f32 v110, v131, v188, -v110
	s_waitcnt vmcnt(24)
	v_fmac_f32_e32 v146, v140, v198
	v_add_f32_e32 v109, v109, v110
	v_mul_f32_e32 v110, v134, v189
	v_add_f32_e32 v149, v145, v146
	ds_read2_b64 v[145:148], v108 offset0:97 offset1:98
	v_fma_f32 v110, v133, v190, -v110
	s_waitcnt vmcnt(23) lgkmcnt(1)
	v_mul_f32_e32 v150, v141, v199
	v_add_f32_e32 v109, v109, v110
	v_mul_f32_e32 v110, v136, v191
	s_waitcnt vmcnt(22)
	v_fmac_f32_e32 v150, v142, v200
	v_fma_f32 v110, v135, v192, -v110
	v_add_f32_e32 v149, v149, v150
	s_waitcnt vmcnt(20)
	v_mul_f32_e32 v150, v143, v202
	v_add_f32_e32 v109, v109, v110
	v_mul_f32_e32 v110, v138, v193
	v_fmac_f32_e32 v150, v144, v201
	v_fma_f32 v110, v137, v194, -v110
	v_add_f32_e32 v149, v149, v150
	s_waitcnt vmcnt(18) lgkmcnt(0)
	v_mul_f32_e32 v150, v145, v204
	v_add_f32_e32 v109, v109, v110
	v_mul_f32_e32 v110, v140, v197
	v_fmac_f32_e32 v150, v146, v203
	v_fma_f32 v110, v139, v198, -v110
	v_add_f32_e32 v153, v149, v150
	ds_read2_b64 v[149:152], v108 offset0:99 offset1:100
	v_add_f32_e32 v109, v109, v110
	v_mul_f32_e32 v110, v142, v199
	v_fma_f32 v110, v141, v200, -v110
	s_waitcnt vmcnt(17)
	v_mul_f32_e32 v154, v147, v205
	v_add_f32_e32 v109, v109, v110
	v_mul_f32_e32 v110, v144, v202
	s_waitcnt vmcnt(16)
	v_fmac_f32_e32 v154, v148, v206
	v_fma_f32 v110, v143, v201, -v110
	v_add_f32_e32 v157, v153, v154
	ds_read2_b64 v[153:156], v108 offset0:101 offset1:102
	v_add_f32_e32 v109, v109, v110
	v_mul_f32_e32 v110, v146, v204
	s_waitcnt vmcnt(14) lgkmcnt(1)
	v_mul_f32_e32 v158, v149, v208
	v_fma_f32 v110, v145, v203, -v110
	v_fmac_f32_e32 v158, v150, v207
	v_add_f32_e32 v109, v109, v110
	v_mul_f32_e32 v110, v148, v205
	v_add_f32_e32 v157, v157, v158
	s_waitcnt vmcnt(12)
	v_mul_f32_e32 v158, v151, v210
	v_fma_f32 v110, v147, v206, -v110
	v_fmac_f32_e32 v158, v152, v209
	v_add_f32_e32 v109, v109, v110
	v_mul_f32_e32 v110, v150, v208
	v_add_f32_e32 v157, v157, v158
	s_waitcnt vmcnt(10) lgkmcnt(0)
	v_mul_f32_e32 v158, v153, v212
	v_fma_f32 v110, v149, v207, -v110
	v_fmac_f32_e32 v158, v154, v211
	v_add_f32_e32 v109, v109, v110
	v_mul_f32_e32 v110, v152, v210
	v_add_f32_e32 v161, v157, v158
	ds_read2_b64 v[157:160], v108 offset0:103 offset1:104
	v_fma_f32 v110, v151, v209, -v110
	v_add_f32_e32 v109, v109, v110
	v_mul_f32_e32 v110, v154, v212
	s_waitcnt vmcnt(8)
	v_mul_f32_e32 v162, v155, v214
	v_fma_f32 v110, v153, v211, -v110
	v_fmac_f32_e32 v162, v156, v213
	v_add_f32_e32 v109, v109, v110
	v_mul_f32_e32 v110, v156, v214
	v_add_f32_e32 v223, v161, v162
	ds_read2_b64 v[161:164], v108 offset0:105 offset1:106
	v_fma_f32 v110, v155, v213, -v110
	v_add_f32_e32 v109, v109, v110
	s_waitcnt vmcnt(6) lgkmcnt(1)
	v_mul_f32_e32 v110, v158, v216
	v_mul_f32_e32 v108, v157, v216
	v_fma_f32 v110, v157, v215, -v110
	v_fmac_f32_e32 v108, v158, v215
	v_add_f32_e32 v109, v109, v110
	s_waitcnt vmcnt(4)
	v_mul_f32_e32 v110, v160, v218
	v_add_f32_e32 v108, v223, v108
	v_mul_f32_e32 v223, v159, v218
	v_fma_f32 v110, v159, v217, -v110
	v_fmac_f32_e32 v223, v160, v217
	v_add_f32_e32 v109, v109, v110
	s_waitcnt vmcnt(2) lgkmcnt(0)
	v_mul_f32_e32 v110, v162, v220
	v_add_f32_e32 v108, v108, v223
	v_mul_f32_e32 v223, v161, v220
	v_fma_f32 v110, v161, v219, -v110
	v_fmac_f32_e32 v223, v162, v219
	v_add_f32_e32 v109, v109, v110
	s_waitcnt vmcnt(0)
	v_mul_f32_e32 v110, v164, v222
	v_add_f32_e32 v108, v108, v223
	v_mul_f32_e32 v223, v163, v222
	v_fma_f32 v110, v163, v221, -v110
	v_fmac_f32_e32 v223, v164, v221
	v_add_f32_e32 v109, v109, v110
	v_add_f32_e32 v108, v108, v223
	v_sub_f32_e32 v109, v195, v109
	v_sub_f32_e32 v108, v196, v108
	buffer_store_dword v109, off, s[0:3], 0 offset:192
	buffer_store_dword v108, off, s[0:3], 0 offset:196
	s_and_saveexec_b64 s[4:5], vcc
	s_cbranch_execz .LBB52_285
; %bb.284:
	buffer_load_dword v108, off, s[0:3], 0 offset:184
	buffer_load_dword v109, off, s[0:3], 0 offset:188
	v_mov_b32_e32 v110, 0
	buffer_store_dword v110, off, s[0:3], 0 offset:184
	buffer_store_dword v110, off, s[0:3], 0 offset:188
	s_waitcnt vmcnt(2)
	ds_write_b64 v107, v[108:109]
.LBB52_285:
	s_or_b64 exec, exec, s[4:5]
	s_waitcnt lgkmcnt(0)
	; wave barrier
	buffer_load_dword v167, off, s[0:3], 0 offset:196
	buffer_load_dword v168, off, s[0:3], 0 offset:204
	;; [unrolled: 1-line block ×60, first 2 shown]
	v_mov_b32_e32 v108, 0
	ds_read_b128 v[109:112], v108 offset:624
	ds_read_b128 v[113:116], v108 offset:640
	;; [unrolled: 1-line block ×5, first 2 shown]
	v_cmp_lt_u32_e32 vcc, 22, v0
	s_waitcnt vmcnt(59) lgkmcnt(4)
	v_mul_f32_e32 v129, v109, v167
	s_waitcnt vmcnt(58)
	v_mul_f32_e32 v130, v111, v168
	s_waitcnt vmcnt(57) lgkmcnt(3)
	v_mul_f32_e32 v131, v113, v169
	s_waitcnt vmcnt(56)
	v_mul_f32_e32 v132, v115, v170
	;; [unrolled: 4-line block ×3, first 2 shown]
	s_waitcnt vmcnt(53) lgkmcnt(1)
	v_mul_f32_e32 v135, v121, v173
	s_waitcnt vmcnt(52)
	v_fmac_f32_e32 v129, v110, v174
	s_waitcnt vmcnt(51)
	v_fmac_f32_e32 v130, v112, v175
	v_add_f32_e32 v129, 0, v129
	s_waitcnt vmcnt(50)
	v_fmac_f32_e32 v131, v114, v176
	v_add_f32_e32 v129, v129, v130
	;; [unrolled: 3-line block ×6, first 2 shown]
	s_waitcnt vmcnt(45)
	v_mul_f32_e32 v130, v123, v181
	v_add_f32_e32 v129, v129, v135
	s_waitcnt vmcnt(44)
	v_fmac_f32_e32 v130, v124, v182
	v_mul_f32_e32 v110, v110, v167
	v_add_f32_e32 v133, v129, v130
	ds_read_b128 v[129:132], v108 offset:704
	v_fma_f32 v109, v109, v174, -v110
	v_mul_f32_e32 v110, v112, v168
	s_waitcnt vmcnt(43) lgkmcnt(1)
	v_mul_f32_e32 v134, v125, v183
	v_add_f32_e32 v109, 0, v109
	v_fma_f32 v110, v111, v175, -v110
	s_waitcnt vmcnt(42)
	v_fmac_f32_e32 v134, v126, v184
	v_add_f32_e32 v109, v109, v110
	v_mul_f32_e32 v110, v114, v169
	v_add_f32_e32 v133, v133, v134
	s_waitcnt vmcnt(41)
	v_mul_f32_e32 v134, v127, v185
	v_fma_f32 v110, v113, v176, -v110
	s_waitcnt vmcnt(40)
	v_fmac_f32_e32 v134, v128, v186
	v_add_f32_e32 v109, v109, v110
	v_mul_f32_e32 v110, v116, v170
	v_add_f32_e32 v133, v133, v134
	s_waitcnt vmcnt(39) lgkmcnt(0)
	v_mul_f32_e32 v134, v129, v187
	v_fma_f32 v110, v115, v177, -v110
	s_waitcnt vmcnt(38)
	v_fmac_f32_e32 v134, v130, v188
	v_add_f32_e32 v109, v109, v110
	v_mul_f32_e32 v110, v118, v171
	v_add_f32_e32 v137, v133, v134
	ds_read_b128 v[133:136], v108 offset:720
	v_fma_f32 v110, v117, v178, -v110
	v_add_f32_e32 v109, v109, v110
	v_mul_f32_e32 v110, v120, v172
	s_waitcnt vmcnt(37)
	v_mul_f32_e32 v138, v131, v189
	v_fma_f32 v110, v119, v179, -v110
	s_waitcnt vmcnt(36)
	v_fmac_f32_e32 v138, v132, v190
	v_add_f32_e32 v109, v109, v110
	v_mul_f32_e32 v110, v122, v173
	v_add_f32_e32 v141, v137, v138
	ds_read_b128 v[137:140], v108 offset:736
	v_fma_f32 v110, v121, v180, -v110
	s_waitcnt vmcnt(34) lgkmcnt(1)
	v_mul_f32_e32 v142, v133, v192
	v_add_f32_e32 v109, v109, v110
	v_mul_f32_e32 v110, v124, v181
	v_fmac_f32_e32 v142, v134, v191
	v_fma_f32 v110, v123, v182, -v110
	v_add_f32_e32 v141, v141, v142
	s_waitcnt vmcnt(31)
	v_mul_f32_e32 v142, v135, v195
	v_add_f32_e32 v109, v109, v110
	v_mul_f32_e32 v110, v126, v183
	s_waitcnt vmcnt(30)
	v_fmac_f32_e32 v142, v136, v196
	v_fma_f32 v110, v125, v184, -v110
	v_add_f32_e32 v141, v141, v142
	s_waitcnt vmcnt(28) lgkmcnt(0)
	v_mul_f32_e32 v142, v137, v198
	v_add_f32_e32 v109, v109, v110
	v_mul_f32_e32 v110, v128, v185
	v_fmac_f32_e32 v142, v138, v197
	v_fma_f32 v110, v127, v186, -v110
	v_add_f32_e32 v145, v141, v142
	ds_read_b128 v[141:144], v108 offset:752
	v_add_f32_e32 v109, v109, v110
	v_mul_f32_e32 v110, v130, v187
	v_fma_f32 v110, v129, v188, -v110
	s_waitcnt vmcnt(26)
	v_mul_f32_e32 v146, v139, v200
	v_add_f32_e32 v109, v109, v110
	v_mul_f32_e32 v110, v132, v189
	v_fmac_f32_e32 v146, v140, v199
	v_fma_f32 v110, v131, v190, -v110
	v_add_f32_e32 v149, v145, v146
	ds_read_b128 v[145:148], v108 offset:768
	v_add_f32_e32 v109, v109, v110
	v_mul_f32_e32 v110, v134, v192
	s_waitcnt vmcnt(24) lgkmcnt(1)
	v_mul_f32_e32 v150, v141, v202
	v_fma_f32 v110, v133, v191, -v110
	v_fmac_f32_e32 v150, v142, v201
	v_add_f32_e32 v109, v109, v110
	v_mul_f32_e32 v110, v136, v195
	v_add_f32_e32 v149, v149, v150
	s_waitcnt vmcnt(22)
	v_mul_f32_e32 v150, v143, v204
	v_fma_f32 v110, v135, v196, -v110
	v_fmac_f32_e32 v150, v144, v203
	v_add_f32_e32 v109, v109, v110
	v_mul_f32_e32 v110, v138, v198
	v_add_f32_e32 v149, v149, v150
	s_waitcnt vmcnt(20) lgkmcnt(0)
	v_mul_f32_e32 v150, v145, v206
	v_fma_f32 v110, v137, v197, -v110
	v_fmac_f32_e32 v150, v146, v205
	v_add_f32_e32 v109, v109, v110
	v_mul_f32_e32 v110, v140, v200
	v_add_f32_e32 v153, v149, v150
	ds_read_b128 v[149:152], v108 offset:784
	v_fma_f32 v110, v139, v199, -v110
	v_add_f32_e32 v109, v109, v110
	v_mul_f32_e32 v110, v142, v202
	s_waitcnt vmcnt(18)
	v_mul_f32_e32 v154, v147, v208
	v_fma_f32 v110, v141, v201, -v110
	v_fmac_f32_e32 v154, v148, v207
	v_add_f32_e32 v109, v109, v110
	v_mul_f32_e32 v110, v144, v204
	v_add_f32_e32 v157, v153, v154
	ds_read_b128 v[153:156], v108 offset:800
	v_fma_f32 v110, v143, v203, -v110
	s_waitcnt vmcnt(16) lgkmcnt(1)
	v_mul_f32_e32 v158, v149, v210
	v_add_f32_e32 v109, v109, v110
	v_mul_f32_e32 v110, v146, v206
	v_fmac_f32_e32 v158, v150, v209
	v_fma_f32 v110, v145, v205, -v110
	v_add_f32_e32 v157, v157, v158
	s_waitcnt vmcnt(14)
	v_mul_f32_e32 v158, v151, v212
	v_add_f32_e32 v109, v109, v110
	v_mul_f32_e32 v110, v148, v208
	v_fmac_f32_e32 v158, v152, v211
	v_fma_f32 v110, v147, v207, -v110
	v_add_f32_e32 v157, v157, v158
	s_waitcnt vmcnt(12) lgkmcnt(0)
	v_mul_f32_e32 v158, v153, v214
	v_add_f32_e32 v109, v109, v110
	v_mul_f32_e32 v110, v150, v210
	v_fmac_f32_e32 v158, v154, v213
	v_fma_f32 v110, v149, v209, -v110
	v_add_f32_e32 v161, v157, v158
	ds_read_b128 v[157:160], v108 offset:816
	v_add_f32_e32 v109, v109, v110
	v_mul_f32_e32 v110, v152, v212
	v_fma_f32 v110, v151, v211, -v110
	v_add_f32_e32 v109, v109, v110
	v_mul_f32_e32 v110, v154, v214
	s_waitcnt vmcnt(10)
	v_mul_f32_e32 v162, v155, v216
	v_fma_f32 v110, v153, v213, -v110
	v_fmac_f32_e32 v162, v156, v215
	v_add_f32_e32 v109, v109, v110
	v_mul_f32_e32 v110, v156, v216
	v_add_f32_e32 v165, v161, v162
	ds_read_b128 v[161:164], v108 offset:832
	s_waitcnt vmcnt(8) lgkmcnt(1)
	v_mul_f32_e32 v166, v157, v218
	v_fma_f32 v110, v155, v215, -v110
	v_fmac_f32_e32 v166, v158, v217
	v_add_f32_e32 v109, v109, v110
	v_mul_f32_e32 v110, v158, v218
	v_add_f32_e32 v165, v165, v166
	s_waitcnt vmcnt(6)
	v_mul_f32_e32 v166, v159, v220
	v_fma_f32 v110, v157, v217, -v110
	v_fmac_f32_e32 v166, v160, v219
	v_add_f32_e32 v109, v109, v110
	v_mul_f32_e32 v110, v160, v220
	v_add_f32_e32 v227, v165, v166
	ds_read_b64 v[165:166], v108 offset:848
	v_fma_f32 v110, v159, v219, -v110
	v_add_f32_e32 v109, v109, v110
	s_waitcnt vmcnt(4) lgkmcnt(1)
	v_mul_f32_e32 v110, v162, v222
	v_mul_f32_e32 v228, v161, v222
	v_fma_f32 v110, v161, v221, -v110
	v_fmac_f32_e32 v228, v162, v221
	v_add_f32_e32 v109, v109, v110
	s_waitcnt vmcnt(2)
	v_mul_f32_e32 v110, v164, v224
	v_add_f32_e32 v227, v227, v228
	v_mul_f32_e32 v228, v163, v224
	v_fma_f32 v110, v163, v223, -v110
	v_fmac_f32_e32 v228, v164, v223
	v_add_f32_e32 v109, v109, v110
	s_waitcnt vmcnt(0) lgkmcnt(0)
	v_mul_f32_e32 v110, v166, v226
	v_add_f32_e32 v227, v227, v228
	v_mul_f32_e32 v228, v165, v226
	v_fma_f32 v110, v165, v225, -v110
	v_fmac_f32_e32 v228, v166, v225
	v_add_f32_e32 v109, v109, v110
	v_add_f32_e32 v227, v227, v228
	v_sub_f32_e32 v109, v193, v109
	v_sub_f32_e32 v110, v194, v227
	buffer_store_dword v109, off, s[0:3], 0 offset:184
	buffer_store_dword v110, off, s[0:3], 0 offset:188
	s_and_saveexec_b64 s[4:5], vcc
	s_cbranch_execz .LBB52_287
; %bb.286:
	buffer_load_dword v109, off, s[0:3], 0 offset:176
	buffer_load_dword v110, off, s[0:3], 0 offset:180
	s_waitcnt vmcnt(0)
	ds_write_b64 v107, v[109:110]
	buffer_store_dword v108, off, s[0:3], 0 offset:176
	buffer_store_dword v108, off, s[0:3], 0 offset:180
.LBB52_287:
	s_or_b64 exec, exec, s[4:5]
	s_waitcnt lgkmcnt(0)
	; wave barrier
	buffer_load_dword v169, off, s[0:3], 0 offset:188
	buffer_load_dword v170, off, s[0:3], 0 offset:196
	buffer_load_dword v171, off, s[0:3], 0 offset:204
	buffer_load_dword v172, off, s[0:3], 0 offset:212
	buffer_load_dword v173, off, s[0:3], 0 offset:220
	buffer_load_dword v174, off, s[0:3], 0 offset:228
	buffer_load_dword v175, off, s[0:3], 0 offset:236
	buffer_load_dword v176, off, s[0:3], 0 offset:184
	buffer_load_dword v177, off, s[0:3], 0 offset:192
	buffer_load_dword v178, off, s[0:3], 0 offset:200
	buffer_load_dword v179, off, s[0:3], 0 offset:208
	buffer_load_dword v180, off, s[0:3], 0 offset:216
	buffer_load_dword v181, off, s[0:3], 0 offset:224
	buffer_load_dword v182, off, s[0:3], 0 offset:232
	buffer_load_dword v183, off, s[0:3], 0 offset:244
	buffer_load_dword v184, off, s[0:3], 0 offset:240
	buffer_load_dword v185, off, s[0:3], 0 offset:252
	buffer_load_dword v186, off, s[0:3], 0 offset:248
	buffer_load_dword v187, off, s[0:3], 0 offset:260
	buffer_load_dword v188, off, s[0:3], 0 offset:256
	buffer_load_dword v189, off, s[0:3], 0 offset:268
	buffer_load_dword v190, off, s[0:3], 0 offset:264
	buffer_load_dword v191, off, s[0:3], 0 offset:276
	buffer_load_dword v192, off, s[0:3], 0 offset:272
	buffer_load_dword v193, off, s[0:3], 0 offset:176
	buffer_load_dword v194, off, s[0:3], 0 offset:180
	buffer_load_dword v195, off, s[0:3], 0 offset:284
	buffer_load_dword v196, off, s[0:3], 0 offset:280
	buffer_load_dword v197, off, s[0:3], 0 offset:288
	buffer_load_dword v198, off, s[0:3], 0 offset:292
	buffer_load_dword v199, off, s[0:3], 0 offset:296
	buffer_load_dword v200, off, s[0:3], 0 offset:300
	ds_read2_b64 v[109:112], v108 offset0:77 offset1:78
	ds_read2_b64 v[113:116], v108 offset0:79 offset1:80
	;; [unrolled: 1-line block ×4, first 2 shown]
	buffer_load_dword v201, off, s[0:3], 0 offset:308
	buffer_load_dword v202, off, s[0:3], 0 offset:304
	buffer_load_dword v203, off, s[0:3], 0 offset:312
	buffer_load_dword v204, off, s[0:3], 0 offset:316
	buffer_load_dword v205, off, s[0:3], 0 offset:320
	buffer_load_dword v206, off, s[0:3], 0 offset:324
	buffer_load_dword v207, off, s[0:3], 0 offset:328
	buffer_load_dword v208, off, s[0:3], 0 offset:332
	buffer_load_dword v209, off, s[0:3], 0 offset:336
	buffer_load_dword v210, off, s[0:3], 0 offset:340
	buffer_load_dword v211, off, s[0:3], 0 offset:344
	buffer_load_dword v212, off, s[0:3], 0 offset:348
	buffer_load_dword v213, off, s[0:3], 0 offset:352
	buffer_load_dword v214, off, s[0:3], 0 offset:356
	buffer_load_dword v215, off, s[0:3], 0 offset:360
	buffer_load_dword v216, off, s[0:3], 0 offset:364
	buffer_load_dword v217, off, s[0:3], 0 offset:368
	buffer_load_dword v218, off, s[0:3], 0 offset:372
	buffer_load_dword v219, off, s[0:3], 0 offset:376
	buffer_load_dword v220, off, s[0:3], 0 offset:380
	buffer_load_dword v221, off, s[0:3], 0 offset:384
	buffer_load_dword v222, off, s[0:3], 0 offset:388
	buffer_load_dword v223, off, s[0:3], 0 offset:392
	buffer_load_dword v224, off, s[0:3], 0 offset:396
	buffer_load_dword v225, off, s[0:3], 0 offset:400
	buffer_load_dword v226, off, s[0:3], 0 offset:404
	buffer_load_dword v227, off, s[0:3], 0 offset:408
	buffer_load_dword v228, off, s[0:3], 0 offset:412
	buffer_load_dword v229, off, s[0:3], 0 offset:416
	buffer_load_dword v230, off, s[0:3], 0 offset:420
	v_cmp_lt_u32_e32 vcc, 21, v0
	s_waitcnt vmcnt(61) lgkmcnt(3)
	v_mul_f32_e32 v125, v109, v169
	s_waitcnt vmcnt(60)
	v_mul_f32_e32 v126, v111, v170
	s_waitcnt vmcnt(59) lgkmcnt(2)
	v_mul_f32_e32 v127, v113, v171
	s_waitcnt vmcnt(58)
	v_mul_f32_e32 v128, v115, v172
	;; [unrolled: 4-line block ×3, first 2 shown]
	s_waitcnt vmcnt(55) lgkmcnt(0)
	v_mul_f32_e32 v131, v121, v175
	s_waitcnt vmcnt(54)
	v_fmac_f32_e32 v125, v110, v176
	s_waitcnt vmcnt(53)
	v_fmac_f32_e32 v126, v112, v177
	v_add_f32_e32 v125, 0, v125
	s_waitcnt vmcnt(52)
	v_fmac_f32_e32 v127, v114, v178
	v_add_f32_e32 v125, v125, v126
	;; [unrolled: 3-line block ×6, first 2 shown]
	v_add_f32_e32 v129, v125, v131
	ds_read2_b64 v[125:128], v108 offset0:85 offset1:86
	s_waitcnt vmcnt(47)
	v_mul_f32_e32 v130, v123, v183
	s_waitcnt vmcnt(46)
	v_fmac_f32_e32 v130, v124, v184
	v_mul_f32_e32 v110, v110, v169
	v_add_f32_e32 v133, v129, v130
	ds_read2_b64 v[129:132], v108 offset0:87 offset1:88
	v_fma_f32 v109, v109, v176, -v110
	v_mul_f32_e32 v110, v112, v170
	s_waitcnt vmcnt(45) lgkmcnt(1)
	v_mul_f32_e32 v134, v125, v185
	v_add_f32_e32 v109, 0, v109
	v_fma_f32 v110, v111, v177, -v110
	s_waitcnt vmcnt(44)
	v_fmac_f32_e32 v134, v126, v186
	v_add_f32_e32 v109, v109, v110
	v_mul_f32_e32 v110, v114, v171
	v_add_f32_e32 v133, v133, v134
	s_waitcnt vmcnt(43)
	v_mul_f32_e32 v134, v127, v187
	v_fma_f32 v110, v113, v178, -v110
	s_waitcnt vmcnt(42)
	v_fmac_f32_e32 v134, v128, v188
	v_add_f32_e32 v109, v109, v110
	v_mul_f32_e32 v110, v116, v172
	v_add_f32_e32 v133, v133, v134
	s_waitcnt vmcnt(41) lgkmcnt(0)
	v_mul_f32_e32 v134, v129, v189
	v_fma_f32 v110, v115, v179, -v110
	s_waitcnt vmcnt(40)
	v_fmac_f32_e32 v134, v130, v190
	v_add_f32_e32 v109, v109, v110
	v_mul_f32_e32 v110, v118, v173
	v_add_f32_e32 v137, v133, v134
	ds_read2_b64 v[133:136], v108 offset0:89 offset1:90
	v_fma_f32 v110, v117, v180, -v110
	v_add_f32_e32 v109, v109, v110
	v_mul_f32_e32 v110, v120, v174
	s_waitcnt vmcnt(39)
	v_mul_f32_e32 v138, v131, v191
	v_fma_f32 v110, v119, v181, -v110
	s_waitcnt vmcnt(38)
	v_fmac_f32_e32 v138, v132, v192
	v_add_f32_e32 v109, v109, v110
	v_mul_f32_e32 v110, v122, v175
	v_add_f32_e32 v141, v137, v138
	ds_read2_b64 v[137:140], v108 offset0:91 offset1:92
	v_fma_f32 v110, v121, v182, -v110
	s_waitcnt vmcnt(35) lgkmcnt(1)
	v_mul_f32_e32 v142, v133, v195
	v_add_f32_e32 v109, v109, v110
	v_mul_f32_e32 v110, v124, v183
	s_waitcnt vmcnt(34)
	v_fmac_f32_e32 v142, v134, v196
	v_fma_f32 v110, v123, v184, -v110
	v_add_f32_e32 v141, v141, v142
	s_waitcnt vmcnt(32)
	v_mul_f32_e32 v142, v135, v198
	v_add_f32_e32 v109, v109, v110
	v_mul_f32_e32 v110, v126, v185
	v_fmac_f32_e32 v142, v136, v197
	v_fma_f32 v110, v125, v186, -v110
	v_add_f32_e32 v141, v141, v142
	s_waitcnt vmcnt(30) lgkmcnt(0)
	v_mul_f32_e32 v142, v137, v200
	v_add_f32_e32 v109, v109, v110
	v_mul_f32_e32 v110, v128, v187
	v_fmac_f32_e32 v142, v138, v199
	v_fma_f32 v110, v127, v188, -v110
	v_add_f32_e32 v145, v141, v142
	ds_read2_b64 v[141:144], v108 offset0:93 offset1:94
	v_add_f32_e32 v109, v109, v110
	v_mul_f32_e32 v110, v130, v189
	v_fma_f32 v110, v129, v190, -v110
	s_waitcnt vmcnt(29)
	v_mul_f32_e32 v146, v139, v201
	v_add_f32_e32 v109, v109, v110
	v_mul_f32_e32 v110, v132, v191
	s_waitcnt vmcnt(28)
	v_fmac_f32_e32 v146, v140, v202
	v_fma_f32 v110, v131, v192, -v110
	v_add_f32_e32 v149, v145, v146
	ds_read2_b64 v[145:148], v108 offset0:95 offset1:96
	v_add_f32_e32 v109, v109, v110
	v_mul_f32_e32 v110, v134, v195
	s_waitcnt vmcnt(26) lgkmcnt(1)
	v_mul_f32_e32 v150, v141, v204
	v_fma_f32 v110, v133, v196, -v110
	v_fmac_f32_e32 v150, v142, v203
	v_add_f32_e32 v109, v109, v110
	v_mul_f32_e32 v110, v136, v198
	v_add_f32_e32 v149, v149, v150
	s_waitcnt vmcnt(24)
	v_mul_f32_e32 v150, v143, v206
	v_fma_f32 v110, v135, v197, -v110
	v_fmac_f32_e32 v150, v144, v205
	v_add_f32_e32 v109, v109, v110
	v_mul_f32_e32 v110, v138, v200
	v_add_f32_e32 v149, v149, v150
	s_waitcnt vmcnt(22) lgkmcnt(0)
	v_mul_f32_e32 v150, v145, v208
	v_fma_f32 v110, v137, v199, -v110
	v_fmac_f32_e32 v150, v146, v207
	v_add_f32_e32 v109, v109, v110
	v_mul_f32_e32 v110, v140, v201
	v_add_f32_e32 v153, v149, v150
	ds_read2_b64 v[149:152], v108 offset0:97 offset1:98
	v_fma_f32 v110, v139, v202, -v110
	v_add_f32_e32 v109, v109, v110
	v_mul_f32_e32 v110, v142, v204
	s_waitcnt vmcnt(20)
	v_mul_f32_e32 v154, v147, v210
	v_fma_f32 v110, v141, v203, -v110
	v_fmac_f32_e32 v154, v148, v209
	v_add_f32_e32 v109, v109, v110
	v_mul_f32_e32 v110, v144, v206
	v_add_f32_e32 v157, v153, v154
	ds_read2_b64 v[153:156], v108 offset0:99 offset1:100
	v_fma_f32 v110, v143, v205, -v110
	s_waitcnt vmcnt(18) lgkmcnt(1)
	v_mul_f32_e32 v158, v149, v212
	v_add_f32_e32 v109, v109, v110
	v_mul_f32_e32 v110, v146, v208
	v_fmac_f32_e32 v158, v150, v211
	v_fma_f32 v110, v145, v207, -v110
	v_add_f32_e32 v157, v157, v158
	s_waitcnt vmcnt(16)
	v_mul_f32_e32 v158, v151, v214
	v_add_f32_e32 v109, v109, v110
	v_mul_f32_e32 v110, v148, v210
	v_fmac_f32_e32 v158, v152, v213
	v_fma_f32 v110, v147, v209, -v110
	v_add_f32_e32 v157, v157, v158
	s_waitcnt vmcnt(14) lgkmcnt(0)
	v_mul_f32_e32 v158, v153, v216
	v_add_f32_e32 v109, v109, v110
	v_mul_f32_e32 v110, v150, v212
	v_fmac_f32_e32 v158, v154, v215
	v_fma_f32 v110, v149, v211, -v110
	v_add_f32_e32 v161, v157, v158
	ds_read2_b64 v[157:160], v108 offset0:101 offset1:102
	v_add_f32_e32 v109, v109, v110
	v_mul_f32_e32 v110, v152, v214
	v_fma_f32 v110, v151, v213, -v110
	v_add_f32_e32 v109, v109, v110
	v_mul_f32_e32 v110, v154, v216
	s_waitcnt vmcnt(12)
	v_mul_f32_e32 v162, v155, v218
	v_fma_f32 v110, v153, v215, -v110
	v_fmac_f32_e32 v162, v156, v217
	v_add_f32_e32 v109, v109, v110
	v_mul_f32_e32 v110, v156, v218
	v_add_f32_e32 v165, v161, v162
	ds_read2_b64 v[161:164], v108 offset0:103 offset1:104
	s_waitcnt vmcnt(10) lgkmcnt(1)
	v_mul_f32_e32 v166, v157, v220
	v_fma_f32 v110, v155, v217, -v110
	v_fmac_f32_e32 v166, v158, v219
	v_add_f32_e32 v109, v109, v110
	v_mul_f32_e32 v110, v158, v220
	v_add_f32_e32 v165, v165, v166
	s_waitcnt vmcnt(8)
	v_mul_f32_e32 v166, v159, v222
	v_fma_f32 v110, v157, v219, -v110
	v_fmac_f32_e32 v166, v160, v221
	v_add_f32_e32 v109, v109, v110
	v_mul_f32_e32 v110, v160, v222
	v_add_f32_e32 v231, v165, v166
	ds_read2_b64 v[165:168], v108 offset0:105 offset1:106
	v_fma_f32 v110, v159, v221, -v110
	v_add_f32_e32 v109, v109, v110
	s_waitcnt vmcnt(6) lgkmcnt(1)
	v_mul_f32_e32 v110, v162, v224
	v_mul_f32_e32 v232, v161, v224
	v_fma_f32 v110, v161, v223, -v110
	v_fmac_f32_e32 v232, v162, v223
	v_add_f32_e32 v109, v109, v110
	s_waitcnt vmcnt(4)
	v_mul_f32_e32 v110, v164, v226
	v_add_f32_e32 v108, v231, v232
	v_mul_f32_e32 v231, v163, v226
	v_fma_f32 v110, v163, v225, -v110
	v_fmac_f32_e32 v231, v164, v225
	v_add_f32_e32 v109, v109, v110
	s_waitcnt vmcnt(2) lgkmcnt(0)
	v_mul_f32_e32 v110, v166, v228
	v_add_f32_e32 v108, v108, v231
	v_mul_f32_e32 v231, v165, v228
	v_fma_f32 v110, v165, v227, -v110
	v_fmac_f32_e32 v231, v166, v227
	v_add_f32_e32 v109, v109, v110
	s_waitcnt vmcnt(0)
	v_mul_f32_e32 v110, v168, v230
	v_add_f32_e32 v108, v108, v231
	v_mul_f32_e32 v231, v167, v230
	v_fma_f32 v110, v167, v229, -v110
	v_fmac_f32_e32 v231, v168, v229
	v_add_f32_e32 v109, v109, v110
	v_add_f32_e32 v108, v108, v231
	v_sub_f32_e32 v109, v193, v109
	v_sub_f32_e32 v108, v194, v108
	buffer_store_dword v109, off, s[0:3], 0 offset:176
	buffer_store_dword v108, off, s[0:3], 0 offset:180
	s_and_saveexec_b64 s[4:5], vcc
	s_cbranch_execz .LBB52_289
; %bb.288:
	buffer_load_dword v108, off, s[0:3], 0 offset:168
	buffer_load_dword v109, off, s[0:3], 0 offset:172
	v_mov_b32_e32 v110, 0
	buffer_store_dword v110, off, s[0:3], 0 offset:168
	buffer_store_dword v110, off, s[0:3], 0 offset:172
	s_waitcnt vmcnt(2)
	ds_write_b64 v107, v[108:109]
.LBB52_289:
	s_or_b64 exec, exec, s[4:5]
	s_waitcnt lgkmcnt(0)
	; wave barrier
	buffer_load_dword v171, off, s[0:3], 0 offset:180
	buffer_load_dword v172, off, s[0:3], 0 offset:188
	;; [unrolled: 1-line block ×56, first 2 shown]
	v_mov_b32_e32 v108, 0
	ds_read_b128 v[109:112], v108 offset:608
	buffer_load_dword v227, off, s[0:3], 0 offset:392
	buffer_load_dword v228, off, s[0:3], 0 offset:396
	;; [unrolled: 1-line block ×4, first 2 shown]
	ds_read_b128 v[113:116], v108 offset:624
	ds_read_b128 v[117:120], v108 offset:640
	;; [unrolled: 1-line block ×3, first 2 shown]
	v_cmp_lt_u32_e32 vcc, 20, v0
	s_waitcnt vmcnt(59) lgkmcnt(3)
	v_mul_f32_e32 v125, v109, v171
	s_waitcnt vmcnt(58)
	v_mul_f32_e32 v126, v111, v172
	s_waitcnt vmcnt(57) lgkmcnt(2)
	v_mul_f32_e32 v127, v113, v173
	s_waitcnt vmcnt(56)
	v_mul_f32_e32 v128, v115, v174
	;; [unrolled: 4-line block ×4, first 2 shown]
	s_waitcnt vmcnt(51)
	v_fmac_f32_e32 v125, v110, v179
	s_waitcnt vmcnt(50)
	v_fmac_f32_e32 v126, v112, v180
	v_add_f32_e32 v125, 0, v125
	s_waitcnt vmcnt(49)
	v_fmac_f32_e32 v127, v114, v181
	v_add_f32_e32 v125, v125, v126
	s_waitcnt vmcnt(48)
	v_fmac_f32_e32 v128, v116, v182
	v_add_f32_e32 v125, v125, v127
	s_waitcnt vmcnt(47)
	v_fmac_f32_e32 v129, v118, v183
	v_add_f32_e32 v125, v125, v128
	s_waitcnt vmcnt(46)
	v_fmac_f32_e32 v130, v120, v184
	v_add_f32_e32 v125, v125, v129
	s_waitcnt vmcnt(45)
	v_fmac_f32_e32 v131, v122, v185
	v_add_f32_e32 v125, v125, v130
	v_add_f32_e32 v129, v125, v131
	ds_read_b128 v[125:128], v108 offset:672
	buffer_load_dword v231, off, s[0:3], 0 offset:412
	buffer_load_dword v232, off, s[0:3], 0 offset:408
	;; [unrolled: 1-line block ×4, first 2 shown]
	s_waitcnt vmcnt(48)
	v_fmac_f32_e32 v132, v124, v186
	v_add_f32_e32 v133, v129, v132
	ds_read_b128 v[129:132], v108 offset:688
	s_waitcnt vmcnt(47) lgkmcnt(1)
	v_mul_f32_e32 v134, v125, v187
	v_mul_f32_e32 v110, v110, v171
	s_waitcnt vmcnt(46)
	v_fmac_f32_e32 v134, v126, v188
	v_fma_f32 v109, v109, v179, -v110
	v_mul_f32_e32 v110, v112, v172
	v_add_f32_e32 v133, v133, v134
	s_waitcnt vmcnt(45)
	v_mul_f32_e32 v134, v127, v189
	v_add_f32_e32 v109, 0, v109
	v_fma_f32 v110, v111, v180, -v110
	s_waitcnt vmcnt(44)
	v_fmac_f32_e32 v134, v128, v190
	v_add_f32_e32 v109, v109, v110
	v_mul_f32_e32 v110, v114, v173
	v_add_f32_e32 v133, v133, v134
	s_waitcnt vmcnt(42) lgkmcnt(0)
	v_mul_f32_e32 v134, v129, v192
	v_fma_f32 v110, v113, v181, -v110
	v_fmac_f32_e32 v134, v130, v191
	v_add_f32_e32 v109, v109, v110
	v_mul_f32_e32 v110, v116, v174
	v_add_f32_e32 v137, v133, v134
	ds_read_b128 v[133:136], v108 offset:704
	v_fma_f32 v110, v115, v182, -v110
	v_add_f32_e32 v109, v109, v110
	v_mul_f32_e32 v110, v118, v175
	s_waitcnt vmcnt(39)
	v_mul_f32_e32 v138, v131, v195
	v_fma_f32 v110, v117, v183, -v110
	s_waitcnt vmcnt(38)
	v_fmac_f32_e32 v138, v132, v196
	v_add_f32_e32 v109, v109, v110
	v_mul_f32_e32 v110, v120, v176
	v_add_f32_e32 v141, v137, v138
	ds_read_b128 v[137:140], v108 offset:720
	v_fma_f32 v110, v119, v184, -v110
	s_waitcnt vmcnt(36) lgkmcnt(1)
	v_mul_f32_e32 v142, v133, v198
	v_add_f32_e32 v109, v109, v110
	v_mul_f32_e32 v110, v122, v177
	v_fmac_f32_e32 v142, v134, v197
	v_fma_f32 v110, v121, v185, -v110
	v_add_f32_e32 v141, v141, v142
	s_waitcnt vmcnt(34)
	v_mul_f32_e32 v142, v135, v200
	v_add_f32_e32 v109, v109, v110
	v_mul_f32_e32 v110, v124, v178
	v_fmac_f32_e32 v142, v136, v199
	v_fma_f32 v110, v123, v186, -v110
	v_add_f32_e32 v141, v141, v142
	s_waitcnt vmcnt(32) lgkmcnt(0)
	v_mul_f32_e32 v142, v137, v202
	v_add_f32_e32 v109, v109, v110
	v_mul_f32_e32 v110, v126, v187
	v_fmac_f32_e32 v142, v138, v201
	v_fma_f32 v110, v125, v188, -v110
	v_add_f32_e32 v145, v141, v142
	ds_read_b128 v[141:144], v108 offset:736
	v_add_f32_e32 v109, v109, v110
	v_mul_f32_e32 v110, v128, v189
	v_fma_f32 v110, v127, v190, -v110
	s_waitcnt vmcnt(30)
	v_mul_f32_e32 v146, v139, v204
	v_add_f32_e32 v109, v109, v110
	v_mul_f32_e32 v110, v130, v192
	v_fmac_f32_e32 v146, v140, v203
	v_fma_f32 v110, v129, v191, -v110
	v_add_f32_e32 v149, v145, v146
	ds_read_b128 v[145:148], v108 offset:752
	v_add_f32_e32 v109, v109, v110
	v_mul_f32_e32 v110, v132, v195
	s_waitcnt vmcnt(28) lgkmcnt(1)
	v_mul_f32_e32 v150, v141, v206
	v_fma_f32 v110, v131, v196, -v110
	v_fmac_f32_e32 v150, v142, v205
	v_add_f32_e32 v109, v109, v110
	v_mul_f32_e32 v110, v134, v198
	v_add_f32_e32 v149, v149, v150
	s_waitcnt vmcnt(26)
	v_mul_f32_e32 v150, v143, v208
	v_fma_f32 v110, v133, v197, -v110
	v_fmac_f32_e32 v150, v144, v207
	v_add_f32_e32 v109, v109, v110
	v_mul_f32_e32 v110, v136, v200
	v_add_f32_e32 v149, v149, v150
	s_waitcnt vmcnt(24) lgkmcnt(0)
	v_mul_f32_e32 v150, v145, v210
	v_fma_f32 v110, v135, v199, -v110
	v_fmac_f32_e32 v150, v146, v209
	v_add_f32_e32 v109, v109, v110
	v_mul_f32_e32 v110, v138, v202
	v_add_f32_e32 v153, v149, v150
	ds_read_b128 v[149:152], v108 offset:768
	v_fma_f32 v110, v137, v201, -v110
	v_add_f32_e32 v109, v109, v110
	v_mul_f32_e32 v110, v140, v204
	s_waitcnt vmcnt(22)
	v_mul_f32_e32 v154, v147, v212
	v_fma_f32 v110, v139, v203, -v110
	v_fmac_f32_e32 v154, v148, v211
	v_add_f32_e32 v109, v109, v110
	v_mul_f32_e32 v110, v142, v206
	v_add_f32_e32 v157, v153, v154
	ds_read_b128 v[153:156], v108 offset:784
	v_fma_f32 v110, v141, v205, -v110
	s_waitcnt vmcnt(20) lgkmcnt(1)
	v_mul_f32_e32 v158, v149, v214
	v_add_f32_e32 v109, v109, v110
	v_mul_f32_e32 v110, v144, v208
	v_fmac_f32_e32 v158, v150, v213
	v_fma_f32 v110, v143, v207, -v110
	v_add_f32_e32 v157, v157, v158
	s_waitcnt vmcnt(18)
	v_mul_f32_e32 v158, v151, v216
	v_add_f32_e32 v109, v109, v110
	v_mul_f32_e32 v110, v146, v210
	v_fmac_f32_e32 v158, v152, v215
	v_fma_f32 v110, v145, v209, -v110
	v_add_f32_e32 v157, v157, v158
	s_waitcnt vmcnt(16) lgkmcnt(0)
	v_mul_f32_e32 v158, v153, v218
	v_add_f32_e32 v109, v109, v110
	v_mul_f32_e32 v110, v148, v212
	v_fmac_f32_e32 v158, v154, v217
	v_fma_f32 v110, v147, v211, -v110
	v_add_f32_e32 v161, v157, v158
	ds_read_b128 v[157:160], v108 offset:800
	v_add_f32_e32 v109, v109, v110
	v_mul_f32_e32 v110, v150, v214
	v_fma_f32 v110, v149, v213, -v110
	s_waitcnt vmcnt(14)
	v_mul_f32_e32 v162, v155, v220
	v_add_f32_e32 v109, v109, v110
	v_mul_f32_e32 v110, v152, v216
	v_fmac_f32_e32 v162, v156, v219
	v_fma_f32 v110, v151, v215, -v110
	v_add_f32_e32 v165, v161, v162
	ds_read_b128 v[161:164], v108 offset:816
	v_add_f32_e32 v109, v109, v110
	v_mul_f32_e32 v110, v154, v218
	s_waitcnt vmcnt(12) lgkmcnt(1)
	v_mul_f32_e32 v166, v157, v222
	v_fma_f32 v110, v153, v217, -v110
	v_fmac_f32_e32 v166, v158, v221
	v_add_f32_e32 v109, v109, v110
	v_mul_f32_e32 v110, v156, v220
	v_add_f32_e32 v165, v165, v166
	s_waitcnt vmcnt(10)
	v_mul_f32_e32 v166, v159, v224
	v_fma_f32 v110, v155, v219, -v110
	v_fmac_f32_e32 v166, v160, v223
	v_add_f32_e32 v109, v109, v110
	v_mul_f32_e32 v110, v158, v222
	v_add_f32_e32 v165, v165, v166
	s_waitcnt vmcnt(8) lgkmcnt(0)
	v_mul_f32_e32 v166, v161, v226
	v_fma_f32 v110, v157, v221, -v110
	v_fmac_f32_e32 v166, v162, v225
	v_add_f32_e32 v109, v109, v110
	v_mul_f32_e32 v110, v160, v224
	v_add_f32_e32 v169, v165, v166
	ds_read_b128 v[165:168], v108 offset:832
	v_fma_f32 v110, v159, v223, -v110
	v_add_f32_e32 v109, v109, v110
	v_mul_f32_e32 v110, v162, v226
	s_waitcnt vmcnt(6)
	v_mul_f32_e32 v170, v163, v228
	v_fma_f32 v110, v161, v225, -v110
	v_fmac_f32_e32 v170, v164, v227
	v_add_f32_e32 v109, v109, v110
	v_mul_f32_e32 v110, v164, v228
	v_add_f32_e32 v235, v169, v170
	ds_read_b64 v[169:170], v108 offset:848
	v_fma_f32 v110, v163, v227, -v110
	v_add_f32_e32 v109, v109, v110
	s_waitcnt vmcnt(4) lgkmcnt(1)
	v_mul_f32_e32 v110, v166, v230
	v_mul_f32_e32 v236, v165, v230
	v_fma_f32 v110, v165, v229, -v110
	v_fmac_f32_e32 v236, v166, v229
	v_add_f32_e32 v109, v109, v110
	s_waitcnt vmcnt(3)
	v_mul_f32_e32 v110, v168, v231
	v_add_f32_e32 v235, v235, v236
	v_mul_f32_e32 v236, v167, v231
	s_waitcnt vmcnt(2)
	v_fma_f32 v110, v167, v232, -v110
	v_fmac_f32_e32 v236, v168, v232
	v_add_f32_e32 v109, v109, v110
	s_waitcnt vmcnt(0) lgkmcnt(0)
	v_mul_f32_e32 v110, v170, v234
	v_add_f32_e32 v235, v235, v236
	v_mul_f32_e32 v236, v169, v234
	v_fma_f32 v110, v169, v233, -v110
	v_fmac_f32_e32 v236, v170, v233
	v_add_f32_e32 v109, v109, v110
	v_add_f32_e32 v235, v235, v236
	v_sub_f32_e32 v109, v193, v109
	v_sub_f32_e32 v110, v194, v235
	buffer_store_dword v109, off, s[0:3], 0 offset:168
	buffer_store_dword v110, off, s[0:3], 0 offset:172
	s_and_saveexec_b64 s[4:5], vcc
	s_cbranch_execz .LBB52_291
; %bb.290:
	buffer_load_dword v109, off, s[0:3], 0 offset:160
	buffer_load_dword v110, off, s[0:3], 0 offset:164
	s_waitcnt vmcnt(0)
	ds_write_b64 v107, v[109:110]
	buffer_store_dword v108, off, s[0:3], 0 offset:160
	buffer_store_dword v108, off, s[0:3], 0 offset:164
.LBB52_291:
	s_or_b64 exec, exec, s[4:5]
	s_waitcnt lgkmcnt(0)
	; wave barrier
	buffer_load_dword v173, off, s[0:3], 0 offset:172
	buffer_load_dword v174, off, s[0:3], 0 offset:180
	;; [unrolled: 1-line block ×26, first 2 shown]
	ds_read2_b64 v[109:112], v108 offset0:75 offset1:76
	ds_read2_b64 v[113:116], v108 offset0:77 offset1:78
	;; [unrolled: 1-line block ×4, first 2 shown]
	buffer_load_dword v199, off, s[0:3], 0 offset:268
	buffer_load_dword v200, off, s[0:3], 0 offset:264
	buffer_load_dword v201, off, s[0:3], 0 offset:272
	buffer_load_dword v202, off, s[0:3], 0 offset:276
	buffer_load_dword v203, off, s[0:3], 0 offset:280
	buffer_load_dword v204, off, s[0:3], 0 offset:284
	buffer_load_dword v205, off, s[0:3], 0 offset:288
	buffer_load_dword v206, off, s[0:3], 0 offset:292
	buffer_load_dword v207, off, s[0:3], 0 offset:296
	buffer_load_dword v208, off, s[0:3], 0 offset:300
	buffer_load_dword v209, off, s[0:3], 0 offset:304
	buffer_load_dword v210, off, s[0:3], 0 offset:308
	buffer_load_dword v211, off, s[0:3], 0 offset:312
	buffer_load_dword v212, off, s[0:3], 0 offset:316
	buffer_load_dword v213, off, s[0:3], 0 offset:320
	buffer_load_dword v214, off, s[0:3], 0 offset:324
	buffer_load_dword v215, off, s[0:3], 0 offset:328
	buffer_load_dword v216, off, s[0:3], 0 offset:332
	buffer_load_dword v217, off, s[0:3], 0 offset:336
	buffer_load_dword v218, off, s[0:3], 0 offset:340
	buffer_load_dword v219, off, s[0:3], 0 offset:344
	buffer_load_dword v220, off, s[0:3], 0 offset:348
	buffer_load_dword v221, off, s[0:3], 0 offset:352
	buffer_load_dword v222, off, s[0:3], 0 offset:356
	buffer_load_dword v223, off, s[0:3], 0 offset:360
	buffer_load_dword v224, off, s[0:3], 0 offset:364
	buffer_load_dword v225, off, s[0:3], 0 offset:368
	buffer_load_dword v226, off, s[0:3], 0 offset:372
	buffer_load_dword v227, off, s[0:3], 0 offset:376
	buffer_load_dword v228, off, s[0:3], 0 offset:380
	buffer_load_dword v229, off, s[0:3], 0 offset:384
	buffer_load_dword v230, off, s[0:3], 0 offset:388
	buffer_load_dword v231, off, s[0:3], 0 offset:392
	buffer_load_dword v232, off, s[0:3], 0 offset:396
	v_cmp_lt_u32_e32 vcc, 19, v0
	s_waitcnt vmcnt(59) lgkmcnt(3)
	v_mul_f32_e32 v125, v109, v173
	s_waitcnt vmcnt(58)
	v_mul_f32_e32 v126, v111, v174
	s_waitcnt vmcnt(57) lgkmcnt(2)
	v_mul_f32_e32 v127, v113, v175
	s_waitcnt vmcnt(56)
	v_mul_f32_e32 v128, v115, v176
	;; [unrolled: 4-line block ×4, first 2 shown]
	s_waitcnt vmcnt(51)
	v_fmac_f32_e32 v125, v110, v181
	s_waitcnt vmcnt(50)
	v_fmac_f32_e32 v126, v112, v182
	v_add_f32_e32 v125, 0, v125
	s_waitcnt vmcnt(49)
	v_fmac_f32_e32 v127, v114, v183
	v_add_f32_e32 v125, v125, v126
	;; [unrolled: 3-line block ×7, first 2 shown]
	v_add_f32_e32 v133, v125, v132
	ds_read2_b64 v[125:128], v108 offset0:83 offset1:84
	buffer_load_dword v233, off, s[0:3], 0 offset:404
	buffer_load_dword v234, off, s[0:3], 0 offset:400
	;; [unrolled: 1-line block ×4, first 2 shown]
	ds_read2_b64 v[129:132], v108 offset0:85 offset1:86
	buffer_load_dword v237, off, s[0:3], 0 offset:416
	buffer_load_dword v238, off, s[0:3], 0 offset:420
	v_mul_f32_e32 v110, v110, v173
	s_waitcnt vmcnt(49) lgkmcnt(1)
	v_mul_f32_e32 v134, v125, v189
	s_waitcnt vmcnt(48)
	v_fmac_f32_e32 v134, v126, v190
	v_fma_f32 v109, v109, v181, -v110
	v_mul_f32_e32 v110, v112, v174
	v_add_f32_e32 v133, v133, v134
	s_waitcnt vmcnt(46)
	v_mul_f32_e32 v134, v127, v192
	v_add_f32_e32 v109, 0, v109
	v_fma_f32 v110, v111, v182, -v110
	v_fmac_f32_e32 v134, v128, v191
	v_add_f32_e32 v109, v109, v110
	v_mul_f32_e32 v110, v114, v175
	v_add_f32_e32 v133, v133, v134
	s_waitcnt vmcnt(43) lgkmcnt(0)
	v_mul_f32_e32 v134, v129, v195
	v_fma_f32 v110, v113, v183, -v110
	s_waitcnt vmcnt(42)
	v_fmac_f32_e32 v134, v130, v196
	v_add_f32_e32 v109, v109, v110
	v_mul_f32_e32 v110, v116, v176
	v_add_f32_e32 v137, v133, v134
	ds_read2_b64 v[133:136], v108 offset0:87 offset1:88
	v_fma_f32 v110, v115, v184, -v110
	v_add_f32_e32 v109, v109, v110
	v_mul_f32_e32 v110, v118, v177
	s_waitcnt vmcnt(40)
	v_mul_f32_e32 v138, v131, v198
	v_fma_f32 v110, v117, v185, -v110
	v_fmac_f32_e32 v138, v132, v197
	v_add_f32_e32 v109, v109, v110
	v_mul_f32_e32 v110, v120, v178
	v_add_f32_e32 v141, v137, v138
	ds_read2_b64 v[137:140], v108 offset0:89 offset1:90
	v_fma_f32 v110, v119, v186, -v110
	s_waitcnt vmcnt(39) lgkmcnt(1)
	v_mul_f32_e32 v142, v133, v199
	v_add_f32_e32 v109, v109, v110
	v_mul_f32_e32 v110, v122, v179
	s_waitcnt vmcnt(38)
	v_fmac_f32_e32 v142, v134, v200
	v_fma_f32 v110, v121, v187, -v110
	v_add_f32_e32 v141, v141, v142
	s_waitcnt vmcnt(36)
	v_mul_f32_e32 v142, v135, v202
	v_add_f32_e32 v109, v109, v110
	v_mul_f32_e32 v110, v124, v180
	v_fmac_f32_e32 v142, v136, v201
	v_fma_f32 v110, v123, v188, -v110
	v_add_f32_e32 v141, v141, v142
	s_waitcnt vmcnt(34) lgkmcnt(0)
	v_mul_f32_e32 v142, v137, v204
	v_add_f32_e32 v109, v109, v110
	v_mul_f32_e32 v110, v126, v189
	v_fmac_f32_e32 v142, v138, v203
	v_fma_f32 v110, v125, v190, -v110
	v_add_f32_e32 v145, v141, v142
	ds_read2_b64 v[141:144], v108 offset0:91 offset1:92
	v_add_f32_e32 v109, v109, v110
	v_mul_f32_e32 v110, v128, v192
	v_fma_f32 v110, v127, v191, -v110
	s_waitcnt vmcnt(32)
	v_mul_f32_e32 v146, v139, v206
	v_add_f32_e32 v109, v109, v110
	v_mul_f32_e32 v110, v130, v195
	v_fmac_f32_e32 v146, v140, v205
	v_fma_f32 v110, v129, v196, -v110
	v_add_f32_e32 v149, v145, v146
	ds_read2_b64 v[145:148], v108 offset0:93 offset1:94
	v_add_f32_e32 v109, v109, v110
	v_mul_f32_e32 v110, v132, v198
	s_waitcnt vmcnt(30) lgkmcnt(1)
	v_mul_f32_e32 v150, v141, v208
	v_fma_f32 v110, v131, v197, -v110
	v_fmac_f32_e32 v150, v142, v207
	v_add_f32_e32 v109, v109, v110
	v_mul_f32_e32 v110, v134, v199
	v_add_f32_e32 v149, v149, v150
	s_waitcnt vmcnt(28)
	v_mul_f32_e32 v150, v143, v210
	v_fma_f32 v110, v133, v200, -v110
	v_fmac_f32_e32 v150, v144, v209
	v_add_f32_e32 v109, v109, v110
	v_mul_f32_e32 v110, v136, v202
	v_add_f32_e32 v149, v149, v150
	s_waitcnt vmcnt(26) lgkmcnt(0)
	v_mul_f32_e32 v150, v145, v212
	v_fma_f32 v110, v135, v201, -v110
	v_fmac_f32_e32 v150, v146, v211
	v_add_f32_e32 v109, v109, v110
	v_mul_f32_e32 v110, v138, v204
	v_add_f32_e32 v153, v149, v150
	ds_read2_b64 v[149:152], v108 offset0:95 offset1:96
	v_fma_f32 v110, v137, v203, -v110
	v_add_f32_e32 v109, v109, v110
	v_mul_f32_e32 v110, v140, v206
	s_waitcnt vmcnt(24)
	v_mul_f32_e32 v154, v147, v214
	v_fma_f32 v110, v139, v205, -v110
	v_fmac_f32_e32 v154, v148, v213
	v_add_f32_e32 v109, v109, v110
	v_mul_f32_e32 v110, v142, v208
	v_add_f32_e32 v157, v153, v154
	ds_read2_b64 v[153:156], v108 offset0:97 offset1:98
	v_fma_f32 v110, v141, v207, -v110
	s_waitcnt vmcnt(22) lgkmcnt(1)
	v_mul_f32_e32 v158, v149, v216
	v_add_f32_e32 v109, v109, v110
	v_mul_f32_e32 v110, v144, v210
	v_fmac_f32_e32 v158, v150, v215
	v_fma_f32 v110, v143, v209, -v110
	v_add_f32_e32 v157, v157, v158
	s_waitcnt vmcnt(20)
	v_mul_f32_e32 v158, v151, v218
	v_add_f32_e32 v109, v109, v110
	v_mul_f32_e32 v110, v146, v212
	v_fmac_f32_e32 v158, v152, v217
	v_fma_f32 v110, v145, v211, -v110
	v_add_f32_e32 v157, v157, v158
	s_waitcnt vmcnt(18) lgkmcnt(0)
	v_mul_f32_e32 v158, v153, v220
	v_add_f32_e32 v109, v109, v110
	v_mul_f32_e32 v110, v148, v214
	v_fmac_f32_e32 v158, v154, v219
	v_fma_f32 v110, v147, v213, -v110
	v_add_f32_e32 v161, v157, v158
	ds_read2_b64 v[157:160], v108 offset0:99 offset1:100
	v_add_f32_e32 v109, v109, v110
	v_mul_f32_e32 v110, v150, v216
	v_fma_f32 v110, v149, v215, -v110
	s_waitcnt vmcnt(16)
	v_mul_f32_e32 v162, v155, v222
	v_add_f32_e32 v109, v109, v110
	v_mul_f32_e32 v110, v152, v218
	v_fmac_f32_e32 v162, v156, v221
	v_fma_f32 v110, v151, v217, -v110
	v_add_f32_e32 v165, v161, v162
	ds_read2_b64 v[161:164], v108 offset0:101 offset1:102
	v_add_f32_e32 v109, v109, v110
	v_mul_f32_e32 v110, v154, v220
	s_waitcnt vmcnt(14) lgkmcnt(1)
	v_mul_f32_e32 v166, v157, v224
	v_fma_f32 v110, v153, v219, -v110
	v_fmac_f32_e32 v166, v158, v223
	v_add_f32_e32 v109, v109, v110
	v_mul_f32_e32 v110, v156, v222
	v_add_f32_e32 v165, v165, v166
	s_waitcnt vmcnt(12)
	v_mul_f32_e32 v166, v159, v226
	v_fma_f32 v110, v155, v221, -v110
	v_fmac_f32_e32 v166, v160, v225
	v_add_f32_e32 v109, v109, v110
	v_mul_f32_e32 v110, v158, v224
	v_add_f32_e32 v165, v165, v166
	s_waitcnt vmcnt(10) lgkmcnt(0)
	v_mul_f32_e32 v166, v161, v228
	v_fma_f32 v110, v157, v223, -v110
	v_fmac_f32_e32 v166, v162, v227
	v_add_f32_e32 v109, v109, v110
	v_mul_f32_e32 v110, v160, v226
	v_add_f32_e32 v169, v165, v166
	ds_read2_b64 v[165:168], v108 offset0:103 offset1:104
	v_fma_f32 v110, v159, v225, -v110
	v_add_f32_e32 v109, v109, v110
	v_mul_f32_e32 v110, v162, v228
	s_waitcnt vmcnt(8)
	v_mul_f32_e32 v170, v163, v230
	v_fma_f32 v110, v161, v227, -v110
	v_fmac_f32_e32 v170, v164, v229
	v_add_f32_e32 v109, v109, v110
	v_mul_f32_e32 v110, v164, v230
	v_add_f32_e32 v239, v169, v170
	ds_read2_b64 v[169:172], v108 offset0:105 offset1:106
	v_fma_f32 v110, v163, v229, -v110
	v_add_f32_e32 v109, v109, v110
	s_waitcnt vmcnt(6) lgkmcnt(1)
	v_mul_f32_e32 v110, v166, v232
	v_mul_f32_e32 v108, v165, v232
	v_fma_f32 v110, v165, v231, -v110
	v_fmac_f32_e32 v108, v166, v231
	v_add_f32_e32 v109, v109, v110
	s_waitcnt vmcnt(5)
	v_mul_f32_e32 v110, v168, v233
	v_add_f32_e32 v108, v239, v108
	v_mul_f32_e32 v239, v167, v233
	s_waitcnt vmcnt(4)
	v_fma_f32 v110, v167, v234, -v110
	v_fmac_f32_e32 v239, v168, v234
	v_add_f32_e32 v109, v109, v110
	s_waitcnt vmcnt(2) lgkmcnt(0)
	v_mul_f32_e32 v110, v170, v236
	v_add_f32_e32 v108, v108, v239
	v_mul_f32_e32 v239, v169, v236
	v_fma_f32 v110, v169, v235, -v110
	v_fmac_f32_e32 v239, v170, v235
	v_add_f32_e32 v109, v109, v110
	s_waitcnt vmcnt(0)
	v_mul_f32_e32 v110, v172, v238
	v_add_f32_e32 v108, v108, v239
	v_mul_f32_e32 v239, v171, v238
	v_fma_f32 v110, v171, v237, -v110
	v_fmac_f32_e32 v239, v172, v237
	v_add_f32_e32 v109, v109, v110
	v_add_f32_e32 v108, v108, v239
	v_sub_f32_e32 v109, v193, v109
	v_sub_f32_e32 v108, v194, v108
	buffer_store_dword v109, off, s[0:3], 0 offset:160
	buffer_store_dword v108, off, s[0:3], 0 offset:164
	s_and_saveexec_b64 s[4:5], vcc
	s_cbranch_execz .LBB52_293
; %bb.292:
	buffer_load_dword v108, off, s[0:3], 0 offset:152
	buffer_load_dword v109, off, s[0:3], 0 offset:156
	v_mov_b32_e32 v110, 0
	buffer_store_dword v110, off, s[0:3], 0 offset:152
	buffer_store_dword v110, off, s[0:3], 0 offset:156
	s_waitcnt vmcnt(2)
	ds_write_b64 v107, v[108:109]
.LBB52_293:
	s_or_b64 exec, exec, s[4:5]
	s_waitcnt lgkmcnt(0)
	; wave barrier
	buffer_load_dword v175, off, s[0:3], 0 offset:164
	buffer_load_dword v176, off, s[0:3], 0 offset:172
	;; [unrolled: 1-line block ×58, first 2 shown]
	v_mov_b32_e32 v108, 0
	ds_read_b128 v[109:112], v108 offset:592
	ds_read_b128 v[113:116], v108 offset:608
	;; [unrolled: 1-line block ×5, first 2 shown]
	buffer_load_dword v233, off, s[0:3], 0 offset:384
	buffer_load_dword v234, off, s[0:3], 0 offset:388
	v_cmp_lt_u32_e32 vcc, 18, v0
	s_waitcnt vmcnt(59) lgkmcnt(4)
	v_mul_f32_e32 v129, v109, v175
	s_waitcnt vmcnt(58)
	v_mul_f32_e32 v130, v111, v176
	s_waitcnt vmcnt(57) lgkmcnt(3)
	v_mul_f32_e32 v131, v113, v177
	s_waitcnt vmcnt(56)
	v_mul_f32_e32 v132, v115, v178
	;; [unrolled: 4-line block ×4, first 2 shown]
	s_waitcnt vmcnt(51)
	v_fmac_f32_e32 v129, v110, v183
	s_waitcnt vmcnt(50)
	v_fmac_f32_e32 v130, v112, v184
	v_add_f32_e32 v129, 0, v129
	s_waitcnt vmcnt(49)
	v_fmac_f32_e32 v131, v114, v185
	v_add_f32_e32 v129, v129, v130
	;; [unrolled: 3-line block ×7, first 2 shown]
	v_add_f32_e32 v133, v129, v136
	ds_read_b128 v[129:132], v108 offset:672
	buffer_load_dword v235, off, s[0:3], 0 offset:396
	buffer_load_dword v236, off, s[0:3], 0 offset:392
	;; [unrolled: 1-line block ×8, first 2 shown]
	s_waitcnt vmcnt(51) lgkmcnt(1)
	v_mul_f32_e32 v134, v125, v191
	s_waitcnt vmcnt(50)
	v_fmac_f32_e32 v134, v126, v192
	v_mul_f32_e32 v110, v110, v175
	v_add_f32_e32 v133, v133, v134
	s_waitcnt vmcnt(49)
	v_mul_f32_e32 v134, v127, v193
	v_fma_f32 v109, v109, v183, -v110
	v_mul_f32_e32 v110, v112, v176
	s_waitcnt vmcnt(46)
	v_fmac_f32_e32 v134, v128, v196
	v_add_f32_e32 v109, 0, v109
	v_fma_f32 v110, v111, v184, -v110
	v_add_f32_e32 v133, v133, v134
	s_waitcnt vmcnt(44) lgkmcnt(0)
	v_mul_f32_e32 v134, v129, v198
	v_add_f32_e32 v109, v109, v110
	v_mul_f32_e32 v110, v114, v177
	v_fmac_f32_e32 v134, v130, v197
	v_fma_f32 v110, v113, v185, -v110
	v_add_f32_e32 v137, v133, v134
	ds_read_b128 v[133:136], v108 offset:688
	v_add_f32_e32 v109, v109, v110
	v_mul_f32_e32 v110, v116, v178
	v_fma_f32 v110, v115, v186, -v110
	s_waitcnt vmcnt(42)
	v_mul_f32_e32 v138, v131, v200
	v_add_f32_e32 v109, v109, v110
	v_mul_f32_e32 v110, v118, v179
	v_fmac_f32_e32 v138, v132, v199
	v_fma_f32 v110, v117, v187, -v110
	v_add_f32_e32 v141, v137, v138
	ds_read_b128 v[137:140], v108 offset:704
	v_add_f32_e32 v109, v109, v110
	v_mul_f32_e32 v110, v120, v180
	s_waitcnt vmcnt(40) lgkmcnt(1)
	v_mul_f32_e32 v142, v133, v202
	v_fma_f32 v110, v119, v188, -v110
	v_fmac_f32_e32 v142, v134, v201
	v_add_f32_e32 v109, v109, v110
	v_mul_f32_e32 v110, v122, v181
	v_add_f32_e32 v141, v141, v142
	s_waitcnt vmcnt(38)
	v_mul_f32_e32 v142, v135, v204
	v_fma_f32 v110, v121, v189, -v110
	v_fmac_f32_e32 v142, v136, v203
	v_add_f32_e32 v109, v109, v110
	v_mul_f32_e32 v110, v124, v182
	v_add_f32_e32 v141, v141, v142
	s_waitcnt vmcnt(36) lgkmcnt(0)
	v_mul_f32_e32 v142, v137, v206
	v_fma_f32 v110, v123, v190, -v110
	v_fmac_f32_e32 v142, v138, v205
	v_add_f32_e32 v109, v109, v110
	v_mul_f32_e32 v110, v126, v191
	v_add_f32_e32 v145, v141, v142
	ds_read_b128 v[141:144], v108 offset:720
	v_fma_f32 v110, v125, v192, -v110
	v_add_f32_e32 v109, v109, v110
	v_mul_f32_e32 v110, v128, v193
	s_waitcnt vmcnt(34)
	v_mul_f32_e32 v146, v139, v208
	v_fma_f32 v110, v127, v196, -v110
	v_fmac_f32_e32 v146, v140, v207
	v_add_f32_e32 v109, v109, v110
	v_mul_f32_e32 v110, v130, v198
	v_add_f32_e32 v149, v145, v146
	ds_read_b128 v[145:148], v108 offset:736
	v_fma_f32 v110, v129, v197, -v110
	s_waitcnt vmcnt(32) lgkmcnt(1)
	v_mul_f32_e32 v150, v141, v210
	v_add_f32_e32 v109, v109, v110
	v_mul_f32_e32 v110, v132, v200
	v_fmac_f32_e32 v150, v142, v209
	v_fma_f32 v110, v131, v199, -v110
	v_add_f32_e32 v149, v149, v150
	s_waitcnt vmcnt(30)
	v_mul_f32_e32 v150, v143, v212
	v_add_f32_e32 v109, v109, v110
	v_mul_f32_e32 v110, v134, v202
	v_fmac_f32_e32 v150, v144, v211
	v_fma_f32 v110, v133, v201, -v110
	v_add_f32_e32 v149, v149, v150
	s_waitcnt vmcnt(28) lgkmcnt(0)
	v_mul_f32_e32 v150, v145, v214
	v_add_f32_e32 v109, v109, v110
	v_mul_f32_e32 v110, v136, v204
	v_fmac_f32_e32 v150, v146, v213
	v_fma_f32 v110, v135, v203, -v110
	v_add_f32_e32 v153, v149, v150
	ds_read_b128 v[149:152], v108 offset:752
	v_add_f32_e32 v109, v109, v110
	v_mul_f32_e32 v110, v138, v206
	v_fma_f32 v110, v137, v205, -v110
	s_waitcnt vmcnt(26)
	v_mul_f32_e32 v154, v147, v216
	v_add_f32_e32 v109, v109, v110
	v_mul_f32_e32 v110, v140, v208
	v_fmac_f32_e32 v154, v148, v215
	v_fma_f32 v110, v139, v207, -v110
	v_add_f32_e32 v157, v153, v154
	ds_read_b128 v[153:156], v108 offset:768
	v_add_f32_e32 v109, v109, v110
	v_mul_f32_e32 v110, v142, v210
	s_waitcnt vmcnt(24) lgkmcnt(1)
	v_mul_f32_e32 v158, v149, v218
	v_fma_f32 v110, v141, v209, -v110
	v_fmac_f32_e32 v158, v150, v217
	v_add_f32_e32 v109, v109, v110
	v_mul_f32_e32 v110, v144, v212
	v_add_f32_e32 v157, v157, v158
	s_waitcnt vmcnt(22)
	v_mul_f32_e32 v158, v151, v220
	v_fma_f32 v110, v143, v211, -v110
	v_fmac_f32_e32 v158, v152, v219
	v_add_f32_e32 v109, v109, v110
	v_mul_f32_e32 v110, v146, v214
	v_add_f32_e32 v157, v157, v158
	s_waitcnt vmcnt(20) lgkmcnt(0)
	v_mul_f32_e32 v158, v153, v222
	v_fma_f32 v110, v145, v213, -v110
	v_fmac_f32_e32 v158, v154, v221
	v_add_f32_e32 v109, v109, v110
	v_mul_f32_e32 v110, v148, v216
	v_add_f32_e32 v161, v157, v158
	ds_read_b128 v[157:160], v108 offset:784
	v_fma_f32 v110, v147, v215, -v110
	v_add_f32_e32 v109, v109, v110
	v_mul_f32_e32 v110, v150, v218
	s_waitcnt vmcnt(18)
	v_mul_f32_e32 v162, v155, v224
	v_fma_f32 v110, v149, v217, -v110
	v_fmac_f32_e32 v162, v156, v223
	v_add_f32_e32 v109, v109, v110
	v_mul_f32_e32 v110, v152, v220
	v_add_f32_e32 v165, v161, v162
	ds_read_b128 v[161:164], v108 offset:800
	v_fma_f32 v110, v151, v219, -v110
	s_waitcnt vmcnt(16) lgkmcnt(1)
	v_mul_f32_e32 v166, v157, v226
	v_add_f32_e32 v109, v109, v110
	v_mul_f32_e32 v110, v154, v222
	v_fmac_f32_e32 v166, v158, v225
	v_fma_f32 v110, v153, v221, -v110
	v_add_f32_e32 v165, v165, v166
	s_waitcnt vmcnt(14)
	v_mul_f32_e32 v166, v159, v228
	v_add_f32_e32 v109, v109, v110
	v_mul_f32_e32 v110, v156, v224
	v_fmac_f32_e32 v166, v160, v227
	v_fma_f32 v110, v155, v223, -v110
	v_add_f32_e32 v165, v165, v166
	s_waitcnt vmcnt(12) lgkmcnt(0)
	v_mul_f32_e32 v166, v161, v230
	v_add_f32_e32 v109, v109, v110
	v_mul_f32_e32 v110, v158, v226
	v_fmac_f32_e32 v166, v162, v229
	v_fma_f32 v110, v157, v225, -v110
	v_add_f32_e32 v169, v165, v166
	ds_read_b128 v[165:168], v108 offset:816
	v_add_f32_e32 v109, v109, v110
	v_mul_f32_e32 v110, v160, v228
	v_fma_f32 v110, v159, v227, -v110
	v_add_f32_e32 v109, v109, v110
	v_mul_f32_e32 v110, v162, v230
	s_waitcnt vmcnt(10)
	v_mul_f32_e32 v170, v163, v232
	v_fma_f32 v110, v161, v229, -v110
	v_fmac_f32_e32 v170, v164, v231
	v_add_f32_e32 v109, v109, v110
	v_mul_f32_e32 v110, v164, v232
	v_add_f32_e32 v173, v169, v170
	ds_read_b128 v[169:172], v108 offset:832
	s_waitcnt vmcnt(8) lgkmcnt(1)
	v_mul_f32_e32 v174, v165, v234
	v_fma_f32 v110, v163, v231, -v110
	v_fmac_f32_e32 v174, v166, v233
	v_add_f32_e32 v109, v109, v110
	v_mul_f32_e32 v110, v166, v234
	v_add_f32_e32 v173, v173, v174
	s_waitcnt vmcnt(7)
	v_mul_f32_e32 v174, v167, v235
	v_fma_f32 v110, v165, v233, -v110
	s_waitcnt vmcnt(6)
	v_fmac_f32_e32 v174, v168, v236
	v_add_f32_e32 v109, v109, v110
	v_mul_f32_e32 v110, v168, v235
	v_add_f32_e32 v243, v173, v174
	ds_read_b64 v[173:174], v108 offset:848
	v_fma_f32 v110, v167, v236, -v110
	v_add_f32_e32 v109, v109, v110
	s_waitcnt vmcnt(4) lgkmcnt(1)
	v_mul_f32_e32 v110, v170, v238
	v_mul_f32_e32 v244, v169, v238
	v_fma_f32 v110, v169, v237, -v110
	v_fmac_f32_e32 v244, v170, v237
	v_add_f32_e32 v109, v109, v110
	s_waitcnt vmcnt(3)
	v_mul_f32_e32 v110, v172, v239
	v_add_f32_e32 v243, v243, v244
	v_mul_f32_e32 v244, v171, v239
	s_waitcnt vmcnt(2)
	v_fma_f32 v110, v171, v240, -v110
	v_fmac_f32_e32 v244, v172, v240
	v_add_f32_e32 v109, v109, v110
	s_waitcnt vmcnt(0) lgkmcnt(0)
	v_mul_f32_e32 v110, v174, v242
	v_add_f32_e32 v243, v243, v244
	v_mul_f32_e32 v244, v173, v242
	v_fma_f32 v110, v173, v241, -v110
	v_fmac_f32_e32 v244, v174, v241
	v_add_f32_e32 v109, v109, v110
	v_add_f32_e32 v243, v243, v244
	v_sub_f32_e32 v109, v194, v109
	v_sub_f32_e32 v110, v195, v243
	buffer_store_dword v109, off, s[0:3], 0 offset:152
	buffer_store_dword v110, off, s[0:3], 0 offset:156
	s_and_saveexec_b64 s[4:5], vcc
	s_cbranch_execz .LBB52_295
; %bb.294:
	buffer_load_dword v109, off, s[0:3], 0 offset:144
	buffer_load_dword v110, off, s[0:3], 0 offset:148
	s_waitcnt vmcnt(0)
	ds_write_b64 v107, v[109:110]
	buffer_store_dword v108, off, s[0:3], 0 offset:144
	buffer_store_dword v108, off, s[0:3], 0 offset:148
.LBB52_295:
	s_or_b64 exec, exec, s[4:5]
	s_waitcnt lgkmcnt(0)
	; wave barrier
	buffer_load_dword v177, off, s[0:3], 0 offset:156
	buffer_load_dword v178, off, s[0:3], 0 offset:164
	;; [unrolled: 1-line block ×24, first 2 shown]
	ds_read2_b64 v[109:112], v108 offset0:73 offset1:74
	ds_read2_b64 v[113:116], v108 offset0:75 offset1:76
	;; [unrolled: 1-line block ×6, first 2 shown]
	buffer_load_dword v201, off, s[0:3], 0 offset:244
	buffer_load_dword v202, off, s[0:3], 0 offset:240
	;; [unrolled: 1-line block ×46, first 2 shown]
	v_cmp_lt_u32_e32 vcc, 17, v0
	s_waitcnt vmcnt(62) lgkmcnt(5)
	v_mul_f32_e32 v133, v109, v177
	v_mul_f32_e32 v134, v111, v178
	s_waitcnt lgkmcnt(4)
	v_mul_f32_e32 v135, v113, v179
	v_mul_f32_e32 v136, v115, v180
	s_waitcnt lgkmcnt(3)
	;; [unrolled: 3-line block ×3, first 2 shown]
	v_mul_f32_e32 v139, v121, v183
	v_mul_f32_e32 v140, v123, v184
	s_waitcnt vmcnt(61)
	v_fmac_f32_e32 v133, v110, v185
	s_waitcnt vmcnt(60)
	v_fmac_f32_e32 v134, v112, v186
	v_add_f32_e32 v133, 0, v133
	s_waitcnt vmcnt(59)
	v_fmac_f32_e32 v135, v114, v187
	v_add_f32_e32 v133, v133, v134
	;; [unrolled: 3-line block ×7, first 2 shown]
	s_waitcnt vmcnt(53) lgkmcnt(1)
	v_mul_f32_e32 v134, v125, v193
	v_add_f32_e32 v133, v133, v140
	s_waitcnt vmcnt(52)
	v_fmac_f32_e32 v134, v126, v194
	v_mul_f32_e32 v110, v110, v177
	v_add_f32_e32 v133, v133, v134
	s_waitcnt vmcnt(51)
	v_mul_f32_e32 v134, v127, v195
	v_fma_f32 v109, v109, v185, -v110
	v_mul_f32_e32 v110, v112, v178
	s_waitcnt vmcnt(50)
	v_fmac_f32_e32 v134, v128, v196
	v_add_f32_e32 v109, 0, v109
	v_fma_f32 v110, v111, v186, -v110
	v_add_f32_e32 v133, v133, v134
	s_waitcnt vmcnt(47) lgkmcnt(0)
	v_mul_f32_e32 v134, v129, v199
	v_add_f32_e32 v109, v109, v110
	v_mul_f32_e32 v110, v114, v179
	s_waitcnt vmcnt(46)
	v_fmac_f32_e32 v134, v130, v200
	v_fma_f32 v110, v113, v187, -v110
	v_add_f32_e32 v137, v133, v134
	ds_read2_b64 v[133:136], v108 offset0:85 offset1:86
	v_add_f32_e32 v109, v109, v110
	v_mul_f32_e32 v110, v116, v180
	v_fma_f32 v110, v115, v188, -v110
	s_waitcnt vmcnt(45)
	v_mul_f32_e32 v138, v131, v201
	v_add_f32_e32 v109, v109, v110
	v_mul_f32_e32 v110, v118, v181
	s_waitcnt vmcnt(44)
	v_fmac_f32_e32 v138, v132, v202
	v_fma_f32 v110, v117, v189, -v110
	v_add_f32_e32 v141, v137, v138
	ds_read2_b64 v[137:140], v108 offset0:87 offset1:88
	v_add_f32_e32 v109, v109, v110
	v_mul_f32_e32 v110, v120, v182
	s_waitcnt vmcnt(42) lgkmcnt(1)
	v_mul_f32_e32 v142, v133, v204
	v_fma_f32 v110, v119, v190, -v110
	v_fmac_f32_e32 v142, v134, v203
	v_add_f32_e32 v109, v109, v110
	v_mul_f32_e32 v110, v122, v183
	v_add_f32_e32 v141, v141, v142
	s_waitcnt vmcnt(40)
	v_mul_f32_e32 v142, v135, v206
	v_fma_f32 v110, v121, v191, -v110
	v_fmac_f32_e32 v142, v136, v205
	v_add_f32_e32 v109, v109, v110
	v_mul_f32_e32 v110, v124, v184
	v_add_f32_e32 v141, v141, v142
	s_waitcnt vmcnt(38) lgkmcnt(0)
	v_mul_f32_e32 v142, v137, v208
	v_fma_f32 v110, v123, v192, -v110
	v_fmac_f32_e32 v142, v138, v207
	v_add_f32_e32 v109, v109, v110
	v_mul_f32_e32 v110, v126, v193
	v_add_f32_e32 v145, v141, v142
	ds_read2_b64 v[141:144], v108 offset0:89 offset1:90
	v_fma_f32 v110, v125, v194, -v110
	v_add_f32_e32 v109, v109, v110
	v_mul_f32_e32 v110, v128, v195
	s_waitcnt vmcnt(36)
	v_mul_f32_e32 v146, v139, v210
	v_fma_f32 v110, v127, v196, -v110
	v_fmac_f32_e32 v146, v140, v209
	v_add_f32_e32 v109, v109, v110
	v_mul_f32_e32 v110, v130, v199
	v_add_f32_e32 v149, v145, v146
	ds_read2_b64 v[145:148], v108 offset0:91 offset1:92
	v_fma_f32 v110, v129, v200, -v110
	s_waitcnt vmcnt(34) lgkmcnt(1)
	v_mul_f32_e32 v150, v141, v212
	v_add_f32_e32 v109, v109, v110
	v_mul_f32_e32 v110, v132, v201
	v_fmac_f32_e32 v150, v142, v211
	v_fma_f32 v110, v131, v202, -v110
	v_add_f32_e32 v149, v149, v150
	s_waitcnt vmcnt(32)
	v_mul_f32_e32 v150, v143, v214
	v_add_f32_e32 v109, v109, v110
	v_mul_f32_e32 v110, v134, v204
	v_fmac_f32_e32 v150, v144, v213
	v_fma_f32 v110, v133, v203, -v110
	v_add_f32_e32 v149, v149, v150
	s_waitcnt vmcnt(30) lgkmcnt(0)
	v_mul_f32_e32 v150, v145, v216
	v_add_f32_e32 v109, v109, v110
	v_mul_f32_e32 v110, v136, v206
	v_fmac_f32_e32 v150, v146, v215
	v_fma_f32 v110, v135, v205, -v110
	v_add_f32_e32 v153, v149, v150
	ds_read2_b64 v[149:152], v108 offset0:93 offset1:94
	v_add_f32_e32 v109, v109, v110
	v_mul_f32_e32 v110, v138, v208
	v_fma_f32 v110, v137, v207, -v110
	s_waitcnt vmcnt(28)
	v_mul_f32_e32 v154, v147, v218
	v_add_f32_e32 v109, v109, v110
	v_mul_f32_e32 v110, v140, v210
	v_fmac_f32_e32 v154, v148, v217
	v_fma_f32 v110, v139, v209, -v110
	v_add_f32_e32 v157, v153, v154
	ds_read2_b64 v[153:156], v108 offset0:95 offset1:96
	v_add_f32_e32 v109, v109, v110
	v_mul_f32_e32 v110, v142, v212
	s_waitcnt vmcnt(26) lgkmcnt(1)
	v_mul_f32_e32 v158, v149, v220
	v_fma_f32 v110, v141, v211, -v110
	v_fmac_f32_e32 v158, v150, v219
	v_add_f32_e32 v109, v109, v110
	v_mul_f32_e32 v110, v144, v214
	v_add_f32_e32 v157, v157, v158
	s_waitcnt vmcnt(24)
	v_mul_f32_e32 v158, v151, v222
	v_fma_f32 v110, v143, v213, -v110
	v_fmac_f32_e32 v158, v152, v221
	v_add_f32_e32 v109, v109, v110
	v_mul_f32_e32 v110, v146, v216
	v_add_f32_e32 v157, v157, v158
	s_waitcnt vmcnt(22) lgkmcnt(0)
	v_mul_f32_e32 v158, v153, v224
	v_fma_f32 v110, v145, v215, -v110
	v_fmac_f32_e32 v158, v154, v223
	v_add_f32_e32 v109, v109, v110
	v_mul_f32_e32 v110, v148, v218
	v_add_f32_e32 v161, v157, v158
	ds_read2_b64 v[157:160], v108 offset0:97 offset1:98
	v_fma_f32 v110, v147, v217, -v110
	v_add_f32_e32 v109, v109, v110
	v_mul_f32_e32 v110, v150, v220
	s_waitcnt vmcnt(20)
	v_mul_f32_e32 v162, v155, v226
	v_fma_f32 v110, v149, v219, -v110
	v_fmac_f32_e32 v162, v156, v225
	v_add_f32_e32 v109, v109, v110
	v_mul_f32_e32 v110, v152, v222
	v_add_f32_e32 v165, v161, v162
	ds_read2_b64 v[161:164], v108 offset0:99 offset1:100
	v_fma_f32 v110, v151, v221, -v110
	s_waitcnt vmcnt(18) lgkmcnt(1)
	v_mul_f32_e32 v166, v157, v228
	v_add_f32_e32 v109, v109, v110
	v_mul_f32_e32 v110, v154, v224
	v_fmac_f32_e32 v166, v158, v227
	v_fma_f32 v110, v153, v223, -v110
	v_add_f32_e32 v165, v165, v166
	s_waitcnt vmcnt(16)
	v_mul_f32_e32 v166, v159, v230
	v_add_f32_e32 v109, v109, v110
	v_mul_f32_e32 v110, v156, v226
	v_fmac_f32_e32 v166, v160, v229
	v_fma_f32 v110, v155, v225, -v110
	v_add_f32_e32 v165, v165, v166
	s_waitcnt vmcnt(14) lgkmcnt(0)
	v_mul_f32_e32 v166, v161, v232
	v_add_f32_e32 v109, v109, v110
	v_mul_f32_e32 v110, v158, v228
	v_fmac_f32_e32 v166, v162, v231
	v_fma_f32 v110, v157, v227, -v110
	v_add_f32_e32 v169, v165, v166
	ds_read2_b64 v[165:168], v108 offset0:101 offset1:102
	v_add_f32_e32 v109, v109, v110
	v_mul_f32_e32 v110, v160, v230
	v_fma_f32 v110, v159, v229, -v110
	v_add_f32_e32 v109, v109, v110
	v_mul_f32_e32 v110, v162, v232
	s_waitcnt vmcnt(12)
	v_mul_f32_e32 v170, v163, v234
	v_fma_f32 v110, v161, v231, -v110
	v_fmac_f32_e32 v170, v164, v233
	v_add_f32_e32 v109, v109, v110
	v_mul_f32_e32 v110, v164, v234
	v_add_f32_e32 v173, v169, v170
	ds_read2_b64 v[169:172], v108 offset0:103 offset1:104
	s_waitcnt vmcnt(10) lgkmcnt(1)
	v_mul_f32_e32 v174, v165, v236
	v_fma_f32 v110, v163, v233, -v110
	v_fmac_f32_e32 v174, v166, v235
	v_add_f32_e32 v109, v109, v110
	v_mul_f32_e32 v110, v166, v236
	v_add_f32_e32 v173, v173, v174
	s_waitcnt vmcnt(9)
	v_mul_f32_e32 v174, v167, v237
	v_fma_f32 v110, v165, v235, -v110
	s_waitcnt vmcnt(8)
	v_fmac_f32_e32 v174, v168, v238
	v_add_f32_e32 v109, v109, v110
	v_mul_f32_e32 v110, v168, v237
	v_add_f32_e32 v247, v173, v174
	ds_read2_b64 v[173:176], v108 offset0:105 offset1:106
	v_fma_f32 v110, v167, v238, -v110
	v_add_f32_e32 v109, v109, v110
	s_waitcnt vmcnt(6) lgkmcnt(1)
	v_mul_f32_e32 v110, v170, v240
	v_mul_f32_e32 v248, v169, v240
	v_fma_f32 v110, v169, v239, -v110
	v_fmac_f32_e32 v248, v170, v239
	v_add_f32_e32 v109, v109, v110
	s_waitcnt vmcnt(4)
	v_mul_f32_e32 v110, v172, v242
	v_add_f32_e32 v108, v247, v248
	v_mul_f32_e32 v247, v171, v242
	v_fma_f32 v110, v171, v241, -v110
	v_fmac_f32_e32 v247, v172, v241
	v_add_f32_e32 v109, v109, v110
	s_waitcnt vmcnt(3) lgkmcnt(0)
	v_mul_f32_e32 v110, v174, v243
	v_add_f32_e32 v108, v108, v247
	v_mul_f32_e32 v247, v173, v243
	s_waitcnt vmcnt(2)
	v_fma_f32 v110, v173, v244, -v110
	v_fmac_f32_e32 v247, v174, v244
	v_add_f32_e32 v109, v109, v110
	s_waitcnt vmcnt(0)
	v_mul_f32_e32 v110, v176, v246
	v_add_f32_e32 v108, v108, v247
	v_mul_f32_e32 v247, v175, v246
	v_fma_f32 v110, v175, v245, -v110
	v_fmac_f32_e32 v247, v176, v245
	v_add_f32_e32 v109, v109, v110
	v_add_f32_e32 v108, v108, v247
	v_sub_f32_e32 v109, v197, v109
	v_sub_f32_e32 v108, v198, v108
	buffer_store_dword v109, off, s[0:3], 0 offset:144
	buffer_store_dword v108, off, s[0:3], 0 offset:148
	s_and_saveexec_b64 s[4:5], vcc
	s_cbranch_execz .LBB52_297
; %bb.296:
	buffer_load_dword v108, off, s[0:3], 0 offset:136
	buffer_load_dword v109, off, s[0:3], 0 offset:140
	v_mov_b32_e32 v110, 0
	buffer_store_dword v110, off, s[0:3], 0 offset:136
	buffer_store_dword v110, off, s[0:3], 0 offset:140
	s_waitcnt vmcnt(2)
	ds_write_b64 v107, v[108:109]
.LBB52_297:
	s_or_b64 exec, exec, s[4:5]
	s_waitcnt lgkmcnt(0)
	; wave barrier
	buffer_load_dword v179, off, s[0:3], 0 offset:148
	buffer_load_dword v180, off, s[0:3], 0 offset:156
	;; [unrolled: 1-line block ×56, first 2 shown]
	v_mov_b32_e32 v108, 0
	ds_read_b128 v[109:112], v108 offset:576
	ds_read_b128 v[113:116], v108 offset:592
	;; [unrolled: 1-line block ×6, first 2 shown]
	buffer_load_dword v235, off, s[0:3], 0 offset:360
	buffer_load_dword v236, off, s[0:3], 0 offset:364
	;; [unrolled: 1-line block ×12, first 2 shown]
	v_cmp_lt_u32_e32 vcc, 16, v0
	s_waitcnt vmcnt(62) lgkmcnt(5)
	v_mul_f32_e32 v133, v109, v179
	v_mul_f32_e32 v134, v111, v180
	s_waitcnt lgkmcnt(4)
	v_mul_f32_e32 v135, v113, v181
	v_mul_f32_e32 v136, v115, v182
	s_waitcnt lgkmcnt(3)
	v_mul_f32_e32 v137, v117, v183
	v_mul_f32_e32 v138, v119, v184
	s_waitcnt vmcnt(61) lgkmcnt(2)
	v_mul_f32_e32 v139, v121, v185
	s_waitcnt vmcnt(60)
	v_mul_f32_e32 v140, v123, v186
	s_waitcnt vmcnt(59) lgkmcnt(1)
	v_mul_f32_e32 v141, v125, v187
	s_waitcnt vmcnt(58)
	v_fmac_f32_e32 v133, v110, v188
	s_waitcnt vmcnt(57)
	v_fmac_f32_e32 v134, v112, v189
	v_add_f32_e32 v133, 0, v133
	s_waitcnt vmcnt(56)
	v_fmac_f32_e32 v135, v114, v190
	v_add_f32_e32 v133, v133, v134
	;; [unrolled: 3-line block ×7, first 2 shown]
	v_add_f32_e32 v133, v133, v140
	s_waitcnt vmcnt(50)
	v_fmac_f32_e32 v141, v126, v196
	s_waitcnt vmcnt(49)
	v_mul_f32_e32 v134, v127, v197
	v_add_f32_e32 v133, v133, v141
	s_waitcnt vmcnt(48)
	v_fmac_f32_e32 v134, v128, v198
	v_add_f32_e32 v133, v133, v134
	s_waitcnt vmcnt(47) lgkmcnt(0)
	v_mul_f32_e32 v134, v129, v199
	s_waitcnt vmcnt(44)
	v_fmac_f32_e32 v134, v130, v202
	v_add_f32_e32 v137, v133, v134
	ds_read_b128 v[133:136], v108 offset:672
	buffer_load_dword v247, off, s[0:3], 0 offset:412
	buffer_load_dword v248, off, s[0:3], 0 offset:408
	;; [unrolled: 1-line block ×4, first 2 shown]
	v_mul_f32_e32 v110, v110, v179
	v_fma_f32 v109, v109, v188, -v110
	v_mul_f32_e32 v110, v112, v180
	v_add_f32_e32 v109, 0, v109
	v_fma_f32 v110, v111, v189, -v110
	v_add_f32_e32 v109, v109, v110
	v_mul_f32_e32 v110, v114, v181
	v_fma_f32 v110, v113, v190, -v110
	s_waitcnt vmcnt(46)
	v_mul_f32_e32 v138, v131, v204
	v_add_f32_e32 v109, v109, v110
	v_mul_f32_e32 v110, v116, v182
	v_fmac_f32_e32 v138, v132, v203
	v_fma_f32 v110, v115, v191, -v110
	v_add_f32_e32 v141, v137, v138
	ds_read_b128 v[137:140], v108 offset:688
	v_add_f32_e32 v109, v109, v110
	v_mul_f32_e32 v110, v118, v183
	s_waitcnt vmcnt(44) lgkmcnt(1)
	v_mul_f32_e32 v142, v133, v206
	v_fma_f32 v110, v117, v192, -v110
	v_fmac_f32_e32 v142, v134, v205
	v_add_f32_e32 v109, v109, v110
	v_mul_f32_e32 v110, v120, v184
	v_add_f32_e32 v141, v141, v142
	s_waitcnt vmcnt(42)
	v_mul_f32_e32 v142, v135, v208
	v_fma_f32 v110, v119, v193, -v110
	v_fmac_f32_e32 v142, v136, v207
	v_add_f32_e32 v109, v109, v110
	v_mul_f32_e32 v110, v122, v185
	v_add_f32_e32 v141, v141, v142
	s_waitcnt vmcnt(40) lgkmcnt(0)
	v_mul_f32_e32 v142, v137, v210
	v_fma_f32 v110, v121, v194, -v110
	v_fmac_f32_e32 v142, v138, v209
	v_add_f32_e32 v109, v109, v110
	v_mul_f32_e32 v110, v124, v186
	v_add_f32_e32 v145, v141, v142
	ds_read_b128 v[141:144], v108 offset:704
	v_fma_f32 v110, v123, v195, -v110
	v_add_f32_e32 v109, v109, v110
	v_mul_f32_e32 v110, v126, v187
	s_waitcnt vmcnt(38)
	v_mul_f32_e32 v146, v139, v212
	v_fma_f32 v110, v125, v196, -v110
	v_fmac_f32_e32 v146, v140, v211
	v_add_f32_e32 v109, v109, v110
	v_mul_f32_e32 v110, v128, v197
	v_add_f32_e32 v149, v145, v146
	ds_read_b128 v[145:148], v108 offset:720
	v_fma_f32 v110, v127, v198, -v110
	s_waitcnt vmcnt(36) lgkmcnt(1)
	v_mul_f32_e32 v150, v141, v214
	v_add_f32_e32 v109, v109, v110
	v_mul_f32_e32 v110, v130, v199
	v_fmac_f32_e32 v150, v142, v213
	v_fma_f32 v110, v129, v202, -v110
	v_add_f32_e32 v149, v149, v150
	s_waitcnt vmcnt(34)
	v_mul_f32_e32 v150, v143, v216
	v_add_f32_e32 v109, v109, v110
	v_mul_f32_e32 v110, v132, v204
	v_fmac_f32_e32 v150, v144, v215
	v_fma_f32 v110, v131, v203, -v110
	v_add_f32_e32 v149, v149, v150
	s_waitcnt vmcnt(32) lgkmcnt(0)
	v_mul_f32_e32 v150, v145, v218
	v_add_f32_e32 v109, v109, v110
	v_mul_f32_e32 v110, v134, v206
	v_fmac_f32_e32 v150, v146, v217
	v_fma_f32 v110, v133, v205, -v110
	v_add_f32_e32 v153, v149, v150
	ds_read_b128 v[149:152], v108 offset:736
	v_add_f32_e32 v109, v109, v110
	v_mul_f32_e32 v110, v136, v208
	v_fma_f32 v110, v135, v207, -v110
	s_waitcnt vmcnt(30)
	v_mul_f32_e32 v154, v147, v220
	v_add_f32_e32 v109, v109, v110
	v_mul_f32_e32 v110, v138, v210
	v_fmac_f32_e32 v154, v148, v219
	v_fma_f32 v110, v137, v209, -v110
	v_add_f32_e32 v157, v153, v154
	ds_read_b128 v[153:156], v108 offset:752
	v_add_f32_e32 v109, v109, v110
	v_mul_f32_e32 v110, v140, v212
	s_waitcnt vmcnt(28) lgkmcnt(1)
	v_mul_f32_e32 v158, v149, v222
	v_fma_f32 v110, v139, v211, -v110
	v_fmac_f32_e32 v158, v150, v221
	v_add_f32_e32 v109, v109, v110
	v_mul_f32_e32 v110, v142, v214
	v_add_f32_e32 v157, v157, v158
	s_waitcnt vmcnt(26)
	v_mul_f32_e32 v158, v151, v224
	v_fma_f32 v110, v141, v213, -v110
	v_fmac_f32_e32 v158, v152, v223
	v_add_f32_e32 v109, v109, v110
	v_mul_f32_e32 v110, v144, v216
	v_add_f32_e32 v157, v157, v158
	s_waitcnt vmcnt(24) lgkmcnt(0)
	v_mul_f32_e32 v158, v153, v226
	v_fma_f32 v110, v143, v215, -v110
	v_fmac_f32_e32 v158, v154, v225
	v_add_f32_e32 v109, v109, v110
	v_mul_f32_e32 v110, v146, v218
	v_add_f32_e32 v161, v157, v158
	ds_read_b128 v[157:160], v108 offset:768
	v_fma_f32 v110, v145, v217, -v110
	v_add_f32_e32 v109, v109, v110
	v_mul_f32_e32 v110, v148, v220
	s_waitcnt vmcnt(22)
	v_mul_f32_e32 v162, v155, v228
	v_fma_f32 v110, v147, v219, -v110
	v_fmac_f32_e32 v162, v156, v227
	v_add_f32_e32 v109, v109, v110
	v_mul_f32_e32 v110, v150, v222
	v_add_f32_e32 v165, v161, v162
	ds_read_b128 v[161:164], v108 offset:784
	v_fma_f32 v110, v149, v221, -v110
	s_waitcnt vmcnt(20) lgkmcnt(1)
	v_mul_f32_e32 v166, v157, v230
	v_add_f32_e32 v109, v109, v110
	v_mul_f32_e32 v110, v152, v224
	v_fmac_f32_e32 v166, v158, v229
	v_fma_f32 v110, v151, v223, -v110
	v_add_f32_e32 v165, v165, v166
	s_waitcnt vmcnt(18)
	v_mul_f32_e32 v166, v159, v232
	v_add_f32_e32 v109, v109, v110
	v_mul_f32_e32 v110, v154, v226
	v_fmac_f32_e32 v166, v160, v231
	v_fma_f32 v110, v153, v225, -v110
	v_add_f32_e32 v165, v165, v166
	s_waitcnt vmcnt(16) lgkmcnt(0)
	v_mul_f32_e32 v166, v161, v234
	v_add_f32_e32 v109, v109, v110
	v_mul_f32_e32 v110, v156, v228
	v_fmac_f32_e32 v166, v162, v233
	v_fma_f32 v110, v155, v227, -v110
	v_add_f32_e32 v169, v165, v166
	ds_read_b128 v[165:168], v108 offset:800
	v_add_f32_e32 v109, v109, v110
	v_mul_f32_e32 v110, v158, v230
	v_fma_f32 v110, v157, v229, -v110
	s_waitcnt vmcnt(14)
	v_mul_f32_e32 v170, v163, v236
	v_add_f32_e32 v109, v109, v110
	v_mul_f32_e32 v110, v160, v232
	v_fmac_f32_e32 v170, v164, v235
	v_fma_f32 v110, v159, v231, -v110
	v_add_f32_e32 v173, v169, v170
	ds_read_b128 v[169:172], v108 offset:816
	v_add_f32_e32 v109, v109, v110
	v_mul_f32_e32 v110, v162, v234
	s_waitcnt vmcnt(12) lgkmcnt(1)
	v_mul_f32_e32 v174, v165, v238
	v_fma_f32 v110, v161, v233, -v110
	v_fmac_f32_e32 v174, v166, v237
	v_add_f32_e32 v109, v109, v110
	v_mul_f32_e32 v110, v164, v236
	v_add_f32_e32 v173, v173, v174
	s_waitcnt vmcnt(11)
	v_mul_f32_e32 v174, v167, v239
	v_fma_f32 v110, v163, v235, -v110
	s_waitcnt vmcnt(10)
	v_fmac_f32_e32 v174, v168, v240
	v_add_f32_e32 v109, v109, v110
	v_mul_f32_e32 v110, v166, v238
	v_add_f32_e32 v173, v173, v174
	s_waitcnt vmcnt(8) lgkmcnt(0)
	v_mul_f32_e32 v174, v169, v242
	v_fma_f32 v110, v165, v237, -v110
	v_fmac_f32_e32 v174, v170, v241
	v_add_f32_e32 v109, v109, v110
	v_mul_f32_e32 v110, v168, v239
	v_add_f32_e32 v177, v173, v174
	ds_read_b128 v[173:176], v108 offset:832
	v_fma_f32 v110, v167, v240, -v110
	v_add_f32_e32 v109, v109, v110
	v_mul_f32_e32 v110, v170, v242
	s_waitcnt vmcnt(6)
	v_mul_f32_e32 v178, v171, v244
	v_fma_f32 v110, v169, v241, -v110
	v_fmac_f32_e32 v178, v172, v243
	v_add_f32_e32 v109, v109, v110
	v_mul_f32_e32 v110, v172, v244
	v_add_f32_e32 v251, v177, v178
	ds_read_b64 v[177:178], v108 offset:848
	v_fma_f32 v110, v171, v243, -v110
	v_add_f32_e32 v109, v109, v110
	s_waitcnt vmcnt(4) lgkmcnt(1)
	v_mul_f32_e32 v110, v174, v246
	v_mul_f32_e32 v252, v173, v246
	v_fma_f32 v110, v173, v245, -v110
	v_fmac_f32_e32 v252, v174, v245
	v_add_f32_e32 v109, v109, v110
	s_waitcnt vmcnt(3)
	v_mul_f32_e32 v110, v176, v247
	v_add_f32_e32 v251, v251, v252
	v_mul_f32_e32 v252, v175, v247
	s_waitcnt vmcnt(2)
	v_fma_f32 v110, v175, v248, -v110
	v_fmac_f32_e32 v252, v176, v248
	v_add_f32_e32 v109, v109, v110
	s_waitcnt vmcnt(0) lgkmcnt(0)
	v_mul_f32_e32 v110, v178, v250
	v_add_f32_e32 v251, v251, v252
	v_mul_f32_e32 v252, v177, v250
	v_fma_f32 v110, v177, v249, -v110
	v_fmac_f32_e32 v252, v178, v249
	v_add_f32_e32 v109, v109, v110
	v_add_f32_e32 v251, v251, v252
	v_sub_f32_e32 v109, v200, v109
	v_sub_f32_e32 v110, v201, v251
	buffer_store_dword v109, off, s[0:3], 0 offset:136
	buffer_store_dword v110, off, s[0:3], 0 offset:140
	s_and_saveexec_b64 s[4:5], vcc
	s_cbranch_execz .LBB52_299
; %bb.298:
	buffer_load_dword v109, off, s[0:3], 0 offset:128
	buffer_load_dword v110, off, s[0:3], 0 offset:132
	s_waitcnt vmcnt(0)
	ds_write_b64 v107, v[109:110]
	buffer_store_dword v108, off, s[0:3], 0 offset:128
	buffer_store_dword v108, off, s[0:3], 0 offset:132
.LBB52_299:
	s_or_b64 exec, exec, s[4:5]
	s_waitcnt lgkmcnt(0)
	; wave barrier
	buffer_load_dword v181, off, s[0:3], 0 offset:140
	buffer_load_dword v182, off, s[0:3], 0 offset:148
	;; [unrolled: 1-line block ×26, first 2 shown]
	ds_read2_b64 v[109:112], v108 offset0:71 offset1:72
	ds_read2_b64 v[113:116], v108 offset0:73 offset1:74
	;; [unrolled: 1-line block ×6, first 2 shown]
	buffer_load_dword v207, off, s[0:3], 0 offset:232
	buffer_load_dword v208, off, s[0:3], 0 offset:236
	;; [unrolled: 1-line block ×46, first 2 shown]
	v_cmp_lt_u32_e32 vcc, 15, v0
	s_waitcnt vmcnt(62) lgkmcnt(5)
	v_mul_f32_e32 v133, v109, v181
	v_mul_f32_e32 v134, v111, v182
	s_waitcnt lgkmcnt(4)
	v_mul_f32_e32 v135, v113, v183
	v_mul_f32_e32 v136, v115, v184
	s_waitcnt lgkmcnt(3)
	;; [unrolled: 3-line block ×4, first 2 shown]
	v_mul_f32_e32 v141, v125, v189
	v_fmac_f32_e32 v135, v114, v190
	s_waitcnt vmcnt(61)
	v_fmac_f32_e32 v134, v112, v191
	s_waitcnt vmcnt(60)
	v_fmac_f32_e32 v133, v110, v192
	v_add_f32_e32 v133, 0, v133
	v_add_f32_e32 v133, v133, v134
	;; [unrolled: 1-line block ×3, first 2 shown]
	s_waitcnt vmcnt(56)
	v_fmac_f32_e32 v136, v116, v196
	v_fmac_f32_e32 v137, v118, v195
	v_add_f32_e32 v133, v133, v136
	v_fmac_f32_e32 v138, v120, v194
	v_add_f32_e32 v133, v133, v137
	;; [unrolled: 2-line block ×3, first 2 shown]
	s_waitcnt vmcnt(52)
	v_fmac_f32_e32 v140, v124, v200
	v_add_f32_e32 v133, v133, v139
	v_fmac_f32_e32 v141, v126, v199
	v_add_f32_e32 v133, v133, v140
	s_waitcnt vmcnt(51)
	v_mul_f32_e32 v134, v127, v201
	v_add_f32_e32 v133, v133, v141
	v_fmac_f32_e32 v134, v128, v198
	v_add_f32_e32 v133, v133, v134
	s_waitcnt vmcnt(50) lgkmcnt(0)
	v_mul_f32_e32 v134, v129, v202
	v_fmac_f32_e32 v134, v130, v197
	s_waitcnt vmcnt(46)
	v_mul_f32_e32 v138, v131, v206
	v_add_f32_e32 v137, v133, v134
	v_fmac_f32_e32 v138, v132, v205
	ds_read2_b64 v[133:136], v108 offset0:83 offset1:84
	v_add_f32_e32 v141, v137, v138
	ds_read2_b64 v[137:140], v108 offset0:85 offset1:86
	buffer_load_dword v253, off, s[0:3], 0 offset:416
	buffer_load_dword v254, off, s[0:3], 0 offset:420
	v_mul_f32_e32 v110, v110, v181
	v_fma_f32 v109, v109, v192, -v110
	v_mul_f32_e32 v110, v112, v182
	v_add_f32_e32 v109, 0, v109
	v_fma_f32 v110, v111, v191, -v110
	v_add_f32_e32 v109, v109, v110
	v_mul_f32_e32 v110, v114, v183
	v_fma_f32 v110, v113, v190, -v110
	v_add_f32_e32 v109, v109, v110
	v_mul_f32_e32 v110, v116, v184
	;; [unrolled: 3-line block ×3, first 2 shown]
	s_waitcnt vmcnt(46) lgkmcnt(1)
	v_mul_f32_e32 v142, v133, v208
	v_fma_f32 v110, v117, v195, -v110
	v_fmac_f32_e32 v142, v134, v207
	v_add_f32_e32 v109, v109, v110
	v_mul_f32_e32 v110, v120, v186
	v_add_f32_e32 v141, v141, v142
	s_waitcnt vmcnt(44)
	v_mul_f32_e32 v142, v135, v210
	v_fma_f32 v110, v119, v194, -v110
	v_fmac_f32_e32 v142, v136, v209
	v_add_f32_e32 v109, v109, v110
	v_mul_f32_e32 v110, v122, v187
	v_add_f32_e32 v141, v141, v142
	s_waitcnt vmcnt(42) lgkmcnt(0)
	v_mul_f32_e32 v142, v137, v212
	v_fma_f32 v110, v121, v193, -v110
	v_fmac_f32_e32 v142, v138, v211
	v_add_f32_e32 v109, v109, v110
	v_mul_f32_e32 v110, v124, v188
	v_add_f32_e32 v145, v141, v142
	ds_read2_b64 v[141:144], v108 offset0:87 offset1:88
	v_fma_f32 v110, v123, v200, -v110
	v_add_f32_e32 v109, v109, v110
	v_mul_f32_e32 v110, v126, v189
	s_waitcnt vmcnt(40)
	v_mul_f32_e32 v146, v139, v214
	v_fma_f32 v110, v125, v199, -v110
	v_fmac_f32_e32 v146, v140, v213
	v_add_f32_e32 v109, v109, v110
	v_mul_f32_e32 v110, v128, v201
	v_add_f32_e32 v149, v145, v146
	ds_read2_b64 v[145:148], v108 offset0:89 offset1:90
	v_fma_f32 v110, v127, v198, -v110
	s_waitcnt vmcnt(38) lgkmcnt(1)
	v_mul_f32_e32 v150, v141, v216
	v_add_f32_e32 v109, v109, v110
	v_mul_f32_e32 v110, v130, v202
	v_fmac_f32_e32 v150, v142, v215
	v_fma_f32 v110, v129, v197, -v110
	v_add_f32_e32 v149, v149, v150
	s_waitcnt vmcnt(36)
	v_mul_f32_e32 v150, v143, v218
	v_add_f32_e32 v109, v109, v110
	v_mul_f32_e32 v110, v132, v206
	v_fmac_f32_e32 v150, v144, v217
	v_fma_f32 v110, v131, v205, -v110
	v_add_f32_e32 v149, v149, v150
	s_waitcnt vmcnt(34) lgkmcnt(0)
	v_mul_f32_e32 v150, v145, v220
	v_add_f32_e32 v109, v109, v110
	v_mul_f32_e32 v110, v134, v208
	v_fmac_f32_e32 v150, v146, v219
	v_fma_f32 v110, v133, v207, -v110
	v_add_f32_e32 v153, v149, v150
	ds_read2_b64 v[149:152], v108 offset0:91 offset1:92
	v_add_f32_e32 v109, v109, v110
	v_mul_f32_e32 v110, v136, v210
	v_fma_f32 v110, v135, v209, -v110
	s_waitcnt vmcnt(32)
	v_mul_f32_e32 v154, v147, v222
	v_add_f32_e32 v109, v109, v110
	v_mul_f32_e32 v110, v138, v212
	v_fmac_f32_e32 v154, v148, v221
	v_fma_f32 v110, v137, v211, -v110
	v_add_f32_e32 v157, v153, v154
	ds_read2_b64 v[153:156], v108 offset0:93 offset1:94
	v_add_f32_e32 v109, v109, v110
	v_mul_f32_e32 v110, v140, v214
	s_waitcnt vmcnt(30) lgkmcnt(1)
	v_mul_f32_e32 v158, v149, v224
	v_fma_f32 v110, v139, v213, -v110
	v_fmac_f32_e32 v158, v150, v223
	v_add_f32_e32 v109, v109, v110
	v_mul_f32_e32 v110, v142, v216
	v_add_f32_e32 v157, v157, v158
	s_waitcnt vmcnt(28)
	v_mul_f32_e32 v158, v151, v226
	v_fma_f32 v110, v141, v215, -v110
	v_fmac_f32_e32 v158, v152, v225
	v_add_f32_e32 v109, v109, v110
	v_mul_f32_e32 v110, v144, v218
	v_add_f32_e32 v157, v157, v158
	s_waitcnt vmcnt(26) lgkmcnt(0)
	v_mul_f32_e32 v158, v153, v228
	v_fma_f32 v110, v143, v217, -v110
	v_fmac_f32_e32 v158, v154, v227
	v_add_f32_e32 v109, v109, v110
	v_mul_f32_e32 v110, v146, v220
	v_add_f32_e32 v161, v157, v158
	ds_read2_b64 v[157:160], v108 offset0:95 offset1:96
	v_fma_f32 v110, v145, v219, -v110
	v_add_f32_e32 v109, v109, v110
	v_mul_f32_e32 v110, v148, v222
	s_waitcnt vmcnt(24)
	v_mul_f32_e32 v162, v155, v230
	v_fma_f32 v110, v147, v221, -v110
	v_fmac_f32_e32 v162, v156, v229
	v_add_f32_e32 v109, v109, v110
	v_mul_f32_e32 v110, v150, v224
	v_add_f32_e32 v165, v161, v162
	ds_read2_b64 v[161:164], v108 offset0:97 offset1:98
	v_fma_f32 v110, v149, v223, -v110
	s_waitcnt vmcnt(22) lgkmcnt(1)
	v_mul_f32_e32 v166, v157, v232
	v_add_f32_e32 v109, v109, v110
	v_mul_f32_e32 v110, v152, v226
	v_fmac_f32_e32 v166, v158, v231
	v_fma_f32 v110, v151, v225, -v110
	v_add_f32_e32 v165, v165, v166
	s_waitcnt vmcnt(20)
	v_mul_f32_e32 v166, v159, v234
	v_add_f32_e32 v109, v109, v110
	v_mul_f32_e32 v110, v154, v228
	v_fmac_f32_e32 v166, v160, v233
	v_fma_f32 v110, v153, v227, -v110
	v_add_f32_e32 v165, v165, v166
	s_waitcnt vmcnt(18) lgkmcnt(0)
	v_mul_f32_e32 v166, v161, v236
	v_add_f32_e32 v109, v109, v110
	v_mul_f32_e32 v110, v156, v230
	v_fmac_f32_e32 v166, v162, v235
	v_fma_f32 v110, v155, v229, -v110
	v_add_f32_e32 v169, v165, v166
	ds_read2_b64 v[165:168], v108 offset0:99 offset1:100
	v_add_f32_e32 v109, v109, v110
	v_mul_f32_e32 v110, v158, v232
	v_fma_f32 v110, v157, v231, -v110
	s_waitcnt vmcnt(16)
	v_mul_f32_e32 v170, v163, v238
	v_add_f32_e32 v109, v109, v110
	v_mul_f32_e32 v110, v160, v234
	v_fmac_f32_e32 v170, v164, v237
	v_fma_f32 v110, v159, v233, -v110
	v_add_f32_e32 v173, v169, v170
	ds_read2_b64 v[169:172], v108 offset0:101 offset1:102
	v_add_f32_e32 v109, v109, v110
	v_mul_f32_e32 v110, v162, v236
	s_waitcnt vmcnt(14) lgkmcnt(1)
	v_mul_f32_e32 v174, v165, v240
	v_fma_f32 v110, v161, v235, -v110
	v_fmac_f32_e32 v174, v166, v239
	v_add_f32_e32 v109, v109, v110
	v_mul_f32_e32 v110, v164, v238
	v_add_f32_e32 v173, v173, v174
	s_waitcnt vmcnt(13)
	v_mul_f32_e32 v174, v167, v241
	v_fma_f32 v110, v163, v237, -v110
	s_waitcnt vmcnt(10)
	v_fmac_f32_e32 v174, v168, v244
	v_add_f32_e32 v109, v109, v110
	v_mul_f32_e32 v110, v166, v240
	v_add_f32_e32 v173, v173, v174
	s_waitcnt lgkmcnt(0)
	v_mul_f32_e32 v174, v169, v243
	v_fma_f32 v110, v165, v239, -v110
	v_fmac_f32_e32 v174, v170, v242
	v_add_f32_e32 v109, v109, v110
	v_mul_f32_e32 v110, v168, v241
	v_add_f32_e32 v177, v173, v174
	ds_read2_b64 v[173:176], v108 offset0:103 offset1:104
	v_fma_f32 v110, v167, v244, -v110
	v_add_f32_e32 v109, v109, v110
	v_mul_f32_e32 v110, v170, v243
	s_waitcnt vmcnt(8)
	v_mul_f32_e32 v178, v171, v246
	v_fma_f32 v110, v169, v242, -v110
	v_fmac_f32_e32 v178, v172, v245
	v_add_f32_e32 v109, v109, v110
	v_mul_f32_e32 v110, v172, v246
	v_add_f32_e32 v255, v177, v178
	ds_read2_b64 v[177:180], v108 offset0:105 offset1:106
	v_fma_f32 v110, v171, v245, -v110
	v_add_f32_e32 v109, v109, v110
	s_waitcnt vmcnt(6) lgkmcnt(1)
	v_mul_f32_e32 v110, v174, v248
	v_mul_f32_e32 v108, v173, v248
	v_fma_f32 v110, v173, v247, -v110
	v_fmac_f32_e32 v108, v174, v247
	v_add_f32_e32 v109, v109, v110
	s_waitcnt vmcnt(5)
	v_mul_f32_e32 v110, v176, v249
	v_add_f32_e32 v108, v255, v108
	v_mul_f32_e32 v255, v175, v249
	s_waitcnt vmcnt(2)
	v_fma_f32 v110, v175, v252, -v110
	v_fmac_f32_e32 v255, v176, v252
	v_add_f32_e32 v109, v109, v110
	s_waitcnt lgkmcnt(0)
	v_mul_f32_e32 v110, v178, v251
	v_add_f32_e32 v108, v108, v255
	v_mul_f32_e32 v255, v177, v251
	v_fma_f32 v110, v177, v250, -v110
	v_fmac_f32_e32 v255, v178, v250
	v_add_f32_e32 v109, v109, v110
	s_waitcnt vmcnt(0)
	v_mul_f32_e32 v110, v180, v254
	v_add_f32_e32 v108, v108, v255
	v_mul_f32_e32 v255, v179, v254
	v_fma_f32 v110, v179, v253, -v110
	v_fmac_f32_e32 v255, v180, v253
	v_add_f32_e32 v109, v109, v110
	v_add_f32_e32 v108, v108, v255
	v_sub_f32_e32 v109, v203, v109
	v_sub_f32_e32 v108, v204, v108
	buffer_store_dword v109, off, s[0:3], 0 offset:128
	buffer_store_dword v108, off, s[0:3], 0 offset:132
	s_and_saveexec_b64 s[4:5], vcc
	s_cbranch_execz .LBB52_301
; %bb.300:
	buffer_load_dword v108, off, s[0:3], 0 offset:120
	buffer_load_dword v109, off, s[0:3], 0 offset:124
	v_mov_b32_e32 v110, 0
	buffer_store_dword v110, off, s[0:3], 0 offset:120
	buffer_store_dword v110, off, s[0:3], 0 offset:124
	s_waitcnt vmcnt(2)
	ds_write_b64 v107, v[108:109]
.LBB52_301:
	s_or_b64 exec, exec, s[4:5]
	s_waitcnt lgkmcnt(0)
	; wave barrier
	buffer_load_dword v183, off, s[0:3], 0 offset:132
	buffer_load_dword v184, off, s[0:3], 0 offset:140
	;; [unrolled: 1-line block ×50, first 2 shown]
	v_mov_b32_e32 v108, 0
	ds_read_b128 v[109:112], v108 offset:560
	ds_read_b128 v[113:116], v108 offset:576
	;; [unrolled: 1-line block ×6, first 2 shown]
	buffer_load_dword v233, off, s[0:3], 0 offset:320
	buffer_load_dword v234, off, s[0:3], 0 offset:324
	;; [unrolled: 1-line block ×16, first 2 shown]
	v_cmp_lt_u32_e32 vcc, 14, v0
	s_waitcnt vmcnt(62) lgkmcnt(5)
	v_mul_f32_e32 v133, v109, v183
	v_mul_f32_e32 v134, v111, v184
	s_waitcnt lgkmcnt(4)
	v_mul_f32_e32 v135, v113, v185
	v_mul_f32_e32 v136, v115, v186
	s_waitcnt vmcnt(61) lgkmcnt(3)
	v_mul_f32_e32 v137, v117, v187
	s_waitcnt vmcnt(60)
	v_mul_f32_e32 v138, v119, v188
	s_waitcnt vmcnt(59) lgkmcnt(2)
	v_mul_f32_e32 v139, v121, v189
	s_waitcnt vmcnt(58)
	v_mul_f32_e32 v140, v123, v190
	s_waitcnt vmcnt(57) lgkmcnt(1)
	v_mul_f32_e32 v141, v125, v191
	s_waitcnt vmcnt(56)
	v_fmac_f32_e32 v135, v114, v192
	s_waitcnt vmcnt(55)
	v_fmac_f32_e32 v134, v112, v193
	s_waitcnt vmcnt(54)
	v_fmac_f32_e32 v133, v110, v194
	v_add_f32_e32 v133, 0, v133
	v_add_f32_e32 v133, v133, v134
	;; [unrolled: 1-line block ×3, first 2 shown]
	s_waitcnt vmcnt(50)
	v_fmac_f32_e32 v136, v116, v198
	v_fmac_f32_e32 v137, v118, v197
	v_add_f32_e32 v133, v133, v136
	v_fmac_f32_e32 v138, v120, v196
	v_add_f32_e32 v133, v133, v137
	;; [unrolled: 2-line block ×3, first 2 shown]
	s_waitcnt vmcnt(46)
	v_fmac_f32_e32 v140, v124, v202
	v_add_f32_e32 v133, v133, v139
	v_fmac_f32_e32 v141, v126, v201
	v_add_f32_e32 v133, v133, v140
	s_waitcnt vmcnt(45)
	v_mul_f32_e32 v134, v127, v203
	v_add_f32_e32 v133, v133, v141
	v_fmac_f32_e32 v134, v128, v200
	v_add_f32_e32 v133, v133, v134
	s_waitcnt vmcnt(44) lgkmcnt(0)
	v_mul_f32_e32 v134, v129, v204
	v_fmac_f32_e32 v134, v130, v199
	v_add_f32_e32 v137, v133, v134
	ds_read_b128 v[133:136], v108 offset:656
	buffer_load_dword v249, off, s[0:3], 0 offset:384
	buffer_load_dword v250, off, s[0:3], 0 offset:388
	;; [unrolled: 1-line block ×6, first 2 shown]
	s_waitcnt vmcnt(49)
	v_mul_f32_e32 v138, v131, v205
	s_waitcnt vmcnt(42)
	v_fmac_f32_e32 v138, v132, v212
	v_add_f32_e32 v141, v137, v138
	ds_read_b128 v[137:140], v108 offset:672
	buffer_load_dword v255, off, s[0:3], 0 offset:412
	buffer_load_dword v1, off, s[0:3], 0 offset:416
	;; [unrolled: 1-line block ×4, first 2 shown]
	s_waitcnt lgkmcnt(1)
	v_mul_f32_e32 v142, v133, v207
	v_fmac_f32_e32 v142, v134, v206
	v_add_f32_e32 v4, v141, v142
	v_mul_f32_e32 v141, v135, v209
	v_fmac_f32_e32 v141, v136, v208
	v_add_f32_e32 v4, v4, v141
	s_waitcnt lgkmcnt(0)
	v_mul_f32_e32 v141, v137, v211
	v_fmac_f32_e32 v141, v138, v210
	v_add_f32_e32 v4, v4, v141
	ds_read_b128 v[141:144], v108 offset:688
	s_waitcnt vmcnt(42)
	v_mul_f32_e32 v145, v139, v216
	v_fmac_f32_e32 v145, v140, v215
	v_add_f32_e32 v4, v4, v145
	ds_read_b128 v[145:148], v108 offset:704
	s_waitcnt vmcnt(40) lgkmcnt(1)
	v_mul_f32_e32 v149, v141, v218
	v_fmac_f32_e32 v149, v142, v217
	v_add_f32_e32 v4, v4, v149
	s_waitcnt vmcnt(38)
	v_mul_f32_e32 v149, v143, v220
	v_fmac_f32_e32 v149, v144, v219
	v_add_f32_e32 v4, v4, v149
	s_waitcnt vmcnt(36) lgkmcnt(0)
	v_mul_f32_e32 v149, v145, v222
	v_fmac_f32_e32 v149, v146, v221
	v_add_f32_e32 v4, v4, v149
	ds_read_b128 v[149:152], v108 offset:720
	s_waitcnt vmcnt(34)
	v_mul_f32_e32 v153, v147, v224
	v_fmac_f32_e32 v153, v148, v223
	v_add_f32_e32 v4, v4, v153
	ds_read_b128 v[153:156], v108 offset:736
	s_waitcnt vmcnt(32) lgkmcnt(1)
	v_mul_f32_e32 v157, v149, v226
	v_fmac_f32_e32 v157, v150, v225
	v_add_f32_e32 v4, v4, v157
	s_waitcnt vmcnt(30)
	v_mul_f32_e32 v157, v151, v228
	v_fmac_f32_e32 v157, v152, v227
	v_add_f32_e32 v4, v4, v157
	s_waitcnt vmcnt(28) lgkmcnt(0)
	v_mul_f32_e32 v157, v153, v230
	v_fmac_f32_e32 v157, v154, v229
	v_add_f32_e32 v4, v4, v157
	ds_read_b128 v[157:160], v108 offset:752
	s_waitcnt vmcnt(26)
	v_mul_f32_e32 v161, v155, v232
	v_fmac_f32_e32 v161, v156, v231
	v_add_f32_e32 v4, v4, v161
	ds_read_b128 v[161:164], v108 offset:768
	s_waitcnt vmcnt(24) lgkmcnt(1)
	v_mul_f32_e32 v165, v157, v234
	v_fmac_f32_e32 v165, v158, v233
	v_add_f32_e32 v4, v4, v165
	s_waitcnt vmcnt(23)
	v_mul_f32_e32 v165, v159, v235
	s_waitcnt vmcnt(20)
	v_fmac_f32_e32 v165, v160, v238
	v_add_f32_e32 v4, v4, v165
	s_waitcnt lgkmcnt(0)
	v_mul_f32_e32 v165, v161, v237
	v_fmac_f32_e32 v165, v162, v236
	v_add_f32_e32 v4, v4, v165
	ds_read_b128 v[165:168], v108 offset:784
	s_waitcnt vmcnt(18)
	v_mul_f32_e32 v169, v163, v240
	v_fmac_f32_e32 v169, v164, v239
	v_add_f32_e32 v4, v4, v169
	ds_read_b128 v[169:172], v108 offset:800
	s_waitcnt vmcnt(16) lgkmcnt(1)
	v_mul_f32_e32 v173, v165, v242
	v_fmac_f32_e32 v173, v166, v241
	v_add_f32_e32 v4, v4, v173
	s_waitcnt vmcnt(15)
	v_mul_f32_e32 v173, v167, v243
	s_waitcnt vmcnt(12)
	v_fmac_f32_e32 v173, v168, v246
	v_add_f32_e32 v4, v4, v173
	s_waitcnt lgkmcnt(0)
	v_mul_f32_e32 v173, v169, v245
	v_fmac_f32_e32 v173, v170, v244
	v_add_f32_e32 v4, v4, v173
	ds_read_b128 v[173:176], v108 offset:816
	s_waitcnt vmcnt(10)
	v_mul_f32_e32 v177, v171, v248
	v_fmac_f32_e32 v177, v172, v247
	v_add_f32_e32 v4, v4, v177
	ds_read_b128 v[177:180], v108 offset:832
	s_waitcnt vmcnt(8) lgkmcnt(1)
	v_mul_f32_e32 v181, v173, v250
	v_fmac_f32_e32 v181, v174, v249
	v_add_f32_e32 v4, v4, v181
	s_waitcnt vmcnt(7)
	v_mul_f32_e32 v181, v175, v251
	s_waitcnt vmcnt(4)
	v_fmac_f32_e32 v181, v176, v254
	v_add_f32_e32 v4, v4, v181
	ds_read_b64 v[181:182], v108 offset:848
	s_waitcnt lgkmcnt(1)
	v_mul_f32_e32 v5, v177, v253
	v_fmac_f32_e32 v5, v178, v252
	v_add_f32_e32 v4, v4, v5
	s_waitcnt vmcnt(3)
	v_mul_f32_e32 v5, v179, v255
	s_waitcnt vmcnt(0)
	v_fmac_f32_e32 v5, v180, v3
	v_add_f32_e32 v4, v4, v5
	s_waitcnt lgkmcnt(0)
	v_mul_f32_e32 v5, v181, v2
	v_fmac_f32_e32 v5, v182, v1
	v_add_f32_e32 v4, v4, v5
	v_mul_f32_e32 v5, v110, v183
	v_fma_f32 v5, v109, v194, -v5
	v_mul_f32_e32 v6, v112, v184
	v_add_f32_e32 v5, 0, v5
	v_fma_f32 v6, v111, v193, -v6
	v_add_f32_e32 v5, v5, v6
	v_mul_f32_e32 v6, v114, v185
	v_fma_f32 v6, v113, v192, -v6
	v_add_f32_e32 v5, v5, v6
	v_mul_f32_e32 v6, v116, v186
	;; [unrolled: 3-line block ×34, first 2 shown]
	v_fma_f32 v3, v179, v3, -v6
	v_mul_f32_e32 v2, v182, v2
	v_add_f32_e32 v3, v5, v3
	v_fma_f32 v1, v181, v1, -v2
	v_add_f32_e32 v1, v3, v1
	v_sub_f32_e32 v1, v213, v1
	v_sub_f32_e32 v2, v214, v4
	buffer_store_dword v1, off, s[0:3], 0 offset:120
	buffer_store_dword v2, off, s[0:3], 0 offset:124
	s_and_saveexec_b64 s[4:5], vcc
	s_cbranch_execz .LBB52_303
; %bb.302:
	buffer_load_dword v109, off, s[0:3], 0 offset:112
	buffer_load_dword v110, off, s[0:3], 0 offset:116
	s_waitcnt vmcnt(0)
	ds_write_b64 v107, v[109:110]
	buffer_store_dword v108, off, s[0:3], 0 offset:112
	buffer_store_dword v108, off, s[0:3], 0 offset:116
.LBB52_303:
	s_or_b64 exec, exec, s[4:5]
	s_waitcnt lgkmcnt(0)
	; wave barrier
	buffer_load_dword v1, off, s[0:3], 0 offset:124
	buffer_load_dword v2, off, s[0:3], 0 offset:132
	;; [unrolled: 1-line block ×32, first 2 shown]
	ds_read2_b64 v[109:112], v108 offset0:69 offset1:70
	ds_read2_b64 v[113:116], v108 offset0:71 offset1:72
	;; [unrolled: 1-line block ×6, first 2 shown]
	buffer_load_dword v211, off, s[0:3], 0 offset:240
	buffer_load_dword v212, off, s[0:3], 0 offset:244
	;; [unrolled: 1-line block ×32, first 2 shown]
	v_cmp_lt_u32_e32 vcc, 13, v0
	s_waitcnt vmcnt(62) lgkmcnt(5)
	v_mul_f32_e32 v133, v109, v1
	v_mul_f32_e32 v134, v111, v2
	s_waitcnt vmcnt(61) lgkmcnt(4)
	v_mul_f32_e32 v135, v113, v3
	s_waitcnt vmcnt(60)
	v_mul_f32_e32 v136, v115, v4
	s_waitcnt vmcnt(59) lgkmcnt(3)
	v_mul_f32_e32 v137, v117, v5
	s_waitcnt vmcnt(58)
	;; [unrolled: 4-line block ×4, first 2 shown]
	v_mul_f32_e32 v142, v127, v188
	s_waitcnt vmcnt(53)
	v_fmac_f32_e32 v135, v114, v189
	s_waitcnt vmcnt(52)
	v_fmac_f32_e32 v134, v112, v190
	;; [unrolled: 2-line block ×3, first 2 shown]
	v_add_f32_e32 v133, 0, v133
	v_add_f32_e32 v133, v133, v134
	;; [unrolled: 1-line block ×3, first 2 shown]
	s_waitcnt vmcnt(47)
	v_fmac_f32_e32 v136, v116, v195
	v_fmac_f32_e32 v137, v118, v194
	v_add_f32_e32 v133, v133, v136
	v_fmac_f32_e32 v138, v120, v193
	v_add_f32_e32 v133, v133, v137
	;; [unrolled: 2-line block ×3, first 2 shown]
	s_waitcnt vmcnt(43)
	v_fmac_f32_e32 v140, v124, v199
	v_add_f32_e32 v133, v133, v139
	v_fmac_f32_e32 v141, v126, v198
	v_add_f32_e32 v133, v133, v140
	;; [unrolled: 2-line block ×3, first 2 shown]
	s_waitcnt vmcnt(42) lgkmcnt(0)
	v_mul_f32_e32 v134, v129, v200
	v_add_f32_e32 v133, v133, v142
	v_fmac_f32_e32 v134, v130, v196
	v_add_f32_e32 v137, v133, v134
	ds_read2_b64 v[133:136], v108 offset0:81 offset1:82
	buffer_load_dword v243, off, s[0:3], 0 offset:368
	buffer_load_dword v244, off, s[0:3], 0 offset:372
	s_waitcnt vmcnt(43)
	v_mul_f32_e32 v138, v131, v201
	s_waitcnt vmcnt(37)
	v_fmac_f32_e32 v138, v132, v207
	v_add_f32_e32 v141, v137, v138
	ds_read2_b64 v[137:140], v108 offset0:83 offset1:84
	buffer_load_dword v245, off, s[0:3], 0 offset:376
	buffer_load_dword v246, off, s[0:3], 0 offset:380
	;; [unrolled: 1-line block ×12, first 2 shown]
	v_mul_f32_e32 v1, v110, v1
	v_fma_f32 v1, v109, v191, -v1
	v_mul_f32_e32 v2, v112, v2
	v_add_f32_e32 v1, 0, v1
	v_fma_f32 v2, v111, v190, -v2
	v_add_f32_e32 v1, v1, v2
	v_mul_f32_e32 v2, v114, v3
	v_fma_f32 v2, v113, v189, -v2
	v_add_f32_e32 v1, v1, v2
	v_mul_f32_e32 v2, v116, v4
	v_fma_f32 v2, v115, v195, -v2
	s_waitcnt vmcnt(48) lgkmcnt(1)
	v_mul_f32_e32 v142, v133, v208
	v_add_f32_e32 v1, v1, v2
	v_mul_f32_e32 v2, v118, v5
	v_fmac_f32_e32 v142, v134, v206
	v_fma_f32 v2, v117, v194, -v2
	v_add_f32_e32 v141, v141, v142
	v_mul_f32_e32 v142, v135, v203
	v_add_f32_e32 v1, v1, v2
	v_mul_f32_e32 v2, v120, v6
	v_fmac_f32_e32 v142, v136, v202
	v_fma_f32 v2, v119, v193, -v2
	v_add_f32_e32 v8, v141, v142
	s_waitcnt lgkmcnt(0)
	v_mul_f32_e32 v141, v137, v205
	v_add_f32_e32 v1, v1, v2
	v_mul_f32_e32 v2, v122, v185
	v_fmac_f32_e32 v141, v138, v204
	v_fma_f32 v2, v121, v192, -v2
	v_add_f32_e32 v8, v8, v141
	ds_read2_b64 v[141:144], v108 offset0:85 offset1:86
	v_add_f32_e32 v1, v1, v2
	v_mul_f32_e32 v2, v124, v186
	v_fma_f32 v2, v123, v199, -v2
	s_waitcnt vmcnt(44)
	v_mul_f32_e32 v145, v139, v212
	v_add_f32_e32 v1, v1, v2
	v_mul_f32_e32 v2, v126, v187
	v_fmac_f32_e32 v145, v140, v211
	v_fma_f32 v2, v125, v198, -v2
	v_add_f32_e32 v8, v8, v145
	ds_read2_b64 v[145:148], v108 offset0:87 offset1:88
	v_add_f32_e32 v1, v1, v2
	v_mul_f32_e32 v2, v128, v188
	s_waitcnt vmcnt(42) lgkmcnt(1)
	v_mul_f32_e32 v149, v141, v214
	v_fma_f32 v2, v127, v197, -v2
	v_fmac_f32_e32 v149, v142, v213
	v_add_f32_e32 v1, v1, v2
	v_mul_f32_e32 v2, v130, v200
	v_add_f32_e32 v8, v8, v149
	s_waitcnt vmcnt(40)
	v_mul_f32_e32 v149, v143, v216
	v_fma_f32 v2, v129, v196, -v2
	v_fmac_f32_e32 v149, v144, v215
	v_add_f32_e32 v1, v1, v2
	v_mul_f32_e32 v2, v132, v201
	v_add_f32_e32 v8, v8, v149
	s_waitcnt vmcnt(38) lgkmcnt(0)
	v_mul_f32_e32 v149, v145, v218
	v_fma_f32 v2, v131, v207, -v2
	v_fmac_f32_e32 v149, v146, v217
	v_add_f32_e32 v1, v1, v2
	v_mul_f32_e32 v2, v134, v208
	v_add_f32_e32 v8, v8, v149
	ds_read2_b64 v[149:152], v108 offset0:89 offset1:90
	v_fma_f32 v2, v133, v206, -v2
	v_add_f32_e32 v1, v1, v2
	v_mul_f32_e32 v2, v136, v203
	s_waitcnt vmcnt(36)
	v_mul_f32_e32 v153, v147, v220
	v_fma_f32 v2, v135, v202, -v2
	v_fmac_f32_e32 v153, v148, v219
	v_add_f32_e32 v1, v1, v2
	v_mul_f32_e32 v2, v138, v205
	v_add_f32_e32 v8, v8, v153
	ds_read2_b64 v[153:156], v108 offset0:91 offset1:92
	v_fma_f32 v2, v137, v204, -v2
	s_waitcnt vmcnt(34) lgkmcnt(1)
	v_mul_f32_e32 v157, v149, v222
	v_add_f32_e32 v1, v1, v2
	v_mul_f32_e32 v2, v140, v212
	v_fmac_f32_e32 v157, v150, v221
	v_fma_f32 v2, v139, v211, -v2
	v_add_f32_e32 v8, v8, v157
	s_waitcnt vmcnt(32)
	v_mul_f32_e32 v157, v151, v224
	v_add_f32_e32 v1, v1, v2
	v_mul_f32_e32 v2, v142, v214
	v_fmac_f32_e32 v157, v152, v223
	v_fma_f32 v2, v141, v213, -v2
	v_add_f32_e32 v8, v8, v157
	s_waitcnt vmcnt(30) lgkmcnt(0)
	v_mul_f32_e32 v157, v153, v226
	v_add_f32_e32 v1, v1, v2
	v_mul_f32_e32 v2, v144, v216
	v_fmac_f32_e32 v157, v154, v225
	v_fma_f32 v2, v143, v215, -v2
	v_add_f32_e32 v8, v8, v157
	ds_read2_b64 v[157:160], v108 offset0:93 offset1:94
	v_add_f32_e32 v1, v1, v2
	v_mul_f32_e32 v2, v146, v218
	v_fma_f32 v2, v145, v217, -v2
	s_waitcnt vmcnt(28)
	v_mul_f32_e32 v161, v155, v228
	v_add_f32_e32 v1, v1, v2
	v_mul_f32_e32 v2, v148, v220
	v_fmac_f32_e32 v161, v156, v227
	v_fma_f32 v2, v147, v219, -v2
	v_add_f32_e32 v8, v8, v161
	ds_read2_b64 v[161:164], v108 offset0:95 offset1:96
	v_add_f32_e32 v1, v1, v2
	v_mul_f32_e32 v2, v150, v222
	s_waitcnt vmcnt(26) lgkmcnt(1)
	v_mul_f32_e32 v165, v157, v230
	v_fma_f32 v2, v149, v221, -v2
	v_fmac_f32_e32 v165, v158, v229
	v_add_f32_e32 v1, v1, v2
	v_mul_f32_e32 v2, v152, v224
	v_add_f32_e32 v8, v8, v165
	s_waitcnt vmcnt(25)
	v_mul_f32_e32 v165, v159, v231
	v_fma_f32 v2, v151, v223, -v2
	s_waitcnt vmcnt(22)
	v_fmac_f32_e32 v165, v160, v234
	v_add_f32_e32 v1, v1, v2
	v_mul_f32_e32 v2, v154, v226
	v_add_f32_e32 v8, v8, v165
	s_waitcnt lgkmcnt(0)
	v_mul_f32_e32 v165, v161, v233
	v_fma_f32 v2, v153, v225, -v2
	v_fmac_f32_e32 v165, v162, v232
	v_add_f32_e32 v1, v1, v2
	v_mul_f32_e32 v2, v156, v228
	v_add_f32_e32 v8, v8, v165
	ds_read2_b64 v[165:168], v108 offset0:97 offset1:98
	v_fma_f32 v2, v155, v227, -v2
	v_add_f32_e32 v1, v1, v2
	v_mul_f32_e32 v2, v158, v230
	s_waitcnt vmcnt(20)
	v_mul_f32_e32 v169, v163, v236
	v_fma_f32 v2, v157, v229, -v2
	v_fmac_f32_e32 v169, v164, v235
	v_add_f32_e32 v1, v1, v2
	v_mul_f32_e32 v2, v160, v231
	v_add_f32_e32 v8, v8, v169
	ds_read2_b64 v[169:172], v108 offset0:99 offset1:100
	v_fma_f32 v2, v159, v234, -v2
	s_waitcnt vmcnt(18) lgkmcnt(1)
	v_mul_f32_e32 v173, v165, v238
	v_add_f32_e32 v1, v1, v2
	v_mul_f32_e32 v2, v162, v233
	v_fmac_f32_e32 v173, v166, v237
	v_fma_f32 v2, v161, v232, -v2
	v_add_f32_e32 v8, v8, v173
	s_waitcnt vmcnt(17)
	v_mul_f32_e32 v173, v167, v239
	v_add_f32_e32 v1, v1, v2
	v_mul_f32_e32 v2, v164, v236
	s_waitcnt vmcnt(14)
	v_fmac_f32_e32 v173, v168, v242
	v_fma_f32 v2, v163, v235, -v2
	v_add_f32_e32 v8, v8, v173
	s_waitcnt lgkmcnt(0)
	v_mul_f32_e32 v173, v169, v241
	v_add_f32_e32 v1, v1, v2
	v_mul_f32_e32 v2, v166, v238
	v_fmac_f32_e32 v173, v170, v240
	v_fma_f32 v2, v165, v237, -v2
	v_add_f32_e32 v8, v8, v173
	ds_read2_b64 v[173:176], v108 offset0:101 offset1:102
	v_add_f32_e32 v1, v1, v2
	v_mul_f32_e32 v2, v168, v239
	v_fma_f32 v2, v167, v242, -v2
	v_add_f32_e32 v1, v1, v2
	v_mul_f32_e32 v2, v170, v241
	s_waitcnt vmcnt(12)
	v_mul_f32_e32 v177, v171, v244
	v_fma_f32 v2, v169, v240, -v2
	v_fmac_f32_e32 v177, v172, v243
	v_add_f32_e32 v1, v1, v2
	v_mul_f32_e32 v2, v172, v244
	v_add_f32_e32 v8, v8, v177
	ds_read2_b64 v[177:180], v108 offset0:103 offset1:104
	s_waitcnt vmcnt(10) lgkmcnt(1)
	v_mul_f32_e32 v181, v173, v246
	v_fma_f32 v2, v171, v243, -v2
	v_fmac_f32_e32 v181, v174, v245
	v_add_f32_e32 v1, v1, v2
	v_mul_f32_e32 v2, v174, v246
	v_add_f32_e32 v8, v8, v181
	s_waitcnt vmcnt(9)
	v_mul_f32_e32 v181, v175, v247
	v_fma_f32 v2, v173, v245, -v2
	s_waitcnt vmcnt(6)
	v_fmac_f32_e32 v181, v176, v250
	v_add_f32_e32 v1, v1, v2
	v_mul_f32_e32 v2, v176, v247
	v_add_f32_e32 v8, v8, v181
	ds_read2_b64 v[181:184], v108 offset0:105 offset1:106
	v_fma_f32 v2, v175, v250, -v2
	v_add_f32_e32 v1, v1, v2
	s_waitcnt lgkmcnt(1)
	v_mul_f32_e32 v2, v178, v249
	v_mul_f32_e32 v9, v177, v249
	v_fma_f32 v2, v177, v248, -v2
	v_fmac_f32_e32 v9, v178, v248
	v_add_f32_e32 v1, v1, v2
	s_waitcnt vmcnt(4)
	v_mul_f32_e32 v2, v180, v252
	v_add_f32_e32 v8, v8, v9
	v_mul_f32_e32 v9, v179, v252
	v_fma_f32 v2, v179, v251, -v2
	v_fmac_f32_e32 v9, v180, v251
	v_add_f32_e32 v1, v1, v2
	s_waitcnt vmcnt(3) lgkmcnt(0)
	v_mul_f32_e32 v2, v182, v253
	v_add_f32_e32 v8, v8, v9
	v_mul_f32_e32 v9, v181, v253
	s_waitcnt vmcnt(0)
	v_fma_f32 v2, v181, v7, -v2
	v_fmac_f32_e32 v9, v182, v7
	v_add_f32_e32 v1, v1, v2
	v_mul_f32_e32 v2, v184, v255
	v_add_f32_e32 v8, v8, v9
	v_mul_f32_e32 v9, v183, v255
	v_fma_f32 v2, v183, v254, -v2
	v_fmac_f32_e32 v9, v184, v254
	v_add_f32_e32 v1, v1, v2
	v_add_f32_e32 v8, v8, v9
	v_sub_f32_e32 v1, v209, v1
	v_sub_f32_e32 v2, v210, v8
	buffer_store_dword v1, off, s[0:3], 0 offset:112
	buffer_store_dword v2, off, s[0:3], 0 offset:116
	s_and_saveexec_b64 s[4:5], vcc
	s_cbranch_execz .LBB52_305
; %bb.304:
	buffer_load_dword v108, off, s[0:3], 0 offset:104
	buffer_load_dword v109, off, s[0:3], 0 offset:108
	v_mov_b32_e32 v1, 0
	buffer_store_dword v1, off, s[0:3], 0 offset:104
	buffer_store_dword v1, off, s[0:3], 0 offset:108
	s_waitcnt vmcnt(2)
	ds_write_b64 v107, v[108:109]
.LBB52_305:
	s_or_b64 exec, exec, s[4:5]
	s_waitcnt lgkmcnt(0)
	; wave barrier
	buffer_load_dword v1, off, s[0:3], 0 offset:116
	buffer_load_dword v2, off, s[0:3], 0 offset:124
	;; [unrolled: 1-line block ×50, first 2 shown]
	v_mov_b32_e32 v108, 0
	ds_read_b128 v[109:112], v108 offset:544
	ds_read_b128 v[113:116], v108 offset:560
	;; [unrolled: 1-line block ×6, first 2 shown]
	buffer_load_dword v227, off, s[0:3], 0 offset:304
	buffer_load_dword v228, off, s[0:3], 0 offset:308
	;; [unrolled: 1-line block ×8, first 2 shown]
	v_cmp_lt_u32_e32 vcc, 12, v0
	s_waitcnt vmcnt(57) lgkmcnt(5)
	v_mul_f32_e32 v133, v109, v1
	s_waitcnt vmcnt(56)
	v_mul_f32_e32 v134, v111, v2
	s_waitcnt vmcnt(55) lgkmcnt(4)
	v_mul_f32_e32 v135, v113, v3
	s_waitcnt vmcnt(54)
	v_mul_f32_e32 v136, v115, v4
	;; [unrolled: 4-line block ×5, first 2 shown]
	s_waitcnt vmcnt(47) lgkmcnt(0)
	v_mul_f32_e32 v143, v129, v187
	s_waitcnt vmcnt(46)
	v_fmac_f32_e32 v135, v114, v188
	s_waitcnt vmcnt(45)
	v_fmac_f32_e32 v134, v112, v189
	s_waitcnt vmcnt(44)
	v_fmac_f32_e32 v133, v110, v190
	v_add_f32_e32 v133, 0, v133
	v_add_f32_e32 v133, v133, v134
	;; [unrolled: 1-line block ×3, first 2 shown]
	s_waitcnt vmcnt(40)
	v_fmac_f32_e32 v136, v116, v194
	v_fmac_f32_e32 v137, v118, v193
	v_add_f32_e32 v133, v133, v136
	v_fmac_f32_e32 v138, v120, v192
	v_add_f32_e32 v133, v133, v137
	;; [unrolled: 2-line block ×3, first 2 shown]
	s_waitcnt vmcnt(36)
	v_fmac_f32_e32 v140, v124, v198
	v_add_f32_e32 v133, v133, v139
	v_fmac_f32_e32 v141, v126, v197
	v_add_f32_e32 v133, v133, v140
	;; [unrolled: 2-line block ×3, first 2 shown]
	v_add_f32_e32 v133, v133, v142
	v_fmac_f32_e32 v143, v130, v195
	v_add_f32_e32 v137, v133, v143
	ds_read_b128 v[133:136], v108 offset:640
	buffer_load_dword v235, off, s[0:3], 0 offset:336
	buffer_load_dword v236, off, s[0:3], 0 offset:340
	;; [unrolled: 1-line block ×6, first 2 shown]
	s_waitcnt vmcnt(41)
	v_mul_f32_e32 v138, v131, v199
	s_waitcnt vmcnt(34)
	v_fmac_f32_e32 v138, v132, v206
	v_add_f32_e32 v141, v137, v138
	ds_read_b128 v[137:140], v108 offset:656
	buffer_load_dword v241, off, s[0:3], 0 offset:360
	buffer_load_dword v242, off, s[0:3], 0 offset:364
	;; [unrolled: 1-line block ×16, first 2 shown]
	v_mul_f32_e32 v1, v110, v1
	v_fma_f32 v1, v109, v190, -v1
	v_mul_f32_e32 v2, v112, v2
	v_add_f32_e32 v1, 0, v1
	v_fma_f32 v2, v111, v189, -v2
	v_add_f32_e32 v1, v1, v2
	v_mul_f32_e32 v2, v114, v3
	v_fma_f32 v2, v113, v188, -v2
	s_waitcnt lgkmcnt(1)
	v_mul_f32_e32 v142, v133, v201
	v_add_f32_e32 v1, v1, v2
	v_mul_f32_e32 v2, v116, v4
	v_fmac_f32_e32 v142, v134, v200
	v_fma_f32 v2, v115, v194, -v2
	v_add_f32_e32 v141, v141, v142
	v_mul_f32_e32 v142, v135, v203
	v_add_f32_e32 v1, v1, v2
	v_mul_f32_e32 v2, v118, v5
	v_fmac_f32_e32 v142, v136, v202
	v_fma_f32 v2, v117, v193, -v2
	v_add_f32_e32 v141, v141, v142
	s_waitcnt lgkmcnt(0)
	v_mul_f32_e32 v142, v137, v205
	v_add_f32_e32 v1, v1, v2
	v_mul_f32_e32 v2, v120, v6
	v_fmac_f32_e32 v142, v138, v204
	v_fma_f32 v2, v119, v192, -v2
	v_add_f32_e32 v145, v141, v142
	ds_read_b128 v[141:144], v108 offset:672
	v_add_f32_e32 v1, v1, v2
	v_mul_f32_e32 v2, v122, v7
	v_fma_f32 v2, v121, v191, -v2
	s_waitcnt vmcnt(46)
	v_mul_f32_e32 v12, v139, v210
	v_add_f32_e32 v1, v1, v2
	v_mul_f32_e32 v2, v124, v8
	v_fmac_f32_e32 v12, v140, v209
	v_fma_f32 v2, v123, v198, -v2
	v_add_f32_e32 v12, v145, v12
	ds_read_b128 v[145:148], v108 offset:688
	v_add_f32_e32 v1, v1, v2
	v_mul_f32_e32 v2, v126, v9
	s_waitcnt vmcnt(44) lgkmcnt(1)
	v_mul_f32_e32 v149, v141, v212
	v_fma_f32 v2, v125, v197, -v2
	v_fmac_f32_e32 v149, v142, v211
	v_add_f32_e32 v1, v1, v2
	v_mul_f32_e32 v2, v128, v10
	v_add_f32_e32 v12, v12, v149
	s_waitcnt vmcnt(42)
	v_mul_f32_e32 v149, v143, v214
	v_fma_f32 v2, v127, v196, -v2
	v_fmac_f32_e32 v149, v144, v213
	v_add_f32_e32 v1, v1, v2
	v_mul_f32_e32 v2, v130, v187
	v_add_f32_e32 v12, v12, v149
	s_waitcnt vmcnt(40) lgkmcnt(0)
	v_mul_f32_e32 v149, v145, v216
	v_fma_f32 v2, v129, v195, -v2
	v_fmac_f32_e32 v149, v146, v215
	v_add_f32_e32 v1, v1, v2
	v_mul_f32_e32 v2, v132, v199
	v_add_f32_e32 v12, v12, v149
	ds_read_b128 v[149:152], v108 offset:704
	v_fma_f32 v2, v131, v206, -v2
	v_add_f32_e32 v1, v1, v2
	v_mul_f32_e32 v2, v134, v201
	s_waitcnt vmcnt(38)
	v_mul_f32_e32 v153, v147, v218
	v_fma_f32 v2, v133, v200, -v2
	v_fmac_f32_e32 v153, v148, v217
	v_add_f32_e32 v1, v1, v2
	v_mul_f32_e32 v2, v136, v203
	v_add_f32_e32 v12, v12, v153
	ds_read_b128 v[153:156], v108 offset:720
	v_fma_f32 v2, v135, v202, -v2
	s_waitcnt vmcnt(36) lgkmcnt(1)
	v_mul_f32_e32 v157, v149, v220
	v_add_f32_e32 v1, v1, v2
	v_mul_f32_e32 v2, v138, v205
	v_fmac_f32_e32 v157, v150, v219
	v_fma_f32 v2, v137, v204, -v2
	v_add_f32_e32 v12, v12, v157
	s_waitcnt vmcnt(34)
	v_mul_f32_e32 v157, v151, v222
	v_add_f32_e32 v1, v1, v2
	v_mul_f32_e32 v2, v140, v210
	v_fmac_f32_e32 v157, v152, v221
	v_fma_f32 v2, v139, v209, -v2
	v_add_f32_e32 v12, v12, v157
	s_waitcnt vmcnt(32) lgkmcnt(0)
	v_mul_f32_e32 v157, v153, v224
	v_add_f32_e32 v1, v1, v2
	v_mul_f32_e32 v2, v142, v212
	v_fmac_f32_e32 v157, v154, v223
	v_fma_f32 v2, v141, v211, -v2
	v_add_f32_e32 v12, v12, v157
	ds_read_b128 v[157:160], v108 offset:736
	v_add_f32_e32 v1, v1, v2
	v_mul_f32_e32 v2, v144, v214
	v_fma_f32 v2, v143, v213, -v2
	s_waitcnt vmcnt(30)
	v_mul_f32_e32 v161, v155, v226
	v_add_f32_e32 v1, v1, v2
	v_mul_f32_e32 v2, v146, v216
	v_fmac_f32_e32 v161, v156, v225
	v_fma_f32 v2, v145, v215, -v2
	v_add_f32_e32 v12, v12, v161
	ds_read_b128 v[161:164], v108 offset:752
	v_add_f32_e32 v1, v1, v2
	v_mul_f32_e32 v2, v148, v218
	s_waitcnt vmcnt(28) lgkmcnt(1)
	v_mul_f32_e32 v165, v157, v228
	v_fma_f32 v2, v147, v217, -v2
	v_fmac_f32_e32 v165, v158, v227
	v_add_f32_e32 v1, v1, v2
	v_mul_f32_e32 v2, v150, v220
	v_add_f32_e32 v12, v12, v165
	s_waitcnt vmcnt(27)
	v_mul_f32_e32 v165, v159, v229
	v_fma_f32 v2, v149, v219, -v2
	s_waitcnt vmcnt(24)
	v_fmac_f32_e32 v165, v160, v232
	v_add_f32_e32 v1, v1, v2
	v_mul_f32_e32 v2, v152, v222
	v_add_f32_e32 v12, v12, v165
	s_waitcnt lgkmcnt(0)
	v_mul_f32_e32 v165, v161, v231
	v_fma_f32 v2, v151, v221, -v2
	v_fmac_f32_e32 v165, v162, v230
	v_add_f32_e32 v1, v1, v2
	v_mul_f32_e32 v2, v154, v224
	v_add_f32_e32 v12, v12, v165
	ds_read_b128 v[165:168], v108 offset:768
	v_fma_f32 v2, v153, v223, -v2
	v_add_f32_e32 v1, v1, v2
	v_mul_f32_e32 v2, v156, v226
	s_waitcnt vmcnt(22)
	v_mul_f32_e32 v169, v163, v234
	v_fma_f32 v2, v155, v225, -v2
	v_fmac_f32_e32 v169, v164, v233
	v_add_f32_e32 v1, v1, v2
	v_mul_f32_e32 v2, v158, v228
	v_add_f32_e32 v12, v12, v169
	ds_read_b128 v[169:172], v108 offset:784
	v_fma_f32 v2, v157, v227, -v2
	s_waitcnt vmcnt(20) lgkmcnt(1)
	v_mul_f32_e32 v173, v165, v236
	v_add_f32_e32 v1, v1, v2
	v_mul_f32_e32 v2, v160, v229
	v_fmac_f32_e32 v173, v166, v235
	v_fma_f32 v2, v159, v232, -v2
	v_add_f32_e32 v12, v12, v173
	s_waitcnt vmcnt(19)
	v_mul_f32_e32 v173, v167, v237
	v_add_f32_e32 v1, v1, v2
	v_mul_f32_e32 v2, v162, v231
	s_waitcnt vmcnt(16)
	v_fmac_f32_e32 v173, v168, v240
	v_fma_f32 v2, v161, v230, -v2
	v_add_f32_e32 v12, v12, v173
	s_waitcnt lgkmcnt(0)
	v_mul_f32_e32 v173, v169, v239
	v_add_f32_e32 v1, v1, v2
	v_mul_f32_e32 v2, v164, v234
	v_fmac_f32_e32 v173, v170, v238
	v_fma_f32 v2, v163, v233, -v2
	v_add_f32_e32 v12, v12, v173
	ds_read_b128 v[173:176], v108 offset:800
	v_add_f32_e32 v1, v1, v2
	v_mul_f32_e32 v2, v166, v236
	v_fma_f32 v2, v165, v235, -v2
	s_waitcnt vmcnt(14)
	v_mul_f32_e32 v177, v171, v242
	v_add_f32_e32 v1, v1, v2
	v_mul_f32_e32 v2, v168, v237
	v_fmac_f32_e32 v177, v172, v241
	v_fma_f32 v2, v167, v240, -v2
	v_add_f32_e32 v12, v12, v177
	ds_read_b128 v[177:180], v108 offset:816
	v_add_f32_e32 v1, v1, v2
	v_mul_f32_e32 v2, v170, v239
	s_waitcnt vmcnt(12) lgkmcnt(1)
	v_mul_f32_e32 v181, v173, v244
	v_fma_f32 v2, v169, v238, -v2
	v_fmac_f32_e32 v181, v174, v243
	v_add_f32_e32 v1, v1, v2
	v_mul_f32_e32 v2, v172, v242
	v_add_f32_e32 v12, v12, v181
	s_waitcnt vmcnt(11)
	v_mul_f32_e32 v181, v175, v245
	v_fma_f32 v2, v171, v241, -v2
	s_waitcnt vmcnt(8)
	v_fmac_f32_e32 v181, v176, v248
	v_add_f32_e32 v1, v1, v2
	v_mul_f32_e32 v2, v174, v244
	v_add_f32_e32 v12, v12, v181
	s_waitcnt lgkmcnt(0)
	v_mul_f32_e32 v181, v177, v247
	v_fma_f32 v2, v173, v243, -v2
	v_fmac_f32_e32 v181, v178, v246
	v_add_f32_e32 v1, v1, v2
	v_mul_f32_e32 v2, v176, v245
	v_add_f32_e32 v12, v12, v181
	ds_read_b128 v[181:184], v108 offset:832
	v_fma_f32 v2, v175, v248, -v2
	v_add_f32_e32 v1, v1, v2
	v_mul_f32_e32 v2, v178, v247
	s_waitcnt vmcnt(6)
	v_mul_f32_e32 v185, v179, v250
	v_fma_f32 v2, v177, v246, -v2
	v_fmac_f32_e32 v185, v180, v249
	v_add_f32_e32 v1, v1, v2
	v_mul_f32_e32 v2, v180, v250
	v_add_f32_e32 v12, v12, v185
	ds_read_b64 v[185:186], v108 offset:848
	v_fma_f32 v2, v179, v249, -v2
	v_add_f32_e32 v1, v1, v2
	s_waitcnt vmcnt(4) lgkmcnt(1)
	v_mul_f32_e32 v2, v182, v252
	v_mul_f32_e32 v13, v181, v252
	v_fma_f32 v2, v181, v251, -v2
	v_fmac_f32_e32 v13, v182, v251
	v_add_f32_e32 v1, v1, v2
	s_waitcnt vmcnt(3)
	v_mul_f32_e32 v2, v184, v253
	v_add_f32_e32 v12, v12, v13
	v_mul_f32_e32 v13, v183, v253
	s_waitcnt vmcnt(0)
	v_fma_f32 v2, v183, v11, -v2
	v_fmac_f32_e32 v13, v184, v11
	v_add_f32_e32 v1, v1, v2
	s_waitcnt lgkmcnt(0)
	v_mul_f32_e32 v2, v186, v255
	v_add_f32_e32 v12, v12, v13
	v_mul_f32_e32 v13, v185, v255
	v_fma_f32 v2, v185, v254, -v2
	v_fmac_f32_e32 v13, v186, v254
	v_add_f32_e32 v1, v1, v2
	v_add_f32_e32 v12, v12, v13
	v_sub_f32_e32 v1, v207, v1
	v_sub_f32_e32 v2, v208, v12
	buffer_store_dword v1, off, s[0:3], 0 offset:104
	buffer_store_dword v2, off, s[0:3], 0 offset:108
	s_and_saveexec_b64 s[4:5], vcc
	s_cbranch_execz .LBB52_307
; %bb.306:
	buffer_load_dword v109, off, s[0:3], 0 offset:96
	buffer_load_dword v110, off, s[0:3], 0 offset:100
	s_waitcnt vmcnt(0)
	ds_write_b64 v107, v[109:110]
	buffer_store_dword v108, off, s[0:3], 0 offset:96
	buffer_store_dword v108, off, s[0:3], 0 offset:100
.LBB52_307:
	s_or_b64 exec, exec, s[4:5]
	s_waitcnt lgkmcnt(0)
	; wave barrier
	buffer_load_dword v1, off, s[0:3], 0 offset:108
	buffer_load_dword v2, off, s[0:3], 0 offset:116
	;; [unrolled: 1-line block ×32, first 2 shown]
	ds_read2_b64 v[109:112], v108 offset0:67 offset1:68
	ds_read2_b64 v[113:116], v108 offset0:69 offset1:70
	;; [unrolled: 1-line block ×6, first 2 shown]
	buffer_load_dword v207, off, s[0:3], 0 offset:224
	buffer_load_dword v208, off, s[0:3], 0 offset:228
	;; [unrolled: 1-line block ×26, first 2 shown]
	v_cmp_lt_u32_e32 vcc, 11, v0
	s_waitcnt vmcnt(57) lgkmcnt(5)
	v_mul_f32_e32 v133, v109, v1
	s_waitcnt vmcnt(56)
	v_mul_f32_e32 v134, v111, v2
	s_waitcnt vmcnt(55) lgkmcnt(4)
	v_mul_f32_e32 v135, v113, v3
	s_waitcnt vmcnt(54)
	v_mul_f32_e32 v136, v115, v4
	;; [unrolled: 4-line block ×5, first 2 shown]
	s_waitcnt vmcnt(47) lgkmcnt(0)
	v_mul_f32_e32 v143, v129, v11
	s_waitcnt vmcnt(46)
	v_fmac_f32_e32 v135, v114, v12
	s_waitcnt vmcnt(45)
	v_fmac_f32_e32 v134, v112, v13
	;; [unrolled: 2-line block ×3, first 2 shown]
	v_add_f32_e32 v133, 0, v133
	v_add_f32_e32 v133, v133, v134
	;; [unrolled: 1-line block ×3, first 2 shown]
	s_waitcnt vmcnt(40)
	v_fmac_f32_e32 v136, v116, v192
	v_fmac_f32_e32 v137, v118, v191
	v_add_f32_e32 v133, v133, v136
	v_fmac_f32_e32 v138, v120, v190
	v_add_f32_e32 v133, v133, v137
	;; [unrolled: 2-line block ×3, first 2 shown]
	s_waitcnt vmcnt(36)
	v_fmac_f32_e32 v140, v124, v196
	v_add_f32_e32 v133, v133, v139
	v_fmac_f32_e32 v141, v126, v195
	v_add_f32_e32 v133, v133, v140
	;; [unrolled: 2-line block ×4, first 2 shown]
	v_add_f32_e32 v137, v133, v143
	ds_read2_b64 v[133:136], v108 offset0:79 offset1:80
	buffer_load_dword v233, off, s[0:3], 0 offset:328
	buffer_load_dword v234, off, s[0:3], 0 offset:332
	;; [unrolled: 1-line block ×6, first 2 shown]
	s_waitcnt vmcnt(41)
	v_mul_f32_e32 v138, v131, v197
	s_waitcnt vmcnt(35)
	v_fmac_f32_e32 v138, v132, v203
	v_add_f32_e32 v141, v137, v138
	ds_read2_b64 v[137:140], v108 offset0:81 offset1:82
	buffer_load_dword v239, off, s[0:3], 0 offset:352
	buffer_load_dword v240, off, s[0:3], 0 offset:356
	;; [unrolled: 1-line block ×10, first 2 shown]
	s_waitcnt vmcnt(44) lgkmcnt(1)
	v_mul_f32_e32 v142, v133, v204
	v_fmac_f32_e32 v142, v134, v202
	v_add_f32_e32 v141, v141, v142
	v_mul_f32_e32 v142, v135, v199
	v_fmac_f32_e32 v142, v136, v198
	v_add_f32_e32 v141, v141, v142
	s_waitcnt lgkmcnt(0)
	v_mul_f32_e32 v142, v137, v201
	buffer_load_dword v249, off, s[0:3], 0 offset:392
	buffer_load_dword v250, off, s[0:3], 0 offset:396
	;; [unrolled: 1-line block ×6, first 2 shown]
	v_fmac_f32_e32 v142, v138, v200
	s_waitcnt vmcnt(46)
	v_mul_f32_e32 v146, v139, v208
	v_add_f32_e32 v145, v141, v142
	v_fmac_f32_e32 v146, v140, v207
	ds_read2_b64 v[141:144], v108 offset0:83 offset1:84
	v_add_f32_e32 v149, v145, v146
	ds_read2_b64 v[145:148], v108 offset0:85 offset1:86
	buffer_load_dword v255, off, s[0:3], 0 offset:416
	buffer_load_dword v15, off, s[0:3], 0 offset:420
	v_mul_f32_e32 v1, v110, v1
	v_fma_f32 v1, v109, v14, -v1
	v_mul_f32_e32 v2, v112, v2
	v_add_f32_e32 v1, 0, v1
	v_fma_f32 v2, v111, v13, -v2
	v_add_f32_e32 v1, v1, v2
	v_mul_f32_e32 v2, v114, v3
	v_fma_f32 v2, v113, v12, -v2
	v_add_f32_e32 v1, v1, v2
	v_mul_f32_e32 v2, v116, v4
	v_fma_f32 v2, v115, v192, -v2
	v_add_f32_e32 v1, v1, v2
	v_mul_f32_e32 v2, v118, v5
	v_fma_f32 v2, v117, v191, -v2
	v_add_f32_e32 v1, v1, v2
	v_mul_f32_e32 v2, v120, v6
	v_fma_f32 v2, v119, v190, -v2
	v_add_f32_e32 v1, v1, v2
	v_mul_f32_e32 v2, v122, v7
	v_fma_f32 v2, v121, v189, -v2
	v_add_f32_e32 v1, v1, v2
	v_mul_f32_e32 v2, v124, v8
	v_fma_f32 v2, v123, v196, -v2
	v_add_f32_e32 v1, v1, v2
	v_mul_f32_e32 v2, v126, v9
	s_waitcnt vmcnt(46) lgkmcnt(1)
	v_mul_f32_e32 v16, v141, v210
	v_fma_f32 v2, v125, v195, -v2
	v_fmac_f32_e32 v16, v142, v209
	v_add_f32_e32 v1, v1, v2
	v_mul_f32_e32 v2, v128, v10
	v_add_f32_e32 v16, v149, v16
	s_waitcnt vmcnt(44)
	v_mul_f32_e32 v149, v143, v212
	v_fma_f32 v2, v127, v194, -v2
	v_fmac_f32_e32 v149, v144, v211
	v_add_f32_e32 v1, v1, v2
	v_mul_f32_e32 v2, v130, v11
	v_add_f32_e32 v16, v16, v149
	s_waitcnt vmcnt(42) lgkmcnt(0)
	v_mul_f32_e32 v149, v145, v214
	v_fma_f32 v2, v129, v193, -v2
	v_fmac_f32_e32 v149, v146, v213
	v_add_f32_e32 v1, v1, v2
	v_mul_f32_e32 v2, v132, v197
	v_add_f32_e32 v16, v16, v149
	ds_read2_b64 v[149:152], v108 offset0:87 offset1:88
	v_fma_f32 v2, v131, v203, -v2
	v_add_f32_e32 v1, v1, v2
	v_mul_f32_e32 v2, v134, v204
	s_waitcnt vmcnt(40)
	v_mul_f32_e32 v153, v147, v216
	v_fma_f32 v2, v133, v202, -v2
	v_fmac_f32_e32 v153, v148, v215
	v_add_f32_e32 v1, v1, v2
	v_mul_f32_e32 v2, v136, v199
	v_add_f32_e32 v16, v16, v153
	ds_read2_b64 v[153:156], v108 offset0:89 offset1:90
	v_fma_f32 v2, v135, v198, -v2
	s_waitcnt vmcnt(38) lgkmcnt(1)
	v_mul_f32_e32 v157, v149, v218
	v_add_f32_e32 v1, v1, v2
	v_mul_f32_e32 v2, v138, v201
	v_fmac_f32_e32 v157, v150, v217
	v_fma_f32 v2, v137, v200, -v2
	v_add_f32_e32 v16, v16, v157
	s_waitcnt vmcnt(36)
	v_mul_f32_e32 v157, v151, v220
	v_add_f32_e32 v1, v1, v2
	v_mul_f32_e32 v2, v140, v208
	v_fmac_f32_e32 v157, v152, v219
	v_fma_f32 v2, v139, v207, -v2
	v_add_f32_e32 v16, v16, v157
	s_waitcnt vmcnt(34) lgkmcnt(0)
	v_mul_f32_e32 v157, v153, v222
	v_add_f32_e32 v1, v1, v2
	v_mul_f32_e32 v2, v142, v210
	v_fmac_f32_e32 v157, v154, v221
	v_fma_f32 v2, v141, v209, -v2
	v_add_f32_e32 v16, v16, v157
	ds_read2_b64 v[157:160], v108 offset0:91 offset1:92
	v_add_f32_e32 v1, v1, v2
	v_mul_f32_e32 v2, v144, v212
	v_fma_f32 v2, v143, v211, -v2
	s_waitcnt vmcnt(32)
	v_mul_f32_e32 v161, v155, v224
	v_add_f32_e32 v1, v1, v2
	v_mul_f32_e32 v2, v146, v214
	v_fmac_f32_e32 v161, v156, v223
	v_fma_f32 v2, v145, v213, -v2
	v_add_f32_e32 v16, v16, v161
	ds_read2_b64 v[161:164], v108 offset0:93 offset1:94
	v_add_f32_e32 v1, v1, v2
	v_mul_f32_e32 v2, v148, v216
	s_waitcnt vmcnt(30) lgkmcnt(1)
	v_mul_f32_e32 v165, v157, v226
	v_fma_f32 v2, v147, v215, -v2
	v_fmac_f32_e32 v165, v158, v225
	v_add_f32_e32 v1, v1, v2
	v_mul_f32_e32 v2, v150, v218
	v_add_f32_e32 v16, v16, v165
	s_waitcnt vmcnt(29)
	v_mul_f32_e32 v165, v159, v227
	v_fma_f32 v2, v149, v217, -v2
	s_waitcnt vmcnt(26)
	v_fmac_f32_e32 v165, v160, v230
	v_add_f32_e32 v1, v1, v2
	v_mul_f32_e32 v2, v152, v220
	v_add_f32_e32 v16, v16, v165
	s_waitcnt lgkmcnt(0)
	v_mul_f32_e32 v165, v161, v229
	v_fma_f32 v2, v151, v219, -v2
	v_fmac_f32_e32 v165, v162, v228
	v_add_f32_e32 v1, v1, v2
	v_mul_f32_e32 v2, v154, v222
	v_add_f32_e32 v16, v16, v165
	ds_read2_b64 v[165:168], v108 offset0:95 offset1:96
	v_fma_f32 v2, v153, v221, -v2
	v_add_f32_e32 v1, v1, v2
	v_mul_f32_e32 v2, v156, v224
	s_waitcnt vmcnt(24)
	v_mul_f32_e32 v169, v163, v232
	v_fma_f32 v2, v155, v223, -v2
	v_fmac_f32_e32 v169, v164, v231
	v_add_f32_e32 v1, v1, v2
	v_mul_f32_e32 v2, v158, v226
	v_add_f32_e32 v16, v16, v169
	ds_read2_b64 v[169:172], v108 offset0:97 offset1:98
	v_fma_f32 v2, v157, v225, -v2
	s_waitcnt vmcnt(22) lgkmcnt(1)
	v_mul_f32_e32 v173, v165, v234
	v_add_f32_e32 v1, v1, v2
	v_mul_f32_e32 v2, v160, v227
	v_fmac_f32_e32 v173, v166, v233
	v_fma_f32 v2, v159, v230, -v2
	v_add_f32_e32 v16, v16, v173
	s_waitcnt vmcnt(21)
	v_mul_f32_e32 v173, v167, v235
	v_add_f32_e32 v1, v1, v2
	v_mul_f32_e32 v2, v162, v229
	s_waitcnt vmcnt(18)
	v_fmac_f32_e32 v173, v168, v238
	v_fma_f32 v2, v161, v228, -v2
	v_add_f32_e32 v16, v16, v173
	s_waitcnt lgkmcnt(0)
	v_mul_f32_e32 v173, v169, v237
	v_add_f32_e32 v1, v1, v2
	v_mul_f32_e32 v2, v164, v232
	v_fmac_f32_e32 v173, v170, v236
	v_fma_f32 v2, v163, v231, -v2
	v_add_f32_e32 v16, v16, v173
	ds_read2_b64 v[173:176], v108 offset0:99 offset1:100
	v_add_f32_e32 v1, v1, v2
	v_mul_f32_e32 v2, v166, v234
	v_fma_f32 v2, v165, v233, -v2
	s_waitcnt vmcnt(16)
	v_mul_f32_e32 v177, v171, v240
	v_add_f32_e32 v1, v1, v2
	v_mul_f32_e32 v2, v168, v235
	v_fmac_f32_e32 v177, v172, v239
	v_fma_f32 v2, v167, v238, -v2
	v_add_f32_e32 v16, v16, v177
	ds_read2_b64 v[177:180], v108 offset0:101 offset1:102
	v_add_f32_e32 v1, v1, v2
	v_mul_f32_e32 v2, v170, v237
	s_waitcnt vmcnt(14) lgkmcnt(1)
	v_mul_f32_e32 v181, v173, v242
	v_fma_f32 v2, v169, v236, -v2
	v_fmac_f32_e32 v181, v174, v241
	v_add_f32_e32 v1, v1, v2
	v_mul_f32_e32 v2, v172, v240
	v_add_f32_e32 v16, v16, v181
	s_waitcnt vmcnt(13)
	v_mul_f32_e32 v181, v175, v243
	v_fma_f32 v2, v171, v239, -v2
	s_waitcnt vmcnt(10)
	v_fmac_f32_e32 v181, v176, v246
	v_add_f32_e32 v1, v1, v2
	v_mul_f32_e32 v2, v174, v242
	v_add_f32_e32 v16, v16, v181
	s_waitcnt lgkmcnt(0)
	v_mul_f32_e32 v181, v177, v245
	v_fma_f32 v2, v173, v241, -v2
	v_fmac_f32_e32 v181, v178, v244
	v_add_f32_e32 v1, v1, v2
	v_mul_f32_e32 v2, v176, v243
	v_add_f32_e32 v16, v16, v181
	ds_read2_b64 v[181:184], v108 offset0:103 offset1:104
	v_fma_f32 v2, v175, v246, -v2
	v_add_f32_e32 v1, v1, v2
	v_mul_f32_e32 v2, v178, v245
	s_waitcnt vmcnt(8)
	v_mul_f32_e32 v185, v179, v248
	v_fma_f32 v2, v177, v244, -v2
	v_fmac_f32_e32 v185, v180, v247
	v_add_f32_e32 v1, v1, v2
	v_mul_f32_e32 v2, v180, v248
	v_add_f32_e32 v16, v16, v185
	ds_read2_b64 v[185:188], v108 offset0:105 offset1:106
	v_fma_f32 v2, v179, v247, -v2
	v_add_f32_e32 v1, v1, v2
	s_waitcnt vmcnt(6) lgkmcnt(1)
	v_mul_f32_e32 v2, v182, v250
	v_mul_f32_e32 v108, v181, v250
	v_fma_f32 v2, v181, v249, -v2
	v_fmac_f32_e32 v108, v182, v249
	v_add_f32_e32 v1, v1, v2
	s_waitcnt vmcnt(5)
	v_mul_f32_e32 v2, v184, v251
	v_add_f32_e32 v16, v16, v108
	v_mul_f32_e32 v108, v183, v251
	s_waitcnt vmcnt(2)
	v_fma_f32 v2, v183, v254, -v2
	v_fmac_f32_e32 v108, v184, v254
	v_add_f32_e32 v1, v1, v2
	s_waitcnt lgkmcnt(0)
	v_mul_f32_e32 v2, v186, v253
	v_add_f32_e32 v16, v16, v108
	v_mul_f32_e32 v108, v185, v253
	v_fma_f32 v2, v185, v252, -v2
	v_fmac_f32_e32 v108, v186, v252
	v_add_f32_e32 v1, v1, v2
	s_waitcnt vmcnt(0)
	v_mul_f32_e32 v2, v188, v15
	v_add_f32_e32 v16, v16, v108
	v_mul_f32_e32 v108, v187, v15
	v_fma_f32 v2, v187, v255, -v2
	v_fmac_f32_e32 v108, v188, v255
	v_add_f32_e32 v1, v1, v2
	v_add_f32_e32 v16, v16, v108
	v_sub_f32_e32 v1, v205, v1
	v_sub_f32_e32 v2, v206, v16
	buffer_store_dword v1, off, s[0:3], 0 offset:96
	buffer_store_dword v2, off, s[0:3], 0 offset:100
	s_and_saveexec_b64 s[4:5], vcc
	s_cbranch_execz .LBB52_309
; %bb.308:
	buffer_load_dword v108, off, s[0:3], 0 offset:88
	buffer_load_dword v109, off, s[0:3], 0 offset:92
	v_mov_b32_e32 v1, 0
	buffer_store_dword v1, off, s[0:3], 0 offset:88
	buffer_store_dword v1, off, s[0:3], 0 offset:92
	s_waitcnt vmcnt(2)
	ds_write_b64 v107, v[108:109]
.LBB52_309:
	s_or_b64 exec, exec, s[4:5]
	s_waitcnt lgkmcnt(0)
	; wave barrier
	buffer_load_dword v117, off, s[0:3], 0 offset:100
	buffer_load_dword v116, off, s[0:3], 0 offset:108
	;; [unrolled: 1-line block ×50, first 2 shown]
	v_mov_b32_e32 v108, 0
	ds_read_b128 v[118:121], v108 offset:528
	ds_read_b128 v[122:125], v108 offset:544
	;; [unrolled: 1-line block ×6, first 2 shown]
	buffer_load_dword v225, off, s[0:3], 0 offset:288
	buffer_load_dword v226, off, s[0:3], 0 offset:292
	;; [unrolled: 1-line block ×6, first 2 shown]
	v_cmp_lt_u32_e32 vcc, 10, v0
	s_waitcnt vmcnt(55) lgkmcnt(5)
	v_mul_f32_e32 v142, v118, v117
	s_waitcnt vmcnt(54)
	v_mul_f32_e32 v143, v120, v116
	s_waitcnt vmcnt(53) lgkmcnt(4)
	v_mul_f32_e32 v144, v122, v115
	s_waitcnt vmcnt(52)
	v_mul_f32_e32 v145, v124, v114
	;; [unrolled: 4-line block ×5, first 2 shown]
	s_waitcnt vmcnt(45) lgkmcnt(0)
	v_mul_f32_e32 v152, v138, v4
	s_waitcnt vmcnt(44)
	v_fmac_f32_e32 v144, v123, v5
	s_waitcnt vmcnt(43)
	v_fmac_f32_e32 v143, v121, v6
	;; [unrolled: 2-line block ×3, first 2 shown]
	v_add_f32_e32 v142, 0, v142
	v_add_f32_e32 v142, v142, v143
	;; [unrolled: 1-line block ×3, first 2 shown]
	s_waitcnt vmcnt(38)
	v_fmac_f32_e32 v145, v125, v11
	v_fmac_f32_e32 v146, v127, v10
	v_add_f32_e32 v142, v142, v145
	v_fmac_f32_e32 v147, v129, v9
	v_add_f32_e32 v142, v142, v146
	;; [unrolled: 2-line block ×3, first 2 shown]
	s_waitcnt vmcnt(34)
	v_fmac_f32_e32 v149, v133, v15
	v_add_f32_e32 v142, v142, v148
	v_fmac_f32_e32 v150, v135, v14
	v_add_f32_e32 v142, v142, v149
	;; [unrolled: 2-line block ×4, first 2 shown]
	v_add_f32_e32 v146, v142, v152
	ds_read_b128 v[142:145], v108 offset:624
	buffer_load_dword v231, off, s[0:3], 0 offset:312
	buffer_load_dword v232, off, s[0:3], 0 offset:316
	s_waitcnt vmcnt(35)
	v_mul_f32_e32 v147, v140, v16
	s_waitcnt vmcnt(29)
	v_fmac_f32_e32 v147, v141, v205
	v_add_f32_e32 v150, v146, v147
	ds_read_b128 v[146:149], v108 offset:640
	buffer_load_dword v233, off, s[0:3], 0 offset:320
	buffer_load_dword v234, off, s[0:3], 0 offset:324
	;; [unrolled: 1-line block ×14, first 2 shown]
	s_waitcnt vmcnt(42) lgkmcnt(1)
	v_mul_f32_e32 v151, v142, v206
	v_fmac_f32_e32 v151, v143, v204
	buffer_load_dword v247, off, s[0:3], 0 offset:376
	buffer_load_dword v248, off, s[0:3], 0 offset:380
	v_add_f32_e32 v150, v150, v151
	v_mul_f32_e32 v151, v144, v201
	v_fmac_f32_e32 v151, v145, v200
	v_add_f32_e32 v150, v150, v151
	s_waitcnt lgkmcnt(0)
	v_mul_f32_e32 v151, v146, v203
	v_fmac_f32_e32 v151, v147, v202
	v_add_f32_e32 v154, v150, v151
	ds_read_b128 v[150:153], v108 offset:656
	buffer_load_dword v249, off, s[0:3], 0 offset:384
	buffer_load_dword v250, off, s[0:3], 0 offset:388
	;; [unrolled: 1-line block ×6, first 2 shown]
	s_waitcnt vmcnt(46)
	v_mul_f32_e32 v155, v148, v208
	v_fmac_f32_e32 v155, v149, v207
	v_add_f32_e32 v158, v154, v155
	ds_read_b128 v[154:157], v108 offset:672
	buffer_load_dword v255, off, s[0:3], 0 offset:412
	buffer_load_dword v17, off, s[0:3], 0 offset:416
	;; [unrolled: 1-line block ×4, first 2 shown]
	s_waitcnt vmcnt(48) lgkmcnt(1)
	v_mul_f32_e32 v159, v150, v210
	v_fmac_f32_e32 v159, v151, v209
	v_add_f32_e32 v20, v158, v159
	s_waitcnt vmcnt(46)
	v_mul_f32_e32 v158, v152, v212
	v_fmac_f32_e32 v158, v153, v211
	v_add_f32_e32 v20, v20, v158
	s_waitcnt vmcnt(44) lgkmcnt(0)
	v_mul_f32_e32 v158, v154, v214
	v_fmac_f32_e32 v158, v155, v213
	v_add_f32_e32 v20, v20, v158
	ds_read_b128 v[158:161], v108 offset:688
	s_waitcnt vmcnt(42)
	v_mul_f32_e32 v162, v156, v216
	v_fmac_f32_e32 v162, v157, v215
	v_add_f32_e32 v20, v20, v162
	ds_read_b128 v[162:165], v108 offset:704
	s_waitcnt vmcnt(40) lgkmcnt(1)
	v_mul_f32_e32 v166, v158, v218
	v_fmac_f32_e32 v166, v159, v217
	v_add_f32_e32 v20, v20, v166
	s_waitcnt vmcnt(38)
	v_mul_f32_e32 v166, v160, v220
	v_fmac_f32_e32 v166, v161, v219
	v_add_f32_e32 v20, v20, v166
	s_waitcnt vmcnt(36) lgkmcnt(0)
	v_mul_f32_e32 v166, v162, v222
	v_fmac_f32_e32 v166, v163, v221
	v_add_f32_e32 v20, v20, v166
	ds_read_b128 v[166:169], v108 offset:720
	s_waitcnt vmcnt(34)
	v_mul_f32_e32 v170, v164, v224
	v_fmac_f32_e32 v170, v165, v223
	v_add_f32_e32 v20, v20, v170
	ds_read_b128 v[170:173], v108 offset:736
	s_waitcnt vmcnt(32) lgkmcnt(1)
	v_mul_f32_e32 v174, v166, v226
	v_fmac_f32_e32 v174, v167, v225
	v_add_f32_e32 v20, v20, v174
	s_waitcnt vmcnt(31)
	v_mul_f32_e32 v174, v168, v227
	s_waitcnt vmcnt(28)
	v_fmac_f32_e32 v174, v169, v230
	v_add_f32_e32 v20, v20, v174
	s_waitcnt lgkmcnt(0)
	v_mul_f32_e32 v174, v170, v229
	v_fmac_f32_e32 v174, v171, v228
	v_add_f32_e32 v20, v20, v174
	ds_read_b128 v[174:177], v108 offset:752
	v_mul_f32_e32 v1, v133, v1
	v_fma_f32 v1, v132, v15, -v1
	v_mul_f32_e32 v2, v135, v2
	v_fma_f32 v2, v134, v14, -v2
	s_waitcnt vmcnt(26)
	v_mul_f32_e32 v178, v172, v232
	v_fmac_f32_e32 v178, v173, v231
	v_add_f32_e32 v20, v20, v178
	ds_read_b128 v[178:181], v108 offset:768
	s_waitcnt vmcnt(24) lgkmcnt(1)
	v_mul_f32_e32 v182, v174, v234
	v_fmac_f32_e32 v182, v175, v233
	v_add_f32_e32 v20, v20, v182
	s_waitcnt vmcnt(23)
	v_mul_f32_e32 v182, v176, v235
	s_waitcnt vmcnt(20)
	v_fmac_f32_e32 v182, v177, v238
	v_add_f32_e32 v20, v20, v182
	s_waitcnt lgkmcnt(0)
	v_mul_f32_e32 v182, v178, v237
	v_fmac_f32_e32 v182, v179, v236
	v_add_f32_e32 v20, v20, v182
	ds_read_b128 v[182:185], v108 offset:784
	s_waitcnt vmcnt(18)
	v_mul_f32_e32 v186, v180, v240
	v_fmac_f32_e32 v186, v181, v239
	v_add_f32_e32 v20, v20, v186
	ds_read_b128 v[186:189], v108 offset:800
	s_waitcnt vmcnt(16) lgkmcnt(1)
	v_mul_f32_e32 v190, v182, v242
	v_fmac_f32_e32 v190, v183, v241
	v_add_f32_e32 v20, v20, v190
	s_waitcnt vmcnt(15)
	v_mul_f32_e32 v190, v184, v243
	s_waitcnt vmcnt(12)
	v_fmac_f32_e32 v190, v185, v246
	v_add_f32_e32 v20, v20, v190
	s_waitcnt lgkmcnt(0)
	v_mul_f32_e32 v190, v186, v245
	v_fmac_f32_e32 v190, v187, v244
	v_add_f32_e32 v20, v20, v190
	ds_read_b128 v[190:193], v108 offset:816
	s_waitcnt vmcnt(10)
	v_mul_f32_e32 v194, v188, v248
	v_fmac_f32_e32 v194, v189, v247
	v_add_f32_e32 v20, v20, v194
	ds_read_b128 v[194:197], v108 offset:832
	s_waitcnt vmcnt(8) lgkmcnt(1)
	v_mul_f32_e32 v198, v190, v250
	v_fmac_f32_e32 v198, v191, v249
	v_add_f32_e32 v20, v20, v198
	s_waitcnt vmcnt(7)
	v_mul_f32_e32 v198, v192, v251
	s_waitcnt vmcnt(4)
	v_fmac_f32_e32 v198, v193, v254
	v_add_f32_e32 v20, v20, v198
	ds_read_b64 v[198:199], v108 offset:848
	s_waitcnt lgkmcnt(1)
	v_mul_f32_e32 v21, v194, v253
	v_fmac_f32_e32 v21, v195, v252
	v_add_f32_e32 v20, v20, v21
	s_waitcnt vmcnt(3)
	v_mul_f32_e32 v21, v196, v255
	s_waitcnt vmcnt(0)
	v_fmac_f32_e32 v21, v197, v19
	v_add_f32_e32 v20, v20, v21
	s_waitcnt lgkmcnt(0)
	v_mul_f32_e32 v21, v198, v18
	v_fmac_f32_e32 v21, v199, v17
	v_add_f32_e32 v20, v20, v21
	v_mul_f32_e32 v21, v119, v117
	v_fma_f32 v7, v118, v7, -v21
	v_mul_f32_e32 v21, v121, v116
	v_add_f32_e32 v7, 0, v7
	v_fma_f32 v6, v120, v6, -v21
	v_add_f32_e32 v6, v7, v6
	v_mul_f32_e32 v7, v123, v115
	v_fma_f32 v5, v122, v5, -v7
	v_add_f32_e32 v5, v6, v5
	v_mul_f32_e32 v6, v125, v114
	;; [unrolled: 3-line block ×5, first 2 shown]
	v_fma_f32 v6, v130, v8, -v6
	v_add_f32_e32 v5, v5, v6
	v_add_f32_e32 v1, v5, v1
	;; [unrolled: 1-line block ×3, first 2 shown]
	v_mul_f32_e32 v2, v137, v3
	v_fma_f32 v2, v136, v13, -v2
	v_add_f32_e32 v1, v1, v2
	v_mul_f32_e32 v2, v139, v4
	v_fma_f32 v2, v138, v12, -v2
	v_add_f32_e32 v1, v1, v2
	;; [unrolled: 3-line block ×32, first 2 shown]
	v_sub_f32_e32 v1, v109, v1
	v_sub_f32_e32 v2, v110, v20
	buffer_store_dword v1, off, s[0:3], 0 offset:88
	buffer_store_dword v2, off, s[0:3], 0 offset:92
	s_and_saveexec_b64 s[4:5], vcc
	s_cbranch_execz .LBB52_311
; %bb.310:
	buffer_load_dword v109, off, s[0:3], 0 offset:80
	buffer_load_dword v110, off, s[0:3], 0 offset:84
	s_waitcnt vmcnt(0)
	ds_write_b64 v107, v[109:110]
	buffer_store_dword v108, off, s[0:3], 0 offset:80
	buffer_store_dword v108, off, s[0:3], 0 offset:84
.LBB52_311:
	s_or_b64 exec, exec, s[4:5]
	s_waitcnt lgkmcnt(0)
	; wave barrier
	buffer_load_dword v1, off, s[0:3], 0 offset:92
	buffer_load_dword v2, off, s[0:3], 0 offset:100
	;; [unrolled: 1-line block ×32, first 2 shown]
	ds_read2_b64 v[109:112], v108 offset0:65 offset1:66
	ds_read2_b64 v[113:116], v108 offset0:67 offset1:68
	;; [unrolled: 1-line block ×6, first 2 shown]
	buffer_load_dword v203, off, s[0:3], 0 offset:208
	buffer_load_dword v204, off, s[0:3], 0 offset:212
	;; [unrolled: 1-line block ×18, first 2 shown]
	v_cmp_lt_u32_e32 vcc, 9, v0
	s_waitcnt vmcnt(49) lgkmcnt(5)
	v_mul_f32_e32 v133, v109, v1
	s_waitcnt vmcnt(48)
	v_mul_f32_e32 v134, v111, v2
	s_waitcnt vmcnt(47) lgkmcnt(4)
	v_mul_f32_e32 v135, v113, v3
	s_waitcnt vmcnt(46)
	v_mul_f32_e32 v136, v115, v4
	;; [unrolled: 4-line block ×6, first 2 shown]
	s_waitcnt vmcnt(37)
	v_fmac_f32_e32 v135, v114, v13
	s_waitcnt vmcnt(36)
	v_fmac_f32_e32 v134, v112, v14
	;; [unrolled: 2-line block ×3, first 2 shown]
	v_add_f32_e32 v133, 0, v133
	v_add_f32_e32 v133, v133, v134
	;; [unrolled: 1-line block ×3, first 2 shown]
	s_waitcnt vmcnt(31)
	v_fmac_f32_e32 v136, v116, v19
	v_fmac_f32_e32 v137, v118, v18
	v_add_f32_e32 v133, v133, v136
	v_fmac_f32_e32 v138, v120, v17
	v_add_f32_e32 v133, v133, v137
	;; [unrolled: 2-line block ×3, first 2 shown]
	s_waitcnt vmcnt(27)
	v_fmac_f32_e32 v140, v124, v193
	v_add_f32_e32 v133, v133, v139
	v_fmac_f32_e32 v141, v126, v22
	v_add_f32_e32 v133, v133, v140
	;; [unrolled: 2-line block ×3, first 2 shown]
	v_add_f32_e32 v137, v133, v142
	ds_read2_b64 v[133:136], v108 offset0:77 offset1:78
	buffer_load_dword v221, off, s[0:3], 0 offset:280
	buffer_load_dword v222, off, s[0:3], 0 offset:284
	;; [unrolled: 1-line block ×6, first 2 shown]
	v_fmac_f32_e32 v143, v130, v20
	s_waitcnt vmcnt(27)
	v_fmac_f32_e32 v144, v132, v199
	v_add_f32_e32 v137, v137, v143
	v_add_f32_e32 v141, v137, v144
	ds_read2_b64 v[137:140], v108 offset0:79 offset1:80
	buffer_load_dword v227, off, s[0:3], 0 offset:304
	buffer_load_dword v228, off, s[0:3], 0 offset:308
	;; [unrolled: 1-line block ×10, first 2 shown]
	s_waitcnt vmcnt(36) lgkmcnt(1)
	v_mul_f32_e32 v142, v133, v200
	buffer_load_dword v237, off, s[0:3], 0 offset:344
	buffer_load_dword v238, off, s[0:3], 0 offset:348
	;; [unrolled: 1-line block ×6, first 2 shown]
	v_fmac_f32_e32 v142, v134, v198
	v_add_f32_e32 v141, v141, v142
	v_mul_f32_e32 v142, v135, v195
	v_fmac_f32_e32 v142, v136, v194
	v_add_f32_e32 v141, v141, v142
	s_waitcnt lgkmcnt(0)
	v_mul_f32_e32 v142, v137, v197
	v_fmac_f32_e32 v142, v138, v196
	v_add_f32_e32 v145, v141, v142
	ds_read2_b64 v[141:144], v108 offset0:81 offset1:82
	buffer_load_dword v243, off, s[0:3], 0 offset:368
	buffer_load_dword v244, off, s[0:3], 0 offset:372
	s_waitcnt vmcnt(40)
	v_mul_f32_e32 v146, v139, v204
	v_fmac_f32_e32 v146, v140, v203
	v_add_f32_e32 v149, v145, v146
	ds_read2_b64 v[145:148], v108 offset0:83 offset1:84
	buffer_load_dword v245, off, s[0:3], 0 offset:376
	buffer_load_dword v246, off, s[0:3], 0 offset:380
	;; [unrolled: 1-line block ×12, first 2 shown]
	v_mul_f32_e32 v1, v110, v1
	v_fma_f32 v1, v109, v15, -v1
	v_mul_f32_e32 v2, v112, v2
	v_add_f32_e32 v1, 0, v1
	v_fma_f32 v2, v111, v14, -v2
	v_add_f32_e32 v1, v1, v2
	v_mul_f32_e32 v2, v114, v3
	v_fma_f32 v2, v113, v13, -v2
	v_add_f32_e32 v1, v1, v2
	v_mul_f32_e32 v2, v116, v4
	;; [unrolled: 3-line block ×6, first 2 shown]
	v_fma_f32 v2, v123, v193, -v2
	s_waitcnt vmcnt(50) lgkmcnt(1)
	v_mul_f32_e32 v150, v141, v206
	v_add_f32_e32 v1, v1, v2
	v_mul_f32_e32 v2, v126, v9
	v_fmac_f32_e32 v150, v142, v205
	v_fma_f32 v2, v125, v22, -v2
	v_add_f32_e32 v149, v149, v150
	s_waitcnt vmcnt(48)
	v_mul_f32_e32 v150, v143, v208
	v_add_f32_e32 v1, v1, v2
	v_mul_f32_e32 v2, v128, v10
	v_fmac_f32_e32 v150, v144, v207
	v_fma_f32 v2, v127, v21, -v2
	v_add_f32_e32 v24, v149, v150
	s_waitcnt vmcnt(46) lgkmcnt(0)
	v_mul_f32_e32 v149, v145, v210
	v_add_f32_e32 v1, v1, v2
	v_mul_f32_e32 v2, v130, v11
	v_fmac_f32_e32 v149, v146, v209
	v_fma_f32 v2, v129, v20, -v2
	v_add_f32_e32 v24, v24, v149
	ds_read2_b64 v[149:152], v108 offset0:85 offset1:86
	v_add_f32_e32 v1, v1, v2
	v_mul_f32_e32 v2, v132, v12
	v_fma_f32 v2, v131, v199, -v2
	s_waitcnt vmcnt(44)
	v_mul_f32_e32 v153, v147, v212
	v_add_f32_e32 v1, v1, v2
	v_mul_f32_e32 v2, v134, v200
	v_fmac_f32_e32 v153, v148, v211
	v_fma_f32 v2, v133, v198, -v2
	v_add_f32_e32 v24, v24, v153
	ds_read2_b64 v[153:156], v108 offset0:87 offset1:88
	v_add_f32_e32 v1, v1, v2
	v_mul_f32_e32 v2, v136, v195
	s_waitcnt vmcnt(42) lgkmcnt(1)
	v_mul_f32_e32 v157, v149, v214
	v_fma_f32 v2, v135, v194, -v2
	v_fmac_f32_e32 v157, v150, v213
	v_add_f32_e32 v1, v1, v2
	v_mul_f32_e32 v2, v138, v197
	v_add_f32_e32 v24, v24, v157
	s_waitcnt vmcnt(40)
	v_mul_f32_e32 v157, v151, v216
	v_fma_f32 v2, v137, v196, -v2
	v_fmac_f32_e32 v157, v152, v215
	v_add_f32_e32 v1, v1, v2
	v_mul_f32_e32 v2, v140, v204
	v_add_f32_e32 v24, v24, v157
	s_waitcnt vmcnt(38) lgkmcnt(0)
	v_mul_f32_e32 v157, v153, v218
	v_fma_f32 v2, v139, v203, -v2
	v_fmac_f32_e32 v157, v154, v217
	v_add_f32_e32 v1, v1, v2
	v_mul_f32_e32 v2, v142, v206
	v_add_f32_e32 v24, v24, v157
	ds_read2_b64 v[157:160], v108 offset0:89 offset1:90
	v_fma_f32 v2, v141, v205, -v2
	v_add_f32_e32 v1, v1, v2
	v_mul_f32_e32 v2, v144, v208
	s_waitcnt vmcnt(36)
	v_mul_f32_e32 v161, v155, v220
	v_fma_f32 v2, v143, v207, -v2
	v_fmac_f32_e32 v161, v156, v219
	v_add_f32_e32 v1, v1, v2
	v_mul_f32_e32 v2, v146, v210
	v_add_f32_e32 v24, v24, v161
	ds_read2_b64 v[161:164], v108 offset0:91 offset1:92
	v_fma_f32 v2, v145, v209, -v2
	s_waitcnt vmcnt(34) lgkmcnt(1)
	v_mul_f32_e32 v165, v157, v222
	v_add_f32_e32 v1, v1, v2
	v_mul_f32_e32 v2, v148, v212
	v_fmac_f32_e32 v165, v158, v221
	v_fma_f32 v2, v147, v211, -v2
	v_add_f32_e32 v24, v24, v165
	s_waitcnt vmcnt(33)
	v_mul_f32_e32 v165, v159, v223
	v_add_f32_e32 v1, v1, v2
	v_mul_f32_e32 v2, v150, v214
	s_waitcnt vmcnt(30)
	v_fmac_f32_e32 v165, v160, v226
	v_fma_f32 v2, v149, v213, -v2
	v_add_f32_e32 v24, v24, v165
	s_waitcnt lgkmcnt(0)
	v_mul_f32_e32 v165, v161, v225
	v_add_f32_e32 v1, v1, v2
	v_mul_f32_e32 v2, v152, v216
	v_fmac_f32_e32 v165, v162, v224
	v_fma_f32 v2, v151, v215, -v2
	v_add_f32_e32 v24, v24, v165
	ds_read2_b64 v[165:168], v108 offset0:93 offset1:94
	v_add_f32_e32 v1, v1, v2
	v_mul_f32_e32 v2, v154, v218
	v_fma_f32 v2, v153, v217, -v2
	s_waitcnt vmcnt(28)
	v_mul_f32_e32 v169, v163, v228
	v_add_f32_e32 v1, v1, v2
	v_mul_f32_e32 v2, v156, v220
	v_fmac_f32_e32 v169, v164, v227
	v_fma_f32 v2, v155, v219, -v2
	v_add_f32_e32 v24, v24, v169
	ds_read2_b64 v[169:172], v108 offset0:95 offset1:96
	v_add_f32_e32 v1, v1, v2
	v_mul_f32_e32 v2, v158, v222
	s_waitcnt vmcnt(26) lgkmcnt(1)
	v_mul_f32_e32 v173, v165, v230
	v_fma_f32 v2, v157, v221, -v2
	v_fmac_f32_e32 v173, v166, v229
	v_add_f32_e32 v1, v1, v2
	v_mul_f32_e32 v2, v160, v223
	v_add_f32_e32 v24, v24, v173
	s_waitcnt vmcnt(25)
	v_mul_f32_e32 v173, v167, v231
	v_fma_f32 v2, v159, v226, -v2
	s_waitcnt vmcnt(22)
	v_fmac_f32_e32 v173, v168, v234
	v_add_f32_e32 v1, v1, v2
	v_mul_f32_e32 v2, v162, v225
	v_add_f32_e32 v24, v24, v173
	s_waitcnt lgkmcnt(0)
	v_mul_f32_e32 v173, v169, v233
	v_fma_f32 v2, v161, v224, -v2
	v_fmac_f32_e32 v173, v170, v232
	v_add_f32_e32 v1, v1, v2
	v_mul_f32_e32 v2, v164, v228
	v_add_f32_e32 v24, v24, v173
	ds_read2_b64 v[173:176], v108 offset0:97 offset1:98
	v_fma_f32 v2, v163, v227, -v2
	v_add_f32_e32 v1, v1, v2
	v_mul_f32_e32 v2, v166, v230
	s_waitcnt vmcnt(20)
	v_mul_f32_e32 v177, v171, v236
	v_fma_f32 v2, v165, v229, -v2
	v_fmac_f32_e32 v177, v172, v235
	v_add_f32_e32 v1, v1, v2
	v_mul_f32_e32 v2, v168, v231
	v_add_f32_e32 v24, v24, v177
	ds_read2_b64 v[177:180], v108 offset0:99 offset1:100
	v_fma_f32 v2, v167, v234, -v2
	s_waitcnt vmcnt(18) lgkmcnt(1)
	v_mul_f32_e32 v181, v173, v238
	v_add_f32_e32 v1, v1, v2
	v_mul_f32_e32 v2, v170, v233
	v_fmac_f32_e32 v181, v174, v237
	v_fma_f32 v2, v169, v232, -v2
	v_add_f32_e32 v24, v24, v181
	s_waitcnt vmcnt(17)
	v_mul_f32_e32 v181, v175, v239
	v_add_f32_e32 v1, v1, v2
	v_mul_f32_e32 v2, v172, v236
	s_waitcnt vmcnt(14)
	v_fmac_f32_e32 v181, v176, v242
	v_fma_f32 v2, v171, v235, -v2
	v_add_f32_e32 v24, v24, v181
	s_waitcnt lgkmcnt(0)
	v_mul_f32_e32 v181, v177, v241
	v_add_f32_e32 v1, v1, v2
	v_mul_f32_e32 v2, v174, v238
	v_fmac_f32_e32 v181, v178, v240
	v_fma_f32 v2, v173, v237, -v2
	v_add_f32_e32 v24, v24, v181
	ds_read2_b64 v[181:184], v108 offset0:101 offset1:102
	v_add_f32_e32 v1, v1, v2
	v_mul_f32_e32 v2, v176, v239
	v_fma_f32 v2, v175, v242, -v2
	v_add_f32_e32 v1, v1, v2
	v_mul_f32_e32 v2, v178, v241
	s_waitcnt vmcnt(12)
	v_mul_f32_e32 v185, v179, v244
	v_fma_f32 v2, v177, v240, -v2
	v_fmac_f32_e32 v185, v180, v243
	v_add_f32_e32 v1, v1, v2
	v_mul_f32_e32 v2, v180, v244
	v_add_f32_e32 v24, v24, v185
	ds_read2_b64 v[185:188], v108 offset0:103 offset1:104
	s_waitcnt vmcnt(10) lgkmcnt(1)
	v_mul_f32_e32 v189, v181, v246
	v_fma_f32 v2, v179, v243, -v2
	v_fmac_f32_e32 v189, v182, v245
	v_add_f32_e32 v1, v1, v2
	v_mul_f32_e32 v2, v182, v246
	v_add_f32_e32 v24, v24, v189
	s_waitcnt vmcnt(9)
	v_mul_f32_e32 v189, v183, v247
	v_fma_f32 v2, v181, v245, -v2
	s_waitcnt vmcnt(6)
	v_fmac_f32_e32 v189, v184, v250
	v_add_f32_e32 v1, v1, v2
	v_mul_f32_e32 v2, v184, v247
	v_add_f32_e32 v24, v24, v189
	ds_read2_b64 v[189:192], v108 offset0:105 offset1:106
	v_fma_f32 v2, v183, v250, -v2
	v_add_f32_e32 v1, v1, v2
	s_waitcnt lgkmcnt(1)
	v_mul_f32_e32 v2, v186, v249
	v_mul_f32_e32 v25, v185, v249
	v_fma_f32 v2, v185, v248, -v2
	v_fmac_f32_e32 v25, v186, v248
	v_add_f32_e32 v1, v1, v2
	s_waitcnt vmcnt(4)
	v_mul_f32_e32 v2, v188, v252
	v_add_f32_e32 v24, v24, v25
	v_mul_f32_e32 v25, v187, v252
	v_fma_f32 v2, v187, v251, -v2
	v_fmac_f32_e32 v25, v188, v251
	v_add_f32_e32 v1, v1, v2
	s_waitcnt vmcnt(3) lgkmcnt(0)
	v_mul_f32_e32 v2, v190, v253
	v_add_f32_e32 v24, v24, v25
	v_mul_f32_e32 v25, v189, v253
	s_waitcnt vmcnt(0)
	v_fma_f32 v2, v189, v23, -v2
	v_fmac_f32_e32 v25, v190, v23
	v_add_f32_e32 v1, v1, v2
	v_mul_f32_e32 v2, v192, v255
	v_add_f32_e32 v24, v24, v25
	v_mul_f32_e32 v25, v191, v255
	v_fma_f32 v2, v191, v254, -v2
	v_fmac_f32_e32 v25, v192, v254
	v_add_f32_e32 v1, v1, v2
	v_add_f32_e32 v24, v24, v25
	v_sub_f32_e32 v1, v201, v1
	v_sub_f32_e32 v2, v202, v24
	buffer_store_dword v1, off, s[0:3], 0 offset:80
	buffer_store_dword v2, off, s[0:3], 0 offset:84
	s_and_saveexec_b64 s[4:5], vcc
	s_cbranch_execz .LBB52_313
; %bb.312:
	buffer_load_dword v108, off, s[0:3], 0 offset:72
	buffer_load_dword v109, off, s[0:3], 0 offset:76
	v_mov_b32_e32 v1, 0
	buffer_store_dword v1, off, s[0:3], 0 offset:72
	buffer_store_dword v1, off, s[0:3], 0 offset:76
	s_waitcnt vmcnt(2)
	ds_write_b64 v107, v[108:109]
.LBB52_313:
	s_or_b64 exec, exec, s[4:5]
	s_waitcnt lgkmcnt(0)
	; wave barrier
	buffer_load_dword v117, off, s[0:3], 0 offset:84
	buffer_load_dword v116, off, s[0:3], 0 offset:92
	;; [unrolled: 1-line block ×48, first 2 shown]
	v_mov_b32_e32 v108, 0
	ds_read_b128 v[123:126], v108 offset:512
	ds_read_b128 v[127:130], v108 offset:528
	;; [unrolled: 1-line block ×6, first 2 shown]
	buffer_load_dword v217, off, s[0:3], 0 offset:264
	buffer_load_dword v218, off, s[0:3], 0 offset:268
	v_cmp_lt_u32_e32 vcc, 8, v0
	s_waitcnt vmcnt(49) lgkmcnt(5)
	v_mul_f32_e32 v147, v123, v117
	s_waitcnt vmcnt(48)
	v_mul_f32_e32 v148, v125, v116
	s_waitcnt vmcnt(47) lgkmcnt(4)
	v_mul_f32_e32 v149, v127, v115
	s_waitcnt vmcnt(46)
	v_mul_f32_e32 v150, v129, v114
	;; [unrolled: 4-line block ×6, first 2 shown]
	s_waitcnt vmcnt(37)
	v_fmac_f32_e32 v149, v128, v1
	s_waitcnt vmcnt(36)
	v_fmac_f32_e32 v148, v126, v2
	;; [unrolled: 2-line block ×3, first 2 shown]
	v_add_f32_e32 v147, 0, v147
	v_add_f32_e32 v147, v147, v148
	;; [unrolled: 1-line block ×3, first 2 shown]
	s_waitcnt vmcnt(31)
	v_fmac_f32_e32 v150, v130, v7
	v_fmac_f32_e32 v151, v132, v6
	v_add_f32_e32 v147, v147, v150
	v_fmac_f32_e32 v152, v134, v5
	v_add_f32_e32 v147, v147, v151
	;; [unrolled: 2-line block ×3, first 2 shown]
	s_waitcnt vmcnt(27)
	v_fmac_f32_e32 v154, v138, v11
	v_add_f32_e32 v147, v147, v153
	v_fmac_f32_e32 v155, v140, v10
	v_add_f32_e32 v147, v147, v154
	;; [unrolled: 2-line block ×4, first 2 shown]
	v_add_f32_e32 v151, v147, v157
	ds_read_b128 v[147:150], v108 offset:608
	buffer_load_dword v219, off, s[0:3], 0 offset:272
	buffer_load_dword v220, off, s[0:3], 0 offset:276
	;; [unrolled: 1-line block ×6, first 2 shown]
	s_waitcnt vmcnt(28)
	v_fmac_f32_e32 v158, v146, v16
	v_add_f32_e32 v155, v151, v158
	ds_read_b128 v[151:154], v108 offset:624
	buffer_load_dword v225, off, s[0:3], 0 offset:296
	buffer_load_dword v226, off, s[0:3], 0 offset:300
	;; [unrolled: 1-line block ×8, first 2 shown]
	s_waitcnt vmcnt(35) lgkmcnt(1)
	v_mul_f32_e32 v156, v147, v17
	buffer_load_dword v233, off, s[0:3], 0 offset:328
	buffer_load_dword v234, off, s[0:3], 0 offset:332
	v_fmac_f32_e32 v156, v148, v15
	v_add_f32_e32 v155, v155, v156
	s_waitcnt vmcnt(36)
	v_mul_f32_e32 v156, v149, v18
	v_fmac_f32_e32 v156, v150, v14
	v_add_f32_e32 v155, v155, v156
	s_waitcnt lgkmcnt(0)
	v_mul_f32_e32 v156, v151, v13
	v_fmac_f32_e32 v156, v152, v12
	v_add_f32_e32 v159, v155, v156
	ds_read_b128 v[155:158], v108 offset:640
	buffer_load_dword v235, off, s[0:3], 0 offset:336
	buffer_load_dword v236, off, s[0:3], 0 offset:340
	;; [unrolled: 1-line block ×6, first 2 shown]
	s_waitcnt vmcnt(38)
	v_mul_f32_e32 v160, v153, v20
	v_fmac_f32_e32 v160, v154, v19
	v_add_f32_e32 v163, v159, v160
	ds_read_b128 v[159:162], v108 offset:656
	buffer_load_dword v241, off, s[0:3], 0 offset:360
	buffer_load_dword v242, off, s[0:3], 0 offset:364
	;; [unrolled: 1-line block ×16, first 2 shown]
	s_waitcnt vmcnt(52) lgkmcnt(1)
	v_mul_f32_e32 v164, v155, v22
	v_fmac_f32_e32 v164, v156, v21
	v_add_f32_e32 v163, v163, v164
	s_waitcnt vmcnt(50)
	v_mul_f32_e32 v164, v157, v24
	v_fmac_f32_e32 v164, v158, v23
	v_add_f32_e32 v163, v163, v164
	s_waitcnt vmcnt(48) lgkmcnt(0)
	v_mul_f32_e32 v164, v159, v26
	v_fmac_f32_e32 v164, v160, v25
	v_add_f32_e32 v167, v163, v164
	ds_read_b128 v[163:166], v108 offset:672
	s_waitcnt vmcnt(46)
	v_mul_f32_e32 v28, v161, v210
	v_fmac_f32_e32 v28, v162, v209
	v_add_f32_e32 v28, v167, v28
	ds_read_b128 v[167:170], v108 offset:688
	s_waitcnt vmcnt(44) lgkmcnt(1)
	v_mul_f32_e32 v171, v163, v212
	v_fmac_f32_e32 v171, v164, v211
	v_add_f32_e32 v28, v28, v171
	s_waitcnt vmcnt(42)
	v_mul_f32_e32 v171, v165, v214
	v_fmac_f32_e32 v171, v166, v213
	v_add_f32_e32 v28, v28, v171
	s_waitcnt vmcnt(40) lgkmcnt(0)
	v_mul_f32_e32 v171, v167, v216
	v_fmac_f32_e32 v171, v168, v215
	v_add_f32_e32 v28, v28, v171
	ds_read_b128 v[171:174], v108 offset:704
	s_waitcnt vmcnt(38)
	v_mul_f32_e32 v175, v169, v218
	v_fmac_f32_e32 v175, v170, v217
	v_add_f32_e32 v28, v28, v175
	ds_read_b128 v[175:178], v108 offset:720
	s_waitcnt vmcnt(36) lgkmcnt(1)
	v_mul_f32_e32 v179, v171, v220
	v_fmac_f32_e32 v179, v172, v219
	v_add_f32_e32 v28, v28, v179
	s_waitcnt vmcnt(35)
	v_mul_f32_e32 v179, v173, v221
	s_waitcnt vmcnt(32)
	v_fmac_f32_e32 v179, v174, v224
	v_add_f32_e32 v28, v28, v179
	s_waitcnt lgkmcnt(0)
	v_mul_f32_e32 v179, v175, v223
	v_fmac_f32_e32 v179, v176, v222
	v_add_f32_e32 v28, v28, v179
	ds_read_b128 v[179:182], v108 offset:736
	s_waitcnt vmcnt(30)
	v_mul_f32_e32 v183, v177, v226
	v_fmac_f32_e32 v183, v178, v225
	v_add_f32_e32 v28, v28, v183
	ds_read_b128 v[183:186], v108 offset:752
	s_waitcnt vmcnt(28) lgkmcnt(1)
	v_mul_f32_e32 v187, v179, v228
	v_fmac_f32_e32 v187, v180, v227
	v_add_f32_e32 v28, v28, v187
	s_waitcnt vmcnt(27)
	v_mul_f32_e32 v187, v181, v229
	s_waitcnt vmcnt(24)
	v_fmac_f32_e32 v187, v182, v232
	v_add_f32_e32 v28, v28, v187
	s_waitcnt lgkmcnt(0)
	;; [unrolled: 19-line block ×4, first 2 shown]
	v_mul_f32_e32 v203, v199, v247
	v_fmac_f32_e32 v203, v200, v246
	v_add_f32_e32 v28, v28, v203
	ds_read_b128 v[203:206], v108 offset:832
	s_waitcnt vmcnt(6)
	v_mul_f32_e32 v207, v201, v250
	v_fmac_f32_e32 v207, v202, v249
	v_add_f32_e32 v28, v28, v207
	ds_read_b64 v[207:208], v108 offset:848
	s_waitcnt vmcnt(4) lgkmcnt(1)
	v_mul_f32_e32 v29, v203, v252
	v_fmac_f32_e32 v29, v204, v251
	v_add_f32_e32 v28, v28, v29
	s_waitcnt vmcnt(3)
	v_mul_f32_e32 v29, v205, v253
	s_waitcnt vmcnt(0)
	v_fmac_f32_e32 v29, v206, v27
	v_add_f32_e32 v28, v28, v29
	s_waitcnt lgkmcnt(0)
	v_mul_f32_e32 v29, v207, v255
	v_fmac_f32_e32 v29, v208, v254
	v_add_f32_e32 v28, v28, v29
	v_mul_f32_e32 v29, v124, v117
	v_fma_f32 v3, v123, v3, -v29
	v_mul_f32_e32 v29, v126, v116
	v_add_f32_e32 v3, 0, v3
	v_fma_f32 v2, v125, v2, -v29
	v_add_f32_e32 v2, v3, v2
	v_mul_f32_e32 v3, v128, v115
	v_fma_f32 v1, v127, v1, -v3
	v_add_f32_e32 v1, v2, v1
	v_mul_f32_e32 v2, v130, v114
	;; [unrolled: 3-line block ×41, first 2 shown]
	v_fma_f32 v2, v207, v254, -v2
	v_add_f32_e32 v1, v1, v2
	v_sub_f32_e32 v1, v109, v1
	v_sub_f32_e32 v2, v110, v28
	buffer_store_dword v1, off, s[0:3], 0 offset:72
	buffer_store_dword v2, off, s[0:3], 0 offset:76
	s_and_saveexec_b64 s[4:5], vcc
	s_cbranch_execz .LBB52_315
; %bb.314:
	buffer_load_dword v109, off, s[0:3], 0 offset:64
	buffer_load_dword v110, off, s[0:3], 0 offset:68
	s_waitcnt vmcnt(0)
	ds_write_b64 v107, v[109:110]
	buffer_store_dword v108, off, s[0:3], 0 offset:64
	buffer_store_dword v108, off, s[0:3], 0 offset:68
.LBB52_315:
	s_or_b64 exec, exec, s[4:5]
	s_waitcnt lgkmcnt(0)
	; wave barrier
	buffer_load_dword v117, off, s[0:3], 0 offset:76
	buffer_load_dword v116, off, s[0:3], 0 offset:84
	;; [unrolled: 1-line block ×32, first 2 shown]
	ds_read2_b64 v[123:126], v108 offset0:63 offset1:64
	ds_read2_b64 v[127:130], v108 offset0:65 offset1:66
	;; [unrolled: 1-line block ×4, first 2 shown]
	buffer_load_dword v19, off, s[0:3], 0 offset:192
	buffer_load_dword v20, off, s[0:3], 0 offset:196
	ds_read2_b64 v[139:142], v108 offset0:71 offset1:72
	ds_read2_b64 v[143:146], v108 offset0:73 offset1:74
	;; [unrolled: 1-line block ×3, first 2 shown]
	buffer_load_dword v21, off, s[0:3], 0 offset:200
	buffer_load_dword v22, off, s[0:3], 0 offset:204
	;; [unrolled: 1-line block ×16, first 2 shown]
	v_cmp_lt_u32_e32 vcc, 7, v0
	s_waitcnt vmcnt(49) lgkmcnt(6)
	v_mul_f32_e32 v151, v123, v117
	s_waitcnt vmcnt(48)
	v_mul_f32_e32 v152, v125, v116
	s_waitcnt vmcnt(47) lgkmcnt(5)
	v_mul_f32_e32 v153, v127, v115
	s_waitcnt vmcnt(46)
	v_mul_f32_e32 v154, v129, v114
	;; [unrolled: 4-line block ×6, first 2 shown]
	s_waitcnt vmcnt(37)
	v_fmac_f32_e32 v153, v128, v1
	s_waitcnt vmcnt(36)
	v_fmac_f32_e32 v152, v126, v2
	;; [unrolled: 2-line block ×3, first 2 shown]
	v_add_f32_e32 v151, 0, v151
	v_add_f32_e32 v151, v151, v152
	;; [unrolled: 1-line block ×3, first 2 shown]
	s_waitcnt vmcnt(31)
	v_fmac_f32_e32 v154, v130, v7
	v_fmac_f32_e32 v155, v132, v6
	v_add_f32_e32 v151, v151, v154
	v_fmac_f32_e32 v156, v134, v5
	v_add_f32_e32 v151, v151, v155
	;; [unrolled: 2-line block ×3, first 2 shown]
	s_waitcnt vmcnt(27)
	v_fmac_f32_e32 v158, v138, v11
	v_add_f32_e32 v151, v151, v157
	v_fmac_f32_e32 v159, v140, v10
	v_add_f32_e32 v151, v151, v158
	;; [unrolled: 2-line block ×4, first 2 shown]
	s_waitcnt vmcnt(23)
	v_fmac_f32_e32 v162, v146, v15
	v_add_f32_e32 v151, v151, v161
	v_add_f32_e32 v155, v151, v162
	ds_read2_b64 v[151:154], v108 offset0:77 offset1:78
	buffer_load_dword v217, off, s[0:3], 0 offset:264
	buffer_load_dword v218, off, s[0:3], 0 offset:268
	;; [unrolled: 1-line block ×14, first 2 shown]
	s_waitcnt vmcnt(36) lgkmcnt(1)
	v_mul_f32_e32 v156, v147, v16
	buffer_load_dword v231, off, s[0:3], 0 offset:320
	buffer_load_dword v232, off, s[0:3], 0 offset:324
	v_fmac_f32_e32 v156, v148, v14
	v_add_f32_e32 v155, v155, v156
	s_waitcnt vmcnt(37)
	v_mul_f32_e32 v156, v149, v17
	v_fmac_f32_e32 v156, v150, v13
	v_add_f32_e32 v155, v155, v156
	s_waitcnt vmcnt(36) lgkmcnt(0)
	v_mul_f32_e32 v156, v151, v18
	v_fmac_f32_e32 v156, v152, v12
	v_add_f32_e32 v159, v155, v156
	ds_read2_b64 v[155:158], v108 offset0:79 offset1:80
	buffer_load_dword v233, off, s[0:3], 0 offset:328
	buffer_load_dword v234, off, s[0:3], 0 offset:332
	;; [unrolled: 1-line block ×6, first 2 shown]
	s_waitcnt vmcnt(38)
	v_mul_f32_e32 v160, v153, v20
	v_fmac_f32_e32 v160, v154, v19
	v_add_f32_e32 v163, v159, v160
	ds_read2_b64 v[159:162], v108 offset0:81 offset1:82
	buffer_load_dword v239, off, s[0:3], 0 offset:352
	buffer_load_dword v240, off, s[0:3], 0 offset:356
	;; [unrolled: 1-line block ×10, first 2 shown]
	s_waitcnt vmcnt(46) lgkmcnt(1)
	v_mul_f32_e32 v164, v155, v22
	v_fmac_f32_e32 v164, v156, v21
	v_add_f32_e32 v163, v163, v164
	s_waitcnt vmcnt(44)
	v_mul_f32_e32 v164, v157, v24
	v_fmac_f32_e32 v164, v158, v23
	v_add_f32_e32 v163, v163, v164
	s_waitcnt vmcnt(42) lgkmcnt(0)
	v_mul_f32_e32 v164, v159, v26
	buffer_load_dword v249, off, s[0:3], 0 offset:392
	buffer_load_dword v250, off, s[0:3], 0 offset:396
	;; [unrolled: 1-line block ×6, first 2 shown]
	v_fmac_f32_e32 v164, v160, v25
	s_waitcnt vmcnt(46)
	v_mul_f32_e32 v168, v161, v28
	v_add_f32_e32 v167, v163, v164
	v_fmac_f32_e32 v168, v162, v27
	ds_read2_b64 v[163:166], v108 offset0:83 offset1:84
	v_add_f32_e32 v171, v167, v168
	ds_read2_b64 v[167:170], v108 offset0:85 offset1:86
	buffer_load_dword v255, off, s[0:3], 0 offset:416
	buffer_load_dword v31, off, s[0:3], 0 offset:420
	s_waitcnt vmcnt(46) lgkmcnt(1)
	v_mul_f32_e32 v32, v163, v30
	v_fmac_f32_e32 v32, v164, v29
	v_add_f32_e32 v32, v171, v32
	s_waitcnt vmcnt(44)
	v_mul_f32_e32 v171, v165, v212
	v_fmac_f32_e32 v171, v166, v211
	v_add_f32_e32 v32, v32, v171
	s_waitcnt vmcnt(42) lgkmcnt(0)
	v_mul_f32_e32 v171, v167, v214
	v_fmac_f32_e32 v171, v168, v213
	v_add_f32_e32 v32, v32, v171
	ds_read2_b64 v[171:174], v108 offset0:87 offset1:88
	s_waitcnt vmcnt(40)
	v_mul_f32_e32 v175, v169, v216
	v_fmac_f32_e32 v175, v170, v215
	v_add_f32_e32 v32, v32, v175
	ds_read2_b64 v[175:178], v108 offset0:89 offset1:90
	s_waitcnt vmcnt(38) lgkmcnt(1)
	v_mul_f32_e32 v179, v171, v218
	v_fmac_f32_e32 v179, v172, v217
	v_add_f32_e32 v32, v32, v179
	s_waitcnt vmcnt(37)
	v_mul_f32_e32 v179, v173, v219
	s_waitcnt vmcnt(34)
	v_fmac_f32_e32 v179, v174, v222
	v_add_f32_e32 v32, v32, v179
	s_waitcnt lgkmcnt(0)
	v_mul_f32_e32 v179, v175, v221
	v_fmac_f32_e32 v179, v176, v220
	v_add_f32_e32 v32, v32, v179
	ds_read2_b64 v[179:182], v108 offset0:91 offset1:92
	s_waitcnt vmcnt(32)
	v_mul_f32_e32 v183, v177, v224
	v_fmac_f32_e32 v183, v178, v223
	v_add_f32_e32 v32, v32, v183
	ds_read2_b64 v[183:186], v108 offset0:93 offset1:94
	s_waitcnt vmcnt(30) lgkmcnt(1)
	v_mul_f32_e32 v187, v179, v226
	v_fmac_f32_e32 v187, v180, v225
	v_add_f32_e32 v32, v32, v187
	s_waitcnt vmcnt(29)
	v_mul_f32_e32 v187, v181, v227
	s_waitcnt vmcnt(26)
	v_fmac_f32_e32 v187, v182, v230
	v_add_f32_e32 v32, v32, v187
	s_waitcnt lgkmcnt(0)
	;; [unrolled: 19-line block ×5, first 2 shown]
	v_mul_f32_e32 v108, v207, v253
	v_fmac_f32_e32 v108, v208, v252
	v_add_f32_e32 v32, v32, v108
	s_waitcnt vmcnt(0)
	v_mul_f32_e32 v108, v209, v31
	v_fmac_f32_e32 v108, v210, v255
	v_add_f32_e32 v32, v32, v108
	v_mul_f32_e32 v108, v124, v117
	v_fma_f32 v3, v123, v3, -v108
	v_mul_f32_e32 v108, v126, v116
	v_add_f32_e32 v3, 0, v3
	v_fma_f32 v2, v125, v2, -v108
	v_add_f32_e32 v2, v3, v2
	v_mul_f32_e32 v3, v128, v115
	v_fma_f32 v1, v127, v1, -v3
	v_add_f32_e32 v1, v2, v1
	v_mul_f32_e32 v2, v130, v114
	;; [unrolled: 3-line block ×42, first 2 shown]
	v_fma_f32 v2, v209, v255, -v2
	v_add_f32_e32 v1, v1, v2
	v_sub_f32_e32 v1, v109, v1
	v_sub_f32_e32 v2, v110, v32
	buffer_store_dword v1, off, s[0:3], 0 offset:64
	buffer_store_dword v2, off, s[0:3], 0 offset:68
	s_and_saveexec_b64 s[4:5], vcc
	s_cbranch_execz .LBB52_317
; %bb.316:
	buffer_load_dword v108, off, s[0:3], 0 offset:56
	buffer_load_dword v109, off, s[0:3], 0 offset:60
	v_mov_b32_e32 v1, 0
	buffer_store_dword v1, off, s[0:3], 0 offset:56
	buffer_store_dword v1, off, s[0:3], 0 offset:60
	s_waitcnt vmcnt(2)
	ds_write_b64 v107, v[108:109]
.LBB52_317:
	s_or_b64 exec, exec, s[4:5]
	s_waitcnt lgkmcnt(0)
	; wave barrier
	buffer_load_dword v1, off, s[0:3], 0 offset:68
	buffer_load_dword v2, off, s[0:3], 0 offset:76
	;; [unrolled: 1-line block ×48, first 2 shown]
	v_mov_b32_e32 v108, 0
	ds_read_b128 v[111:114], v108 offset:496
	ds_read_b128 v[115:118], v108 offset:512
	;; [unrolled: 1-line block ×7, first 2 shown]
	v_cmp_lt_u32_e32 vcc, 6, v0
	s_waitcnt vmcnt(47) lgkmcnt(6)
	v_mul_f32_e32 v139, v111, v1
	s_waitcnt vmcnt(46)
	v_mul_f32_e32 v140, v113, v2
	s_waitcnt vmcnt(45) lgkmcnt(5)
	v_mul_f32_e32 v141, v115, v3
	s_waitcnt vmcnt(44)
	v_mul_f32_e32 v142, v117, v4
	;; [unrolled: 4-line block ×6, first 2 shown]
	s_waitcnt vmcnt(35)
	v_fmac_f32_e32 v141, v116, v13
	s_waitcnt vmcnt(34)
	v_fmac_f32_e32 v140, v114, v14
	;; [unrolled: 2-line block ×3, first 2 shown]
	v_add_f32_e32 v139, 0, v139
	v_add_f32_e32 v139, v139, v140
	;; [unrolled: 1-line block ×3, first 2 shown]
	s_waitcnt vmcnt(29)
	v_fmac_f32_e32 v142, v118, v19
	v_fmac_f32_e32 v143, v120, v18
	v_add_f32_e32 v139, v139, v142
	v_fmac_f32_e32 v144, v122, v17
	v_add_f32_e32 v139, v139, v143
	;; [unrolled: 2-line block ×3, first 2 shown]
	s_waitcnt vmcnt(25)
	v_fmac_f32_e32 v146, v126, v23
	v_add_f32_e32 v139, v139, v145
	v_fmac_f32_e32 v147, v128, v22
	v_add_f32_e32 v139, v139, v146
	;; [unrolled: 2-line block ×4, first 2 shown]
	s_waitcnt vmcnt(21)
	v_fmac_f32_e32 v150, v134, v27
	v_add_f32_e32 v139, v139, v149
	v_add_f32_e32 v143, v139, v150
	ds_read_b128 v[139:142], v108 offset:608
	buffer_load_dword v215, off, s[0:3], 0 offset:248
	buffer_load_dword v216, off, s[0:3], 0 offset:252
	;; [unrolled: 1-line block ×10, first 2 shown]
	s_waitcnt vmcnt(30) lgkmcnt(1)
	v_mul_f32_e32 v144, v135, v28
	v_fmac_f32_e32 v144, v136, v26
	buffer_load_dword v225, off, s[0:3], 0 offset:288
	buffer_load_dword v226, off, s[0:3], 0 offset:292
	;; [unrolled: 1-line block ×6, first 2 shown]
	v_add_f32_e32 v143, v143, v144
	s_waitcnt vmcnt(35)
	v_mul_f32_e32 v144, v137, v29
	v_fmac_f32_e32 v144, v138, v25
	v_add_f32_e32 v143, v143, v144
	s_waitcnt vmcnt(34) lgkmcnt(0)
	v_mul_f32_e32 v144, v139, v30
	v_fmac_f32_e32 v144, v140, v24
	v_add_f32_e32 v147, v143, v144
	ds_read_b128 v[143:146], v108 offset:624
	buffer_load_dword v231, off, s[0:3], 0 offset:312
	buffer_load_dword v232, off, s[0:3], 0 offset:316
	s_waitcnt vmcnt(32)
	v_mul_f32_e32 v148, v141, v32
	v_fmac_f32_e32 v148, v142, v31
	v_add_f32_e32 v151, v147, v148
	ds_read_b128 v[147:150], v108 offset:640
	buffer_load_dword v233, off, s[0:3], 0 offset:320
	buffer_load_dword v234, off, s[0:3], 0 offset:324
	;; [unrolled: 1-line block ×14, first 2 shown]
	s_waitcnt vmcnt(44) lgkmcnt(1)
	v_mul_f32_e32 v152, v143, v202
	v_fmac_f32_e32 v152, v144, v201
	buffer_load_dword v247, off, s[0:3], 0 offset:376
	buffer_load_dword v248, off, s[0:3], 0 offset:380
	v_add_f32_e32 v151, v151, v152
	s_waitcnt vmcnt(44)
	v_mul_f32_e32 v152, v145, v204
	v_fmac_f32_e32 v152, v146, v203
	v_add_f32_e32 v151, v151, v152
	s_waitcnt vmcnt(42) lgkmcnt(0)
	v_mul_f32_e32 v152, v147, v206
	v_fmac_f32_e32 v152, v148, v205
	v_mul_f32_e32 v1, v112, v1
	v_add_f32_e32 v155, v151, v152
	ds_read_b128 v[151:154], v108 offset:656
	buffer_load_dword v249, off, s[0:3], 0 offset:384
	buffer_load_dword v250, off, s[0:3], 0 offset:388
	;; [unrolled: 1-line block ×6, first 2 shown]
	v_fma_f32 v1, v111, v15, -v1
	v_mul_f32_e32 v2, v114, v2
	v_add_f32_e32 v1, 0, v1
	v_fma_f32 v2, v113, v14, -v2
	v_add_f32_e32 v1, v1, v2
	v_mul_f32_e32 v2, v116, v3
	s_waitcnt vmcnt(46)
	v_mul_f32_e32 v156, v149, v208
	v_fma_f32 v2, v115, v13, -v2
	v_fmac_f32_e32 v156, v150, v207
	v_add_f32_e32 v1, v1, v2
	v_mul_f32_e32 v2, v118, v4
	v_add_f32_e32 v159, v155, v156
	ds_read_b128 v[155:158], v108 offset:672
	buffer_load_dword v255, off, s[0:3], 0 offset:412
	buffer_load_dword v33, off, s[0:3], 0 offset:416
	;; [unrolled: 1-line block ×4, first 2 shown]
	v_fma_f32 v2, v117, v19, -v2
	v_add_f32_e32 v1, v1, v2
	v_mul_f32_e32 v2, v120, v5
	v_fma_f32 v2, v119, v18, -v2
	v_add_f32_e32 v1, v1, v2
	v_mul_f32_e32 v2, v122, v6
	;; [unrolled: 3-line block ×8, first 2 shown]
	v_fma_f32 v2, v133, v27, -v2
	s_waitcnt vmcnt(48) lgkmcnt(1)
	v_mul_f32_e32 v160, v151, v210
	v_add_f32_e32 v1, v1, v2
	v_mul_f32_e32 v2, v136, v28
	v_fmac_f32_e32 v160, v152, v209
	v_fma_f32 v2, v135, v26, -v2
	v_add_f32_e32 v36, v159, v160
	s_waitcnt vmcnt(46)
	v_mul_f32_e32 v159, v153, v212
	v_add_f32_e32 v1, v1, v2
	v_mul_f32_e32 v2, v138, v29
	v_fmac_f32_e32 v159, v154, v211
	v_fma_f32 v2, v137, v25, -v2
	v_add_f32_e32 v36, v36, v159
	s_waitcnt vmcnt(44) lgkmcnt(0)
	v_mul_f32_e32 v159, v155, v214
	v_add_f32_e32 v1, v1, v2
	v_mul_f32_e32 v2, v140, v30
	v_fmac_f32_e32 v159, v156, v213
	v_fma_f32 v2, v139, v24, -v2
	v_add_f32_e32 v36, v36, v159
	ds_read_b128 v[159:162], v108 offset:688
	v_add_f32_e32 v1, v1, v2
	v_mul_f32_e32 v2, v142, v32
	v_fma_f32 v2, v141, v31, -v2
	s_waitcnt vmcnt(42)
	v_mul_f32_e32 v163, v157, v216
	v_add_f32_e32 v1, v1, v2
	v_mul_f32_e32 v2, v144, v202
	v_fmac_f32_e32 v163, v158, v215
	v_fma_f32 v2, v143, v201, -v2
	v_add_f32_e32 v36, v36, v163
	ds_read_b128 v[163:166], v108 offset:704
	v_add_f32_e32 v1, v1, v2
	v_mul_f32_e32 v2, v146, v204
	s_waitcnt vmcnt(40) lgkmcnt(1)
	v_mul_f32_e32 v167, v159, v218
	v_fma_f32 v2, v145, v203, -v2
	v_fmac_f32_e32 v167, v160, v217
	v_add_f32_e32 v1, v1, v2
	v_mul_f32_e32 v2, v148, v206
	v_add_f32_e32 v36, v36, v167
	s_waitcnt vmcnt(39)
	v_mul_f32_e32 v167, v161, v219
	v_fma_f32 v2, v147, v205, -v2
	s_waitcnt vmcnt(36)
	v_fmac_f32_e32 v167, v162, v222
	v_add_f32_e32 v1, v1, v2
	v_mul_f32_e32 v2, v150, v208
	v_add_f32_e32 v36, v36, v167
	s_waitcnt lgkmcnt(0)
	v_mul_f32_e32 v167, v163, v221
	v_fma_f32 v2, v149, v207, -v2
	v_fmac_f32_e32 v167, v164, v220
	v_add_f32_e32 v1, v1, v2
	v_mul_f32_e32 v2, v152, v210
	v_add_f32_e32 v36, v36, v167
	ds_read_b128 v[167:170], v108 offset:720
	v_fma_f32 v2, v151, v209, -v2
	v_add_f32_e32 v1, v1, v2
	v_mul_f32_e32 v2, v154, v212
	s_waitcnt vmcnt(34)
	v_mul_f32_e32 v171, v165, v224
	v_fma_f32 v2, v153, v211, -v2
	v_fmac_f32_e32 v171, v166, v223
	v_add_f32_e32 v1, v1, v2
	v_mul_f32_e32 v2, v156, v214
	v_add_f32_e32 v36, v36, v171
	ds_read_b128 v[171:174], v108 offset:736
	v_fma_f32 v2, v155, v213, -v2
	s_waitcnt vmcnt(32) lgkmcnt(1)
	v_mul_f32_e32 v175, v167, v226
	v_add_f32_e32 v1, v1, v2
	v_mul_f32_e32 v2, v158, v216
	v_fmac_f32_e32 v175, v168, v225
	v_fma_f32 v2, v157, v215, -v2
	v_add_f32_e32 v36, v36, v175
	s_waitcnt vmcnt(31)
	v_mul_f32_e32 v175, v169, v227
	v_add_f32_e32 v1, v1, v2
	v_mul_f32_e32 v2, v160, v218
	s_waitcnt vmcnt(28)
	v_fmac_f32_e32 v175, v170, v230
	v_fma_f32 v2, v159, v217, -v2
	v_add_f32_e32 v36, v36, v175
	s_waitcnt lgkmcnt(0)
	v_mul_f32_e32 v175, v171, v229
	v_add_f32_e32 v1, v1, v2
	v_mul_f32_e32 v2, v162, v219
	v_fmac_f32_e32 v175, v172, v228
	v_fma_f32 v2, v161, v222, -v2
	v_add_f32_e32 v36, v36, v175
	ds_read_b128 v[175:178], v108 offset:752
	v_add_f32_e32 v1, v1, v2
	v_mul_f32_e32 v2, v164, v221
	v_fma_f32 v2, v163, v220, -v2
	s_waitcnt vmcnt(26)
	v_mul_f32_e32 v179, v173, v232
	v_add_f32_e32 v1, v1, v2
	v_mul_f32_e32 v2, v166, v224
	v_fmac_f32_e32 v179, v174, v231
	v_fma_f32 v2, v165, v223, -v2
	v_add_f32_e32 v36, v36, v179
	ds_read_b128 v[179:182], v108 offset:768
	v_add_f32_e32 v1, v1, v2
	v_mul_f32_e32 v2, v168, v226
	s_waitcnt vmcnt(24) lgkmcnt(1)
	v_mul_f32_e32 v183, v175, v234
	v_fma_f32 v2, v167, v225, -v2
	v_fmac_f32_e32 v183, v176, v233
	v_add_f32_e32 v1, v1, v2
	v_mul_f32_e32 v2, v170, v227
	v_add_f32_e32 v36, v36, v183
	s_waitcnt vmcnt(23)
	v_mul_f32_e32 v183, v177, v235
	v_fma_f32 v2, v169, v230, -v2
	s_waitcnt vmcnt(20)
	v_fmac_f32_e32 v183, v178, v238
	v_add_f32_e32 v1, v1, v2
	v_mul_f32_e32 v2, v172, v229
	v_add_f32_e32 v36, v36, v183
	s_waitcnt lgkmcnt(0)
	v_mul_f32_e32 v183, v179, v237
	v_fma_f32 v2, v171, v228, -v2
	v_fmac_f32_e32 v183, v180, v236
	v_add_f32_e32 v1, v1, v2
	v_mul_f32_e32 v2, v174, v232
	v_add_f32_e32 v36, v36, v183
	ds_read_b128 v[183:186], v108 offset:784
	v_fma_f32 v2, v173, v231, -v2
	v_add_f32_e32 v1, v1, v2
	v_mul_f32_e32 v2, v176, v234
	s_waitcnt vmcnt(18)
	v_mul_f32_e32 v187, v181, v240
	v_fma_f32 v2, v175, v233, -v2
	v_fmac_f32_e32 v187, v182, v239
	v_add_f32_e32 v1, v1, v2
	v_mul_f32_e32 v2, v178, v235
	v_add_f32_e32 v36, v36, v187
	ds_read_b128 v[187:190], v108 offset:800
	v_fma_f32 v2, v177, v238, -v2
	s_waitcnt vmcnt(16) lgkmcnt(1)
	v_mul_f32_e32 v191, v183, v242
	v_add_f32_e32 v1, v1, v2
	v_mul_f32_e32 v2, v180, v237
	v_fmac_f32_e32 v191, v184, v241
	v_fma_f32 v2, v179, v236, -v2
	v_add_f32_e32 v36, v36, v191
	s_waitcnt vmcnt(15)
	v_mul_f32_e32 v191, v185, v243
	v_add_f32_e32 v1, v1, v2
	v_mul_f32_e32 v2, v182, v240
	s_waitcnt vmcnt(12)
	v_fmac_f32_e32 v191, v186, v246
	v_fma_f32 v2, v181, v239, -v2
	v_add_f32_e32 v36, v36, v191
	s_waitcnt lgkmcnt(0)
	v_mul_f32_e32 v191, v187, v245
	v_add_f32_e32 v1, v1, v2
	v_mul_f32_e32 v2, v184, v242
	v_fmac_f32_e32 v191, v188, v244
	v_fma_f32 v2, v183, v241, -v2
	v_add_f32_e32 v36, v36, v191
	ds_read_b128 v[191:194], v108 offset:816
	v_add_f32_e32 v1, v1, v2
	v_mul_f32_e32 v2, v186, v243
	v_fma_f32 v2, v185, v246, -v2
	v_add_f32_e32 v1, v1, v2
	v_mul_f32_e32 v2, v188, v245
	s_waitcnt vmcnt(10)
	v_mul_f32_e32 v195, v189, v248
	v_fma_f32 v2, v187, v244, -v2
	v_fmac_f32_e32 v195, v190, v247
	v_add_f32_e32 v1, v1, v2
	v_mul_f32_e32 v2, v190, v248
	v_add_f32_e32 v36, v36, v195
	ds_read_b128 v[195:198], v108 offset:832
	s_waitcnt vmcnt(8) lgkmcnt(1)
	v_mul_f32_e32 v199, v191, v250
	v_fma_f32 v2, v189, v247, -v2
	v_fmac_f32_e32 v199, v192, v249
	v_add_f32_e32 v1, v1, v2
	v_mul_f32_e32 v2, v192, v250
	v_add_f32_e32 v36, v36, v199
	s_waitcnt vmcnt(7)
	v_mul_f32_e32 v199, v193, v251
	v_fma_f32 v2, v191, v249, -v2
	s_waitcnt vmcnt(4)
	v_fmac_f32_e32 v199, v194, v254
	v_add_f32_e32 v1, v1, v2
	v_mul_f32_e32 v2, v194, v251
	v_add_f32_e32 v36, v36, v199
	ds_read_b64 v[199:200], v108 offset:848
	v_fma_f32 v2, v193, v254, -v2
	v_add_f32_e32 v1, v1, v2
	s_waitcnt lgkmcnt(1)
	v_mul_f32_e32 v2, v196, v253
	v_mul_f32_e32 v37, v195, v253
	v_fma_f32 v2, v195, v252, -v2
	v_fmac_f32_e32 v37, v196, v252
	v_add_f32_e32 v1, v1, v2
	s_waitcnt vmcnt(3)
	v_mul_f32_e32 v2, v198, v255
	v_add_f32_e32 v36, v36, v37
	v_mul_f32_e32 v37, v197, v255
	s_waitcnt vmcnt(0)
	v_fma_f32 v2, v197, v35, -v2
	v_fmac_f32_e32 v37, v198, v35
	v_add_f32_e32 v1, v1, v2
	s_waitcnt lgkmcnt(0)
	v_mul_f32_e32 v2, v200, v34
	v_add_f32_e32 v36, v36, v37
	v_mul_f32_e32 v37, v199, v34
	v_fma_f32 v2, v199, v33, -v2
	v_fmac_f32_e32 v37, v200, v33
	v_add_f32_e32 v1, v1, v2
	v_add_f32_e32 v36, v36, v37
	v_sub_f32_e32 v1, v109, v1
	v_sub_f32_e32 v2, v110, v36
	buffer_store_dword v1, off, s[0:3], 0 offset:56
	buffer_store_dword v2, off, s[0:3], 0 offset:60
	s_and_saveexec_b64 s[4:5], vcc
	s_cbranch_execz .LBB52_319
; %bb.318:
	buffer_load_dword v109, off, s[0:3], 0 offset:48
	buffer_load_dword v110, off, s[0:3], 0 offset:52
	s_waitcnt vmcnt(0)
	ds_write_b64 v107, v[109:110]
	buffer_store_dword v108, off, s[0:3], 0 offset:48
	buffer_store_dword v108, off, s[0:3], 0 offset:52
.LBB52_319:
	s_or_b64 exec, exec, s[4:5]
	s_waitcnt lgkmcnt(0)
	; wave barrier
	buffer_load_dword v117, off, s[0:3], 0 offset:60
	buffer_load_dword v116, off, s[0:3], 0 offset:68
	;; [unrolled: 1-line block ×33, first 2 shown]
	ds_read2_b64 v[118:121], v108 offset0:61 offset1:62
	ds_read2_b64 v[122:125], v108 offset0:63 offset1:64
	ds_read2_b64 v[126:129], v108 offset0:65 offset1:66
	ds_read2_b64 v[130:133], v108 offset0:67 offset1:68
	ds_read2_b64 v[134:137], v108 offset0:69 offset1:70
	ds_read2_b64 v[138:141], v108 offset0:71 offset1:72
	buffer_load_dword v25, off, s[0:3], 0 offset:176
	buffer_load_dword v26, off, s[0:3], 0 offset:188
	;; [unrolled: 1-line block ×7, first 2 shown]
	ds_read2_b64 v[142:145], v108 offset0:73 offset1:74
	ds_read2_b64 v[146:149], v108 offset0:75 offset1:76
	buffer_load_dword v32, off, s[0:3], 0 offset:208
	buffer_load_dword v33, off, s[0:3], 0 offset:212
	;; [unrolled: 1-line block ×18, first 2 shown]
	v_cmp_lt_u32_e32 vcc, 5, v0
	s_waitcnt vmcnt(57) lgkmcnt(7)
	v_mul_f32_e32 v150, v118, v117
	s_waitcnt vmcnt(56)
	v_mul_f32_e32 v151, v120, v116
	s_waitcnt vmcnt(55) lgkmcnt(6)
	v_mul_f32_e32 v152, v122, v115
	s_waitcnt vmcnt(54)
	v_mul_f32_e32 v153, v124, v114
	;; [unrolled: 4-line block ×6, first 2 shown]
	s_waitcnt vmcnt(45)
	v_fmac_f32_e32 v152, v123, v6
	s_waitcnt vmcnt(44)
	v_fmac_f32_e32 v151, v121, v7
	;; [unrolled: 2-line block ×3, first 2 shown]
	v_add_f32_e32 v150, 0, v150
	v_add_f32_e32 v150, v150, v151
	;; [unrolled: 1-line block ×3, first 2 shown]
	s_waitcnt vmcnt(39)
	v_fmac_f32_e32 v153, v125, v12
	v_fmac_f32_e32 v154, v127, v11
	v_add_f32_e32 v150, v150, v153
	v_fmac_f32_e32 v155, v129, v10
	v_add_f32_e32 v150, v150, v154
	;; [unrolled: 2-line block ×3, first 2 shown]
	s_waitcnt vmcnt(35)
	v_fmac_f32_e32 v157, v133, v16
	v_add_f32_e32 v150, v150, v156
	v_fmac_f32_e32 v158, v135, v15
	v_add_f32_e32 v150, v150, v157
	v_fmac_f32_e32 v159, v137, v14
	v_add_f32_e32 v150, v150, v158
	v_fmac_f32_e32 v160, v139, v13
	v_add_f32_e32 v150, v150, v159
	s_waitcnt vmcnt(31)
	v_fmac_f32_e32 v161, v141, v20
	v_add_f32_e32 v150, v150, v160
	s_waitcnt vmcnt(30) lgkmcnt(1)
	v_mul_f32_e32 v151, v142, v21
	v_add_f32_e32 v150, v150, v161
	v_fmac_f32_e32 v151, v143, v19
	v_add_f32_e32 v150, v150, v151
	s_waitcnt vmcnt(29)
	v_mul_f32_e32 v151, v144, v22
	v_fmac_f32_e32 v151, v145, v18
	v_add_f32_e32 v150, v150, v151
	s_waitcnt vmcnt(28) lgkmcnt(0)
	v_mul_f32_e32 v151, v146, v23
	v_fmac_f32_e32 v151, v147, v17
	v_add_f32_e32 v154, v150, v151
	ds_read2_b64 v[150:153], v108 offset0:77 offset1:78
	buffer_load_dword v221, off, s[0:3], 0 offset:280
	buffer_load_dword v222, off, s[0:3], 0 offset:284
	;; [unrolled: 1-line block ×6, first 2 shown]
	s_waitcnt vmcnt(33)
	v_mul_f32_e32 v155, v148, v24
	s_waitcnt vmcnt(30)
	v_fmac_f32_e32 v155, v149, v25
	v_add_f32_e32 v158, v154, v155
	ds_read2_b64 v[154:157], v108 offset0:79 offset1:80
	buffer_load_dword v227, off, s[0:3], 0 offset:304
	buffer_load_dword v228, off, s[0:3], 0 offset:308
	;; [unrolled: 1-line block ×10, first 2 shown]
	s_waitcnt vmcnt(39) lgkmcnt(1)
	v_mul_f32_e32 v159, v150, v26
	buffer_load_dword v237, off, s[0:3], 0 offset:344
	buffer_load_dword v238, off, s[0:3], 0 offset:348
	;; [unrolled: 1-line block ×6, first 2 shown]
	s_waitcnt vmcnt(40)
	v_fmac_f32_e32 v159, v151, v31
	v_add_f32_e32 v158, v158, v159
	v_mul_f32_e32 v159, v152, v28
	v_fmac_f32_e32 v159, v153, v27
	v_add_f32_e32 v158, v158, v159
	s_waitcnt lgkmcnt(0)
	v_mul_f32_e32 v159, v154, v30
	v_fmac_f32_e32 v159, v155, v29
	v_add_f32_e32 v162, v158, v159
	ds_read2_b64 v[158:161], v108 offset0:81 offset1:82
	buffer_load_dword v243, off, s[0:3], 0 offset:368
	buffer_load_dword v244, off, s[0:3], 0 offset:372
	s_waitcnt vmcnt(40)
	v_mul_f32_e32 v163, v156, v33
	v_fmac_f32_e32 v163, v157, v32
	v_add_f32_e32 v166, v162, v163
	ds_read2_b64 v[162:165], v108 offset0:83 offset1:84
	buffer_load_dword v245, off, s[0:3], 0 offset:376
	buffer_load_dword v246, off, s[0:3], 0 offset:380
	;; [unrolled: 1-line block ×12, first 2 shown]
	s_waitcnt vmcnt(50) lgkmcnt(1)
	v_mul_f32_e32 v167, v158, v35
	v_fmac_f32_e32 v167, v159, v34
	v_add_f32_e32 v166, v166, v167
	s_waitcnt vmcnt(48)
	v_mul_f32_e32 v167, v160, v37
	v_fmac_f32_e32 v167, v161, v36
	v_add_f32_e32 v40, v166, v167
	s_waitcnt vmcnt(46) lgkmcnt(0)
	v_mul_f32_e32 v166, v162, v210
	v_fmac_f32_e32 v166, v163, v38
	v_add_f32_e32 v40, v40, v166
	ds_read2_b64 v[166:169], v108 offset0:85 offset1:86
	s_waitcnt vmcnt(44)
	v_mul_f32_e32 v170, v164, v212
	v_fmac_f32_e32 v170, v165, v211
	v_add_f32_e32 v40, v40, v170
	ds_read2_b64 v[170:173], v108 offset0:87 offset1:88
	s_waitcnt vmcnt(42) lgkmcnt(1)
	v_mul_f32_e32 v174, v166, v214
	v_fmac_f32_e32 v174, v167, v213
	v_add_f32_e32 v40, v40, v174
	s_waitcnt vmcnt(41)
	v_mul_f32_e32 v174, v168, v215
	s_waitcnt vmcnt(38)
	v_fmac_f32_e32 v174, v169, v218
	v_add_f32_e32 v40, v40, v174
	s_waitcnt lgkmcnt(0)
	v_mul_f32_e32 v174, v170, v217
	v_fmac_f32_e32 v174, v171, v216
	v_add_f32_e32 v40, v40, v174
	ds_read2_b64 v[174:177], v108 offset0:89 offset1:90
	s_waitcnt vmcnt(36)
	v_mul_f32_e32 v178, v172, v220
	v_fmac_f32_e32 v178, v173, v219
	v_add_f32_e32 v40, v40, v178
	ds_read2_b64 v[178:181], v108 offset0:91 offset1:92
	v_mul_f32_e32 v1, v133, v1
	v_fma_f32 v1, v132, v16, -v1
	v_mul_f32_e32 v2, v135, v2
	v_fma_f32 v2, v134, v15, -v2
	s_waitcnt vmcnt(34) lgkmcnt(1)
	v_mul_f32_e32 v182, v174, v222
	v_fmac_f32_e32 v182, v175, v221
	v_add_f32_e32 v40, v40, v182
	s_waitcnt vmcnt(33)
	v_mul_f32_e32 v182, v176, v223
	s_waitcnt vmcnt(30)
	v_fmac_f32_e32 v182, v177, v226
	v_add_f32_e32 v40, v40, v182
	s_waitcnt lgkmcnt(0)
	v_mul_f32_e32 v182, v178, v225
	v_fmac_f32_e32 v182, v179, v224
	v_add_f32_e32 v40, v40, v182
	ds_read2_b64 v[182:185], v108 offset0:93 offset1:94
	s_waitcnt vmcnt(28)
	v_mul_f32_e32 v186, v180, v228
	v_fmac_f32_e32 v186, v181, v227
	v_add_f32_e32 v40, v40, v186
	ds_read2_b64 v[186:189], v108 offset0:95 offset1:96
	s_waitcnt vmcnt(26) lgkmcnt(1)
	v_mul_f32_e32 v190, v182, v230
	v_fmac_f32_e32 v190, v183, v229
	v_add_f32_e32 v40, v40, v190
	s_waitcnt vmcnt(25)
	v_mul_f32_e32 v190, v184, v231
	s_waitcnt vmcnt(22)
	v_fmac_f32_e32 v190, v185, v234
	v_add_f32_e32 v40, v40, v190
	s_waitcnt lgkmcnt(0)
	v_mul_f32_e32 v190, v186, v233
	v_fmac_f32_e32 v190, v187, v232
	v_add_f32_e32 v40, v40, v190
	ds_read2_b64 v[190:193], v108 offset0:97 offset1:98
	s_waitcnt vmcnt(20)
	v_mul_f32_e32 v194, v188, v236
	v_fmac_f32_e32 v194, v189, v235
	v_add_f32_e32 v40, v40, v194
	ds_read2_b64 v[194:197], v108 offset0:99 offset1:100
	s_waitcnt vmcnt(18) lgkmcnt(1)
	v_mul_f32_e32 v198, v190, v238
	v_fmac_f32_e32 v198, v191, v237
	v_add_f32_e32 v40, v40, v198
	s_waitcnt vmcnt(17)
	v_mul_f32_e32 v198, v192, v239
	s_waitcnt vmcnt(14)
	v_fmac_f32_e32 v198, v193, v242
	v_add_f32_e32 v40, v40, v198
	s_waitcnt lgkmcnt(0)
	v_mul_f32_e32 v198, v194, v241
	v_fmac_f32_e32 v198, v195, v240
	v_add_f32_e32 v40, v40, v198
	ds_read2_b64 v[198:201], v108 offset0:101 offset1:102
	s_waitcnt vmcnt(12)
	v_mul_f32_e32 v202, v196, v244
	v_fmac_f32_e32 v202, v197, v243
	v_add_f32_e32 v40, v40, v202
	ds_read2_b64 v[202:205], v108 offset0:103 offset1:104
	s_waitcnt vmcnt(10) lgkmcnt(1)
	v_mul_f32_e32 v206, v198, v246
	v_fmac_f32_e32 v206, v199, v245
	v_add_f32_e32 v40, v40, v206
	s_waitcnt vmcnt(9)
	v_mul_f32_e32 v206, v200, v247
	s_waitcnt vmcnt(6)
	v_fmac_f32_e32 v206, v201, v250
	v_add_f32_e32 v40, v40, v206
	ds_read2_b64 v[206:209], v108 offset0:105 offset1:106
	s_waitcnt lgkmcnt(1)
	v_mul_f32_e32 v41, v202, v249
	v_fmac_f32_e32 v41, v203, v248
	v_add_f32_e32 v40, v40, v41
	s_waitcnt vmcnt(4)
	v_mul_f32_e32 v41, v204, v252
	v_fmac_f32_e32 v41, v205, v251
	v_add_f32_e32 v40, v40, v41
	s_waitcnt vmcnt(3) lgkmcnt(0)
	v_mul_f32_e32 v41, v206, v253
	s_waitcnt vmcnt(0)
	v_fmac_f32_e32 v41, v207, v39
	v_add_f32_e32 v40, v40, v41
	v_mul_f32_e32 v41, v208, v255
	v_fmac_f32_e32 v41, v209, v254
	v_add_f32_e32 v40, v40, v41
	v_mul_f32_e32 v41, v119, v117
	v_fma_f32 v8, v118, v8, -v41
	v_mul_f32_e32 v41, v121, v116
	v_add_f32_e32 v8, 0, v8
	v_fma_f32 v7, v120, v7, -v41
	v_add_f32_e32 v7, v8, v7
	v_mul_f32_e32 v8, v123, v115
	v_fma_f32 v6, v122, v6, -v8
	v_add_f32_e32 v6, v7, v6
	v_mul_f32_e32 v7, v125, v114
	;; [unrolled: 3-line block ×5, first 2 shown]
	v_fma_f32 v7, v130, v9, -v7
	v_add_f32_e32 v6, v6, v7
	v_add_f32_e32 v1, v6, v1
	;; [unrolled: 1-line block ×3, first 2 shown]
	v_mul_f32_e32 v2, v137, v3
	v_fma_f32 v2, v136, v14, -v2
	v_add_f32_e32 v1, v1, v2
	v_mul_f32_e32 v2, v139, v4
	v_fma_f32 v2, v138, v13, -v2
	v_add_f32_e32 v1, v1, v2
	;; [unrolled: 3-line block ×37, first 2 shown]
	v_sub_f32_e32 v1, v109, v1
	v_sub_f32_e32 v2, v110, v40
	buffer_store_dword v1, off, s[0:3], 0 offset:48
	buffer_store_dword v2, off, s[0:3], 0 offset:52
	s_and_saveexec_b64 s[4:5], vcc
	s_cbranch_execz .LBB52_321
; %bb.320:
	buffer_load_dword v108, off, s[0:3], 0 offset:40
	buffer_load_dword v109, off, s[0:3], 0 offset:44
	v_mov_b32_e32 v1, 0
	buffer_store_dword v1, off, s[0:3], 0 offset:40
	buffer_store_dword v1, off, s[0:3], 0 offset:44
	s_waitcnt vmcnt(2)
	ds_write_b64 v107, v[108:109]
.LBB52_321:
	s_or_b64 exec, exec, s[4:5]
	s_waitcnt lgkmcnt(0)
	; wave barrier
	buffer_load_dword v115, off, s[0:3], 0 offset:52
	buffer_load_dword v114, off, s[0:3], 0 offset:60
	buffer_load_dword v113, off, s[0:3], 0 offset:68
	buffer_load_dword v112, off, s[0:3], 0 offset:76
	buffer_load_dword v111, off, s[0:3], 0 offset:84
	buffer_load_dword v110, off, s[0:3], 0 offset:92
	buffer_load_dword v109, off, s[0:3], 0 offset:100
	buffer_load_dword v1, off, s[0:3], 0 offset:108
	buffer_load_dword v2, off, s[0:3], 0 offset:116
	buffer_load_dword v3, off, s[0:3], 0 offset:124
	buffer_load_dword v4, off, s[0:3], 0 offset:132
	buffer_load_dword v5, off, s[0:3], 0 offset:140
	buffer_load_dword v6, off, s[0:3], 0 offset:64
	buffer_load_dword v7, off, s[0:3], 0 offset:56
	buffer_load_dword v8, off, s[0:3], 0 offset:48
	buffer_load_dword v9, off, s[0:3], 0 offset:96
	buffer_load_dword v10, off, s[0:3], 0 offset:88
	buffer_load_dword v11, off, s[0:3], 0 offset:80
	buffer_load_dword v12, off, s[0:3], 0 offset:72
	buffer_load_dword v13, off, s[0:3], 0 offset:128
	buffer_load_dword v14, off, s[0:3], 0 offset:120
	buffer_load_dword v15, off, s[0:3], 0 offset:112
	buffer_load_dword v16, off, s[0:3], 0 offset:104
	buffer_load_dword v17, off, s[0:3], 0 offset:160
	buffer_load_dword v18, off, s[0:3], 0 offset:152
	buffer_load_dword v19, off, s[0:3], 0 offset:144
	buffer_load_dword v20, off, s[0:3], 0 offset:136
	buffer_load_dword v21, off, s[0:3], 0 offset:148
	buffer_load_dword v22, off, s[0:3], 0 offset:156
	buffer_load_dword v23, off, s[0:3], 0 offset:164
	buffer_load_dword v24, off, s[0:3], 0 offset:172
	buffer_load_dword v25, off, s[0:3], 0 offset:176
	buffer_load_dword v26, off, s[0:3], 0 offset:180
	buffer_load_dword v27, off, s[0:3], 0 offset:184
	buffer_load_dword v28, off, s[0:3], 0 offset:188
	buffer_load_dword v29, off, s[0:3], 0 offset:192
	buffer_load_dword v30, off, s[0:3], 0 offset:196
	buffer_load_dword v31, off, s[0:3], 0 offset:168
	buffer_load_dword v116, off, s[0:3], 0 offset:40
	buffer_load_dword v117, off, s[0:3], 0 offset:44
	buffer_load_dword v32, off, s[0:3], 0 offset:200
	buffer_load_dword v33, off, s[0:3], 0 offset:204
	buffer_load_dword v34, off, s[0:3], 0 offset:208
	buffer_load_dword v35, off, s[0:3], 0 offset:212
	buffer_load_dword v36, off, s[0:3], 0 offset:216
	buffer_load_dword v37, off, s[0:3], 0 offset:220
	buffer_load_dword v38, off, s[0:3], 0 offset:224
	buffer_load_dword v39, off, s[0:3], 0 offset:228
	v_mov_b32_e32 v108, 0
	ds_read_b128 v[118:121], v108 offset:480
	ds_read_b128 v[122:125], v108 offset:496
	;; [unrolled: 1-line block ×7, first 2 shown]
	v_cmp_lt_u32_e32 vcc, 4, v0
	s_waitcnt vmcnt(47) lgkmcnt(6)
	v_mul_f32_e32 v40, v118, v115
	s_waitcnt vmcnt(46)
	v_mul_f32_e32 v41, v120, v114
	s_waitcnt vmcnt(45) lgkmcnt(5)
	v_mul_f32_e32 v42, v122, v113
	s_waitcnt vmcnt(44)
	v_mul_f32_e32 v146, v124, v112
	;; [unrolled: 4-line block ×6, first 2 shown]
	s_waitcnt vmcnt(35)
	v_fmac_f32_e32 v42, v123, v6
	s_waitcnt vmcnt(34)
	v_fmac_f32_e32 v41, v121, v7
	;; [unrolled: 2-line block ×3, first 2 shown]
	v_add_f32_e32 v40, 0, v40
	v_add_f32_e32 v40, v40, v41
	;; [unrolled: 1-line block ×3, first 2 shown]
	s_waitcnt vmcnt(29)
	v_fmac_f32_e32 v146, v125, v12
	v_fmac_f32_e32 v147, v127, v11
	v_add_f32_e32 v40, v40, v146
	v_fmac_f32_e32 v148, v129, v10
	v_add_f32_e32 v40, v40, v147
	;; [unrolled: 2-line block ×3, first 2 shown]
	v_add_f32_e32 v40, v40, v149
	ds_read_b128 v[146:149], v108 offset:592
	buffer_load_dword v41, off, s[0:3], 0 offset:232
	buffer_load_dword v42, off, s[0:3], 0 offset:236
	;; [unrolled: 1-line block ×8, first 2 shown]
	s_waitcnt vmcnt(33)
	v_fmac_f32_e32 v150, v133, v16
	v_fmac_f32_e32 v151, v135, v15
	v_add_f32_e32 v40, v40, v150
	v_fmac_f32_e32 v152, v137, v14
	v_add_f32_e32 v40, v40, v151
	;; [unrolled: 2-line block ×3, first 2 shown]
	s_waitcnt vmcnt(29)
	v_fmac_f32_e32 v154, v141, v20
	v_add_f32_e32 v40, v40, v153
	s_waitcnt vmcnt(28) lgkmcnt(1)
	v_mul_f32_e32 v150, v142, v21
	buffer_load_dword v218, off, s[0:3], 0 offset:264
	buffer_load_dword v219, off, s[0:3], 0 offset:268
	v_add_f32_e32 v40, v40, v154
	v_fmac_f32_e32 v150, v143, v19
	v_add_f32_e32 v40, v40, v150
	s_waitcnt vmcnt(29)
	v_mul_f32_e32 v150, v144, v22
	v_fmac_f32_e32 v150, v145, v18
	v_add_f32_e32 v40, v40, v150
	s_waitcnt vmcnt(28) lgkmcnt(0)
	v_mul_f32_e32 v150, v146, v23
	v_fmac_f32_e32 v150, v147, v17
	v_add_f32_e32 v40, v40, v150
	ds_read_b128 v[150:153], v108 offset:608
	buffer_load_dword v220, off, s[0:3], 0 offset:272
	buffer_load_dword v221, off, s[0:3], 0 offset:276
	buffer_load_dword v222, off, s[0:3], 0 offset:284
	buffer_load_dword v223, off, s[0:3], 0 offset:288
	buffer_load_dword v224, off, s[0:3], 0 offset:292
	buffer_load_dword v225, off, s[0:3], 0 offset:280
	s_waitcnt vmcnt(33)
	v_mul_f32_e32 v154, v148, v24
	s_waitcnt vmcnt(26)
	v_fmac_f32_e32 v154, v149, v31
	v_add_f32_e32 v40, v40, v154
	ds_read_b128 v[154:157], v108 offset:624
	buffer_load_dword v226, off, s[0:3], 0 offset:296
	buffer_load_dword v227, off, s[0:3], 0 offset:300
	;; [unrolled: 1-line block ×8, first 2 shown]
	s_waitcnt lgkmcnt(1)
	v_mul_f32_e32 v158, v150, v26
	buffer_load_dword v234, off, s[0:3], 0 offset:328
	buffer_load_dword v235, off, s[0:3], 0 offset:332
	v_fmac_f32_e32 v158, v151, v25
	v_add_f32_e32 v40, v40, v158
	v_mul_f32_e32 v158, v152, v28
	v_fmac_f32_e32 v158, v153, v27
	v_add_f32_e32 v40, v40, v158
	s_waitcnt lgkmcnt(0)
	v_mul_f32_e32 v158, v154, v30
	v_fmac_f32_e32 v158, v155, v29
	v_add_f32_e32 v40, v40, v158
	ds_read_b128 v[158:161], v108 offset:640
	buffer_load_dword v236, off, s[0:3], 0 offset:336
	buffer_load_dword v237, off, s[0:3], 0 offset:340
	;; [unrolled: 1-line block ×6, first 2 shown]
	s_waitcnt vmcnt(38)
	v_mul_f32_e32 v162, v156, v33
	v_fmac_f32_e32 v162, v157, v32
	v_add_f32_e32 v40, v40, v162
	ds_read_b128 v[162:165], v108 offset:656
	buffer_load_dword v242, off, s[0:3], 0 offset:360
	buffer_load_dword v243, off, s[0:3], 0 offset:364
	;; [unrolled: 1-line block ×16, first 2 shown]
	s_waitcnt vmcnt(52) lgkmcnt(1)
	v_mul_f32_e32 v166, v158, v35
	v_fmac_f32_e32 v166, v159, v34
	v_add_f32_e32 v40, v40, v166
	s_waitcnt vmcnt(50)
	v_mul_f32_e32 v166, v160, v37
	v_fmac_f32_e32 v166, v161, v36
	v_add_f32_e32 v40, v40, v166
	s_waitcnt vmcnt(48) lgkmcnt(0)
	v_mul_f32_e32 v166, v162, v39
	v_fmac_f32_e32 v166, v163, v38
	v_add_f32_e32 v40, v40, v166
	ds_read_b128 v[166:169], v108 offset:672
	v_mul_f32_e32 v1, v133, v1
	v_fma_f32 v1, v132, v16, -v1
	v_mul_f32_e32 v2, v135, v2
	v_fma_f32 v2, v134, v15, -v2
	s_waitcnt vmcnt(46)
	v_mul_f32_e32 v170, v164, v42
	v_fmac_f32_e32 v170, v165, v41
	v_add_f32_e32 v40, v40, v170
	ds_read_b128 v[170:173], v108 offset:688
	s_waitcnt vmcnt(44) lgkmcnt(1)
	v_mul_f32_e32 v174, v166, v213
	v_fmac_f32_e32 v174, v167, v212
	v_add_f32_e32 v40, v40, v174
	s_waitcnt vmcnt(43)
	v_mul_f32_e32 v174, v168, v214
	s_waitcnt vmcnt(40)
	v_fmac_f32_e32 v174, v169, v217
	v_add_f32_e32 v40, v40, v174
	s_waitcnt lgkmcnt(0)
	v_mul_f32_e32 v174, v170, v216
	v_fmac_f32_e32 v174, v171, v215
	v_add_f32_e32 v40, v40, v174
	ds_read_b128 v[174:177], v108 offset:704
	s_waitcnt vmcnt(38)
	v_mul_f32_e32 v178, v172, v219
	v_fmac_f32_e32 v178, v173, v218
	v_add_f32_e32 v40, v40, v178
	ds_read_b128 v[178:181], v108 offset:720
	s_waitcnt vmcnt(36) lgkmcnt(1)
	v_mul_f32_e32 v182, v174, v221
	v_fmac_f32_e32 v182, v175, v220
	v_add_f32_e32 v40, v40, v182
	s_waitcnt vmcnt(35)
	v_mul_f32_e32 v182, v176, v222
	s_waitcnt vmcnt(32)
	v_fmac_f32_e32 v182, v177, v225
	v_add_f32_e32 v40, v40, v182
	s_waitcnt lgkmcnt(0)
	v_mul_f32_e32 v182, v178, v224
	v_fmac_f32_e32 v182, v179, v223
	v_add_f32_e32 v40, v40, v182
	ds_read_b128 v[182:185], v108 offset:736
	;; [unrolled: 19-line block ×5, first 2 shown]
	s_waitcnt vmcnt(6)
	v_mul_f32_e32 v210, v204, v251
	v_fmac_f32_e32 v210, v205, v250
	v_add_f32_e32 v40, v40, v210
	ds_read_b64 v[210:211], v108 offset:848
	s_waitcnt vmcnt(4) lgkmcnt(1)
	v_mul_f32_e32 v45, v206, v253
	v_fmac_f32_e32 v45, v207, v252
	v_add_f32_e32 v40, v40, v45
	s_waitcnt vmcnt(3)
	v_mul_f32_e32 v45, v208, v254
	s_waitcnt vmcnt(0)
	v_fmac_f32_e32 v45, v209, v44
	v_add_f32_e32 v40, v40, v45
	s_waitcnt lgkmcnt(0)
	v_mul_f32_e32 v45, v210, v43
	v_fmac_f32_e32 v45, v211, v255
	v_add_f32_e32 v40, v40, v45
	v_mul_f32_e32 v45, v119, v115
	v_fma_f32 v8, v118, v8, -v45
	v_mul_f32_e32 v45, v121, v114
	v_add_f32_e32 v8, 0, v8
	v_fma_f32 v7, v120, v7, -v45
	v_add_f32_e32 v7, v8, v7
	v_mul_f32_e32 v8, v123, v113
	v_fma_f32 v6, v122, v6, -v8
	v_add_f32_e32 v6, v7, v6
	v_mul_f32_e32 v7, v125, v112
	;; [unrolled: 3-line block ×5, first 2 shown]
	v_fma_f32 v7, v130, v9, -v7
	v_add_f32_e32 v6, v6, v7
	v_add_f32_e32 v1, v6, v1
	v_add_f32_e32 v1, v1, v2
	v_mul_f32_e32 v2, v137, v3
	v_fma_f32 v2, v136, v14, -v2
	v_add_f32_e32 v1, v1, v2
	v_mul_f32_e32 v2, v139, v4
	v_fma_f32 v2, v138, v13, -v2
	v_add_f32_e32 v1, v1, v2
	;; [unrolled: 3-line block ×38, first 2 shown]
	v_sub_f32_e32 v1, v116, v1
	v_sub_f32_e32 v2, v117, v40
	buffer_store_dword v1, off, s[0:3], 0 offset:40
	buffer_store_dword v2, off, s[0:3], 0 offset:44
	s_and_saveexec_b64 s[4:5], vcc
	s_cbranch_execz .LBB52_323
; %bb.322:
	buffer_load_dword v109, off, s[0:3], 0 offset:32
	buffer_load_dword v110, off, s[0:3], 0 offset:36
	s_waitcnt vmcnt(0)
	ds_write_b64 v107, v[109:110]
	buffer_store_dword v108, off, s[0:3], 0 offset:32
	buffer_store_dword v108, off, s[0:3], 0 offset:36
.LBB52_323:
	s_or_b64 exec, exec, s[4:5]
	s_waitcnt lgkmcnt(0)
	; wave barrier
	buffer_load_dword v115, off, s[0:3], 0 offset:44
	buffer_load_dword v114, off, s[0:3], 0 offset:52
	;; [unrolled: 1-line block ×40, first 2 shown]
	ds_read2_b64 v[146:149], v108 offset0:59 offset1:60
	ds_read2_b64 v[150:153], v108 offset0:61 offset1:62
	;; [unrolled: 1-line block ×7, first 2 shown]
	buffer_load_dword v4, off, s[0:3], 0 offset:192
	buffer_load_dword v5, off, s[0:3], 0 offset:196
	;; [unrolled: 1-line block ×8, first 2 shown]
	v_cmp_lt_u32_e32 vcc, 3, v0
	s_waitcnt vmcnt(47) lgkmcnt(6)
	v_mul_f32_e32 v12, v146, v115
	s_waitcnt vmcnt(46)
	v_mul_f32_e32 v13, v148, v114
	s_waitcnt vmcnt(45) lgkmcnt(5)
	v_mul_f32_e32 v14, v150, v113
	s_waitcnt vmcnt(44)
	v_mul_f32_e32 v15, v152, v112
	;; [unrolled: 4-line block ×6, first 2 shown]
	s_waitcnt vmcnt(35)
	v_fmac_f32_e32 v14, v151, v128
	s_waitcnt vmcnt(34)
	v_fmac_f32_e32 v13, v149, v131
	;; [unrolled: 2-line block ×3, first 2 shown]
	v_add_f32_e32 v12, 0, v12
	v_add_f32_e32 v12, v12, v13
	;; [unrolled: 1-line block ×3, first 2 shown]
	buffer_load_dword v13, off, s[0:3], 0 offset:224
	buffer_load_dword v14, off, s[0:3], 0 offset:228
	s_waitcnt vmcnt(31)
	v_fmac_f32_e32 v15, v153, v133
	v_fmac_f32_e32 v16, v155, v130
	v_add_f32_e32 v12, v12, v15
	v_fmac_f32_e32 v17, v157, v127
	v_add_f32_e32 v12, v12, v16
	;; [unrolled: 2-line block ×3, first 2 shown]
	s_waitcnt vmcnt(27)
	v_fmac_f32_e32 v19, v161, v129
	v_add_f32_e32 v12, v12, v18
	v_fmac_f32_e32 v20, v163, v126
	v_add_f32_e32 v12, v12, v19
	;; [unrolled: 2-line block ×4, first 2 shown]
	ds_read2_b64 v[174:177], v108 offset0:73 offset1:74
	s_waitcnt vmcnt(23)
	v_fmac_f32_e32 v23, v169, v141
	v_add_f32_e32 v12, v12, v22
	s_waitcnt vmcnt(22) lgkmcnt(1)
	v_mul_f32_e32 v15, v170, v140
	v_add_f32_e32 v12, v12, v23
	v_fmac_f32_e32 v15, v171, v137
	v_add_f32_e32 v12, v12, v15
	s_waitcnt vmcnt(21)
	v_mul_f32_e32 v15, v172, v138
	v_fmac_f32_e32 v15, v173, v135
	v_add_f32_e32 v12, v12, v15
	s_waitcnt vmcnt(20) lgkmcnt(0)
	v_mul_f32_e32 v15, v174, v136
	v_fmac_f32_e32 v15, v175, v132
	v_add_f32_e32 v12, v12, v15
	buffer_load_dword v15, off, s[0:3], 0 offset:232
	buffer_load_dword v16, off, s[0:3], 0 offset:236
	;; [unrolled: 1-line block ×6, first 2 shown]
	s_waitcnt vmcnt(25)
	v_mul_f32_e32 v21, v176, v139
	s_waitcnt vmcnt(18)
	v_fmac_f32_e32 v21, v177, v3
	ds_read2_b64 v[178:181], v108 offset0:75 offset1:76
	v_add_f32_e32 v12, v12, v21
	buffer_load_dword v21, off, s[0:3], 0 offset:256
	buffer_load_dword v22, off, s[0:3], 0 offset:260
	ds_read2_b64 v[182:185], v108 offset0:77 offset1:78
	buffer_load_dword v24, off, s[0:3], 0 offset:264
	buffer_load_dword v25, off, s[0:3], 0 offset:268
	;; [unrolled: 1-line block ×14, first 2 shown]
	s_waitcnt lgkmcnt(1)
	v_mul_f32_e32 v23, v178, v143
	v_fmac_f32_e32 v23, v179, v142
	v_add_f32_e32 v12, v12, v23
	v_mul_f32_e32 v23, v180, v145
	buffer_load_dword v38, off, s[0:3], 0 offset:320
	buffer_load_dword v39, off, s[0:3], 0 offset:324
	v_fmac_f32_e32 v23, v181, v144
	v_add_f32_e32 v12, v12, v23
	s_waitcnt lgkmcnt(0)
	v_mul_f32_e32 v23, v182, v2
	v_fmac_f32_e32 v23, v183, v1
	v_add_f32_e32 v12, v12, v23
	s_waitcnt vmcnt(32)
	v_mul_f32_e32 v23, v184, v5
	ds_read2_b64 v[186:189], v108 offset0:79 offset1:80
	v_fmac_f32_e32 v23, v185, v4
	v_add_f32_e32 v12, v12, v23
	buffer_load_dword v23, off, s[0:3], 0 offset:328
	buffer_load_dword v40, off, s[0:3], 0 offset:332
	;; [unrolled: 1-line block ×6, first 2 shown]
	ds_read2_b64 v[190:193], v108 offset0:81 offset1:82
	s_waitcnt vmcnt(36) lgkmcnt(1)
	v_mul_f32_e32 v45, v186, v7
	v_fmac_f32_e32 v45, v187, v6
	v_add_f32_e32 v12, v12, v45
	buffer_load_dword v45, off, s[0:3], 0 offset:352
	buffer_load_dword v46, off, s[0:3], 0 offset:356
	;; [unrolled: 1-line block ×10, first 2 shown]
	s_waitcnt vmcnt(44)
	v_mul_f32_e32 v194, v188, v9
	v_fmac_f32_e32 v194, v189, v8
	v_add_f32_e32 v12, v12, v194
	s_waitcnt vmcnt(42) lgkmcnt(0)
	v_mul_f32_e32 v194, v190, v11
	buffer_load_dword v250, off, s[0:3], 0 offset:392
	buffer_load_dword v251, off, s[0:3], 0 offset:396
	;; [unrolled: 1-line block ×6, first 2 shown]
	v_fmac_f32_e32 v194, v191, v10
	v_add_f32_e32 v12, v12, v194
	ds_read2_b64 v[194:197], v108 offset0:83 offset1:84
	v_mul_f32_e32 v114, v149, v114
	v_fma_f32 v114, v148, v131, -v114
	v_mul_f32_e32 v113, v151, v113
	v_fma_f32 v113, v150, v128, -v113
	;; [unrolled: 2-line block ×5, first 2 shown]
	v_mul_f32_e32 v109, v159, v109
	s_waitcnt vmcnt(46)
	v_mul_f32_e32 v198, v192, v14
	v_fmac_f32_e32 v198, v193, v13
	v_add_f32_e32 v12, v12, v198
	ds_read2_b64 v[198:201], v108 offset0:85 offset1:86
	buffer_load_dword v47, off, s[0:3], 0 offset:416
	buffer_load_dword v48, off, s[0:3], 0 offset:420
	v_fma_f32 v109, v158, v125, -v109
	v_mul_f32_e32 v2, v183, v2
	v_fma_f32 v1, v182, v1, -v2
	v_mul_f32_e32 v2, v185, v5
	v_fma_f32 v2, v184, v4, -v2
	s_waitcnt vmcnt(46) lgkmcnt(1)
	v_mul_f32_e32 v202, v194, v16
	v_fmac_f32_e32 v202, v195, v15
	v_add_f32_e32 v12, v12, v202
	s_waitcnt vmcnt(45)
	v_mul_f32_e32 v202, v196, v17
	s_waitcnt vmcnt(42)
	v_fmac_f32_e32 v202, v197, v20
	v_add_f32_e32 v12, v12, v202
	s_waitcnt lgkmcnt(0)
	v_mul_f32_e32 v202, v198, v19
	v_fmac_f32_e32 v202, v199, v18
	v_add_f32_e32 v12, v12, v202
	ds_read2_b64 v[202:205], v108 offset0:87 offset1:88
	s_waitcnt vmcnt(40)
	v_mul_f32_e32 v206, v200, v22
	v_fmac_f32_e32 v206, v201, v21
	v_add_f32_e32 v12, v12, v206
	ds_read2_b64 v[206:209], v108 offset0:89 offset1:90
	s_waitcnt vmcnt(38) lgkmcnt(1)
	v_mul_f32_e32 v210, v202, v25
	v_fmac_f32_e32 v210, v203, v24
	v_add_f32_e32 v12, v12, v210
	s_waitcnt vmcnt(37)
	v_mul_f32_e32 v210, v204, v26
	s_waitcnt vmcnt(34)
	v_fmac_f32_e32 v210, v205, v29
	v_add_f32_e32 v12, v12, v210
	s_waitcnt lgkmcnt(0)
	v_mul_f32_e32 v210, v206, v28
	v_fmac_f32_e32 v210, v207, v27
	v_add_f32_e32 v12, v12, v210
	ds_read2_b64 v[210:213], v108 offset0:91 offset1:92
	s_waitcnt vmcnt(32)
	v_mul_f32_e32 v214, v208, v31
	v_fmac_f32_e32 v214, v209, v30
	v_add_f32_e32 v12, v12, v214
	ds_read2_b64 v[214:217], v108 offset0:93 offset1:94
	;; [unrolled: 19-line block ×5, first 2 shown]
	s_waitcnt vmcnt(6) lgkmcnt(1)
	v_mul_f32_e32 v108, v234, v251
	v_fmac_f32_e32 v108, v235, v250
	v_add_f32_e32 v12, v12, v108
	s_waitcnt vmcnt(5)
	v_mul_f32_e32 v108, v236, v252
	s_waitcnt vmcnt(2)
	v_fmac_f32_e32 v108, v237, v255
	v_add_f32_e32 v12, v12, v108
	s_waitcnt lgkmcnt(0)
	v_mul_f32_e32 v108, v238, v254
	v_fmac_f32_e32 v108, v239, v253
	v_add_f32_e32 v12, v12, v108
	s_waitcnt vmcnt(0)
	v_mul_f32_e32 v108, v240, v48
	v_fmac_f32_e32 v108, v241, v47
	v_add_f32_e32 v12, v12, v108
	v_mul_f32_e32 v108, v147, v115
	v_fma_f32 v108, v146, v134, -v108
	v_add_f32_e32 v108, 0, v108
	v_add_f32_e32 v108, v108, v114
	;; [unrolled: 1-line block ×7, first 2 shown]
	v_mul_f32_e32 v109, v161, v118
	v_fma_f32 v109, v160, v129, -v109
	v_add_f32_e32 v108, v108, v109
	v_mul_f32_e32 v109, v163, v119
	v_fma_f32 v109, v162, v126, -v109
	v_add_f32_e32 v108, v108, v109
	;; [unrolled: 3-line block ×11, first 2 shown]
	v_add_f32_e32 v1, v3, v1
	v_add_f32_e32 v1, v1, v2
	v_mul_f32_e32 v2, v187, v7
	v_fma_f32 v2, v186, v6, -v2
	v_add_f32_e32 v1, v1, v2
	v_mul_f32_e32 v2, v189, v9
	v_fma_f32 v2, v188, v8, -v2
	;; [unrolled: 3-line block ×28, first 2 shown]
	v_add_f32_e32 v1, v1, v2
	v_sub_f32_e32 v1, v116, v1
	v_sub_f32_e32 v2, v117, v12
	buffer_store_dword v1, off, s[0:3], 0 offset:32
	buffer_store_dword v2, off, s[0:3], 0 offset:36
	s_and_saveexec_b64 s[4:5], vcc
	s_cbranch_execz .LBB52_325
; %bb.324:
	buffer_load_dword v108, off, s[0:3], 0 offset:24
	buffer_load_dword v109, off, s[0:3], 0 offset:28
	v_mov_b32_e32 v1, 0
	buffer_store_dword v1, off, s[0:3], 0 offset:24
	buffer_store_dword v1, off, s[0:3], 0 offset:28
	s_waitcnt vmcnt(2)
	ds_write_b64 v107, v[108:109]
.LBB52_325:
	s_or_b64 exec, exec, s[4:5]
	s_waitcnt lgkmcnt(0)
	; wave barrier
	buffer_load_dword v115, off, s[0:3], 0 offset:36
	buffer_load_dword v114, off, s[0:3], 0 offset:44
	;; [unrolled: 1-line block ×50, first 2 shown]
	v_mov_b32_e32 v108, 0
	ds_read_b128 v[122:125], v108 offset:464
	ds_read_b128 v[126:129], v108 offset:480
	;; [unrolled: 1-line block ×8, first 2 shown]
	v_cmp_lt_u32_e32 vcc, 2, v0
	s_waitcnt vmcnt(49) lgkmcnt(7)
	v_mul_f32_e32 v38, v122, v115
	s_waitcnt vmcnt(48)
	v_mul_f32_e32 v39, v124, v114
	s_waitcnt vmcnt(47) lgkmcnt(6)
	v_mul_f32_e32 v40, v126, v113
	s_waitcnt vmcnt(46)
	v_mul_f32_e32 v41, v128, v112
	;; [unrolled: 4-line block ×5, first 2 shown]
	s_waitcnt vmcnt(39) lgkmcnt(2)
	v_mul_f32_e32 v48, v142, v121
	s_waitcnt vmcnt(38)
	v_fmac_f32_e32 v40, v127, v1
	s_waitcnt vmcnt(37)
	v_fmac_f32_e32 v39, v125, v2
	;; [unrolled: 2-line block ×3, first 2 shown]
	v_add_f32_e32 v38, 0, v38
	v_add_f32_e32 v38, v38, v39
	;; [unrolled: 1-line block ×3, first 2 shown]
	s_waitcnt vmcnt(32)
	v_fmac_f32_e32 v41, v129, v7
	v_fmac_f32_e32 v42, v131, v6
	v_add_f32_e32 v38, v38, v41
	v_fmac_f32_e32 v43, v133, v5
	v_add_f32_e32 v38, v38, v42
	;; [unrolled: 2-line block ×3, first 2 shown]
	s_waitcnt vmcnt(28)
	v_fmac_f32_e32 v45, v137, v11
	v_add_f32_e32 v38, v38, v44
	v_fmac_f32_e32 v46, v139, v10
	v_add_f32_e32 v38, v38, v45
	;; [unrolled: 2-line block ×4, first 2 shown]
	s_waitcnt vmcnt(27)
	v_mul_f32_e32 v39, v144, v12
	v_add_f32_e32 v38, v38, v48
	s_waitcnt vmcnt(23)
	v_fmac_f32_e32 v39, v145, v16
	v_add_f32_e32 v38, v38, v39
	s_waitcnt vmcnt(22) lgkmcnt(1)
	v_mul_f32_e32 v39, v146, v17
	v_fmac_f32_e32 v39, v147, v15
	v_add_f32_e32 v38, v38, v39
	buffer_load_dword v39, off, s[0:3], 0 offset:224
	buffer_load_dword v40, off, s[0:3], 0 offset:228
	ds_read_b128 v[154:157], v108 offset:592
	buffer_load_dword v42, off, s[0:3], 0 offset:236
	buffer_load_dword v43, off, s[0:3], 0 offset:240
	;; [unrolled: 1-line block ×4, first 2 shown]
	s_waitcnt vmcnt(27)
	v_mul_f32_e32 v41, v148, v18
	v_fmac_f32_e32 v41, v149, v14
	v_add_f32_e32 v38, v38, v41
	s_waitcnt vmcnt(26) lgkmcnt(1)
	v_mul_f32_e32 v41, v150, v19
	ds_read_b128 v[158:161], v108 offset:608
	buffer_load_dword v46, off, s[0:3], 0 offset:248
	buffer_load_dword v47, off, s[0:3], 0 offset:252
	v_fmac_f32_e32 v41, v151, v13
	v_add_f32_e32 v38, v38, v41
	s_waitcnt vmcnt(27)
	v_mul_f32_e32 v41, v152, v20
	s_waitcnt vmcnt(21)
	v_fmac_f32_e32 v41, v153, v26
	v_add_f32_e32 v38, v38, v41
	s_waitcnt vmcnt(20) lgkmcnt(1)
	v_mul_f32_e32 v41, v154, v27
	v_fmac_f32_e32 v41, v155, v25
	v_add_f32_e32 v38, v38, v41
	buffer_load_dword v41, off, s[0:3], 0 offset:256
	buffer_load_dword v48, off, s[0:3], 0 offset:260
	;; [unrolled: 1-line block ×14, first 2 shown]
	v_mul_f32_e32 v162, v156, v22
	v_fmac_f32_e32 v162, v157, v21
	v_add_f32_e32 v38, v38, v162
	s_waitcnt lgkmcnt(0)
	v_mul_f32_e32 v162, v158, v24
	v_fmac_f32_e32 v162, v159, v23
	v_add_f32_e32 v38, v38, v162
	ds_read_b128 v[162:165], v108 offset:624
	buffer_load_dword v232, off, s[0:3], 0 offset:312
	buffer_load_dword v233, off, s[0:3], 0 offset:316
	s_waitcnt vmcnt(32)
	v_mul_f32_e32 v166, v160, v29
	v_fmac_f32_e32 v166, v161, v28
	v_add_f32_e32 v38, v38, v166
	ds_read_b128 v[166:169], v108 offset:640
	buffer_load_dword v234, off, s[0:3], 0 offset:320
	buffer_load_dword v235, off, s[0:3], 0 offset:324
	;; [unrolled: 1-line block ×14, first 2 shown]
	s_waitcnt vmcnt(44) lgkmcnt(1)
	v_mul_f32_e32 v170, v162, v31
	v_fmac_f32_e32 v170, v163, v30
	buffer_load_dword v248, off, s[0:3], 0 offset:376
	buffer_load_dword v249, off, s[0:3], 0 offset:380
	v_add_f32_e32 v38, v38, v170
	s_waitcnt vmcnt(44)
	v_mul_f32_e32 v170, v164, v33
	v_fmac_f32_e32 v170, v165, v32
	v_add_f32_e32 v38, v38, v170
	s_waitcnt vmcnt(42) lgkmcnt(0)
	v_mul_f32_e32 v170, v166, v35
	v_fmac_f32_e32 v170, v167, v34
	v_add_f32_e32 v38, v38, v170
	ds_read_b128 v[170:173], v108 offset:656
	buffer_load_dword v250, off, s[0:3], 0 offset:384
	buffer_load_dword v251, off, s[0:3], 0 offset:388
	;; [unrolled: 1-line block ×6, first 2 shown]
	s_waitcnt vmcnt(46)
	v_mul_f32_e32 v174, v168, v37
	v_fmac_f32_e32 v174, v169, v36
	v_add_f32_e32 v38, v38, v174
	ds_read_b128 v[174:177], v108 offset:672
	buffer_load_dword v49, off, s[0:3], 0 offset:412
	buffer_load_dword v50, off, s[0:3], 0 offset:416
	;; [unrolled: 1-line block ×4, first 2 shown]
	s_waitcnt vmcnt(48) lgkmcnt(1)
	v_mul_f32_e32 v178, v170, v40
	v_fmac_f32_e32 v178, v171, v39
	v_add_f32_e32 v38, v38, v178
	s_waitcnt vmcnt(47)
	v_mul_f32_e32 v178, v172, v42
	s_waitcnt vmcnt(44)
	v_fmac_f32_e32 v178, v173, v45
	v_add_f32_e32 v38, v38, v178
	s_waitcnt lgkmcnt(0)
	v_mul_f32_e32 v178, v174, v44
	v_fmac_f32_e32 v178, v175, v43
	v_add_f32_e32 v38, v38, v178
	ds_read_b128 v[178:181], v108 offset:688
	s_waitcnt vmcnt(42)
	v_mul_f32_e32 v182, v176, v47
	v_fmac_f32_e32 v182, v177, v46
	v_add_f32_e32 v38, v38, v182
	ds_read_b128 v[182:185], v108 offset:704
	s_waitcnt vmcnt(40) lgkmcnt(1)
	v_mul_f32_e32 v186, v178, v48
	v_fmac_f32_e32 v186, v179, v41
	v_add_f32_e32 v38, v38, v186
	s_waitcnt vmcnt(39)
	v_mul_f32_e32 v186, v180, v220
	s_waitcnt vmcnt(36)
	v_fmac_f32_e32 v186, v181, v223
	v_add_f32_e32 v38, v38, v186
	s_waitcnt lgkmcnt(0)
	v_mul_f32_e32 v186, v182, v222
	v_fmac_f32_e32 v186, v183, v221
	v_add_f32_e32 v38, v38, v186
	ds_read_b128 v[186:189], v108 offset:720
	s_waitcnt vmcnt(34)
	v_mul_f32_e32 v190, v184, v225
	v_fmac_f32_e32 v190, v185, v224
	v_add_f32_e32 v38, v38, v190
	ds_read_b128 v[190:193], v108 offset:736
	;; [unrolled: 19-line block ×5, first 2 shown]
	s_waitcnt vmcnt(8) lgkmcnt(1)
	v_mul_f32_e32 v218, v210, v251
	v_fmac_f32_e32 v218, v211, v250
	v_add_f32_e32 v38, v38, v218
	s_waitcnt vmcnt(7)
	v_mul_f32_e32 v218, v212, v252
	s_waitcnt vmcnt(4)
	v_fmac_f32_e32 v218, v213, v255
	v_add_f32_e32 v38, v38, v218
	ds_read_b64 v[218:219], v108 offset:848
	s_waitcnt lgkmcnt(1)
	v_mul_f32_e32 v53, v214, v254
	v_fmac_f32_e32 v53, v215, v253
	v_add_f32_e32 v38, v38, v53
	s_waitcnt vmcnt(3)
	v_mul_f32_e32 v53, v216, v49
	s_waitcnt vmcnt(0)
	v_fmac_f32_e32 v53, v217, v52
	v_add_f32_e32 v38, v38, v53
	s_waitcnt lgkmcnt(0)
	v_mul_f32_e32 v53, v218, v51
	v_fmac_f32_e32 v53, v219, v50
	v_add_f32_e32 v38, v38, v53
	v_mul_f32_e32 v53, v123, v115
	v_fma_f32 v3, v122, v3, -v53
	v_mul_f32_e32 v53, v125, v114
	v_add_f32_e32 v3, 0, v3
	v_fma_f32 v2, v124, v2, -v53
	v_add_f32_e32 v2, v3, v2
	v_mul_f32_e32 v3, v127, v113
	v_fma_f32 v1, v126, v1, -v3
	v_add_f32_e32 v1, v2, v1
	v_mul_f32_e32 v2, v129, v112
	;; [unrolled: 3-line block ×47, first 2 shown]
	v_fma_f32 v2, v218, v50, -v2
	v_add_f32_e32 v1, v1, v2
	v_sub_f32_e32 v1, v116, v1
	v_sub_f32_e32 v2, v117, v38
	buffer_store_dword v1, off, s[0:3], 0 offset:24
	buffer_store_dword v2, off, s[0:3], 0 offset:28
	s_and_saveexec_b64 s[4:5], vcc
	s_cbranch_execz .LBB52_327
; %bb.326:
	buffer_load_dword v109, off, s[0:3], 0 offset:16
	buffer_load_dword v110, off, s[0:3], 0 offset:20
	s_waitcnt vmcnt(0)
	ds_write_b64 v107, v[109:110]
	buffer_store_dword v108, off, s[0:3], 0 offset:16
	buffer_store_dword v108, off, s[0:3], 0 offset:20
.LBB52_327:
	s_or_b64 exec, exec, s[4:5]
	s_waitcnt lgkmcnt(0)
	; wave barrier
	buffer_load_dword v115, off, s[0:3], 0 offset:28
	buffer_load_dword v114, off, s[0:3], 0 offset:36
	buffer_load_dword v113, off, s[0:3], 0 offset:44
	buffer_load_dword v112, off, s[0:3], 0 offset:52
	buffer_load_dword v111, off, s[0:3], 0 offset:60
	buffer_load_dword v110, off, s[0:3], 0 offset:68
	buffer_load_dword v109, off, s[0:3], 0 offset:76
	buffer_load_dword v118, off, s[0:3], 0 offset:84
	buffer_load_dword v119, off, s[0:3], 0 offset:92
	buffer_load_dword v120, off, s[0:3], 0 offset:100
	buffer_load_dword v121, off, s[0:3], 0 offset:108
	buffer_load_dword v122, off, s[0:3], 0 offset:116
	buffer_load_dword v1, off, s[0:3], 0 offset:40
	buffer_load_dword v2, off, s[0:3], 0 offset:32
	buffer_load_dword v3, off, s[0:3], 0 offset:24
	buffer_load_dword v4, off, s[0:3], 0 offset:72
	buffer_load_dword v5, off, s[0:3], 0 offset:64
	buffer_load_dword v6, off, s[0:3], 0 offset:56
	buffer_load_dword v7, off, s[0:3], 0 offset:48
	buffer_load_dword v8, off, s[0:3], 0 offset:104
	buffer_load_dword v9, off, s[0:3], 0 offset:96
	buffer_load_dword v10, off, s[0:3], 0 offset:88
	buffer_load_dword v11, off, s[0:3], 0 offset:80
	buffer_load_dword v12, off, s[0:3], 0 offset:136
	buffer_load_dword v13, off, s[0:3], 0 offset:128
	buffer_load_dword v14, off, s[0:3], 0 offset:120
	buffer_load_dword v15, off, s[0:3], 0 offset:112
	buffer_load_dword v16, off, s[0:3], 0 offset:124
	buffer_load_dword v17, off, s[0:3], 0 offset:132
	buffer_load_dword v18, off, s[0:3], 0 offset:140
	buffer_load_dword v19, off, s[0:3], 0 offset:148
	buffer_load_dword v20, off, s[0:3], 0 offset:160
	buffer_load_dword v21, off, s[0:3], 0 offset:164
	buffer_load_dword v22, off, s[0:3], 0 offset:168
	buffer_load_dword v23, off, s[0:3], 0 offset:172
	buffer_load_dword v24, off, s[0:3], 0 offset:152
	buffer_load_dword v25, off, s[0:3], 0 offset:144
	buffer_load_dword v26, off, s[0:3], 0 offset:156
	buffer_load_dword v116, off, s[0:3], 0 offset:16
	buffer_load_dword v117, off, s[0:3], 0 offset:20
	ds_read2_b64 v[123:126], v108 offset0:57 offset1:58
	ds_read2_b64 v[127:130], v108 offset0:59 offset1:60
	;; [unrolled: 1-line block ×7, first 2 shown]
	buffer_load_dword v27, off, s[0:3], 0 offset:176
	buffer_load_dword v28, off, s[0:3], 0 offset:180
	;; [unrolled: 1-line block ×10, first 2 shown]
	ds_read2_b64 v[151:154], v108 offset0:71 offset1:72
	v_cmp_lt_u32_e32 vcc, 1, v0
	s_waitcnt vmcnt(49) lgkmcnt(7)
	v_mul_f32_e32 v37, v123, v115
	s_waitcnt vmcnt(48)
	v_mul_f32_e32 v38, v125, v114
	s_waitcnt vmcnt(47) lgkmcnt(6)
	v_mul_f32_e32 v39, v127, v113
	s_waitcnt vmcnt(46)
	v_mul_f32_e32 v40, v129, v112
	;; [unrolled: 4-line block ×6, first 2 shown]
	s_waitcnt vmcnt(37)
	v_fmac_f32_e32 v39, v128, v1
	s_waitcnt vmcnt(36)
	v_fmac_f32_e32 v38, v126, v2
	;; [unrolled: 2-line block ×3, first 2 shown]
	v_add_f32_e32 v37, 0, v37
	v_add_f32_e32 v37, v37, v38
	;; [unrolled: 1-line block ×3, first 2 shown]
	s_waitcnt vmcnt(31)
	v_fmac_f32_e32 v40, v130, v7
	v_fmac_f32_e32 v41, v132, v6
	v_add_f32_e32 v37, v37, v40
	v_fmac_f32_e32 v42, v134, v5
	v_add_f32_e32 v37, v37, v41
	;; [unrolled: 2-line block ×3, first 2 shown]
	s_waitcnt vmcnt(27)
	v_fmac_f32_e32 v44, v138, v11
	v_add_f32_e32 v37, v37, v43
	v_fmac_f32_e32 v45, v140, v10
	v_add_f32_e32 v37, v37, v44
	;; [unrolled: 2-line block ×4, first 2 shown]
	v_add_f32_e32 v37, v37, v47
	s_waitcnt vmcnt(23)
	v_fmac_f32_e32 v48, v146, v15
	s_waitcnt vmcnt(22) lgkmcnt(1)
	v_mul_f32_e32 v38, v147, v16
	v_add_f32_e32 v37, v37, v48
	v_fmac_f32_e32 v38, v148, v14
	buffer_load_dword v39, off, s[0:3], 0 offset:220
	v_add_f32_e32 v37, v37, v38
	s_waitcnt vmcnt(22)
	v_mul_f32_e32 v38, v149, v17
	v_fmac_f32_e32 v38, v150, v13
	buffer_load_dword v40, off, s[0:3], 0 offset:216
	buffer_load_dword v41, off, s[0:3], 0 offset:224
	;; [unrolled: 1-line block ×3, first 2 shown]
	ds_read2_b64 v[155:158], v108 offset0:73 offset1:74
	v_add_f32_e32 v37, v37, v38
	s_waitcnt vmcnt(24) lgkmcnt(1)
	v_mul_f32_e32 v38, v151, v18
	v_fmac_f32_e32 v38, v152, v12
	v_add_f32_e32 v37, v37, v38
	s_waitcnt vmcnt(23)
	v_mul_f32_e32 v38, v153, v19
	buffer_load_dword v43, off, s[0:3], 0 offset:232
	buffer_load_dword v44, off, s[0:3], 0 offset:236
	s_waitcnt vmcnt(19)
	v_fmac_f32_e32 v38, v154, v25
	v_add_f32_e32 v37, v37, v38
	s_waitcnt vmcnt(18) lgkmcnt(0)
	v_mul_f32_e32 v38, v155, v26
	v_fmac_f32_e32 v38, v156, v24
	ds_read2_b64 v[159:162], v108 offset0:75 offset1:76
	v_add_f32_e32 v37, v37, v38
	buffer_load_dword v38, off, s[0:3], 0 offset:240
	buffer_load_dword v45, off, s[0:3], 0 offset:244
	;; [unrolled: 1-line block ×8, first 2 shown]
	v_mul_f32_e32 v46, v157, v21
	v_fmac_f32_e32 v46, v158, v20
	v_add_f32_e32 v37, v37, v46
	s_waitcnt lgkmcnt(0)
	v_mul_f32_e32 v46, v159, v23
	v_fmac_f32_e32 v46, v160, v22
	v_add_f32_e32 v37, v37, v46
	buffer_load_dword v46, off, s[0:3], 0 offset:272
	buffer_load_dword v53, off, s[0:3], 0 offset:276
	ds_read2_b64 v[163:166], v108 offset0:77 offset1:78
	buffer_load_dword v223, off, s[0:3], 0 offset:280
	buffer_load_dword v224, off, s[0:3], 0 offset:284
	;; [unrolled: 1-line block ×6, first 2 shown]
	ds_read2_b64 v[167:170], v108 offset0:79 offset1:80
	buffer_load_dword v229, off, s[0:3], 0 offset:304
	buffer_load_dword v230, off, s[0:3], 0 offset:308
	s_waitcnt vmcnt(32)
	v_mul_f32_e32 v54, v161, v28
	v_fmac_f32_e32 v54, v162, v27
	v_add_f32_e32 v37, v37, v54
	s_waitcnt vmcnt(30) lgkmcnt(1)
	v_mul_f32_e32 v54, v163, v30
	v_fmac_f32_e32 v54, v164, v29
	v_add_f32_e32 v37, v37, v54
	buffer_load_dword v54, off, s[0:3], 0 offset:312
	buffer_load_dword v231, off, s[0:3], 0 offset:316
	;; [unrolled: 1-line block ×14, first 2 shown]
	s_waitcnt vmcnt(42)
	v_mul_f32_e32 v171, v165, v32
	v_fmac_f32_e32 v171, v166, v31
	v_add_f32_e32 v37, v37, v171
	s_waitcnt vmcnt(40) lgkmcnt(0)
	v_mul_f32_e32 v171, v167, v34
	v_fmac_f32_e32 v171, v168, v33
	v_add_f32_e32 v37, v37, v171
	ds_read2_b64 v[171:174], v108 offset0:81 offset1:82
	buffer_load_dword v244, off, s[0:3], 0 offset:368
	buffer_load_dword v245, off, s[0:3], 0 offset:372
	s_waitcnt vmcnt(40)
	v_mul_f32_e32 v175, v169, v36
	v_fmac_f32_e32 v175, v170, v35
	v_add_f32_e32 v37, v37, v175
	ds_read2_b64 v[175:178], v108 offset0:83 offset1:84
	buffer_load_dword v246, off, s[0:3], 0 offset:376
	buffer_load_dword v247, off, s[0:3], 0 offset:380
	buffer_load_dword v248, off, s[0:3], 0 offset:388
	buffer_load_dword v249, off, s[0:3], 0 offset:392
	buffer_load_dword v250, off, s[0:3], 0 offset:396
	buffer_load_dword v251, off, s[0:3], 0 offset:384
	buffer_load_dword v252, off, s[0:3], 0 offset:400
	buffer_load_dword v253, off, s[0:3], 0 offset:404
	buffer_load_dword v254, off, s[0:3], 0 offset:412
	buffer_load_dword v255, off, s[0:3], 0 offset:416
	buffer_load_dword v55, off, s[0:3], 0 offset:420
	buffer_load_dword v56, off, s[0:3], 0 offset:408
	s_waitcnt vmcnt(51) lgkmcnt(1)
	v_mul_f32_e32 v179, v171, v39
	s_waitcnt vmcnt(50)
	v_fmac_f32_e32 v179, v172, v40
	v_add_f32_e32 v37, v37, v179
	s_waitcnt vmcnt(48)
	v_mul_f32_e32 v179, v173, v42
	v_fmac_f32_e32 v179, v174, v41
	v_add_f32_e32 v37, v37, v179
	s_waitcnt vmcnt(46) lgkmcnt(0)
	v_mul_f32_e32 v179, v175, v44
	v_fmac_f32_e32 v179, v176, v43
	v_add_f32_e32 v37, v37, v179
	ds_read2_b64 v[179:182], v108 offset0:85 offset1:86
	s_waitcnt vmcnt(44)
	v_mul_f32_e32 v183, v177, v45
	v_fmac_f32_e32 v183, v178, v38
	v_add_f32_e32 v37, v37, v183
	ds_read2_b64 v[183:186], v108 offset0:87 offset1:88
	s_waitcnt vmcnt(42) lgkmcnt(1)
	v_mul_f32_e32 v187, v179, v48
	v_fmac_f32_e32 v187, v180, v47
	v_add_f32_e32 v37, v37, v187
	s_waitcnt vmcnt(41)
	v_mul_f32_e32 v187, v181, v49
	s_waitcnt vmcnt(38)
	v_fmac_f32_e32 v187, v182, v52
	v_add_f32_e32 v37, v37, v187
	s_waitcnt lgkmcnt(0)
	v_mul_f32_e32 v187, v183, v51
	v_fmac_f32_e32 v187, v184, v50
	v_add_f32_e32 v37, v37, v187
	ds_read2_b64 v[187:190], v108 offset0:89 offset1:90
	s_waitcnt vmcnt(36)
	v_mul_f32_e32 v191, v185, v53
	v_fmac_f32_e32 v191, v186, v46
	v_add_f32_e32 v37, v37, v191
	ds_read2_b64 v[191:194], v108 offset0:91 offset1:92
	s_waitcnt vmcnt(34) lgkmcnt(1)
	v_mul_f32_e32 v195, v187, v224
	v_fmac_f32_e32 v195, v188, v223
	v_add_f32_e32 v37, v37, v195
	s_waitcnt vmcnt(33)
	v_mul_f32_e32 v195, v189, v225
	s_waitcnt vmcnt(30)
	v_fmac_f32_e32 v195, v190, v228
	v_add_f32_e32 v37, v37, v195
	s_waitcnt lgkmcnt(0)
	;; [unrolled: 19-line block ×4, first 2 shown]
	v_mul_f32_e32 v211, v207, v242
	v_fmac_f32_e32 v211, v208, v241
	v_add_f32_e32 v37, v37, v211
	ds_read2_b64 v[211:214], v108 offset0:101 offset1:102
	s_waitcnt vmcnt(12)
	v_mul_f32_e32 v215, v209, v245
	v_fmac_f32_e32 v215, v210, v244
	v_add_f32_e32 v37, v37, v215
	ds_read2_b64 v[215:218], v108 offset0:103 offset1:104
	s_waitcnt vmcnt(10) lgkmcnt(1)
	v_mul_f32_e32 v219, v211, v247
	v_fmac_f32_e32 v219, v212, v246
	v_add_f32_e32 v37, v37, v219
	s_waitcnt vmcnt(9)
	v_mul_f32_e32 v219, v213, v248
	s_waitcnt vmcnt(6)
	v_fmac_f32_e32 v219, v214, v251
	v_add_f32_e32 v37, v37, v219
	ds_read2_b64 v[219:222], v108 offset0:105 offset1:106
	s_waitcnt lgkmcnt(1)
	v_mul_f32_e32 v57, v215, v250
	v_fmac_f32_e32 v57, v216, v249
	v_add_f32_e32 v37, v37, v57
	s_waitcnt vmcnt(4)
	v_mul_f32_e32 v57, v217, v253
	v_fmac_f32_e32 v57, v218, v252
	v_add_f32_e32 v37, v37, v57
	s_waitcnt vmcnt(3) lgkmcnt(0)
	v_mul_f32_e32 v57, v219, v254
	s_waitcnt vmcnt(0)
	v_fmac_f32_e32 v57, v220, v56
	v_add_f32_e32 v37, v37, v57
	v_mul_f32_e32 v57, v221, v55
	v_fmac_f32_e32 v57, v222, v255
	v_add_f32_e32 v37, v37, v57
	v_mul_f32_e32 v57, v124, v115
	v_fma_f32 v3, v123, v3, -v57
	v_mul_f32_e32 v57, v126, v114
	v_add_f32_e32 v3, 0, v3
	v_fma_f32 v2, v125, v2, -v57
	v_add_f32_e32 v2, v3, v2
	v_mul_f32_e32 v3, v128, v113
	v_fma_f32 v1, v127, v1, -v3
	v_add_f32_e32 v1, v2, v1
	v_mul_f32_e32 v2, v130, v112
	;; [unrolled: 3-line block ×48, first 2 shown]
	v_fma_f32 v2, v221, v255, -v2
	v_add_f32_e32 v1, v1, v2
	v_sub_f32_e32 v1, v116, v1
	v_sub_f32_e32 v2, v117, v37
	buffer_store_dword v1, off, s[0:3], 0 offset:16
	buffer_store_dword v2, off, s[0:3], 0 offset:20
	s_and_saveexec_b64 s[4:5], vcc
	s_cbranch_execz .LBB52_329
; %bb.328:
	buffer_load_dword v108, off, s[0:3], 0 offset:8
	buffer_load_dword v109, off, s[0:3], 0 offset:12
	v_mov_b32_e32 v1, 0
	buffer_store_dword v1, off, s[0:3], 0 offset:8
	buffer_store_dword v1, off, s[0:3], 0 offset:12
	s_waitcnt vmcnt(2)
	ds_write_b64 v107, v[108:109]
.LBB52_329:
	s_or_b64 exec, exec, s[4:5]
	s_waitcnt lgkmcnt(0)
	; wave barrier
	buffer_load_dword v117, off, s[0:3], 0 offset:20
	buffer_load_dword v116, off, s[0:3], 0 offset:28
	;; [unrolled: 1-line block ×50, first 2 shown]
	v_mov_b32_e32 v108, 0
	ds_read_b128 v[124:127], v108 offset:448
	ds_read_b128 v[128:131], v108 offset:464
	ds_read_b128 v[132:135], v108 offset:480
	ds_read_b128 v[136:139], v108 offset:496
	ds_read_b128 v[140:143], v108 offset:512
	ds_read_b128 v[144:147], v108 offset:528
	ds_read_b128 v[148:151], v108 offset:544
	v_cmp_ne_u32_e32 vcc, 0, v0
	s_waitcnt vmcnt(49) lgkmcnt(6)
	v_mul_f32_e32 v36, v124, v117
	s_waitcnt vmcnt(48)
	v_mul_f32_e32 v37, v126, v116
	s_waitcnt vmcnt(47) lgkmcnt(5)
	v_mul_f32_e32 v38, v128, v113
	s_waitcnt vmcnt(46)
	v_mul_f32_e32 v39, v130, v112
	s_waitcnt vmcnt(45) lgkmcnt(4)
	v_mul_f32_e32 v40, v132, v111
	s_waitcnt vmcnt(44)
	v_mul_f32_e32 v41, v134, v110
	s_waitcnt vmcnt(43) lgkmcnt(3)
	v_mul_f32_e32 v42, v136, v109
	s_waitcnt vmcnt(42)
	v_mul_f32_e32 v43, v138, v118
	s_waitcnt vmcnt(41) lgkmcnt(2)
	v_mul_f32_e32 v44, v140, v119
	s_waitcnt vmcnt(40)
	v_mul_f32_e32 v45, v142, v120
	s_waitcnt vmcnt(39) lgkmcnt(1)
	v_mul_f32_e32 v46, v144, v121
	s_waitcnt vmcnt(38)
	v_mul_f32_e32 v47, v146, v122
	s_waitcnt vmcnt(37)
	v_fmac_f32_e32 v38, v129, v1
	s_waitcnt vmcnt(36)
	v_fmac_f32_e32 v37, v127, v2
	;; [unrolled: 2-line block ×3, first 2 shown]
	v_add_f32_e32 v36, 0, v36
	v_add_f32_e32 v36, v36, v37
	;; [unrolled: 1-line block ×3, first 2 shown]
	s_waitcnt vmcnt(31)
	v_fmac_f32_e32 v39, v131, v7
	v_fmac_f32_e32 v40, v133, v6
	v_add_f32_e32 v36, v36, v39
	v_fmac_f32_e32 v41, v135, v5
	v_add_f32_e32 v36, v36, v40
	;; [unrolled: 2-line block ×3, first 2 shown]
	s_waitcnt vmcnt(27)
	v_fmac_f32_e32 v43, v139, v10
	v_add_f32_e32 v36, v36, v42
	v_fmac_f32_e32 v44, v141, v9
	v_add_f32_e32 v36, v36, v43
	;; [unrolled: 2-line block ×4, first 2 shown]
	buffer_load_dword v37, off, s[0:3], 0 offset:208
	buffer_load_dword v38, off, s[0:3], 0 offset:212
	ds_read_b128 v[152:155], v108 offset:560
	v_add_f32_e32 v36, v36, v46
	s_waitcnt vmcnt(25)
	v_fmac_f32_e32 v47, v147, v14
	s_waitcnt vmcnt(24) lgkmcnt(1)
	v_mul_f32_e32 v39, v148, v15
	v_add_f32_e32 v36, v36, v47
	v_fmac_f32_e32 v39, v149, v13
	v_add_f32_e32 v36, v36, v39
	s_waitcnt vmcnt(23)
	v_mul_f32_e32 v39, v150, v16
	v_fmac_f32_e32 v39, v151, v12
	v_add_f32_e32 v36, v36, v39
	s_waitcnt vmcnt(22) lgkmcnt(0)
	v_mul_f32_e32 v39, v152, v17
	v_fmac_f32_e32 v39, v153, v11
	v_add_f32_e32 v36, v36, v39
	buffer_load_dword v39, off, s[0:3], 0 offset:220
	buffer_load_dword v40, off, s[0:3], 0 offset:216
	;; [unrolled: 1-line block ×4, first 2 shown]
	s_waitcnt vmcnt(25)
	v_mul_f32_e32 v43, v154, v18
	s_waitcnt vmcnt(18)
	v_fmac_f32_e32 v43, v155, v25
	ds_read_b128 v[156:159], v108 offset:576
	ds_read_b128 v[160:163], v108 offset:592
	v_add_f32_e32 v36, v36, v43
	buffer_load_dword v43, off, s[0:3], 0 offset:232
	buffer_load_dword v44, off, s[0:3], 0 offset:236
	;; [unrolled: 1-line block ×8, first 2 shown]
	s_waitcnt lgkmcnt(1)
	v_mul_f32_e32 v45, v156, v20
	v_fmac_f32_e32 v45, v157, v19
	v_add_f32_e32 v36, v36, v45
	v_mul_f32_e32 v45, v158, v22
	buffer_load_dword v52, off, s[0:3], 0 offset:264
	buffer_load_dword v53, off, s[0:3], 0 offset:268
	v_fmac_f32_e32 v45, v159, v21
	v_add_f32_e32 v36, v36, v45
	s_waitcnt lgkmcnt(0)
	v_mul_f32_e32 v45, v160, v24
	v_fmac_f32_e32 v45, v161, v23
	v_add_f32_e32 v36, v36, v45
	s_waitcnt vmcnt(24)
	v_mul_f32_e32 v45, v162, v27
	v_fmac_f32_e32 v45, v163, v26
	ds_read_b128 v[164:167], v108 offset:608
	v_add_f32_e32 v36, v36, v45
	buffer_load_dword v45, off, s[0:3], 0 offset:272
	buffer_load_dword v54, off, s[0:3], 0 offset:276
	;; [unrolled: 1-line block ×6, first 2 shown]
	ds_read_b128 v[168:171], v108 offset:624
	buffer_load_dword v226, off, s[0:3], 0 offset:296
	buffer_load_dword v227, off, s[0:3], 0 offset:300
	buffer_load_dword v228, off, s[0:3], 0 offset:304
	buffer_load_dword v229, off, s[0:3], 0 offset:308
	buffer_load_dword v230, off, s[0:3], 0 offset:316
	buffer_load_dword v231, off, s[0:3], 0 offset:320
	buffer_load_dword v232, off, s[0:3], 0 offset:324
	buffer_load_dword v233, off, s[0:3], 0 offset:312
	s_waitcnt vmcnt(36) lgkmcnt(1)
	v_mul_f32_e32 v172, v164, v29
	buffer_load_dword v234, off, s[0:3], 0 offset:328
	buffer_load_dword v235, off, s[0:3], 0 offset:332
	v_fmac_f32_e32 v172, v165, v28
	v_add_f32_e32 v36, v36, v172
	s_waitcnt vmcnt(36)
	v_mul_f32_e32 v172, v166, v31
	v_fmac_f32_e32 v172, v167, v30
	v_add_f32_e32 v36, v36, v172
	s_waitcnt vmcnt(34) lgkmcnt(0)
	v_mul_f32_e32 v172, v168, v33
	v_fmac_f32_e32 v172, v169, v32
	v_add_f32_e32 v36, v36, v172
	ds_read_b128 v[172:175], v108 offset:640
	buffer_load_dword v236, off, s[0:3], 0 offset:336
	buffer_load_dword v237, off, s[0:3], 0 offset:340
	;; [unrolled: 1-line block ×6, first 2 shown]
	s_waitcnt vmcnt(38)
	v_mul_f32_e32 v176, v170, v35
	v_fmac_f32_e32 v176, v171, v34
	v_add_f32_e32 v36, v36, v176
	ds_read_b128 v[176:179], v108 offset:656
	buffer_load_dword v242, off, s[0:3], 0 offset:360
	buffer_load_dword v243, off, s[0:3], 0 offset:364
	;; [unrolled: 1-line block ×16, first 2 shown]
	s_waitcnt vmcnt(52) lgkmcnt(1)
	v_mul_f32_e32 v180, v172, v38
	v_fmac_f32_e32 v180, v173, v37
	v_add_f32_e32 v36, v36, v180
	s_waitcnt vmcnt(51)
	v_mul_f32_e32 v180, v174, v39
	s_waitcnt vmcnt(50)
	v_fmac_f32_e32 v180, v175, v40
	v_add_f32_e32 v36, v36, v180
	s_waitcnt vmcnt(48) lgkmcnt(0)
	v_mul_f32_e32 v180, v176, v42
	v_fmac_f32_e32 v180, v177, v41
	v_add_f32_e32 v36, v36, v180
	ds_read_b128 v[180:183], v108 offset:672
	s_waitcnt vmcnt(46)
	v_mul_f32_e32 v184, v178, v44
	v_fmac_f32_e32 v184, v179, v43
	v_add_f32_e32 v36, v36, v184
	ds_read_b128 v[184:187], v108 offset:688
	s_waitcnt vmcnt(44) lgkmcnt(1)
	v_mul_f32_e32 v188, v180, v47
	v_fmac_f32_e32 v188, v181, v46
	v_add_f32_e32 v36, v36, v188
	s_waitcnt vmcnt(43)
	v_mul_f32_e32 v188, v182, v48
	s_waitcnt vmcnt(40)
	v_fmac_f32_e32 v188, v183, v51
	v_add_f32_e32 v36, v36, v188
	s_waitcnt lgkmcnt(0)
	v_mul_f32_e32 v188, v184, v50
	v_fmac_f32_e32 v188, v185, v49
	v_add_f32_e32 v36, v36, v188
	ds_read_b128 v[188:191], v108 offset:704
	s_waitcnt vmcnt(38)
	v_mul_f32_e32 v192, v186, v53
	v_fmac_f32_e32 v192, v187, v52
	v_add_f32_e32 v36, v36, v192
	ds_read_b128 v[192:195], v108 offset:720
	s_waitcnt vmcnt(36) lgkmcnt(1)
	v_mul_f32_e32 v196, v188, v54
	v_fmac_f32_e32 v196, v189, v45
	v_add_f32_e32 v36, v36, v196
	s_waitcnt vmcnt(35)
	v_mul_f32_e32 v196, v190, v55
	s_waitcnt vmcnt(32)
	v_fmac_f32_e32 v196, v191, v58
	v_add_f32_e32 v36, v36, v196
	s_waitcnt lgkmcnt(0)
	;; [unrolled: 19-line block ×5, first 2 shown]
	v_mul_f32_e32 v220, v216, v248
	v_fmac_f32_e32 v220, v217, v247
	v_add_f32_e32 v36, v36, v220
	ds_read_b128 v[220:223], v108 offset:832
	s_waitcnt vmcnt(6)
	v_mul_f32_e32 v224, v218, v251
	v_fmac_f32_e32 v224, v219, v250
	v_add_f32_e32 v36, v36, v224
	ds_read_b64 v[224:225], v108 offset:848
	s_waitcnt vmcnt(4) lgkmcnt(1)
	v_mul_f32_e32 v61, v220, v253
	v_fmac_f32_e32 v61, v221, v252
	v_add_f32_e32 v36, v36, v61
	s_waitcnt vmcnt(3)
	v_mul_f32_e32 v61, v222, v254
	s_waitcnt vmcnt(0)
	v_fmac_f32_e32 v61, v223, v60
	v_add_f32_e32 v36, v36, v61
	s_waitcnt lgkmcnt(0)
	v_mul_f32_e32 v61, v224, v59
	v_fmac_f32_e32 v61, v225, v255
	v_add_f32_e32 v36, v36, v61
	v_mul_f32_e32 v61, v125, v117
	v_fma_f32 v3, v124, v3, -v61
	v_mul_f32_e32 v61, v127, v116
	v_add_f32_e32 v3, 0, v3
	v_fma_f32 v2, v126, v2, -v61
	v_add_f32_e32 v2, v3, v2
	v_mul_f32_e32 v3, v129, v113
	v_fma_f32 v1, v128, v1, -v3
	v_add_f32_e32 v1, v2, v1
	v_mul_f32_e32 v2, v131, v112
	;; [unrolled: 3-line block ×49, first 2 shown]
	v_fma_f32 v2, v224, v255, -v2
	v_add_f32_e32 v1, v1, v2
	v_sub_f32_e32 v1, v114, v1
	v_sub_f32_e32 v2, v115, v36
	buffer_store_dword v1, off, s[0:3], 0 offset:8
	buffer_store_dword v2, off, s[0:3], 0 offset:12
	s_and_saveexec_b64 s[4:5], vcc
	s_cbranch_execz .LBB52_331
; %bb.330:
	buffer_load_dword v109, off, s[0:3], 0
	buffer_load_dword v110, off, s[0:3], 0 offset:4
	s_waitcnt vmcnt(0)
	ds_write_b64 v107, v[109:110]
	buffer_store_dword v108, off, s[0:3], 0
	buffer_store_dword v108, off, s[0:3], 0 offset:4
.LBB52_331:
	s_or_b64 exec, exec, s[4:5]
	s_waitcnt lgkmcnt(0)
	; wave barrier
	buffer_load_dword v115, off, s[0:3], 0 offset:12
	buffer_load_dword v112, off, s[0:3], 0 offset:20
	;; [unrolled: 1-line block ×38, first 2 shown]
	buffer_load_dword v113, off, s[0:3], 0
	buffer_load_dword v114, off, s[0:3], 0 offset:4
	ds_read2_b64 v[130:133], v108 offset0:55 offset1:56
	ds_read2_b64 v[134:137], v108 offset0:57 offset1:58
	;; [unrolled: 1-line block ×6, first 2 shown]
	buffer_load_dword v18, off, s[0:3], 0 offset:160
	buffer_load_dword v19, off, s[0:3], 0 offset:164
	;; [unrolled: 1-line block ×12, first 2 shown]
	ds_read2_b64 v[154:157], v108 offset0:67 offset1:68
	ds_read2_b64 v[158:161], v108 offset0:69 offset1:70
	s_and_b64 vcc, exec, s[22:23]
	s_waitcnt vmcnt(51) lgkmcnt(7)
	v_mul_f32_e32 v30, v130, v115
	s_waitcnt vmcnt(50)
	v_mul_f32_e32 v31, v132, v112
	s_waitcnt vmcnt(49) lgkmcnt(6)
	v_mul_f32_e32 v32, v134, v111
	s_waitcnt vmcnt(48)
	v_mul_f32_e32 v33, v136, v110
	;; [unrolled: 4-line block ×5, first 2 shown]
	s_waitcnt vmcnt(41) lgkmcnt(2)
	v_mul_f32_e32 v40, v150, v119
	s_waitcnt vmcnt(40)
	v_fmac_f32_e32 v32, v135, v126
	s_waitcnt vmcnt(39)
	v_fmac_f32_e32 v31, v133, v129
	;; [unrolled: 2-line block ×3, first 2 shown]
	v_add_f32_e32 v30, 0, v30
	v_add_f32_e32 v30, v30, v31
	;; [unrolled: 1-line block ×3, first 2 shown]
	s_waitcnt vmcnt(34)
	v_fmac_f32_e32 v33, v137, v2
	v_fmac_f32_e32 v34, v139, v128
	v_add_f32_e32 v30, v30, v33
	v_fmac_f32_e32 v35, v141, v125
	v_add_f32_e32 v30, v30, v34
	buffer_load_dword v32, off, s[0:3], 0 offset:208
	buffer_load_dword v33, off, s[0:3], 0 offset:212
	v_fmac_f32_e32 v36, v143, v122
	v_add_f32_e32 v30, v30, v35
	s_waitcnt vmcnt(32)
	v_fmac_f32_e32 v37, v145, v127
	v_add_f32_e32 v30, v30, v36
	buffer_load_dword v34, off, s[0:3], 0 offset:216
	buffer_load_dword v35, off, s[0:3], 0 offset:220
	v_add_f32_e32 v30, v30, v37
	ds_read2_b64 v[162:165], v108 offset0:71 offset1:72
	buffer_load_dword v36, off, s[0:3], 0 offset:224
	buffer_load_dword v37, off, s[0:3], 0 offset:228
	v_fmac_f32_e32 v38, v147, v124
	v_fmac_f32_e32 v39, v149, v121
	v_add_f32_e32 v30, v30, v38
	v_fmac_f32_e32 v40, v151, v120
	v_add_f32_e32 v30, v30, v39
	s_waitcnt vmcnt(35)
	v_mul_f32_e32 v31, v152, v123
	v_add_f32_e32 v30, v30, v40
	s_waitcnt vmcnt(31)
	v_fmac_f32_e32 v31, v153, v6
	v_add_f32_e32 v30, v30, v31
	s_waitcnt vmcnt(30) lgkmcnt(2)
	v_mul_f32_e32 v31, v154, v7
	v_fmac_f32_e32 v31, v155, v5
	v_add_f32_e32 v30, v30, v31
	s_waitcnt vmcnt(29)
	v_mul_f32_e32 v31, v156, v8
	v_fmac_f32_e32 v31, v157, v4
	v_add_f32_e32 v30, v30, v31
	s_waitcnt vmcnt(28) lgkmcnt(1)
	v_mul_f32_e32 v31, v158, v9
	v_fmac_f32_e32 v31, v159, v3
	v_add_f32_e32 v30, v30, v31
	s_waitcnt vmcnt(27)
	v_mul_f32_e32 v31, v160, v10
	s_waitcnt vmcnt(21)
	v_fmac_f32_e32 v31, v161, v16
	ds_read2_b64 v[166:169], v108 offset0:73 offset1:74
	v_add_f32_e32 v30, v30, v31
	s_waitcnt vmcnt(20) lgkmcnt(1)
	v_mul_f32_e32 v31, v162, v17
	v_fmac_f32_e32 v31, v163, v15
	v_add_f32_e32 v30, v30, v31
	v_mul_f32_e32 v31, v164, v12
	v_fmac_f32_e32 v31, v165, v11
	v_add_f32_e32 v30, v30, v31
	s_waitcnt lgkmcnt(0)
	v_mul_f32_e32 v31, v166, v14
	v_fmac_f32_e32 v31, v167, v13
	v_add_f32_e32 v30, v30, v31
	buffer_load_dword v31, off, s[0:3], 0 offset:232
	buffer_load_dword v38, off, s[0:3], 0 offset:236
	;; [unrolled: 1-line block ×6, first 2 shown]
	s_waitcnt vmcnt(22)
	v_mul_f32_e32 v43, v168, v19
	v_fmac_f32_e32 v43, v169, v18
	ds_read2_b64 v[170:173], v108 offset0:75 offset1:76
	v_add_f32_e32 v30, v30, v43
	buffer_load_dword v43, off, s[0:3], 0 offset:256
	buffer_load_dword v44, off, s[0:3], 0 offset:260
	ds_read2_b64 v[174:177], v108 offset0:77 offset1:78
	buffer_load_dword v46, off, s[0:3], 0 offset:264
	buffer_load_dword v47, off, s[0:3], 0 offset:268
	;; [unrolled: 1-line block ×14, first 2 shown]
	s_waitcnt vmcnt(36) lgkmcnt(1)
	v_mul_f32_e32 v45, v170, v21
	v_fmac_f32_e32 v45, v171, v20
	v_add_f32_e32 v30, v30, v45
	s_waitcnt vmcnt(34)
	v_mul_f32_e32 v45, v172, v23
	buffer_load_dword v60, off, s[0:3], 0 offset:320
	buffer_load_dword v61, off, s[0:3], 0 offset:324
	v_fmac_f32_e32 v45, v173, v22
	v_add_f32_e32 v30, v30, v45
	s_waitcnt vmcnt(34) lgkmcnt(0)
	v_mul_f32_e32 v45, v174, v25
	v_fmac_f32_e32 v45, v175, v24
	v_add_f32_e32 v30, v30, v45
	s_waitcnt vmcnt(32)
	v_mul_f32_e32 v45, v176, v27
	v_fmac_f32_e32 v45, v177, v26
	ds_read2_b64 v[178:181], v108 offset0:79 offset1:80
	v_add_f32_e32 v30, v30, v45
	buffer_load_dword v45, off, s[0:3], 0 offset:328
	buffer_load_dword v62, off, s[0:3], 0 offset:332
	;; [unrolled: 1-line block ×6, first 2 shown]
	ds_read2_b64 v[182:185], v108 offset0:81 offset1:82
	buffer_load_dword v238, off, s[0:3], 0 offset:352
	buffer_load_dword v239, off, s[0:3], 0 offset:356
	;; [unrolled: 1-line block ×10, first 2 shown]
	s_waitcnt vmcnt(46) lgkmcnt(1)
	v_mul_f32_e32 v186, v178, v29
	v_fmac_f32_e32 v186, v179, v28
	v_add_f32_e32 v30, v30, v186
	buffer_load_dword v248, off, s[0:3], 0 offset:392
	buffer_load_dword v249, off, s[0:3], 0 offset:396
	;; [unrolled: 1-line block ×6, first 2 shown]
	v_mul_f32_e32 v0, v143, v0
	v_fma_f32 v0, v142, v122, -v0
	s_waitcnt vmcnt(50)
	v_mul_f32_e32 v186, v180, v33
	v_fmac_f32_e32 v186, v181, v32
	v_add_f32_e32 v30, v30, v186
	s_waitcnt vmcnt(48) lgkmcnt(0)
	v_mul_f32_e32 v186, v182, v35
	v_fmac_f32_e32 v186, v183, v34
	v_add_f32_e32 v30, v30, v186
	s_waitcnt vmcnt(46)
	v_mul_f32_e32 v190, v184, v37
	v_fmac_f32_e32 v190, v185, v36
	ds_read2_b64 v[186:189], v108 offset0:83 offset1:84
	v_add_f32_e32 v30, v30, v190
	ds_read2_b64 v[190:193], v108 offset0:85 offset1:86
	buffer_load_dword v254, off, s[0:3], 0 offset:416
	buffer_load_dword v255, off, s[0:3], 0 offset:420
	s_waitcnt vmcnt(46) lgkmcnt(1)
	v_mul_f32_e32 v194, v186, v38
	v_fmac_f32_e32 v194, v187, v31
	v_add_f32_e32 v30, v30, v194
	s_waitcnt vmcnt(45)
	v_mul_f32_e32 v194, v188, v39
	s_waitcnt vmcnt(42)
	v_fmac_f32_e32 v194, v189, v42
	v_add_f32_e32 v30, v30, v194
	s_waitcnt lgkmcnt(0)
	v_mul_f32_e32 v194, v190, v41
	v_fmac_f32_e32 v194, v191, v40
	v_add_f32_e32 v30, v30, v194
	ds_read2_b64 v[194:197], v108 offset0:87 offset1:88
	s_waitcnt vmcnt(40)
	v_mul_f32_e32 v198, v192, v44
	v_fmac_f32_e32 v198, v193, v43
	v_add_f32_e32 v30, v30, v198
	ds_read2_b64 v[198:201], v108 offset0:89 offset1:90
	s_waitcnt vmcnt(38) lgkmcnt(1)
	v_mul_f32_e32 v202, v194, v47
	v_fmac_f32_e32 v202, v195, v46
	v_add_f32_e32 v30, v30, v202
	s_waitcnt vmcnt(37)
	v_mul_f32_e32 v202, v196, v48
	s_waitcnt vmcnt(34)
	v_fmac_f32_e32 v202, v197, v51
	v_add_f32_e32 v30, v30, v202
	s_waitcnt lgkmcnt(0)
	v_mul_f32_e32 v202, v198, v50
	v_fmac_f32_e32 v202, v199, v49
	v_add_f32_e32 v30, v30, v202
	ds_read2_b64 v[202:205], v108 offset0:91 offset1:92
	s_waitcnt vmcnt(32)
	v_mul_f32_e32 v206, v200, v53
	v_fmac_f32_e32 v206, v201, v52
	v_add_f32_e32 v30, v30, v206
	ds_read2_b64 v[206:209], v108 offset0:93 offset1:94
	s_waitcnt vmcnt(30) lgkmcnt(1)
	v_mul_f32_e32 v210, v202, v55
	v_fmac_f32_e32 v210, v203, v54
	v_add_f32_e32 v30, v30, v210
	s_waitcnt vmcnt(29)
	v_mul_f32_e32 v210, v204, v56
	s_waitcnt vmcnt(26)
	v_fmac_f32_e32 v210, v205, v59
	v_add_f32_e32 v30, v30, v210
	s_waitcnt lgkmcnt(0)
	v_mul_f32_e32 v210, v206, v58
	v_fmac_f32_e32 v210, v207, v57
	v_add_f32_e32 v30, v30, v210
	ds_read2_b64 v[210:213], v108 offset0:95 offset1:96
	s_waitcnt vmcnt(24)
	v_mul_f32_e32 v214, v208, v61
	v_fmac_f32_e32 v214, v209, v60
	v_add_f32_e32 v30, v30, v214
	ds_read2_b64 v[214:217], v108 offset0:97 offset1:98
	s_waitcnt vmcnt(22) lgkmcnt(1)
	v_mul_f32_e32 v218, v210, v62
	v_fmac_f32_e32 v218, v211, v45
	v_add_f32_e32 v30, v30, v218
	s_waitcnt vmcnt(21)
	v_mul_f32_e32 v218, v212, v234
	s_waitcnt vmcnt(18)
	v_fmac_f32_e32 v218, v213, v237
	v_add_f32_e32 v30, v30, v218
	s_waitcnt lgkmcnt(0)
	v_mul_f32_e32 v218, v214, v236
	v_fmac_f32_e32 v218, v215, v235
	v_add_f32_e32 v30, v30, v218
	ds_read2_b64 v[218:221], v108 offset0:99 offset1:100
	s_waitcnt vmcnt(16)
	v_mul_f32_e32 v222, v216, v239
	v_fmac_f32_e32 v222, v217, v238
	v_add_f32_e32 v30, v30, v222
	ds_read2_b64 v[222:225], v108 offset0:101 offset1:102
	s_waitcnt vmcnt(14) lgkmcnt(1)
	v_mul_f32_e32 v226, v218, v241
	v_fmac_f32_e32 v226, v219, v240
	v_add_f32_e32 v30, v30, v226
	s_waitcnt vmcnt(13)
	v_mul_f32_e32 v226, v220, v242
	s_waitcnt vmcnt(10)
	v_fmac_f32_e32 v226, v221, v245
	v_add_f32_e32 v30, v30, v226
	s_waitcnt lgkmcnt(0)
	v_mul_f32_e32 v226, v222, v244
	v_fmac_f32_e32 v226, v223, v243
	v_add_f32_e32 v30, v30, v226
	ds_read2_b64 v[226:229], v108 offset0:103 offset1:104
	s_waitcnt vmcnt(8)
	v_mul_f32_e32 v230, v224, v247
	v_fmac_f32_e32 v230, v225, v246
	v_add_f32_e32 v30, v30, v230
	ds_read2_b64 v[230:233], v108 offset0:105 offset1:106
	s_waitcnt vmcnt(6) lgkmcnt(1)
	v_mul_f32_e32 v108, v226, v249
	v_fmac_f32_e32 v108, v227, v248
	v_add_f32_e32 v30, v30, v108
	s_waitcnt vmcnt(5)
	v_mul_f32_e32 v108, v228, v250
	s_waitcnt vmcnt(2)
	v_fmac_f32_e32 v108, v229, v253
	v_add_f32_e32 v30, v30, v108
	s_waitcnt lgkmcnt(0)
	v_mul_f32_e32 v108, v230, v252
	v_fmac_f32_e32 v108, v231, v251
	v_add_f32_e32 v30, v30, v108
	s_waitcnt vmcnt(0)
	v_mul_f32_e32 v108, v232, v255
	v_fmac_f32_e32 v108, v233, v254
	v_add_f32_e32 v30, v30, v108
	v_mul_f32_e32 v108, v131, v115
	v_fma_f32 v1, v130, v1, -v108
	v_mul_f32_e32 v108, v133, v112
	v_add_f32_e32 v1, 0, v1
	v_fma_f32 v108, v132, v129, -v108
	v_add_f32_e32 v1, v1, v108
	v_mul_f32_e32 v108, v135, v111
	v_fma_f32 v108, v134, v126, -v108
	v_add_f32_e32 v1, v1, v108
	v_mul_f32_e32 v108, v137, v110
	;; [unrolled: 3-line block ×4, first 2 shown]
	v_fma_f32 v2, v140, v125, -v2
	v_add_f32_e32 v1, v1, v2
	v_add_f32_e32 v0, v1, v0
	v_mul_f32_e32 v1, v145, v116
	v_fma_f32 v1, v144, v127, -v1
	v_add_f32_e32 v0, v0, v1
	v_mul_f32_e32 v1, v147, v117
	v_fma_f32 v1, v146, v124, -v1
	v_add_f32_e32 v0, v0, v1
	v_mul_f32_e32 v1, v149, v118
	v_fma_f32 v1, v148, v121, -v1
	v_add_f32_e32 v0, v0, v1
	v_mul_f32_e32 v1, v151, v119
	v_fma_f32 v1, v150, v120, -v1
	v_add_f32_e32 v0, v0, v1
	v_mul_f32_e32 v1, v153, v123
	v_fma_f32 v1, v152, v6, -v1
	v_add_f32_e32 v0, v0, v1
	v_mul_f32_e32 v1, v155, v7
	v_fma_f32 v1, v154, v5, -v1
	v_add_f32_e32 v0, v0, v1
	v_mul_f32_e32 v1, v157, v8
	v_fma_f32 v1, v156, v4, -v1
	v_add_f32_e32 v0, v0, v1
	v_mul_f32_e32 v1, v159, v9
	v_fma_f32 v1, v158, v3, -v1
	v_add_f32_e32 v0, v0, v1
	v_mul_f32_e32 v1, v161, v10
	v_fma_f32 v1, v160, v16, -v1
	v_add_f32_e32 v0, v0, v1
	v_mul_f32_e32 v1, v163, v17
	v_fma_f32 v1, v162, v15, -v1
	v_add_f32_e32 v0, v0, v1
	v_mul_f32_e32 v1, v165, v12
	v_fma_f32 v1, v164, v11, -v1
	v_add_f32_e32 v0, v0, v1
	v_mul_f32_e32 v1, v167, v14
	v_fma_f32 v1, v166, v13, -v1
	v_add_f32_e32 v0, v0, v1
	v_mul_f32_e32 v1, v169, v19
	v_fma_f32 v1, v168, v18, -v1
	v_add_f32_e32 v0, v0, v1
	v_mul_f32_e32 v1, v171, v21
	v_fma_f32 v1, v170, v20, -v1
	v_add_f32_e32 v0, v0, v1
	v_mul_f32_e32 v1, v173, v23
	v_fma_f32 v1, v172, v22, -v1
	v_add_f32_e32 v0, v0, v1
	v_mul_f32_e32 v1, v175, v25
	v_fma_f32 v1, v174, v24, -v1
	v_add_f32_e32 v0, v0, v1
	v_mul_f32_e32 v1, v177, v27
	v_fma_f32 v1, v176, v26, -v1
	v_add_f32_e32 v0, v0, v1
	v_mul_f32_e32 v1, v179, v29
	v_fma_f32 v1, v178, v28, -v1
	v_add_f32_e32 v0, v0, v1
	v_mul_f32_e32 v1, v181, v33
	v_fma_f32 v1, v180, v32, -v1
	v_add_f32_e32 v0, v0, v1
	v_mul_f32_e32 v1, v183, v35
	v_fma_f32 v1, v182, v34, -v1
	v_add_f32_e32 v0, v0, v1
	v_mul_f32_e32 v1, v185, v37
	v_fma_f32 v1, v184, v36, -v1
	v_add_f32_e32 v0, v0, v1
	v_mul_f32_e32 v1, v187, v38
	v_fma_f32 v1, v186, v31, -v1
	v_add_f32_e32 v0, v0, v1
	v_mul_f32_e32 v1, v189, v39
	v_fma_f32 v1, v188, v42, -v1
	v_add_f32_e32 v0, v0, v1
	v_mul_f32_e32 v1, v191, v41
	v_fma_f32 v1, v190, v40, -v1
	v_add_f32_e32 v0, v0, v1
	v_mul_f32_e32 v1, v193, v44
	v_fma_f32 v1, v192, v43, -v1
	v_add_f32_e32 v0, v0, v1
	v_mul_f32_e32 v1, v195, v47
	v_fma_f32 v1, v194, v46, -v1
	v_add_f32_e32 v0, v0, v1
	v_mul_f32_e32 v1, v197, v48
	v_fma_f32 v1, v196, v51, -v1
	v_add_f32_e32 v0, v0, v1
	v_mul_f32_e32 v1, v199, v50
	v_fma_f32 v1, v198, v49, -v1
	v_add_f32_e32 v0, v0, v1
	v_mul_f32_e32 v1, v201, v53
	v_fma_f32 v1, v200, v52, -v1
	v_add_f32_e32 v0, v0, v1
	v_mul_f32_e32 v1, v203, v55
	v_fma_f32 v1, v202, v54, -v1
	v_add_f32_e32 v0, v0, v1
	v_mul_f32_e32 v1, v205, v56
	v_fma_f32 v1, v204, v59, -v1
	v_add_f32_e32 v0, v0, v1
	v_mul_f32_e32 v1, v207, v58
	v_fma_f32 v1, v206, v57, -v1
	v_add_f32_e32 v0, v0, v1
	v_mul_f32_e32 v1, v209, v61
	v_fma_f32 v1, v208, v60, -v1
	v_add_f32_e32 v0, v0, v1
	v_mul_f32_e32 v1, v211, v62
	v_fma_f32 v1, v210, v45, -v1
	v_add_f32_e32 v0, v0, v1
	v_mul_f32_e32 v1, v213, v234
	v_fma_f32 v1, v212, v237, -v1
	v_add_f32_e32 v0, v0, v1
	v_mul_f32_e32 v1, v215, v236
	v_fma_f32 v1, v214, v235, -v1
	v_add_f32_e32 v0, v0, v1
	v_mul_f32_e32 v1, v217, v239
	v_fma_f32 v1, v216, v238, -v1
	v_add_f32_e32 v0, v0, v1
	v_mul_f32_e32 v1, v219, v241
	v_fma_f32 v1, v218, v240, -v1
	v_add_f32_e32 v0, v0, v1
	v_mul_f32_e32 v1, v221, v242
	v_fma_f32 v1, v220, v245, -v1
	v_add_f32_e32 v0, v0, v1
	v_mul_f32_e32 v1, v223, v244
	v_fma_f32 v1, v222, v243, -v1
	v_add_f32_e32 v0, v0, v1
	v_mul_f32_e32 v1, v225, v247
	v_fma_f32 v1, v224, v246, -v1
	v_add_f32_e32 v0, v0, v1
	v_mul_f32_e32 v1, v227, v249
	v_fma_f32 v1, v226, v248, -v1
	v_add_f32_e32 v0, v0, v1
	v_mul_f32_e32 v1, v229, v250
	v_fma_f32 v1, v228, v253, -v1
	v_add_f32_e32 v0, v0, v1
	v_mul_f32_e32 v1, v231, v252
	v_fma_f32 v1, v230, v251, -v1
	v_add_f32_e32 v0, v0, v1
	v_mul_f32_e32 v1, v233, v255
	v_fma_f32 v1, v232, v254, -v1
	v_add_f32_e32 v0, v0, v1
	v_sub_f32_e32 v0, v113, v0
	v_sub_f32_e32 v1, v114, v30
	buffer_store_dword v0, off, s[0:3], 0
	buffer_store_dword v1, off, s[0:3], 0 offset:4
	s_cbranch_vccz .LBB52_436
; %bb.332:
	v_mov_b32_e32 v0, 0
	global_load_dword v107, v0, s[20:21] offset:204
	s_waitcnt vmcnt(0)
	v_add_u32_e32 v107, -1, v107
	v_cmp_ne_u32_e32 vcc, 51, v107
	s_cbranch_vccz .LBB52_334
; %bb.333:
	v_lshlrev_b32_e32 v1, 3, v107
	buffer_load_dword v2, v1, s[0:3], 0 offen
	buffer_load_dword v3, v1, s[0:3], 0 offen offset:4
	buffer_load_dword v4, off, s[0:3], 0 offset:408
	buffer_load_dword v5, off, s[0:3], 0 offset:412
	s_waitcnt vmcnt(3)
	buffer_store_dword v2, off, s[0:3], 0 offset:408
	s_waitcnt vmcnt(3)
	buffer_store_dword v3, off, s[0:3], 0 offset:412
	s_waitcnt vmcnt(3)
	buffer_store_dword v4, v1, s[0:3], 0 offen
	s_waitcnt vmcnt(3)
	buffer_store_dword v5, v1, s[0:3], 0 offen offset:4
.LBB52_334:
	global_load_dword v0, v0, s[20:21] offset:200
	s_waitcnt vmcnt(0)
	v_add_u32_e32 v0, -1, v0
	v_cmp_eq_u32_e32 vcc, 50, v0
	s_cbranch_vccnz .LBB52_336
; %bb.335:
	v_lshlrev_b32_e32 v0, 3, v0
	buffer_load_dword v1, v0, s[0:3], 0 offen
	buffer_load_dword v2, v0, s[0:3], 0 offen offset:4
	buffer_load_dword v3, off, s[0:3], 0 offset:404
	buffer_load_dword v4, off, s[0:3], 0 offset:400
	s_waitcnt vmcnt(3)
	buffer_store_dword v1, off, s[0:3], 0 offset:400
	s_waitcnt vmcnt(3)
	buffer_store_dword v2, off, s[0:3], 0 offset:404
	s_waitcnt vmcnt(3)
	buffer_store_dword v3, v0, s[0:3], 0 offen offset:4
	s_waitcnt vmcnt(3)
	buffer_store_dword v4, v0, s[0:3], 0 offen
.LBB52_336:
	v_mov_b32_e32 v0, 0
	global_load_dword v1, v0, s[20:21] offset:196
	s_waitcnt vmcnt(0)
	v_add_u32_e32 v107, -1, v1
	v_cmp_eq_u32_e32 vcc, 49, v107
	s_cbranch_vccnz .LBB52_338
; %bb.337:
	v_lshlrev_b32_e32 v1, 3, v107
	buffer_load_dword v2, v1, s[0:3], 0 offen
	buffer_load_dword v3, v1, s[0:3], 0 offen offset:4
	buffer_load_dword v4, off, s[0:3], 0 offset:392
	buffer_load_dword v5, off, s[0:3], 0 offset:396
	s_waitcnt vmcnt(3)
	buffer_store_dword v2, off, s[0:3], 0 offset:392
	s_waitcnt vmcnt(3)
	buffer_store_dword v3, off, s[0:3], 0 offset:396
	s_waitcnt vmcnt(3)
	buffer_store_dword v4, v1, s[0:3], 0 offen
	s_waitcnt vmcnt(3)
	buffer_store_dword v5, v1, s[0:3], 0 offen offset:4
.LBB52_338:
	global_load_dword v0, v0, s[20:21] offset:192
	s_waitcnt vmcnt(0)
	v_add_u32_e32 v0, -1, v0
	v_cmp_eq_u32_e32 vcc, 48, v0
	s_cbranch_vccnz .LBB52_340
; %bb.339:
	v_lshlrev_b32_e32 v0, 3, v0
	buffer_load_dword v1, v0, s[0:3], 0 offen
	buffer_load_dword v2, v0, s[0:3], 0 offen offset:4
	buffer_load_dword v3, off, s[0:3], 0 offset:388
	buffer_load_dword v4, off, s[0:3], 0 offset:384
	s_waitcnt vmcnt(3)
	buffer_store_dword v1, off, s[0:3], 0 offset:384
	s_waitcnt vmcnt(3)
	buffer_store_dword v2, off, s[0:3], 0 offset:388
	s_waitcnt vmcnt(3)
	buffer_store_dword v3, v0, s[0:3], 0 offen offset:4
	s_waitcnt vmcnt(3)
	buffer_store_dword v4, v0, s[0:3], 0 offen
.LBB52_340:
	v_mov_b32_e32 v0, 0
	global_load_dword v1, v0, s[20:21] offset:188
	s_waitcnt vmcnt(0)
	v_add_u32_e32 v107, -1, v1
	v_cmp_eq_u32_e32 vcc, 47, v107
	s_cbranch_vccnz .LBB52_342
; %bb.341:
	v_lshlrev_b32_e32 v1, 3, v107
	buffer_load_dword v2, v1, s[0:3], 0 offen
	buffer_load_dword v3, v1, s[0:3], 0 offen offset:4
	buffer_load_dword v4, off, s[0:3], 0 offset:376
	buffer_load_dword v5, off, s[0:3], 0 offset:380
	s_waitcnt vmcnt(3)
	buffer_store_dword v2, off, s[0:3], 0 offset:376
	s_waitcnt vmcnt(3)
	buffer_store_dword v3, off, s[0:3], 0 offset:380
	s_waitcnt vmcnt(3)
	buffer_store_dword v4, v1, s[0:3], 0 offen
	s_waitcnt vmcnt(3)
	buffer_store_dword v5, v1, s[0:3], 0 offen offset:4
.LBB52_342:
	global_load_dword v0, v0, s[20:21] offset:184
	s_waitcnt vmcnt(0)
	v_add_u32_e32 v0, -1, v0
	v_cmp_eq_u32_e32 vcc, 46, v0
	s_cbranch_vccnz .LBB52_344
; %bb.343:
	v_lshlrev_b32_e32 v0, 3, v0
	buffer_load_dword v1, v0, s[0:3], 0 offen
	buffer_load_dword v2, v0, s[0:3], 0 offen offset:4
	buffer_load_dword v3, off, s[0:3], 0 offset:372
	buffer_load_dword v4, off, s[0:3], 0 offset:368
	s_waitcnt vmcnt(3)
	buffer_store_dword v1, off, s[0:3], 0 offset:368
	s_waitcnt vmcnt(3)
	buffer_store_dword v2, off, s[0:3], 0 offset:372
	s_waitcnt vmcnt(3)
	buffer_store_dword v3, v0, s[0:3], 0 offen offset:4
	s_waitcnt vmcnt(3)
	buffer_store_dword v4, v0, s[0:3], 0 offen
.LBB52_344:
	v_mov_b32_e32 v0, 0
	global_load_dword v1, v0, s[20:21] offset:180
	s_waitcnt vmcnt(0)
	v_add_u32_e32 v107, -1, v1
	v_cmp_eq_u32_e32 vcc, 45, v107
	s_cbranch_vccnz .LBB52_346
; %bb.345:
	v_lshlrev_b32_e32 v1, 3, v107
	buffer_load_dword v2, v1, s[0:3], 0 offen
	buffer_load_dword v3, v1, s[0:3], 0 offen offset:4
	buffer_load_dword v4, off, s[0:3], 0 offset:360
	buffer_load_dword v5, off, s[0:3], 0 offset:364
	s_waitcnt vmcnt(3)
	buffer_store_dword v2, off, s[0:3], 0 offset:360
	s_waitcnt vmcnt(3)
	buffer_store_dword v3, off, s[0:3], 0 offset:364
	s_waitcnt vmcnt(3)
	buffer_store_dword v4, v1, s[0:3], 0 offen
	s_waitcnt vmcnt(3)
	buffer_store_dword v5, v1, s[0:3], 0 offen offset:4
.LBB52_346:
	global_load_dword v0, v0, s[20:21] offset:176
	s_waitcnt vmcnt(0)
	v_add_u32_e32 v0, -1, v0
	v_cmp_eq_u32_e32 vcc, 44, v0
	s_cbranch_vccnz .LBB52_348
; %bb.347:
	v_lshlrev_b32_e32 v0, 3, v0
	buffer_load_dword v1, v0, s[0:3], 0 offen
	buffer_load_dword v2, v0, s[0:3], 0 offen offset:4
	buffer_load_dword v3, off, s[0:3], 0 offset:356
	buffer_load_dword v4, off, s[0:3], 0 offset:352
	s_waitcnt vmcnt(3)
	buffer_store_dword v1, off, s[0:3], 0 offset:352
	s_waitcnt vmcnt(3)
	buffer_store_dword v2, off, s[0:3], 0 offset:356
	s_waitcnt vmcnt(3)
	buffer_store_dword v3, v0, s[0:3], 0 offen offset:4
	s_waitcnt vmcnt(3)
	buffer_store_dword v4, v0, s[0:3], 0 offen
.LBB52_348:
	v_mov_b32_e32 v0, 0
	global_load_dword v1, v0, s[20:21] offset:172
	s_waitcnt vmcnt(0)
	v_add_u32_e32 v107, -1, v1
	v_cmp_eq_u32_e32 vcc, 43, v107
	s_cbranch_vccnz .LBB52_350
; %bb.349:
	v_lshlrev_b32_e32 v1, 3, v107
	buffer_load_dword v2, v1, s[0:3], 0 offen
	buffer_load_dword v3, v1, s[0:3], 0 offen offset:4
	buffer_load_dword v4, off, s[0:3], 0 offset:344
	buffer_load_dword v5, off, s[0:3], 0 offset:348
	s_waitcnt vmcnt(3)
	buffer_store_dword v2, off, s[0:3], 0 offset:344
	s_waitcnt vmcnt(3)
	buffer_store_dword v3, off, s[0:3], 0 offset:348
	s_waitcnt vmcnt(3)
	buffer_store_dword v4, v1, s[0:3], 0 offen
	s_waitcnt vmcnt(3)
	buffer_store_dword v5, v1, s[0:3], 0 offen offset:4
.LBB52_350:
	global_load_dword v0, v0, s[20:21] offset:168
	s_waitcnt vmcnt(0)
	v_add_u32_e32 v0, -1, v0
	v_cmp_eq_u32_e32 vcc, 42, v0
	s_cbranch_vccnz .LBB52_352
; %bb.351:
	v_lshlrev_b32_e32 v0, 3, v0
	buffer_load_dword v1, v0, s[0:3], 0 offen
	buffer_load_dword v2, v0, s[0:3], 0 offen offset:4
	buffer_load_dword v3, off, s[0:3], 0 offset:340
	buffer_load_dword v4, off, s[0:3], 0 offset:336
	s_waitcnt vmcnt(3)
	buffer_store_dword v1, off, s[0:3], 0 offset:336
	s_waitcnt vmcnt(3)
	buffer_store_dword v2, off, s[0:3], 0 offset:340
	s_waitcnt vmcnt(3)
	buffer_store_dword v3, v0, s[0:3], 0 offen offset:4
	s_waitcnt vmcnt(3)
	buffer_store_dword v4, v0, s[0:3], 0 offen
.LBB52_352:
	v_mov_b32_e32 v0, 0
	global_load_dword v1, v0, s[20:21] offset:164
	s_waitcnt vmcnt(0)
	v_add_u32_e32 v107, -1, v1
	v_cmp_eq_u32_e32 vcc, 41, v107
	s_cbranch_vccnz .LBB52_354
; %bb.353:
	v_lshlrev_b32_e32 v1, 3, v107
	buffer_load_dword v2, v1, s[0:3], 0 offen
	buffer_load_dword v3, v1, s[0:3], 0 offen offset:4
	buffer_load_dword v4, off, s[0:3], 0 offset:328
	buffer_load_dword v5, off, s[0:3], 0 offset:332
	s_waitcnt vmcnt(3)
	buffer_store_dword v2, off, s[0:3], 0 offset:328
	s_waitcnt vmcnt(3)
	buffer_store_dword v3, off, s[0:3], 0 offset:332
	s_waitcnt vmcnt(3)
	buffer_store_dword v4, v1, s[0:3], 0 offen
	s_waitcnt vmcnt(3)
	buffer_store_dword v5, v1, s[0:3], 0 offen offset:4
.LBB52_354:
	global_load_dword v0, v0, s[20:21] offset:160
	s_waitcnt vmcnt(0)
	v_add_u32_e32 v0, -1, v0
	v_cmp_eq_u32_e32 vcc, 40, v0
	s_cbranch_vccnz .LBB52_356
; %bb.355:
	v_lshlrev_b32_e32 v0, 3, v0
	buffer_load_dword v1, v0, s[0:3], 0 offen
	buffer_load_dword v2, v0, s[0:3], 0 offen offset:4
	buffer_load_dword v3, off, s[0:3], 0 offset:324
	buffer_load_dword v4, off, s[0:3], 0 offset:320
	s_waitcnt vmcnt(3)
	buffer_store_dword v1, off, s[0:3], 0 offset:320
	s_waitcnt vmcnt(3)
	buffer_store_dword v2, off, s[0:3], 0 offset:324
	s_waitcnt vmcnt(3)
	buffer_store_dword v3, v0, s[0:3], 0 offen offset:4
	s_waitcnt vmcnt(3)
	buffer_store_dword v4, v0, s[0:3], 0 offen
.LBB52_356:
	v_mov_b32_e32 v0, 0
	global_load_dword v1, v0, s[20:21] offset:156
	s_waitcnt vmcnt(0)
	v_add_u32_e32 v107, -1, v1
	v_cmp_eq_u32_e32 vcc, 39, v107
	s_cbranch_vccnz .LBB52_358
; %bb.357:
	v_lshlrev_b32_e32 v1, 3, v107
	buffer_load_dword v2, v1, s[0:3], 0 offen
	buffer_load_dword v3, v1, s[0:3], 0 offen offset:4
	buffer_load_dword v4, off, s[0:3], 0 offset:312
	buffer_load_dword v5, off, s[0:3], 0 offset:316
	s_waitcnt vmcnt(3)
	buffer_store_dword v2, off, s[0:3], 0 offset:312
	s_waitcnt vmcnt(3)
	buffer_store_dword v3, off, s[0:3], 0 offset:316
	s_waitcnt vmcnt(3)
	buffer_store_dword v4, v1, s[0:3], 0 offen
	s_waitcnt vmcnt(3)
	buffer_store_dword v5, v1, s[0:3], 0 offen offset:4
.LBB52_358:
	global_load_dword v0, v0, s[20:21] offset:152
	s_waitcnt vmcnt(0)
	v_add_u32_e32 v0, -1, v0
	v_cmp_eq_u32_e32 vcc, 38, v0
	s_cbranch_vccnz .LBB52_360
; %bb.359:
	v_lshlrev_b32_e32 v0, 3, v0
	buffer_load_dword v1, v0, s[0:3], 0 offen
	buffer_load_dword v2, v0, s[0:3], 0 offen offset:4
	buffer_load_dword v3, off, s[0:3], 0 offset:308
	buffer_load_dword v4, off, s[0:3], 0 offset:304
	s_waitcnt vmcnt(3)
	buffer_store_dword v1, off, s[0:3], 0 offset:304
	s_waitcnt vmcnt(3)
	buffer_store_dword v2, off, s[0:3], 0 offset:308
	s_waitcnt vmcnt(3)
	buffer_store_dword v3, v0, s[0:3], 0 offen offset:4
	s_waitcnt vmcnt(3)
	buffer_store_dword v4, v0, s[0:3], 0 offen
.LBB52_360:
	v_mov_b32_e32 v0, 0
	global_load_dword v1, v0, s[20:21] offset:148
	s_waitcnt vmcnt(0)
	v_add_u32_e32 v107, -1, v1
	v_cmp_eq_u32_e32 vcc, 37, v107
	s_cbranch_vccnz .LBB52_362
; %bb.361:
	v_lshlrev_b32_e32 v1, 3, v107
	buffer_load_dword v2, v1, s[0:3], 0 offen
	buffer_load_dword v3, v1, s[0:3], 0 offen offset:4
	buffer_load_dword v4, off, s[0:3], 0 offset:296
	buffer_load_dword v5, off, s[0:3], 0 offset:300
	s_waitcnt vmcnt(3)
	buffer_store_dword v2, off, s[0:3], 0 offset:296
	s_waitcnt vmcnt(3)
	buffer_store_dword v3, off, s[0:3], 0 offset:300
	s_waitcnt vmcnt(3)
	buffer_store_dword v4, v1, s[0:3], 0 offen
	s_waitcnt vmcnt(3)
	buffer_store_dword v5, v1, s[0:3], 0 offen offset:4
.LBB52_362:
	global_load_dword v0, v0, s[20:21] offset:144
	s_waitcnt vmcnt(0)
	v_add_u32_e32 v0, -1, v0
	v_cmp_eq_u32_e32 vcc, 36, v0
	s_cbranch_vccnz .LBB52_364
; %bb.363:
	v_lshlrev_b32_e32 v0, 3, v0
	buffer_load_dword v1, v0, s[0:3], 0 offen
	buffer_load_dword v2, v0, s[0:3], 0 offen offset:4
	buffer_load_dword v3, off, s[0:3], 0 offset:292
	buffer_load_dword v4, off, s[0:3], 0 offset:288
	s_waitcnt vmcnt(3)
	buffer_store_dword v1, off, s[0:3], 0 offset:288
	s_waitcnt vmcnt(3)
	buffer_store_dword v2, off, s[0:3], 0 offset:292
	s_waitcnt vmcnt(3)
	buffer_store_dword v3, v0, s[0:3], 0 offen offset:4
	s_waitcnt vmcnt(3)
	buffer_store_dword v4, v0, s[0:3], 0 offen
.LBB52_364:
	v_mov_b32_e32 v0, 0
	global_load_dword v1, v0, s[20:21] offset:140
	s_waitcnt vmcnt(0)
	v_add_u32_e32 v107, -1, v1
	v_cmp_eq_u32_e32 vcc, 35, v107
	s_cbranch_vccnz .LBB52_366
; %bb.365:
	v_lshlrev_b32_e32 v1, 3, v107
	buffer_load_dword v2, v1, s[0:3], 0 offen
	buffer_load_dword v3, v1, s[0:3], 0 offen offset:4
	buffer_load_dword v4, off, s[0:3], 0 offset:280
	buffer_load_dword v5, off, s[0:3], 0 offset:284
	s_waitcnt vmcnt(3)
	buffer_store_dword v2, off, s[0:3], 0 offset:280
	s_waitcnt vmcnt(3)
	buffer_store_dword v3, off, s[0:3], 0 offset:284
	s_waitcnt vmcnt(3)
	buffer_store_dword v4, v1, s[0:3], 0 offen
	s_waitcnt vmcnt(3)
	buffer_store_dword v5, v1, s[0:3], 0 offen offset:4
.LBB52_366:
	global_load_dword v0, v0, s[20:21] offset:136
	s_waitcnt vmcnt(0)
	v_add_u32_e32 v0, -1, v0
	v_cmp_eq_u32_e32 vcc, 34, v0
	s_cbranch_vccnz .LBB52_368
; %bb.367:
	v_lshlrev_b32_e32 v0, 3, v0
	buffer_load_dword v1, v0, s[0:3], 0 offen
	buffer_load_dword v2, v0, s[0:3], 0 offen offset:4
	buffer_load_dword v3, off, s[0:3], 0 offset:276
	buffer_load_dword v4, off, s[0:3], 0 offset:272
	s_waitcnt vmcnt(3)
	buffer_store_dword v1, off, s[0:3], 0 offset:272
	s_waitcnt vmcnt(3)
	buffer_store_dword v2, off, s[0:3], 0 offset:276
	s_waitcnt vmcnt(3)
	buffer_store_dword v3, v0, s[0:3], 0 offen offset:4
	s_waitcnt vmcnt(3)
	buffer_store_dword v4, v0, s[0:3], 0 offen
.LBB52_368:
	v_mov_b32_e32 v0, 0
	global_load_dword v1, v0, s[20:21] offset:132
	s_waitcnt vmcnt(0)
	v_add_u32_e32 v107, -1, v1
	v_cmp_eq_u32_e32 vcc, 33, v107
	s_cbranch_vccnz .LBB52_370
; %bb.369:
	v_lshlrev_b32_e32 v1, 3, v107
	buffer_load_dword v2, v1, s[0:3], 0 offen
	buffer_load_dword v3, v1, s[0:3], 0 offen offset:4
	buffer_load_dword v4, off, s[0:3], 0 offset:264
	buffer_load_dword v5, off, s[0:3], 0 offset:268
	s_waitcnt vmcnt(3)
	buffer_store_dword v2, off, s[0:3], 0 offset:264
	s_waitcnt vmcnt(3)
	buffer_store_dword v3, off, s[0:3], 0 offset:268
	s_waitcnt vmcnt(3)
	buffer_store_dword v4, v1, s[0:3], 0 offen
	s_waitcnt vmcnt(3)
	buffer_store_dword v5, v1, s[0:3], 0 offen offset:4
.LBB52_370:
	global_load_dword v0, v0, s[20:21] offset:128
	s_waitcnt vmcnt(0)
	v_add_u32_e32 v0, -1, v0
	v_cmp_eq_u32_e32 vcc, 32, v0
	s_cbranch_vccnz .LBB52_372
; %bb.371:
	v_lshlrev_b32_e32 v0, 3, v0
	buffer_load_dword v1, v0, s[0:3], 0 offen
	buffer_load_dword v2, v0, s[0:3], 0 offen offset:4
	buffer_load_dword v3, off, s[0:3], 0 offset:260
	buffer_load_dword v4, off, s[0:3], 0 offset:256
	s_waitcnt vmcnt(3)
	buffer_store_dword v1, off, s[0:3], 0 offset:256
	s_waitcnt vmcnt(3)
	buffer_store_dword v2, off, s[0:3], 0 offset:260
	s_waitcnt vmcnt(3)
	buffer_store_dword v3, v0, s[0:3], 0 offen offset:4
	s_waitcnt vmcnt(3)
	buffer_store_dword v4, v0, s[0:3], 0 offen
.LBB52_372:
	v_mov_b32_e32 v0, 0
	global_load_dword v1, v0, s[20:21] offset:124
	s_waitcnt vmcnt(0)
	v_add_u32_e32 v107, -1, v1
	v_cmp_eq_u32_e32 vcc, 31, v107
	s_cbranch_vccnz .LBB52_374
; %bb.373:
	v_lshlrev_b32_e32 v1, 3, v107
	buffer_load_dword v2, v1, s[0:3], 0 offen
	buffer_load_dword v3, v1, s[0:3], 0 offen offset:4
	buffer_load_dword v4, off, s[0:3], 0 offset:248
	buffer_load_dword v5, off, s[0:3], 0 offset:252
	s_waitcnt vmcnt(3)
	buffer_store_dword v2, off, s[0:3], 0 offset:248
	s_waitcnt vmcnt(3)
	buffer_store_dword v3, off, s[0:3], 0 offset:252
	s_waitcnt vmcnt(3)
	buffer_store_dword v4, v1, s[0:3], 0 offen
	s_waitcnt vmcnt(3)
	buffer_store_dword v5, v1, s[0:3], 0 offen offset:4
.LBB52_374:
	global_load_dword v0, v0, s[20:21] offset:120
	s_waitcnt vmcnt(0)
	v_add_u32_e32 v0, -1, v0
	v_cmp_eq_u32_e32 vcc, 30, v0
	s_cbranch_vccnz .LBB52_376
; %bb.375:
	v_lshlrev_b32_e32 v0, 3, v0
	buffer_load_dword v1, v0, s[0:3], 0 offen
	buffer_load_dword v2, v0, s[0:3], 0 offen offset:4
	buffer_load_dword v3, off, s[0:3], 0 offset:244
	buffer_load_dword v4, off, s[0:3], 0 offset:240
	s_waitcnt vmcnt(3)
	buffer_store_dword v1, off, s[0:3], 0 offset:240
	s_waitcnt vmcnt(3)
	buffer_store_dword v2, off, s[0:3], 0 offset:244
	s_waitcnt vmcnt(3)
	buffer_store_dword v3, v0, s[0:3], 0 offen offset:4
	s_waitcnt vmcnt(3)
	buffer_store_dword v4, v0, s[0:3], 0 offen
.LBB52_376:
	v_mov_b32_e32 v0, 0
	global_load_dword v1, v0, s[20:21] offset:116
	s_waitcnt vmcnt(0)
	v_add_u32_e32 v107, -1, v1
	v_cmp_eq_u32_e32 vcc, 29, v107
	s_cbranch_vccnz .LBB52_378
; %bb.377:
	v_lshlrev_b32_e32 v1, 3, v107
	buffer_load_dword v2, v1, s[0:3], 0 offen
	buffer_load_dword v3, v1, s[0:3], 0 offen offset:4
	buffer_load_dword v4, off, s[0:3], 0 offset:232
	buffer_load_dword v5, off, s[0:3], 0 offset:236
	s_waitcnt vmcnt(3)
	buffer_store_dword v2, off, s[0:3], 0 offset:232
	s_waitcnt vmcnt(3)
	buffer_store_dword v3, off, s[0:3], 0 offset:236
	s_waitcnt vmcnt(3)
	buffer_store_dword v4, v1, s[0:3], 0 offen
	s_waitcnt vmcnt(3)
	buffer_store_dword v5, v1, s[0:3], 0 offen offset:4
.LBB52_378:
	global_load_dword v0, v0, s[20:21] offset:112
	s_waitcnt vmcnt(0)
	v_add_u32_e32 v0, -1, v0
	v_cmp_eq_u32_e32 vcc, 28, v0
	s_cbranch_vccnz .LBB52_380
; %bb.379:
	v_lshlrev_b32_e32 v0, 3, v0
	buffer_load_dword v1, v0, s[0:3], 0 offen
	buffer_load_dword v2, v0, s[0:3], 0 offen offset:4
	buffer_load_dword v3, off, s[0:3], 0 offset:228
	buffer_load_dword v4, off, s[0:3], 0 offset:224
	s_waitcnt vmcnt(3)
	buffer_store_dword v1, off, s[0:3], 0 offset:224
	s_waitcnt vmcnt(3)
	buffer_store_dword v2, off, s[0:3], 0 offset:228
	s_waitcnt vmcnt(3)
	buffer_store_dword v3, v0, s[0:3], 0 offen offset:4
	s_waitcnt vmcnt(3)
	buffer_store_dword v4, v0, s[0:3], 0 offen
.LBB52_380:
	v_mov_b32_e32 v0, 0
	global_load_dword v1, v0, s[20:21] offset:108
	s_waitcnt vmcnt(0)
	v_add_u32_e32 v107, -1, v1
	v_cmp_eq_u32_e32 vcc, 27, v107
	s_cbranch_vccnz .LBB52_382
; %bb.381:
	v_lshlrev_b32_e32 v1, 3, v107
	buffer_load_dword v2, v1, s[0:3], 0 offen
	buffer_load_dword v3, v1, s[0:3], 0 offen offset:4
	buffer_load_dword v4, off, s[0:3], 0 offset:216
	buffer_load_dword v5, off, s[0:3], 0 offset:220
	s_waitcnt vmcnt(3)
	buffer_store_dword v2, off, s[0:3], 0 offset:216
	s_waitcnt vmcnt(3)
	buffer_store_dword v3, off, s[0:3], 0 offset:220
	s_waitcnt vmcnt(3)
	buffer_store_dword v4, v1, s[0:3], 0 offen
	s_waitcnt vmcnt(3)
	buffer_store_dword v5, v1, s[0:3], 0 offen offset:4
.LBB52_382:
	global_load_dword v0, v0, s[20:21] offset:104
	s_waitcnt vmcnt(0)
	v_add_u32_e32 v0, -1, v0
	v_cmp_eq_u32_e32 vcc, 26, v0
	s_cbranch_vccnz .LBB52_384
; %bb.383:
	v_lshlrev_b32_e32 v0, 3, v0
	buffer_load_dword v1, v0, s[0:3], 0 offen
	buffer_load_dword v2, v0, s[0:3], 0 offen offset:4
	buffer_load_dword v3, off, s[0:3], 0 offset:212
	buffer_load_dword v4, off, s[0:3], 0 offset:208
	s_waitcnt vmcnt(3)
	buffer_store_dword v1, off, s[0:3], 0 offset:208
	s_waitcnt vmcnt(3)
	buffer_store_dword v2, off, s[0:3], 0 offset:212
	s_waitcnt vmcnt(3)
	buffer_store_dword v3, v0, s[0:3], 0 offen offset:4
	s_waitcnt vmcnt(3)
	buffer_store_dword v4, v0, s[0:3], 0 offen
.LBB52_384:
	v_mov_b32_e32 v0, 0
	global_load_dword v1, v0, s[20:21] offset:100
	s_waitcnt vmcnt(0)
	v_add_u32_e32 v107, -1, v1
	v_cmp_eq_u32_e32 vcc, 25, v107
	s_cbranch_vccnz .LBB52_386
; %bb.385:
	v_lshlrev_b32_e32 v1, 3, v107
	buffer_load_dword v2, v1, s[0:3], 0 offen
	buffer_load_dword v3, v1, s[0:3], 0 offen offset:4
	buffer_load_dword v4, off, s[0:3], 0 offset:200
	buffer_load_dword v5, off, s[0:3], 0 offset:204
	s_waitcnt vmcnt(3)
	buffer_store_dword v2, off, s[0:3], 0 offset:200
	s_waitcnt vmcnt(3)
	buffer_store_dword v3, off, s[0:3], 0 offset:204
	s_waitcnt vmcnt(3)
	buffer_store_dword v4, v1, s[0:3], 0 offen
	s_waitcnt vmcnt(3)
	buffer_store_dword v5, v1, s[0:3], 0 offen offset:4
.LBB52_386:
	global_load_dword v0, v0, s[20:21] offset:96
	s_waitcnt vmcnt(0)
	v_add_u32_e32 v0, -1, v0
	v_cmp_eq_u32_e32 vcc, 24, v0
	s_cbranch_vccnz .LBB52_388
; %bb.387:
	v_lshlrev_b32_e32 v0, 3, v0
	buffer_load_dword v1, v0, s[0:3], 0 offen
	buffer_load_dword v2, v0, s[0:3], 0 offen offset:4
	buffer_load_dword v3, off, s[0:3], 0 offset:196
	buffer_load_dword v4, off, s[0:3], 0 offset:192
	s_waitcnt vmcnt(3)
	buffer_store_dword v1, off, s[0:3], 0 offset:192
	s_waitcnt vmcnt(3)
	buffer_store_dword v2, off, s[0:3], 0 offset:196
	s_waitcnt vmcnt(3)
	buffer_store_dword v3, v0, s[0:3], 0 offen offset:4
	s_waitcnt vmcnt(3)
	buffer_store_dword v4, v0, s[0:3], 0 offen
.LBB52_388:
	v_mov_b32_e32 v0, 0
	global_load_dword v1, v0, s[20:21] offset:92
	s_waitcnt vmcnt(0)
	v_add_u32_e32 v107, -1, v1
	v_cmp_eq_u32_e32 vcc, 23, v107
	s_cbranch_vccnz .LBB52_390
; %bb.389:
	v_lshlrev_b32_e32 v1, 3, v107
	buffer_load_dword v2, v1, s[0:3], 0 offen
	buffer_load_dword v3, v1, s[0:3], 0 offen offset:4
	buffer_load_dword v4, off, s[0:3], 0 offset:184
	buffer_load_dword v5, off, s[0:3], 0 offset:188
	s_waitcnt vmcnt(3)
	buffer_store_dword v2, off, s[0:3], 0 offset:184
	s_waitcnt vmcnt(3)
	buffer_store_dword v3, off, s[0:3], 0 offset:188
	s_waitcnt vmcnt(3)
	buffer_store_dword v4, v1, s[0:3], 0 offen
	s_waitcnt vmcnt(3)
	buffer_store_dword v5, v1, s[0:3], 0 offen offset:4
.LBB52_390:
	global_load_dword v0, v0, s[20:21] offset:88
	s_waitcnt vmcnt(0)
	v_add_u32_e32 v0, -1, v0
	v_cmp_eq_u32_e32 vcc, 22, v0
	s_cbranch_vccnz .LBB52_392
; %bb.391:
	v_lshlrev_b32_e32 v0, 3, v0
	buffer_load_dword v1, v0, s[0:3], 0 offen
	buffer_load_dword v2, v0, s[0:3], 0 offen offset:4
	buffer_load_dword v3, off, s[0:3], 0 offset:180
	buffer_load_dword v4, off, s[0:3], 0 offset:176
	s_waitcnt vmcnt(3)
	buffer_store_dword v1, off, s[0:3], 0 offset:176
	s_waitcnt vmcnt(3)
	buffer_store_dword v2, off, s[0:3], 0 offset:180
	s_waitcnt vmcnt(3)
	buffer_store_dword v3, v0, s[0:3], 0 offen offset:4
	s_waitcnt vmcnt(3)
	buffer_store_dword v4, v0, s[0:3], 0 offen
.LBB52_392:
	v_mov_b32_e32 v0, 0
	global_load_dword v1, v0, s[20:21] offset:84
	s_waitcnt vmcnt(0)
	v_add_u32_e32 v107, -1, v1
	v_cmp_eq_u32_e32 vcc, 21, v107
	s_cbranch_vccnz .LBB52_394
; %bb.393:
	v_lshlrev_b32_e32 v1, 3, v107
	buffer_load_dword v2, v1, s[0:3], 0 offen
	buffer_load_dword v3, v1, s[0:3], 0 offen offset:4
	buffer_load_dword v4, off, s[0:3], 0 offset:168
	buffer_load_dword v5, off, s[0:3], 0 offset:172
	s_waitcnt vmcnt(3)
	buffer_store_dword v2, off, s[0:3], 0 offset:168
	s_waitcnt vmcnt(3)
	buffer_store_dword v3, off, s[0:3], 0 offset:172
	s_waitcnt vmcnt(3)
	buffer_store_dword v4, v1, s[0:3], 0 offen
	s_waitcnt vmcnt(3)
	buffer_store_dword v5, v1, s[0:3], 0 offen offset:4
.LBB52_394:
	global_load_dword v0, v0, s[20:21] offset:80
	s_waitcnt vmcnt(0)
	v_add_u32_e32 v0, -1, v0
	v_cmp_eq_u32_e32 vcc, 20, v0
	s_cbranch_vccnz .LBB52_396
; %bb.395:
	v_lshlrev_b32_e32 v0, 3, v0
	buffer_load_dword v1, v0, s[0:3], 0 offen
	buffer_load_dword v2, v0, s[0:3], 0 offen offset:4
	buffer_load_dword v3, off, s[0:3], 0 offset:164
	buffer_load_dword v4, off, s[0:3], 0 offset:160
	s_waitcnt vmcnt(3)
	buffer_store_dword v1, off, s[0:3], 0 offset:160
	s_waitcnt vmcnt(3)
	buffer_store_dword v2, off, s[0:3], 0 offset:164
	s_waitcnt vmcnt(3)
	buffer_store_dword v3, v0, s[0:3], 0 offen offset:4
	s_waitcnt vmcnt(3)
	buffer_store_dword v4, v0, s[0:3], 0 offen
.LBB52_396:
	v_mov_b32_e32 v0, 0
	global_load_dword v1, v0, s[20:21] offset:76
	s_waitcnt vmcnt(0)
	v_add_u32_e32 v107, -1, v1
	v_cmp_eq_u32_e32 vcc, 19, v107
	s_cbranch_vccnz .LBB52_398
; %bb.397:
	v_lshlrev_b32_e32 v1, 3, v107
	buffer_load_dword v2, v1, s[0:3], 0 offen
	buffer_load_dword v3, v1, s[0:3], 0 offen offset:4
	buffer_load_dword v4, off, s[0:3], 0 offset:152
	buffer_load_dword v5, off, s[0:3], 0 offset:156
	s_waitcnt vmcnt(3)
	buffer_store_dword v2, off, s[0:3], 0 offset:152
	s_waitcnt vmcnt(3)
	buffer_store_dword v3, off, s[0:3], 0 offset:156
	s_waitcnt vmcnt(3)
	buffer_store_dword v4, v1, s[0:3], 0 offen
	s_waitcnt vmcnt(3)
	buffer_store_dword v5, v1, s[0:3], 0 offen offset:4
.LBB52_398:
	global_load_dword v0, v0, s[20:21] offset:72
	s_waitcnt vmcnt(0)
	v_add_u32_e32 v0, -1, v0
	v_cmp_eq_u32_e32 vcc, 18, v0
	s_cbranch_vccnz .LBB52_400
; %bb.399:
	v_lshlrev_b32_e32 v0, 3, v0
	buffer_load_dword v1, v0, s[0:3], 0 offen
	buffer_load_dword v2, v0, s[0:3], 0 offen offset:4
	buffer_load_dword v3, off, s[0:3], 0 offset:148
	buffer_load_dword v4, off, s[0:3], 0 offset:144
	s_waitcnt vmcnt(3)
	buffer_store_dword v1, off, s[0:3], 0 offset:144
	s_waitcnt vmcnt(3)
	buffer_store_dword v2, off, s[0:3], 0 offset:148
	s_waitcnt vmcnt(3)
	buffer_store_dword v3, v0, s[0:3], 0 offen offset:4
	s_waitcnt vmcnt(3)
	buffer_store_dword v4, v0, s[0:3], 0 offen
.LBB52_400:
	v_mov_b32_e32 v0, 0
	global_load_dword v1, v0, s[20:21] offset:68
	s_waitcnt vmcnt(0)
	v_add_u32_e32 v107, -1, v1
	v_cmp_eq_u32_e32 vcc, 17, v107
	s_cbranch_vccnz .LBB52_402
; %bb.401:
	v_lshlrev_b32_e32 v1, 3, v107
	buffer_load_dword v2, v1, s[0:3], 0 offen
	buffer_load_dword v3, v1, s[0:3], 0 offen offset:4
	buffer_load_dword v4, off, s[0:3], 0 offset:136
	buffer_load_dword v5, off, s[0:3], 0 offset:140
	s_waitcnt vmcnt(3)
	buffer_store_dword v2, off, s[0:3], 0 offset:136
	s_waitcnt vmcnt(3)
	buffer_store_dword v3, off, s[0:3], 0 offset:140
	s_waitcnt vmcnt(3)
	buffer_store_dword v4, v1, s[0:3], 0 offen
	s_waitcnt vmcnt(3)
	buffer_store_dword v5, v1, s[0:3], 0 offen offset:4
.LBB52_402:
	global_load_dword v0, v0, s[20:21] offset:64
	s_waitcnt vmcnt(0)
	v_add_u32_e32 v0, -1, v0
	v_cmp_eq_u32_e32 vcc, 16, v0
	s_cbranch_vccnz .LBB52_404
; %bb.403:
	v_lshlrev_b32_e32 v0, 3, v0
	buffer_load_dword v1, v0, s[0:3], 0 offen
	buffer_load_dword v2, v0, s[0:3], 0 offen offset:4
	buffer_load_dword v3, off, s[0:3], 0 offset:132
	buffer_load_dword v4, off, s[0:3], 0 offset:128
	s_waitcnt vmcnt(3)
	buffer_store_dword v1, off, s[0:3], 0 offset:128
	s_waitcnt vmcnt(3)
	buffer_store_dword v2, off, s[0:3], 0 offset:132
	s_waitcnt vmcnt(3)
	buffer_store_dword v3, v0, s[0:3], 0 offen offset:4
	s_waitcnt vmcnt(3)
	buffer_store_dword v4, v0, s[0:3], 0 offen
.LBB52_404:
	v_mov_b32_e32 v0, 0
	global_load_dword v1, v0, s[20:21] offset:60
	s_waitcnt vmcnt(0)
	v_add_u32_e32 v107, -1, v1
	v_cmp_eq_u32_e32 vcc, 15, v107
	s_cbranch_vccnz .LBB52_406
; %bb.405:
	v_lshlrev_b32_e32 v1, 3, v107
	buffer_load_dword v2, v1, s[0:3], 0 offen
	buffer_load_dword v3, v1, s[0:3], 0 offen offset:4
	buffer_load_dword v4, off, s[0:3], 0 offset:120
	buffer_load_dword v5, off, s[0:3], 0 offset:124
	s_waitcnt vmcnt(3)
	buffer_store_dword v2, off, s[0:3], 0 offset:120
	s_waitcnt vmcnt(3)
	buffer_store_dword v3, off, s[0:3], 0 offset:124
	s_waitcnt vmcnt(3)
	buffer_store_dword v4, v1, s[0:3], 0 offen
	s_waitcnt vmcnt(3)
	buffer_store_dword v5, v1, s[0:3], 0 offen offset:4
.LBB52_406:
	global_load_dword v0, v0, s[20:21] offset:56
	s_waitcnt vmcnt(0)
	v_add_u32_e32 v0, -1, v0
	v_cmp_eq_u32_e32 vcc, 14, v0
	s_cbranch_vccnz .LBB52_408
; %bb.407:
	v_lshlrev_b32_e32 v0, 3, v0
	buffer_load_dword v1, v0, s[0:3], 0 offen
	buffer_load_dword v2, v0, s[0:3], 0 offen offset:4
	buffer_load_dword v3, off, s[0:3], 0 offset:116
	buffer_load_dword v4, off, s[0:3], 0 offset:112
	s_waitcnt vmcnt(3)
	buffer_store_dword v1, off, s[0:3], 0 offset:112
	s_waitcnt vmcnt(3)
	buffer_store_dword v2, off, s[0:3], 0 offset:116
	s_waitcnt vmcnt(3)
	buffer_store_dword v3, v0, s[0:3], 0 offen offset:4
	s_waitcnt vmcnt(3)
	buffer_store_dword v4, v0, s[0:3], 0 offen
.LBB52_408:
	v_mov_b32_e32 v0, 0
	global_load_dword v1, v0, s[20:21] offset:52
	s_waitcnt vmcnt(0)
	v_add_u32_e32 v107, -1, v1
	v_cmp_eq_u32_e32 vcc, 13, v107
	s_cbranch_vccnz .LBB52_410
; %bb.409:
	v_lshlrev_b32_e32 v1, 3, v107
	buffer_load_dword v2, v1, s[0:3], 0 offen
	buffer_load_dword v3, v1, s[0:3], 0 offen offset:4
	buffer_load_dword v4, off, s[0:3], 0 offset:104
	buffer_load_dword v5, off, s[0:3], 0 offset:108
	s_waitcnt vmcnt(3)
	buffer_store_dword v2, off, s[0:3], 0 offset:104
	s_waitcnt vmcnt(3)
	buffer_store_dword v3, off, s[0:3], 0 offset:108
	s_waitcnt vmcnt(3)
	buffer_store_dword v4, v1, s[0:3], 0 offen
	s_waitcnt vmcnt(3)
	buffer_store_dword v5, v1, s[0:3], 0 offen offset:4
.LBB52_410:
	global_load_dword v0, v0, s[20:21] offset:48
	s_waitcnt vmcnt(0)
	v_add_u32_e32 v0, -1, v0
	v_cmp_eq_u32_e32 vcc, 12, v0
	s_cbranch_vccnz .LBB52_412
; %bb.411:
	v_lshlrev_b32_e32 v0, 3, v0
	buffer_load_dword v1, v0, s[0:3], 0 offen
	buffer_load_dword v2, v0, s[0:3], 0 offen offset:4
	buffer_load_dword v3, off, s[0:3], 0 offset:100
	buffer_load_dword v4, off, s[0:3], 0 offset:96
	s_waitcnt vmcnt(3)
	buffer_store_dword v1, off, s[0:3], 0 offset:96
	s_waitcnt vmcnt(3)
	buffer_store_dword v2, off, s[0:3], 0 offset:100
	s_waitcnt vmcnt(3)
	buffer_store_dword v3, v0, s[0:3], 0 offen offset:4
	s_waitcnt vmcnt(3)
	buffer_store_dword v4, v0, s[0:3], 0 offen
.LBB52_412:
	v_mov_b32_e32 v0, 0
	global_load_dword v1, v0, s[20:21] offset:44
	s_waitcnt vmcnt(0)
	v_add_u32_e32 v107, -1, v1
	v_cmp_eq_u32_e32 vcc, 11, v107
	s_cbranch_vccnz .LBB52_414
; %bb.413:
	v_lshlrev_b32_e32 v1, 3, v107
	buffer_load_dword v2, v1, s[0:3], 0 offen
	buffer_load_dword v3, v1, s[0:3], 0 offen offset:4
	buffer_load_dword v4, off, s[0:3], 0 offset:88
	buffer_load_dword v5, off, s[0:3], 0 offset:92
	s_waitcnt vmcnt(3)
	buffer_store_dword v2, off, s[0:3], 0 offset:88
	s_waitcnt vmcnt(3)
	buffer_store_dword v3, off, s[0:3], 0 offset:92
	s_waitcnt vmcnt(3)
	buffer_store_dword v4, v1, s[0:3], 0 offen
	s_waitcnt vmcnt(3)
	buffer_store_dword v5, v1, s[0:3], 0 offen offset:4
.LBB52_414:
	global_load_dword v0, v0, s[20:21] offset:40
	s_waitcnt vmcnt(0)
	v_add_u32_e32 v0, -1, v0
	v_cmp_eq_u32_e32 vcc, 10, v0
	s_cbranch_vccnz .LBB52_416
; %bb.415:
	v_lshlrev_b32_e32 v0, 3, v0
	buffer_load_dword v1, v0, s[0:3], 0 offen
	buffer_load_dword v2, v0, s[0:3], 0 offen offset:4
	buffer_load_dword v3, off, s[0:3], 0 offset:84
	buffer_load_dword v4, off, s[0:3], 0 offset:80
	s_waitcnt vmcnt(3)
	buffer_store_dword v1, off, s[0:3], 0 offset:80
	s_waitcnt vmcnt(3)
	buffer_store_dword v2, off, s[0:3], 0 offset:84
	s_waitcnt vmcnt(3)
	buffer_store_dword v3, v0, s[0:3], 0 offen offset:4
	s_waitcnt vmcnt(3)
	buffer_store_dword v4, v0, s[0:3], 0 offen
.LBB52_416:
	v_mov_b32_e32 v0, 0
	global_load_dword v1, v0, s[20:21] offset:36
	s_waitcnt vmcnt(0)
	v_add_u32_e32 v107, -1, v1
	v_cmp_eq_u32_e32 vcc, 9, v107
	s_cbranch_vccnz .LBB52_418
; %bb.417:
	v_lshlrev_b32_e32 v1, 3, v107
	buffer_load_dword v2, v1, s[0:3], 0 offen
	buffer_load_dword v3, v1, s[0:3], 0 offen offset:4
	buffer_load_dword v4, off, s[0:3], 0 offset:72
	buffer_load_dword v5, off, s[0:3], 0 offset:76
	s_waitcnt vmcnt(3)
	buffer_store_dword v2, off, s[0:3], 0 offset:72
	s_waitcnt vmcnt(3)
	buffer_store_dword v3, off, s[0:3], 0 offset:76
	s_waitcnt vmcnt(3)
	buffer_store_dword v4, v1, s[0:3], 0 offen
	s_waitcnt vmcnt(3)
	buffer_store_dword v5, v1, s[0:3], 0 offen offset:4
.LBB52_418:
	global_load_dword v0, v0, s[20:21] offset:32
	s_waitcnt vmcnt(0)
	v_add_u32_e32 v0, -1, v0
	v_cmp_eq_u32_e32 vcc, 8, v0
	s_cbranch_vccnz .LBB52_420
; %bb.419:
	v_lshlrev_b32_e32 v0, 3, v0
	buffer_load_dword v1, v0, s[0:3], 0 offen
	buffer_load_dword v2, v0, s[0:3], 0 offen offset:4
	buffer_load_dword v3, off, s[0:3], 0 offset:68
	buffer_load_dword v4, off, s[0:3], 0 offset:64
	s_waitcnt vmcnt(3)
	buffer_store_dword v1, off, s[0:3], 0 offset:64
	s_waitcnt vmcnt(3)
	buffer_store_dword v2, off, s[0:3], 0 offset:68
	s_waitcnt vmcnt(3)
	buffer_store_dword v3, v0, s[0:3], 0 offen offset:4
	s_waitcnt vmcnt(3)
	buffer_store_dword v4, v0, s[0:3], 0 offen
.LBB52_420:
	v_mov_b32_e32 v0, 0
	global_load_dword v1, v0, s[20:21] offset:28
	s_waitcnt vmcnt(0)
	v_add_u32_e32 v107, -1, v1
	v_cmp_eq_u32_e32 vcc, 7, v107
	s_cbranch_vccnz .LBB52_422
; %bb.421:
	v_lshlrev_b32_e32 v1, 3, v107
	buffer_load_dword v2, v1, s[0:3], 0 offen
	buffer_load_dword v3, v1, s[0:3], 0 offen offset:4
	buffer_load_dword v4, off, s[0:3], 0 offset:56
	buffer_load_dword v5, off, s[0:3], 0 offset:60
	s_waitcnt vmcnt(3)
	buffer_store_dword v2, off, s[0:3], 0 offset:56
	s_waitcnt vmcnt(3)
	buffer_store_dword v3, off, s[0:3], 0 offset:60
	s_waitcnt vmcnt(3)
	buffer_store_dword v4, v1, s[0:3], 0 offen
	s_waitcnt vmcnt(3)
	buffer_store_dword v5, v1, s[0:3], 0 offen offset:4
.LBB52_422:
	global_load_dword v0, v0, s[20:21] offset:24
	s_waitcnt vmcnt(0)
	v_add_u32_e32 v0, -1, v0
	v_cmp_eq_u32_e32 vcc, 6, v0
	s_cbranch_vccnz .LBB52_424
; %bb.423:
	v_lshlrev_b32_e32 v0, 3, v0
	buffer_load_dword v1, v0, s[0:3], 0 offen
	buffer_load_dword v2, v0, s[0:3], 0 offen offset:4
	buffer_load_dword v3, off, s[0:3], 0 offset:52
	buffer_load_dword v4, off, s[0:3], 0 offset:48
	s_waitcnt vmcnt(3)
	buffer_store_dword v1, off, s[0:3], 0 offset:48
	s_waitcnt vmcnt(3)
	buffer_store_dword v2, off, s[0:3], 0 offset:52
	s_waitcnt vmcnt(3)
	buffer_store_dword v3, v0, s[0:3], 0 offen offset:4
	s_waitcnt vmcnt(3)
	buffer_store_dword v4, v0, s[0:3], 0 offen
.LBB52_424:
	v_mov_b32_e32 v0, 0
	global_load_dword v1, v0, s[20:21] offset:20
	s_waitcnt vmcnt(0)
	v_add_u32_e32 v107, -1, v1
	v_cmp_eq_u32_e32 vcc, 5, v107
	s_cbranch_vccnz .LBB52_426
; %bb.425:
	v_lshlrev_b32_e32 v1, 3, v107
	buffer_load_dword v2, v1, s[0:3], 0 offen
	buffer_load_dword v3, v1, s[0:3], 0 offen offset:4
	buffer_load_dword v4, off, s[0:3], 0 offset:40
	buffer_load_dword v5, off, s[0:3], 0 offset:44
	s_waitcnt vmcnt(3)
	buffer_store_dword v2, off, s[0:3], 0 offset:40
	s_waitcnt vmcnt(3)
	buffer_store_dword v3, off, s[0:3], 0 offset:44
	s_waitcnt vmcnt(3)
	buffer_store_dword v4, v1, s[0:3], 0 offen
	s_waitcnt vmcnt(3)
	buffer_store_dword v5, v1, s[0:3], 0 offen offset:4
.LBB52_426:
	global_load_dword v0, v0, s[20:21] offset:16
	s_waitcnt vmcnt(0)
	v_add_u32_e32 v0, -1, v0
	v_cmp_eq_u32_e32 vcc, 4, v0
	s_cbranch_vccnz .LBB52_428
; %bb.427:
	v_lshlrev_b32_e32 v0, 3, v0
	buffer_load_dword v1, v0, s[0:3], 0 offen
	buffer_load_dword v2, v0, s[0:3], 0 offen offset:4
	buffer_load_dword v3, off, s[0:3], 0 offset:36
	buffer_load_dword v4, off, s[0:3], 0 offset:32
	s_waitcnt vmcnt(3)
	buffer_store_dword v1, off, s[0:3], 0 offset:32
	s_waitcnt vmcnt(3)
	buffer_store_dword v2, off, s[0:3], 0 offset:36
	s_waitcnt vmcnt(3)
	buffer_store_dword v3, v0, s[0:3], 0 offen offset:4
	s_waitcnt vmcnt(3)
	buffer_store_dword v4, v0, s[0:3], 0 offen
.LBB52_428:
	v_mov_b32_e32 v0, 0
	global_load_dword v1, v0, s[20:21] offset:12
	s_waitcnt vmcnt(0)
	v_add_u32_e32 v107, -1, v1
	v_cmp_eq_u32_e32 vcc, 3, v107
	s_cbranch_vccnz .LBB52_430
; %bb.429:
	v_lshlrev_b32_e32 v1, 3, v107
	buffer_load_dword v2, v1, s[0:3], 0 offen
	buffer_load_dword v3, v1, s[0:3], 0 offen offset:4
	buffer_load_dword v4, off, s[0:3], 0 offset:24
	buffer_load_dword v5, off, s[0:3], 0 offset:28
	s_waitcnt vmcnt(3)
	buffer_store_dword v2, off, s[0:3], 0 offset:24
	s_waitcnt vmcnt(3)
	buffer_store_dword v3, off, s[0:3], 0 offset:28
	s_waitcnt vmcnt(3)
	buffer_store_dword v4, v1, s[0:3], 0 offen
	s_waitcnt vmcnt(3)
	buffer_store_dword v5, v1, s[0:3], 0 offen offset:4
.LBB52_430:
	global_load_dword v0, v0, s[20:21] offset:8
	s_waitcnt vmcnt(0)
	v_add_u32_e32 v0, -1, v0
	v_cmp_eq_u32_e32 vcc, 2, v0
	s_cbranch_vccnz .LBB52_432
; %bb.431:
	v_lshlrev_b32_e32 v0, 3, v0
	buffer_load_dword v1, v0, s[0:3], 0 offen
	buffer_load_dword v2, v0, s[0:3], 0 offen offset:4
	buffer_load_dword v3, off, s[0:3], 0 offset:20
	buffer_load_dword v4, off, s[0:3], 0 offset:16
	s_waitcnt vmcnt(3)
	buffer_store_dword v1, off, s[0:3], 0 offset:16
	s_waitcnt vmcnt(3)
	buffer_store_dword v2, off, s[0:3], 0 offset:20
	s_waitcnt vmcnt(3)
	buffer_store_dword v3, v0, s[0:3], 0 offen offset:4
	s_waitcnt vmcnt(3)
	buffer_store_dword v4, v0, s[0:3], 0 offen
.LBB52_432:
	v_mov_b32_e32 v0, 0
	global_load_dword v1, v0, s[20:21] offset:4
	s_waitcnt vmcnt(0)
	v_add_u32_e32 v107, -1, v1
	v_cmp_eq_u32_e32 vcc, 1, v107
	s_cbranch_vccnz .LBB52_434
; %bb.433:
	v_lshlrev_b32_e32 v1, 3, v107
	buffer_load_dword v2, v1, s[0:3], 0 offen
	buffer_load_dword v3, v1, s[0:3], 0 offen offset:4
	buffer_load_dword v4, off, s[0:3], 0 offset:8
	buffer_load_dword v5, off, s[0:3], 0 offset:12
	s_waitcnt vmcnt(3)
	buffer_store_dword v2, off, s[0:3], 0 offset:8
	s_waitcnt vmcnt(3)
	buffer_store_dword v3, off, s[0:3], 0 offset:12
	s_waitcnt vmcnt(3)
	buffer_store_dword v4, v1, s[0:3], 0 offen
	s_waitcnt vmcnt(3)
	buffer_store_dword v5, v1, s[0:3], 0 offen offset:4
.LBB52_434:
	global_load_dword v0, v0, s[20:21]
	s_waitcnt vmcnt(0)
	v_add_u32_e32 v0, -1, v0
	v_cmp_eq_u32_e32 vcc, 0, v0
	s_cbranch_vccnz .LBB52_436
; %bb.435:
	v_lshlrev_b32_e32 v0, 3, v0
	buffer_load_dword v1, v0, s[0:3], 0 offen
	buffer_load_dword v2, v0, s[0:3], 0 offen offset:4
	buffer_load_dword v3, off, s[0:3], 0 offset:4
	buffer_load_dword v4, off, s[0:3], 0
	s_waitcnt vmcnt(3)
	buffer_store_dword v1, off, s[0:3], 0
	s_waitcnt vmcnt(3)
	buffer_store_dword v2, off, s[0:3], 0 offset:4
	s_waitcnt vmcnt(3)
	buffer_store_dword v3, v0, s[0:3], 0 offen offset:4
	s_waitcnt vmcnt(3)
	buffer_store_dword v4, v0, s[0:3], 0 offen
.LBB52_436:
	buffer_load_dword v107, off, s[0:3], 0
	buffer_load_dword v108, off, s[0:3], 0 offset:4
	buffer_load_dword v109, off, s[0:3], 0 offset:8
	buffer_load_dword v110, off, s[0:3], 0 offset:12
	buffer_load_dword v111, off, s[0:3], 0 offset:16
	buffer_load_dword v112, off, s[0:3], 0 offset:20
	buffer_load_dword v113, off, s[0:3], 0 offset:24
	buffer_load_dword v114, off, s[0:3], 0 offset:28
	buffer_load_dword v115, off, s[0:3], 0 offset:32
	buffer_load_dword v116, off, s[0:3], 0 offset:36
	buffer_load_dword v117, off, s[0:3], 0 offset:40
	buffer_load_dword v118, off, s[0:3], 0 offset:44
	buffer_load_dword v119, off, s[0:3], 0 offset:48
	buffer_load_dword v120, off, s[0:3], 0 offset:52
	buffer_load_dword v121, off, s[0:3], 0 offset:56
	buffer_load_dword v122, off, s[0:3], 0 offset:60
	buffer_load_dword v124, off, s[0:3], 0 offset:68
	buffer_load_dword v125, off, s[0:3], 0 offset:72
	buffer_load_dword v126, off, s[0:3], 0 offset:76
	buffer_load_dword v127, off, s[0:3], 0 offset:80
	buffer_load_dword v128, off, s[0:3], 0 offset:84
	buffer_load_dword v129, off, s[0:3], 0 offset:88
	buffer_load_dword v130, off, s[0:3], 0 offset:92
	buffer_load_dword v123, off, s[0:3], 0 offset:64
	buffer_load_dword v131, off, s[0:3], 0 offset:96
	buffer_load_dword v132, off, s[0:3], 0 offset:100
	buffer_load_dword v133, off, s[0:3], 0 offset:104
	buffer_load_dword v134, off, s[0:3], 0 offset:108
	buffer_load_dword v135, off, s[0:3], 0 offset:112
	buffer_load_dword v136, off, s[0:3], 0 offset:116
	buffer_load_dword v137, off, s[0:3], 0 offset:120
	buffer_load_dword v138, off, s[0:3], 0 offset:124
	buffer_load_dword v139, off, s[0:3], 0 offset:128
	buffer_load_dword v140, off, s[0:3], 0 offset:132
	buffer_load_dword v141, off, s[0:3], 0 offset:136
	buffer_load_dword v142, off, s[0:3], 0 offset:140
	buffer_load_dword v143, off, s[0:3], 0 offset:144
	buffer_load_dword v144, off, s[0:3], 0 offset:148
	buffer_load_dword v145, off, s[0:3], 0 offset:152
	buffer_load_dword v146, off, s[0:3], 0 offset:156
	buffer_load_dword v147, off, s[0:3], 0 offset:160
	buffer_load_dword v148, off, s[0:3], 0 offset:164
	buffer_load_dword v149, off, s[0:3], 0 offset:168
	buffer_load_dword v150, off, s[0:3], 0 offset:172
	buffer_load_dword v151, off, s[0:3], 0 offset:176
	buffer_load_dword v152, off, s[0:3], 0 offset:180
	buffer_load_dword v153, off, s[0:3], 0 offset:184
	buffer_load_dword v154, off, s[0:3], 0 offset:188
	buffer_load_dword v155, off, s[0:3], 0 offset:192
	buffer_load_dword v156, off, s[0:3], 0 offset:196
	buffer_load_dword v157, off, s[0:3], 0 offset:200
	buffer_load_dword v158, off, s[0:3], 0 offset:204
	buffer_load_dword v159, off, s[0:3], 0 offset:208
	buffer_load_dword v160, off, s[0:3], 0 offset:212
	buffer_load_dword v161, off, s[0:3], 0 offset:216
	buffer_load_dword v162, off, s[0:3], 0 offset:220
	buffer_load_dword v163, off, s[0:3], 0 offset:224
	buffer_load_dword v164, off, s[0:3], 0 offset:228
	buffer_load_dword v165, off, s[0:3], 0 offset:232
	buffer_load_dword v166, off, s[0:3], 0 offset:236
	buffer_load_dword v167, off, s[0:3], 0 offset:240
	buffer_load_dword v168, off, s[0:3], 0 offset:244
	buffer_load_dword v169, off, s[0:3], 0 offset:248
	buffer_load_dword v170, off, s[0:3], 0 offset:252
	buffer_load_dword v171, off, s[0:3], 0 offset:256
	buffer_load_dword v172, off, s[0:3], 0 offset:260
	buffer_load_dword v173, off, s[0:3], 0 offset:264
	buffer_load_dword v174, off, s[0:3], 0 offset:268
	buffer_load_dword v175, off, s[0:3], 0 offset:272
	buffer_load_dword v176, off, s[0:3], 0 offset:276
	buffer_load_dword v177, off, s[0:3], 0 offset:280
	buffer_load_dword v178, off, s[0:3], 0 offset:284
	buffer_load_dword v179, off, s[0:3], 0 offset:288
	buffer_load_dword v180, off, s[0:3], 0 offset:292
	buffer_load_dword v181, off, s[0:3], 0 offset:296
	buffer_load_dword v182, off, s[0:3], 0 offset:300
	buffer_load_dword v183, off, s[0:3], 0 offset:304
	buffer_load_dword v184, off, s[0:3], 0 offset:308
	buffer_load_dword v185, off, s[0:3], 0 offset:312
	buffer_load_dword v186, off, s[0:3], 0 offset:316
	buffer_load_dword v187, off, s[0:3], 0 offset:320
	buffer_load_dword v188, off, s[0:3], 0 offset:324
	buffer_load_dword v189, off, s[0:3], 0 offset:328
	buffer_load_dword v190, off, s[0:3], 0 offset:332
	buffer_load_dword v191, off, s[0:3], 0 offset:336
	buffer_load_dword v192, off, s[0:3], 0 offset:340
	buffer_load_dword v193, off, s[0:3], 0 offset:344
	buffer_load_dword v194, off, s[0:3], 0 offset:348
	buffer_load_dword v195, off, s[0:3], 0 offset:352
	buffer_load_dword v196, off, s[0:3], 0 offset:356
	buffer_load_dword v197, off, s[0:3], 0 offset:360
	buffer_load_dword v198, off, s[0:3], 0 offset:364
	buffer_load_dword v199, off, s[0:3], 0 offset:368
	buffer_load_dword v200, off, s[0:3], 0 offset:372
	buffer_load_dword v201, off, s[0:3], 0 offset:376
	buffer_load_dword v202, off, s[0:3], 0 offset:380
	buffer_load_dword v203, off, s[0:3], 0 offset:384
	buffer_load_dword v204, off, s[0:3], 0 offset:388
	buffer_load_dword v205, off, s[0:3], 0 offset:392
	buffer_load_dword v206, off, s[0:3], 0 offset:396
	buffer_load_dword v207, off, s[0:3], 0 offset:400
	buffer_load_dword v208, off, s[0:3], 0 offset:404
	buffer_load_dword v209, off, s[0:3], 0 offset:408
	buffer_load_dword v210, off, s[0:3], 0 offset:412
	buffer_load_dword v211, off, s[0:3], 0 offset:416
	buffer_load_dword v212, off, s[0:3], 0 offset:420
	s_waitcnt vmcnt(62)
	global_store_dwordx2 v[95:96], v[107:108], off
	global_store_dwordx2 v[99:100], v[109:110], off
	buffer_load_dword v0, off, s[0:3], 0 offset:424 ; 4-byte Folded Reload
	buffer_load_dword v1, off, s[0:3], 0 offset:428 ; 4-byte Folded Reload
	s_waitcnt vmcnt(0)
	global_store_dwordx2 v[0:1], v[111:112], off
	buffer_load_dword v0, off, s[0:3], 0 offset:432 ; 4-byte Folded Reload
	s_nop 0
	buffer_load_dword v1, off, s[0:3], 0 offset:436 ; 4-byte Folded Reload
	s_waitcnt vmcnt(0)
	global_store_dwordx2 v[0:1], v[113:114], off
	buffer_load_dword v0, off, s[0:3], 0 offset:440 ; 4-byte Folded Reload
	s_nop 0
	;; [unrolled: 5-line block ×30, first 2 shown]
	buffer_load_dword v1, off, s[0:3], 0 offset:668 ; 4-byte Folded Reload
	s_waitcnt vmcnt(0)
	global_store_dwordx2 v[0:1], v[171:172], off
	global_store_dwordx2 v[63:64], v[173:174], off
	global_store_dwordx2 v[65:66], v[175:176], off
	global_store_dwordx2 v[67:68], v[177:178], off
	global_store_dwordx2 v[69:70], v[179:180], off
	global_store_dwordx2 v[71:72], v[181:182], off
	global_store_dwordx2 v[73:74], v[183:184], off
	global_store_dwordx2 v[75:76], v[185:186], off
	global_store_dwordx2 v[77:78], v[187:188], off
	global_store_dwordx2 v[79:80], v[189:190], off
	global_store_dwordx2 v[81:82], v[191:192], off
	global_store_dwordx2 v[83:84], v[193:194], off
	global_store_dwordx2 v[85:86], v[195:196], off
	global_store_dwordx2 v[87:88], v[197:198], off
	global_store_dwordx2 v[89:90], v[199:200], off
	global_store_dwordx2 v[91:92], v[201:202], off
	global_store_dwordx2 v[93:94], v[203:204], off
	global_store_dwordx2 v[97:98], v[205:206], off
	global_store_dwordx2 v[101:102], v[207:208], off
	global_store_dwordx2 v[103:104], v[209:210], off
	global_store_dwordx2 v[105:106], v[211:212], off
	s_endpgm
	.section	.rodata,"a",@progbits
	.p2align	6, 0x0
	.amdhsa_kernel _ZN9rocsolver6v33100L18getri_kernel_smallILi53E19rocblas_complex_numIfEPS3_EEvT1_iilPiilS6_bb
		.amdhsa_group_segment_fixed_size 856
		.amdhsa_private_segment_fixed_size 688
		.amdhsa_kernarg_size 60
		.amdhsa_user_sgpr_count 6
		.amdhsa_user_sgpr_private_segment_buffer 1
		.amdhsa_user_sgpr_dispatch_ptr 0
		.amdhsa_user_sgpr_queue_ptr 0
		.amdhsa_user_sgpr_kernarg_segment_ptr 1
		.amdhsa_user_sgpr_dispatch_id 0
		.amdhsa_user_sgpr_flat_scratch_init 0
		.amdhsa_user_sgpr_private_segment_size 0
		.amdhsa_uses_dynamic_stack 0
		.amdhsa_system_sgpr_private_segment_wavefront_offset 1
		.amdhsa_system_sgpr_workgroup_id_x 1
		.amdhsa_system_sgpr_workgroup_id_y 0
		.amdhsa_system_sgpr_workgroup_id_z 0
		.amdhsa_system_sgpr_workgroup_info 0
		.amdhsa_system_vgpr_workitem_id 0
		.amdhsa_next_free_vgpr 256
		.amdhsa_next_free_sgpr 24
		.amdhsa_reserve_vcc 1
		.amdhsa_reserve_flat_scratch 0
		.amdhsa_float_round_mode_32 0
		.amdhsa_float_round_mode_16_64 0
		.amdhsa_float_denorm_mode_32 3
		.amdhsa_float_denorm_mode_16_64 3
		.amdhsa_dx10_clamp 1
		.amdhsa_ieee_mode 1
		.amdhsa_fp16_overflow 0
		.amdhsa_exception_fp_ieee_invalid_op 0
		.amdhsa_exception_fp_denorm_src 0
		.amdhsa_exception_fp_ieee_div_zero 0
		.amdhsa_exception_fp_ieee_overflow 0
		.amdhsa_exception_fp_ieee_underflow 0
		.amdhsa_exception_fp_ieee_inexact 0
		.amdhsa_exception_int_div_zero 0
	.end_amdhsa_kernel
	.section	.text._ZN9rocsolver6v33100L18getri_kernel_smallILi53E19rocblas_complex_numIfEPS3_EEvT1_iilPiilS6_bb,"axG",@progbits,_ZN9rocsolver6v33100L18getri_kernel_smallILi53E19rocblas_complex_numIfEPS3_EEvT1_iilPiilS6_bb,comdat
.Lfunc_end52:
	.size	_ZN9rocsolver6v33100L18getri_kernel_smallILi53E19rocblas_complex_numIfEPS3_EEvT1_iilPiilS6_bb, .Lfunc_end52-_ZN9rocsolver6v33100L18getri_kernel_smallILi53E19rocblas_complex_numIfEPS3_EEvT1_iilPiilS6_bb
                                        ; -- End function
	.set _ZN9rocsolver6v33100L18getri_kernel_smallILi53E19rocblas_complex_numIfEPS3_EEvT1_iilPiilS6_bb.num_vgpr, 256
	.set _ZN9rocsolver6v33100L18getri_kernel_smallILi53E19rocblas_complex_numIfEPS3_EEvT1_iilPiilS6_bb.num_agpr, 0
	.set _ZN9rocsolver6v33100L18getri_kernel_smallILi53E19rocblas_complex_numIfEPS3_EEvT1_iilPiilS6_bb.numbered_sgpr, 24
	.set _ZN9rocsolver6v33100L18getri_kernel_smallILi53E19rocblas_complex_numIfEPS3_EEvT1_iilPiilS6_bb.num_named_barrier, 0
	.set _ZN9rocsolver6v33100L18getri_kernel_smallILi53E19rocblas_complex_numIfEPS3_EEvT1_iilPiilS6_bb.private_seg_size, 688
	.set _ZN9rocsolver6v33100L18getri_kernel_smallILi53E19rocblas_complex_numIfEPS3_EEvT1_iilPiilS6_bb.uses_vcc, 1
	.set _ZN9rocsolver6v33100L18getri_kernel_smallILi53E19rocblas_complex_numIfEPS3_EEvT1_iilPiilS6_bb.uses_flat_scratch, 0
	.set _ZN9rocsolver6v33100L18getri_kernel_smallILi53E19rocblas_complex_numIfEPS3_EEvT1_iilPiilS6_bb.has_dyn_sized_stack, 0
	.set _ZN9rocsolver6v33100L18getri_kernel_smallILi53E19rocblas_complex_numIfEPS3_EEvT1_iilPiilS6_bb.has_recursion, 0
	.set _ZN9rocsolver6v33100L18getri_kernel_smallILi53E19rocblas_complex_numIfEPS3_EEvT1_iilPiilS6_bb.has_indirect_call, 0
	.section	.AMDGPU.csdata,"",@progbits
; Kernel info:
; codeLenInByte = 103584
; TotalNumSgprs: 28
; NumVgprs: 256
; ScratchSize: 688
; MemoryBound: 0
; FloatMode: 240
; IeeeMode: 1
; LDSByteSize: 856 bytes/workgroup (compile time only)
; SGPRBlocks: 3
; VGPRBlocks: 63
; NumSGPRsForWavesPerEU: 28
; NumVGPRsForWavesPerEU: 256
; Occupancy: 1
; WaveLimiterHint : 1
; COMPUTE_PGM_RSRC2:SCRATCH_EN: 1
; COMPUTE_PGM_RSRC2:USER_SGPR: 6
; COMPUTE_PGM_RSRC2:TRAP_HANDLER: 0
; COMPUTE_PGM_RSRC2:TGID_X_EN: 1
; COMPUTE_PGM_RSRC2:TGID_Y_EN: 0
; COMPUTE_PGM_RSRC2:TGID_Z_EN: 0
; COMPUTE_PGM_RSRC2:TIDIG_COMP_CNT: 0
	.section	.text._ZN9rocsolver6v33100L18getri_kernel_smallILi54E19rocblas_complex_numIfEPS3_EEvT1_iilPiilS6_bb,"axG",@progbits,_ZN9rocsolver6v33100L18getri_kernel_smallILi54E19rocblas_complex_numIfEPS3_EEvT1_iilPiilS6_bb,comdat
	.globl	_ZN9rocsolver6v33100L18getri_kernel_smallILi54E19rocblas_complex_numIfEPS3_EEvT1_iilPiilS6_bb ; -- Begin function _ZN9rocsolver6v33100L18getri_kernel_smallILi54E19rocblas_complex_numIfEPS3_EEvT1_iilPiilS6_bb
	.p2align	8
	.type	_ZN9rocsolver6v33100L18getri_kernel_smallILi54E19rocblas_complex_numIfEPS3_EEvT1_iilPiilS6_bb,@function
_ZN9rocsolver6v33100L18getri_kernel_smallILi54E19rocblas_complex_numIfEPS3_EEvT1_iilPiilS6_bb: ; @_ZN9rocsolver6v33100L18getri_kernel_smallILi54E19rocblas_complex_numIfEPS3_EEvT1_iilPiilS6_bb
; %bb.0:
	s_add_u32 s0, s0, s7
	s_addc_u32 s1, s1, 0
	v_cmp_gt_u32_e32 vcc, 54, v0
	s_and_saveexec_b64 s[8:9], vcc
	s_cbranch_execz .LBB53_230
; %bb.1:
	s_load_dword s12, s[4:5], 0x38
	s_load_dwordx4 s[16:19], s[4:5], 0x10
	s_load_dwordx4 s[8:11], s[4:5], 0x28
                                        ; implicit-def: $sgpr20_sgpr21
	s_waitcnt lgkmcnt(0)
	s_bitcmp1_b32 s12, 8
	s_cselect_b64 s[22:23], -1, 0
	s_ashr_i32 s7, s6, 31
	s_bfe_u32 s12, s12, 0x10008
	s_cmp_eq_u32 s12, 0
	s_cbranch_scc1 .LBB53_3
; %bb.2:
	s_load_dword s12, s[4:5], 0x20
	s_mul_i32 s13, s8, s7
	s_mul_hi_u32 s14, s8, s6
	s_mul_i32 s9, s9, s6
	s_add_i32 s14, s14, s13
	s_add_i32 s9, s14, s9
	s_mul_i32 s8, s8, s6
	s_waitcnt lgkmcnt(0)
	s_ashr_i32 s13, s12, 31
	s_lshl_b64 s[8:9], s[8:9], 2
	s_add_u32 s14, s18, s8
	s_addc_u32 s15, s19, s9
	s_lshl_b64 s[8:9], s[12:13], 2
	s_add_u32 s20, s14, s8
	s_addc_u32 s21, s15, s9
.LBB53_3:
	s_load_dwordx4 s[12:15], s[4:5], 0x0
	s_load_dword s8, s[4:5], 0x38
	s_mul_i32 s9, s16, s7
	s_mul_hi_u32 s18, s16, s6
	s_add_i32 s9, s18, s9
	s_waitcnt lgkmcnt(0)
	s_ashr_i32 s5, s14, 31
	s_mov_b32 s4, s14
	s_mul_i32 s14, s17, s6
	s_add_i32 s17, s9, s14
	s_mul_i32 s16, s16, s6
	s_lshl_b64 s[16:17], s[16:17], 3
	s_add_u32 s9, s12, s16
	s_addc_u32 s12, s13, s17
	s_lshl_b64 s[4:5], s[4:5], 3
	s_add_u32 s4, s9, s4
	s_addc_u32 s5, s12, s5
	s_add_i32 s9, s15, s15
	v_add_u32_e32 v3, s9, v0
	v_ashrrev_i32_e32 v4, 31, v3
	v_lshlrev_b64 v[1:2], 3, v[3:4]
	v_add_u32_e32 v5, s15, v3
	v_mov_b32_e32 v4, s5
	v_add_co_u32_e32 v1, vcc, s4, v1
	v_ashrrev_i32_e32 v6, 31, v5
	v_addc_co_u32_e32 v2, vcc, v4, v2, vcc
	v_lshlrev_b64 v[3:4], 3, v[5:6]
	v_add_u32_e32 v7, s15, v5
	v_mov_b32_e32 v6, s5
	v_add_co_u32_e32 v3, vcc, s4, v3
	v_ashrrev_i32_e32 v8, 31, v7
	v_addc_co_u32_e32 v4, vcc, v6, v4, vcc
	;; [unrolled: 6-line block ×8, first 2 shown]
	v_lshlrev_b64 v[17:18], 3, v[19:20]
	v_mov_b32_e32 v21, s5
	v_add_co_u32_e32 v17, vcc, s4, v17
	v_addc_co_u32_e32 v18, vcc, v21, v18, vcc
	v_add_u32_e32 v21, s15, v19
	v_ashrrev_i32_e32 v22, 31, v21
	v_lshlrev_b64 v[19:20], 3, v[21:22]
	v_mov_b32_e32 v23, s5
	v_add_co_u32_e32 v19, vcc, s4, v19
	v_addc_co_u32_e32 v20, vcc, v23, v20, vcc
	v_add_u32_e32 v23, s15, v21
	v_ashrrev_i32_e32 v24, 31, v23
	;; [unrolled: 6-line block ×37, first 2 shown]
	v_lshlrev_b32_e32 v111, 3, v0
	v_lshlrev_b64 v[91:92], 3, v[93:94]
	v_mov_b32_e32 v94, s5
	v_add_co_u32_e32 v97, vcc, s4, v111
	s_ashr_i32 s13, s15, 31
	s_mov_b32 s12, s15
	v_addc_co_u32_e32 v98, vcc, 0, v94, vcc
	s_lshl_b64 s[12:13], s[12:13], 3
	v_mov_b32_e32 v94, s13
	v_add_co_u32_e32 v101, vcc, s12, v97
	v_addc_co_u32_e32 v102, vcc, v98, v94, vcc
	global_load_dwordx2 v[109:110], v111, s[4:5]
	global_load_dwordx2 v[112:113], v[101:102], off
	s_nop 0
	buffer_store_dword v1, off, s[0:3], 0 offset:432 ; 4-byte Folded Spill
	s_nop 0
	buffer_store_dword v2, off, s[0:3], 0 offset:436 ; 4-byte Folded Spill
	v_mov_b32_e32 v95, s5
	v_add_co_u32_e32 v91, vcc, s4, v91
	v_addc_co_u32_e32 v92, vcc, v95, v92, vcc
	v_add_u32_e32 v95, s15, v93
	v_ashrrev_i32_e32 v96, 31, v95
	v_lshlrev_b64 v[93:94], 3, v[95:96]
	v_mov_b32_e32 v99, s5
	v_add_co_u32_e32 v93, vcc, s4, v93
	v_addc_co_u32_e32 v94, vcc, v99, v94, vcc
	v_add_u32_e32 v99, s15, v95
	v_ashrrev_i32_e32 v100, 31, v99
	v_lshlrev_b64 v[95:96], 3, v[99:100]
	v_mov_b32_e32 v103, s5
	v_add_co_u32_e32 v95, vcc, s4, v95
	v_addc_co_u32_e32 v96, vcc, v103, v96, vcc
	v_add_u32_e32 v103, s15, v99
	v_ashrrev_i32_e32 v104, 31, v103
	v_lshlrev_b64 v[99:100], 3, v[103:104]
	v_mov_b32_e32 v105, s5
	v_add_co_u32_e32 v99, vcc, s4, v99
	v_addc_co_u32_e32 v100, vcc, v105, v100, vcc
	v_add_u32_e32 v105, s15, v103
	v_ashrrev_i32_e32 v106, 31, v105
	v_lshlrev_b64 v[103:104], 3, v[105:106]
	v_mov_b32_e32 v107, s5
	v_add_co_u32_e32 v103, vcc, s4, v103
	v_addc_co_u32_e32 v104, vcc, v107, v104, vcc
	v_add_u32_e32 v107, s15, v105
	v_ashrrev_i32_e32 v108, 31, v107
	v_lshlrev_b64 v[105:106], 3, v[107:108]
	v_mov_b32_e32 v146, s5
	v_add_co_u32_e32 v105, vcc, s4, v105
	v_addc_co_u32_e32 v106, vcc, v146, v106, vcc
	v_add_u32_e32 v107, s15, v107
	v_ashrrev_i32_e32 v108, 31, v107
	v_lshlrev_b64 v[107:108], 3, v[107:108]
	v_mov_b32_e32 v162, s5
	v_add_co_u32_e32 v107, vcc, s4, v107
	v_addc_co_u32_e32 v108, vcc, v162, v108, vcc
	s_bitcmp0_b32 s8, 0
	s_mov_b64 s[8:9], -1
	global_load_dwordx2 v[114:115], v[1:2], off
	s_nop 0
	buffer_store_dword v3, off, s[0:3], 0 offset:440 ; 4-byte Folded Spill
	s_nop 0
	buffer_store_dword v4, off, s[0:3], 0 offset:444 ; 4-byte Folded Spill
	global_load_dwordx2 v[116:117], v[3:4], off
	s_nop 0
	buffer_store_dword v5, off, s[0:3], 0 offset:448 ; 4-byte Folded Spill
	s_nop 0
	buffer_store_dword v6, off, s[0:3], 0 offset:452 ; 4-byte Folded Spill
	;; [unrolled: 5-line block ×24, first 2 shown]
	global_load_dwordx2 v[162:163], v[49:50], off
	s_waitcnt vmcnt(62)
	buffer_store_dword v110, off, s[0:3], 0 offset:4
	buffer_store_dword v51, off, s[0:3], 0 offset:632 ; 4-byte Folded Spill
	s_nop 0
	buffer_store_dword v52, off, s[0:3], 0 offset:636 ; 4-byte Folded Spill
	global_load_dwordx2 v[164:165], v[51:52], off
	s_nop 0
	buffer_store_dword v109, off, s[0:3], 0
	buffer_store_dword v53, off, s[0:3], 0 offset:640 ; 4-byte Folded Spill
	s_nop 0
	buffer_store_dword v54, off, s[0:3], 0 offset:644 ; 4-byte Folded Spill
	global_load_dwordx2 v[109:110], v[53:54], off
	s_nop 0
	buffer_store_dword v113, off, s[0:3], 0 offset:12
	buffer_store_dword v55, off, s[0:3], 0 offset:648 ; 4-byte Folded Spill
	s_nop 0
	buffer_store_dword v56, off, s[0:3], 0 offset:652 ; 4-byte Folded Spill
	global_load_dwordx2 v[166:167], v[55:56], off
	s_nop 0
	buffer_store_dword v112, off, s[0:3], 0 offset:8
	;; [unrolled: 6-line block ×8, first 2 shown]
	buffer_store_dword v69, off, s[0:3], 0 offset:704 ; 4-byte Folded Spill
	s_nop 0
	buffer_store_dword v70, off, s[0:3], 0 offset:708 ; 4-byte Folded Spill
	global_load_dwordx2 v[174:175], v[71:72], off
	global_load_dwordx2 v[176:177], v[75:76], off
	global_load_dwordx2 v[178:179], v[79:80], off
	global_load_dwordx2 v[180:181], v[83:84], off
	global_load_dwordx2 v[182:183], v[87:88], off
	global_load_dwordx2 v[184:185], v[91:92], off
	global_load_dwordx2 v[186:187], v[95:96], off
	global_load_dwordx2 v[188:189], v[103:104], off
	global_load_dwordx2 v[190:191], v[107:108], off
	global_load_dwordx2 v[118:119], v[69:70], off
	s_nop 0
	buffer_store_dword v121, off, s[0:3], 0 offset:44
	buffer_store_dword v120, off, s[0:3], 0 offset:40
	global_load_dwordx2 v[120:121], v[73:74], off
	s_waitcnt vmcnt(62)
	buffer_store_dword v123, off, s[0:3], 0 offset:52
	buffer_store_dword v122, off, s[0:3], 0 offset:48
	global_load_dwordx2 v[122:123], v[77:78], off
	s_nop 0
	buffer_store_dword v125, off, s[0:3], 0 offset:60
	buffer_store_dword v124, off, s[0:3], 0 offset:56
	global_load_dwordx2 v[124:125], v[81:82], off
	s_nop 0
	;; [unrolled: 4-line block ×7, first 2 shown]
	buffer_store_dword v136, off, s[0:3], 0 offset:104
	buffer_store_dword v137, off, s[0:3], 0 offset:108
	buffer_store_dword v139, off, s[0:3], 0 offset:116
	buffer_store_dword v138, off, s[0:3], 0 offset:112
	buffer_store_dword v140, off, s[0:3], 0 offset:120
	buffer_store_dword v141, off, s[0:3], 0 offset:124
	buffer_store_dword v142, off, s[0:3], 0 offset:128
	buffer_store_dword v143, off, s[0:3], 0 offset:132
	buffer_store_dword v144, off, s[0:3], 0 offset:136
	buffer_store_dword v145, off, s[0:3], 0 offset:140
	buffer_store_dword v146, off, s[0:3], 0 offset:144
	buffer_store_dword v147, off, s[0:3], 0 offset:148
	buffer_store_dword v149, off, s[0:3], 0 offset:156
	buffer_store_dword v148, off, s[0:3], 0 offset:152
	buffer_store_dword v151, off, s[0:3], 0 offset:164
	buffer_store_dword v150, off, s[0:3], 0 offset:160
	buffer_store_dword v152, off, s[0:3], 0 offset:168
	buffer_store_dword v153, off, s[0:3], 0 offset:172
	buffer_store_dword v154, off, s[0:3], 0 offset:176
	buffer_store_dword v155, off, s[0:3], 0 offset:180
	s_waitcnt vmcnt(62)
	buffer_store_dword v156, off, s[0:3], 0 offset:184
	buffer_store_dword v157, off, s[0:3], 0 offset:188
	;; [unrolled: 1-line block ×22, first 2 shown]
	s_waitcnt vmcnt(62)
	buffer_store_dword v116, off, s[0:3], 0 offset:272
	buffer_store_dword v117, off, s[0:3], 0 offset:276
	;; [unrolled: 1-line block ×12, first 2 shown]
	s_waitcnt vmcnt(62)
	buffer_store_dword v122, off, s[0:3], 0 offset:320
	buffer_store_dword v123, off, s[0:3], 0 offset:324
	;; [unrolled: 1-line block ×16, first 2 shown]
	s_waitcnt vmcnt(62)
	buffer_store_dword v130, off, s[0:3], 0 offset:384
	buffer_store_dword v131, off, s[0:3], 0 offset:388
	;; [unrolled: 1-line block ×12, first 2 shown]
	s_cbranch_scc1 .LBB53_228
; %bb.4:
	v_cmp_eq_u32_e64 s[4:5], 0, v0
	s_and_saveexec_b64 s[8:9], s[4:5]
; %bb.5:
	v_mov_b32_e32 v109, 0
	ds_write_b32 v109, v109 offset:864
; %bb.6:
	s_or_b64 exec, exec, s[8:9]
	v_mov_b32_e32 v109, 0
	v_lshl_add_u32 v113, v0, 3, v109
	s_waitcnt lgkmcnt(0)
	; wave barrier
	buffer_load_dword v109, v113, s[0:3], 0 offen
	buffer_load_dword v110, v113, s[0:3], 0 offen offset:4
	s_waitcnt vmcnt(1)
	v_cmp_eq_f32_e32 vcc, 0, v109
	s_waitcnt vmcnt(0)
	v_cmp_eq_f32_e64 s[8:9], 0, v110
	s_and_b64 s[8:9], vcc, s[8:9]
	s_and_saveexec_b64 s[12:13], s[8:9]
	s_cbranch_execz .LBB53_10
; %bb.7:
	v_mov_b32_e32 v109, 0
	ds_read_b32 v112, v109 offset:864
	v_add_u32_e32 v110, 1, v0
	s_waitcnt lgkmcnt(0)
	v_readfirstlane_b32 s8, v112
	s_cmp_eq_u32 s8, 0
	s_cselect_b64 s[14:15], -1, 0
	v_cmp_gt_i32_e32 vcc, s8, v110
	s_or_b64 s[14:15], s[14:15], vcc
	s_and_b64 exec, exec, s[14:15]
	s_cbranch_execz .LBB53_10
; %bb.8:
	s_mov_b64 s[14:15], 0
	v_mov_b32_e32 v112, s8
.LBB53_9:                               ; =>This Inner Loop Header: Depth=1
	ds_cmpst_rtn_b32 v112, v109, v112, v110 offset:864
	s_waitcnt lgkmcnt(0)
	v_cmp_ne_u32_e32 vcc, 0, v112
	v_cmp_le_i32_e64 s[8:9], v112, v110
	s_and_b64 s[8:9], vcc, s[8:9]
	s_and_b64 s[8:9], exec, s[8:9]
	s_or_b64 s[14:15], s[8:9], s[14:15]
	s_andn2_b64 exec, exec, s[14:15]
	s_cbranch_execnz .LBB53_9
.LBB53_10:
	s_or_b64 exec, exec, s[12:13]
	v_mov_b32_e32 v110, 0
	; wave barrier
	ds_read_b32 v109, v110 offset:864
	s_and_saveexec_b64 s[8:9], s[4:5]
	s_cbranch_execz .LBB53_12
; %bb.11:
	s_lshl_b64 s[12:13], s[6:7], 2
	s_add_u32 s12, s10, s12
	s_addc_u32 s13, s11, s13
	s_waitcnt lgkmcnt(0)
	global_store_dword v110, v109, s[12:13]
.LBB53_12:
	s_or_b64 exec, exec, s[8:9]
	s_waitcnt lgkmcnt(0)
	v_cmp_ne_u32_e32 vcc, 0, v109
	s_mov_b64 s[8:9], 0
	s_cbranch_vccnz .LBB53_228
; %bb.13:
	buffer_load_dword v110, v113, s[0:3], 0 offen
	buffer_load_dword v112, v113, s[0:3], 0 offen offset:4
                                        ; implicit-def: $vgpr115
                                        ; implicit-def: $vgpr114
                                        ; implicit-def: $vgpr109
	s_waitcnt vmcnt(0)
	v_cmp_ngt_f32_e64 s[8:9], |v110|, |v112|
	s_and_saveexec_b64 s[12:13], s[8:9]
	s_xor_b64 s[8:9], exec, s[12:13]
	s_cbranch_execz .LBB53_15
; %bb.14:
	v_div_scale_f32 v109, s[12:13], v112, v112, v110
	v_div_scale_f32 v114, vcc, v110, v112, v110
	v_rcp_f32_e32 v115, v109
	v_fma_f32 v116, -v109, v115, 1.0
	v_fmac_f32_e32 v115, v116, v115
	v_mul_f32_e32 v116, v114, v115
	v_fma_f32 v117, -v109, v116, v114
	v_fmac_f32_e32 v116, v117, v115
	v_fma_f32 v109, -v109, v116, v114
	v_div_fmas_f32 v109, v109, v115, v116
	v_div_fixup_f32 v109, v109, v112, v110
	v_fmac_f32_e32 v112, v110, v109
	v_div_scale_f32 v110, s[12:13], v112, v112, 1.0
	v_div_scale_f32 v114, vcc, 1.0, v112, 1.0
	v_rcp_f32_e32 v115, v110
	v_fma_f32 v116, -v110, v115, 1.0
	v_fmac_f32_e32 v115, v116, v115
	v_mul_f32_e32 v116, v114, v115
	v_fma_f32 v117, -v110, v116, v114
	v_fmac_f32_e32 v116, v117, v115
	v_fma_f32 v110, -v110, v116, v114
	v_div_fmas_f32 v110, v110, v115, v116
	v_div_fixup_f32 v110, v110, v112, 1.0
	v_mul_f32_e32 v115, v109, v110
	v_xor_b32_e32 v114, 0x80000000, v110
	v_xor_b32_e32 v109, 0x80000000, v115
                                        ; implicit-def: $vgpr110
                                        ; implicit-def: $vgpr112
.LBB53_15:
	s_andn2_saveexec_b64 s[8:9], s[8:9]
	s_cbranch_execz .LBB53_17
; %bb.16:
	v_div_scale_f32 v109, s[12:13], v110, v110, v112
	v_div_scale_f32 v114, vcc, v112, v110, v112
	v_rcp_f32_e32 v115, v109
	v_fma_f32 v116, -v109, v115, 1.0
	v_fmac_f32_e32 v115, v116, v115
	v_mul_f32_e32 v116, v114, v115
	v_fma_f32 v117, -v109, v116, v114
	v_fmac_f32_e32 v116, v117, v115
	v_fma_f32 v109, -v109, v116, v114
	v_div_fmas_f32 v109, v109, v115, v116
	v_div_fixup_f32 v114, v109, v110, v112
	v_fmac_f32_e32 v110, v112, v114
	v_div_scale_f32 v109, s[12:13], v110, v110, 1.0
	v_div_scale_f32 v112, vcc, 1.0, v110, 1.0
	v_rcp_f32_e32 v115, v109
	v_fma_f32 v116, -v109, v115, 1.0
	v_fmac_f32_e32 v115, v116, v115
	v_mul_f32_e32 v116, v112, v115
	v_fma_f32 v117, -v109, v116, v112
	v_fmac_f32_e32 v116, v117, v115
	v_fma_f32 v109, -v109, v116, v112
	v_div_fmas_f32 v109, v109, v115, v116
	v_div_fixup_f32 v115, v109, v110, 1.0
	v_xor_b32_e32 v109, 0x80000000, v115
	v_mul_f32_e64 v114, v114, -v115
.LBB53_17:
	s_or_b64 exec, exec, s[8:9]
	buffer_store_dword v115, v113, s[0:3], 0 offen
	buffer_store_dword v114, v113, s[0:3], 0 offen offset:4
	buffer_load_dword v116, off, s[0:3], 0 offset:12
	s_nop 0
	buffer_load_dword v115, off, s[0:3], 0 offset:8
	v_xor_b32_e32 v110, 0x80000000, v114
	v_add_u32_e32 v112, 0x1b0, v111
	s_waitcnt vmcnt(0)
	ds_write2_b64 v111, v[109:110], v[115:116] offset1:54
	s_waitcnt lgkmcnt(0)
	; wave barrier
	s_and_saveexec_b64 s[8:9], s[4:5]
	s_cbranch_execz .LBB53_19
; %bb.18:
	buffer_load_dword v116, v113, s[0:3], 0 offen offset:4
	buffer_load_dword v117, v113, s[0:3], 0 offen
	ds_read_b64 v[109:110], v112
	v_mov_b32_e32 v114, 0
	ds_read_b64 v[114:115], v114 offset:8
	s_waitcnt vmcnt(1) lgkmcnt(1)
	v_mul_f32_e32 v118, v110, v116
	v_mul_f32_e32 v116, v109, v116
	s_waitcnt vmcnt(0)
	v_fmac_f32_e32 v116, v110, v117
	v_fma_f32 v109, v109, v117, -v118
	v_add_f32_e32 v110, 0, v116
	v_add_f32_e32 v109, 0, v109
	s_waitcnt lgkmcnt(0)
	v_mul_f32_e32 v116, v110, v115
	v_mul_f32_e32 v115, v109, v115
	v_fma_f32 v109, v109, v114, -v116
	v_fmac_f32_e32 v115, v110, v114
	buffer_store_dword v109, off, s[0:3], 0 offset:8
	buffer_store_dword v115, off, s[0:3], 0 offset:12
.LBB53_19:
	s_or_b64 exec, exec, s[8:9]
	; wave barrier
	buffer_load_dword v109, off, s[0:3], 0 offset:16
	buffer_load_dword v110, off, s[0:3], 0 offset:20
	v_cmp_gt_u32_e32 vcc, 2, v0
	s_waitcnt vmcnt(0)
	ds_write_b64 v112, v[109:110]
	s_waitcnt lgkmcnt(0)
	; wave barrier
	s_and_saveexec_b64 s[8:9], vcc
	s_cbranch_execz .LBB53_23
; %bb.20:
	buffer_load_dword v114, v113, s[0:3], 0 offen offset:4
	buffer_load_dword v115, v113, s[0:3], 0 offen
	ds_read_b64 v[109:110], v112
	s_waitcnt vmcnt(1) lgkmcnt(0)
	v_mul_f32_e32 v113, v110, v114
	v_mul_f32_e32 v114, v109, v114
	s_waitcnt vmcnt(0)
	v_fma_f32 v109, v109, v115, -v113
	v_fmac_f32_e32 v114, v110, v115
	v_add_f32_e32 v110, 0, v109
	v_add_f32_e32 v109, 0, v114
	s_and_saveexec_b64 s[12:13], s[4:5]
	s_cbranch_execz .LBB53_22
; %bb.21:
	buffer_load_dword v115, off, s[0:3], 0 offset:12
	buffer_load_dword v116, off, s[0:3], 0 offset:8
	v_mov_b32_e32 v113, 0
	ds_read_b64 v[113:114], v113 offset:440
	s_waitcnt vmcnt(1) lgkmcnt(0)
	v_mul_f32_e32 v117, v113, v115
	v_mul_f32_e32 v115, v114, v115
	s_waitcnt vmcnt(0)
	v_fmac_f32_e32 v117, v114, v116
	v_fma_f32 v113, v113, v116, -v115
	v_add_f32_e32 v109, v109, v117
	v_add_f32_e32 v110, v110, v113
.LBB53_22:
	s_or_b64 exec, exec, s[12:13]
	v_mov_b32_e32 v113, 0
	ds_read_b64 v[113:114], v113 offset:16
	s_waitcnt lgkmcnt(0)
	v_mul_f32_e32 v115, v109, v114
	v_mul_f32_e32 v114, v110, v114
	v_fma_f32 v110, v110, v113, -v115
	v_fmac_f32_e32 v114, v109, v113
	buffer_store_dword v110, off, s[0:3], 0 offset:16
	buffer_store_dword v114, off, s[0:3], 0 offset:20
.LBB53_23:
	s_or_b64 exec, exec, s[8:9]
	; wave barrier
	buffer_load_dword v109, off, s[0:3], 0 offset:24
	buffer_load_dword v110, off, s[0:3], 0 offset:28
	v_cmp_gt_u32_e32 vcc, 3, v0
	s_waitcnt vmcnt(0)
	ds_write_b64 v112, v[109:110]
	v_add_u32_e32 v109, -1, v0
	s_waitcnt lgkmcnt(0)
	; wave barrier
	s_and_saveexec_b64 s[4:5], vcc
	s_cbranch_execz .LBB53_27
; %bb.24:
	v_add_u32_e32 v113, -1, v0
	v_add_u32_e32 v114, 0x1b0, v111
	v_mov_b32_e32 v115, v111
	v_mov_b32_e32 v110, 0
	s_mov_b64 s[8:9], 0
	v_mov_b32_e32 v116, 0
.LBB53_25:                              ; =>This Inner Loop Header: Depth=1
	buffer_load_dword v119, v115, s[0:3], 0 offen offset:4
	buffer_load_dword v120, v115, s[0:3], 0 offen
	ds_read_b64 v[117:118], v114
	v_add_u32_e32 v113, 1, v113
	v_cmp_lt_u32_e32 vcc, 1, v113
	v_add_u32_e32 v114, 8, v114
	v_add_u32_e32 v115, 8, v115
	s_or_b64 s[8:9], vcc, s[8:9]
	s_waitcnt vmcnt(1) lgkmcnt(0)
	v_mul_f32_e32 v121, v118, v119
	v_mul_f32_e32 v119, v117, v119
	s_waitcnt vmcnt(0)
	v_fma_f32 v117, v117, v120, -v121
	v_fmac_f32_e32 v119, v118, v120
	v_add_f32_e32 v116, v116, v117
	v_add_f32_e32 v110, v110, v119
	s_andn2_b64 exec, exec, s[8:9]
	s_cbranch_execnz .LBB53_25
; %bb.26:
	s_or_b64 exec, exec, s[8:9]
	v_mov_b32_e32 v113, 0
	ds_read_b64 v[113:114], v113 offset:24
	s_waitcnt lgkmcnt(0)
	v_mul_f32_e32 v115, v110, v114
	v_mul_f32_e32 v114, v116, v114
	v_fma_f32 v115, v116, v113, -v115
	v_fmac_f32_e32 v114, v110, v113
	buffer_store_dword v115, off, s[0:3], 0 offset:24
	buffer_store_dword v114, off, s[0:3], 0 offset:28
.LBB53_27:
	s_or_b64 exec, exec, s[4:5]
	; wave barrier
	buffer_load_dword v113, off, s[0:3], 0 offset:32
	buffer_load_dword v114, off, s[0:3], 0 offset:36
	v_cmp_gt_u32_e32 vcc, 4, v0
	s_waitcnt vmcnt(0)
	ds_write_b64 v112, v[113:114]
	s_waitcnt lgkmcnt(0)
	; wave barrier
	s_and_saveexec_b64 s[4:5], vcc
	s_cbranch_execz .LBB53_31
; %bb.28:
	v_add_u32_e32 v113, -1, v0
	v_add_u32_e32 v114, 0x1b0, v111
	v_mov_b32_e32 v115, v111
	v_mov_b32_e32 v110, 0
	s_mov_b64 s[8:9], 0
	v_mov_b32_e32 v116, 0
.LBB53_29:                              ; =>This Inner Loop Header: Depth=1
	buffer_load_dword v119, v115, s[0:3], 0 offen offset:4
	buffer_load_dword v120, v115, s[0:3], 0 offen
	ds_read_b64 v[117:118], v114
	v_add_u32_e32 v113, 1, v113
	v_cmp_lt_u32_e32 vcc, 2, v113
	v_add_u32_e32 v114, 8, v114
	v_add_u32_e32 v115, 8, v115
	s_or_b64 s[8:9], vcc, s[8:9]
	s_waitcnt vmcnt(1) lgkmcnt(0)
	v_mul_f32_e32 v121, v118, v119
	v_mul_f32_e32 v119, v117, v119
	s_waitcnt vmcnt(0)
	v_fma_f32 v117, v117, v120, -v121
	v_fmac_f32_e32 v119, v118, v120
	v_add_f32_e32 v116, v116, v117
	v_add_f32_e32 v110, v110, v119
	s_andn2_b64 exec, exec, s[8:9]
	s_cbranch_execnz .LBB53_29
; %bb.30:
	s_or_b64 exec, exec, s[8:9]
	v_mov_b32_e32 v113, 0
	ds_read_b64 v[113:114], v113 offset:32
	s_waitcnt lgkmcnt(0)
	v_mul_f32_e32 v115, v110, v114
	v_mul_f32_e32 v114, v116, v114
	v_fma_f32 v115, v116, v113, -v115
	v_fmac_f32_e32 v114, v110, v113
	buffer_store_dword v115, off, s[0:3], 0 offset:32
	buffer_store_dword v114, off, s[0:3], 0 offset:36
.LBB53_31:
	s_or_b64 exec, exec, s[4:5]
	; wave barrier
	buffer_load_dword v113, off, s[0:3], 0 offset:40
	buffer_load_dword v114, off, s[0:3], 0 offset:44
	v_cmp_gt_u32_e32 vcc, 5, v0
	s_waitcnt vmcnt(0)
	ds_write_b64 v112, v[113:114]
	;; [unrolled: 49-line block ×19, first 2 shown]
	s_waitcnt lgkmcnt(0)
	; wave barrier
	s_and_saveexec_b64 s[4:5], vcc
	s_cbranch_execz .LBB53_103
; %bb.100:
	v_add_u32_e32 v113, -1, v0
	v_add_u32_e32 v114, 0x1b0, v111
	v_mov_b32_e32 v115, v111
	v_mov_b32_e32 v110, 0
	s_mov_b64 s[8:9], 0
	v_mov_b32_e32 v116, 0
.LBB53_101:                             ; =>This Inner Loop Header: Depth=1
	buffer_load_dword v119, v115, s[0:3], 0 offen offset:4
	buffer_load_dword v120, v115, s[0:3], 0 offen
	ds_read_b64 v[117:118], v114
	v_add_u32_e32 v113, 1, v113
	v_cmp_lt_u32_e32 vcc, 20, v113
	v_add_u32_e32 v114, 8, v114
	v_add_u32_e32 v115, 8, v115
	s_or_b64 s[8:9], vcc, s[8:9]
	s_waitcnt vmcnt(1) lgkmcnt(0)
	v_mul_f32_e32 v121, v118, v119
	v_mul_f32_e32 v119, v117, v119
	s_waitcnt vmcnt(0)
	v_fma_f32 v117, v117, v120, -v121
	v_fmac_f32_e32 v119, v118, v120
	v_add_f32_e32 v116, v116, v117
	v_add_f32_e32 v110, v110, v119
	s_andn2_b64 exec, exec, s[8:9]
	s_cbranch_execnz .LBB53_101
; %bb.102:
	s_or_b64 exec, exec, s[8:9]
	v_mov_b32_e32 v113, 0
	ds_read_b64 v[113:114], v113 offset:176
	s_waitcnt lgkmcnt(0)
	v_mul_f32_e32 v115, v110, v114
	v_mul_f32_e32 v114, v116, v114
	v_fma_f32 v115, v116, v113, -v115
	v_fmac_f32_e32 v114, v110, v113
	buffer_store_dword v115, off, s[0:3], 0 offset:176
	buffer_store_dword v114, off, s[0:3], 0 offset:180
.LBB53_103:
	s_or_b64 exec, exec, s[4:5]
	; wave barrier
	buffer_load_dword v113, off, s[0:3], 0 offset:184
	buffer_load_dword v114, off, s[0:3], 0 offset:188
	v_cmp_gt_u32_e32 vcc, 23, v0
	s_waitcnt vmcnt(0)
	ds_write_b64 v112, v[113:114]
	s_waitcnt lgkmcnt(0)
	; wave barrier
	s_and_saveexec_b64 s[4:5], vcc
	s_cbranch_execz .LBB53_107
; %bb.104:
	v_add_u32_e32 v113, -1, v0
	v_add_u32_e32 v114, 0x1b0, v111
	v_mov_b32_e32 v115, v111
	v_mov_b32_e32 v110, 0
	s_mov_b64 s[8:9], 0
	v_mov_b32_e32 v116, 0
.LBB53_105:                             ; =>This Inner Loop Header: Depth=1
	buffer_load_dword v119, v115, s[0:3], 0 offen offset:4
	buffer_load_dword v120, v115, s[0:3], 0 offen
	ds_read_b64 v[117:118], v114
	v_add_u32_e32 v113, 1, v113
	v_cmp_lt_u32_e32 vcc, 21, v113
	v_add_u32_e32 v114, 8, v114
	v_add_u32_e32 v115, 8, v115
	s_or_b64 s[8:9], vcc, s[8:9]
	s_waitcnt vmcnt(1) lgkmcnt(0)
	v_mul_f32_e32 v121, v118, v119
	v_mul_f32_e32 v119, v117, v119
	s_waitcnt vmcnt(0)
	v_fma_f32 v117, v117, v120, -v121
	v_fmac_f32_e32 v119, v118, v120
	v_add_f32_e32 v116, v116, v117
	v_add_f32_e32 v110, v110, v119
	s_andn2_b64 exec, exec, s[8:9]
	s_cbranch_execnz .LBB53_105
; %bb.106:
	s_or_b64 exec, exec, s[8:9]
	v_mov_b32_e32 v113, 0
	ds_read_b64 v[113:114], v113 offset:184
	s_waitcnt lgkmcnt(0)
	v_mul_f32_e32 v115, v110, v114
	v_mul_f32_e32 v114, v116, v114
	v_fma_f32 v115, v116, v113, -v115
	v_fmac_f32_e32 v114, v110, v113
	buffer_store_dword v115, off, s[0:3], 0 offset:184
	buffer_store_dword v114, off, s[0:3], 0 offset:188
.LBB53_107:
	s_or_b64 exec, exec, s[4:5]
	; wave barrier
	buffer_load_dword v113, off, s[0:3], 0 offset:192
	buffer_load_dword v114, off, s[0:3], 0 offset:196
	v_cmp_gt_u32_e32 vcc, 24, v0
	s_waitcnt vmcnt(0)
	ds_write_b64 v112, v[113:114]
	;; [unrolled: 49-line block ×30, first 2 shown]
	s_waitcnt lgkmcnt(0)
	; wave barrier
	s_and_saveexec_b64 s[4:5], vcc
	s_cbranch_execz .LBB53_223
; %bb.220:
	v_add_u32_e32 v113, -1, v0
	v_add_u32_e32 v114, 0x1b0, v111
	v_mov_b32_e32 v115, v111
	v_mov_b32_e32 v110, 0
	s_mov_b64 s[8:9], 0
	v_mov_b32_e32 v116, 0
.LBB53_221:                             ; =>This Inner Loop Header: Depth=1
	buffer_load_dword v119, v115, s[0:3], 0 offen offset:4
	buffer_load_dword v120, v115, s[0:3], 0 offen
	ds_read_b64 v[117:118], v114
	v_add_u32_e32 v113, 1, v113
	v_cmp_lt_u32_e32 vcc, 50, v113
	v_add_u32_e32 v114, 8, v114
	v_add_u32_e32 v115, 8, v115
	s_or_b64 s[8:9], vcc, s[8:9]
	s_waitcnt vmcnt(1) lgkmcnt(0)
	v_mul_f32_e32 v121, v118, v119
	v_mul_f32_e32 v119, v117, v119
	s_waitcnt vmcnt(0)
	v_fma_f32 v117, v117, v120, -v121
	v_fmac_f32_e32 v119, v118, v120
	v_add_f32_e32 v116, v116, v117
	v_add_f32_e32 v110, v110, v119
	s_andn2_b64 exec, exec, s[8:9]
	s_cbranch_execnz .LBB53_221
; %bb.222:
	s_or_b64 exec, exec, s[8:9]
	v_mov_b32_e32 v113, 0
	ds_read_b64 v[113:114], v113 offset:416
	s_waitcnt lgkmcnt(0)
	v_mul_f32_e32 v115, v110, v114
	v_mul_f32_e32 v114, v116, v114
	v_fma_f32 v115, v116, v113, -v115
	v_fmac_f32_e32 v114, v110, v113
	buffer_store_dword v115, off, s[0:3], 0 offset:416
	buffer_store_dword v114, off, s[0:3], 0 offset:420
.LBB53_223:
	s_or_b64 exec, exec, s[4:5]
	; wave barrier
	buffer_load_dword v113, off, s[0:3], 0 offset:424
	buffer_load_dword v114, off, s[0:3], 0 offset:428
	v_cmp_ne_u32_e32 vcc, 53, v0
	s_waitcnt vmcnt(0)
	ds_write_b64 v112, v[113:114]
	s_waitcnt lgkmcnt(0)
	; wave barrier
	s_and_saveexec_b64 s[4:5], vcc
	s_cbranch_execz .LBB53_227
; %bb.224:
	v_add_u32_e32 v112, 0x1b0, v111
	v_mov_b32_e32 v110, 0
	s_mov_b64 s[8:9], 0
	v_mov_b32_e32 v113, 0
.LBB53_225:                             ; =>This Inner Loop Header: Depth=1
	buffer_load_dword v116, v111, s[0:3], 0 offen offset:4
	buffer_load_dword v117, v111, s[0:3], 0 offen
	ds_read_b64 v[114:115], v112
	v_add_u32_e32 v109, 1, v109
	v_cmp_lt_u32_e32 vcc, 51, v109
	v_add_u32_e32 v112, 8, v112
	v_add_u32_e32 v111, 8, v111
	s_or_b64 s[8:9], vcc, s[8:9]
	s_waitcnt vmcnt(1) lgkmcnt(0)
	v_mul_f32_e32 v118, v115, v116
	v_mul_f32_e32 v116, v114, v116
	s_waitcnt vmcnt(0)
	v_fma_f32 v114, v114, v117, -v118
	v_fmac_f32_e32 v116, v115, v117
	v_add_f32_e32 v113, v113, v114
	v_add_f32_e32 v110, v110, v116
	s_andn2_b64 exec, exec, s[8:9]
	s_cbranch_execnz .LBB53_225
; %bb.226:
	s_or_b64 exec, exec, s[8:9]
	v_mov_b32_e32 v109, 0
	ds_read_b64 v[111:112], v109 offset:424
	s_waitcnt lgkmcnt(0)
	v_mul_f32_e32 v109, v110, v112
	v_mul_f32_e32 v112, v113, v112
	v_fma_f32 v109, v113, v111, -v109
	v_fmac_f32_e32 v112, v110, v111
	buffer_store_dword v109, off, s[0:3], 0 offset:424
	buffer_store_dword v112, off, s[0:3], 0 offset:428
.LBB53_227:
	s_or_b64 exec, exec, s[4:5]
	s_mov_b64 s[8:9], -1
	; wave barrier
.LBB53_228:
	s_and_b64 vcc, exec, s[8:9]
	s_cbranch_vccz .LBB53_230
; %bb.229:
	s_lshl_b64 s[4:5], s[6:7], 2
	s_add_u32 s4, s10, s4
	s_addc_u32 s5, s11, s5
	v_mov_b32_e32 v109, 0
	global_load_dword v109, v109, s[4:5]
	s_waitcnt vmcnt(0)
	v_cmp_ne_u32_e32 vcc, 0, v109
	s_cbranch_vccz .LBB53_231
.LBB53_230:
	s_endpgm
.LBB53_231:
	v_mov_b32_e32 v109, 0x1b0
	v_lshl_add_u32 v109, v0, 3, v109
	v_cmp_eq_u32_e32 vcc, 53, v0
	s_and_saveexec_b64 s[4:5], vcc
	s_cbranch_execz .LBB53_233
; %bb.232:
	buffer_load_dword v110, off, s[0:3], 0 offset:416
	buffer_load_dword v111, off, s[0:3], 0 offset:420
	v_mov_b32_e32 v112, 0
	buffer_store_dword v112, off, s[0:3], 0 offset:416
	buffer_store_dword v112, off, s[0:3], 0 offset:420
	s_waitcnt vmcnt(2)
	ds_write_b64 v109, v[110:111]
.LBB53_233:
	s_or_b64 exec, exec, s[4:5]
	s_waitcnt lgkmcnt(0)
	; wave barrier
	buffer_load_dword v113, off, s[0:3], 0 offset:428
	buffer_load_dword v114, off, s[0:3], 0 offset:424
	;; [unrolled: 1-line block ×4, first 2 shown]
	v_mov_b32_e32 v110, 0
	ds_read_b64 v[111:112], v110 offset:856
	v_cmp_lt_u32_e32 vcc, 51, v0
	s_waitcnt vmcnt(3) lgkmcnt(0)
	v_mul_f32_e32 v117, v111, v113
	v_mul_f32_e32 v113, v112, v113
	s_waitcnt vmcnt(2)
	v_fma_f32 v111, v111, v114, -v113
	v_fmac_f32_e32 v117, v112, v114
	v_add_f32_e32 v111, 0, v111
	v_add_f32_e32 v112, 0, v117
	s_waitcnt vmcnt(1)
	v_sub_f32_e32 v111, v115, v111
	s_waitcnt vmcnt(0)
	v_sub_f32_e32 v112, v116, v112
	buffer_store_dword v111, off, s[0:3], 0 offset:416
	buffer_store_dword v112, off, s[0:3], 0 offset:420
	s_and_saveexec_b64 s[4:5], vcc
	s_cbranch_execz .LBB53_235
; %bb.234:
	buffer_load_dword v111, off, s[0:3], 0 offset:408
	buffer_load_dword v112, off, s[0:3], 0 offset:412
	s_waitcnt vmcnt(0)
	ds_write_b64 v109, v[111:112]
	buffer_store_dword v110, off, s[0:3], 0 offset:408
	buffer_store_dword v110, off, s[0:3], 0 offset:412
.LBB53_235:
	s_or_b64 exec, exec, s[4:5]
	s_waitcnt lgkmcnt(0)
	; wave barrier
	buffer_load_dword v114, off, s[0:3], 0 offset:420
	buffer_load_dword v115, off, s[0:3], 0 offset:428
	buffer_load_dword v116, off, s[0:3], 0 offset:416
	buffer_load_dword v117, off, s[0:3], 0 offset:424
	buffer_load_dword v118, off, s[0:3], 0 offset:408
	buffer_load_dword v119, off, s[0:3], 0 offset:412
	ds_read_b128 v[110:113], v110 offset:848
	v_cmp_lt_u32_e32 vcc, 50, v0
	s_waitcnt vmcnt(5) lgkmcnt(0)
	v_mul_f32_e32 v120, v110, v114
	v_mul_f32_e32 v114, v111, v114
	s_waitcnt vmcnt(4)
	v_mul_f32_e32 v121, v112, v115
	v_mul_f32_e32 v115, v113, v115
	s_waitcnt vmcnt(3)
	v_fma_f32 v110, v110, v116, -v114
	v_fmac_f32_e32 v120, v111, v116
	s_waitcnt vmcnt(2)
	v_fma_f32 v111, v112, v117, -v115
	v_add_f32_e32 v110, 0, v110
	v_fmac_f32_e32 v121, v113, v117
	v_add_f32_e32 v112, 0, v120
	v_add_f32_e32 v110, v110, v111
	;; [unrolled: 1-line block ×3, first 2 shown]
	s_waitcnt vmcnt(1)
	v_sub_f32_e32 v110, v118, v110
	s_waitcnt vmcnt(0)
	v_sub_f32_e32 v111, v119, v112
	buffer_store_dword v110, off, s[0:3], 0 offset:408
	buffer_store_dword v111, off, s[0:3], 0 offset:412
	s_and_saveexec_b64 s[4:5], vcc
	s_cbranch_execz .LBB53_237
; %bb.236:
	buffer_load_dword v110, off, s[0:3], 0 offset:400
	buffer_load_dword v111, off, s[0:3], 0 offset:404
	v_mov_b32_e32 v112, 0
	buffer_store_dword v112, off, s[0:3], 0 offset:400
	buffer_store_dword v112, off, s[0:3], 0 offset:404
	s_waitcnt vmcnt(2)
	ds_write_b64 v109, v[110:111]
.LBB53_237:
	s_or_b64 exec, exec, s[4:5]
	v_mov_b32_e32 v110, 0
	s_waitcnt lgkmcnt(0)
	; wave barrier
	ds_read2_b64 v[111:114], v110 offset0:105 offset1:106
	buffer_load_dword v117, off, s[0:3], 0 offset:400
	buffer_load_dword v118, off, s[0:3], 0 offset:404
	buffer_load_dword v119, off, s[0:3], 0 offset:408
	buffer_load_dword v120, off, s[0:3], 0 offset:412
	buffer_load_dword v121, off, s[0:3], 0 offset:416
	buffer_load_dword v122, off, s[0:3], 0 offset:420
	buffer_load_dword v123, off, s[0:3], 0 offset:424
	buffer_load_dword v124, off, s[0:3], 0 offset:428
	v_cmp_lt_u32_e32 vcc, 49, v0
	s_waitcnt vmcnt(4) lgkmcnt(0)
	v_mul_f32_e32 v115, v111, v120
	v_fmac_f32_e32 v115, v112, v119
	s_waitcnt vmcnt(2)
	v_mul_f32_e32 v116, v113, v122
	v_add_f32_e32 v115, 0, v115
	v_fmac_f32_e32 v116, v114, v121
	v_add_f32_e32 v125, v115, v116
	ds_read_b64 v[115:116], v110 offset:856
	v_mul_f32_e32 v112, v112, v120
	v_fma_f32 v111, v111, v119, -v112
	v_mul_f32_e32 v112, v114, v122
	v_add_f32_e32 v111, 0, v111
	v_fma_f32 v112, v113, v121, -v112
	v_add_f32_e32 v111, v111, v112
	s_waitcnt vmcnt(0) lgkmcnt(0)
	v_mul_f32_e32 v112, v116, v124
	v_mul_f32_e32 v126, v115, v124
	v_fma_f32 v112, v115, v123, -v112
	v_fmac_f32_e32 v126, v116, v123
	v_add_f32_e32 v111, v111, v112
	v_add_f32_e32 v125, v125, v126
	v_sub_f32_e32 v111, v117, v111
	v_sub_f32_e32 v112, v118, v125
	buffer_store_dword v111, off, s[0:3], 0 offset:400
	buffer_store_dword v112, off, s[0:3], 0 offset:404
	s_and_saveexec_b64 s[4:5], vcc
	s_cbranch_execz .LBB53_239
; %bb.238:
	buffer_load_dword v111, off, s[0:3], 0 offset:392
	buffer_load_dword v112, off, s[0:3], 0 offset:396
	s_waitcnt vmcnt(0)
	ds_write_b64 v109, v[111:112]
	buffer_store_dword v110, off, s[0:3], 0 offset:392
	buffer_store_dword v110, off, s[0:3], 0 offset:396
.LBB53_239:
	s_or_b64 exec, exec, s[4:5]
	s_waitcnt lgkmcnt(0)
	; wave barrier
	buffer_load_dword v119, off, s[0:3], 0 offset:404
	buffer_load_dword v120, off, s[0:3], 0 offset:412
	;; [unrolled: 1-line block ×10, first 2 shown]
	ds_read_b128 v[111:114], v110 offset:832
	ds_read_b128 v[115:118], v110 offset:848
	v_cmp_lt_u32_e32 vcc, 48, v0
	s_waitcnt vmcnt(9) lgkmcnt(1)
	v_mul_f32_e32 v110, v111, v119
	v_mul_f32_e32 v119, v112, v119
	s_waitcnt vmcnt(8)
	v_mul_f32_e32 v129, v113, v120
	v_mul_f32_e32 v120, v114, v120
	s_waitcnt vmcnt(5)
	v_fma_f32 v111, v111, v123, -v119
	s_waitcnt lgkmcnt(0)
	v_mul_f32_e32 v130, v115, v121
	v_mul_f32_e32 v121, v116, v121
	v_fmac_f32_e32 v110, v112, v123
	s_waitcnt vmcnt(4)
	v_fma_f32 v112, v113, v124, -v120
	v_add_f32_e32 v111, 0, v111
	v_mul_f32_e32 v131, v117, v122
	v_mul_f32_e32 v122, v118, v122
	v_fmac_f32_e32 v129, v114, v124
	s_waitcnt vmcnt(3)
	v_fma_f32 v113, v115, v125, -v121
	v_add_f32_e32 v110, 0, v110
	v_add_f32_e32 v111, v111, v112
	v_fmac_f32_e32 v130, v116, v125
	s_waitcnt vmcnt(2)
	v_fma_f32 v114, v117, v126, -v122
	v_add_f32_e32 v110, v110, v129
	v_add_f32_e32 v111, v111, v113
	v_fmac_f32_e32 v131, v118, v126
	v_add_f32_e32 v110, v110, v130
	v_add_f32_e32 v111, v111, v114
	;; [unrolled: 1-line block ×3, first 2 shown]
	s_waitcnt vmcnt(1)
	v_sub_f32_e32 v111, v127, v111
	s_waitcnt vmcnt(0)
	v_sub_f32_e32 v110, v128, v110
	buffer_store_dword v111, off, s[0:3], 0 offset:392
	buffer_store_dword v110, off, s[0:3], 0 offset:396
	s_and_saveexec_b64 s[4:5], vcc
	s_cbranch_execz .LBB53_241
; %bb.240:
	buffer_load_dword v110, off, s[0:3], 0 offset:384
	buffer_load_dword v111, off, s[0:3], 0 offset:388
	v_mov_b32_e32 v112, 0
	buffer_store_dword v112, off, s[0:3], 0 offset:384
	buffer_store_dword v112, off, s[0:3], 0 offset:388
	s_waitcnt vmcnt(2)
	ds_write_b64 v109, v[110:111]
.LBB53_241:
	s_or_b64 exec, exec, s[4:5]
	s_waitcnt lgkmcnt(0)
	; wave barrier
	buffer_load_dword v121, off, s[0:3], 0 offset:396
	buffer_load_dword v122, off, s[0:3], 0 offset:404
	;; [unrolled: 1-line block ×12, first 2 shown]
	v_mov_b32_e32 v110, 0
	ds_read2_b64 v[111:114], v110 offset0:103 offset1:104
	ds_read2_b64 v[115:118], v110 offset0:105 offset1:106
	ds_read_b64 v[119:120], v110 offset:856
	v_cmp_lt_u32_e32 vcc, 47, v0
	s_waitcnt vmcnt(11) lgkmcnt(2)
	v_mul_f32_e32 v133, v111, v121
	v_mul_f32_e32 v121, v112, v121
	s_waitcnt vmcnt(10)
	v_mul_f32_e32 v134, v113, v122
	v_mul_f32_e32 v122, v114, v122
	s_waitcnt vmcnt(9) lgkmcnt(1)
	v_mul_f32_e32 v135, v115, v123
	s_waitcnt vmcnt(6)
	v_fma_f32 v111, v111, v126, -v121
	v_mul_f32_e32 v123, v116, v123
	v_fmac_f32_e32 v133, v112, v126
	s_waitcnt vmcnt(5)
	v_fma_f32 v112, v113, v127, -v122
	v_add_f32_e32 v111, 0, v111
	v_mul_f32_e32 v136, v117, v124
	v_mul_f32_e32 v124, v118, v124
	v_fmac_f32_e32 v134, v114, v127
	s_waitcnt vmcnt(4)
	v_fmac_f32_e32 v135, v116, v128
	v_fma_f32 v113, v115, v128, -v123
	v_add_f32_e32 v116, 0, v133
	v_add_f32_e32 v111, v111, v112
	s_waitcnt lgkmcnt(0)
	v_mul_f32_e32 v137, v119, v125
	v_mul_f32_e32 v125, v120, v125
	s_waitcnt vmcnt(3)
	v_fma_f32 v114, v117, v129, -v124
	v_add_f32_e32 v116, v116, v134
	v_add_f32_e32 v111, v111, v113
	v_fmac_f32_e32 v136, v118, v129
	s_waitcnt vmcnt(2)
	v_fma_f32 v115, v119, v130, -v125
	v_add_f32_e32 v112, v116, v135
	v_add_f32_e32 v111, v111, v114
	v_fmac_f32_e32 v137, v120, v130
	v_add_f32_e32 v112, v112, v136
	v_add_f32_e32 v111, v111, v115
	;; [unrolled: 1-line block ×3, first 2 shown]
	s_waitcnt vmcnt(1)
	v_sub_f32_e32 v111, v131, v111
	s_waitcnt vmcnt(0)
	v_sub_f32_e32 v112, v132, v112
	buffer_store_dword v111, off, s[0:3], 0 offset:384
	buffer_store_dword v112, off, s[0:3], 0 offset:388
	s_and_saveexec_b64 s[4:5], vcc
	s_cbranch_execz .LBB53_243
; %bb.242:
	buffer_load_dword v111, off, s[0:3], 0 offset:376
	buffer_load_dword v112, off, s[0:3], 0 offset:380
	s_waitcnt vmcnt(0)
	ds_write_b64 v109, v[111:112]
	buffer_store_dword v110, off, s[0:3], 0 offset:376
	buffer_store_dword v110, off, s[0:3], 0 offset:380
.LBB53_243:
	s_or_b64 exec, exec, s[4:5]
	s_waitcnt lgkmcnt(0)
	; wave barrier
	buffer_load_dword v123, off, s[0:3], 0 offset:388
	buffer_load_dword v124, off, s[0:3], 0 offset:396
	;; [unrolled: 1-line block ×14, first 2 shown]
	ds_read_b128 v[111:114], v110 offset:816
	ds_read_b128 v[115:118], v110 offset:832
	;; [unrolled: 1-line block ×3, first 2 shown]
	v_cmp_lt_u32_e32 vcc, 46, v0
	s_waitcnt vmcnt(13) lgkmcnt(2)
	v_mul_f32_e32 v110, v111, v123
	v_mul_f32_e32 v123, v112, v123
	s_waitcnt vmcnt(12)
	v_mul_f32_e32 v137, v113, v124
	v_mul_f32_e32 v124, v114, v124
	s_waitcnt vmcnt(11) lgkmcnt(1)
	v_mul_f32_e32 v138, v115, v125
	v_mul_f32_e32 v125, v116, v125
	s_waitcnt vmcnt(7)
	v_fma_f32 v111, v111, v129, -v123
	v_fmac_f32_e32 v110, v112, v129
	s_waitcnt vmcnt(6)
	v_fma_f32 v112, v113, v130, -v124
	v_add_f32_e32 v111, 0, v111
	v_mul_f32_e32 v139, v117, v126
	v_mul_f32_e32 v126, v118, v126
	v_fmac_f32_e32 v137, v114, v130
	s_waitcnt vmcnt(5)
	v_fma_f32 v113, v115, v131, -v125
	v_add_f32_e32 v110, 0, v110
	v_add_f32_e32 v111, v111, v112
	s_waitcnt lgkmcnt(0)
	v_mul_f32_e32 v140, v119, v127
	v_mul_f32_e32 v127, v120, v127
	v_fmac_f32_e32 v138, v116, v131
	s_waitcnt vmcnt(4)
	v_fma_f32 v114, v117, v132, -v126
	v_add_f32_e32 v110, v110, v137
	v_add_f32_e32 v111, v111, v113
	v_mul_f32_e32 v141, v121, v128
	v_mul_f32_e32 v128, v122, v128
	v_fmac_f32_e32 v139, v118, v132
	s_waitcnt vmcnt(3)
	v_fma_f32 v115, v119, v133, -v127
	v_add_f32_e32 v110, v110, v138
	v_add_f32_e32 v111, v111, v114
	v_fmac_f32_e32 v140, v120, v133
	s_waitcnt vmcnt(2)
	v_fma_f32 v116, v121, v134, -v128
	v_add_f32_e32 v110, v110, v139
	v_add_f32_e32 v111, v111, v115
	v_fmac_f32_e32 v141, v122, v134
	v_add_f32_e32 v110, v110, v140
	v_add_f32_e32 v111, v111, v116
	;; [unrolled: 1-line block ×3, first 2 shown]
	s_waitcnt vmcnt(1)
	v_sub_f32_e32 v111, v135, v111
	s_waitcnt vmcnt(0)
	v_sub_f32_e32 v110, v136, v110
	buffer_store_dword v111, off, s[0:3], 0 offset:376
	buffer_store_dword v110, off, s[0:3], 0 offset:380
	s_and_saveexec_b64 s[4:5], vcc
	s_cbranch_execz .LBB53_245
; %bb.244:
	buffer_load_dword v110, off, s[0:3], 0 offset:368
	buffer_load_dword v111, off, s[0:3], 0 offset:372
	v_mov_b32_e32 v112, 0
	buffer_store_dword v112, off, s[0:3], 0 offset:368
	buffer_store_dword v112, off, s[0:3], 0 offset:372
	s_waitcnt vmcnt(2)
	ds_write_b64 v109, v[110:111]
.LBB53_245:
	s_or_b64 exec, exec, s[4:5]
	s_waitcnt lgkmcnt(0)
	; wave barrier
	buffer_load_dword v125, off, s[0:3], 0 offset:380
	buffer_load_dword v126, off, s[0:3], 0 offset:388
	;; [unrolled: 1-line block ×16, first 2 shown]
	v_mov_b32_e32 v110, 0
	ds_read2_b64 v[111:114], v110 offset0:101 offset1:102
	ds_read2_b64 v[115:118], v110 offset0:103 offset1:104
	;; [unrolled: 1-line block ×3, first 2 shown]
	ds_read_b64 v[123:124], v110 offset:856
	v_cmp_lt_u32_e32 vcc, 45, v0
	s_waitcnt vmcnt(15) lgkmcnt(3)
	v_mul_f32_e32 v141, v111, v125
	v_mul_f32_e32 v125, v112, v125
	s_waitcnt vmcnt(14)
	v_mul_f32_e32 v142, v113, v126
	v_mul_f32_e32 v126, v114, v126
	s_waitcnt vmcnt(13) lgkmcnt(2)
	v_mul_f32_e32 v143, v115, v127
	s_waitcnt vmcnt(12)
	v_mul_f32_e32 v144, v117, v128
	v_mul_f32_e32 v127, v116, v127
	s_waitcnt vmcnt(8)
	v_fma_f32 v111, v111, v132, -v125
	v_fmac_f32_e32 v141, v112, v132
	s_waitcnt vmcnt(7)
	v_fma_f32 v112, v113, v133, -v126
	v_add_f32_e32 v111, 0, v111
	v_mul_f32_e32 v128, v118, v128
	v_fmac_f32_e32 v142, v114, v133
	s_waitcnt vmcnt(5)
	v_fmac_f32_e32 v144, v118, v135
	v_fma_f32 v113, v115, v134, -v127
	v_add_f32_e32 v118, 0, v141
	v_add_f32_e32 v111, v111, v112
	s_waitcnt lgkmcnt(1)
	v_mul_f32_e32 v145, v119, v129
	v_mul_f32_e32 v129, v120, v129
	v_fmac_f32_e32 v143, v116, v134
	v_fma_f32 v114, v117, v135, -v128
	v_add_f32_e32 v118, v118, v142
	v_add_f32_e32 v111, v111, v113
	v_mul_f32_e32 v146, v121, v130
	v_mul_f32_e32 v130, v122, v130
	s_waitcnt vmcnt(4)
	v_fma_f32 v115, v119, v136, -v129
	v_add_f32_e32 v112, v118, v143
	v_add_f32_e32 v111, v111, v114
	s_waitcnt lgkmcnt(0)
	v_mul_f32_e32 v147, v123, v131
	v_mul_f32_e32 v131, v124, v131
	v_fmac_f32_e32 v145, v120, v136
	s_waitcnt vmcnt(3)
	v_fma_f32 v116, v121, v137, -v130
	v_add_f32_e32 v112, v112, v144
	v_add_f32_e32 v111, v111, v115
	v_fmac_f32_e32 v146, v122, v137
	s_waitcnt vmcnt(2)
	v_fma_f32 v117, v123, v138, -v131
	v_add_f32_e32 v112, v112, v145
	v_add_f32_e32 v111, v111, v116
	v_fmac_f32_e32 v147, v124, v138
	v_add_f32_e32 v112, v112, v146
	v_add_f32_e32 v111, v111, v117
	;; [unrolled: 1-line block ×3, first 2 shown]
	s_waitcnt vmcnt(1)
	v_sub_f32_e32 v111, v139, v111
	s_waitcnt vmcnt(0)
	v_sub_f32_e32 v112, v140, v112
	buffer_store_dword v111, off, s[0:3], 0 offset:368
	buffer_store_dword v112, off, s[0:3], 0 offset:372
	s_and_saveexec_b64 s[4:5], vcc
	s_cbranch_execz .LBB53_247
; %bb.246:
	buffer_load_dword v111, off, s[0:3], 0 offset:360
	buffer_load_dword v112, off, s[0:3], 0 offset:364
	s_waitcnt vmcnt(0)
	ds_write_b64 v109, v[111:112]
	buffer_store_dword v110, off, s[0:3], 0 offset:360
	buffer_store_dword v110, off, s[0:3], 0 offset:364
.LBB53_247:
	s_or_b64 exec, exec, s[4:5]
	s_waitcnt lgkmcnt(0)
	; wave barrier
	buffer_load_dword v127, off, s[0:3], 0 offset:372
	buffer_load_dword v128, off, s[0:3], 0 offset:380
	;; [unrolled: 1-line block ×18, first 2 shown]
	ds_read_b128 v[111:114], v110 offset:800
	ds_read_b128 v[115:118], v110 offset:816
	;; [unrolled: 1-line block ×4, first 2 shown]
	v_cmp_lt_u32_e32 vcc, 44, v0
	s_waitcnt vmcnt(17) lgkmcnt(3)
	v_mul_f32_e32 v110, v111, v127
	v_mul_f32_e32 v127, v112, v127
	s_waitcnt vmcnt(16)
	v_mul_f32_e32 v145, v113, v128
	v_mul_f32_e32 v128, v114, v128
	s_waitcnt vmcnt(15) lgkmcnt(2)
	v_mul_f32_e32 v146, v115, v129
	v_mul_f32_e32 v129, v116, v129
	s_waitcnt vmcnt(14)
	v_mul_f32_e32 v147, v117, v130
	v_mul_f32_e32 v130, v118, v130
	s_waitcnt vmcnt(9)
	v_fma_f32 v111, v111, v135, -v127
	v_fmac_f32_e32 v110, v112, v135
	s_waitcnt vmcnt(8)
	v_fma_f32 v112, v113, v136, -v128
	v_add_f32_e32 v111, 0, v111
	v_fmac_f32_e32 v145, v114, v136
	s_waitcnt vmcnt(7)
	v_fma_f32 v113, v115, v137, -v129
	v_add_f32_e32 v110, 0, v110
	v_add_f32_e32 v111, v111, v112
	s_waitcnt lgkmcnt(1)
	v_mul_f32_e32 v148, v119, v131
	v_mul_f32_e32 v131, v120, v131
	v_fmac_f32_e32 v146, v116, v137
	s_waitcnt vmcnt(6)
	v_fma_f32 v114, v117, v138, -v130
	v_add_f32_e32 v110, v110, v145
	v_add_f32_e32 v111, v111, v113
	v_mul_f32_e32 v149, v121, v132
	v_mul_f32_e32 v132, v122, v132
	v_fmac_f32_e32 v147, v118, v138
	s_waitcnt vmcnt(5)
	v_fma_f32 v115, v119, v139, -v131
	v_add_f32_e32 v110, v110, v146
	v_add_f32_e32 v111, v111, v114
	s_waitcnt lgkmcnt(0)
	v_mul_f32_e32 v150, v123, v133
	v_mul_f32_e32 v133, v124, v133
	v_fmac_f32_e32 v148, v120, v139
	s_waitcnt vmcnt(4)
	v_fma_f32 v116, v121, v140, -v132
	v_add_f32_e32 v110, v110, v147
	v_add_f32_e32 v111, v111, v115
	v_mul_f32_e32 v151, v125, v134
	v_mul_f32_e32 v134, v126, v134
	v_fmac_f32_e32 v149, v122, v140
	s_waitcnt vmcnt(3)
	v_fma_f32 v117, v123, v141, -v133
	v_add_f32_e32 v110, v110, v148
	v_add_f32_e32 v111, v111, v116
	v_fmac_f32_e32 v150, v124, v141
	s_waitcnt vmcnt(2)
	v_fma_f32 v118, v125, v142, -v134
	v_add_f32_e32 v110, v110, v149
	v_add_f32_e32 v111, v111, v117
	v_fmac_f32_e32 v151, v126, v142
	v_add_f32_e32 v110, v110, v150
	v_add_f32_e32 v111, v111, v118
	;; [unrolled: 1-line block ×3, first 2 shown]
	s_waitcnt vmcnt(1)
	v_sub_f32_e32 v111, v143, v111
	s_waitcnt vmcnt(0)
	v_sub_f32_e32 v110, v144, v110
	buffer_store_dword v111, off, s[0:3], 0 offset:360
	buffer_store_dword v110, off, s[0:3], 0 offset:364
	s_and_saveexec_b64 s[4:5], vcc
	s_cbranch_execz .LBB53_249
; %bb.248:
	buffer_load_dword v110, off, s[0:3], 0 offset:352
	buffer_load_dword v111, off, s[0:3], 0 offset:356
	v_mov_b32_e32 v112, 0
	buffer_store_dword v112, off, s[0:3], 0 offset:352
	buffer_store_dword v112, off, s[0:3], 0 offset:356
	s_waitcnt vmcnt(2)
	ds_write_b64 v109, v[110:111]
.LBB53_249:
	s_or_b64 exec, exec, s[4:5]
	s_waitcnt lgkmcnt(0)
	; wave barrier
	buffer_load_dword v129, off, s[0:3], 0 offset:364
	buffer_load_dword v130, off, s[0:3], 0 offset:372
	;; [unrolled: 1-line block ×20, first 2 shown]
	v_mov_b32_e32 v110, 0
	ds_read2_b64 v[111:114], v110 offset0:99 offset1:100
	ds_read2_b64 v[115:118], v110 offset0:101 offset1:102
	;; [unrolled: 1-line block ×4, first 2 shown]
	ds_read_b64 v[127:128], v110 offset:856
	v_cmp_lt_u32_e32 vcc, 43, v0
	s_waitcnt vmcnt(19) lgkmcnt(4)
	v_mul_f32_e32 v149, v111, v129
	v_mul_f32_e32 v129, v112, v129
	s_waitcnt vmcnt(18)
	v_mul_f32_e32 v150, v113, v130
	v_mul_f32_e32 v130, v114, v130
	s_waitcnt vmcnt(17) lgkmcnt(3)
	v_mul_f32_e32 v151, v115, v131
	s_waitcnt vmcnt(15) lgkmcnt(2)
	v_mul_f32_e32 v153, v119, v133
	v_mul_f32_e32 v131, v116, v131
	;; [unrolled: 1-line block ×4, first 2 shown]
	s_waitcnt vmcnt(10)
	v_fma_f32 v111, v111, v138, -v129
	v_fmac_f32_e32 v149, v112, v138
	s_waitcnt vmcnt(9)
	v_fma_f32 v112, v113, v139, -v130
	v_add_f32_e32 v111, 0, v111
	v_mul_f32_e32 v133, v120, v133
	v_fmac_f32_e32 v150, v114, v139
	s_waitcnt vmcnt(6)
	v_fmac_f32_e32 v153, v120, v142
	v_fma_f32 v113, v115, v140, -v131
	v_add_f32_e32 v120, 0, v149
	v_add_f32_e32 v111, v111, v112
	v_fmac_f32_e32 v151, v116, v140
	v_fma_f32 v114, v117, v141, -v132
	v_add_f32_e32 v120, v120, v150
	v_add_f32_e32 v111, v111, v113
	v_mul_f32_e32 v154, v121, v134
	v_mul_f32_e32 v134, v122, v134
	v_fmac_f32_e32 v152, v118, v141
	v_fma_f32 v115, v119, v142, -v133
	v_add_f32_e32 v112, v120, v151
	v_add_f32_e32 v111, v111, v114
	s_waitcnt lgkmcnt(1)
	v_mul_f32_e32 v155, v123, v135
	v_mul_f32_e32 v135, v124, v135
	s_waitcnt vmcnt(5)
	v_fma_f32 v116, v121, v143, -v134
	v_add_f32_e32 v112, v112, v152
	v_add_f32_e32 v111, v111, v115
	v_mul_f32_e32 v156, v125, v136
	v_mul_f32_e32 v136, v126, v136
	v_fmac_f32_e32 v154, v122, v143
	s_waitcnt vmcnt(4)
	v_fma_f32 v117, v123, v144, -v135
	v_add_f32_e32 v112, v112, v153
	v_add_f32_e32 v111, v111, v116
	s_waitcnt lgkmcnt(0)
	v_mul_f32_e32 v157, v127, v137
	v_mul_f32_e32 v137, v128, v137
	v_fmac_f32_e32 v155, v124, v144
	s_waitcnt vmcnt(3)
	v_fma_f32 v118, v125, v145, -v136
	v_add_f32_e32 v112, v112, v154
	v_add_f32_e32 v111, v111, v117
	v_fmac_f32_e32 v156, v126, v145
	s_waitcnt vmcnt(2)
	v_fma_f32 v119, v127, v146, -v137
	v_add_f32_e32 v112, v112, v155
	v_add_f32_e32 v111, v111, v118
	v_fmac_f32_e32 v157, v128, v146
	v_add_f32_e32 v112, v112, v156
	v_add_f32_e32 v111, v111, v119
	;; [unrolled: 1-line block ×3, first 2 shown]
	s_waitcnt vmcnt(1)
	v_sub_f32_e32 v111, v147, v111
	s_waitcnt vmcnt(0)
	v_sub_f32_e32 v112, v148, v112
	buffer_store_dword v111, off, s[0:3], 0 offset:352
	buffer_store_dword v112, off, s[0:3], 0 offset:356
	s_and_saveexec_b64 s[4:5], vcc
	s_cbranch_execz .LBB53_251
; %bb.250:
	buffer_load_dword v111, off, s[0:3], 0 offset:344
	buffer_load_dword v112, off, s[0:3], 0 offset:348
	s_waitcnt vmcnt(0)
	ds_write_b64 v109, v[111:112]
	buffer_store_dword v110, off, s[0:3], 0 offset:344
	buffer_store_dword v110, off, s[0:3], 0 offset:348
.LBB53_251:
	s_or_b64 exec, exec, s[4:5]
	s_waitcnt lgkmcnt(0)
	; wave barrier
	buffer_load_dword v131, off, s[0:3], 0 offset:356
	buffer_load_dword v132, off, s[0:3], 0 offset:364
	;; [unrolled: 1-line block ×22, first 2 shown]
	ds_read_b128 v[111:114], v110 offset:784
	ds_read_b128 v[115:118], v110 offset:800
	;; [unrolled: 1-line block ×5, first 2 shown]
	v_cmp_lt_u32_e32 vcc, 42, v0
	s_waitcnt vmcnt(21) lgkmcnt(4)
	v_mul_f32_e32 v110, v111, v131
	v_mul_f32_e32 v131, v112, v131
	s_waitcnt vmcnt(20)
	v_mul_f32_e32 v153, v113, v132
	v_mul_f32_e32 v132, v114, v132
	s_waitcnt vmcnt(19) lgkmcnt(3)
	v_mul_f32_e32 v154, v115, v133
	v_mul_f32_e32 v133, v116, v133
	s_waitcnt vmcnt(18)
	v_mul_f32_e32 v155, v117, v134
	v_mul_f32_e32 v134, v118, v134
	s_waitcnt vmcnt(17) lgkmcnt(2)
	v_mul_f32_e32 v156, v119, v135
	v_mul_f32_e32 v135, v120, v135
	s_waitcnt vmcnt(11)
	v_fma_f32 v111, v111, v141, -v131
	v_fmac_f32_e32 v110, v112, v141
	s_waitcnt vmcnt(10)
	v_fma_f32 v112, v113, v142, -v132
	v_add_f32_e32 v111, 0, v111
	v_fmac_f32_e32 v153, v114, v142
	s_waitcnt vmcnt(9)
	v_fma_f32 v113, v115, v143, -v133
	v_add_f32_e32 v110, 0, v110
	v_add_f32_e32 v111, v111, v112
	v_fmac_f32_e32 v154, v116, v143
	s_waitcnt vmcnt(8)
	v_fma_f32 v114, v117, v144, -v134
	v_add_f32_e32 v110, v110, v153
	v_add_f32_e32 v111, v111, v113
	v_mul_f32_e32 v157, v121, v136
	v_mul_f32_e32 v136, v122, v136
	v_fmac_f32_e32 v155, v118, v144
	s_waitcnt vmcnt(7)
	v_fma_f32 v115, v119, v145, -v135
	v_add_f32_e32 v110, v110, v154
	v_add_f32_e32 v111, v111, v114
	s_waitcnt lgkmcnt(1)
	v_mul_f32_e32 v158, v123, v137
	v_mul_f32_e32 v137, v124, v137
	v_fmac_f32_e32 v156, v120, v145
	s_waitcnt vmcnt(6)
	v_fma_f32 v116, v121, v146, -v136
	v_add_f32_e32 v110, v110, v155
	v_add_f32_e32 v111, v111, v115
	v_mul_f32_e32 v159, v125, v138
	v_mul_f32_e32 v138, v126, v138
	v_fmac_f32_e32 v157, v122, v146
	s_waitcnt vmcnt(5)
	v_fma_f32 v117, v123, v147, -v137
	v_add_f32_e32 v110, v110, v156
	v_add_f32_e32 v111, v111, v116
	s_waitcnt lgkmcnt(0)
	v_mul_f32_e32 v160, v127, v139
	v_mul_f32_e32 v139, v128, v139
	v_fmac_f32_e32 v158, v124, v147
	s_waitcnt vmcnt(4)
	v_fma_f32 v118, v125, v148, -v138
	v_add_f32_e32 v110, v110, v157
	v_add_f32_e32 v111, v111, v117
	v_mul_f32_e32 v161, v129, v140
	v_mul_f32_e32 v140, v130, v140
	v_fmac_f32_e32 v159, v126, v148
	s_waitcnt vmcnt(3)
	v_fma_f32 v119, v127, v149, -v139
	v_add_f32_e32 v110, v110, v158
	v_add_f32_e32 v111, v111, v118
	v_fmac_f32_e32 v160, v128, v149
	s_waitcnt vmcnt(2)
	v_fma_f32 v120, v129, v150, -v140
	v_add_f32_e32 v110, v110, v159
	v_add_f32_e32 v111, v111, v119
	v_fmac_f32_e32 v161, v130, v150
	v_add_f32_e32 v110, v110, v160
	v_add_f32_e32 v111, v111, v120
	;; [unrolled: 1-line block ×3, first 2 shown]
	s_waitcnt vmcnt(1)
	v_sub_f32_e32 v111, v151, v111
	s_waitcnt vmcnt(0)
	v_sub_f32_e32 v110, v152, v110
	buffer_store_dword v111, off, s[0:3], 0 offset:344
	buffer_store_dword v110, off, s[0:3], 0 offset:348
	s_and_saveexec_b64 s[4:5], vcc
	s_cbranch_execz .LBB53_253
; %bb.252:
	buffer_load_dword v110, off, s[0:3], 0 offset:336
	buffer_load_dword v111, off, s[0:3], 0 offset:340
	v_mov_b32_e32 v112, 0
	buffer_store_dword v112, off, s[0:3], 0 offset:336
	buffer_store_dword v112, off, s[0:3], 0 offset:340
	s_waitcnt vmcnt(2)
	ds_write_b64 v109, v[110:111]
.LBB53_253:
	s_or_b64 exec, exec, s[4:5]
	s_waitcnt lgkmcnt(0)
	; wave barrier
	buffer_load_dword v133, off, s[0:3], 0 offset:348
	buffer_load_dword v134, off, s[0:3], 0 offset:356
	;; [unrolled: 1-line block ×24, first 2 shown]
	v_mov_b32_e32 v110, 0
	ds_read2_b64 v[111:114], v110 offset0:97 offset1:98
	ds_read2_b64 v[115:118], v110 offset0:99 offset1:100
	;; [unrolled: 1-line block ×5, first 2 shown]
	ds_read_b64 v[131:132], v110 offset:856
	v_cmp_lt_u32_e32 vcc, 41, v0
	s_waitcnt vmcnt(23) lgkmcnt(5)
	v_mul_f32_e32 v157, v111, v133
	v_mul_f32_e32 v133, v112, v133
	s_waitcnt vmcnt(22)
	v_mul_f32_e32 v158, v113, v134
	v_mul_f32_e32 v134, v114, v134
	s_waitcnt vmcnt(21) lgkmcnt(4)
	v_mul_f32_e32 v159, v115, v135
	v_mul_f32_e32 v135, v116, v135
	s_waitcnt vmcnt(20)
	v_mul_f32_e32 v160, v117, v136
	s_waitcnt vmcnt(19) lgkmcnt(3)
	v_mul_f32_e32 v161, v119, v137
	v_mul_f32_e32 v136, v118, v136
	;; [unrolled: 1-line block ×3, first 2 shown]
	s_waitcnt vmcnt(18)
	v_mul_f32_e32 v162, v121, v138
	s_waitcnt vmcnt(12)
	v_fma_f32 v111, v111, v144, -v133
	v_fmac_f32_e32 v157, v112, v144
	s_waitcnt vmcnt(11)
	v_fma_f32 v112, v113, v145, -v134
	v_add_f32_e32 v111, 0, v111
	s_waitcnt vmcnt(10)
	v_fma_f32 v113, v115, v146, -v135
	v_add_f32_e32 v111, v111, v112
	v_fmac_f32_e32 v158, v114, v145
	s_waitcnt vmcnt(8)
	v_fmac_f32_e32 v161, v120, v148
	v_fma_f32 v114, v117, v147, -v136
	v_add_f32_e32 v120, 0, v157
	v_add_f32_e32 v111, v111, v113
	v_mul_f32_e32 v138, v122, v138
	v_fmac_f32_e32 v159, v116, v146
	v_fma_f32 v115, v119, v148, -v137
	v_add_f32_e32 v120, v120, v158
	v_add_f32_e32 v111, v111, v114
	s_waitcnt lgkmcnt(2)
	v_mul_f32_e32 v163, v123, v139
	v_mul_f32_e32 v139, v124, v139
	v_fmac_f32_e32 v160, v118, v147
	s_waitcnt vmcnt(7)
	v_fma_f32 v116, v121, v149, -v138
	v_add_f32_e32 v112, v120, v159
	v_add_f32_e32 v111, v111, v115
	v_mul_f32_e32 v164, v125, v140
	v_mul_f32_e32 v140, v126, v140
	s_waitcnt vmcnt(6)
	v_fma_f32 v117, v123, v150, -v139
	v_add_f32_e32 v112, v112, v160
	v_add_f32_e32 v111, v111, v116
	s_waitcnt lgkmcnt(1)
	v_mul_f32_e32 v165, v127, v141
	v_mul_f32_e32 v141, v128, v141
	v_fmac_f32_e32 v162, v122, v149
	s_waitcnt vmcnt(5)
	v_fma_f32 v118, v125, v151, -v140
	v_add_f32_e32 v112, v112, v161
	v_add_f32_e32 v111, v111, v117
	v_fmac_f32_e32 v163, v124, v150
	s_waitcnt vmcnt(4)
	v_fma_f32 v119, v127, v152, -v141
	v_add_f32_e32 v112, v112, v162
	v_add_f32_e32 v111, v111, v118
	v_mul_f32_e32 v113, v130, v142
	v_fmac_f32_e32 v164, v126, v151
	v_add_f32_e32 v112, v112, v163
	v_add_f32_e32 v111, v111, v119
	s_waitcnt vmcnt(3)
	v_fma_f32 v113, v129, v153, -v113
	v_mul_f32_e32 v166, v129, v142
	v_fmac_f32_e32 v165, v128, v152
	v_add_f32_e32 v112, v112, v164
	v_add_f32_e32 v111, v111, v113
	s_waitcnt lgkmcnt(0)
	v_mul_f32_e32 v113, v132, v143
	v_mul_f32_e32 v167, v131, v143
	v_fmac_f32_e32 v166, v130, v153
	v_add_f32_e32 v112, v112, v165
	s_waitcnt vmcnt(2)
	v_fma_f32 v113, v131, v154, -v113
	v_fmac_f32_e32 v167, v132, v154
	v_add_f32_e32 v112, v112, v166
	v_add_f32_e32 v111, v111, v113
	;; [unrolled: 1-line block ×3, first 2 shown]
	s_waitcnt vmcnt(1)
	v_sub_f32_e32 v111, v155, v111
	s_waitcnt vmcnt(0)
	v_sub_f32_e32 v112, v156, v112
	buffer_store_dword v111, off, s[0:3], 0 offset:336
	buffer_store_dword v112, off, s[0:3], 0 offset:340
	s_and_saveexec_b64 s[4:5], vcc
	s_cbranch_execz .LBB53_255
; %bb.254:
	buffer_load_dword v111, off, s[0:3], 0 offset:328
	buffer_load_dword v112, off, s[0:3], 0 offset:332
	s_waitcnt vmcnt(0)
	ds_write_b64 v109, v[111:112]
	buffer_store_dword v110, off, s[0:3], 0 offset:328
	buffer_store_dword v110, off, s[0:3], 0 offset:332
.LBB53_255:
	s_or_b64 exec, exec, s[4:5]
	s_waitcnt lgkmcnt(0)
	; wave barrier
	buffer_load_dword v135, off, s[0:3], 0 offset:340
	buffer_load_dword v136, off, s[0:3], 0 offset:348
	;; [unrolled: 1-line block ×26, first 2 shown]
	ds_read_b128 v[111:114], v110 offset:768
	ds_read_b128 v[115:118], v110 offset:784
	;; [unrolled: 1-line block ×6, first 2 shown]
	v_cmp_lt_u32_e32 vcc, 40, v0
	s_waitcnt vmcnt(25) lgkmcnt(5)
	v_mul_f32_e32 v110, v111, v135
	v_mul_f32_e32 v135, v112, v135
	s_waitcnt vmcnt(24)
	v_mul_f32_e32 v161, v113, v136
	v_mul_f32_e32 v136, v114, v136
	s_waitcnt vmcnt(23) lgkmcnt(4)
	v_mul_f32_e32 v162, v115, v137
	v_mul_f32_e32 v137, v116, v137
	s_waitcnt vmcnt(22)
	v_mul_f32_e32 v163, v117, v138
	v_mul_f32_e32 v138, v118, v138
	;; [unrolled: 6-line block ×3, first 2 shown]
	s_waitcnt vmcnt(13)
	v_fma_f32 v111, v111, v147, -v135
	v_fmac_f32_e32 v110, v112, v147
	s_waitcnt vmcnt(12)
	v_fma_f32 v112, v113, v148, -v136
	v_add_f32_e32 v111, 0, v111
	s_waitcnt vmcnt(11)
	v_fma_f32 v113, v115, v149, -v137
	v_add_f32_e32 v111, v111, v112
	v_fmac_f32_e32 v161, v114, v148
	s_waitcnt vmcnt(10)
	v_fma_f32 v114, v117, v150, -v138
	v_add_f32_e32 v111, v111, v113
	s_waitcnt vmcnt(9)
	v_fma_f32 v115, v119, v151, -v139
	v_add_f32_e32 v111, v111, v114
	s_waitcnt lgkmcnt(2)
	v_mul_f32_e32 v166, v123, v141
	v_mul_f32_e32 v141, v124, v141
	v_fmac_f32_e32 v162, v116, v149
	s_waitcnt vmcnt(8)
	v_fma_f32 v116, v121, v152, -v140
	v_add_f32_e32 v110, 0, v110
	v_add_f32_e32 v111, v111, v115
	v_mul_f32_e32 v167, v125, v142
	v_mul_f32_e32 v142, v126, v142
	s_waitcnt vmcnt(7)
	v_fma_f32 v117, v123, v153, -v141
	v_add_f32_e32 v110, v110, v161
	v_add_f32_e32 v111, v111, v116
	v_fmac_f32_e32 v163, v118, v150
	s_waitcnt vmcnt(6)
	v_fma_f32 v118, v125, v154, -v142
	v_add_f32_e32 v110, v110, v162
	v_add_f32_e32 v111, v111, v117
	s_waitcnt lgkmcnt(1)
	v_mul_f32_e32 v112, v128, v143
	v_fmac_f32_e32 v164, v120, v151
	v_add_f32_e32 v110, v110, v163
	v_add_f32_e32 v111, v111, v118
	s_waitcnt vmcnt(5)
	v_fma_f32 v112, v127, v155, -v112
	v_fmac_f32_e32 v165, v122, v152
	v_add_f32_e32 v110, v110, v164
	v_add_f32_e32 v111, v111, v112
	v_mul_f32_e32 v112, v130, v144
	v_fmac_f32_e32 v166, v124, v153
	v_add_f32_e32 v110, v110, v165
	s_waitcnt vmcnt(4)
	v_fma_f32 v112, v129, v156, -v112
	v_mul_f32_e32 v168, v127, v143
	v_fmac_f32_e32 v167, v126, v154
	v_add_f32_e32 v110, v110, v166
	v_add_f32_e32 v111, v111, v112
	s_waitcnt lgkmcnt(0)
	v_mul_f32_e32 v112, v132, v145
	v_mul_f32_e32 v169, v129, v144
	v_fmac_f32_e32 v168, v128, v155
	v_add_f32_e32 v110, v110, v167
	s_waitcnt vmcnt(3)
	v_fma_f32 v112, v131, v157, -v112
	v_mul_f32_e32 v170, v131, v145
	v_fmac_f32_e32 v169, v130, v156
	v_add_f32_e32 v110, v110, v168
	v_add_f32_e32 v111, v111, v112
	v_mul_f32_e32 v112, v134, v146
	v_mul_f32_e32 v171, v133, v146
	v_fmac_f32_e32 v170, v132, v157
	v_add_f32_e32 v110, v110, v169
	s_waitcnt vmcnt(2)
	v_fma_f32 v112, v133, v158, -v112
	v_fmac_f32_e32 v171, v134, v158
	v_add_f32_e32 v110, v110, v170
	v_add_f32_e32 v111, v111, v112
	;; [unrolled: 1-line block ×3, first 2 shown]
	s_waitcnt vmcnt(1)
	v_sub_f32_e32 v111, v159, v111
	s_waitcnt vmcnt(0)
	v_sub_f32_e32 v110, v160, v110
	buffer_store_dword v111, off, s[0:3], 0 offset:328
	buffer_store_dword v110, off, s[0:3], 0 offset:332
	s_and_saveexec_b64 s[4:5], vcc
	s_cbranch_execz .LBB53_257
; %bb.256:
	buffer_load_dword v110, off, s[0:3], 0 offset:320
	buffer_load_dword v111, off, s[0:3], 0 offset:324
	v_mov_b32_e32 v112, 0
	buffer_store_dword v112, off, s[0:3], 0 offset:320
	buffer_store_dword v112, off, s[0:3], 0 offset:324
	s_waitcnt vmcnt(2)
	ds_write_b64 v109, v[110:111]
.LBB53_257:
	s_or_b64 exec, exec, s[4:5]
	s_waitcnt lgkmcnt(0)
	; wave barrier
	buffer_load_dword v137, off, s[0:3], 0 offset:332
	buffer_load_dword v138, off, s[0:3], 0 offset:340
	;; [unrolled: 1-line block ×28, first 2 shown]
	v_mov_b32_e32 v110, 0
	ds_read2_b64 v[111:114], v110 offset0:95 offset1:96
	ds_read2_b64 v[115:118], v110 offset0:97 offset1:98
	;; [unrolled: 1-line block ×6, first 2 shown]
	ds_read_b64 v[135:136], v110 offset:856
	v_cmp_lt_u32_e32 vcc, 39, v0
	s_waitcnt vmcnt(27) lgkmcnt(6)
	v_mul_f32_e32 v165, v111, v137
	v_mul_f32_e32 v137, v112, v137
	s_waitcnt vmcnt(26)
	v_mul_f32_e32 v166, v113, v138
	v_mul_f32_e32 v138, v114, v138
	s_waitcnt vmcnt(25) lgkmcnt(5)
	v_mul_f32_e32 v167, v115, v139
	v_mul_f32_e32 v139, v116, v139
	s_waitcnt vmcnt(24)
	v_mul_f32_e32 v168, v117, v140
	v_mul_f32_e32 v140, v118, v140
	;; [unrolled: 6-line block ×3, first 2 shown]
	s_waitcnt vmcnt(21) lgkmcnt(3)
	v_mul_f32_e32 v171, v123, v143
	s_waitcnt vmcnt(14)
	v_fma_f32 v111, v111, v150, -v137
	v_fmac_f32_e32 v165, v112, v150
	s_waitcnt vmcnt(13)
	v_fma_f32 v112, v113, v151, -v138
	v_add_f32_e32 v111, 0, v111
	s_waitcnt vmcnt(12)
	v_fma_f32 v113, v115, v152, -v139
	v_add_f32_e32 v111, v111, v112
	v_fmac_f32_e32 v166, v114, v151
	s_waitcnt vmcnt(11)
	v_fma_f32 v114, v117, v153, -v140
	v_add_f32_e32 v111, v111, v113
	s_waitcnt vmcnt(10)
	v_fma_f32 v115, v119, v154, -v141
	v_add_f32_e32 v111, v111, v114
	v_fmac_f32_e32 v167, v116, v152
	s_waitcnt vmcnt(9)
	v_fma_f32 v116, v121, v155, -v142
	v_add_f32_e32 v111, v111, v115
	v_mul_f32_e32 v113, v124, v143
	v_add_f32_e32 v111, v111, v116
	s_waitcnt vmcnt(8)
	v_fma_f32 v113, v123, v156, -v113
	v_add_f32_e32 v111, v111, v113
	v_mul_f32_e32 v113, v126, v144
	v_add_f32_e32 v117, 0, v165
	s_waitcnt vmcnt(7)
	v_fma_f32 v113, v125, v157, -v113
	v_add_f32_e32 v117, v117, v166
	v_add_f32_e32 v111, v111, v113
	s_waitcnt lgkmcnt(2)
	v_mul_f32_e32 v113, v128, v145
	v_fmac_f32_e32 v168, v118, v153
	v_add_f32_e32 v112, v117, v167
	s_waitcnt vmcnt(6)
	v_fma_f32 v113, v127, v158, -v113
	v_fmac_f32_e32 v169, v120, v154
	v_add_f32_e32 v112, v112, v168
	v_add_f32_e32 v111, v111, v113
	v_mul_f32_e32 v113, v130, v146
	v_fmac_f32_e32 v170, v122, v155
	v_add_f32_e32 v112, v112, v169
	s_waitcnt vmcnt(5)
	v_fma_f32 v113, v129, v159, -v113
	v_mul_f32_e32 v172, v125, v144
	v_fmac_f32_e32 v171, v124, v156
	v_add_f32_e32 v112, v112, v170
	v_add_f32_e32 v111, v111, v113
	s_waitcnt lgkmcnt(1)
	v_mul_f32_e32 v113, v132, v147
	v_mul_f32_e32 v173, v127, v145
	v_fmac_f32_e32 v172, v126, v157
	v_add_f32_e32 v112, v112, v171
	s_waitcnt vmcnt(4)
	v_fma_f32 v113, v131, v160, -v113
	v_mul_f32_e32 v174, v129, v146
	v_fmac_f32_e32 v173, v128, v158
	v_add_f32_e32 v112, v112, v172
	v_add_f32_e32 v111, v111, v113
	v_mul_f32_e32 v113, v134, v148
	v_mul_f32_e32 v175, v131, v147
	v_fmac_f32_e32 v174, v130, v159
	v_add_f32_e32 v112, v112, v173
	s_waitcnt vmcnt(3)
	v_fma_f32 v113, v133, v161, -v113
	v_mul_f32_e32 v176, v133, v148
	v_fmac_f32_e32 v175, v132, v160
	v_add_f32_e32 v112, v112, v174
	v_add_f32_e32 v111, v111, v113
	s_waitcnt lgkmcnt(0)
	v_mul_f32_e32 v113, v136, v149
	v_mul_f32_e32 v177, v135, v149
	v_fmac_f32_e32 v176, v134, v161
	v_add_f32_e32 v112, v112, v175
	s_waitcnt vmcnt(2)
	v_fma_f32 v113, v135, v162, -v113
	v_fmac_f32_e32 v177, v136, v162
	v_add_f32_e32 v112, v112, v176
	v_add_f32_e32 v111, v111, v113
	;; [unrolled: 1-line block ×3, first 2 shown]
	s_waitcnt vmcnt(1)
	v_sub_f32_e32 v111, v163, v111
	s_waitcnt vmcnt(0)
	v_sub_f32_e32 v112, v164, v112
	buffer_store_dword v111, off, s[0:3], 0 offset:320
	buffer_store_dword v112, off, s[0:3], 0 offset:324
	s_and_saveexec_b64 s[4:5], vcc
	s_cbranch_execz .LBB53_259
; %bb.258:
	buffer_load_dword v111, off, s[0:3], 0 offset:312
	buffer_load_dword v112, off, s[0:3], 0 offset:316
	s_waitcnt vmcnt(0)
	ds_write_b64 v109, v[111:112]
	buffer_store_dword v110, off, s[0:3], 0 offset:312
	buffer_store_dword v110, off, s[0:3], 0 offset:316
.LBB53_259:
	s_or_b64 exec, exec, s[4:5]
	s_waitcnt lgkmcnt(0)
	; wave barrier
	buffer_load_dword v139, off, s[0:3], 0 offset:324
	buffer_load_dword v140, off, s[0:3], 0 offset:332
	;; [unrolled: 1-line block ×30, first 2 shown]
	ds_read_b128 v[111:114], v110 offset:752
	ds_read_b128 v[115:118], v110 offset:768
	;; [unrolled: 1-line block ×7, first 2 shown]
	v_cmp_lt_u32_e32 vcc, 38, v0
	s_waitcnt vmcnt(29) lgkmcnt(6)
	v_mul_f32_e32 v110, v111, v139
	v_mul_f32_e32 v139, v112, v139
	s_waitcnt vmcnt(28)
	v_mul_f32_e32 v169, v113, v140
	v_mul_f32_e32 v140, v114, v140
	s_waitcnt vmcnt(27) lgkmcnt(5)
	v_mul_f32_e32 v170, v115, v141
	v_mul_f32_e32 v141, v116, v141
	s_waitcnt vmcnt(26)
	v_mul_f32_e32 v171, v117, v142
	v_mul_f32_e32 v142, v118, v142
	s_waitcnt vmcnt(25) lgkmcnt(4)
	v_mul_f32_e32 v172, v119, v143
	v_mul_f32_e32 v143, v120, v143
	s_waitcnt vmcnt(24)
	v_mul_f32_e32 v173, v121, v144
	s_waitcnt vmcnt(23) lgkmcnt(3)
	v_mul_f32_e32 v174, v123, v145
	s_waitcnt vmcnt(22)
	v_mul_f32_e32 v175, v125, v146
	s_waitcnt vmcnt(21) lgkmcnt(2)
	v_mul_f32_e32 v176, v127, v147
	s_waitcnt vmcnt(15)
	v_fma_f32 v111, v111, v153, -v139
	v_fmac_f32_e32 v110, v112, v153
	s_waitcnt vmcnt(14)
	v_fma_f32 v112, v113, v154, -v140
	v_add_f32_e32 v111, 0, v111
	s_waitcnt vmcnt(13)
	v_fma_f32 v113, v115, v155, -v141
	v_add_f32_e32 v111, v111, v112
	v_fmac_f32_e32 v169, v114, v154
	s_waitcnt vmcnt(12)
	v_fma_f32 v114, v117, v156, -v142
	v_add_f32_e32 v111, v111, v113
	s_waitcnt vmcnt(11)
	v_fma_f32 v115, v119, v157, -v143
	v_add_f32_e32 v111, v111, v114
	v_mul_f32_e32 v112, v122, v144
	v_add_f32_e32 v111, v111, v115
	s_waitcnt vmcnt(10)
	v_fma_f32 v112, v121, v158, -v112
	v_add_f32_e32 v111, v111, v112
	v_mul_f32_e32 v112, v124, v145
	s_waitcnt vmcnt(9)
	v_fma_f32 v112, v123, v159, -v112
	v_add_f32_e32 v111, v111, v112
	v_mul_f32_e32 v112, v126, v146
	s_waitcnt vmcnt(8)
	v_fma_f32 v112, v125, v160, -v112
	v_add_f32_e32 v110, 0, v110
	v_add_f32_e32 v111, v111, v112
	v_mul_f32_e32 v112, v128, v147
	v_fmac_f32_e32 v170, v116, v155
	v_add_f32_e32 v110, v110, v169
	s_waitcnt vmcnt(7)
	v_fma_f32 v112, v127, v161, -v112
	v_fmac_f32_e32 v171, v118, v156
	v_add_f32_e32 v110, v110, v170
	v_add_f32_e32 v111, v111, v112
	v_mul_f32_e32 v112, v130, v148
	v_fmac_f32_e32 v172, v120, v157
	v_add_f32_e32 v110, v110, v171
	s_waitcnt vmcnt(6)
	v_fma_f32 v112, v129, v162, -v112
	v_fmac_f32_e32 v173, v122, v158
	v_add_f32_e32 v110, v110, v172
	v_add_f32_e32 v111, v111, v112
	s_waitcnt lgkmcnt(1)
	v_mul_f32_e32 v112, v132, v149
	v_fmac_f32_e32 v174, v124, v159
	v_add_f32_e32 v110, v110, v173
	s_waitcnt vmcnt(5)
	v_fma_f32 v112, v131, v163, -v112
	v_fmac_f32_e32 v175, v126, v160
	v_add_f32_e32 v110, v110, v174
	v_add_f32_e32 v111, v111, v112
	v_mul_f32_e32 v112, v134, v150
	v_mul_f32_e32 v177, v129, v148
	v_fmac_f32_e32 v176, v128, v161
	v_add_f32_e32 v110, v110, v175
	s_waitcnt vmcnt(4)
	v_fma_f32 v112, v133, v164, -v112
	v_mul_f32_e32 v178, v131, v149
	v_fmac_f32_e32 v177, v130, v162
	v_add_f32_e32 v110, v110, v176
	v_add_f32_e32 v111, v111, v112
	s_waitcnt lgkmcnt(0)
	v_mul_f32_e32 v112, v136, v151
	v_mul_f32_e32 v179, v133, v150
	v_fmac_f32_e32 v178, v132, v163
	v_add_f32_e32 v110, v110, v177
	s_waitcnt vmcnt(3)
	v_fma_f32 v112, v135, v165, -v112
	v_mul_f32_e32 v180, v135, v151
	v_fmac_f32_e32 v179, v134, v164
	v_add_f32_e32 v110, v110, v178
	v_add_f32_e32 v111, v111, v112
	v_mul_f32_e32 v112, v138, v152
	v_mul_f32_e32 v181, v137, v152
	v_fmac_f32_e32 v180, v136, v165
	v_add_f32_e32 v110, v110, v179
	s_waitcnt vmcnt(2)
	v_fma_f32 v112, v137, v166, -v112
	v_fmac_f32_e32 v181, v138, v166
	v_add_f32_e32 v110, v110, v180
	v_add_f32_e32 v111, v111, v112
	;; [unrolled: 1-line block ×3, first 2 shown]
	s_waitcnt vmcnt(1)
	v_sub_f32_e32 v111, v167, v111
	s_waitcnt vmcnt(0)
	v_sub_f32_e32 v110, v168, v110
	buffer_store_dword v111, off, s[0:3], 0 offset:312
	buffer_store_dword v110, off, s[0:3], 0 offset:316
	s_and_saveexec_b64 s[4:5], vcc
	s_cbranch_execz .LBB53_261
; %bb.260:
	buffer_load_dword v110, off, s[0:3], 0 offset:304
	buffer_load_dword v111, off, s[0:3], 0 offset:308
	v_mov_b32_e32 v112, 0
	buffer_store_dword v112, off, s[0:3], 0 offset:304
	buffer_store_dword v112, off, s[0:3], 0 offset:308
	s_waitcnt vmcnt(2)
	ds_write_b64 v109, v[110:111]
.LBB53_261:
	s_or_b64 exec, exec, s[4:5]
	s_waitcnt lgkmcnt(0)
	; wave barrier
	buffer_load_dword v141, off, s[0:3], 0 offset:316
	buffer_load_dword v142, off, s[0:3], 0 offset:324
	buffer_load_dword v143, off, s[0:3], 0 offset:332
	buffer_load_dword v144, off, s[0:3], 0 offset:340
	buffer_load_dword v145, off, s[0:3], 0 offset:348
	buffer_load_dword v146, off, s[0:3], 0 offset:356
	buffer_load_dword v147, off, s[0:3], 0 offset:364
	buffer_load_dword v148, off, s[0:3], 0 offset:372
	buffer_load_dword v149, off, s[0:3], 0 offset:380
	buffer_load_dword v150, off, s[0:3], 0 offset:388
	buffer_load_dword v151, off, s[0:3], 0 offset:396
	buffer_load_dword v152, off, s[0:3], 0 offset:404
	buffer_load_dword v153, off, s[0:3], 0 offset:412
	buffer_load_dword v154, off, s[0:3], 0 offset:420
	buffer_load_dword v155, off, s[0:3], 0 offset:428
	buffer_load_dword v156, off, s[0:3], 0 offset:312
	buffer_load_dword v157, off, s[0:3], 0 offset:320
	buffer_load_dword v158, off, s[0:3], 0 offset:328
	buffer_load_dword v159, off, s[0:3], 0 offset:336
	buffer_load_dword v160, off, s[0:3], 0 offset:344
	buffer_load_dword v161, off, s[0:3], 0 offset:352
	buffer_load_dword v162, off, s[0:3], 0 offset:360
	buffer_load_dword v163, off, s[0:3], 0 offset:368
	buffer_load_dword v164, off, s[0:3], 0 offset:376
	buffer_load_dword v165, off, s[0:3], 0 offset:384
	buffer_load_dword v166, off, s[0:3], 0 offset:392
	buffer_load_dword v167, off, s[0:3], 0 offset:400
	buffer_load_dword v168, off, s[0:3], 0 offset:408
	buffer_load_dword v169, off, s[0:3], 0 offset:416
	buffer_load_dword v170, off, s[0:3], 0 offset:424
	buffer_load_dword v171, off, s[0:3], 0 offset:304
	buffer_load_dword v172, off, s[0:3], 0 offset:308
	v_mov_b32_e32 v110, 0
	ds_read2_b64 v[111:114], v110 offset0:93 offset1:94
	ds_read2_b64 v[115:118], v110 offset0:95 offset1:96
	;; [unrolled: 1-line block ×7, first 2 shown]
	ds_read_b64 v[139:140], v110 offset:856
	v_cmp_lt_u32_e32 vcc, 37, v0
	s_waitcnt vmcnt(31) lgkmcnt(7)
	v_mul_f32_e32 v173, v111, v141
	v_mul_f32_e32 v141, v112, v141
	s_waitcnt vmcnt(30)
	v_mul_f32_e32 v174, v113, v142
	v_mul_f32_e32 v142, v114, v142
	s_waitcnt vmcnt(29) lgkmcnt(6)
	v_mul_f32_e32 v175, v115, v143
	v_mul_f32_e32 v143, v116, v143
	s_waitcnt vmcnt(28)
	v_mul_f32_e32 v176, v117, v144
	s_waitcnt vmcnt(27) lgkmcnt(5)
	v_mul_f32_e32 v177, v119, v145
	s_waitcnt vmcnt(26)
	v_mul_f32_e32 v178, v121, v146
	s_waitcnt vmcnt(25) lgkmcnt(4)
	;; [unrolled: 4-line block ×4, first 2 shown]
	v_mul_f32_e32 v183, v131, v151
	s_waitcnt vmcnt(20)
	v_mul_f32_e32 v184, v133, v152
	s_waitcnt vmcnt(16)
	v_fma_f32 v111, v111, v156, -v141
	v_fmac_f32_e32 v173, v112, v156
	s_waitcnt vmcnt(15)
	v_fma_f32 v112, v113, v157, -v142
	v_add_f32_e32 v111, 0, v111
	s_waitcnt vmcnt(14)
	v_fma_f32 v113, v115, v158, -v143
	v_add_f32_e32 v111, v111, v112
	v_add_f32_e32 v111, v111, v113
	v_mul_f32_e32 v113, v118, v144
	s_waitcnt vmcnt(13)
	v_fma_f32 v113, v117, v159, -v113
	v_add_f32_e32 v111, v111, v113
	v_mul_f32_e32 v113, v120, v145
	s_waitcnt vmcnt(12)
	v_fma_f32 v113, v119, v160, -v113
	;; [unrolled: 4-line block ×5, first 2 shown]
	v_add_f32_e32 v111, v111, v113
	v_mul_f32_e32 v113, v128, v149
	v_fmac_f32_e32 v174, v114, v157
	v_add_f32_e32 v114, 0, v173
	s_waitcnt vmcnt(8)
	v_fma_f32 v113, v127, v164, -v113
	v_fmac_f32_e32 v175, v116, v158
	v_add_f32_e32 v114, v114, v174
	v_add_f32_e32 v111, v111, v113
	v_mul_f32_e32 v113, v130, v150
	v_fmac_f32_e32 v176, v118, v159
	v_add_f32_e32 v112, v114, v175
	s_waitcnt vmcnt(7)
	v_fma_f32 v113, v129, v165, -v113
	v_fmac_f32_e32 v177, v120, v160
	v_add_f32_e32 v112, v112, v176
	;; [unrolled: 8-line block ×4, first 2 shown]
	v_add_f32_e32 v111, v111, v113
	s_waitcnt lgkmcnt(1)
	v_mul_f32_e32 v113, v136, v153
	v_fmac_f32_e32 v182, v130, v165
	v_add_f32_e32 v112, v112, v181
	s_waitcnt vmcnt(4)
	v_fma_f32 v113, v135, v168, -v113
	v_fmac_f32_e32 v183, v132, v166
	v_add_f32_e32 v112, v112, v182
	v_add_f32_e32 v111, v111, v113
	v_mul_f32_e32 v113, v138, v154
	v_mul_f32_e32 v185, v135, v153
	v_fmac_f32_e32 v184, v134, v167
	v_add_f32_e32 v112, v112, v183
	s_waitcnt vmcnt(3)
	v_fma_f32 v113, v137, v169, -v113
	v_mul_f32_e32 v186, v137, v154
	v_fmac_f32_e32 v185, v136, v168
	v_add_f32_e32 v112, v112, v184
	v_add_f32_e32 v111, v111, v113
	s_waitcnt lgkmcnt(0)
	v_mul_f32_e32 v113, v140, v155
	v_mul_f32_e32 v187, v139, v155
	v_fmac_f32_e32 v186, v138, v169
	v_add_f32_e32 v112, v112, v185
	s_waitcnt vmcnt(2)
	v_fma_f32 v113, v139, v170, -v113
	v_fmac_f32_e32 v187, v140, v170
	v_add_f32_e32 v112, v112, v186
	v_add_f32_e32 v111, v111, v113
	;; [unrolled: 1-line block ×3, first 2 shown]
	s_waitcnt vmcnt(1)
	v_sub_f32_e32 v111, v171, v111
	s_waitcnt vmcnt(0)
	v_sub_f32_e32 v112, v172, v112
	buffer_store_dword v111, off, s[0:3], 0 offset:304
	buffer_store_dword v112, off, s[0:3], 0 offset:308
	s_and_saveexec_b64 s[4:5], vcc
	s_cbranch_execz .LBB53_263
; %bb.262:
	buffer_load_dword v111, off, s[0:3], 0 offset:296
	buffer_load_dword v112, off, s[0:3], 0 offset:300
	s_waitcnt vmcnt(0)
	ds_write_b64 v109, v[111:112]
	buffer_store_dword v110, off, s[0:3], 0 offset:296
	buffer_store_dword v110, off, s[0:3], 0 offset:300
.LBB53_263:
	s_or_b64 exec, exec, s[4:5]
	s_waitcnt lgkmcnt(0)
	; wave barrier
	buffer_load_dword v143, off, s[0:3], 0 offset:308
	buffer_load_dword v144, off, s[0:3], 0 offset:316
	;; [unrolled: 1-line block ×34, first 2 shown]
	ds_read_b128 v[111:114], v110 offset:736
	ds_read_b128 v[115:118], v110 offset:752
	;; [unrolled: 1-line block ×8, first 2 shown]
	v_cmp_lt_u32_e32 vcc, 36, v0
	s_waitcnt vmcnt(33) lgkmcnt(7)
	v_mul_f32_e32 v110, v111, v143
	v_mul_f32_e32 v143, v112, v143
	s_waitcnt vmcnt(32)
	v_mul_f32_e32 v177, v113, v144
	v_mul_f32_e32 v144, v114, v144
	s_waitcnt vmcnt(31) lgkmcnt(6)
	v_mul_f32_e32 v178, v115, v145
	s_waitcnt vmcnt(30)
	v_mul_f32_e32 v179, v117, v146
	s_waitcnt vmcnt(29) lgkmcnt(5)
	v_mul_f32_e32 v180, v119, v147
	s_waitcnt vmcnt(28)
	;; [unrolled: 4-line block ×6, first 2 shown]
	v_mul_f32_e32 v189, v137, v156
	s_waitcnt vmcnt(17)
	v_fma_f32 v111, v111, v159, -v143
	v_fmac_f32_e32 v110, v112, v159
	s_waitcnt vmcnt(16)
	v_fma_f32 v112, v113, v160, -v144
	v_add_f32_e32 v111, 0, v111
	v_add_f32_e32 v111, v111, v112
	v_mul_f32_e32 v112, v116, v145
	s_waitcnt vmcnt(15)
	v_fma_f32 v112, v115, v161, -v112
	v_add_f32_e32 v111, v111, v112
	v_mul_f32_e32 v112, v118, v146
	s_waitcnt vmcnt(14)
	v_fma_f32 v112, v117, v162, -v112
	;; [unrolled: 4-line block ×7, first 2 shown]
	v_fmac_f32_e32 v177, v114, v160
	v_add_f32_e32 v110, 0, v110
	v_add_f32_e32 v111, v111, v112
	v_mul_f32_e32 v112, v130, v152
	v_fmac_f32_e32 v178, v116, v161
	v_add_f32_e32 v110, v110, v177
	s_waitcnt vmcnt(8)
	v_fma_f32 v112, v129, v168, -v112
	v_fmac_f32_e32 v179, v118, v162
	v_add_f32_e32 v110, v110, v178
	v_add_f32_e32 v111, v111, v112
	v_mul_f32_e32 v112, v132, v153
	v_fmac_f32_e32 v180, v120, v163
	v_add_f32_e32 v110, v110, v179
	s_waitcnt vmcnt(7)
	v_fma_f32 v112, v131, v169, -v112
	;; [unrolled: 8-line block ×5, first 2 shown]
	v_fmac_f32_e32 v187, v134, v170
	v_add_f32_e32 v110, v110, v186
	v_add_f32_e32 v111, v111, v112
	s_waitcnt lgkmcnt(0)
	v_mul_f32_e32 v112, v140, v157
	v_fmac_f32_e32 v188, v136, v171
	v_add_f32_e32 v110, v110, v187
	s_waitcnt vmcnt(3)
	v_fma_f32 v112, v139, v173, -v112
	v_mul_f32_e32 v190, v139, v157
	v_fmac_f32_e32 v189, v138, v172
	v_add_f32_e32 v110, v110, v188
	v_add_f32_e32 v111, v111, v112
	v_mul_f32_e32 v112, v142, v158
	v_mul_f32_e32 v191, v141, v158
	v_fmac_f32_e32 v190, v140, v173
	v_add_f32_e32 v110, v110, v189
	s_waitcnt vmcnt(2)
	v_fma_f32 v112, v141, v174, -v112
	v_fmac_f32_e32 v191, v142, v174
	v_add_f32_e32 v110, v110, v190
	v_add_f32_e32 v111, v111, v112
	;; [unrolled: 1-line block ×3, first 2 shown]
	s_waitcnt vmcnt(1)
	v_sub_f32_e32 v111, v175, v111
	s_waitcnt vmcnt(0)
	v_sub_f32_e32 v110, v176, v110
	buffer_store_dword v111, off, s[0:3], 0 offset:296
	buffer_store_dword v110, off, s[0:3], 0 offset:300
	s_and_saveexec_b64 s[4:5], vcc
	s_cbranch_execz .LBB53_265
; %bb.264:
	buffer_load_dword v110, off, s[0:3], 0 offset:288
	buffer_load_dword v111, off, s[0:3], 0 offset:292
	v_mov_b32_e32 v112, 0
	buffer_store_dword v112, off, s[0:3], 0 offset:288
	buffer_store_dword v112, off, s[0:3], 0 offset:292
	s_waitcnt vmcnt(2)
	ds_write_b64 v109, v[110:111]
.LBB53_265:
	s_or_b64 exec, exec, s[4:5]
	s_waitcnt lgkmcnt(0)
	; wave barrier
	buffer_load_dword v145, off, s[0:3], 0 offset:300
	buffer_load_dword v146, off, s[0:3], 0 offset:308
	;; [unrolled: 1-line block ×36, first 2 shown]
	v_mov_b32_e32 v110, 0
	ds_read2_b64 v[111:114], v110 offset0:91 offset1:92
	ds_read2_b64 v[115:118], v110 offset0:93 offset1:94
	;; [unrolled: 1-line block ×8, first 2 shown]
	ds_read_b64 v[143:144], v110 offset:856
	v_cmp_lt_u32_e32 vcc, 35, v0
	s_waitcnt vmcnt(35) lgkmcnt(8)
	v_mul_f32_e32 v181, v111, v145
	s_waitcnt vmcnt(34)
	v_mul_f32_e32 v182, v113, v146
	s_waitcnt vmcnt(33) lgkmcnt(7)
	v_mul_f32_e32 v183, v115, v147
	s_waitcnt vmcnt(32)
	v_mul_f32_e32 v184, v117, v148
	;; [unrolled: 4-line block ×8, first 2 shown]
	s_waitcnt vmcnt(19) lgkmcnt(0)
	v_mul_f32_e32 v197, v143, v161
	s_waitcnt vmcnt(18)
	v_fmac_f32_e32 v181, v112, v162
	v_mul_f32_e32 v112, v112, v145
	v_fma_f32 v111, v111, v162, -v112
	v_mul_f32_e32 v112, v114, v146
	v_add_f32_e32 v111, 0, v111
	s_waitcnt vmcnt(17)
	v_fma_f32 v112, v113, v163, -v112
	v_add_f32_e32 v111, v111, v112
	v_mul_f32_e32 v112, v116, v147
	s_waitcnt vmcnt(16)
	v_fma_f32 v112, v115, v164, -v112
	v_add_f32_e32 v111, v111, v112
	v_mul_f32_e32 v112, v118, v148
	;; [unrolled: 4-line block ×8, first 2 shown]
	v_fmac_f32_e32 v182, v114, v163
	v_add_f32_e32 v181, 0, v181
	s_waitcnt vmcnt(9)
	v_fma_f32 v112, v129, v171, -v112
	v_fmac_f32_e32 v183, v116, v164
	v_add_f32_e32 v181, v181, v182
	v_add_f32_e32 v111, v111, v112
	v_mul_f32_e32 v112, v132, v155
	v_fmac_f32_e32 v184, v118, v165
	v_add_f32_e32 v181, v181, v183
	s_waitcnt vmcnt(8)
	v_fma_f32 v112, v131, v172, -v112
	v_fmac_f32_e32 v185, v120, v166
	v_add_f32_e32 v181, v181, v184
	v_add_f32_e32 v111, v111, v112
	v_mul_f32_e32 v112, v134, v156
	;; [unrolled: 8-line block ×7, first 2 shown]
	v_fmac_f32_e32 v196, v142, v177
	v_add_f32_e32 v181, v181, v195
	s_waitcnt vmcnt(2)
	v_fma_f32 v112, v143, v178, -v112
	v_fmac_f32_e32 v197, v144, v178
	v_add_f32_e32 v181, v181, v196
	v_add_f32_e32 v111, v111, v112
	;; [unrolled: 1-line block ×3, first 2 shown]
	s_waitcnt vmcnt(1)
	v_sub_f32_e32 v111, v179, v111
	s_waitcnt vmcnt(0)
	v_sub_f32_e32 v112, v180, v181
	buffer_store_dword v111, off, s[0:3], 0 offset:288
	buffer_store_dword v112, off, s[0:3], 0 offset:292
	s_and_saveexec_b64 s[4:5], vcc
	s_cbranch_execz .LBB53_267
; %bb.266:
	buffer_load_dword v111, off, s[0:3], 0 offset:280
	buffer_load_dword v112, off, s[0:3], 0 offset:284
	s_waitcnt vmcnt(0)
	ds_write_b64 v109, v[111:112]
	buffer_store_dword v110, off, s[0:3], 0 offset:280
	buffer_store_dword v110, off, s[0:3], 0 offset:284
.LBB53_267:
	s_or_b64 exec, exec, s[4:5]
	s_waitcnt lgkmcnt(0)
	; wave barrier
	buffer_load_dword v147, off, s[0:3], 0 offset:292
	buffer_load_dword v148, off, s[0:3], 0 offset:300
	;; [unrolled: 1-line block ×38, first 2 shown]
	ds_read_b128 v[111:114], v110 offset:720
	ds_read_b128 v[115:118], v110 offset:736
	;; [unrolled: 1-line block ×9, first 2 shown]
	v_cmp_lt_u32_e32 vcc, 34, v0
	s_waitcnt vmcnt(37) lgkmcnt(8)
	v_mul_f32_e32 v110, v111, v147
	s_waitcnt vmcnt(36)
	v_mul_f32_e32 v185, v113, v148
	s_waitcnt vmcnt(35) lgkmcnt(7)
	v_mul_f32_e32 v186, v115, v149
	s_waitcnt vmcnt(34)
	v_mul_f32_e32 v187, v117, v150
	;; [unrolled: 4-line block ×8, first 2 shown]
	s_waitcnt vmcnt(21) lgkmcnt(0)
	v_mul_f32_e32 v200, v143, v163
	s_waitcnt vmcnt(20)
	v_fmac_f32_e32 v110, v112, v164
	v_mul_f32_e32 v112, v112, v147
	v_fma_f32 v111, v111, v164, -v112
	v_mul_f32_e32 v112, v114, v148
	v_add_f32_e32 v111, 0, v111
	s_waitcnt vmcnt(19)
	v_fma_f32 v112, v113, v165, -v112
	v_add_f32_e32 v111, v111, v112
	v_mul_f32_e32 v112, v116, v149
	s_waitcnt vmcnt(18)
	v_fma_f32 v112, v115, v166, -v112
	v_add_f32_e32 v111, v111, v112
	v_mul_f32_e32 v112, v118, v150
	s_waitcnt vmcnt(17)
	v_fma_f32 v112, v117, v167, -v112
	v_add_f32_e32 v111, v111, v112
	v_mul_f32_e32 v112, v120, v151
	s_waitcnt vmcnt(16)
	v_fma_f32 v112, v119, v168, -v112
	v_add_f32_e32 v111, v111, v112
	v_mul_f32_e32 v112, v122, v152
	s_waitcnt vmcnt(15)
	v_fma_f32 v112, v121, v169, -v112
	v_add_f32_e32 v111, v111, v112
	v_mul_f32_e32 v112, v124, v153
	s_waitcnt vmcnt(14)
	v_fma_f32 v112, v123, v170, -v112
	v_add_f32_e32 v111, v111, v112
	v_mul_f32_e32 v112, v126, v154
	s_waitcnt vmcnt(13)
	v_fma_f32 v112, v125, v171, -v112
	v_add_f32_e32 v111, v111, v112
	v_mul_f32_e32 v112, v128, v155
	s_waitcnt vmcnt(12)
	v_fma_f32 v112, v127, v172, -v112
	v_add_f32_e32 v111, v111, v112
	v_mul_f32_e32 v112, v130, v156
	s_waitcnt vmcnt(11)
	v_fma_f32 v112, v129, v173, -v112
	v_fmac_f32_e32 v185, v114, v165
	v_add_f32_e32 v110, 0, v110
	v_add_f32_e32 v111, v111, v112
	v_mul_f32_e32 v112, v132, v157
	v_fmac_f32_e32 v186, v116, v166
	v_add_f32_e32 v110, v110, v185
	s_waitcnt vmcnt(10)
	v_fma_f32 v112, v131, v174, -v112
	v_fmac_f32_e32 v187, v118, v167
	v_add_f32_e32 v110, v110, v186
	v_add_f32_e32 v111, v111, v112
	v_mul_f32_e32 v112, v134, v158
	v_fmac_f32_e32 v188, v120, v168
	v_add_f32_e32 v110, v110, v187
	;; [unrolled: 8-line block ×7, first 2 shown]
	s_waitcnt vmcnt(4)
	v_fma_f32 v112, v143, v180, -v112
	v_fmac_f32_e32 v199, v142, v179
	v_add_f32_e32 v110, v110, v198
	v_add_f32_e32 v111, v111, v112
	s_waitcnt vmcnt(3)
	v_mul_f32_e32 v112, v146, v181
	v_add_f32_e32 v110, v110, v199
	v_fmac_f32_e32 v200, v144, v180
	v_mul_f32_e32 v185, v145, v181
	s_waitcnt vmcnt(2)
	v_fma_f32 v112, v145, v182, -v112
	v_add_f32_e32 v110, v110, v200
	v_fmac_f32_e32 v185, v146, v182
	v_add_f32_e32 v111, v111, v112
	v_add_f32_e32 v110, v110, v185
	s_waitcnt vmcnt(1)
	v_sub_f32_e32 v111, v183, v111
	s_waitcnt vmcnt(0)
	v_sub_f32_e32 v110, v184, v110
	buffer_store_dword v111, off, s[0:3], 0 offset:280
	buffer_store_dword v110, off, s[0:3], 0 offset:284
	s_and_saveexec_b64 s[4:5], vcc
	s_cbranch_execz .LBB53_269
; %bb.268:
	buffer_load_dword v110, off, s[0:3], 0 offset:272
	buffer_load_dword v111, off, s[0:3], 0 offset:276
	v_mov_b32_e32 v112, 0
	buffer_store_dword v112, off, s[0:3], 0 offset:272
	buffer_store_dword v112, off, s[0:3], 0 offset:276
	s_waitcnt vmcnt(2)
	ds_write_b64 v109, v[110:111]
.LBB53_269:
	s_or_b64 exec, exec, s[4:5]
	s_waitcnt lgkmcnt(0)
	; wave barrier
	buffer_load_dword v149, off, s[0:3], 0 offset:284
	buffer_load_dword v150, off, s[0:3], 0 offset:292
	;; [unrolled: 1-line block ×40, first 2 shown]
	v_mov_b32_e32 v110, 0
	ds_read2_b64 v[111:114], v110 offset0:89 offset1:90
	ds_read2_b64 v[115:118], v110 offset0:91 offset1:92
	;; [unrolled: 1-line block ×9, first 2 shown]
	v_cmp_lt_u32_e32 vcc, 33, v0
	s_waitcnt vmcnt(39) lgkmcnt(8)
	v_mul_f32_e32 v147, v111, v149
	s_waitcnt vmcnt(38)
	v_mul_f32_e32 v148, v113, v150
	s_waitcnt vmcnt(37) lgkmcnt(7)
	v_mul_f32_e32 v189, v115, v151
	s_waitcnt vmcnt(36)
	v_mul_f32_e32 v190, v117, v152
	;; [unrolled: 4-line block ×7, first 2 shown]
	s_waitcnt vmcnt(25) lgkmcnt(1)
	v_mul_f32_e32 v201, v139, v163
	s_waitcnt vmcnt(24)
	v_fmac_f32_e32 v147, v112, v164
	v_mul_f32_e32 v112, v112, v149
	v_fma_f32 v111, v111, v164, -v112
	v_mul_f32_e32 v112, v114, v150
	v_add_f32_e32 v111, 0, v111
	s_waitcnt vmcnt(23)
	v_fma_f32 v112, v113, v165, -v112
	v_add_f32_e32 v111, v111, v112
	v_mul_f32_e32 v112, v116, v151
	s_waitcnt vmcnt(22)
	v_fma_f32 v112, v115, v166, -v112
	v_add_f32_e32 v111, v111, v112
	v_mul_f32_e32 v112, v118, v152
	;; [unrolled: 4-line block ×6, first 2 shown]
	s_waitcnt vmcnt(17)
	v_fma_f32 v112, v125, v171, -v112
	v_fmac_f32_e32 v148, v114, v165
	v_add_f32_e32 v147, 0, v147
	v_add_f32_e32 v111, v111, v112
	v_mul_f32_e32 v112, v128, v157
	v_fmac_f32_e32 v189, v116, v166
	v_add_f32_e32 v147, v147, v148
	s_waitcnt vmcnt(16)
	v_fma_f32 v112, v127, v172, -v112
	v_fmac_f32_e32 v190, v118, v167
	v_add_f32_e32 v147, v147, v189
	v_add_f32_e32 v111, v111, v112
	v_mul_f32_e32 v112, v130, v158
	v_fmac_f32_e32 v191, v120, v168
	v_add_f32_e32 v147, v147, v190
	;; [unrolled: 8-line block ×6, first 2 shown]
	s_waitcnt vmcnt(11)
	v_fma_f32 v112, v137, v177, -v112
	v_fmac_f32_e32 v200, v138, v177
	v_add_f32_e32 v147, v147, v199
	v_add_f32_e32 v111, v111, v112
	v_mul_f32_e32 v112, v140, v163
	s_waitcnt vmcnt(10)
	v_fmac_f32_e32 v201, v140, v178
	v_add_f32_e32 v147, v147, v200
	s_waitcnt vmcnt(9)
	v_mul_f32_e32 v148, v141, v179
	v_fma_f32 v112, v139, v178, -v112
	v_add_f32_e32 v147, v147, v201
	s_waitcnt vmcnt(8)
	v_fmac_f32_e32 v148, v142, v180
	v_add_f32_e32 v111, v111, v112
	v_mul_f32_e32 v112, v142, v179
	v_add_f32_e32 v189, v147, v148
	ds_read_b64 v[147:148], v110 offset:856
	v_fma_f32 v112, v141, v180, -v112
	v_add_f32_e32 v111, v111, v112
	s_waitcnt vmcnt(7) lgkmcnt(1)
	v_mul_f32_e32 v112, v144, v181
	v_mul_f32_e32 v190, v143, v181
	s_waitcnt vmcnt(6)
	v_fma_f32 v112, v143, v182, -v112
	v_fmac_f32_e32 v190, v144, v182
	v_add_f32_e32 v111, v111, v112
	s_waitcnt vmcnt(5)
	v_mul_f32_e32 v112, v146, v183
	v_add_f32_e32 v189, v189, v190
	v_mul_f32_e32 v190, v145, v183
	s_waitcnt vmcnt(4)
	v_fma_f32 v112, v145, v184, -v112
	v_fmac_f32_e32 v190, v146, v184
	v_add_f32_e32 v111, v111, v112
	s_waitcnt vmcnt(3) lgkmcnt(0)
	v_mul_f32_e32 v112, v148, v185
	v_add_f32_e32 v189, v189, v190
	v_mul_f32_e32 v190, v147, v185
	s_waitcnt vmcnt(2)
	v_fma_f32 v112, v147, v186, -v112
	v_fmac_f32_e32 v190, v148, v186
	v_add_f32_e32 v111, v111, v112
	v_add_f32_e32 v189, v189, v190
	s_waitcnt vmcnt(1)
	v_sub_f32_e32 v111, v187, v111
	s_waitcnt vmcnt(0)
	v_sub_f32_e32 v112, v188, v189
	buffer_store_dword v111, off, s[0:3], 0 offset:272
	buffer_store_dword v112, off, s[0:3], 0 offset:276
	s_and_saveexec_b64 s[4:5], vcc
	s_cbranch_execz .LBB53_271
; %bb.270:
	buffer_load_dword v111, off, s[0:3], 0 offset:264
	buffer_load_dword v112, off, s[0:3], 0 offset:268
	s_waitcnt vmcnt(0)
	ds_write_b64 v109, v[111:112]
	buffer_store_dword v110, off, s[0:3], 0 offset:264
	buffer_store_dword v110, off, s[0:3], 0 offset:268
.LBB53_271:
	s_or_b64 exec, exec, s[4:5]
	s_waitcnt lgkmcnt(0)
	; wave barrier
	buffer_load_dword v151, off, s[0:3], 0 offset:276
	buffer_load_dword v152, off, s[0:3], 0 offset:284
	;; [unrolled: 1-line block ×42, first 2 shown]
	ds_read_b128 v[111:114], v110 offset:704
	ds_read_b128 v[115:118], v110 offset:720
	;; [unrolled: 1-line block ×8, first 2 shown]
	v_cmp_lt_u32_e32 vcc, 32, v0
	s_waitcnt vmcnt(41) lgkmcnt(7)
	v_mul_f32_e32 v143, v111, v151
	s_waitcnt vmcnt(40)
	v_mul_f32_e32 v144, v113, v152
	s_waitcnt vmcnt(39) lgkmcnt(6)
	v_mul_f32_e32 v145, v115, v153
	s_waitcnt vmcnt(38)
	v_mul_f32_e32 v146, v117, v154
	;; [unrolled: 4-line block ×7, first 2 shown]
	s_waitcnt vmcnt(27) lgkmcnt(0)
	v_mul_f32_e32 v199, v139, v165
	s_waitcnt vmcnt(26)
	v_fmac_f32_e32 v143, v112, v166
	v_mul_f32_e32 v112, v112, v151
	v_fma_f32 v111, v111, v166, -v112
	v_mul_f32_e32 v112, v114, v152
	v_add_f32_e32 v111, 0, v111
	s_waitcnt vmcnt(25)
	v_fma_f32 v112, v113, v167, -v112
	v_add_f32_e32 v111, v111, v112
	v_mul_f32_e32 v112, v116, v153
	s_waitcnt vmcnt(24)
	v_fma_f32 v112, v115, v168, -v112
	v_add_f32_e32 v111, v111, v112
	v_mul_f32_e32 v112, v118, v154
	;; [unrolled: 4-line block ×5, first 2 shown]
	v_fmac_f32_e32 v144, v114, v167
	v_add_f32_e32 v143, 0, v143
	s_waitcnt vmcnt(20)
	v_fma_f32 v112, v123, v172, -v112
	v_fmac_f32_e32 v145, v116, v168
	v_add_f32_e32 v143, v143, v144
	v_add_f32_e32 v111, v111, v112
	v_mul_f32_e32 v112, v126, v158
	v_fmac_f32_e32 v146, v118, v169
	v_add_f32_e32 v143, v143, v145
	s_waitcnt vmcnt(19)
	v_fma_f32 v112, v125, v173, -v112
	v_fmac_f32_e32 v147, v120, v170
	v_add_f32_e32 v143, v143, v146
	v_add_f32_e32 v111, v111, v112
	v_mul_f32_e32 v112, v128, v159
	v_fmac_f32_e32 v148, v122, v171
	v_add_f32_e32 v143, v143, v147
	s_waitcnt vmcnt(18)
	v_fma_f32 v112, v127, v174, -v112
	v_fmac_f32_e32 v149, v124, v172
	v_add_f32_e32 v143, v143, v148
	v_add_f32_e32 v111, v111, v112
	v_mul_f32_e32 v112, v130, v160
	v_fmac_f32_e32 v150, v126, v173
	v_add_f32_e32 v143, v143, v149
	s_waitcnt vmcnt(17)
	v_fma_f32 v112, v129, v175, -v112
	v_fmac_f32_e32 v193, v128, v174
	v_add_f32_e32 v143, v143, v150
	v_add_f32_e32 v111, v111, v112
	v_mul_f32_e32 v112, v132, v161
	v_fmac_f32_e32 v194, v130, v175
	v_add_f32_e32 v143, v143, v193
	s_waitcnt vmcnt(16)
	v_fma_f32 v112, v131, v176, -v112
	v_fmac_f32_e32 v195, v132, v176
	v_add_f32_e32 v143, v143, v194
	v_add_f32_e32 v111, v111, v112
	v_mul_f32_e32 v112, v134, v162
	s_waitcnt vmcnt(15)
	v_fmac_f32_e32 v196, v134, v177
	v_add_f32_e32 v143, v143, v195
	v_fma_f32 v112, v133, v177, -v112
	s_waitcnt vmcnt(14)
	v_fmac_f32_e32 v197, v136, v178
	v_add_f32_e32 v143, v143, v196
	v_add_f32_e32 v111, v111, v112
	v_mul_f32_e32 v112, v136, v163
	s_waitcnt vmcnt(13)
	v_fmac_f32_e32 v198, v138, v179
	v_add_f32_e32 v143, v143, v197
	v_fma_f32 v112, v135, v178, -v112
	s_waitcnt vmcnt(12)
	v_fmac_f32_e32 v199, v140, v180
	v_add_f32_e32 v143, v143, v198
	v_add_f32_e32 v111, v111, v112
	v_mul_f32_e32 v112, v138, v164
	v_add_f32_e32 v147, v143, v199
	ds_read_b128 v[143:146], v110 offset:832
	v_fma_f32 v112, v137, v179, -v112
	v_add_f32_e32 v111, v111, v112
	v_mul_f32_e32 v112, v140, v165
	s_waitcnt vmcnt(11)
	v_mul_f32_e32 v148, v141, v181
	v_fma_f32 v112, v139, v180, -v112
	s_waitcnt vmcnt(10)
	v_fmac_f32_e32 v148, v142, v182
	v_add_f32_e32 v111, v111, v112
	v_mul_f32_e32 v112, v142, v181
	v_add_f32_e32 v193, v147, v148
	ds_read_b128 v[147:150], v110 offset:848
	v_fma_f32 v112, v141, v182, -v112
	v_add_f32_e32 v111, v111, v112
	s_waitcnt vmcnt(9) lgkmcnt(1)
	v_mul_f32_e32 v112, v144, v183
	v_mul_f32_e32 v110, v143, v183
	s_waitcnt vmcnt(8)
	v_fma_f32 v112, v143, v184, -v112
	v_fmac_f32_e32 v110, v144, v184
	v_add_f32_e32 v111, v111, v112
	s_waitcnt vmcnt(7)
	v_mul_f32_e32 v112, v146, v185
	v_add_f32_e32 v110, v193, v110
	v_mul_f32_e32 v193, v145, v185
	s_waitcnt vmcnt(6)
	v_fma_f32 v112, v145, v186, -v112
	v_fmac_f32_e32 v193, v146, v186
	v_add_f32_e32 v111, v111, v112
	s_waitcnt vmcnt(5) lgkmcnt(0)
	v_mul_f32_e32 v112, v148, v187
	v_add_f32_e32 v110, v110, v193
	v_mul_f32_e32 v193, v147, v187
	s_waitcnt vmcnt(4)
	v_fma_f32 v112, v147, v188, -v112
	v_fmac_f32_e32 v193, v148, v188
	v_add_f32_e32 v111, v111, v112
	s_waitcnt vmcnt(3)
	v_mul_f32_e32 v112, v150, v189
	v_add_f32_e32 v110, v110, v193
	v_mul_f32_e32 v193, v149, v189
	s_waitcnt vmcnt(2)
	v_fma_f32 v112, v149, v190, -v112
	v_fmac_f32_e32 v193, v150, v190
	v_add_f32_e32 v111, v111, v112
	v_add_f32_e32 v110, v110, v193
	s_waitcnt vmcnt(1)
	v_sub_f32_e32 v111, v191, v111
	s_waitcnt vmcnt(0)
	v_sub_f32_e32 v110, v192, v110
	buffer_store_dword v111, off, s[0:3], 0 offset:264
	buffer_store_dword v110, off, s[0:3], 0 offset:268
	s_and_saveexec_b64 s[4:5], vcc
	s_cbranch_execz .LBB53_273
; %bb.272:
	buffer_load_dword v110, off, s[0:3], 0 offset:256
	buffer_load_dword v111, off, s[0:3], 0 offset:260
	v_mov_b32_e32 v112, 0
	buffer_store_dword v112, off, s[0:3], 0 offset:256
	buffer_store_dword v112, off, s[0:3], 0 offset:260
	s_waitcnt vmcnt(2)
	ds_write_b64 v109, v[110:111]
.LBB53_273:
	s_or_b64 exec, exec, s[4:5]
	s_waitcnt lgkmcnt(0)
	; wave barrier
	buffer_load_dword v153, off, s[0:3], 0 offset:268
	buffer_load_dword v154, off, s[0:3], 0 offset:276
	;; [unrolled: 1-line block ×44, first 2 shown]
	v_mov_b32_e32 v110, 0
	ds_read2_b64 v[111:114], v110 offset0:87 offset1:88
	ds_read2_b64 v[115:118], v110 offset0:89 offset1:90
	;; [unrolled: 1-line block ×8, first 2 shown]
	v_cmp_lt_u32_e32 vcc, 31, v0
	s_waitcnt vmcnt(43) lgkmcnt(7)
	v_mul_f32_e32 v143, v111, v153
	s_waitcnt vmcnt(42)
	v_mul_f32_e32 v144, v113, v154
	s_waitcnt vmcnt(41) lgkmcnt(6)
	v_mul_f32_e32 v145, v115, v155
	s_waitcnt vmcnt(40)
	v_mul_f32_e32 v146, v117, v156
	s_waitcnt vmcnt(39) lgkmcnt(5)
	v_mul_f32_e32 v147, v119, v157
	s_waitcnt vmcnt(38)
	v_mul_f32_e32 v148, v121, v158
	s_waitcnt vmcnt(37) lgkmcnt(4)
	v_mul_f32_e32 v149, v123, v159
	s_waitcnt vmcnt(36)
	v_mul_f32_e32 v150, v125, v160
	s_waitcnt vmcnt(35) lgkmcnt(3)
	v_mul_f32_e32 v151, v127, v161
	s_waitcnt vmcnt(34)
	v_mul_f32_e32 v152, v129, v162
	s_waitcnt vmcnt(33) lgkmcnt(2)
	v_mul_f32_e32 v197, v131, v163
	s_waitcnt vmcnt(32)
	v_mul_f32_e32 v198, v133, v164
	s_waitcnt vmcnt(31) lgkmcnt(1)
	v_mul_f32_e32 v199, v135, v165
	s_waitcnt vmcnt(30)
	v_mul_f32_e32 v200, v137, v166
	s_waitcnt vmcnt(29)
	v_fmac_f32_e32 v143, v112, v167
	v_mul_f32_e32 v112, v112, v153
	v_fma_f32 v111, v111, v167, -v112
	v_mul_f32_e32 v112, v114, v154
	v_add_f32_e32 v111, 0, v111
	s_waitcnt vmcnt(28)
	v_fma_f32 v112, v113, v168, -v112
	v_add_f32_e32 v111, v111, v112
	v_mul_f32_e32 v112, v116, v155
	s_waitcnt vmcnt(27)
	v_fma_f32 v112, v115, v169, -v112
	v_add_f32_e32 v111, v111, v112
	v_mul_f32_e32 v112, v118, v156
	;; [unrolled: 4-line block ×4, first 2 shown]
	s_waitcnt vmcnt(24)
	v_fma_f32 v112, v121, v172, -v112
	v_fmac_f32_e32 v144, v114, v168
	v_add_f32_e32 v143, 0, v143
	v_add_f32_e32 v111, v111, v112
	v_mul_f32_e32 v112, v124, v159
	v_fmac_f32_e32 v145, v116, v169
	v_add_f32_e32 v143, v143, v144
	s_waitcnt vmcnt(23)
	v_fma_f32 v112, v123, v173, -v112
	v_fmac_f32_e32 v146, v118, v170
	v_add_f32_e32 v143, v143, v145
	v_add_f32_e32 v111, v111, v112
	v_mul_f32_e32 v112, v126, v160
	v_fmac_f32_e32 v147, v120, v171
	v_add_f32_e32 v143, v143, v146
	;; [unrolled: 8-line block ×4, first 2 shown]
	s_waitcnt vmcnt(20)
	v_fma_f32 v112, v129, v176, -v112
	v_fmac_f32_e32 v152, v130, v176
	v_add_f32_e32 v143, v143, v151
	v_add_f32_e32 v111, v111, v112
	v_mul_f32_e32 v112, v132, v163
	s_waitcnt vmcnt(19)
	v_fmac_f32_e32 v197, v132, v177
	v_add_f32_e32 v143, v143, v152
	v_fma_f32 v112, v131, v177, -v112
	s_waitcnt vmcnt(18)
	v_fmac_f32_e32 v198, v134, v178
	v_add_f32_e32 v143, v143, v197
	v_add_f32_e32 v111, v111, v112
	v_mul_f32_e32 v112, v134, v164
	s_waitcnt vmcnt(17)
	v_fmac_f32_e32 v199, v136, v179
	v_add_f32_e32 v143, v143, v198
	v_fma_f32 v112, v133, v178, -v112
	v_add_f32_e32 v143, v143, v199
	s_waitcnt vmcnt(16)
	v_fmac_f32_e32 v200, v138, v180
	s_waitcnt vmcnt(15) lgkmcnt(0)
	v_mul_f32_e32 v144, v139, v181
	v_add_f32_e32 v111, v111, v112
	v_mul_f32_e32 v112, v136, v165
	v_add_f32_e32 v143, v143, v200
	s_waitcnt vmcnt(14)
	v_fmac_f32_e32 v144, v140, v182
	v_fma_f32 v112, v135, v179, -v112
	v_add_f32_e32 v147, v143, v144
	ds_read2_b64 v[143:146], v110 offset0:103 offset1:104
	v_add_f32_e32 v111, v111, v112
	v_mul_f32_e32 v112, v138, v166
	v_fma_f32 v112, v137, v180, -v112
	v_add_f32_e32 v111, v111, v112
	v_mul_f32_e32 v112, v140, v181
	s_waitcnt vmcnt(13)
	v_mul_f32_e32 v148, v141, v183
	v_fma_f32 v112, v139, v182, -v112
	s_waitcnt vmcnt(12)
	v_fmac_f32_e32 v148, v142, v184
	v_add_f32_e32 v111, v111, v112
	v_mul_f32_e32 v112, v142, v183
	v_add_f32_e32 v151, v147, v148
	ds_read2_b64 v[147:150], v110 offset0:105 offset1:106
	s_waitcnt vmcnt(11) lgkmcnt(1)
	v_mul_f32_e32 v152, v143, v185
	v_fma_f32 v112, v141, v184, -v112
	s_waitcnt vmcnt(10)
	v_fmac_f32_e32 v152, v144, v186
	v_add_f32_e32 v111, v111, v112
	v_mul_f32_e32 v112, v144, v185
	v_add_f32_e32 v151, v151, v152
	s_waitcnt vmcnt(9)
	v_mul_f32_e32 v152, v145, v187
	v_fma_f32 v112, v143, v186, -v112
	s_waitcnt vmcnt(8)
	v_fmac_f32_e32 v152, v146, v188
	v_add_f32_e32 v111, v111, v112
	v_mul_f32_e32 v112, v146, v187
	v_add_f32_e32 v197, v151, v152
	ds_read_b64 v[151:152], v110 offset:856
	v_fma_f32 v112, v145, v188, -v112
	v_add_f32_e32 v111, v111, v112
	s_waitcnt vmcnt(7) lgkmcnt(1)
	v_mul_f32_e32 v112, v148, v189
	v_mul_f32_e32 v198, v147, v189
	s_waitcnt vmcnt(6)
	v_fma_f32 v112, v147, v190, -v112
	v_fmac_f32_e32 v198, v148, v190
	v_add_f32_e32 v111, v111, v112
	s_waitcnt vmcnt(5)
	v_mul_f32_e32 v112, v150, v191
	v_add_f32_e32 v197, v197, v198
	v_mul_f32_e32 v198, v149, v191
	s_waitcnt vmcnt(4)
	v_fma_f32 v112, v149, v192, -v112
	v_fmac_f32_e32 v198, v150, v192
	v_add_f32_e32 v111, v111, v112
	s_waitcnt vmcnt(3) lgkmcnt(0)
	v_mul_f32_e32 v112, v152, v193
	v_add_f32_e32 v197, v197, v198
	v_mul_f32_e32 v198, v151, v193
	s_waitcnt vmcnt(2)
	v_fma_f32 v112, v151, v194, -v112
	v_fmac_f32_e32 v198, v152, v194
	v_add_f32_e32 v111, v111, v112
	v_add_f32_e32 v197, v197, v198
	s_waitcnt vmcnt(1)
	v_sub_f32_e32 v111, v195, v111
	s_waitcnt vmcnt(0)
	v_sub_f32_e32 v112, v196, v197
	buffer_store_dword v111, off, s[0:3], 0 offset:256
	buffer_store_dword v112, off, s[0:3], 0 offset:260
	s_and_saveexec_b64 s[4:5], vcc
	s_cbranch_execz .LBB53_275
; %bb.274:
	buffer_load_dword v111, off, s[0:3], 0 offset:248
	buffer_load_dword v112, off, s[0:3], 0 offset:252
	s_waitcnt vmcnt(0)
	ds_write_b64 v109, v[111:112]
	buffer_store_dword v110, off, s[0:3], 0 offset:248
	buffer_store_dword v110, off, s[0:3], 0 offset:252
.LBB53_275:
	s_or_b64 exec, exec, s[4:5]
	s_waitcnt lgkmcnt(0)
	; wave barrier
	buffer_load_dword v155, off, s[0:3], 0 offset:260
	buffer_load_dword v156, off, s[0:3], 0 offset:268
	;; [unrolled: 1-line block ×46, first 2 shown]
	ds_read_b128 v[111:114], v110 offset:688
	ds_read_b128 v[115:118], v110 offset:704
	;; [unrolled: 1-line block ×8, first 2 shown]
	v_cmp_lt_u32_e32 vcc, 30, v0
	s_waitcnt vmcnt(45) lgkmcnt(7)
	v_mul_f32_e32 v143, v111, v155
	s_waitcnt vmcnt(44)
	v_mul_f32_e32 v144, v113, v156
	s_waitcnt vmcnt(43) lgkmcnt(6)
	v_mul_f32_e32 v145, v115, v157
	s_waitcnt vmcnt(42)
	v_mul_f32_e32 v146, v117, v158
	s_waitcnt vmcnt(41) lgkmcnt(5)
	v_mul_f32_e32 v147, v119, v159
	s_waitcnt vmcnt(40)
	v_mul_f32_e32 v148, v121, v160
	s_waitcnt vmcnt(39) lgkmcnt(4)
	v_mul_f32_e32 v149, v123, v161
	s_waitcnt vmcnt(38)
	v_mul_f32_e32 v150, v125, v162
	s_waitcnt vmcnt(37) lgkmcnt(3)
	v_mul_f32_e32 v151, v127, v163
	s_waitcnt vmcnt(36)
	v_mul_f32_e32 v152, v129, v164
	s_waitcnt vmcnt(35) lgkmcnt(2)
	v_mul_f32_e32 v153, v131, v165
	s_waitcnt vmcnt(34)
	v_mul_f32_e32 v154, v133, v166
	s_waitcnt vmcnt(33) lgkmcnt(1)
	v_mul_f32_e32 v201, v135, v167
	s_waitcnt vmcnt(32)
	v_fmac_f32_e32 v143, v112, v168
	v_mul_f32_e32 v112, v112, v155
	v_fma_f32 v111, v111, v168, -v112
	v_mul_f32_e32 v112, v114, v156
	v_add_f32_e32 v111, 0, v111
	s_waitcnt vmcnt(31)
	v_fma_f32 v112, v113, v169, -v112
	v_add_f32_e32 v111, v111, v112
	v_mul_f32_e32 v112, v116, v157
	s_waitcnt vmcnt(30)
	v_fma_f32 v112, v115, v170, -v112
	v_add_f32_e32 v111, v111, v112
	v_mul_f32_e32 v112, v118, v158
	;; [unrolled: 4-line block ×4, first 2 shown]
	v_fmac_f32_e32 v144, v114, v169
	v_add_f32_e32 v143, 0, v143
	s_waitcnt vmcnt(27)
	v_fma_f32 v112, v121, v173, -v112
	v_fmac_f32_e32 v145, v116, v170
	v_add_f32_e32 v143, v143, v144
	v_add_f32_e32 v111, v111, v112
	v_mul_f32_e32 v112, v124, v161
	v_fmac_f32_e32 v146, v118, v171
	v_add_f32_e32 v143, v143, v145
	s_waitcnt vmcnt(26)
	v_fma_f32 v112, v123, v174, -v112
	v_fmac_f32_e32 v147, v120, v172
	v_add_f32_e32 v143, v143, v146
	v_add_f32_e32 v111, v111, v112
	v_mul_f32_e32 v112, v126, v162
	;; [unrolled: 8-line block ×4, first 2 shown]
	s_waitcnt vmcnt(23)
	v_fmac_f32_e32 v152, v130, v177
	v_add_f32_e32 v143, v143, v151
	v_fma_f32 v112, v129, v177, -v112
	s_waitcnt vmcnt(22)
	v_fmac_f32_e32 v153, v132, v178
	v_add_f32_e32 v143, v143, v152
	v_add_f32_e32 v111, v111, v112
	v_mul_f32_e32 v112, v132, v165
	s_waitcnt vmcnt(21)
	v_fmac_f32_e32 v154, v134, v179
	v_add_f32_e32 v143, v143, v153
	v_fma_f32 v112, v131, v178, -v112
	s_waitcnt vmcnt(20)
	v_fmac_f32_e32 v201, v136, v180
	v_add_f32_e32 v143, v143, v154
	s_waitcnt vmcnt(19)
	v_mul_f32_e32 v144, v137, v181
	v_add_f32_e32 v111, v111, v112
	v_mul_f32_e32 v112, v134, v166
	v_add_f32_e32 v143, v143, v201
	s_waitcnt vmcnt(18)
	v_fmac_f32_e32 v144, v138, v182
	v_fma_f32 v112, v133, v179, -v112
	v_add_f32_e32 v143, v143, v144
	s_waitcnt vmcnt(17) lgkmcnt(0)
	v_mul_f32_e32 v144, v139, v183
	v_add_f32_e32 v111, v111, v112
	v_mul_f32_e32 v112, v136, v167
	s_waitcnt vmcnt(16)
	v_fmac_f32_e32 v144, v140, v184
	v_fma_f32 v112, v135, v180, -v112
	v_add_f32_e32 v147, v143, v144
	ds_read_b128 v[143:146], v110 offset:816
	v_add_f32_e32 v111, v111, v112
	v_mul_f32_e32 v112, v138, v181
	v_fma_f32 v112, v137, v182, -v112
	v_add_f32_e32 v111, v111, v112
	v_mul_f32_e32 v112, v140, v183
	s_waitcnt vmcnt(15)
	v_mul_f32_e32 v148, v141, v185
	v_fma_f32 v112, v139, v184, -v112
	s_waitcnt vmcnt(14)
	v_fmac_f32_e32 v148, v142, v186
	v_add_f32_e32 v111, v111, v112
	v_mul_f32_e32 v112, v142, v185
	v_add_f32_e32 v151, v147, v148
	ds_read_b128 v[147:150], v110 offset:832
	s_waitcnt vmcnt(13) lgkmcnt(1)
	v_mul_f32_e32 v152, v143, v187
	v_fma_f32 v112, v141, v186, -v112
	s_waitcnt vmcnt(12)
	v_fmac_f32_e32 v152, v144, v188
	v_add_f32_e32 v111, v111, v112
	v_mul_f32_e32 v112, v144, v187
	v_add_f32_e32 v151, v151, v152
	s_waitcnt vmcnt(11)
	v_mul_f32_e32 v152, v145, v189
	v_fma_f32 v112, v143, v188, -v112
	s_waitcnt vmcnt(10)
	v_fmac_f32_e32 v152, v146, v190
	v_add_f32_e32 v111, v111, v112
	v_mul_f32_e32 v112, v146, v189
	v_add_f32_e32 v201, v151, v152
	ds_read_b128 v[151:154], v110 offset:848
	v_fma_f32 v112, v145, v190, -v112
	v_add_f32_e32 v111, v111, v112
	s_waitcnt vmcnt(9) lgkmcnt(1)
	v_mul_f32_e32 v112, v148, v191
	v_mul_f32_e32 v202, v147, v191
	s_waitcnt vmcnt(8)
	v_fma_f32 v112, v147, v192, -v112
	v_fmac_f32_e32 v202, v148, v192
	v_add_f32_e32 v111, v111, v112
	s_waitcnt vmcnt(7)
	v_mul_f32_e32 v112, v150, v193
	v_add_f32_e32 v110, v201, v202
	v_mul_f32_e32 v201, v149, v193
	s_waitcnt vmcnt(6)
	v_fma_f32 v112, v149, v194, -v112
	v_fmac_f32_e32 v201, v150, v194
	v_add_f32_e32 v111, v111, v112
	s_waitcnt vmcnt(5) lgkmcnt(0)
	v_mul_f32_e32 v112, v152, v195
	v_add_f32_e32 v110, v110, v201
	v_mul_f32_e32 v201, v151, v195
	s_waitcnt vmcnt(4)
	v_fma_f32 v112, v151, v196, -v112
	v_fmac_f32_e32 v201, v152, v196
	v_add_f32_e32 v111, v111, v112
	s_waitcnt vmcnt(3)
	v_mul_f32_e32 v112, v154, v197
	v_add_f32_e32 v110, v110, v201
	v_mul_f32_e32 v201, v153, v197
	s_waitcnt vmcnt(2)
	v_fma_f32 v112, v153, v198, -v112
	v_fmac_f32_e32 v201, v154, v198
	v_add_f32_e32 v111, v111, v112
	v_add_f32_e32 v110, v110, v201
	s_waitcnt vmcnt(1)
	v_sub_f32_e32 v111, v199, v111
	s_waitcnt vmcnt(0)
	v_sub_f32_e32 v110, v200, v110
	buffer_store_dword v111, off, s[0:3], 0 offset:248
	buffer_store_dword v110, off, s[0:3], 0 offset:252
	s_and_saveexec_b64 s[4:5], vcc
	s_cbranch_execz .LBB53_277
; %bb.276:
	buffer_load_dword v110, off, s[0:3], 0 offset:240
	buffer_load_dword v111, off, s[0:3], 0 offset:244
	v_mov_b32_e32 v112, 0
	buffer_store_dword v112, off, s[0:3], 0 offset:240
	buffer_store_dword v112, off, s[0:3], 0 offset:244
	s_waitcnt vmcnt(2)
	ds_write_b64 v109, v[110:111]
.LBB53_277:
	s_or_b64 exec, exec, s[4:5]
	s_waitcnt lgkmcnt(0)
	; wave barrier
	buffer_load_dword v157, off, s[0:3], 0 offset:252
	buffer_load_dword v158, off, s[0:3], 0 offset:260
	;; [unrolled: 1-line block ×48, first 2 shown]
	v_mov_b32_e32 v110, 0
	ds_read2_b64 v[111:114], v110 offset0:85 offset1:86
	ds_read2_b64 v[115:118], v110 offset0:87 offset1:88
	;; [unrolled: 1-line block ×7, first 2 shown]
	v_cmp_lt_u32_e32 vcc, 29, v0
	s_waitcnt vmcnt(47) lgkmcnt(6)
	v_mul_f32_e32 v139, v111, v157
	s_waitcnt vmcnt(46)
	v_mul_f32_e32 v140, v113, v158
	s_waitcnt vmcnt(45) lgkmcnt(5)
	v_mul_f32_e32 v141, v115, v159
	s_waitcnt vmcnt(44)
	v_mul_f32_e32 v142, v117, v160
	;; [unrolled: 4-line block ×6, first 2 shown]
	s_waitcnt vmcnt(35)
	v_fmac_f32_e32 v139, v112, v169
	v_mul_f32_e32 v112, v112, v157
	v_fma_f32 v111, v111, v169, -v112
	v_mul_f32_e32 v112, v114, v158
	v_add_f32_e32 v111, 0, v111
	s_waitcnt vmcnt(34)
	v_fma_f32 v112, v113, v170, -v112
	v_add_f32_e32 v111, v111, v112
	v_mul_f32_e32 v112, v116, v159
	s_waitcnt vmcnt(33)
	v_fma_f32 v112, v115, v171, -v112
	v_fmac_f32_e32 v140, v114, v170
	v_add_f32_e32 v139, 0, v139
	v_add_f32_e32 v111, v111, v112
	v_mul_f32_e32 v112, v118, v160
	v_fmac_f32_e32 v141, v116, v171
	v_add_f32_e32 v139, v139, v140
	s_waitcnt vmcnt(32)
	v_fma_f32 v112, v117, v172, -v112
	v_fmac_f32_e32 v142, v118, v172
	v_add_f32_e32 v139, v139, v141
	v_add_f32_e32 v111, v111, v112
	v_mul_f32_e32 v112, v120, v161
	s_waitcnt vmcnt(31)
	v_fmac_f32_e32 v143, v120, v173
	v_add_f32_e32 v139, v139, v142
	v_fma_f32 v112, v119, v173, -v112
	s_waitcnt vmcnt(30)
	v_fmac_f32_e32 v144, v122, v174
	v_add_f32_e32 v139, v139, v143
	v_add_f32_e32 v111, v111, v112
	v_mul_f32_e32 v112, v122, v162
	s_waitcnt vmcnt(29)
	v_fmac_f32_e32 v145, v124, v175
	v_add_f32_e32 v139, v139, v144
	v_fma_f32 v112, v121, v174, -v112
	s_waitcnt vmcnt(28)
	;; [unrolled: 9-line block ×4, first 2 shown]
	v_fmac_f32_e32 v150, v134, v180
	v_add_f32_e32 v139, v139, v149
	v_add_f32_e32 v111, v111, v112
	v_mul_f32_e32 v112, v128, v165
	v_add_f32_e32 v143, v139, v150
	ds_read2_b64 v[139:142], v110 offset0:99 offset1:100
	v_fma_f32 v112, v127, v177, -v112
	s_waitcnt vmcnt(23) lgkmcnt(1)
	v_mul_f32_e32 v144, v135, v181
	v_add_f32_e32 v111, v111, v112
	v_mul_f32_e32 v112, v130, v166
	s_waitcnt vmcnt(22)
	v_fmac_f32_e32 v144, v136, v182
	v_fma_f32 v112, v129, v178, -v112
	v_add_f32_e32 v143, v143, v144
	s_waitcnt vmcnt(21)
	v_mul_f32_e32 v144, v137, v183
	v_add_f32_e32 v111, v111, v112
	v_mul_f32_e32 v112, v132, v167
	s_waitcnt vmcnt(20)
	v_fmac_f32_e32 v144, v138, v184
	v_fma_f32 v112, v131, v179, -v112
	v_add_f32_e32 v143, v143, v144
	s_waitcnt vmcnt(19) lgkmcnt(0)
	v_mul_f32_e32 v144, v139, v185
	v_add_f32_e32 v111, v111, v112
	v_mul_f32_e32 v112, v134, v168
	s_waitcnt vmcnt(18)
	v_fmac_f32_e32 v144, v140, v186
	v_fma_f32 v112, v133, v180, -v112
	v_add_f32_e32 v147, v143, v144
	ds_read2_b64 v[143:146], v110 offset0:101 offset1:102
	v_add_f32_e32 v111, v111, v112
	v_mul_f32_e32 v112, v136, v181
	v_fma_f32 v112, v135, v182, -v112
	s_waitcnt vmcnt(17)
	v_mul_f32_e32 v148, v141, v187
	v_add_f32_e32 v111, v111, v112
	v_mul_f32_e32 v112, v138, v183
	s_waitcnt vmcnt(16)
	v_fmac_f32_e32 v148, v142, v188
	v_fma_f32 v112, v137, v184, -v112
	v_add_f32_e32 v151, v147, v148
	ds_read2_b64 v[147:150], v110 offset0:103 offset1:104
	v_add_f32_e32 v111, v111, v112
	v_mul_f32_e32 v112, v140, v185
	s_waitcnt vmcnt(15) lgkmcnt(1)
	v_mul_f32_e32 v152, v143, v189
	v_fma_f32 v112, v139, v186, -v112
	s_waitcnt vmcnt(14)
	v_fmac_f32_e32 v152, v144, v190
	v_add_f32_e32 v111, v111, v112
	v_mul_f32_e32 v112, v142, v187
	v_add_f32_e32 v151, v151, v152
	s_waitcnt vmcnt(13)
	v_mul_f32_e32 v152, v145, v191
	v_fma_f32 v112, v141, v188, -v112
	s_waitcnt vmcnt(12)
	v_fmac_f32_e32 v152, v146, v192
	v_add_f32_e32 v111, v111, v112
	v_mul_f32_e32 v112, v144, v189
	v_add_f32_e32 v151, v151, v152
	s_waitcnt vmcnt(11) lgkmcnt(0)
	v_mul_f32_e32 v152, v147, v193
	v_fma_f32 v112, v143, v190, -v112
	s_waitcnt vmcnt(10)
	v_fmac_f32_e32 v152, v148, v194
	v_add_f32_e32 v111, v111, v112
	v_mul_f32_e32 v112, v146, v191
	v_add_f32_e32 v155, v151, v152
	ds_read2_b64 v[151:154], v110 offset0:105 offset1:106
	v_fma_f32 v112, v145, v192, -v112
	v_add_f32_e32 v111, v111, v112
	v_mul_f32_e32 v112, v148, v193
	s_waitcnt vmcnt(9)
	v_mul_f32_e32 v156, v149, v195
	v_fma_f32 v112, v147, v194, -v112
	s_waitcnt vmcnt(8)
	v_fmac_f32_e32 v156, v150, v196
	v_add_f32_e32 v111, v111, v112
	v_mul_f32_e32 v112, v150, v195
	v_add_f32_e32 v205, v155, v156
	ds_read_b64 v[155:156], v110 offset:856
	v_fma_f32 v112, v149, v196, -v112
	v_add_f32_e32 v111, v111, v112
	s_waitcnt vmcnt(6) lgkmcnt(1)
	v_mul_f32_e32 v112, v152, v198
	v_mul_f32_e32 v206, v151, v198
	v_fma_f32 v112, v151, v197, -v112
	v_fmac_f32_e32 v206, v152, v197
	v_add_f32_e32 v111, v111, v112
	s_waitcnt vmcnt(3)
	v_mul_f32_e32 v112, v154, v201
	v_add_f32_e32 v205, v205, v206
	v_mul_f32_e32 v206, v153, v201
	s_waitcnt vmcnt(2)
	v_fma_f32 v112, v153, v202, -v112
	v_fmac_f32_e32 v206, v154, v202
	v_add_f32_e32 v111, v111, v112
	s_waitcnt vmcnt(0) lgkmcnt(0)
	v_mul_f32_e32 v112, v156, v204
	v_add_f32_e32 v205, v205, v206
	v_mul_f32_e32 v206, v155, v204
	v_fma_f32 v112, v155, v203, -v112
	v_fmac_f32_e32 v206, v156, v203
	v_add_f32_e32 v111, v111, v112
	v_add_f32_e32 v205, v205, v206
	v_sub_f32_e32 v111, v199, v111
	v_sub_f32_e32 v112, v200, v205
	buffer_store_dword v111, off, s[0:3], 0 offset:240
	buffer_store_dword v112, off, s[0:3], 0 offset:244
	s_and_saveexec_b64 s[4:5], vcc
	s_cbranch_execz .LBB53_279
; %bb.278:
	buffer_load_dword v111, off, s[0:3], 0 offset:232
	buffer_load_dword v112, off, s[0:3], 0 offset:236
	s_waitcnt vmcnt(0)
	ds_write_b64 v109, v[111:112]
	buffer_store_dword v110, off, s[0:3], 0 offset:232
	buffer_store_dword v110, off, s[0:3], 0 offset:236
.LBB53_279:
	s_or_b64 exec, exec, s[4:5]
	s_waitcnt lgkmcnt(0)
	; wave barrier
	buffer_load_dword v159, off, s[0:3], 0 offset:244
	buffer_load_dword v160, off, s[0:3], 0 offset:252
	;; [unrolled: 1-line block ×48, first 2 shown]
	ds_read_b128 v[111:114], v110 offset:672
	ds_read_b128 v[115:118], v110 offset:688
	buffer_load_dword v207, off, s[0:3], 0 offset:424
	buffer_load_dword v208, off, s[0:3], 0 offset:428
	ds_read_b128 v[119:122], v110 offset:704
	ds_read_b128 v[123:126], v110 offset:720
	;; [unrolled: 1-line block ×5, first 2 shown]
	v_cmp_lt_u32_e32 vcc, 28, v0
	s_waitcnt vmcnt(49) lgkmcnt(6)
	v_mul_f32_e32 v139, v111, v159
	s_waitcnt vmcnt(48)
	v_mul_f32_e32 v140, v113, v160
	s_waitcnt vmcnt(47) lgkmcnt(5)
	v_mul_f32_e32 v141, v115, v161
	s_waitcnt vmcnt(46)
	v_mul_f32_e32 v142, v117, v162
	;; [unrolled: 4-line block ×6, first 2 shown]
	s_waitcnt vmcnt(37)
	v_fmac_f32_e32 v139, v112, v171
	v_mul_f32_e32 v112, v112, v159
	v_fma_f32 v111, v111, v171, -v112
	v_mul_f32_e32 v112, v114, v160
	v_add_f32_e32 v111, 0, v111
	s_waitcnt vmcnt(36)
	v_fma_f32 v112, v113, v172, -v112
	v_add_f32_e32 v111, v111, v112
	v_mul_f32_e32 v112, v116, v161
	s_waitcnt vmcnt(35)
	v_fma_f32 v112, v115, v173, -v112
	v_fmac_f32_e32 v140, v114, v172
	v_add_f32_e32 v139, 0, v139
	v_add_f32_e32 v111, v111, v112
	v_mul_f32_e32 v112, v118, v162
	v_fmac_f32_e32 v141, v116, v173
	v_add_f32_e32 v139, v139, v140
	s_waitcnt vmcnt(34)
	v_fma_f32 v112, v117, v174, -v112
	v_fmac_f32_e32 v142, v118, v174
	v_add_f32_e32 v139, v139, v141
	v_add_f32_e32 v111, v111, v112
	v_mul_f32_e32 v112, v120, v163
	s_waitcnt vmcnt(33)
	v_fmac_f32_e32 v143, v120, v175
	v_add_f32_e32 v139, v139, v142
	v_fma_f32 v112, v119, v175, -v112
	s_waitcnt vmcnt(32)
	v_fmac_f32_e32 v144, v122, v176
	v_add_f32_e32 v139, v139, v143
	v_add_f32_e32 v111, v111, v112
	v_mul_f32_e32 v112, v122, v164
	s_waitcnt vmcnt(31)
	v_fmac_f32_e32 v145, v124, v177
	v_add_f32_e32 v139, v139, v144
	v_fma_f32 v112, v121, v176, -v112
	s_waitcnt vmcnt(30)
	v_fmac_f32_e32 v146, v126, v178
	v_add_f32_e32 v139, v139, v145
	v_add_f32_e32 v111, v111, v112
	v_mul_f32_e32 v112, v124, v165
	s_waitcnt vmcnt(29)
	v_fmac_f32_e32 v147, v128, v179
	v_add_f32_e32 v139, v139, v146
	v_fma_f32 v112, v123, v177, -v112
	s_waitcnt vmcnt(28)
	v_fmac_f32_e32 v148, v130, v180
	v_add_f32_e32 v139, v139, v147
	v_add_f32_e32 v111, v111, v112
	v_mul_f32_e32 v112, v126, v166
	s_waitcnt vmcnt(27)
	v_fmac_f32_e32 v149, v132, v181
	v_add_f32_e32 v139, v139, v148
	v_fma_f32 v112, v125, v178, -v112
	v_add_f32_e32 v139, v139, v149
	s_waitcnt vmcnt(26)
	v_fmac_f32_e32 v150, v134, v182
	v_add_f32_e32 v111, v111, v112
	v_mul_f32_e32 v112, v128, v167
	v_add_f32_e32 v143, v139, v150
	ds_read_b128 v[139:142], v110 offset:784
	v_fma_f32 v112, v127, v179, -v112
	s_waitcnt vmcnt(25) lgkmcnt(1)
	v_mul_f32_e32 v144, v135, v183
	v_add_f32_e32 v111, v111, v112
	v_mul_f32_e32 v112, v130, v168
	s_waitcnt vmcnt(24)
	v_fmac_f32_e32 v144, v136, v184
	v_fma_f32 v112, v129, v180, -v112
	v_add_f32_e32 v143, v143, v144
	s_waitcnt vmcnt(23)
	v_mul_f32_e32 v144, v137, v185
	v_add_f32_e32 v111, v111, v112
	v_mul_f32_e32 v112, v132, v169
	s_waitcnt vmcnt(22)
	v_fmac_f32_e32 v144, v138, v186
	v_fma_f32 v112, v131, v181, -v112
	v_add_f32_e32 v143, v143, v144
	s_waitcnt vmcnt(21) lgkmcnt(0)
	v_mul_f32_e32 v144, v139, v187
	v_add_f32_e32 v111, v111, v112
	v_mul_f32_e32 v112, v134, v170
	s_waitcnt vmcnt(20)
	v_fmac_f32_e32 v144, v140, v188
	v_fma_f32 v112, v133, v182, -v112
	v_add_f32_e32 v147, v143, v144
	ds_read_b128 v[143:146], v110 offset:800
	v_add_f32_e32 v111, v111, v112
	v_mul_f32_e32 v112, v136, v183
	v_fma_f32 v112, v135, v184, -v112
	s_waitcnt vmcnt(19)
	v_mul_f32_e32 v148, v141, v189
	v_add_f32_e32 v111, v111, v112
	v_mul_f32_e32 v112, v138, v185
	s_waitcnt vmcnt(18)
	v_fmac_f32_e32 v148, v142, v190
	v_fma_f32 v112, v137, v186, -v112
	v_add_f32_e32 v151, v147, v148
	ds_read_b128 v[147:150], v110 offset:816
	v_add_f32_e32 v111, v111, v112
	v_mul_f32_e32 v112, v140, v187
	s_waitcnt vmcnt(17) lgkmcnt(1)
	v_mul_f32_e32 v152, v143, v191
	v_fma_f32 v112, v139, v188, -v112
	s_waitcnt vmcnt(16)
	v_fmac_f32_e32 v152, v144, v192
	v_add_f32_e32 v111, v111, v112
	v_mul_f32_e32 v112, v142, v189
	v_add_f32_e32 v151, v151, v152
	s_waitcnt vmcnt(15)
	v_mul_f32_e32 v152, v145, v193
	v_fma_f32 v112, v141, v190, -v112
	s_waitcnt vmcnt(14)
	v_fmac_f32_e32 v152, v146, v194
	v_add_f32_e32 v111, v111, v112
	v_mul_f32_e32 v112, v144, v191
	v_add_f32_e32 v151, v151, v152
	s_waitcnt vmcnt(13) lgkmcnt(0)
	v_mul_f32_e32 v152, v147, v195
	v_fma_f32 v112, v143, v192, -v112
	s_waitcnt vmcnt(12)
	v_fmac_f32_e32 v152, v148, v196
	v_add_f32_e32 v111, v111, v112
	v_mul_f32_e32 v112, v146, v193
	v_add_f32_e32 v155, v151, v152
	ds_read_b128 v[151:154], v110 offset:832
	v_fma_f32 v112, v145, v194, -v112
	v_add_f32_e32 v111, v111, v112
	v_mul_f32_e32 v112, v148, v195
	s_waitcnt vmcnt(11)
	v_mul_f32_e32 v156, v149, v197
	v_fma_f32 v112, v147, v196, -v112
	s_waitcnt vmcnt(10)
	v_fmac_f32_e32 v156, v150, v198
	v_add_f32_e32 v111, v111, v112
	v_mul_f32_e32 v112, v150, v197
	v_add_f32_e32 v209, v155, v156
	ds_read_b128 v[155:158], v110 offset:848
	v_fma_f32 v112, v149, v198, -v112
	v_add_f32_e32 v111, v111, v112
	s_waitcnt vmcnt(7) lgkmcnt(1)
	v_mul_f32_e32 v112, v152, v201
	v_mul_f32_e32 v110, v151, v201
	s_waitcnt vmcnt(6)
	v_fma_f32 v112, v151, v202, -v112
	v_fmac_f32_e32 v110, v152, v202
	v_add_f32_e32 v111, v111, v112
	s_waitcnt vmcnt(4)
	v_mul_f32_e32 v112, v154, v204
	v_add_f32_e32 v110, v209, v110
	v_mul_f32_e32 v209, v153, v204
	v_fma_f32 v112, v153, v203, -v112
	v_fmac_f32_e32 v209, v154, v203
	v_add_f32_e32 v111, v111, v112
	s_waitcnt vmcnt(2) lgkmcnt(0)
	v_mul_f32_e32 v112, v156, v206
	v_add_f32_e32 v110, v110, v209
	v_mul_f32_e32 v209, v155, v206
	v_fma_f32 v112, v155, v205, -v112
	v_fmac_f32_e32 v209, v156, v205
	v_add_f32_e32 v111, v111, v112
	s_waitcnt vmcnt(0)
	v_mul_f32_e32 v112, v158, v208
	v_add_f32_e32 v110, v110, v209
	v_mul_f32_e32 v209, v157, v208
	v_fma_f32 v112, v157, v207, -v112
	v_fmac_f32_e32 v209, v158, v207
	v_add_f32_e32 v111, v111, v112
	v_add_f32_e32 v110, v110, v209
	v_sub_f32_e32 v111, v199, v111
	v_sub_f32_e32 v110, v200, v110
	buffer_store_dword v111, off, s[0:3], 0 offset:232
	buffer_store_dword v110, off, s[0:3], 0 offset:236
	s_and_saveexec_b64 s[4:5], vcc
	s_cbranch_execz .LBB53_281
; %bb.280:
	buffer_load_dword v110, off, s[0:3], 0 offset:224
	buffer_load_dword v111, off, s[0:3], 0 offset:228
	v_mov_b32_e32 v112, 0
	buffer_store_dword v112, off, s[0:3], 0 offset:224
	buffer_store_dword v112, off, s[0:3], 0 offset:228
	s_waitcnt vmcnt(2)
	ds_write_b64 v109, v[110:111]
.LBB53_281:
	s_or_b64 exec, exec, s[4:5]
	s_waitcnt lgkmcnt(0)
	; wave barrier
	buffer_load_dword v161, off, s[0:3], 0 offset:236
	buffer_load_dword v162, off, s[0:3], 0 offset:244
	;; [unrolled: 1-line block ×52, first 2 shown]
	v_mov_b32_e32 v110, 0
	ds_read2_b64 v[111:114], v110 offset0:83 offset1:84
	ds_read2_b64 v[115:118], v110 offset0:85 offset1:86
	;; [unrolled: 1-line block ×6, first 2 shown]
	v_cmp_lt_u32_e32 vcc, 27, v0
	s_waitcnt vmcnt(51) lgkmcnt(5)
	v_mul_f32_e32 v135, v111, v161
	s_waitcnt vmcnt(50)
	v_mul_f32_e32 v136, v113, v162
	s_waitcnt vmcnt(49) lgkmcnt(4)
	v_mul_f32_e32 v137, v115, v163
	s_waitcnt vmcnt(48)
	v_mul_f32_e32 v138, v117, v164
	;; [unrolled: 4-line block ×5, first 2 shown]
	s_waitcnt vmcnt(41) lgkmcnt(0)
	v_mul_f32_e32 v145, v131, v171
	s_waitcnt vmcnt(40)
	v_fmac_f32_e32 v135, v112, v172
	v_mul_f32_e32 v112, v112, v161
	s_waitcnt vmcnt(39)
	v_fmac_f32_e32 v136, v114, v173
	v_add_f32_e32 v135, 0, v135
	v_fma_f32 v111, v111, v172, -v112
	v_mul_f32_e32 v112, v114, v162
	s_waitcnt vmcnt(38)
	v_fmac_f32_e32 v137, v116, v174
	v_add_f32_e32 v135, v135, v136
	v_add_f32_e32 v111, 0, v111
	v_fma_f32 v112, v113, v173, -v112
	s_waitcnt vmcnt(37)
	v_fmac_f32_e32 v138, v118, v175
	v_add_f32_e32 v135, v135, v137
	v_add_f32_e32 v111, v111, v112
	v_mul_f32_e32 v112, v116, v163
	s_waitcnt vmcnt(36)
	v_fmac_f32_e32 v139, v120, v176
	v_add_f32_e32 v135, v135, v138
	v_fma_f32 v112, v115, v174, -v112
	s_waitcnt vmcnt(35)
	v_fmac_f32_e32 v140, v122, v177
	v_add_f32_e32 v135, v135, v139
	v_add_f32_e32 v111, v111, v112
	v_mul_f32_e32 v112, v118, v164
	s_waitcnt vmcnt(34)
	v_fmac_f32_e32 v141, v124, v178
	;; [unrolled: 9-line block ×3, first 2 shown]
	v_add_f32_e32 v135, v135, v142
	v_fma_f32 v112, v119, v176, -v112
	s_waitcnt vmcnt(31)
	v_fmac_f32_e32 v144, v130, v181
	v_add_f32_e32 v135, v135, v143
	v_add_f32_e32 v111, v111, v112
	v_mul_f32_e32 v112, v122, v166
	v_add_f32_e32 v135, v135, v144
	s_waitcnt vmcnt(30)
	v_fmac_f32_e32 v145, v132, v182
	v_fma_f32 v112, v121, v177, -v112
	v_add_f32_e32 v139, v135, v145
	ds_read2_b64 v[135:138], v110 offset0:95 offset1:96
	v_add_f32_e32 v111, v111, v112
	v_mul_f32_e32 v112, v124, v167
	v_fma_f32 v112, v123, v178, -v112
	s_waitcnt vmcnt(29)
	v_mul_f32_e32 v140, v133, v183
	v_add_f32_e32 v111, v111, v112
	v_mul_f32_e32 v112, v126, v168
	s_waitcnt vmcnt(28)
	v_fmac_f32_e32 v140, v134, v184
	v_fma_f32 v112, v125, v179, -v112
	v_add_f32_e32 v143, v139, v140
	ds_read2_b64 v[139:142], v110 offset0:97 offset1:98
	v_add_f32_e32 v111, v111, v112
	v_mul_f32_e32 v112, v128, v169
	s_waitcnt vmcnt(27) lgkmcnt(1)
	v_mul_f32_e32 v144, v135, v185
	v_fma_f32 v112, v127, v180, -v112
	s_waitcnt vmcnt(26)
	v_fmac_f32_e32 v144, v136, v186
	v_add_f32_e32 v111, v111, v112
	v_mul_f32_e32 v112, v130, v170
	v_add_f32_e32 v143, v143, v144
	s_waitcnt vmcnt(25)
	v_mul_f32_e32 v144, v137, v187
	v_fma_f32 v112, v129, v181, -v112
	s_waitcnt vmcnt(24)
	v_fmac_f32_e32 v144, v138, v188
	v_add_f32_e32 v111, v111, v112
	v_mul_f32_e32 v112, v132, v171
	v_add_f32_e32 v143, v143, v144
	s_waitcnt vmcnt(23) lgkmcnt(0)
	v_mul_f32_e32 v144, v139, v189
	v_fma_f32 v112, v131, v182, -v112
	s_waitcnt vmcnt(22)
	v_fmac_f32_e32 v144, v140, v190
	v_add_f32_e32 v111, v111, v112
	v_mul_f32_e32 v112, v134, v183
	v_add_f32_e32 v147, v143, v144
	ds_read2_b64 v[143:146], v110 offset0:99 offset1:100
	v_fma_f32 v112, v133, v184, -v112
	v_add_f32_e32 v111, v111, v112
	v_mul_f32_e32 v112, v136, v185
	s_waitcnt vmcnt(21)
	v_mul_f32_e32 v148, v141, v191
	v_fma_f32 v112, v135, v186, -v112
	s_waitcnt vmcnt(20)
	v_fmac_f32_e32 v148, v142, v192
	v_add_f32_e32 v111, v111, v112
	v_mul_f32_e32 v112, v138, v187
	v_add_f32_e32 v151, v147, v148
	ds_read2_b64 v[147:150], v110 offset0:101 offset1:102
	v_fma_f32 v112, v137, v188, -v112
	s_waitcnt vmcnt(19) lgkmcnt(1)
	v_mul_f32_e32 v152, v143, v193
	v_add_f32_e32 v111, v111, v112
	v_mul_f32_e32 v112, v140, v189
	s_waitcnt vmcnt(18)
	v_fmac_f32_e32 v152, v144, v194
	v_fma_f32 v112, v139, v190, -v112
	v_add_f32_e32 v151, v151, v152
	s_waitcnt vmcnt(17)
	v_mul_f32_e32 v152, v145, v195
	v_add_f32_e32 v111, v111, v112
	v_mul_f32_e32 v112, v142, v191
	s_waitcnt vmcnt(16)
	v_fmac_f32_e32 v152, v146, v196
	v_fma_f32 v112, v141, v192, -v112
	v_add_f32_e32 v151, v151, v152
	s_waitcnt vmcnt(14) lgkmcnt(0)
	v_mul_f32_e32 v152, v147, v198
	v_add_f32_e32 v111, v111, v112
	v_mul_f32_e32 v112, v144, v193
	v_fmac_f32_e32 v152, v148, v197
	v_fma_f32 v112, v143, v194, -v112
	v_add_f32_e32 v155, v151, v152
	ds_read2_b64 v[151:154], v110 offset0:103 offset1:104
	v_add_f32_e32 v111, v111, v112
	v_mul_f32_e32 v112, v146, v195
	v_fma_f32 v112, v145, v196, -v112
	v_add_f32_e32 v111, v111, v112
	v_mul_f32_e32 v112, v148, v198
	s_waitcnt vmcnt(11)
	v_mul_f32_e32 v156, v149, v201
	v_fma_f32 v112, v147, v197, -v112
	s_waitcnt vmcnt(10)
	v_fmac_f32_e32 v156, v150, v202
	v_add_f32_e32 v111, v111, v112
	v_mul_f32_e32 v112, v150, v201
	v_add_f32_e32 v159, v155, v156
	ds_read2_b64 v[155:158], v110 offset0:105 offset1:106
	s_waitcnt vmcnt(8) lgkmcnt(1)
	v_mul_f32_e32 v160, v151, v204
	v_fma_f32 v112, v149, v202, -v112
	v_fmac_f32_e32 v160, v152, v203
	v_add_f32_e32 v111, v111, v112
	v_mul_f32_e32 v112, v152, v204
	v_add_f32_e32 v159, v159, v160
	s_waitcnt vmcnt(6)
	v_mul_f32_e32 v160, v153, v206
	v_fma_f32 v112, v151, v203, -v112
	v_fmac_f32_e32 v160, v154, v205
	v_add_f32_e32 v111, v111, v112
	v_mul_f32_e32 v112, v154, v206
	v_add_f32_e32 v213, v159, v160
	ds_read_b64 v[159:160], v110 offset:856
	v_fma_f32 v112, v153, v205, -v112
	v_add_f32_e32 v111, v111, v112
	s_waitcnt vmcnt(4) lgkmcnt(1)
	v_mul_f32_e32 v112, v156, v208
	v_mul_f32_e32 v214, v155, v208
	v_fma_f32 v112, v155, v207, -v112
	v_fmac_f32_e32 v214, v156, v207
	v_add_f32_e32 v111, v111, v112
	s_waitcnt vmcnt(2)
	v_mul_f32_e32 v112, v158, v210
	v_add_f32_e32 v213, v213, v214
	v_mul_f32_e32 v214, v157, v210
	v_fma_f32 v112, v157, v209, -v112
	v_fmac_f32_e32 v214, v158, v209
	v_add_f32_e32 v111, v111, v112
	s_waitcnt vmcnt(0) lgkmcnt(0)
	v_mul_f32_e32 v112, v160, v212
	v_add_f32_e32 v213, v213, v214
	v_mul_f32_e32 v214, v159, v212
	v_fma_f32 v112, v159, v211, -v112
	v_fmac_f32_e32 v214, v160, v211
	v_add_f32_e32 v111, v111, v112
	v_add_f32_e32 v213, v213, v214
	v_sub_f32_e32 v111, v199, v111
	v_sub_f32_e32 v112, v200, v213
	buffer_store_dword v111, off, s[0:3], 0 offset:224
	buffer_store_dword v112, off, s[0:3], 0 offset:228
	s_and_saveexec_b64 s[4:5], vcc
	s_cbranch_execz .LBB53_283
; %bb.282:
	buffer_load_dword v111, off, s[0:3], 0 offset:216
	buffer_load_dword v112, off, s[0:3], 0 offset:220
	s_waitcnt vmcnt(0)
	ds_write_b64 v109, v[111:112]
	buffer_store_dword v110, off, s[0:3], 0 offset:216
	buffer_store_dword v110, off, s[0:3], 0 offset:220
.LBB53_283:
	s_or_b64 exec, exec, s[4:5]
	s_waitcnt lgkmcnt(0)
	; wave barrier
	buffer_load_dword v163, off, s[0:3], 0 offset:228
	buffer_load_dword v164, off, s[0:3], 0 offset:236
	buffer_load_dword v165, off, s[0:3], 0 offset:244
	buffer_load_dword v166, off, s[0:3], 0 offset:252
	buffer_load_dword v167, off, s[0:3], 0 offset:260
	buffer_load_dword v168, off, s[0:3], 0 offset:268
	buffer_load_dword v169, off, s[0:3], 0 offset:276
	buffer_load_dword v170, off, s[0:3], 0 offset:284
	buffer_load_dword v171, off, s[0:3], 0 offset:292
	buffer_load_dword v172, off, s[0:3], 0 offset:300
	buffer_load_dword v173, off, s[0:3], 0 offset:224
	buffer_load_dword v174, off, s[0:3], 0 offset:232
	buffer_load_dword v175, off, s[0:3], 0 offset:240
	buffer_load_dword v176, off, s[0:3], 0 offset:248
	buffer_load_dword v177, off, s[0:3], 0 offset:256
	buffer_load_dword v178, off, s[0:3], 0 offset:264
	buffer_load_dword v179, off, s[0:3], 0 offset:272
	buffer_load_dword v180, off, s[0:3], 0 offset:280
	buffer_load_dword v181, off, s[0:3], 0 offset:288
	buffer_load_dword v182, off, s[0:3], 0 offset:296
	buffer_load_dword v183, off, s[0:3], 0 offset:308
	buffer_load_dword v184, off, s[0:3], 0 offset:304
	buffer_load_dword v185, off, s[0:3], 0 offset:316
	buffer_load_dword v186, off, s[0:3], 0 offset:312
	buffer_load_dword v187, off, s[0:3], 0 offset:324
	buffer_load_dword v188, off, s[0:3], 0 offset:320
	buffer_load_dword v189, off, s[0:3], 0 offset:332
	buffer_load_dword v190, off, s[0:3], 0 offset:328
	buffer_load_dword v191, off, s[0:3], 0 offset:340
	buffer_load_dword v192, off, s[0:3], 0 offset:336
	buffer_load_dword v193, off, s[0:3], 0 offset:348
	buffer_load_dword v194, off, s[0:3], 0 offset:344
	buffer_load_dword v195, off, s[0:3], 0 offset:356
	buffer_load_dword v196, off, s[0:3], 0 offset:352
	buffer_load_dword v197, off, s[0:3], 0 offset:360
	buffer_load_dword v198, off, s[0:3], 0 offset:364
	buffer_load_dword v199, off, s[0:3], 0 offset:216
	buffer_load_dword v200, off, s[0:3], 0 offset:220
	buffer_load_dword v201, off, s[0:3], 0 offset:372
	buffer_load_dword v202, off, s[0:3], 0 offset:368
	buffer_load_dword v203, off, s[0:3], 0 offset:376
	buffer_load_dword v204, off, s[0:3], 0 offset:380
	ds_read_b128 v[111:114], v110 offset:656
	ds_read_b128 v[115:118], v110 offset:672
	;; [unrolled: 1-line block ×4, first 2 shown]
	buffer_load_dword v205, off, s[0:3], 0 offset:388
	buffer_load_dword v206, off, s[0:3], 0 offset:384
	;; [unrolled: 1-line block ×6, first 2 shown]
	ds_read_b128 v[127:130], v110 offset:720
	ds_read_b128 v[131:134], v110 offset:736
	buffer_load_dword v211, off, s[0:3], 0 offset:408
	buffer_load_dword v212, off, s[0:3], 0 offset:412
	;; [unrolled: 1-line block ×6, first 2 shown]
	v_cmp_lt_u32_e32 vcc, 26, v0
	s_waitcnt vmcnt(53) lgkmcnt(5)
	v_mul_f32_e32 v135, v111, v163
	s_waitcnt vmcnt(52)
	v_mul_f32_e32 v136, v113, v164
	s_waitcnt vmcnt(51) lgkmcnt(4)
	v_mul_f32_e32 v137, v115, v165
	s_waitcnt vmcnt(50)
	v_mul_f32_e32 v138, v117, v166
	;; [unrolled: 4-line block ×5, first 2 shown]
	s_waitcnt vmcnt(43)
	v_fmac_f32_e32 v135, v112, v173
	v_mul_f32_e32 v112, v112, v163
	s_waitcnt vmcnt(42)
	v_fmac_f32_e32 v136, v114, v174
	v_add_f32_e32 v135, 0, v135
	v_fma_f32 v111, v111, v173, -v112
	v_mul_f32_e32 v112, v114, v164
	s_waitcnt vmcnt(41)
	v_fmac_f32_e32 v137, v116, v175
	v_add_f32_e32 v135, v135, v136
	v_add_f32_e32 v111, 0, v111
	v_fma_f32 v112, v113, v174, -v112
	s_waitcnt vmcnt(40)
	v_fmac_f32_e32 v138, v118, v176
	v_add_f32_e32 v135, v135, v137
	v_add_f32_e32 v111, v111, v112
	v_mul_f32_e32 v112, v116, v165
	s_waitcnt vmcnt(39)
	v_fmac_f32_e32 v139, v120, v177
	v_add_f32_e32 v135, v135, v138
	v_fma_f32 v112, v115, v175, -v112
	s_waitcnt vmcnt(38)
	v_fmac_f32_e32 v140, v122, v178
	v_add_f32_e32 v135, v135, v139
	v_add_f32_e32 v111, v111, v112
	v_mul_f32_e32 v112, v118, v166
	s_waitcnt vmcnt(37)
	v_fmac_f32_e32 v141, v124, v179
	;; [unrolled: 9-line block ×3, first 2 shown]
	v_add_f32_e32 v135, v135, v142
	v_fma_f32 v112, v119, v177, -v112
	s_waitcnt vmcnt(34)
	v_fmac_f32_e32 v144, v130, v182
	v_add_f32_e32 v135, v135, v143
	s_waitcnt vmcnt(33) lgkmcnt(0)
	v_mul_f32_e32 v136, v131, v183
	v_add_f32_e32 v111, v111, v112
	v_mul_f32_e32 v112, v122, v168
	v_add_f32_e32 v135, v135, v144
	s_waitcnt vmcnt(32)
	v_fmac_f32_e32 v136, v132, v184
	v_fma_f32 v112, v121, v178, -v112
	v_add_f32_e32 v139, v135, v136
	ds_read_b128 v[135:138], v110 offset:752
	v_add_f32_e32 v111, v111, v112
	v_mul_f32_e32 v112, v124, v169
	v_fma_f32 v112, v123, v179, -v112
	s_waitcnt vmcnt(31)
	v_mul_f32_e32 v140, v133, v185
	v_add_f32_e32 v111, v111, v112
	v_mul_f32_e32 v112, v126, v170
	s_waitcnt vmcnt(30)
	v_fmac_f32_e32 v140, v134, v186
	v_fma_f32 v112, v125, v180, -v112
	v_add_f32_e32 v143, v139, v140
	ds_read_b128 v[139:142], v110 offset:768
	v_add_f32_e32 v111, v111, v112
	v_mul_f32_e32 v112, v128, v171
	s_waitcnt vmcnt(29) lgkmcnt(1)
	v_mul_f32_e32 v144, v135, v187
	v_fma_f32 v112, v127, v181, -v112
	s_waitcnt vmcnt(28)
	v_fmac_f32_e32 v144, v136, v188
	v_add_f32_e32 v111, v111, v112
	v_mul_f32_e32 v112, v130, v172
	v_add_f32_e32 v143, v143, v144
	s_waitcnt vmcnt(27)
	v_mul_f32_e32 v144, v137, v189
	v_fma_f32 v112, v129, v182, -v112
	s_waitcnt vmcnt(26)
	v_fmac_f32_e32 v144, v138, v190
	v_add_f32_e32 v111, v111, v112
	v_mul_f32_e32 v112, v132, v183
	v_add_f32_e32 v143, v143, v144
	s_waitcnt vmcnt(25) lgkmcnt(0)
	v_mul_f32_e32 v144, v139, v191
	v_fma_f32 v112, v131, v184, -v112
	s_waitcnt vmcnt(24)
	v_fmac_f32_e32 v144, v140, v192
	v_add_f32_e32 v111, v111, v112
	v_mul_f32_e32 v112, v134, v185
	v_add_f32_e32 v147, v143, v144
	ds_read_b128 v[143:146], v110 offset:784
	v_fma_f32 v112, v133, v186, -v112
	v_add_f32_e32 v111, v111, v112
	v_mul_f32_e32 v112, v136, v187
	s_waitcnt vmcnt(23)
	v_mul_f32_e32 v148, v141, v193
	v_fma_f32 v112, v135, v188, -v112
	s_waitcnt vmcnt(22)
	v_fmac_f32_e32 v148, v142, v194
	v_add_f32_e32 v111, v111, v112
	v_mul_f32_e32 v112, v138, v189
	v_add_f32_e32 v151, v147, v148
	ds_read_b128 v[147:150], v110 offset:800
	v_fma_f32 v112, v137, v190, -v112
	s_waitcnt vmcnt(21) lgkmcnt(1)
	v_mul_f32_e32 v152, v143, v195
	v_add_f32_e32 v111, v111, v112
	v_mul_f32_e32 v112, v140, v191
	s_waitcnt vmcnt(20)
	v_fmac_f32_e32 v152, v144, v196
	v_fma_f32 v112, v139, v192, -v112
	v_add_f32_e32 v151, v151, v152
	s_waitcnt vmcnt(18)
	v_mul_f32_e32 v152, v145, v198
	v_add_f32_e32 v111, v111, v112
	v_mul_f32_e32 v112, v142, v193
	v_fmac_f32_e32 v152, v146, v197
	v_fma_f32 v112, v141, v194, -v112
	v_add_f32_e32 v151, v151, v152
	s_waitcnt vmcnt(15) lgkmcnt(0)
	v_mul_f32_e32 v152, v147, v201
	v_add_f32_e32 v111, v111, v112
	v_mul_f32_e32 v112, v144, v195
	s_waitcnt vmcnt(14)
	v_fmac_f32_e32 v152, v148, v202
	v_fma_f32 v112, v143, v196, -v112
	v_add_f32_e32 v155, v151, v152
	ds_read_b128 v[151:154], v110 offset:816
	v_add_f32_e32 v111, v111, v112
	v_mul_f32_e32 v112, v146, v198
	v_fma_f32 v112, v145, v197, -v112
	v_add_f32_e32 v111, v111, v112
	v_mul_f32_e32 v112, v148, v201
	s_waitcnt vmcnt(12)
	v_mul_f32_e32 v156, v149, v204
	v_fma_f32 v112, v147, v202, -v112
	v_fmac_f32_e32 v156, v150, v203
	v_add_f32_e32 v111, v111, v112
	v_mul_f32_e32 v112, v150, v204
	v_add_f32_e32 v159, v155, v156
	ds_read_b128 v[155:158], v110 offset:832
	s_waitcnt vmcnt(11) lgkmcnt(1)
	v_mul_f32_e32 v160, v151, v205
	v_fma_f32 v112, v149, v203, -v112
	s_waitcnt vmcnt(10)
	v_fmac_f32_e32 v160, v152, v206
	v_add_f32_e32 v111, v111, v112
	v_mul_f32_e32 v112, v152, v205
	v_add_f32_e32 v159, v159, v160
	s_waitcnt vmcnt(8)
	v_mul_f32_e32 v160, v153, v208
	v_fma_f32 v112, v151, v206, -v112
	v_fmac_f32_e32 v160, v154, v207
	v_add_f32_e32 v111, v111, v112
	v_mul_f32_e32 v112, v154, v208
	v_add_f32_e32 v217, v159, v160
	ds_read_b128 v[159:162], v110 offset:848
	v_fma_f32 v112, v153, v207, -v112
	v_add_f32_e32 v111, v111, v112
	s_waitcnt vmcnt(6) lgkmcnt(1)
	v_mul_f32_e32 v112, v156, v210
	v_mul_f32_e32 v218, v155, v210
	v_fma_f32 v112, v155, v209, -v112
	v_fmac_f32_e32 v218, v156, v209
	v_add_f32_e32 v111, v111, v112
	s_waitcnt vmcnt(4)
	v_mul_f32_e32 v112, v158, v212
	v_add_f32_e32 v110, v217, v218
	v_mul_f32_e32 v217, v157, v212
	v_fma_f32 v112, v157, v211, -v112
	v_fmac_f32_e32 v217, v158, v211
	v_add_f32_e32 v111, v111, v112
	s_waitcnt vmcnt(2) lgkmcnt(0)
	v_mul_f32_e32 v112, v160, v214
	v_add_f32_e32 v110, v110, v217
	v_mul_f32_e32 v217, v159, v214
	v_fma_f32 v112, v159, v213, -v112
	v_fmac_f32_e32 v217, v160, v213
	v_add_f32_e32 v111, v111, v112
	s_waitcnt vmcnt(0)
	v_mul_f32_e32 v112, v162, v216
	v_add_f32_e32 v110, v110, v217
	v_mul_f32_e32 v217, v161, v216
	v_fma_f32 v112, v161, v215, -v112
	v_fmac_f32_e32 v217, v162, v215
	v_add_f32_e32 v111, v111, v112
	v_add_f32_e32 v110, v110, v217
	v_sub_f32_e32 v111, v199, v111
	v_sub_f32_e32 v110, v200, v110
	buffer_store_dword v111, off, s[0:3], 0 offset:216
	buffer_store_dword v110, off, s[0:3], 0 offset:220
	s_and_saveexec_b64 s[4:5], vcc
	s_cbranch_execz .LBB53_285
; %bb.284:
	buffer_load_dword v110, off, s[0:3], 0 offset:208
	buffer_load_dword v111, off, s[0:3], 0 offset:212
	v_mov_b32_e32 v112, 0
	buffer_store_dword v112, off, s[0:3], 0 offset:208
	buffer_store_dword v112, off, s[0:3], 0 offset:212
	s_waitcnt vmcnt(2)
	ds_write_b64 v109, v[110:111]
.LBB53_285:
	s_or_b64 exec, exec, s[4:5]
	s_waitcnt lgkmcnt(0)
	; wave barrier
	buffer_load_dword v165, off, s[0:3], 0 offset:220
	buffer_load_dword v166, off, s[0:3], 0 offset:228
	;; [unrolled: 1-line block ×56, first 2 shown]
	v_mov_b32_e32 v110, 0
	ds_read2_b64 v[111:114], v110 offset0:81 offset1:82
	ds_read2_b64 v[115:118], v110 offset0:83 offset1:84
	;; [unrolled: 1-line block ×6, first 2 shown]
	v_cmp_lt_u32_e32 vcc, 25, v0
	s_waitcnt vmcnt(55) lgkmcnt(5)
	v_mul_f32_e32 v135, v111, v165
	s_waitcnt vmcnt(54)
	v_mul_f32_e32 v136, v113, v166
	s_waitcnt vmcnt(53) lgkmcnt(4)
	v_mul_f32_e32 v137, v115, v167
	s_waitcnt vmcnt(52)
	v_mul_f32_e32 v138, v117, v168
	;; [unrolled: 4-line block ×4, first 2 shown]
	s_waitcnt vmcnt(47) lgkmcnt(1)
	v_mul_f32_e32 v143, v127, v173
	s_waitcnt vmcnt(46)
	v_fmac_f32_e32 v135, v112, v174
	s_waitcnt vmcnt(45)
	v_fmac_f32_e32 v136, v114, v175
	v_add_f32_e32 v135, 0, v135
	s_waitcnt vmcnt(44)
	v_fmac_f32_e32 v137, v116, v176
	v_add_f32_e32 v135, v135, v136
	;; [unrolled: 3-line block ×3, first 2 shown]
	v_mul_f32_e32 v112, v112, v165
	s_waitcnt vmcnt(42)
	v_fmac_f32_e32 v139, v120, v178
	v_add_f32_e32 v135, v135, v138
	v_fma_f32 v111, v111, v174, -v112
	v_mul_f32_e32 v112, v114, v166
	s_waitcnt vmcnt(41)
	v_fmac_f32_e32 v140, v122, v179
	v_add_f32_e32 v135, v135, v139
	v_add_f32_e32 v111, 0, v111
	v_fma_f32 v112, v113, v175, -v112
	s_waitcnt vmcnt(40)
	v_fmac_f32_e32 v141, v124, v180
	v_add_f32_e32 v135, v135, v140
	v_add_f32_e32 v111, v111, v112
	v_mul_f32_e32 v112, v116, v167
	s_waitcnt vmcnt(39)
	v_fmac_f32_e32 v142, v126, v181
	v_add_f32_e32 v135, v135, v141
	v_fma_f32 v112, v115, v176, -v112
	v_add_f32_e32 v135, v135, v142
	s_waitcnt vmcnt(38)
	v_fmac_f32_e32 v143, v128, v182
	s_waitcnt vmcnt(37)
	v_mul_f32_e32 v136, v129, v183
	v_add_f32_e32 v111, v111, v112
	v_mul_f32_e32 v112, v118, v168
	v_add_f32_e32 v135, v135, v143
	s_waitcnt vmcnt(36)
	v_fmac_f32_e32 v136, v130, v184
	v_fma_f32 v112, v117, v177, -v112
	v_add_f32_e32 v135, v135, v136
	s_waitcnt vmcnt(35) lgkmcnt(0)
	v_mul_f32_e32 v136, v131, v185
	v_add_f32_e32 v111, v111, v112
	v_mul_f32_e32 v112, v120, v169
	s_waitcnt vmcnt(34)
	v_fmac_f32_e32 v136, v132, v186
	v_fma_f32 v112, v119, v178, -v112
	v_add_f32_e32 v139, v135, v136
	ds_read2_b64 v[135:138], v110 offset0:93 offset1:94
	v_add_f32_e32 v111, v111, v112
	v_mul_f32_e32 v112, v122, v170
	v_fma_f32 v112, v121, v179, -v112
	s_waitcnt vmcnt(33)
	v_mul_f32_e32 v140, v133, v187
	v_add_f32_e32 v111, v111, v112
	v_mul_f32_e32 v112, v124, v171
	s_waitcnt vmcnt(32)
	v_fmac_f32_e32 v140, v134, v188
	v_fma_f32 v112, v123, v180, -v112
	v_add_f32_e32 v143, v139, v140
	ds_read2_b64 v[139:142], v110 offset0:95 offset1:96
	v_add_f32_e32 v111, v111, v112
	v_mul_f32_e32 v112, v126, v172
	s_waitcnt vmcnt(31) lgkmcnt(1)
	v_mul_f32_e32 v144, v135, v189
	v_fma_f32 v112, v125, v181, -v112
	s_waitcnt vmcnt(30)
	v_fmac_f32_e32 v144, v136, v190
	v_add_f32_e32 v111, v111, v112
	v_mul_f32_e32 v112, v128, v173
	v_add_f32_e32 v143, v143, v144
	s_waitcnt vmcnt(29)
	v_mul_f32_e32 v144, v137, v191
	v_fma_f32 v112, v127, v182, -v112
	s_waitcnt vmcnt(28)
	v_fmac_f32_e32 v144, v138, v192
	v_add_f32_e32 v111, v111, v112
	v_mul_f32_e32 v112, v130, v183
	v_add_f32_e32 v143, v143, v144
	s_waitcnt vmcnt(27) lgkmcnt(0)
	v_mul_f32_e32 v144, v139, v193
	v_fma_f32 v112, v129, v184, -v112
	s_waitcnt vmcnt(26)
	v_fmac_f32_e32 v144, v140, v194
	v_add_f32_e32 v111, v111, v112
	v_mul_f32_e32 v112, v132, v185
	v_add_f32_e32 v147, v143, v144
	ds_read2_b64 v[143:146], v110 offset0:97 offset1:98
	v_fma_f32 v112, v131, v186, -v112
	v_add_f32_e32 v111, v111, v112
	v_mul_f32_e32 v112, v134, v187
	s_waitcnt vmcnt(24)
	v_mul_f32_e32 v148, v141, v196
	v_fma_f32 v112, v133, v188, -v112
	v_fmac_f32_e32 v148, v142, v195
	v_add_f32_e32 v111, v111, v112
	v_mul_f32_e32 v112, v136, v189
	v_add_f32_e32 v151, v147, v148
	ds_read2_b64 v[147:150], v110 offset0:99 offset1:100
	v_fma_f32 v112, v135, v190, -v112
	s_waitcnt vmcnt(21) lgkmcnt(1)
	v_mul_f32_e32 v152, v143, v199
	v_add_f32_e32 v111, v111, v112
	v_mul_f32_e32 v112, v138, v191
	s_waitcnt vmcnt(20)
	v_fmac_f32_e32 v152, v144, v200
	v_fma_f32 v112, v137, v192, -v112
	v_add_f32_e32 v151, v151, v152
	s_waitcnt vmcnt(18)
	v_mul_f32_e32 v152, v145, v202
	v_add_f32_e32 v111, v111, v112
	v_mul_f32_e32 v112, v140, v193
	v_fmac_f32_e32 v152, v146, v201
	v_fma_f32 v112, v139, v194, -v112
	v_add_f32_e32 v151, v151, v152
	s_waitcnt vmcnt(16) lgkmcnt(0)
	v_mul_f32_e32 v152, v147, v204
	v_add_f32_e32 v111, v111, v112
	v_mul_f32_e32 v112, v142, v196
	v_fmac_f32_e32 v152, v148, v203
	v_fma_f32 v112, v141, v195, -v112
	v_add_f32_e32 v155, v151, v152
	ds_read2_b64 v[151:154], v110 offset0:101 offset1:102
	v_add_f32_e32 v111, v111, v112
	v_mul_f32_e32 v112, v144, v199
	v_fma_f32 v112, v143, v200, -v112
	s_waitcnt vmcnt(14)
	v_mul_f32_e32 v156, v149, v206
	v_add_f32_e32 v111, v111, v112
	v_mul_f32_e32 v112, v146, v202
	v_fmac_f32_e32 v156, v150, v205
	v_fma_f32 v112, v145, v201, -v112
	v_add_f32_e32 v159, v155, v156
	ds_read2_b64 v[155:158], v110 offset0:103 offset1:104
	v_add_f32_e32 v111, v111, v112
	v_mul_f32_e32 v112, v148, v204
	s_waitcnt vmcnt(12) lgkmcnt(1)
	v_mul_f32_e32 v160, v151, v208
	v_fma_f32 v112, v147, v203, -v112
	v_fmac_f32_e32 v160, v152, v207
	v_add_f32_e32 v111, v111, v112
	v_mul_f32_e32 v112, v150, v206
	v_add_f32_e32 v159, v159, v160
	s_waitcnt vmcnt(10)
	v_mul_f32_e32 v160, v153, v210
	v_fma_f32 v112, v149, v205, -v112
	v_fmac_f32_e32 v160, v154, v209
	v_add_f32_e32 v111, v111, v112
	v_mul_f32_e32 v112, v152, v208
	v_add_f32_e32 v159, v159, v160
	s_waitcnt vmcnt(8) lgkmcnt(0)
	v_mul_f32_e32 v160, v155, v212
	v_fma_f32 v112, v151, v207, -v112
	v_fmac_f32_e32 v160, v156, v211
	v_add_f32_e32 v111, v111, v112
	v_mul_f32_e32 v112, v154, v210
	v_add_f32_e32 v163, v159, v160
	ds_read2_b64 v[159:162], v110 offset0:105 offset1:106
	v_fma_f32 v112, v153, v209, -v112
	v_add_f32_e32 v111, v111, v112
	v_mul_f32_e32 v112, v156, v212
	s_waitcnt vmcnt(6)
	v_mul_f32_e32 v164, v157, v214
	v_fma_f32 v112, v155, v211, -v112
	v_fmac_f32_e32 v164, v158, v213
	v_add_f32_e32 v111, v111, v112
	v_mul_f32_e32 v112, v158, v214
	v_add_f32_e32 v221, v163, v164
	ds_read_b64 v[163:164], v110 offset:856
	v_fma_f32 v112, v157, v213, -v112
	v_add_f32_e32 v111, v111, v112
	s_waitcnt vmcnt(4) lgkmcnt(1)
	v_mul_f32_e32 v112, v160, v216
	v_mul_f32_e32 v222, v159, v216
	v_fma_f32 v112, v159, v215, -v112
	v_fmac_f32_e32 v222, v160, v215
	v_add_f32_e32 v111, v111, v112
	s_waitcnt vmcnt(2)
	v_mul_f32_e32 v112, v162, v218
	v_add_f32_e32 v221, v221, v222
	v_mul_f32_e32 v222, v161, v218
	v_fma_f32 v112, v161, v217, -v112
	v_fmac_f32_e32 v222, v162, v217
	v_add_f32_e32 v111, v111, v112
	s_waitcnt vmcnt(0) lgkmcnt(0)
	v_mul_f32_e32 v112, v164, v220
	v_add_f32_e32 v221, v221, v222
	v_mul_f32_e32 v222, v163, v220
	v_fma_f32 v112, v163, v219, -v112
	v_fmac_f32_e32 v222, v164, v219
	v_add_f32_e32 v111, v111, v112
	v_add_f32_e32 v221, v221, v222
	v_sub_f32_e32 v111, v197, v111
	v_sub_f32_e32 v112, v198, v221
	buffer_store_dword v111, off, s[0:3], 0 offset:208
	buffer_store_dword v112, off, s[0:3], 0 offset:212
	s_and_saveexec_b64 s[4:5], vcc
	s_cbranch_execz .LBB53_287
; %bb.286:
	buffer_load_dword v111, off, s[0:3], 0 offset:200
	buffer_load_dword v112, off, s[0:3], 0 offset:204
	s_waitcnt vmcnt(0)
	ds_write_b64 v109, v[111:112]
	buffer_store_dword v110, off, s[0:3], 0 offset:200
	buffer_store_dword v110, off, s[0:3], 0 offset:204
.LBB53_287:
	s_or_b64 exec, exec, s[4:5]
	s_waitcnt lgkmcnt(0)
	; wave barrier
	buffer_load_dword v167, off, s[0:3], 0 offset:212
	buffer_load_dword v168, off, s[0:3], 0 offset:220
	;; [unrolled: 1-line block ×34, first 2 shown]
	ds_read_b128 v[111:114], v110 offset:640
	ds_read_b128 v[115:118], v110 offset:656
	buffer_load_dword v201, off, s[0:3], 0 offset:340
	buffer_load_dword v202, off, s[0:3], 0 offset:336
	;; [unrolled: 1-line block ×6, first 2 shown]
	ds_read_b128 v[119:122], v110 offset:672
	ds_read_b128 v[123:126], v110 offset:688
	ds_read_b128 v[127:130], v110 offset:704
	ds_read_b128 v[131:134], v110 offset:720
	buffer_load_dword v207, off, s[0:3], 0 offset:364
	buffer_load_dword v208, off, s[0:3], 0 offset:360
	;; [unrolled: 1-line block ×18, first 2 shown]
	v_cmp_lt_u32_e32 vcc, 24, v0
	s_waitcnt vmcnt(57) lgkmcnt(5)
	v_mul_f32_e32 v135, v111, v167
	s_waitcnt vmcnt(56)
	v_mul_f32_e32 v136, v113, v168
	s_waitcnt vmcnt(55) lgkmcnt(4)
	v_mul_f32_e32 v137, v115, v169
	s_waitcnt vmcnt(54)
	v_mul_f32_e32 v138, v117, v170
	s_waitcnt vmcnt(53) lgkmcnt(3)
	v_mul_f32_e32 v139, v119, v171
	s_waitcnt vmcnt(52)
	v_mul_f32_e32 v140, v121, v172
	s_waitcnt vmcnt(51) lgkmcnt(2)
	v_mul_f32_e32 v141, v123, v173
	s_waitcnt vmcnt(50)
	v_mul_f32_e32 v142, v125, v174
	s_waitcnt vmcnt(49)
	v_fmac_f32_e32 v135, v112, v175
	s_waitcnt vmcnt(48)
	v_fmac_f32_e32 v136, v114, v176
	v_add_f32_e32 v135, 0, v135
	s_waitcnt vmcnt(47)
	v_fmac_f32_e32 v137, v116, v177
	v_add_f32_e32 v135, v135, v136
	;; [unrolled: 3-line block ×4, first 2 shown]
	v_mul_f32_e32 v112, v112, v167
	s_waitcnt vmcnt(44)
	v_fmac_f32_e32 v140, v122, v180
	v_add_f32_e32 v135, v135, v139
	v_fma_f32 v111, v111, v175, -v112
	v_mul_f32_e32 v112, v114, v168
	s_waitcnt vmcnt(43)
	v_fmac_f32_e32 v141, v124, v181
	v_add_f32_e32 v135, v135, v140
	v_add_f32_e32 v111, 0, v111
	v_fma_f32 v112, v113, v176, -v112
	s_waitcnt vmcnt(42)
	v_fmac_f32_e32 v142, v126, v182
	v_add_f32_e32 v135, v135, v141
	s_waitcnt vmcnt(41) lgkmcnt(1)
	v_mul_f32_e32 v136, v127, v183
	v_add_f32_e32 v111, v111, v112
	v_mul_f32_e32 v112, v116, v169
	v_add_f32_e32 v135, v135, v142
	s_waitcnt vmcnt(40)
	v_fmac_f32_e32 v136, v128, v184
	v_fma_f32 v112, v115, v177, -v112
	v_add_f32_e32 v135, v135, v136
	s_waitcnt vmcnt(39)
	v_mul_f32_e32 v136, v129, v185
	v_add_f32_e32 v111, v111, v112
	v_mul_f32_e32 v112, v118, v170
	s_waitcnt vmcnt(38)
	v_fmac_f32_e32 v136, v130, v186
	v_fma_f32 v112, v117, v178, -v112
	v_add_f32_e32 v135, v135, v136
	s_waitcnt vmcnt(37) lgkmcnt(0)
	v_mul_f32_e32 v136, v131, v187
	v_add_f32_e32 v111, v111, v112
	v_mul_f32_e32 v112, v120, v171
	s_waitcnt vmcnt(36)
	v_fmac_f32_e32 v136, v132, v188
	v_fma_f32 v112, v119, v179, -v112
	v_add_f32_e32 v139, v135, v136
	ds_read_b128 v[135:138], v110 offset:736
	v_add_f32_e32 v111, v111, v112
	v_mul_f32_e32 v112, v122, v172
	v_fma_f32 v112, v121, v180, -v112
	s_waitcnt vmcnt(35)
	v_mul_f32_e32 v140, v133, v189
	v_add_f32_e32 v111, v111, v112
	v_mul_f32_e32 v112, v124, v173
	s_waitcnt vmcnt(34)
	v_fmac_f32_e32 v140, v134, v190
	v_fma_f32 v112, v123, v181, -v112
	v_add_f32_e32 v143, v139, v140
	ds_read_b128 v[139:142], v110 offset:752
	v_add_f32_e32 v111, v111, v112
	v_mul_f32_e32 v112, v126, v174
	s_waitcnt vmcnt(33) lgkmcnt(1)
	v_mul_f32_e32 v144, v135, v191
	v_fma_f32 v112, v125, v182, -v112
	s_waitcnt vmcnt(32)
	v_fmac_f32_e32 v144, v136, v192
	v_add_f32_e32 v111, v111, v112
	v_mul_f32_e32 v112, v128, v183
	v_add_f32_e32 v143, v143, v144
	s_waitcnt vmcnt(31)
	v_mul_f32_e32 v144, v137, v193
	v_fma_f32 v112, v127, v184, -v112
	s_waitcnt vmcnt(30)
	v_fmac_f32_e32 v144, v138, v194
	v_add_f32_e32 v111, v111, v112
	v_mul_f32_e32 v112, v130, v185
	v_add_f32_e32 v143, v143, v144
	s_waitcnt vmcnt(29) lgkmcnt(0)
	v_mul_f32_e32 v144, v139, v195
	v_fma_f32 v112, v129, v186, -v112
	s_waitcnt vmcnt(28)
	v_fmac_f32_e32 v144, v140, v196
	v_add_f32_e32 v111, v111, v112
	v_mul_f32_e32 v112, v132, v187
	v_add_f32_e32 v147, v143, v144
	ds_read_b128 v[143:146], v110 offset:768
	v_fma_f32 v112, v131, v188, -v112
	v_add_f32_e32 v111, v111, v112
	v_mul_f32_e32 v112, v134, v189
	s_waitcnt vmcnt(25)
	v_mul_f32_e32 v148, v141, v199
	v_fma_f32 v112, v133, v190, -v112
	s_waitcnt vmcnt(24)
	v_fmac_f32_e32 v148, v142, v200
	v_add_f32_e32 v111, v111, v112
	v_mul_f32_e32 v112, v136, v191
	v_add_f32_e32 v151, v147, v148
	ds_read_b128 v[147:150], v110 offset:784
	v_fma_f32 v112, v135, v192, -v112
	s_waitcnt vmcnt(23) lgkmcnt(1)
	v_mul_f32_e32 v152, v143, v201
	v_add_f32_e32 v111, v111, v112
	v_mul_f32_e32 v112, v138, v193
	s_waitcnt vmcnt(22)
	v_fmac_f32_e32 v152, v144, v202
	v_fma_f32 v112, v137, v194, -v112
	v_add_f32_e32 v151, v151, v152
	s_waitcnt vmcnt(20)
	v_mul_f32_e32 v152, v145, v204
	v_add_f32_e32 v111, v111, v112
	v_mul_f32_e32 v112, v140, v195
	v_fmac_f32_e32 v152, v146, v203
	v_fma_f32 v112, v139, v196, -v112
	v_add_f32_e32 v151, v151, v152
	s_waitcnt vmcnt(18) lgkmcnt(0)
	v_mul_f32_e32 v152, v147, v206
	v_add_f32_e32 v111, v111, v112
	v_mul_f32_e32 v112, v142, v199
	v_fmac_f32_e32 v152, v148, v205
	v_fma_f32 v112, v141, v200, -v112
	v_add_f32_e32 v155, v151, v152
	ds_read_b128 v[151:154], v110 offset:800
	v_add_f32_e32 v111, v111, v112
	v_mul_f32_e32 v112, v144, v201
	v_fma_f32 v112, v143, v202, -v112
	s_waitcnt vmcnt(17)
	v_mul_f32_e32 v156, v149, v207
	v_add_f32_e32 v111, v111, v112
	v_mul_f32_e32 v112, v146, v204
	s_waitcnt vmcnt(16)
	v_fmac_f32_e32 v156, v150, v208
	v_fma_f32 v112, v145, v203, -v112
	v_add_f32_e32 v159, v155, v156
	ds_read_b128 v[155:158], v110 offset:816
	v_add_f32_e32 v111, v111, v112
	v_mul_f32_e32 v112, v148, v206
	s_waitcnt vmcnt(14) lgkmcnt(1)
	v_mul_f32_e32 v160, v151, v210
	v_fma_f32 v112, v147, v205, -v112
	v_fmac_f32_e32 v160, v152, v209
	v_add_f32_e32 v111, v111, v112
	v_mul_f32_e32 v112, v150, v207
	v_add_f32_e32 v159, v159, v160
	s_waitcnt vmcnt(12)
	v_mul_f32_e32 v160, v153, v212
	v_fma_f32 v112, v149, v208, -v112
	v_fmac_f32_e32 v160, v154, v211
	v_add_f32_e32 v111, v111, v112
	v_mul_f32_e32 v112, v152, v210
	v_add_f32_e32 v159, v159, v160
	s_waitcnt vmcnt(10) lgkmcnt(0)
	v_mul_f32_e32 v160, v155, v214
	v_fma_f32 v112, v151, v209, -v112
	v_fmac_f32_e32 v160, v156, v213
	v_add_f32_e32 v111, v111, v112
	v_mul_f32_e32 v112, v154, v212
	v_add_f32_e32 v163, v159, v160
	ds_read_b128 v[159:162], v110 offset:832
	v_fma_f32 v112, v153, v211, -v112
	v_add_f32_e32 v111, v111, v112
	v_mul_f32_e32 v112, v156, v214
	s_waitcnt vmcnt(8)
	v_mul_f32_e32 v164, v157, v216
	v_fma_f32 v112, v155, v213, -v112
	v_fmac_f32_e32 v164, v158, v215
	v_add_f32_e32 v111, v111, v112
	v_mul_f32_e32 v112, v158, v216
	v_add_f32_e32 v225, v163, v164
	ds_read_b128 v[163:166], v110 offset:848
	v_fma_f32 v112, v157, v215, -v112
	v_add_f32_e32 v111, v111, v112
	s_waitcnt vmcnt(6) lgkmcnt(1)
	v_mul_f32_e32 v112, v160, v218
	v_mul_f32_e32 v110, v159, v218
	v_fma_f32 v112, v159, v217, -v112
	v_fmac_f32_e32 v110, v160, v217
	v_add_f32_e32 v111, v111, v112
	s_waitcnt vmcnt(4)
	v_mul_f32_e32 v112, v162, v220
	v_add_f32_e32 v110, v225, v110
	v_mul_f32_e32 v225, v161, v220
	v_fma_f32 v112, v161, v219, -v112
	v_fmac_f32_e32 v225, v162, v219
	v_add_f32_e32 v111, v111, v112
	s_waitcnt vmcnt(2) lgkmcnt(0)
	v_mul_f32_e32 v112, v164, v222
	v_add_f32_e32 v110, v110, v225
	v_mul_f32_e32 v225, v163, v222
	v_fma_f32 v112, v163, v221, -v112
	v_fmac_f32_e32 v225, v164, v221
	v_add_f32_e32 v111, v111, v112
	s_waitcnt vmcnt(0)
	v_mul_f32_e32 v112, v166, v224
	v_add_f32_e32 v110, v110, v225
	v_mul_f32_e32 v225, v165, v224
	v_fma_f32 v112, v165, v223, -v112
	v_fmac_f32_e32 v225, v166, v223
	v_add_f32_e32 v111, v111, v112
	v_add_f32_e32 v110, v110, v225
	v_sub_f32_e32 v111, v197, v111
	v_sub_f32_e32 v110, v198, v110
	buffer_store_dword v111, off, s[0:3], 0 offset:200
	buffer_store_dword v110, off, s[0:3], 0 offset:204
	s_and_saveexec_b64 s[4:5], vcc
	s_cbranch_execz .LBB53_289
; %bb.288:
	buffer_load_dword v110, off, s[0:3], 0 offset:192
	buffer_load_dword v111, off, s[0:3], 0 offset:196
	v_mov_b32_e32 v112, 0
	buffer_store_dword v112, off, s[0:3], 0 offset:192
	buffer_store_dword v112, off, s[0:3], 0 offset:196
	s_waitcnt vmcnt(2)
	ds_write_b64 v109, v[110:111]
.LBB53_289:
	s_or_b64 exec, exec, s[4:5]
	s_waitcnt lgkmcnt(0)
	; wave barrier
	buffer_load_dword v169, off, s[0:3], 0 offset:204
	buffer_load_dword v170, off, s[0:3], 0 offset:212
	;; [unrolled: 1-line block ×60, first 2 shown]
	v_mov_b32_e32 v110, 0
	ds_read2_b64 v[111:114], v110 offset0:79 offset1:80
	ds_read2_b64 v[115:118], v110 offset0:81 offset1:82
	;; [unrolled: 1-line block ×5, first 2 shown]
	v_cmp_lt_u32_e32 vcc, 23, v0
	s_waitcnt vmcnt(59) lgkmcnt(4)
	v_mul_f32_e32 v131, v111, v169
	s_waitcnt vmcnt(58)
	v_mul_f32_e32 v132, v113, v170
	s_waitcnt vmcnt(57) lgkmcnt(3)
	v_mul_f32_e32 v133, v115, v171
	s_waitcnt vmcnt(56)
	v_mul_f32_e32 v134, v117, v172
	;; [unrolled: 4-line block ×3, first 2 shown]
	s_waitcnt vmcnt(53) lgkmcnt(1)
	v_mul_f32_e32 v137, v123, v175
	s_waitcnt vmcnt(52)
	v_fmac_f32_e32 v131, v112, v176
	s_waitcnt vmcnt(51)
	v_fmac_f32_e32 v132, v114, v177
	v_add_f32_e32 v131, 0, v131
	s_waitcnt vmcnt(50)
	v_fmac_f32_e32 v133, v116, v178
	v_add_f32_e32 v131, v131, v132
	;; [unrolled: 3-line block ×6, first 2 shown]
	s_waitcnt vmcnt(45)
	v_mul_f32_e32 v132, v125, v183
	v_add_f32_e32 v131, v131, v137
	s_waitcnt vmcnt(44)
	v_fmac_f32_e32 v132, v126, v184
	v_mul_f32_e32 v112, v112, v169
	v_add_f32_e32 v135, v131, v132
	ds_read2_b64 v[131:134], v110 offset0:89 offset1:90
	v_fma_f32 v111, v111, v176, -v112
	v_mul_f32_e32 v112, v114, v170
	s_waitcnt vmcnt(43) lgkmcnt(1)
	v_mul_f32_e32 v136, v127, v185
	v_add_f32_e32 v111, 0, v111
	v_fma_f32 v112, v113, v177, -v112
	s_waitcnt vmcnt(42)
	v_fmac_f32_e32 v136, v128, v186
	v_add_f32_e32 v111, v111, v112
	v_mul_f32_e32 v112, v116, v171
	v_add_f32_e32 v135, v135, v136
	s_waitcnt vmcnt(41)
	v_mul_f32_e32 v136, v129, v187
	v_fma_f32 v112, v115, v178, -v112
	s_waitcnt vmcnt(40)
	v_fmac_f32_e32 v136, v130, v188
	v_add_f32_e32 v111, v111, v112
	v_mul_f32_e32 v112, v118, v172
	v_add_f32_e32 v135, v135, v136
	s_waitcnt vmcnt(39) lgkmcnt(0)
	v_mul_f32_e32 v136, v131, v189
	v_fma_f32 v112, v117, v179, -v112
	s_waitcnt vmcnt(38)
	v_fmac_f32_e32 v136, v132, v190
	v_add_f32_e32 v111, v111, v112
	v_mul_f32_e32 v112, v120, v173
	v_add_f32_e32 v139, v135, v136
	ds_read2_b64 v[135:138], v110 offset0:91 offset1:92
	v_fma_f32 v112, v119, v180, -v112
	v_add_f32_e32 v111, v111, v112
	v_mul_f32_e32 v112, v122, v174
	s_waitcnt vmcnt(37)
	v_mul_f32_e32 v140, v133, v191
	v_fma_f32 v112, v121, v181, -v112
	s_waitcnt vmcnt(36)
	v_fmac_f32_e32 v140, v134, v192
	v_add_f32_e32 v111, v111, v112
	v_mul_f32_e32 v112, v124, v175
	v_add_f32_e32 v143, v139, v140
	ds_read2_b64 v[139:142], v110 offset0:93 offset1:94
	v_fma_f32 v112, v123, v182, -v112
	s_waitcnt vmcnt(34) lgkmcnt(1)
	v_mul_f32_e32 v144, v135, v194
	v_add_f32_e32 v111, v111, v112
	v_mul_f32_e32 v112, v126, v183
	v_fmac_f32_e32 v144, v136, v193
	v_fma_f32 v112, v125, v184, -v112
	v_add_f32_e32 v143, v143, v144
	s_waitcnt vmcnt(31)
	v_mul_f32_e32 v144, v137, v197
	v_add_f32_e32 v111, v111, v112
	v_mul_f32_e32 v112, v128, v185
	s_waitcnt vmcnt(30)
	v_fmac_f32_e32 v144, v138, v198
	v_fma_f32 v112, v127, v186, -v112
	v_add_f32_e32 v143, v143, v144
	s_waitcnt vmcnt(28) lgkmcnt(0)
	v_mul_f32_e32 v144, v139, v200
	v_add_f32_e32 v111, v111, v112
	v_mul_f32_e32 v112, v130, v187
	v_fmac_f32_e32 v144, v140, v199
	v_fma_f32 v112, v129, v188, -v112
	v_add_f32_e32 v147, v143, v144
	ds_read2_b64 v[143:146], v110 offset0:95 offset1:96
	v_add_f32_e32 v111, v111, v112
	v_mul_f32_e32 v112, v132, v189
	v_fma_f32 v112, v131, v190, -v112
	s_waitcnt vmcnt(26)
	v_mul_f32_e32 v148, v141, v202
	v_add_f32_e32 v111, v111, v112
	v_mul_f32_e32 v112, v134, v191
	v_fmac_f32_e32 v148, v142, v201
	v_fma_f32 v112, v133, v192, -v112
	v_add_f32_e32 v151, v147, v148
	ds_read2_b64 v[147:150], v110 offset0:97 offset1:98
	v_add_f32_e32 v111, v111, v112
	v_mul_f32_e32 v112, v136, v194
	s_waitcnt vmcnt(24) lgkmcnt(1)
	v_mul_f32_e32 v152, v143, v204
	v_fma_f32 v112, v135, v193, -v112
	v_fmac_f32_e32 v152, v144, v203
	v_add_f32_e32 v111, v111, v112
	v_mul_f32_e32 v112, v138, v197
	v_add_f32_e32 v151, v151, v152
	s_waitcnt vmcnt(22)
	v_mul_f32_e32 v152, v145, v206
	v_fma_f32 v112, v137, v198, -v112
	v_fmac_f32_e32 v152, v146, v205
	v_add_f32_e32 v111, v111, v112
	v_mul_f32_e32 v112, v140, v200
	v_add_f32_e32 v151, v151, v152
	s_waitcnt vmcnt(20) lgkmcnt(0)
	v_mul_f32_e32 v152, v147, v208
	v_fma_f32 v112, v139, v199, -v112
	v_fmac_f32_e32 v152, v148, v207
	v_add_f32_e32 v111, v111, v112
	v_mul_f32_e32 v112, v142, v202
	v_add_f32_e32 v155, v151, v152
	ds_read2_b64 v[151:154], v110 offset0:99 offset1:100
	v_fma_f32 v112, v141, v201, -v112
	v_add_f32_e32 v111, v111, v112
	v_mul_f32_e32 v112, v144, v204
	s_waitcnt vmcnt(18)
	v_mul_f32_e32 v156, v149, v210
	v_fma_f32 v112, v143, v203, -v112
	v_fmac_f32_e32 v156, v150, v209
	v_add_f32_e32 v111, v111, v112
	v_mul_f32_e32 v112, v146, v206
	v_add_f32_e32 v159, v155, v156
	ds_read2_b64 v[155:158], v110 offset0:101 offset1:102
	v_fma_f32 v112, v145, v205, -v112
	s_waitcnt vmcnt(16) lgkmcnt(1)
	v_mul_f32_e32 v160, v151, v212
	v_add_f32_e32 v111, v111, v112
	v_mul_f32_e32 v112, v148, v208
	v_fmac_f32_e32 v160, v152, v211
	v_fma_f32 v112, v147, v207, -v112
	v_add_f32_e32 v159, v159, v160
	s_waitcnt vmcnt(14)
	v_mul_f32_e32 v160, v153, v214
	v_add_f32_e32 v111, v111, v112
	v_mul_f32_e32 v112, v150, v210
	v_fmac_f32_e32 v160, v154, v213
	v_fma_f32 v112, v149, v209, -v112
	v_add_f32_e32 v159, v159, v160
	s_waitcnt vmcnt(12) lgkmcnt(0)
	v_mul_f32_e32 v160, v155, v216
	v_add_f32_e32 v111, v111, v112
	v_mul_f32_e32 v112, v152, v212
	v_fmac_f32_e32 v160, v156, v215
	v_fma_f32 v112, v151, v211, -v112
	v_add_f32_e32 v163, v159, v160
	ds_read2_b64 v[159:162], v110 offset0:103 offset1:104
	v_add_f32_e32 v111, v111, v112
	v_mul_f32_e32 v112, v154, v214
	v_fma_f32 v112, v153, v213, -v112
	v_add_f32_e32 v111, v111, v112
	v_mul_f32_e32 v112, v156, v216
	s_waitcnt vmcnt(10)
	v_mul_f32_e32 v164, v157, v218
	v_fma_f32 v112, v155, v215, -v112
	v_fmac_f32_e32 v164, v158, v217
	v_add_f32_e32 v111, v111, v112
	v_mul_f32_e32 v112, v158, v218
	v_add_f32_e32 v167, v163, v164
	ds_read2_b64 v[163:166], v110 offset0:105 offset1:106
	s_waitcnt vmcnt(8) lgkmcnt(1)
	v_mul_f32_e32 v168, v159, v220
	v_fma_f32 v112, v157, v217, -v112
	v_fmac_f32_e32 v168, v160, v219
	v_add_f32_e32 v111, v111, v112
	v_mul_f32_e32 v112, v160, v220
	v_add_f32_e32 v167, v167, v168
	s_waitcnt vmcnt(6)
	v_mul_f32_e32 v168, v161, v222
	v_fma_f32 v112, v159, v219, -v112
	v_fmac_f32_e32 v168, v162, v221
	v_add_f32_e32 v111, v111, v112
	v_mul_f32_e32 v112, v162, v222
	v_add_f32_e32 v229, v167, v168
	ds_read_b64 v[167:168], v110 offset:856
	v_fma_f32 v112, v161, v221, -v112
	v_add_f32_e32 v111, v111, v112
	s_waitcnt vmcnt(4) lgkmcnt(1)
	v_mul_f32_e32 v112, v164, v224
	v_mul_f32_e32 v230, v163, v224
	v_fma_f32 v112, v163, v223, -v112
	v_fmac_f32_e32 v230, v164, v223
	v_add_f32_e32 v111, v111, v112
	s_waitcnt vmcnt(2)
	v_mul_f32_e32 v112, v166, v226
	v_add_f32_e32 v229, v229, v230
	v_mul_f32_e32 v230, v165, v226
	v_fma_f32 v112, v165, v225, -v112
	v_fmac_f32_e32 v230, v166, v225
	v_add_f32_e32 v111, v111, v112
	s_waitcnt vmcnt(0) lgkmcnt(0)
	v_mul_f32_e32 v112, v168, v228
	v_add_f32_e32 v229, v229, v230
	v_mul_f32_e32 v230, v167, v228
	v_fma_f32 v112, v167, v227, -v112
	v_fmac_f32_e32 v230, v168, v227
	v_add_f32_e32 v111, v111, v112
	v_add_f32_e32 v229, v229, v230
	v_sub_f32_e32 v111, v195, v111
	v_sub_f32_e32 v112, v196, v229
	buffer_store_dword v111, off, s[0:3], 0 offset:192
	buffer_store_dword v112, off, s[0:3], 0 offset:196
	s_and_saveexec_b64 s[4:5], vcc
	s_cbranch_execz .LBB53_291
; %bb.290:
	buffer_load_dword v111, off, s[0:3], 0 offset:184
	buffer_load_dword v112, off, s[0:3], 0 offset:188
	s_waitcnt vmcnt(0)
	ds_write_b64 v109, v[111:112]
	buffer_store_dword v110, off, s[0:3], 0 offset:184
	buffer_store_dword v110, off, s[0:3], 0 offset:188
.LBB53_291:
	s_or_b64 exec, exec, s[4:5]
	s_waitcnt lgkmcnt(0)
	; wave barrier
	buffer_load_dword v171, off, s[0:3], 0 offset:196
	buffer_load_dword v172, off, s[0:3], 0 offset:204
	;; [unrolled: 1-line block ×32, first 2 shown]
	ds_read_b128 v[111:114], v110 offset:624
	ds_read_b128 v[115:118], v110 offset:640
	;; [unrolled: 1-line block ×4, first 2 shown]
	buffer_load_dword v203, off, s[0:3], 0 offset:316
	buffer_load_dword v204, off, s[0:3], 0 offset:312
	;; [unrolled: 1-line block ×30, first 2 shown]
	v_cmp_lt_u32_e32 vcc, 22, v0
	s_waitcnt vmcnt(61) lgkmcnt(3)
	v_mul_f32_e32 v127, v111, v171
	s_waitcnt vmcnt(60)
	v_mul_f32_e32 v128, v113, v172
	s_waitcnt vmcnt(59) lgkmcnt(2)
	v_mul_f32_e32 v129, v115, v173
	s_waitcnt vmcnt(58)
	v_mul_f32_e32 v130, v117, v174
	s_waitcnt vmcnt(57) lgkmcnt(1)
	v_mul_f32_e32 v131, v119, v175
	s_waitcnt vmcnt(56)
	v_mul_f32_e32 v132, v121, v176
	s_waitcnt vmcnt(55) lgkmcnt(0)
	v_mul_f32_e32 v133, v123, v177
	s_waitcnt vmcnt(54)
	v_fmac_f32_e32 v127, v112, v178
	s_waitcnt vmcnt(53)
	v_fmac_f32_e32 v128, v114, v179
	v_add_f32_e32 v127, 0, v127
	s_waitcnt vmcnt(52)
	v_fmac_f32_e32 v129, v116, v180
	v_add_f32_e32 v127, v127, v128
	;; [unrolled: 3-line block ×6, first 2 shown]
	v_add_f32_e32 v131, v127, v133
	ds_read_b128 v[127:130], v110 offset:688
	s_waitcnt vmcnt(47)
	v_mul_f32_e32 v132, v125, v185
	s_waitcnt vmcnt(46)
	v_fmac_f32_e32 v132, v126, v186
	v_mul_f32_e32 v112, v112, v171
	v_add_f32_e32 v135, v131, v132
	ds_read_b128 v[131:134], v110 offset:704
	v_fma_f32 v111, v111, v178, -v112
	v_mul_f32_e32 v112, v114, v172
	s_waitcnt vmcnt(45) lgkmcnt(1)
	v_mul_f32_e32 v136, v127, v187
	v_add_f32_e32 v111, 0, v111
	v_fma_f32 v112, v113, v179, -v112
	s_waitcnt vmcnt(44)
	v_fmac_f32_e32 v136, v128, v188
	v_add_f32_e32 v111, v111, v112
	v_mul_f32_e32 v112, v116, v173
	v_add_f32_e32 v135, v135, v136
	s_waitcnt vmcnt(43)
	v_mul_f32_e32 v136, v129, v189
	v_fma_f32 v112, v115, v180, -v112
	s_waitcnt vmcnt(42)
	v_fmac_f32_e32 v136, v130, v190
	v_add_f32_e32 v111, v111, v112
	v_mul_f32_e32 v112, v118, v174
	v_add_f32_e32 v135, v135, v136
	s_waitcnt vmcnt(41) lgkmcnt(0)
	v_mul_f32_e32 v136, v131, v191
	v_fma_f32 v112, v117, v181, -v112
	s_waitcnt vmcnt(40)
	v_fmac_f32_e32 v136, v132, v192
	v_add_f32_e32 v111, v111, v112
	v_mul_f32_e32 v112, v120, v175
	v_add_f32_e32 v139, v135, v136
	ds_read_b128 v[135:138], v110 offset:720
	v_fma_f32 v112, v119, v182, -v112
	v_add_f32_e32 v111, v111, v112
	v_mul_f32_e32 v112, v122, v176
	s_waitcnt vmcnt(39)
	v_mul_f32_e32 v140, v133, v193
	v_fma_f32 v112, v121, v183, -v112
	s_waitcnt vmcnt(38)
	v_fmac_f32_e32 v140, v134, v194
	v_add_f32_e32 v111, v111, v112
	v_mul_f32_e32 v112, v124, v177
	v_add_f32_e32 v143, v139, v140
	ds_read_b128 v[139:142], v110 offset:736
	v_fma_f32 v112, v123, v184, -v112
	s_waitcnt vmcnt(35) lgkmcnt(1)
	v_mul_f32_e32 v144, v135, v197
	v_add_f32_e32 v111, v111, v112
	v_mul_f32_e32 v112, v126, v185
	s_waitcnt vmcnt(34)
	v_fmac_f32_e32 v144, v136, v198
	v_fma_f32 v112, v125, v186, -v112
	v_add_f32_e32 v143, v143, v144
	s_waitcnt vmcnt(32)
	v_mul_f32_e32 v144, v137, v200
	v_add_f32_e32 v111, v111, v112
	v_mul_f32_e32 v112, v128, v187
	v_fmac_f32_e32 v144, v138, v199
	v_fma_f32 v112, v127, v188, -v112
	v_add_f32_e32 v143, v143, v144
	s_waitcnt vmcnt(30) lgkmcnt(0)
	v_mul_f32_e32 v144, v139, v202
	v_add_f32_e32 v111, v111, v112
	v_mul_f32_e32 v112, v130, v189
	v_fmac_f32_e32 v144, v140, v201
	v_fma_f32 v112, v129, v190, -v112
	v_add_f32_e32 v147, v143, v144
	ds_read_b128 v[143:146], v110 offset:752
	v_add_f32_e32 v111, v111, v112
	v_mul_f32_e32 v112, v132, v191
	v_fma_f32 v112, v131, v192, -v112
	s_waitcnt vmcnt(29)
	v_mul_f32_e32 v148, v141, v203
	v_add_f32_e32 v111, v111, v112
	v_mul_f32_e32 v112, v134, v193
	s_waitcnt vmcnt(28)
	v_fmac_f32_e32 v148, v142, v204
	v_fma_f32 v112, v133, v194, -v112
	v_add_f32_e32 v151, v147, v148
	ds_read_b128 v[147:150], v110 offset:768
	v_add_f32_e32 v111, v111, v112
	v_mul_f32_e32 v112, v136, v197
	s_waitcnt vmcnt(26) lgkmcnt(1)
	v_mul_f32_e32 v152, v143, v206
	v_fma_f32 v112, v135, v198, -v112
	v_fmac_f32_e32 v152, v144, v205
	v_add_f32_e32 v111, v111, v112
	v_mul_f32_e32 v112, v138, v200
	v_add_f32_e32 v151, v151, v152
	s_waitcnt vmcnt(24)
	v_mul_f32_e32 v152, v145, v208
	v_fma_f32 v112, v137, v199, -v112
	v_fmac_f32_e32 v152, v146, v207
	v_add_f32_e32 v111, v111, v112
	v_mul_f32_e32 v112, v140, v202
	v_add_f32_e32 v151, v151, v152
	s_waitcnt vmcnt(22) lgkmcnt(0)
	v_mul_f32_e32 v152, v147, v210
	v_fma_f32 v112, v139, v201, -v112
	v_fmac_f32_e32 v152, v148, v209
	v_add_f32_e32 v111, v111, v112
	v_mul_f32_e32 v112, v142, v203
	v_add_f32_e32 v155, v151, v152
	ds_read_b128 v[151:154], v110 offset:784
	v_fma_f32 v112, v141, v204, -v112
	v_add_f32_e32 v111, v111, v112
	v_mul_f32_e32 v112, v144, v206
	s_waitcnt vmcnt(20)
	v_mul_f32_e32 v156, v149, v212
	v_fma_f32 v112, v143, v205, -v112
	v_fmac_f32_e32 v156, v150, v211
	v_add_f32_e32 v111, v111, v112
	v_mul_f32_e32 v112, v146, v208
	v_add_f32_e32 v159, v155, v156
	ds_read_b128 v[155:158], v110 offset:800
	v_fma_f32 v112, v145, v207, -v112
	s_waitcnt vmcnt(18) lgkmcnt(1)
	v_mul_f32_e32 v160, v151, v214
	v_add_f32_e32 v111, v111, v112
	v_mul_f32_e32 v112, v148, v210
	v_fmac_f32_e32 v160, v152, v213
	v_fma_f32 v112, v147, v209, -v112
	v_add_f32_e32 v159, v159, v160
	s_waitcnt vmcnt(16)
	v_mul_f32_e32 v160, v153, v216
	v_add_f32_e32 v111, v111, v112
	v_mul_f32_e32 v112, v150, v212
	v_fmac_f32_e32 v160, v154, v215
	v_fma_f32 v112, v149, v211, -v112
	v_add_f32_e32 v159, v159, v160
	s_waitcnt vmcnt(14) lgkmcnt(0)
	v_mul_f32_e32 v160, v155, v218
	v_add_f32_e32 v111, v111, v112
	v_mul_f32_e32 v112, v152, v214
	v_fmac_f32_e32 v160, v156, v217
	v_fma_f32 v112, v151, v213, -v112
	v_add_f32_e32 v163, v159, v160
	ds_read_b128 v[159:162], v110 offset:816
	v_add_f32_e32 v111, v111, v112
	v_mul_f32_e32 v112, v154, v216
	v_fma_f32 v112, v153, v215, -v112
	v_add_f32_e32 v111, v111, v112
	v_mul_f32_e32 v112, v156, v218
	s_waitcnt vmcnt(12)
	v_mul_f32_e32 v164, v157, v220
	v_fma_f32 v112, v155, v217, -v112
	v_fmac_f32_e32 v164, v158, v219
	v_add_f32_e32 v111, v111, v112
	v_mul_f32_e32 v112, v158, v220
	v_add_f32_e32 v167, v163, v164
	ds_read_b128 v[163:166], v110 offset:832
	s_waitcnt vmcnt(10) lgkmcnt(1)
	v_mul_f32_e32 v168, v159, v222
	v_fma_f32 v112, v157, v219, -v112
	v_fmac_f32_e32 v168, v160, v221
	v_add_f32_e32 v111, v111, v112
	v_mul_f32_e32 v112, v160, v222
	v_add_f32_e32 v167, v167, v168
	s_waitcnt vmcnt(8)
	v_mul_f32_e32 v168, v161, v224
	v_fma_f32 v112, v159, v221, -v112
	v_fmac_f32_e32 v168, v162, v223
	v_add_f32_e32 v111, v111, v112
	v_mul_f32_e32 v112, v162, v224
	v_add_f32_e32 v233, v167, v168
	ds_read_b128 v[167:170], v110 offset:848
	v_fma_f32 v112, v161, v223, -v112
	v_add_f32_e32 v111, v111, v112
	s_waitcnt vmcnt(6) lgkmcnt(1)
	v_mul_f32_e32 v112, v164, v226
	v_mul_f32_e32 v234, v163, v226
	v_fma_f32 v112, v163, v225, -v112
	v_fmac_f32_e32 v234, v164, v225
	v_add_f32_e32 v111, v111, v112
	s_waitcnt vmcnt(4)
	v_mul_f32_e32 v112, v166, v228
	v_add_f32_e32 v110, v233, v234
	v_mul_f32_e32 v233, v165, v228
	v_fma_f32 v112, v165, v227, -v112
	v_fmac_f32_e32 v233, v166, v227
	v_add_f32_e32 v111, v111, v112
	s_waitcnt vmcnt(2) lgkmcnt(0)
	v_mul_f32_e32 v112, v168, v230
	v_add_f32_e32 v110, v110, v233
	v_mul_f32_e32 v233, v167, v230
	v_fma_f32 v112, v167, v229, -v112
	v_fmac_f32_e32 v233, v168, v229
	v_add_f32_e32 v111, v111, v112
	s_waitcnt vmcnt(0)
	v_mul_f32_e32 v112, v170, v232
	v_add_f32_e32 v110, v110, v233
	v_mul_f32_e32 v233, v169, v232
	v_fma_f32 v112, v169, v231, -v112
	v_fmac_f32_e32 v233, v170, v231
	v_add_f32_e32 v111, v111, v112
	v_add_f32_e32 v110, v110, v233
	v_sub_f32_e32 v111, v195, v111
	v_sub_f32_e32 v110, v196, v110
	buffer_store_dword v111, off, s[0:3], 0 offset:184
	buffer_store_dword v110, off, s[0:3], 0 offset:188
	s_and_saveexec_b64 s[4:5], vcc
	s_cbranch_execz .LBB53_293
; %bb.292:
	buffer_load_dword v110, off, s[0:3], 0 offset:176
	buffer_load_dword v111, off, s[0:3], 0 offset:180
	v_mov_b32_e32 v112, 0
	buffer_store_dword v112, off, s[0:3], 0 offset:176
	buffer_store_dword v112, off, s[0:3], 0 offset:180
	s_waitcnt vmcnt(2)
	ds_write_b64 v109, v[110:111]
.LBB53_293:
	s_or_b64 exec, exec, s[4:5]
	s_waitcnt lgkmcnt(0)
	; wave barrier
	buffer_load_dword v173, off, s[0:3], 0 offset:188
	buffer_load_dword v174, off, s[0:3], 0 offset:196
	;; [unrolled: 1-line block ×56, first 2 shown]
	v_mov_b32_e32 v110, 0
	ds_read2_b64 v[111:114], v110 offset0:77 offset1:78
	buffer_load_dword v229, off, s[0:3], 0 offset:400
	buffer_load_dword v230, off, s[0:3], 0 offset:404
	;; [unrolled: 1-line block ×4, first 2 shown]
	ds_read2_b64 v[115:118], v110 offset0:79 offset1:80
	ds_read2_b64 v[119:122], v110 offset0:81 offset1:82
	;; [unrolled: 1-line block ×3, first 2 shown]
	v_cmp_lt_u32_e32 vcc, 21, v0
	s_waitcnt vmcnt(59) lgkmcnt(3)
	v_mul_f32_e32 v127, v111, v173
	s_waitcnt vmcnt(58)
	v_mul_f32_e32 v128, v113, v174
	s_waitcnt vmcnt(57) lgkmcnt(2)
	v_mul_f32_e32 v129, v115, v175
	s_waitcnt vmcnt(56)
	v_mul_f32_e32 v130, v117, v176
	;; [unrolled: 4-line block ×4, first 2 shown]
	s_waitcnt vmcnt(51)
	v_fmac_f32_e32 v127, v112, v181
	s_waitcnt vmcnt(50)
	v_fmac_f32_e32 v128, v114, v182
	v_add_f32_e32 v127, 0, v127
	s_waitcnt vmcnt(49)
	v_fmac_f32_e32 v129, v116, v183
	v_add_f32_e32 v127, v127, v128
	;; [unrolled: 3-line block ×6, first 2 shown]
	v_add_f32_e32 v131, v127, v133
	ds_read2_b64 v[127:130], v110 offset0:85 offset1:86
	buffer_load_dword v233, off, s[0:3], 0 offset:420
	buffer_load_dword v234, off, s[0:3], 0 offset:416
	;; [unrolled: 1-line block ×4, first 2 shown]
	s_waitcnt vmcnt(48)
	v_fmac_f32_e32 v134, v126, v188
	v_add_f32_e32 v135, v131, v134
	ds_read2_b64 v[131:134], v110 offset0:87 offset1:88
	s_waitcnt vmcnt(47) lgkmcnt(1)
	v_mul_f32_e32 v136, v127, v189
	v_mul_f32_e32 v112, v112, v173
	s_waitcnt vmcnt(46)
	v_fmac_f32_e32 v136, v128, v190
	v_fma_f32 v111, v111, v181, -v112
	v_mul_f32_e32 v112, v114, v174
	v_add_f32_e32 v135, v135, v136
	s_waitcnt vmcnt(45)
	v_mul_f32_e32 v136, v129, v191
	v_add_f32_e32 v111, 0, v111
	v_fma_f32 v112, v113, v182, -v112
	s_waitcnt vmcnt(44)
	v_fmac_f32_e32 v136, v130, v192
	v_add_f32_e32 v111, v111, v112
	v_mul_f32_e32 v112, v116, v175
	v_add_f32_e32 v135, v135, v136
	s_waitcnt vmcnt(42) lgkmcnt(0)
	v_mul_f32_e32 v136, v131, v194
	v_fma_f32 v112, v115, v183, -v112
	v_fmac_f32_e32 v136, v132, v193
	v_add_f32_e32 v111, v111, v112
	v_mul_f32_e32 v112, v118, v176
	v_add_f32_e32 v139, v135, v136
	ds_read2_b64 v[135:138], v110 offset0:89 offset1:90
	v_fma_f32 v112, v117, v184, -v112
	v_add_f32_e32 v111, v111, v112
	v_mul_f32_e32 v112, v120, v177
	s_waitcnt vmcnt(39)
	v_mul_f32_e32 v140, v133, v197
	v_fma_f32 v112, v119, v185, -v112
	s_waitcnt vmcnt(38)
	v_fmac_f32_e32 v140, v134, v198
	v_add_f32_e32 v111, v111, v112
	v_mul_f32_e32 v112, v122, v178
	v_add_f32_e32 v143, v139, v140
	ds_read2_b64 v[139:142], v110 offset0:91 offset1:92
	v_fma_f32 v112, v121, v186, -v112
	s_waitcnt vmcnt(36) lgkmcnt(1)
	v_mul_f32_e32 v144, v135, v200
	v_add_f32_e32 v111, v111, v112
	v_mul_f32_e32 v112, v124, v179
	v_fmac_f32_e32 v144, v136, v199
	v_fma_f32 v112, v123, v187, -v112
	v_add_f32_e32 v143, v143, v144
	s_waitcnt vmcnt(34)
	v_mul_f32_e32 v144, v137, v202
	v_add_f32_e32 v111, v111, v112
	v_mul_f32_e32 v112, v126, v180
	v_fmac_f32_e32 v144, v138, v201
	v_fma_f32 v112, v125, v188, -v112
	v_add_f32_e32 v143, v143, v144
	s_waitcnt vmcnt(32) lgkmcnt(0)
	v_mul_f32_e32 v144, v139, v204
	v_add_f32_e32 v111, v111, v112
	v_mul_f32_e32 v112, v128, v189
	v_fmac_f32_e32 v144, v140, v203
	v_fma_f32 v112, v127, v190, -v112
	v_add_f32_e32 v147, v143, v144
	ds_read2_b64 v[143:146], v110 offset0:93 offset1:94
	v_add_f32_e32 v111, v111, v112
	v_mul_f32_e32 v112, v130, v191
	v_fma_f32 v112, v129, v192, -v112
	s_waitcnt vmcnt(30)
	v_mul_f32_e32 v148, v141, v206
	v_add_f32_e32 v111, v111, v112
	v_mul_f32_e32 v112, v132, v194
	v_fmac_f32_e32 v148, v142, v205
	v_fma_f32 v112, v131, v193, -v112
	v_add_f32_e32 v151, v147, v148
	ds_read2_b64 v[147:150], v110 offset0:95 offset1:96
	v_add_f32_e32 v111, v111, v112
	v_mul_f32_e32 v112, v134, v197
	s_waitcnt vmcnt(28) lgkmcnt(1)
	v_mul_f32_e32 v152, v143, v208
	v_fma_f32 v112, v133, v198, -v112
	v_fmac_f32_e32 v152, v144, v207
	v_add_f32_e32 v111, v111, v112
	v_mul_f32_e32 v112, v136, v200
	v_add_f32_e32 v151, v151, v152
	s_waitcnt vmcnt(26)
	v_mul_f32_e32 v152, v145, v210
	v_fma_f32 v112, v135, v199, -v112
	v_fmac_f32_e32 v152, v146, v209
	v_add_f32_e32 v111, v111, v112
	v_mul_f32_e32 v112, v138, v202
	v_add_f32_e32 v151, v151, v152
	s_waitcnt vmcnt(24) lgkmcnt(0)
	v_mul_f32_e32 v152, v147, v212
	v_fma_f32 v112, v137, v201, -v112
	v_fmac_f32_e32 v152, v148, v211
	v_add_f32_e32 v111, v111, v112
	v_mul_f32_e32 v112, v140, v204
	v_add_f32_e32 v155, v151, v152
	ds_read2_b64 v[151:154], v110 offset0:97 offset1:98
	v_fma_f32 v112, v139, v203, -v112
	v_add_f32_e32 v111, v111, v112
	v_mul_f32_e32 v112, v142, v206
	s_waitcnt vmcnt(22)
	v_mul_f32_e32 v156, v149, v214
	v_fma_f32 v112, v141, v205, -v112
	v_fmac_f32_e32 v156, v150, v213
	v_add_f32_e32 v111, v111, v112
	v_mul_f32_e32 v112, v144, v208
	v_add_f32_e32 v159, v155, v156
	ds_read2_b64 v[155:158], v110 offset0:99 offset1:100
	v_fma_f32 v112, v143, v207, -v112
	s_waitcnt vmcnt(20) lgkmcnt(1)
	v_mul_f32_e32 v160, v151, v216
	v_add_f32_e32 v111, v111, v112
	v_mul_f32_e32 v112, v146, v210
	v_fmac_f32_e32 v160, v152, v215
	v_fma_f32 v112, v145, v209, -v112
	v_add_f32_e32 v159, v159, v160
	s_waitcnt vmcnt(18)
	v_mul_f32_e32 v160, v153, v218
	v_add_f32_e32 v111, v111, v112
	v_mul_f32_e32 v112, v148, v212
	v_fmac_f32_e32 v160, v154, v217
	v_fma_f32 v112, v147, v211, -v112
	v_add_f32_e32 v159, v159, v160
	s_waitcnt vmcnt(16) lgkmcnt(0)
	v_mul_f32_e32 v160, v155, v220
	v_add_f32_e32 v111, v111, v112
	v_mul_f32_e32 v112, v150, v214
	v_fmac_f32_e32 v160, v156, v219
	v_fma_f32 v112, v149, v213, -v112
	v_add_f32_e32 v163, v159, v160
	ds_read2_b64 v[159:162], v110 offset0:101 offset1:102
	v_add_f32_e32 v111, v111, v112
	v_mul_f32_e32 v112, v152, v216
	v_fma_f32 v112, v151, v215, -v112
	s_waitcnt vmcnt(14)
	v_mul_f32_e32 v164, v157, v222
	v_add_f32_e32 v111, v111, v112
	v_mul_f32_e32 v112, v154, v218
	v_fmac_f32_e32 v164, v158, v221
	v_fma_f32 v112, v153, v217, -v112
	v_add_f32_e32 v167, v163, v164
	ds_read2_b64 v[163:166], v110 offset0:103 offset1:104
	v_add_f32_e32 v111, v111, v112
	v_mul_f32_e32 v112, v156, v220
	s_waitcnt vmcnt(12) lgkmcnt(1)
	v_mul_f32_e32 v168, v159, v224
	v_fma_f32 v112, v155, v219, -v112
	v_fmac_f32_e32 v168, v160, v223
	v_add_f32_e32 v111, v111, v112
	v_mul_f32_e32 v112, v158, v222
	v_add_f32_e32 v167, v167, v168
	s_waitcnt vmcnt(10)
	v_mul_f32_e32 v168, v161, v226
	v_fma_f32 v112, v157, v221, -v112
	v_fmac_f32_e32 v168, v162, v225
	v_add_f32_e32 v111, v111, v112
	v_mul_f32_e32 v112, v160, v224
	v_add_f32_e32 v167, v167, v168
	s_waitcnt vmcnt(8) lgkmcnt(0)
	v_mul_f32_e32 v168, v163, v228
	v_fma_f32 v112, v159, v223, -v112
	v_fmac_f32_e32 v168, v164, v227
	v_add_f32_e32 v111, v111, v112
	v_mul_f32_e32 v112, v162, v226
	v_add_f32_e32 v171, v167, v168
	ds_read2_b64 v[167:170], v110 offset0:105 offset1:106
	v_fma_f32 v112, v161, v225, -v112
	v_add_f32_e32 v111, v111, v112
	v_mul_f32_e32 v112, v164, v228
	s_waitcnt vmcnt(6)
	v_mul_f32_e32 v172, v165, v230
	v_fma_f32 v112, v163, v227, -v112
	v_fmac_f32_e32 v172, v166, v229
	v_add_f32_e32 v111, v111, v112
	v_mul_f32_e32 v112, v166, v230
	v_add_f32_e32 v237, v171, v172
	ds_read_b64 v[171:172], v110 offset:856
	v_fma_f32 v112, v165, v229, -v112
	v_add_f32_e32 v111, v111, v112
	s_waitcnt vmcnt(4) lgkmcnt(1)
	v_mul_f32_e32 v112, v168, v232
	v_mul_f32_e32 v238, v167, v232
	v_fma_f32 v112, v167, v231, -v112
	v_fmac_f32_e32 v238, v168, v231
	v_add_f32_e32 v111, v111, v112
	s_waitcnt vmcnt(3)
	v_mul_f32_e32 v112, v170, v233
	v_add_f32_e32 v237, v237, v238
	v_mul_f32_e32 v238, v169, v233
	s_waitcnt vmcnt(2)
	v_fma_f32 v112, v169, v234, -v112
	v_fmac_f32_e32 v238, v170, v234
	v_add_f32_e32 v111, v111, v112
	s_waitcnt vmcnt(0) lgkmcnt(0)
	v_mul_f32_e32 v112, v172, v236
	v_add_f32_e32 v237, v237, v238
	v_mul_f32_e32 v238, v171, v236
	v_fma_f32 v112, v171, v235, -v112
	v_fmac_f32_e32 v238, v172, v235
	v_add_f32_e32 v111, v111, v112
	v_add_f32_e32 v237, v237, v238
	v_sub_f32_e32 v111, v195, v111
	v_sub_f32_e32 v112, v196, v237
	buffer_store_dword v111, off, s[0:3], 0 offset:176
	buffer_store_dword v112, off, s[0:3], 0 offset:180
	s_and_saveexec_b64 s[4:5], vcc
	s_cbranch_execz .LBB53_295
; %bb.294:
	buffer_load_dword v111, off, s[0:3], 0 offset:168
	buffer_load_dword v112, off, s[0:3], 0 offset:172
	s_waitcnt vmcnt(0)
	ds_write_b64 v109, v[111:112]
	buffer_store_dword v110, off, s[0:3], 0 offset:168
	buffer_store_dword v110, off, s[0:3], 0 offset:172
.LBB53_295:
	s_or_b64 exec, exec, s[4:5]
	s_waitcnt lgkmcnt(0)
	; wave barrier
	buffer_load_dword v175, off, s[0:3], 0 offset:180
	buffer_load_dword v176, off, s[0:3], 0 offset:188
	;; [unrolled: 1-line block ×26, first 2 shown]
	ds_read_b128 v[111:114], v110 offset:608
	ds_read_b128 v[115:118], v110 offset:624
	;; [unrolled: 1-line block ×4, first 2 shown]
	buffer_load_dword v201, off, s[0:3], 0 offset:276
	buffer_load_dword v202, off, s[0:3], 0 offset:272
	;; [unrolled: 1-line block ×34, first 2 shown]
	v_cmp_lt_u32_e32 vcc, 20, v0
	s_waitcnt vmcnt(59) lgkmcnt(3)
	v_mul_f32_e32 v127, v111, v175
	s_waitcnt vmcnt(58)
	v_mul_f32_e32 v128, v113, v176
	s_waitcnt vmcnt(57) lgkmcnt(2)
	v_mul_f32_e32 v129, v115, v177
	s_waitcnt vmcnt(56)
	v_mul_f32_e32 v130, v117, v178
	;; [unrolled: 4-line block ×4, first 2 shown]
	s_waitcnt vmcnt(51)
	v_fmac_f32_e32 v127, v112, v183
	s_waitcnt vmcnt(50)
	v_fmac_f32_e32 v128, v114, v184
	v_add_f32_e32 v127, 0, v127
	s_waitcnt vmcnt(49)
	v_fmac_f32_e32 v129, v116, v185
	v_add_f32_e32 v127, v127, v128
	;; [unrolled: 3-line block ×7, first 2 shown]
	v_add_f32_e32 v135, v127, v134
	ds_read_b128 v[127:130], v110 offset:672
	buffer_load_dword v235, off, s[0:3], 0 offset:412
	buffer_load_dword v236, off, s[0:3], 0 offset:408
	;; [unrolled: 1-line block ×4, first 2 shown]
	ds_read_b128 v[131:134], v110 offset:688
	buffer_load_dword v239, off, s[0:3], 0 offset:424
	buffer_load_dword v240, off, s[0:3], 0 offset:428
	v_mul_f32_e32 v112, v112, v175
	s_waitcnt vmcnt(49) lgkmcnt(1)
	v_mul_f32_e32 v136, v127, v191
	s_waitcnt vmcnt(48)
	v_fmac_f32_e32 v136, v128, v192
	v_fma_f32 v111, v111, v183, -v112
	v_mul_f32_e32 v112, v114, v176
	v_add_f32_e32 v135, v135, v136
	s_waitcnt vmcnt(46)
	v_mul_f32_e32 v136, v129, v194
	v_add_f32_e32 v111, 0, v111
	v_fma_f32 v112, v113, v184, -v112
	v_fmac_f32_e32 v136, v130, v193
	v_add_f32_e32 v111, v111, v112
	v_mul_f32_e32 v112, v116, v177
	v_add_f32_e32 v135, v135, v136
	s_waitcnt vmcnt(43) lgkmcnt(0)
	v_mul_f32_e32 v136, v131, v197
	v_fma_f32 v112, v115, v185, -v112
	s_waitcnt vmcnt(42)
	v_fmac_f32_e32 v136, v132, v198
	v_add_f32_e32 v111, v111, v112
	v_mul_f32_e32 v112, v118, v178
	v_add_f32_e32 v139, v135, v136
	ds_read_b128 v[135:138], v110 offset:704
	v_fma_f32 v112, v117, v186, -v112
	v_add_f32_e32 v111, v111, v112
	v_mul_f32_e32 v112, v120, v179
	s_waitcnt vmcnt(40)
	v_mul_f32_e32 v140, v133, v200
	v_fma_f32 v112, v119, v187, -v112
	v_fmac_f32_e32 v140, v134, v199
	v_add_f32_e32 v111, v111, v112
	v_mul_f32_e32 v112, v122, v180
	v_add_f32_e32 v143, v139, v140
	ds_read_b128 v[139:142], v110 offset:720
	v_fma_f32 v112, v121, v188, -v112
	s_waitcnt vmcnt(39) lgkmcnt(1)
	v_mul_f32_e32 v144, v135, v201
	v_add_f32_e32 v111, v111, v112
	v_mul_f32_e32 v112, v124, v181
	s_waitcnt vmcnt(38)
	v_fmac_f32_e32 v144, v136, v202
	v_fma_f32 v112, v123, v189, -v112
	v_add_f32_e32 v143, v143, v144
	s_waitcnt vmcnt(36)
	v_mul_f32_e32 v144, v137, v204
	v_add_f32_e32 v111, v111, v112
	v_mul_f32_e32 v112, v126, v182
	v_fmac_f32_e32 v144, v138, v203
	v_fma_f32 v112, v125, v190, -v112
	v_add_f32_e32 v143, v143, v144
	s_waitcnt vmcnt(34) lgkmcnt(0)
	v_mul_f32_e32 v144, v139, v206
	v_add_f32_e32 v111, v111, v112
	v_mul_f32_e32 v112, v128, v191
	v_fmac_f32_e32 v144, v140, v205
	v_fma_f32 v112, v127, v192, -v112
	v_add_f32_e32 v147, v143, v144
	ds_read_b128 v[143:146], v110 offset:736
	v_add_f32_e32 v111, v111, v112
	v_mul_f32_e32 v112, v130, v194
	v_fma_f32 v112, v129, v193, -v112
	s_waitcnt vmcnt(32)
	v_mul_f32_e32 v148, v141, v208
	v_add_f32_e32 v111, v111, v112
	v_mul_f32_e32 v112, v132, v197
	v_fmac_f32_e32 v148, v142, v207
	v_fma_f32 v112, v131, v198, -v112
	v_add_f32_e32 v151, v147, v148
	ds_read_b128 v[147:150], v110 offset:752
	v_add_f32_e32 v111, v111, v112
	v_mul_f32_e32 v112, v134, v200
	s_waitcnt vmcnt(30) lgkmcnt(1)
	v_mul_f32_e32 v152, v143, v210
	v_fma_f32 v112, v133, v199, -v112
	v_fmac_f32_e32 v152, v144, v209
	v_add_f32_e32 v111, v111, v112
	v_mul_f32_e32 v112, v136, v201
	v_add_f32_e32 v151, v151, v152
	s_waitcnt vmcnt(28)
	v_mul_f32_e32 v152, v145, v212
	v_fma_f32 v112, v135, v202, -v112
	v_fmac_f32_e32 v152, v146, v211
	v_add_f32_e32 v111, v111, v112
	v_mul_f32_e32 v112, v138, v204
	v_add_f32_e32 v151, v151, v152
	s_waitcnt vmcnt(26) lgkmcnt(0)
	v_mul_f32_e32 v152, v147, v214
	v_fma_f32 v112, v137, v203, -v112
	v_fmac_f32_e32 v152, v148, v213
	v_add_f32_e32 v111, v111, v112
	v_mul_f32_e32 v112, v140, v206
	v_add_f32_e32 v155, v151, v152
	ds_read_b128 v[151:154], v110 offset:768
	v_fma_f32 v112, v139, v205, -v112
	v_add_f32_e32 v111, v111, v112
	v_mul_f32_e32 v112, v142, v208
	s_waitcnt vmcnt(24)
	v_mul_f32_e32 v156, v149, v216
	v_fma_f32 v112, v141, v207, -v112
	v_fmac_f32_e32 v156, v150, v215
	v_add_f32_e32 v111, v111, v112
	v_mul_f32_e32 v112, v144, v210
	v_add_f32_e32 v159, v155, v156
	ds_read_b128 v[155:158], v110 offset:784
	v_fma_f32 v112, v143, v209, -v112
	s_waitcnt vmcnt(22) lgkmcnt(1)
	v_mul_f32_e32 v160, v151, v218
	v_add_f32_e32 v111, v111, v112
	v_mul_f32_e32 v112, v146, v212
	v_fmac_f32_e32 v160, v152, v217
	v_fma_f32 v112, v145, v211, -v112
	v_add_f32_e32 v159, v159, v160
	s_waitcnt vmcnt(20)
	v_mul_f32_e32 v160, v153, v220
	v_add_f32_e32 v111, v111, v112
	v_mul_f32_e32 v112, v148, v214
	v_fmac_f32_e32 v160, v154, v219
	v_fma_f32 v112, v147, v213, -v112
	v_add_f32_e32 v159, v159, v160
	s_waitcnt vmcnt(18) lgkmcnt(0)
	v_mul_f32_e32 v160, v155, v222
	v_add_f32_e32 v111, v111, v112
	v_mul_f32_e32 v112, v150, v216
	v_fmac_f32_e32 v160, v156, v221
	v_fma_f32 v112, v149, v215, -v112
	v_add_f32_e32 v163, v159, v160
	ds_read_b128 v[159:162], v110 offset:800
	v_add_f32_e32 v111, v111, v112
	v_mul_f32_e32 v112, v152, v218
	v_fma_f32 v112, v151, v217, -v112
	s_waitcnt vmcnt(16)
	v_mul_f32_e32 v164, v157, v224
	v_add_f32_e32 v111, v111, v112
	v_mul_f32_e32 v112, v154, v220
	v_fmac_f32_e32 v164, v158, v223
	v_fma_f32 v112, v153, v219, -v112
	v_add_f32_e32 v167, v163, v164
	ds_read_b128 v[163:166], v110 offset:816
	v_add_f32_e32 v111, v111, v112
	v_mul_f32_e32 v112, v156, v222
	s_waitcnt vmcnt(14) lgkmcnt(1)
	v_mul_f32_e32 v168, v159, v226
	v_fma_f32 v112, v155, v221, -v112
	v_fmac_f32_e32 v168, v160, v225
	v_add_f32_e32 v111, v111, v112
	v_mul_f32_e32 v112, v158, v224
	v_add_f32_e32 v167, v167, v168
	s_waitcnt vmcnt(12)
	v_mul_f32_e32 v168, v161, v228
	v_fma_f32 v112, v157, v223, -v112
	v_fmac_f32_e32 v168, v162, v227
	v_add_f32_e32 v111, v111, v112
	v_mul_f32_e32 v112, v160, v226
	v_add_f32_e32 v167, v167, v168
	s_waitcnt vmcnt(10) lgkmcnt(0)
	v_mul_f32_e32 v168, v163, v230
	v_fma_f32 v112, v159, v225, -v112
	v_fmac_f32_e32 v168, v164, v229
	v_add_f32_e32 v111, v111, v112
	v_mul_f32_e32 v112, v162, v228
	v_add_f32_e32 v171, v167, v168
	ds_read_b128 v[167:170], v110 offset:832
	v_fma_f32 v112, v161, v227, -v112
	v_add_f32_e32 v111, v111, v112
	v_mul_f32_e32 v112, v164, v230
	s_waitcnt vmcnt(8)
	v_mul_f32_e32 v172, v165, v232
	v_fma_f32 v112, v163, v229, -v112
	v_fmac_f32_e32 v172, v166, v231
	v_add_f32_e32 v111, v111, v112
	v_mul_f32_e32 v112, v166, v232
	v_add_f32_e32 v241, v171, v172
	ds_read_b128 v[171:174], v110 offset:848
	v_fma_f32 v112, v165, v231, -v112
	v_add_f32_e32 v111, v111, v112
	s_waitcnt vmcnt(6) lgkmcnt(1)
	v_mul_f32_e32 v112, v168, v234
	v_mul_f32_e32 v110, v167, v234
	v_fma_f32 v112, v167, v233, -v112
	v_fmac_f32_e32 v110, v168, v233
	v_add_f32_e32 v111, v111, v112
	s_waitcnt vmcnt(5)
	v_mul_f32_e32 v112, v170, v235
	v_add_f32_e32 v110, v241, v110
	v_mul_f32_e32 v241, v169, v235
	s_waitcnt vmcnt(4)
	v_fma_f32 v112, v169, v236, -v112
	v_fmac_f32_e32 v241, v170, v236
	v_add_f32_e32 v111, v111, v112
	s_waitcnt vmcnt(2) lgkmcnt(0)
	v_mul_f32_e32 v112, v172, v238
	v_add_f32_e32 v110, v110, v241
	v_mul_f32_e32 v241, v171, v238
	v_fma_f32 v112, v171, v237, -v112
	v_fmac_f32_e32 v241, v172, v237
	v_add_f32_e32 v111, v111, v112
	s_waitcnt vmcnt(0)
	v_mul_f32_e32 v112, v174, v240
	v_add_f32_e32 v110, v110, v241
	v_mul_f32_e32 v241, v173, v240
	v_fma_f32 v112, v173, v239, -v112
	v_fmac_f32_e32 v241, v174, v239
	v_add_f32_e32 v111, v111, v112
	v_add_f32_e32 v110, v110, v241
	v_sub_f32_e32 v111, v195, v111
	v_sub_f32_e32 v110, v196, v110
	buffer_store_dword v111, off, s[0:3], 0 offset:168
	buffer_store_dword v110, off, s[0:3], 0 offset:172
	s_and_saveexec_b64 s[4:5], vcc
	s_cbranch_execz .LBB53_297
; %bb.296:
	buffer_load_dword v110, off, s[0:3], 0 offset:160
	buffer_load_dword v111, off, s[0:3], 0 offset:164
	v_mov_b32_e32 v112, 0
	buffer_store_dword v112, off, s[0:3], 0 offset:160
	buffer_store_dword v112, off, s[0:3], 0 offset:164
	s_waitcnt vmcnt(2)
	ds_write_b64 v109, v[110:111]
.LBB53_297:
	s_or_b64 exec, exec, s[4:5]
	s_waitcnt lgkmcnt(0)
	; wave barrier
	buffer_load_dword v177, off, s[0:3], 0 offset:172
	buffer_load_dword v178, off, s[0:3], 0 offset:180
	;; [unrolled: 1-line block ×58, first 2 shown]
	v_mov_b32_e32 v110, 0
	ds_read2_b64 v[111:114], v110 offset0:75 offset1:76
	ds_read2_b64 v[115:118], v110 offset0:77 offset1:78
	;; [unrolled: 1-line block ×5, first 2 shown]
	buffer_load_dword v235, off, s[0:3], 0 offset:392
	buffer_load_dword v236, off, s[0:3], 0 offset:396
	v_cmp_lt_u32_e32 vcc, 19, v0
	s_waitcnt vmcnt(59) lgkmcnt(4)
	v_mul_f32_e32 v131, v111, v177
	s_waitcnt vmcnt(58)
	v_mul_f32_e32 v132, v113, v178
	s_waitcnt vmcnt(57) lgkmcnt(3)
	v_mul_f32_e32 v133, v115, v179
	s_waitcnt vmcnt(56)
	v_mul_f32_e32 v134, v117, v180
	;; [unrolled: 4-line block ×4, first 2 shown]
	s_waitcnt vmcnt(51)
	v_fmac_f32_e32 v131, v112, v185
	s_waitcnt vmcnt(50)
	v_fmac_f32_e32 v132, v114, v186
	v_add_f32_e32 v131, 0, v131
	s_waitcnt vmcnt(49)
	v_fmac_f32_e32 v133, v116, v187
	v_add_f32_e32 v131, v131, v132
	;; [unrolled: 3-line block ×7, first 2 shown]
	v_add_f32_e32 v135, v131, v138
	ds_read2_b64 v[131:134], v110 offset0:85 offset1:86
	buffer_load_dword v237, off, s[0:3], 0 offset:404
	buffer_load_dword v238, off, s[0:3], 0 offset:400
	;; [unrolled: 1-line block ×8, first 2 shown]
	s_waitcnt vmcnt(51) lgkmcnt(1)
	v_mul_f32_e32 v136, v127, v193
	s_waitcnt vmcnt(50)
	v_fmac_f32_e32 v136, v128, v194
	v_mul_f32_e32 v112, v112, v177
	v_add_f32_e32 v135, v135, v136
	s_waitcnt vmcnt(49)
	v_mul_f32_e32 v136, v129, v195
	v_fma_f32 v111, v111, v185, -v112
	v_mul_f32_e32 v112, v114, v178
	s_waitcnt vmcnt(46)
	v_fmac_f32_e32 v136, v130, v198
	v_add_f32_e32 v111, 0, v111
	v_fma_f32 v112, v113, v186, -v112
	v_add_f32_e32 v135, v135, v136
	s_waitcnt vmcnt(44) lgkmcnt(0)
	v_mul_f32_e32 v136, v131, v200
	v_add_f32_e32 v111, v111, v112
	v_mul_f32_e32 v112, v116, v179
	v_fmac_f32_e32 v136, v132, v199
	v_fma_f32 v112, v115, v187, -v112
	v_add_f32_e32 v139, v135, v136
	ds_read2_b64 v[135:138], v110 offset0:87 offset1:88
	v_add_f32_e32 v111, v111, v112
	v_mul_f32_e32 v112, v118, v180
	v_fma_f32 v112, v117, v188, -v112
	s_waitcnt vmcnt(42)
	v_mul_f32_e32 v140, v133, v202
	v_add_f32_e32 v111, v111, v112
	v_mul_f32_e32 v112, v120, v181
	v_fmac_f32_e32 v140, v134, v201
	v_fma_f32 v112, v119, v189, -v112
	v_add_f32_e32 v143, v139, v140
	ds_read2_b64 v[139:142], v110 offset0:89 offset1:90
	v_add_f32_e32 v111, v111, v112
	v_mul_f32_e32 v112, v122, v182
	s_waitcnt vmcnt(40) lgkmcnt(1)
	v_mul_f32_e32 v144, v135, v204
	v_fma_f32 v112, v121, v190, -v112
	v_fmac_f32_e32 v144, v136, v203
	v_add_f32_e32 v111, v111, v112
	v_mul_f32_e32 v112, v124, v183
	v_add_f32_e32 v143, v143, v144
	s_waitcnt vmcnt(38)
	v_mul_f32_e32 v144, v137, v206
	v_fma_f32 v112, v123, v191, -v112
	v_fmac_f32_e32 v144, v138, v205
	v_add_f32_e32 v111, v111, v112
	v_mul_f32_e32 v112, v126, v184
	v_add_f32_e32 v143, v143, v144
	s_waitcnt vmcnt(36) lgkmcnt(0)
	v_mul_f32_e32 v144, v139, v208
	v_fma_f32 v112, v125, v192, -v112
	v_fmac_f32_e32 v144, v140, v207
	v_add_f32_e32 v111, v111, v112
	v_mul_f32_e32 v112, v128, v193
	v_add_f32_e32 v147, v143, v144
	ds_read2_b64 v[143:146], v110 offset0:91 offset1:92
	v_fma_f32 v112, v127, v194, -v112
	v_add_f32_e32 v111, v111, v112
	v_mul_f32_e32 v112, v130, v195
	s_waitcnt vmcnt(34)
	v_mul_f32_e32 v148, v141, v210
	v_fma_f32 v112, v129, v198, -v112
	v_fmac_f32_e32 v148, v142, v209
	v_add_f32_e32 v111, v111, v112
	v_mul_f32_e32 v112, v132, v200
	v_add_f32_e32 v151, v147, v148
	ds_read2_b64 v[147:150], v110 offset0:93 offset1:94
	v_fma_f32 v112, v131, v199, -v112
	s_waitcnt vmcnt(32) lgkmcnt(1)
	v_mul_f32_e32 v152, v143, v212
	v_add_f32_e32 v111, v111, v112
	v_mul_f32_e32 v112, v134, v202
	v_fmac_f32_e32 v152, v144, v211
	v_fma_f32 v112, v133, v201, -v112
	v_add_f32_e32 v151, v151, v152
	s_waitcnt vmcnt(30)
	v_mul_f32_e32 v152, v145, v214
	v_add_f32_e32 v111, v111, v112
	v_mul_f32_e32 v112, v136, v204
	v_fmac_f32_e32 v152, v146, v213
	v_fma_f32 v112, v135, v203, -v112
	v_add_f32_e32 v151, v151, v152
	s_waitcnt vmcnt(28) lgkmcnt(0)
	v_mul_f32_e32 v152, v147, v216
	v_add_f32_e32 v111, v111, v112
	v_mul_f32_e32 v112, v138, v206
	v_fmac_f32_e32 v152, v148, v215
	v_fma_f32 v112, v137, v205, -v112
	v_add_f32_e32 v155, v151, v152
	ds_read2_b64 v[151:154], v110 offset0:95 offset1:96
	v_add_f32_e32 v111, v111, v112
	v_mul_f32_e32 v112, v140, v208
	v_fma_f32 v112, v139, v207, -v112
	s_waitcnt vmcnt(26)
	v_mul_f32_e32 v156, v149, v218
	v_add_f32_e32 v111, v111, v112
	v_mul_f32_e32 v112, v142, v210
	v_fmac_f32_e32 v156, v150, v217
	v_fma_f32 v112, v141, v209, -v112
	v_add_f32_e32 v159, v155, v156
	ds_read2_b64 v[155:158], v110 offset0:97 offset1:98
	v_add_f32_e32 v111, v111, v112
	v_mul_f32_e32 v112, v144, v212
	s_waitcnt vmcnt(24) lgkmcnt(1)
	v_mul_f32_e32 v160, v151, v220
	v_fma_f32 v112, v143, v211, -v112
	v_fmac_f32_e32 v160, v152, v219
	v_add_f32_e32 v111, v111, v112
	v_mul_f32_e32 v112, v146, v214
	v_add_f32_e32 v159, v159, v160
	s_waitcnt vmcnt(22)
	v_mul_f32_e32 v160, v153, v222
	v_fma_f32 v112, v145, v213, -v112
	v_fmac_f32_e32 v160, v154, v221
	v_add_f32_e32 v111, v111, v112
	v_mul_f32_e32 v112, v148, v216
	v_add_f32_e32 v159, v159, v160
	s_waitcnt vmcnt(20) lgkmcnt(0)
	v_mul_f32_e32 v160, v155, v224
	v_fma_f32 v112, v147, v215, -v112
	v_fmac_f32_e32 v160, v156, v223
	v_add_f32_e32 v111, v111, v112
	v_mul_f32_e32 v112, v150, v218
	v_add_f32_e32 v163, v159, v160
	ds_read2_b64 v[159:162], v110 offset0:99 offset1:100
	v_fma_f32 v112, v149, v217, -v112
	v_add_f32_e32 v111, v111, v112
	v_mul_f32_e32 v112, v152, v220
	s_waitcnt vmcnt(18)
	v_mul_f32_e32 v164, v157, v226
	v_fma_f32 v112, v151, v219, -v112
	v_fmac_f32_e32 v164, v158, v225
	v_add_f32_e32 v111, v111, v112
	v_mul_f32_e32 v112, v154, v222
	v_add_f32_e32 v167, v163, v164
	ds_read2_b64 v[163:166], v110 offset0:101 offset1:102
	v_fma_f32 v112, v153, v221, -v112
	s_waitcnt vmcnt(16) lgkmcnt(1)
	v_mul_f32_e32 v168, v159, v228
	v_add_f32_e32 v111, v111, v112
	v_mul_f32_e32 v112, v156, v224
	v_fmac_f32_e32 v168, v160, v227
	v_fma_f32 v112, v155, v223, -v112
	v_add_f32_e32 v167, v167, v168
	s_waitcnt vmcnt(14)
	v_mul_f32_e32 v168, v161, v230
	v_add_f32_e32 v111, v111, v112
	v_mul_f32_e32 v112, v158, v226
	v_fmac_f32_e32 v168, v162, v229
	v_fma_f32 v112, v157, v225, -v112
	v_add_f32_e32 v167, v167, v168
	s_waitcnt vmcnt(12) lgkmcnt(0)
	v_mul_f32_e32 v168, v163, v232
	v_add_f32_e32 v111, v111, v112
	v_mul_f32_e32 v112, v160, v228
	v_fmac_f32_e32 v168, v164, v231
	v_fma_f32 v112, v159, v227, -v112
	v_add_f32_e32 v171, v167, v168
	ds_read2_b64 v[167:170], v110 offset0:103 offset1:104
	v_add_f32_e32 v111, v111, v112
	v_mul_f32_e32 v112, v162, v230
	v_fma_f32 v112, v161, v229, -v112
	v_add_f32_e32 v111, v111, v112
	v_mul_f32_e32 v112, v164, v232
	s_waitcnt vmcnt(10)
	v_mul_f32_e32 v172, v165, v234
	v_fma_f32 v112, v163, v231, -v112
	v_fmac_f32_e32 v172, v166, v233
	v_add_f32_e32 v111, v111, v112
	v_mul_f32_e32 v112, v166, v234
	v_add_f32_e32 v175, v171, v172
	ds_read2_b64 v[171:174], v110 offset0:105 offset1:106
	s_waitcnt vmcnt(8) lgkmcnt(1)
	v_mul_f32_e32 v176, v167, v236
	v_fma_f32 v112, v165, v233, -v112
	v_fmac_f32_e32 v176, v168, v235
	v_add_f32_e32 v111, v111, v112
	v_mul_f32_e32 v112, v168, v236
	v_add_f32_e32 v175, v175, v176
	s_waitcnt vmcnt(7)
	v_mul_f32_e32 v176, v169, v237
	v_fma_f32 v112, v167, v235, -v112
	s_waitcnt vmcnt(6)
	v_fmac_f32_e32 v176, v170, v238
	v_add_f32_e32 v111, v111, v112
	v_mul_f32_e32 v112, v170, v237
	v_add_f32_e32 v245, v175, v176
	ds_read_b64 v[175:176], v110 offset:856
	v_fma_f32 v112, v169, v238, -v112
	v_add_f32_e32 v111, v111, v112
	s_waitcnt vmcnt(4) lgkmcnt(1)
	v_mul_f32_e32 v112, v172, v240
	v_mul_f32_e32 v246, v171, v240
	v_fma_f32 v112, v171, v239, -v112
	v_fmac_f32_e32 v246, v172, v239
	v_add_f32_e32 v111, v111, v112
	s_waitcnt vmcnt(3)
	v_mul_f32_e32 v112, v174, v241
	v_add_f32_e32 v245, v245, v246
	v_mul_f32_e32 v246, v173, v241
	s_waitcnt vmcnt(2)
	v_fma_f32 v112, v173, v242, -v112
	v_fmac_f32_e32 v246, v174, v242
	v_add_f32_e32 v111, v111, v112
	s_waitcnt vmcnt(0) lgkmcnt(0)
	v_mul_f32_e32 v112, v176, v244
	v_add_f32_e32 v245, v245, v246
	v_mul_f32_e32 v246, v175, v244
	v_fma_f32 v112, v175, v243, -v112
	v_fmac_f32_e32 v246, v176, v243
	v_add_f32_e32 v111, v111, v112
	v_add_f32_e32 v245, v245, v246
	v_sub_f32_e32 v111, v196, v111
	v_sub_f32_e32 v112, v197, v245
	buffer_store_dword v111, off, s[0:3], 0 offset:160
	buffer_store_dword v112, off, s[0:3], 0 offset:164
	s_and_saveexec_b64 s[4:5], vcc
	s_cbranch_execz .LBB53_299
; %bb.298:
	buffer_load_dword v111, off, s[0:3], 0 offset:152
	buffer_load_dword v112, off, s[0:3], 0 offset:156
	s_waitcnt vmcnt(0)
	ds_write_b64 v109, v[111:112]
	buffer_store_dword v110, off, s[0:3], 0 offset:152
	buffer_store_dword v110, off, s[0:3], 0 offset:156
.LBB53_299:
	s_or_b64 exec, exec, s[4:5]
	s_waitcnt lgkmcnt(0)
	; wave barrier
	buffer_load_dword v179, off, s[0:3], 0 offset:164
	buffer_load_dword v180, off, s[0:3], 0 offset:172
	;; [unrolled: 1-line block ×24, first 2 shown]
	ds_read_b128 v[111:114], v110 offset:592
	ds_read_b128 v[115:118], v110 offset:608
	;; [unrolled: 1-line block ×6, first 2 shown]
	buffer_load_dword v203, off, s[0:3], 0 offset:252
	buffer_load_dword v204, off, s[0:3], 0 offset:248
	;; [unrolled: 1-line block ×46, first 2 shown]
	v_cmp_lt_u32_e32 vcc, 18, v0
	s_waitcnt vmcnt(62) lgkmcnt(5)
	v_mul_f32_e32 v135, v111, v179
	v_mul_f32_e32 v136, v113, v180
	s_waitcnt lgkmcnt(4)
	v_mul_f32_e32 v137, v115, v181
	v_mul_f32_e32 v138, v117, v182
	s_waitcnt lgkmcnt(3)
	;; [unrolled: 3-line block ×3, first 2 shown]
	v_mul_f32_e32 v141, v123, v185
	v_mul_f32_e32 v142, v125, v186
	s_waitcnt vmcnt(61)
	v_fmac_f32_e32 v135, v112, v187
	s_waitcnt vmcnt(60)
	v_fmac_f32_e32 v136, v114, v188
	v_add_f32_e32 v135, 0, v135
	s_waitcnt vmcnt(59)
	v_fmac_f32_e32 v137, v116, v189
	v_add_f32_e32 v135, v135, v136
	;; [unrolled: 3-line block ×7, first 2 shown]
	s_waitcnt vmcnt(53) lgkmcnt(1)
	v_mul_f32_e32 v136, v127, v195
	v_add_f32_e32 v135, v135, v142
	s_waitcnt vmcnt(52)
	v_fmac_f32_e32 v136, v128, v196
	v_mul_f32_e32 v112, v112, v179
	v_add_f32_e32 v135, v135, v136
	s_waitcnt vmcnt(51)
	v_mul_f32_e32 v136, v129, v197
	v_fma_f32 v111, v111, v187, -v112
	v_mul_f32_e32 v112, v114, v180
	s_waitcnt vmcnt(50)
	v_fmac_f32_e32 v136, v130, v198
	v_add_f32_e32 v111, 0, v111
	v_fma_f32 v112, v113, v188, -v112
	v_add_f32_e32 v135, v135, v136
	s_waitcnt vmcnt(47) lgkmcnt(0)
	v_mul_f32_e32 v136, v131, v201
	v_add_f32_e32 v111, v111, v112
	v_mul_f32_e32 v112, v116, v181
	s_waitcnt vmcnt(46)
	v_fmac_f32_e32 v136, v132, v202
	v_fma_f32 v112, v115, v189, -v112
	v_add_f32_e32 v139, v135, v136
	ds_read_b128 v[135:138], v110 offset:688
	v_add_f32_e32 v111, v111, v112
	v_mul_f32_e32 v112, v118, v182
	v_fma_f32 v112, v117, v190, -v112
	s_waitcnt vmcnt(45)
	v_mul_f32_e32 v140, v133, v203
	v_add_f32_e32 v111, v111, v112
	v_mul_f32_e32 v112, v120, v183
	s_waitcnt vmcnt(44)
	v_fmac_f32_e32 v140, v134, v204
	v_fma_f32 v112, v119, v191, -v112
	v_add_f32_e32 v143, v139, v140
	ds_read_b128 v[139:142], v110 offset:704
	v_add_f32_e32 v111, v111, v112
	v_mul_f32_e32 v112, v122, v184
	s_waitcnt vmcnt(42) lgkmcnt(1)
	v_mul_f32_e32 v144, v135, v206
	v_fma_f32 v112, v121, v192, -v112
	v_fmac_f32_e32 v144, v136, v205
	v_add_f32_e32 v111, v111, v112
	v_mul_f32_e32 v112, v124, v185
	v_add_f32_e32 v143, v143, v144
	s_waitcnt vmcnt(40)
	v_mul_f32_e32 v144, v137, v208
	v_fma_f32 v112, v123, v193, -v112
	v_fmac_f32_e32 v144, v138, v207
	v_add_f32_e32 v111, v111, v112
	v_mul_f32_e32 v112, v126, v186
	v_add_f32_e32 v143, v143, v144
	s_waitcnt vmcnt(38) lgkmcnt(0)
	v_mul_f32_e32 v144, v139, v210
	v_fma_f32 v112, v125, v194, -v112
	v_fmac_f32_e32 v144, v140, v209
	v_add_f32_e32 v111, v111, v112
	v_mul_f32_e32 v112, v128, v195
	v_add_f32_e32 v147, v143, v144
	ds_read_b128 v[143:146], v110 offset:720
	v_fma_f32 v112, v127, v196, -v112
	v_add_f32_e32 v111, v111, v112
	v_mul_f32_e32 v112, v130, v197
	s_waitcnt vmcnt(36)
	v_mul_f32_e32 v148, v141, v212
	v_fma_f32 v112, v129, v198, -v112
	v_fmac_f32_e32 v148, v142, v211
	v_add_f32_e32 v111, v111, v112
	v_mul_f32_e32 v112, v132, v201
	v_add_f32_e32 v151, v147, v148
	ds_read_b128 v[147:150], v110 offset:736
	v_fma_f32 v112, v131, v202, -v112
	s_waitcnt vmcnt(34) lgkmcnt(1)
	v_mul_f32_e32 v152, v143, v214
	v_add_f32_e32 v111, v111, v112
	v_mul_f32_e32 v112, v134, v203
	v_fmac_f32_e32 v152, v144, v213
	v_fma_f32 v112, v133, v204, -v112
	v_add_f32_e32 v151, v151, v152
	s_waitcnt vmcnt(32)
	v_mul_f32_e32 v152, v145, v216
	v_add_f32_e32 v111, v111, v112
	v_mul_f32_e32 v112, v136, v206
	v_fmac_f32_e32 v152, v146, v215
	v_fma_f32 v112, v135, v205, -v112
	v_add_f32_e32 v151, v151, v152
	s_waitcnt vmcnt(30) lgkmcnt(0)
	v_mul_f32_e32 v152, v147, v218
	v_add_f32_e32 v111, v111, v112
	v_mul_f32_e32 v112, v138, v208
	v_fmac_f32_e32 v152, v148, v217
	v_fma_f32 v112, v137, v207, -v112
	v_add_f32_e32 v155, v151, v152
	ds_read_b128 v[151:154], v110 offset:752
	v_add_f32_e32 v111, v111, v112
	v_mul_f32_e32 v112, v140, v210
	v_fma_f32 v112, v139, v209, -v112
	s_waitcnt vmcnt(28)
	v_mul_f32_e32 v156, v149, v220
	v_add_f32_e32 v111, v111, v112
	v_mul_f32_e32 v112, v142, v212
	v_fmac_f32_e32 v156, v150, v219
	v_fma_f32 v112, v141, v211, -v112
	v_add_f32_e32 v159, v155, v156
	ds_read_b128 v[155:158], v110 offset:768
	v_add_f32_e32 v111, v111, v112
	v_mul_f32_e32 v112, v144, v214
	s_waitcnt vmcnt(26) lgkmcnt(1)
	v_mul_f32_e32 v160, v151, v222
	v_fma_f32 v112, v143, v213, -v112
	v_fmac_f32_e32 v160, v152, v221
	v_add_f32_e32 v111, v111, v112
	v_mul_f32_e32 v112, v146, v216
	v_add_f32_e32 v159, v159, v160
	s_waitcnt vmcnt(24)
	v_mul_f32_e32 v160, v153, v224
	v_fma_f32 v112, v145, v215, -v112
	v_fmac_f32_e32 v160, v154, v223
	v_add_f32_e32 v111, v111, v112
	v_mul_f32_e32 v112, v148, v218
	v_add_f32_e32 v159, v159, v160
	s_waitcnt vmcnt(22) lgkmcnt(0)
	v_mul_f32_e32 v160, v155, v226
	v_fma_f32 v112, v147, v217, -v112
	v_fmac_f32_e32 v160, v156, v225
	v_add_f32_e32 v111, v111, v112
	v_mul_f32_e32 v112, v150, v220
	v_add_f32_e32 v163, v159, v160
	ds_read_b128 v[159:162], v110 offset:784
	v_fma_f32 v112, v149, v219, -v112
	v_add_f32_e32 v111, v111, v112
	v_mul_f32_e32 v112, v152, v222
	s_waitcnt vmcnt(20)
	v_mul_f32_e32 v164, v157, v228
	v_fma_f32 v112, v151, v221, -v112
	v_fmac_f32_e32 v164, v158, v227
	v_add_f32_e32 v111, v111, v112
	v_mul_f32_e32 v112, v154, v224
	v_add_f32_e32 v167, v163, v164
	ds_read_b128 v[163:166], v110 offset:800
	v_fma_f32 v112, v153, v223, -v112
	s_waitcnt vmcnt(18) lgkmcnt(1)
	v_mul_f32_e32 v168, v159, v230
	v_add_f32_e32 v111, v111, v112
	v_mul_f32_e32 v112, v156, v226
	v_fmac_f32_e32 v168, v160, v229
	v_fma_f32 v112, v155, v225, -v112
	v_add_f32_e32 v167, v167, v168
	s_waitcnt vmcnt(16)
	v_mul_f32_e32 v168, v161, v232
	v_add_f32_e32 v111, v111, v112
	v_mul_f32_e32 v112, v158, v228
	v_fmac_f32_e32 v168, v162, v231
	v_fma_f32 v112, v157, v227, -v112
	v_add_f32_e32 v167, v167, v168
	s_waitcnt vmcnt(14) lgkmcnt(0)
	v_mul_f32_e32 v168, v163, v234
	v_add_f32_e32 v111, v111, v112
	v_mul_f32_e32 v112, v160, v230
	v_fmac_f32_e32 v168, v164, v233
	v_fma_f32 v112, v159, v229, -v112
	v_add_f32_e32 v171, v167, v168
	ds_read_b128 v[167:170], v110 offset:816
	v_add_f32_e32 v111, v111, v112
	v_mul_f32_e32 v112, v162, v232
	v_fma_f32 v112, v161, v231, -v112
	v_add_f32_e32 v111, v111, v112
	v_mul_f32_e32 v112, v164, v234
	s_waitcnt vmcnt(12)
	v_mul_f32_e32 v172, v165, v236
	v_fma_f32 v112, v163, v233, -v112
	v_fmac_f32_e32 v172, v166, v235
	v_add_f32_e32 v111, v111, v112
	v_mul_f32_e32 v112, v166, v236
	v_add_f32_e32 v175, v171, v172
	ds_read_b128 v[171:174], v110 offset:832
	s_waitcnt vmcnt(10) lgkmcnt(1)
	v_mul_f32_e32 v176, v167, v238
	v_fma_f32 v112, v165, v235, -v112
	v_fmac_f32_e32 v176, v168, v237
	v_add_f32_e32 v111, v111, v112
	v_mul_f32_e32 v112, v168, v238
	v_add_f32_e32 v175, v175, v176
	s_waitcnt vmcnt(9)
	v_mul_f32_e32 v176, v169, v239
	v_fma_f32 v112, v167, v237, -v112
	s_waitcnt vmcnt(8)
	v_fmac_f32_e32 v176, v170, v240
	v_add_f32_e32 v111, v111, v112
	v_mul_f32_e32 v112, v170, v239
	v_add_f32_e32 v249, v175, v176
	ds_read_b128 v[175:178], v110 offset:848
	v_fma_f32 v112, v169, v240, -v112
	v_add_f32_e32 v111, v111, v112
	s_waitcnt vmcnt(6) lgkmcnt(1)
	v_mul_f32_e32 v112, v172, v242
	v_mul_f32_e32 v250, v171, v242
	v_fma_f32 v112, v171, v241, -v112
	v_fmac_f32_e32 v250, v172, v241
	v_add_f32_e32 v111, v111, v112
	s_waitcnt vmcnt(4)
	v_mul_f32_e32 v112, v174, v244
	v_add_f32_e32 v110, v249, v250
	v_mul_f32_e32 v249, v173, v244
	v_fma_f32 v112, v173, v243, -v112
	v_fmac_f32_e32 v249, v174, v243
	v_add_f32_e32 v111, v111, v112
	s_waitcnt vmcnt(3) lgkmcnt(0)
	v_mul_f32_e32 v112, v176, v245
	v_add_f32_e32 v110, v110, v249
	v_mul_f32_e32 v249, v175, v245
	s_waitcnt vmcnt(2)
	v_fma_f32 v112, v175, v246, -v112
	v_fmac_f32_e32 v249, v176, v246
	v_add_f32_e32 v111, v111, v112
	s_waitcnt vmcnt(0)
	v_mul_f32_e32 v112, v178, v248
	v_add_f32_e32 v110, v110, v249
	v_mul_f32_e32 v249, v177, v248
	v_fma_f32 v112, v177, v247, -v112
	v_fmac_f32_e32 v249, v178, v247
	v_add_f32_e32 v111, v111, v112
	v_add_f32_e32 v110, v110, v249
	v_sub_f32_e32 v111, v199, v111
	v_sub_f32_e32 v110, v200, v110
	buffer_store_dword v111, off, s[0:3], 0 offset:152
	buffer_store_dword v110, off, s[0:3], 0 offset:156
	s_and_saveexec_b64 s[4:5], vcc
	s_cbranch_execz .LBB53_301
; %bb.300:
	buffer_load_dword v110, off, s[0:3], 0 offset:144
	buffer_load_dword v111, off, s[0:3], 0 offset:148
	v_mov_b32_e32 v112, 0
	buffer_store_dword v112, off, s[0:3], 0 offset:144
	buffer_store_dword v112, off, s[0:3], 0 offset:148
	s_waitcnt vmcnt(2)
	ds_write_b64 v109, v[110:111]
.LBB53_301:
	s_or_b64 exec, exec, s[4:5]
	s_waitcnt lgkmcnt(0)
	; wave barrier
	buffer_load_dword v181, off, s[0:3], 0 offset:156
	buffer_load_dword v182, off, s[0:3], 0 offset:164
	;; [unrolled: 1-line block ×56, first 2 shown]
	v_mov_b32_e32 v110, 0
	ds_read2_b64 v[111:114], v110 offset0:73 offset1:74
	ds_read2_b64 v[115:118], v110 offset0:75 offset1:76
	;; [unrolled: 1-line block ×6, first 2 shown]
	buffer_load_dword v237, off, s[0:3], 0 offset:368
	buffer_load_dword v238, off, s[0:3], 0 offset:372
	;; [unrolled: 1-line block ×12, first 2 shown]
	v_cmp_lt_u32_e32 vcc, 17, v0
	s_waitcnt vmcnt(62) lgkmcnt(5)
	v_mul_f32_e32 v135, v111, v181
	v_mul_f32_e32 v136, v113, v182
	s_waitcnt lgkmcnt(4)
	v_mul_f32_e32 v137, v115, v183
	v_mul_f32_e32 v138, v117, v184
	s_waitcnt lgkmcnt(3)
	v_mul_f32_e32 v139, v119, v185
	v_mul_f32_e32 v140, v121, v186
	s_waitcnt vmcnt(61) lgkmcnt(2)
	v_mul_f32_e32 v141, v123, v187
	s_waitcnt vmcnt(60)
	v_mul_f32_e32 v142, v125, v188
	s_waitcnt vmcnt(59) lgkmcnt(1)
	v_mul_f32_e32 v143, v127, v189
	s_waitcnt vmcnt(58)
	v_fmac_f32_e32 v135, v112, v190
	s_waitcnt vmcnt(57)
	v_fmac_f32_e32 v136, v114, v191
	v_add_f32_e32 v135, 0, v135
	s_waitcnt vmcnt(56)
	v_fmac_f32_e32 v137, v116, v192
	v_add_f32_e32 v135, v135, v136
	;; [unrolled: 3-line block ×7, first 2 shown]
	v_add_f32_e32 v135, v135, v142
	s_waitcnt vmcnt(50)
	v_fmac_f32_e32 v143, v128, v198
	s_waitcnt vmcnt(49)
	v_mul_f32_e32 v136, v129, v199
	v_add_f32_e32 v135, v135, v143
	s_waitcnt vmcnt(48)
	v_fmac_f32_e32 v136, v130, v200
	v_add_f32_e32 v135, v135, v136
	s_waitcnt vmcnt(47) lgkmcnt(0)
	v_mul_f32_e32 v136, v131, v201
	s_waitcnt vmcnt(44)
	v_fmac_f32_e32 v136, v132, v204
	v_add_f32_e32 v139, v135, v136
	ds_read2_b64 v[135:138], v110 offset0:85 offset1:86
	buffer_load_dword v249, off, s[0:3], 0 offset:420
	buffer_load_dword v250, off, s[0:3], 0 offset:416
	;; [unrolled: 1-line block ×4, first 2 shown]
	v_mul_f32_e32 v112, v112, v181
	v_fma_f32 v111, v111, v190, -v112
	v_mul_f32_e32 v112, v114, v182
	v_add_f32_e32 v111, 0, v111
	v_fma_f32 v112, v113, v191, -v112
	v_add_f32_e32 v111, v111, v112
	v_mul_f32_e32 v112, v116, v183
	v_fma_f32 v112, v115, v192, -v112
	s_waitcnt vmcnt(46)
	v_mul_f32_e32 v140, v133, v206
	v_add_f32_e32 v111, v111, v112
	v_mul_f32_e32 v112, v118, v184
	v_fmac_f32_e32 v140, v134, v205
	v_fma_f32 v112, v117, v193, -v112
	v_add_f32_e32 v143, v139, v140
	ds_read2_b64 v[139:142], v110 offset0:87 offset1:88
	v_add_f32_e32 v111, v111, v112
	v_mul_f32_e32 v112, v120, v185
	s_waitcnt vmcnt(44) lgkmcnt(1)
	v_mul_f32_e32 v144, v135, v208
	v_fma_f32 v112, v119, v194, -v112
	v_fmac_f32_e32 v144, v136, v207
	v_add_f32_e32 v111, v111, v112
	v_mul_f32_e32 v112, v122, v186
	v_add_f32_e32 v143, v143, v144
	s_waitcnt vmcnt(42)
	v_mul_f32_e32 v144, v137, v210
	v_fma_f32 v112, v121, v195, -v112
	v_fmac_f32_e32 v144, v138, v209
	v_add_f32_e32 v111, v111, v112
	v_mul_f32_e32 v112, v124, v187
	v_add_f32_e32 v143, v143, v144
	s_waitcnt vmcnt(40) lgkmcnt(0)
	v_mul_f32_e32 v144, v139, v212
	v_fma_f32 v112, v123, v196, -v112
	v_fmac_f32_e32 v144, v140, v211
	v_add_f32_e32 v111, v111, v112
	v_mul_f32_e32 v112, v126, v188
	v_add_f32_e32 v147, v143, v144
	ds_read2_b64 v[143:146], v110 offset0:89 offset1:90
	v_fma_f32 v112, v125, v197, -v112
	v_add_f32_e32 v111, v111, v112
	v_mul_f32_e32 v112, v128, v189
	s_waitcnt vmcnt(38)
	v_mul_f32_e32 v148, v141, v214
	v_fma_f32 v112, v127, v198, -v112
	v_fmac_f32_e32 v148, v142, v213
	v_add_f32_e32 v111, v111, v112
	v_mul_f32_e32 v112, v130, v199
	v_add_f32_e32 v151, v147, v148
	ds_read2_b64 v[147:150], v110 offset0:91 offset1:92
	v_fma_f32 v112, v129, v200, -v112
	s_waitcnt vmcnt(36) lgkmcnt(1)
	v_mul_f32_e32 v152, v143, v216
	v_add_f32_e32 v111, v111, v112
	v_mul_f32_e32 v112, v132, v201
	v_fmac_f32_e32 v152, v144, v215
	v_fma_f32 v112, v131, v204, -v112
	v_add_f32_e32 v151, v151, v152
	s_waitcnt vmcnt(34)
	v_mul_f32_e32 v152, v145, v218
	v_add_f32_e32 v111, v111, v112
	v_mul_f32_e32 v112, v134, v206
	v_fmac_f32_e32 v152, v146, v217
	v_fma_f32 v112, v133, v205, -v112
	v_add_f32_e32 v151, v151, v152
	s_waitcnt vmcnt(32) lgkmcnt(0)
	v_mul_f32_e32 v152, v147, v220
	v_add_f32_e32 v111, v111, v112
	v_mul_f32_e32 v112, v136, v208
	v_fmac_f32_e32 v152, v148, v219
	v_fma_f32 v112, v135, v207, -v112
	v_add_f32_e32 v155, v151, v152
	ds_read2_b64 v[151:154], v110 offset0:93 offset1:94
	v_add_f32_e32 v111, v111, v112
	v_mul_f32_e32 v112, v138, v210
	v_fma_f32 v112, v137, v209, -v112
	s_waitcnt vmcnt(30)
	v_mul_f32_e32 v156, v149, v222
	v_add_f32_e32 v111, v111, v112
	v_mul_f32_e32 v112, v140, v212
	v_fmac_f32_e32 v156, v150, v221
	v_fma_f32 v112, v139, v211, -v112
	v_add_f32_e32 v159, v155, v156
	ds_read2_b64 v[155:158], v110 offset0:95 offset1:96
	v_add_f32_e32 v111, v111, v112
	v_mul_f32_e32 v112, v142, v214
	s_waitcnt vmcnt(28) lgkmcnt(1)
	v_mul_f32_e32 v160, v151, v224
	v_fma_f32 v112, v141, v213, -v112
	v_fmac_f32_e32 v160, v152, v223
	v_add_f32_e32 v111, v111, v112
	v_mul_f32_e32 v112, v144, v216
	v_add_f32_e32 v159, v159, v160
	s_waitcnt vmcnt(26)
	v_mul_f32_e32 v160, v153, v226
	v_fma_f32 v112, v143, v215, -v112
	v_fmac_f32_e32 v160, v154, v225
	v_add_f32_e32 v111, v111, v112
	v_mul_f32_e32 v112, v146, v218
	v_add_f32_e32 v159, v159, v160
	s_waitcnt vmcnt(24) lgkmcnt(0)
	v_mul_f32_e32 v160, v155, v228
	v_fma_f32 v112, v145, v217, -v112
	v_fmac_f32_e32 v160, v156, v227
	v_add_f32_e32 v111, v111, v112
	v_mul_f32_e32 v112, v148, v220
	v_add_f32_e32 v163, v159, v160
	ds_read2_b64 v[159:162], v110 offset0:97 offset1:98
	v_fma_f32 v112, v147, v219, -v112
	v_add_f32_e32 v111, v111, v112
	v_mul_f32_e32 v112, v150, v222
	s_waitcnt vmcnt(22)
	v_mul_f32_e32 v164, v157, v230
	v_fma_f32 v112, v149, v221, -v112
	v_fmac_f32_e32 v164, v158, v229
	v_add_f32_e32 v111, v111, v112
	v_mul_f32_e32 v112, v152, v224
	v_add_f32_e32 v167, v163, v164
	ds_read2_b64 v[163:166], v110 offset0:99 offset1:100
	v_fma_f32 v112, v151, v223, -v112
	s_waitcnt vmcnt(20) lgkmcnt(1)
	v_mul_f32_e32 v168, v159, v232
	v_add_f32_e32 v111, v111, v112
	v_mul_f32_e32 v112, v154, v226
	v_fmac_f32_e32 v168, v160, v231
	v_fma_f32 v112, v153, v225, -v112
	v_add_f32_e32 v167, v167, v168
	s_waitcnt vmcnt(18)
	v_mul_f32_e32 v168, v161, v234
	v_add_f32_e32 v111, v111, v112
	v_mul_f32_e32 v112, v156, v228
	v_fmac_f32_e32 v168, v162, v233
	v_fma_f32 v112, v155, v227, -v112
	v_add_f32_e32 v167, v167, v168
	s_waitcnt vmcnt(16) lgkmcnt(0)
	v_mul_f32_e32 v168, v163, v236
	v_add_f32_e32 v111, v111, v112
	v_mul_f32_e32 v112, v158, v230
	v_fmac_f32_e32 v168, v164, v235
	v_fma_f32 v112, v157, v229, -v112
	v_add_f32_e32 v171, v167, v168
	ds_read2_b64 v[167:170], v110 offset0:101 offset1:102
	v_add_f32_e32 v111, v111, v112
	v_mul_f32_e32 v112, v160, v232
	v_fma_f32 v112, v159, v231, -v112
	s_waitcnt vmcnt(14)
	v_mul_f32_e32 v172, v165, v238
	v_add_f32_e32 v111, v111, v112
	v_mul_f32_e32 v112, v162, v234
	v_fmac_f32_e32 v172, v166, v237
	v_fma_f32 v112, v161, v233, -v112
	v_add_f32_e32 v175, v171, v172
	ds_read2_b64 v[171:174], v110 offset0:103 offset1:104
	v_add_f32_e32 v111, v111, v112
	v_mul_f32_e32 v112, v164, v236
	s_waitcnt vmcnt(12) lgkmcnt(1)
	v_mul_f32_e32 v176, v167, v240
	v_fma_f32 v112, v163, v235, -v112
	v_fmac_f32_e32 v176, v168, v239
	v_add_f32_e32 v111, v111, v112
	v_mul_f32_e32 v112, v166, v238
	v_add_f32_e32 v175, v175, v176
	s_waitcnt vmcnt(11)
	v_mul_f32_e32 v176, v169, v241
	v_fma_f32 v112, v165, v237, -v112
	s_waitcnt vmcnt(10)
	v_fmac_f32_e32 v176, v170, v242
	v_add_f32_e32 v111, v111, v112
	v_mul_f32_e32 v112, v168, v240
	v_add_f32_e32 v175, v175, v176
	s_waitcnt vmcnt(8) lgkmcnt(0)
	v_mul_f32_e32 v176, v171, v244
	v_fma_f32 v112, v167, v239, -v112
	v_fmac_f32_e32 v176, v172, v243
	v_add_f32_e32 v111, v111, v112
	v_mul_f32_e32 v112, v170, v241
	v_add_f32_e32 v179, v175, v176
	ds_read2_b64 v[175:178], v110 offset0:105 offset1:106
	v_fma_f32 v112, v169, v242, -v112
	v_add_f32_e32 v111, v111, v112
	v_mul_f32_e32 v112, v172, v244
	s_waitcnt vmcnt(6)
	v_mul_f32_e32 v180, v173, v246
	v_fma_f32 v112, v171, v243, -v112
	v_fmac_f32_e32 v180, v174, v245
	v_add_f32_e32 v111, v111, v112
	v_mul_f32_e32 v112, v174, v246
	v_add_f32_e32 v253, v179, v180
	ds_read_b64 v[179:180], v110 offset:856
	v_fma_f32 v112, v173, v245, -v112
	v_add_f32_e32 v111, v111, v112
	s_waitcnt vmcnt(4) lgkmcnt(1)
	v_mul_f32_e32 v112, v176, v248
	v_mul_f32_e32 v254, v175, v248
	v_fma_f32 v112, v175, v247, -v112
	v_fmac_f32_e32 v254, v176, v247
	v_add_f32_e32 v111, v111, v112
	s_waitcnt vmcnt(3)
	v_mul_f32_e32 v112, v178, v249
	v_add_f32_e32 v253, v253, v254
	v_mul_f32_e32 v254, v177, v249
	s_waitcnt vmcnt(2)
	v_fma_f32 v112, v177, v250, -v112
	v_fmac_f32_e32 v254, v178, v250
	v_add_f32_e32 v111, v111, v112
	s_waitcnt vmcnt(0) lgkmcnt(0)
	v_mul_f32_e32 v112, v180, v252
	v_add_f32_e32 v253, v253, v254
	v_mul_f32_e32 v254, v179, v252
	v_fma_f32 v112, v179, v251, -v112
	v_fmac_f32_e32 v254, v180, v251
	v_add_f32_e32 v111, v111, v112
	v_add_f32_e32 v253, v253, v254
	v_sub_f32_e32 v111, v202, v111
	v_sub_f32_e32 v112, v203, v253
	buffer_store_dword v111, off, s[0:3], 0 offset:144
	buffer_store_dword v112, off, s[0:3], 0 offset:148
	s_and_saveexec_b64 s[4:5], vcc
	s_cbranch_execz .LBB53_303
; %bb.302:
	buffer_load_dword v111, off, s[0:3], 0 offset:136
	buffer_load_dword v112, off, s[0:3], 0 offset:140
	s_waitcnt vmcnt(0)
	ds_write_b64 v109, v[111:112]
	buffer_store_dword v110, off, s[0:3], 0 offset:136
	buffer_store_dword v110, off, s[0:3], 0 offset:140
.LBB53_303:
	s_or_b64 exec, exec, s[4:5]
	s_waitcnt lgkmcnt(0)
	; wave barrier
	buffer_load_dword v183, off, s[0:3], 0 offset:148
	buffer_load_dword v184, off, s[0:3], 0 offset:156
	;; [unrolled: 1-line block ×26, first 2 shown]
	ds_read_b128 v[111:114], v110 offset:576
	ds_read_b128 v[115:118], v110 offset:592
	;; [unrolled: 1-line block ×6, first 2 shown]
	buffer_load_dword v209, off, s[0:3], 0 offset:240
	buffer_load_dword v210, off, s[0:3], 0 offset:244
	;; [unrolled: 1-line block ×46, first 2 shown]
	v_cmp_lt_u32_e32 vcc, 16, v0
	s_waitcnt vmcnt(62) lgkmcnt(5)
	v_mul_f32_e32 v135, v111, v183
	v_mul_f32_e32 v136, v113, v184
	s_waitcnt lgkmcnt(4)
	v_mul_f32_e32 v137, v115, v185
	v_mul_f32_e32 v138, v117, v186
	s_waitcnt lgkmcnt(3)
	;; [unrolled: 3-line block ×4, first 2 shown]
	v_mul_f32_e32 v143, v127, v191
	v_fmac_f32_e32 v137, v116, v192
	s_waitcnt vmcnt(61)
	v_fmac_f32_e32 v136, v114, v193
	s_waitcnt vmcnt(60)
	v_fmac_f32_e32 v135, v112, v194
	v_add_f32_e32 v135, 0, v135
	v_add_f32_e32 v135, v135, v136
	;; [unrolled: 1-line block ×3, first 2 shown]
	s_waitcnt vmcnt(56)
	v_fmac_f32_e32 v138, v118, v198
	v_fmac_f32_e32 v139, v120, v197
	v_add_f32_e32 v135, v135, v138
	v_fmac_f32_e32 v140, v122, v196
	v_add_f32_e32 v135, v135, v139
	;; [unrolled: 2-line block ×3, first 2 shown]
	s_waitcnt vmcnt(52)
	v_fmac_f32_e32 v142, v126, v202
	v_add_f32_e32 v135, v135, v141
	v_fmac_f32_e32 v143, v128, v201
	v_add_f32_e32 v135, v135, v142
	s_waitcnt vmcnt(51)
	v_mul_f32_e32 v136, v129, v203
	v_add_f32_e32 v135, v135, v143
	v_fmac_f32_e32 v136, v130, v200
	v_add_f32_e32 v135, v135, v136
	s_waitcnt vmcnt(50) lgkmcnt(0)
	v_mul_f32_e32 v136, v131, v204
	v_fmac_f32_e32 v136, v132, v199
	s_waitcnt vmcnt(46)
	v_mul_f32_e32 v140, v133, v208
	v_add_f32_e32 v139, v135, v136
	v_fmac_f32_e32 v140, v134, v207
	ds_read_b128 v[135:138], v110 offset:672
	v_add_f32_e32 v143, v139, v140
	ds_read_b128 v[139:142], v110 offset:688
	buffer_load_dword v255, off, s[0:3], 0 offset:424
	buffer_load_dword v1, off, s[0:3], 0 offset:428
	s_waitcnt vmcnt(46) lgkmcnt(1)
	v_mul_f32_e32 v2, v135, v210
	v_fmac_f32_e32 v2, v136, v209
	v_add_f32_e32 v2, v143, v2
	s_waitcnt vmcnt(44)
	v_mul_f32_e32 v143, v137, v212
	v_fmac_f32_e32 v143, v138, v211
	v_add_f32_e32 v2, v2, v143
	s_waitcnt vmcnt(42) lgkmcnt(0)
	v_mul_f32_e32 v143, v139, v214
	v_fmac_f32_e32 v143, v140, v213
	v_add_f32_e32 v2, v2, v143
	ds_read_b128 v[143:146], v110 offset:704
	s_waitcnt vmcnt(40)
	v_mul_f32_e32 v147, v141, v216
	v_fmac_f32_e32 v147, v142, v215
	v_add_f32_e32 v2, v2, v147
	ds_read_b128 v[147:150], v110 offset:720
	s_waitcnt vmcnt(38) lgkmcnt(1)
	v_mul_f32_e32 v151, v143, v218
	v_fmac_f32_e32 v151, v144, v217
	v_add_f32_e32 v2, v2, v151
	s_waitcnt vmcnt(36)
	v_mul_f32_e32 v151, v145, v220
	v_fmac_f32_e32 v151, v146, v219
	v_add_f32_e32 v2, v2, v151
	s_waitcnt vmcnt(34) lgkmcnt(0)
	v_mul_f32_e32 v151, v147, v222
	v_fmac_f32_e32 v151, v148, v221
	v_add_f32_e32 v2, v2, v151
	ds_read_b128 v[151:154], v110 offset:736
	s_waitcnt vmcnt(32)
	v_mul_f32_e32 v155, v149, v224
	v_fmac_f32_e32 v155, v150, v223
	v_add_f32_e32 v2, v2, v155
	ds_read_b128 v[155:158], v110 offset:752
	;; [unrolled: 18-line block ×4, first 2 shown]
	s_waitcnt vmcnt(14) lgkmcnt(1)
	v_mul_f32_e32 v175, v167, v242
	v_fmac_f32_e32 v175, v168, v241
	v_add_f32_e32 v2, v2, v175
	s_waitcnt vmcnt(13)
	v_mul_f32_e32 v175, v169, v243
	s_waitcnt vmcnt(10)
	v_fmac_f32_e32 v175, v170, v246
	v_add_f32_e32 v2, v2, v175
	s_waitcnt lgkmcnt(0)
	v_mul_f32_e32 v175, v171, v245
	v_fmac_f32_e32 v175, v172, v244
	v_add_f32_e32 v2, v2, v175
	ds_read_b128 v[175:178], v110 offset:832
	s_waitcnt vmcnt(8)
	v_mul_f32_e32 v179, v173, v248
	v_fmac_f32_e32 v179, v174, v247
	v_add_f32_e32 v2, v2, v179
	ds_read_b128 v[179:182], v110 offset:848
	s_waitcnt vmcnt(6) lgkmcnt(1)
	v_mul_f32_e32 v110, v175, v250
	v_fmac_f32_e32 v110, v176, v249
	v_add_f32_e32 v2, v2, v110
	s_waitcnt vmcnt(5)
	v_mul_f32_e32 v110, v177, v251
	s_waitcnt vmcnt(2)
	v_fmac_f32_e32 v110, v178, v254
	v_add_f32_e32 v2, v2, v110
	s_waitcnt lgkmcnt(0)
	v_mul_f32_e32 v110, v179, v253
	v_fmac_f32_e32 v110, v180, v252
	v_add_f32_e32 v2, v2, v110
	s_waitcnt vmcnt(0)
	v_mul_f32_e32 v110, v181, v1
	v_fmac_f32_e32 v110, v182, v255
	v_add_f32_e32 v2, v2, v110
	v_mul_f32_e32 v110, v112, v183
	v_fma_f32 v110, v111, v194, -v110
	v_mul_f32_e32 v111, v114, v184
	v_add_f32_e32 v110, 0, v110
	v_fma_f32 v111, v113, v193, -v111
	v_add_f32_e32 v110, v110, v111
	v_mul_f32_e32 v111, v116, v185
	v_fma_f32 v111, v115, v192, -v111
	v_add_f32_e32 v110, v110, v111
	v_mul_f32_e32 v111, v118, v186
	;; [unrolled: 3-line block ×33, first 2 shown]
	v_fma_f32 v111, v179, v252, -v111
	v_mul_f32_e32 v1, v182, v1
	v_add_f32_e32 v110, v110, v111
	v_fma_f32 v1, v181, v255, -v1
	v_add_f32_e32 v1, v110, v1
	v_sub_f32_e32 v1, v205, v1
	v_sub_f32_e32 v2, v206, v2
	buffer_store_dword v1, off, s[0:3], 0 offset:136
	buffer_store_dword v2, off, s[0:3], 0 offset:140
	s_and_saveexec_b64 s[4:5], vcc
	s_cbranch_execz .LBB53_305
; %bb.304:
	buffer_load_dword v110, off, s[0:3], 0 offset:128
	buffer_load_dword v111, off, s[0:3], 0 offset:132
	v_mov_b32_e32 v1, 0
	buffer_store_dword v1, off, s[0:3], 0 offset:128
	buffer_store_dword v1, off, s[0:3], 0 offset:132
	s_waitcnt vmcnt(2)
	ds_write_b64 v109, v[110:111]
.LBB53_305:
	s_or_b64 exec, exec, s[4:5]
	s_waitcnt lgkmcnt(0)
	; wave barrier
	buffer_load_dword v1, off, s[0:3], 0 offset:140
	buffer_load_dword v2, off, s[0:3], 0 offset:148
	buffer_load_dword v185, off, s[0:3], 0 offset:156
	buffer_load_dword v186, off, s[0:3], 0 offset:164
	buffer_load_dword v187, off, s[0:3], 0 offset:172
	buffer_load_dword v188, off, s[0:3], 0 offset:180
	buffer_load_dword v189, off, s[0:3], 0 offset:188
	buffer_load_dword v190, off, s[0:3], 0 offset:196
	buffer_load_dword v191, off, s[0:3], 0 offset:204
	buffer_load_dword v192, off, s[0:3], 0 offset:152
	buffer_load_dword v193, off, s[0:3], 0 offset:144
	buffer_load_dword v194, off, s[0:3], 0 offset:136
	buffer_load_dword v195, off, s[0:3], 0 offset:184
	buffer_load_dword v196, off, s[0:3], 0 offset:176
	buffer_load_dword v197, off, s[0:3], 0 offset:168
	buffer_load_dword v198, off, s[0:3], 0 offset:160
	buffer_load_dword v199, off, s[0:3], 0 offset:216
	buffer_load_dword v200, off, s[0:3], 0 offset:208
	buffer_load_dword v201, off, s[0:3], 0 offset:200
	buffer_load_dword v202, off, s[0:3], 0 offset:192
	buffer_load_dword v203, off, s[0:3], 0 offset:212
	buffer_load_dword v204, off, s[0:3], 0 offset:220
	buffer_load_dword v205, off, s[0:3], 0 offset:228
	buffer_load_dword v206, off, s[0:3], 0 offset:232
	buffer_load_dword v207, off, s[0:3], 0 offset:236
	buffer_load_dword v208, off, s[0:3], 0 offset:240
	buffer_load_dword v209, off, s[0:3], 0 offset:244
	buffer_load_dword v210, off, s[0:3], 0 offset:248
	buffer_load_dword v211, off, s[0:3], 0 offset:252
	buffer_load_dword v212, off, s[0:3], 0 offset:224
	buffer_load_dword v213, off, s[0:3], 0 offset:128
	buffer_load_dword v214, off, s[0:3], 0 offset:132
	buffer_load_dword v215, off, s[0:3], 0 offset:256
	buffer_load_dword v216, off, s[0:3], 0 offset:260
	buffer_load_dword v217, off, s[0:3], 0 offset:264
	buffer_load_dword v218, off, s[0:3], 0 offset:268
	buffer_load_dword v219, off, s[0:3], 0 offset:272
	buffer_load_dword v220, off, s[0:3], 0 offset:276
	buffer_load_dword v221, off, s[0:3], 0 offset:280
	buffer_load_dword v222, off, s[0:3], 0 offset:284
	buffer_load_dword v223, off, s[0:3], 0 offset:288
	buffer_load_dword v224, off, s[0:3], 0 offset:292
	buffer_load_dword v225, off, s[0:3], 0 offset:296
	buffer_load_dword v226, off, s[0:3], 0 offset:300
	buffer_load_dword v227, off, s[0:3], 0 offset:304
	buffer_load_dword v228, off, s[0:3], 0 offset:308
	buffer_load_dword v229, off, s[0:3], 0 offset:312
	buffer_load_dword v230, off, s[0:3], 0 offset:316
	buffer_load_dword v231, off, s[0:3], 0 offset:320
	buffer_load_dword v232, off, s[0:3], 0 offset:324
	v_mov_b32_e32 v110, 0
	ds_read2_b64 v[111:114], v110 offset0:71 offset1:72
	ds_read2_b64 v[115:118], v110 offset0:73 offset1:74
	;; [unrolled: 1-line block ×6, first 2 shown]
	buffer_load_dword v233, off, s[0:3], 0 offset:328
	buffer_load_dword v234, off, s[0:3], 0 offset:332
	;; [unrolled: 1-line block ×16, first 2 shown]
	v_cmp_lt_u32_e32 vcc, 15, v0
	s_waitcnt vmcnt(62) lgkmcnt(5)
	v_mul_f32_e32 v135, v111, v1
	v_mul_f32_e32 v136, v113, v2
	s_waitcnt lgkmcnt(4)
	v_mul_f32_e32 v137, v115, v185
	v_mul_f32_e32 v138, v117, v186
	s_waitcnt vmcnt(61) lgkmcnt(3)
	v_mul_f32_e32 v139, v119, v187
	s_waitcnt vmcnt(60)
	v_mul_f32_e32 v140, v121, v188
	s_waitcnt vmcnt(59) lgkmcnt(2)
	v_mul_f32_e32 v141, v123, v189
	s_waitcnt vmcnt(58)
	;; [unrolled: 4-line block ×3, first 2 shown]
	v_fmac_f32_e32 v137, v116, v192
	s_waitcnt vmcnt(55)
	v_fmac_f32_e32 v136, v114, v193
	s_waitcnt vmcnt(54)
	v_fmac_f32_e32 v135, v112, v194
	v_add_f32_e32 v135, 0, v135
	v_add_f32_e32 v135, v135, v136
	;; [unrolled: 1-line block ×3, first 2 shown]
	s_waitcnt vmcnt(50)
	v_fmac_f32_e32 v138, v118, v198
	v_fmac_f32_e32 v139, v120, v197
	v_add_f32_e32 v135, v135, v138
	v_fmac_f32_e32 v140, v122, v196
	v_add_f32_e32 v135, v135, v139
	;; [unrolled: 2-line block ×3, first 2 shown]
	s_waitcnt vmcnt(46)
	v_fmac_f32_e32 v142, v126, v202
	v_add_f32_e32 v135, v135, v141
	v_fmac_f32_e32 v143, v128, v201
	v_add_f32_e32 v135, v135, v142
	s_waitcnt vmcnt(45)
	v_mul_f32_e32 v136, v129, v203
	v_add_f32_e32 v135, v135, v143
	v_fmac_f32_e32 v136, v130, v200
	v_add_f32_e32 v135, v135, v136
	s_waitcnt vmcnt(44) lgkmcnt(0)
	v_mul_f32_e32 v136, v131, v204
	v_fmac_f32_e32 v136, v132, v199
	v_add_f32_e32 v139, v135, v136
	ds_read2_b64 v[135:138], v110 offset0:83 offset1:84
	buffer_load_dword v249, off, s[0:3], 0 offset:392
	buffer_load_dword v250, off, s[0:3], 0 offset:396
	;; [unrolled: 1-line block ×6, first 2 shown]
	s_waitcnt vmcnt(49)
	v_mul_f32_e32 v140, v133, v205
	s_waitcnt vmcnt(42)
	v_fmac_f32_e32 v140, v134, v212
	v_add_f32_e32 v143, v139, v140
	ds_read2_b64 v[139:142], v110 offset0:85 offset1:86
	buffer_load_dword v255, off, s[0:3], 0 offset:420
	buffer_load_dword v3, off, s[0:3], 0 offset:424
	;; [unrolled: 1-line block ×4, first 2 shown]
	v_mul_f32_e32 v1, v112, v1
	v_fma_f32 v1, v111, v194, -v1
	v_mul_f32_e32 v2, v114, v2
	v_add_f32_e32 v1, 0, v1
	v_fma_f32 v2, v113, v193, -v2
	v_add_f32_e32 v1, v1, v2
	v_mul_f32_e32 v2, v116, v185
	v_fma_f32 v2, v115, v192, -v2
	v_add_f32_e32 v1, v1, v2
	v_mul_f32_e32 v2, v118, v186
	v_fma_f32 v2, v117, v198, -v2
	s_waitcnt lgkmcnt(1)
	v_mul_f32_e32 v144, v135, v207
	v_add_f32_e32 v1, v1, v2
	v_mul_f32_e32 v2, v120, v187
	v_fmac_f32_e32 v144, v136, v206
	v_fma_f32 v2, v119, v197, -v2
	v_add_f32_e32 v6, v143, v144
	v_mul_f32_e32 v143, v137, v209
	v_add_f32_e32 v1, v1, v2
	v_mul_f32_e32 v2, v122, v188
	v_fmac_f32_e32 v143, v138, v208
	v_fma_f32 v2, v121, v196, -v2
	v_add_f32_e32 v6, v6, v143
	s_waitcnt lgkmcnt(0)
	v_mul_f32_e32 v143, v139, v211
	v_add_f32_e32 v1, v1, v2
	v_mul_f32_e32 v2, v124, v189
	v_fmac_f32_e32 v143, v140, v210
	v_fma_f32 v2, v123, v195, -v2
	v_add_f32_e32 v6, v6, v143
	ds_read2_b64 v[143:146], v110 offset0:87 offset1:88
	v_add_f32_e32 v1, v1, v2
	v_mul_f32_e32 v2, v126, v190
	v_fma_f32 v2, v125, v202, -v2
	s_waitcnt vmcnt(42)
	v_mul_f32_e32 v147, v141, v216
	v_add_f32_e32 v1, v1, v2
	v_mul_f32_e32 v2, v128, v191
	v_fmac_f32_e32 v147, v142, v215
	v_fma_f32 v2, v127, v201, -v2
	v_add_f32_e32 v6, v6, v147
	ds_read2_b64 v[147:150], v110 offset0:89 offset1:90
	v_add_f32_e32 v1, v1, v2
	v_mul_f32_e32 v2, v130, v203
	s_waitcnt vmcnt(40) lgkmcnt(1)
	v_mul_f32_e32 v151, v143, v218
	v_fma_f32 v2, v129, v200, -v2
	v_fmac_f32_e32 v151, v144, v217
	v_add_f32_e32 v1, v1, v2
	v_mul_f32_e32 v2, v132, v204
	v_add_f32_e32 v6, v6, v151
	s_waitcnt vmcnt(38)
	v_mul_f32_e32 v151, v145, v220
	v_fma_f32 v2, v131, v199, -v2
	v_fmac_f32_e32 v151, v146, v219
	v_add_f32_e32 v1, v1, v2
	v_mul_f32_e32 v2, v134, v205
	v_add_f32_e32 v6, v6, v151
	s_waitcnt vmcnt(36) lgkmcnt(0)
	v_mul_f32_e32 v151, v147, v222
	v_fma_f32 v2, v133, v212, -v2
	v_fmac_f32_e32 v151, v148, v221
	v_add_f32_e32 v1, v1, v2
	v_mul_f32_e32 v2, v136, v207
	v_add_f32_e32 v6, v6, v151
	ds_read2_b64 v[151:154], v110 offset0:91 offset1:92
	v_fma_f32 v2, v135, v206, -v2
	v_add_f32_e32 v1, v1, v2
	v_mul_f32_e32 v2, v138, v209
	s_waitcnt vmcnt(34)
	v_mul_f32_e32 v155, v149, v224
	v_fma_f32 v2, v137, v208, -v2
	v_fmac_f32_e32 v155, v150, v223
	v_add_f32_e32 v1, v1, v2
	v_mul_f32_e32 v2, v140, v211
	v_add_f32_e32 v6, v6, v155
	ds_read2_b64 v[155:158], v110 offset0:93 offset1:94
	v_fma_f32 v2, v139, v210, -v2
	s_waitcnt vmcnt(32) lgkmcnt(1)
	v_mul_f32_e32 v159, v151, v226
	v_add_f32_e32 v1, v1, v2
	v_mul_f32_e32 v2, v142, v216
	v_fmac_f32_e32 v159, v152, v225
	v_fma_f32 v2, v141, v215, -v2
	v_add_f32_e32 v6, v6, v159
	s_waitcnt vmcnt(30)
	v_mul_f32_e32 v159, v153, v228
	v_add_f32_e32 v1, v1, v2
	v_mul_f32_e32 v2, v144, v218
	v_fmac_f32_e32 v159, v154, v227
	v_fma_f32 v2, v143, v217, -v2
	v_add_f32_e32 v6, v6, v159
	s_waitcnt vmcnt(28) lgkmcnt(0)
	v_mul_f32_e32 v159, v155, v230
	v_add_f32_e32 v1, v1, v2
	v_mul_f32_e32 v2, v146, v220
	v_fmac_f32_e32 v159, v156, v229
	v_fma_f32 v2, v145, v219, -v2
	v_add_f32_e32 v6, v6, v159
	ds_read2_b64 v[159:162], v110 offset0:95 offset1:96
	v_add_f32_e32 v1, v1, v2
	v_mul_f32_e32 v2, v148, v222
	v_fma_f32 v2, v147, v221, -v2
	s_waitcnt vmcnt(26)
	v_mul_f32_e32 v163, v157, v232
	v_add_f32_e32 v1, v1, v2
	v_mul_f32_e32 v2, v150, v224
	v_fmac_f32_e32 v163, v158, v231
	v_fma_f32 v2, v149, v223, -v2
	v_add_f32_e32 v6, v6, v163
	ds_read2_b64 v[163:166], v110 offset0:97 offset1:98
	v_add_f32_e32 v1, v1, v2
	v_mul_f32_e32 v2, v152, v226
	s_waitcnt vmcnt(24) lgkmcnt(1)
	v_mul_f32_e32 v167, v159, v234
	v_fma_f32 v2, v151, v225, -v2
	v_fmac_f32_e32 v167, v160, v233
	v_add_f32_e32 v1, v1, v2
	v_mul_f32_e32 v2, v154, v228
	v_add_f32_e32 v6, v6, v167
	s_waitcnt vmcnt(23)
	v_mul_f32_e32 v167, v161, v235
	v_fma_f32 v2, v153, v227, -v2
	s_waitcnt vmcnt(20)
	v_fmac_f32_e32 v167, v162, v238
	v_add_f32_e32 v1, v1, v2
	v_mul_f32_e32 v2, v156, v230
	v_add_f32_e32 v6, v6, v167
	s_waitcnt lgkmcnt(0)
	v_mul_f32_e32 v167, v163, v237
	v_fma_f32 v2, v155, v229, -v2
	v_fmac_f32_e32 v167, v164, v236
	v_add_f32_e32 v1, v1, v2
	v_mul_f32_e32 v2, v158, v232
	v_add_f32_e32 v6, v6, v167
	ds_read2_b64 v[167:170], v110 offset0:99 offset1:100
	v_fma_f32 v2, v157, v231, -v2
	v_add_f32_e32 v1, v1, v2
	v_mul_f32_e32 v2, v160, v234
	s_waitcnt vmcnt(18)
	v_mul_f32_e32 v171, v165, v240
	v_fma_f32 v2, v159, v233, -v2
	v_fmac_f32_e32 v171, v166, v239
	v_add_f32_e32 v1, v1, v2
	v_mul_f32_e32 v2, v162, v235
	v_add_f32_e32 v6, v6, v171
	ds_read2_b64 v[171:174], v110 offset0:101 offset1:102
	v_fma_f32 v2, v161, v238, -v2
	s_waitcnt vmcnt(16) lgkmcnt(1)
	v_mul_f32_e32 v175, v167, v242
	v_add_f32_e32 v1, v1, v2
	v_mul_f32_e32 v2, v164, v237
	v_fmac_f32_e32 v175, v168, v241
	v_fma_f32 v2, v163, v236, -v2
	v_add_f32_e32 v6, v6, v175
	s_waitcnt vmcnt(15)
	v_mul_f32_e32 v175, v169, v243
	v_add_f32_e32 v1, v1, v2
	v_mul_f32_e32 v2, v166, v240
	s_waitcnt vmcnt(12)
	v_fmac_f32_e32 v175, v170, v246
	v_fma_f32 v2, v165, v239, -v2
	v_add_f32_e32 v6, v6, v175
	s_waitcnt lgkmcnt(0)
	v_mul_f32_e32 v175, v171, v245
	v_add_f32_e32 v1, v1, v2
	v_mul_f32_e32 v2, v168, v242
	v_fmac_f32_e32 v175, v172, v244
	v_fma_f32 v2, v167, v241, -v2
	v_add_f32_e32 v6, v6, v175
	ds_read2_b64 v[175:178], v110 offset0:103 offset1:104
	v_add_f32_e32 v1, v1, v2
	v_mul_f32_e32 v2, v170, v243
	v_fma_f32 v2, v169, v246, -v2
	v_add_f32_e32 v1, v1, v2
	v_mul_f32_e32 v2, v172, v245
	s_waitcnt vmcnt(10)
	v_mul_f32_e32 v179, v173, v248
	v_fma_f32 v2, v171, v244, -v2
	v_fmac_f32_e32 v179, v174, v247
	v_add_f32_e32 v1, v1, v2
	v_mul_f32_e32 v2, v174, v248
	v_add_f32_e32 v6, v6, v179
	ds_read2_b64 v[179:182], v110 offset0:105 offset1:106
	s_waitcnt vmcnt(8) lgkmcnt(1)
	v_mul_f32_e32 v183, v175, v250
	v_fma_f32 v2, v173, v247, -v2
	v_fmac_f32_e32 v183, v176, v249
	v_add_f32_e32 v1, v1, v2
	v_mul_f32_e32 v2, v176, v250
	v_add_f32_e32 v6, v6, v183
	s_waitcnt vmcnt(7)
	v_mul_f32_e32 v183, v177, v251
	v_fma_f32 v2, v175, v249, -v2
	s_waitcnt vmcnt(4)
	v_fmac_f32_e32 v183, v178, v254
	v_add_f32_e32 v1, v1, v2
	v_mul_f32_e32 v2, v178, v251
	v_add_f32_e32 v6, v6, v183
	ds_read_b64 v[183:184], v110 offset:856
	v_fma_f32 v2, v177, v254, -v2
	v_add_f32_e32 v1, v1, v2
	s_waitcnt lgkmcnt(1)
	v_mul_f32_e32 v2, v180, v253
	v_mul_f32_e32 v7, v179, v253
	v_fma_f32 v2, v179, v252, -v2
	v_fmac_f32_e32 v7, v180, v252
	v_add_f32_e32 v1, v1, v2
	s_waitcnt vmcnt(3)
	v_mul_f32_e32 v2, v182, v255
	v_add_f32_e32 v6, v6, v7
	v_mul_f32_e32 v7, v181, v255
	s_waitcnt vmcnt(0)
	v_fma_f32 v2, v181, v5, -v2
	v_fmac_f32_e32 v7, v182, v5
	v_add_f32_e32 v1, v1, v2
	s_waitcnt lgkmcnt(0)
	v_mul_f32_e32 v2, v184, v4
	v_add_f32_e32 v6, v6, v7
	v_mul_f32_e32 v7, v183, v4
	v_fma_f32 v2, v183, v3, -v2
	v_fmac_f32_e32 v7, v184, v3
	v_add_f32_e32 v1, v1, v2
	v_add_f32_e32 v6, v6, v7
	v_sub_f32_e32 v1, v213, v1
	v_sub_f32_e32 v2, v214, v6
	buffer_store_dword v1, off, s[0:3], 0 offset:128
	buffer_store_dword v2, off, s[0:3], 0 offset:132
	s_and_saveexec_b64 s[4:5], vcc
	s_cbranch_execz .LBB53_307
; %bb.306:
	buffer_load_dword v111, off, s[0:3], 0 offset:120
	buffer_load_dword v112, off, s[0:3], 0 offset:124
	s_waitcnt vmcnt(0)
	ds_write_b64 v109, v[111:112]
	buffer_store_dword v110, off, s[0:3], 0 offset:120
	buffer_store_dword v110, off, s[0:3], 0 offset:124
.LBB53_307:
	s_or_b64 exec, exec, s[4:5]
	s_waitcnt lgkmcnt(0)
	; wave barrier
	buffer_load_dword v1, off, s[0:3], 0 offset:132
	buffer_load_dword v2, off, s[0:3], 0 offset:140
	;; [unrolled: 1-line block ×32, first 2 shown]
	ds_read_b128 v[111:114], v110 offset:560
	ds_read_b128 v[115:118], v110 offset:576
	;; [unrolled: 1-line block ×6, first 2 shown]
	buffer_load_dword v211, off, s[0:3], 0 offset:248
	buffer_load_dword v212, off, s[0:3], 0 offset:252
	;; [unrolled: 1-line block ×32, first 2 shown]
	v_cmp_lt_u32_e32 vcc, 14, v0
	s_waitcnt vmcnt(62) lgkmcnt(5)
	v_mul_f32_e32 v135, v111, v1
	v_mul_f32_e32 v136, v113, v2
	s_waitcnt vmcnt(61) lgkmcnt(4)
	v_mul_f32_e32 v137, v115, v3
	s_waitcnt vmcnt(60)
	v_mul_f32_e32 v138, v117, v4
	s_waitcnt vmcnt(59) lgkmcnt(3)
	v_mul_f32_e32 v139, v119, v5
	s_waitcnt vmcnt(58)
	;; [unrolled: 4-line block ×4, first 2 shown]
	v_mul_f32_e32 v144, v129, v188
	s_waitcnt vmcnt(53)
	v_fmac_f32_e32 v137, v116, v189
	s_waitcnt vmcnt(52)
	v_fmac_f32_e32 v136, v114, v190
	;; [unrolled: 2-line block ×3, first 2 shown]
	v_add_f32_e32 v135, 0, v135
	v_add_f32_e32 v135, v135, v136
	;; [unrolled: 1-line block ×3, first 2 shown]
	s_waitcnt vmcnt(47)
	v_fmac_f32_e32 v138, v118, v195
	v_fmac_f32_e32 v139, v120, v194
	v_add_f32_e32 v135, v135, v138
	v_fmac_f32_e32 v140, v122, v193
	v_add_f32_e32 v135, v135, v139
	;; [unrolled: 2-line block ×3, first 2 shown]
	s_waitcnt vmcnt(43)
	v_fmac_f32_e32 v142, v126, v199
	v_add_f32_e32 v135, v135, v141
	v_fmac_f32_e32 v143, v128, v198
	v_add_f32_e32 v135, v135, v142
	;; [unrolled: 2-line block ×3, first 2 shown]
	s_waitcnt vmcnt(42) lgkmcnt(0)
	v_mul_f32_e32 v136, v131, v200
	v_add_f32_e32 v135, v135, v144
	v_fmac_f32_e32 v136, v132, v196
	v_add_f32_e32 v139, v135, v136
	ds_read_b128 v[135:138], v110 offset:656
	buffer_load_dword v243, off, s[0:3], 0 offset:376
	buffer_load_dword v244, off, s[0:3], 0 offset:380
	s_waitcnt vmcnt(43)
	v_mul_f32_e32 v140, v133, v201
	s_waitcnt vmcnt(37)
	v_fmac_f32_e32 v140, v134, v207
	v_add_f32_e32 v143, v139, v140
	ds_read_b128 v[139:142], v110 offset:672
	buffer_load_dword v245, off, s[0:3], 0 offset:384
	buffer_load_dword v246, off, s[0:3], 0 offset:388
	;; [unrolled: 1-line block ×12, first 2 shown]
	v_mul_f32_e32 v1, v112, v1
	v_fma_f32 v1, v111, v191, -v1
	v_mul_f32_e32 v2, v114, v2
	v_add_f32_e32 v1, 0, v1
	v_fma_f32 v2, v113, v190, -v2
	v_add_f32_e32 v1, v1, v2
	v_mul_f32_e32 v2, v116, v3
	v_fma_f32 v2, v115, v189, -v2
	v_add_f32_e32 v1, v1, v2
	v_mul_f32_e32 v2, v118, v4
	v_fma_f32 v2, v117, v195, -v2
	s_waitcnt vmcnt(48) lgkmcnt(1)
	v_mul_f32_e32 v144, v135, v208
	v_add_f32_e32 v1, v1, v2
	v_mul_f32_e32 v2, v120, v5
	v_fmac_f32_e32 v144, v136, v206
	v_fma_f32 v2, v119, v194, -v2
	v_add_f32_e32 v143, v143, v144
	v_mul_f32_e32 v144, v137, v203
	v_add_f32_e32 v1, v1, v2
	v_mul_f32_e32 v2, v122, v6
	v_fmac_f32_e32 v144, v138, v202
	v_fma_f32 v2, v121, v193, -v2
	v_add_f32_e32 v10, v143, v144
	s_waitcnt lgkmcnt(0)
	v_mul_f32_e32 v143, v139, v205
	v_add_f32_e32 v1, v1, v2
	v_mul_f32_e32 v2, v124, v7
	v_fmac_f32_e32 v143, v140, v204
	v_fma_f32 v2, v123, v192, -v2
	v_add_f32_e32 v10, v10, v143
	ds_read_b128 v[143:146], v110 offset:688
	v_add_f32_e32 v1, v1, v2
	v_mul_f32_e32 v2, v126, v8
	v_fma_f32 v2, v125, v199, -v2
	s_waitcnt vmcnt(44)
	v_mul_f32_e32 v147, v141, v212
	v_add_f32_e32 v1, v1, v2
	v_mul_f32_e32 v2, v128, v187
	v_fmac_f32_e32 v147, v142, v211
	v_fma_f32 v2, v127, v198, -v2
	v_add_f32_e32 v10, v10, v147
	ds_read_b128 v[147:150], v110 offset:704
	v_add_f32_e32 v1, v1, v2
	v_mul_f32_e32 v2, v130, v188
	s_waitcnt vmcnt(42) lgkmcnt(1)
	v_mul_f32_e32 v151, v143, v214
	v_fma_f32 v2, v129, v197, -v2
	v_fmac_f32_e32 v151, v144, v213
	v_add_f32_e32 v1, v1, v2
	v_mul_f32_e32 v2, v132, v200
	v_add_f32_e32 v10, v10, v151
	s_waitcnt vmcnt(40)
	v_mul_f32_e32 v151, v145, v216
	v_fma_f32 v2, v131, v196, -v2
	v_fmac_f32_e32 v151, v146, v215
	v_add_f32_e32 v1, v1, v2
	v_mul_f32_e32 v2, v134, v201
	v_add_f32_e32 v10, v10, v151
	s_waitcnt vmcnt(38) lgkmcnt(0)
	v_mul_f32_e32 v151, v147, v218
	v_fma_f32 v2, v133, v207, -v2
	v_fmac_f32_e32 v151, v148, v217
	v_add_f32_e32 v1, v1, v2
	v_mul_f32_e32 v2, v136, v208
	v_add_f32_e32 v10, v10, v151
	ds_read_b128 v[151:154], v110 offset:720
	v_fma_f32 v2, v135, v206, -v2
	v_add_f32_e32 v1, v1, v2
	v_mul_f32_e32 v2, v138, v203
	s_waitcnt vmcnt(36)
	v_mul_f32_e32 v155, v149, v220
	v_fma_f32 v2, v137, v202, -v2
	v_fmac_f32_e32 v155, v150, v219
	v_add_f32_e32 v1, v1, v2
	v_mul_f32_e32 v2, v140, v205
	v_add_f32_e32 v10, v10, v155
	ds_read_b128 v[155:158], v110 offset:736
	v_fma_f32 v2, v139, v204, -v2
	s_waitcnt vmcnt(34) lgkmcnt(1)
	v_mul_f32_e32 v159, v151, v222
	v_add_f32_e32 v1, v1, v2
	v_mul_f32_e32 v2, v142, v212
	v_fmac_f32_e32 v159, v152, v221
	v_fma_f32 v2, v141, v211, -v2
	v_add_f32_e32 v10, v10, v159
	s_waitcnt vmcnt(32)
	v_mul_f32_e32 v159, v153, v224
	v_add_f32_e32 v1, v1, v2
	v_mul_f32_e32 v2, v144, v214
	v_fmac_f32_e32 v159, v154, v223
	v_fma_f32 v2, v143, v213, -v2
	v_add_f32_e32 v10, v10, v159
	s_waitcnt vmcnt(30) lgkmcnt(0)
	v_mul_f32_e32 v159, v155, v226
	v_add_f32_e32 v1, v1, v2
	v_mul_f32_e32 v2, v146, v216
	v_fmac_f32_e32 v159, v156, v225
	v_fma_f32 v2, v145, v215, -v2
	v_add_f32_e32 v10, v10, v159
	ds_read_b128 v[159:162], v110 offset:752
	v_add_f32_e32 v1, v1, v2
	v_mul_f32_e32 v2, v148, v218
	v_fma_f32 v2, v147, v217, -v2
	s_waitcnt vmcnt(28)
	v_mul_f32_e32 v163, v157, v228
	v_add_f32_e32 v1, v1, v2
	v_mul_f32_e32 v2, v150, v220
	v_fmac_f32_e32 v163, v158, v227
	v_fma_f32 v2, v149, v219, -v2
	v_add_f32_e32 v10, v10, v163
	ds_read_b128 v[163:166], v110 offset:768
	v_add_f32_e32 v1, v1, v2
	v_mul_f32_e32 v2, v152, v222
	s_waitcnt vmcnt(26) lgkmcnt(1)
	v_mul_f32_e32 v167, v159, v230
	v_fma_f32 v2, v151, v221, -v2
	v_fmac_f32_e32 v167, v160, v229
	v_add_f32_e32 v1, v1, v2
	v_mul_f32_e32 v2, v154, v224
	v_add_f32_e32 v10, v10, v167
	s_waitcnt vmcnt(25)
	v_mul_f32_e32 v167, v161, v231
	v_fma_f32 v2, v153, v223, -v2
	s_waitcnt vmcnt(22)
	v_fmac_f32_e32 v167, v162, v234
	v_add_f32_e32 v1, v1, v2
	v_mul_f32_e32 v2, v156, v226
	v_add_f32_e32 v10, v10, v167
	s_waitcnt lgkmcnt(0)
	v_mul_f32_e32 v167, v163, v233
	v_fma_f32 v2, v155, v225, -v2
	v_fmac_f32_e32 v167, v164, v232
	v_add_f32_e32 v1, v1, v2
	v_mul_f32_e32 v2, v158, v228
	v_add_f32_e32 v10, v10, v167
	ds_read_b128 v[167:170], v110 offset:784
	v_fma_f32 v2, v157, v227, -v2
	v_add_f32_e32 v1, v1, v2
	v_mul_f32_e32 v2, v160, v230
	s_waitcnt vmcnt(20)
	v_mul_f32_e32 v171, v165, v236
	v_fma_f32 v2, v159, v229, -v2
	v_fmac_f32_e32 v171, v166, v235
	v_add_f32_e32 v1, v1, v2
	v_mul_f32_e32 v2, v162, v231
	v_add_f32_e32 v10, v10, v171
	ds_read_b128 v[171:174], v110 offset:800
	v_fma_f32 v2, v161, v234, -v2
	s_waitcnt vmcnt(18) lgkmcnt(1)
	v_mul_f32_e32 v175, v167, v238
	v_add_f32_e32 v1, v1, v2
	v_mul_f32_e32 v2, v164, v233
	v_fmac_f32_e32 v175, v168, v237
	v_fma_f32 v2, v163, v232, -v2
	v_add_f32_e32 v10, v10, v175
	s_waitcnt vmcnt(17)
	v_mul_f32_e32 v175, v169, v239
	v_add_f32_e32 v1, v1, v2
	v_mul_f32_e32 v2, v166, v236
	s_waitcnt vmcnt(14)
	v_fmac_f32_e32 v175, v170, v242
	v_fma_f32 v2, v165, v235, -v2
	v_add_f32_e32 v10, v10, v175
	s_waitcnt lgkmcnt(0)
	v_mul_f32_e32 v175, v171, v241
	v_add_f32_e32 v1, v1, v2
	v_mul_f32_e32 v2, v168, v238
	v_fmac_f32_e32 v175, v172, v240
	v_fma_f32 v2, v167, v237, -v2
	v_add_f32_e32 v10, v10, v175
	ds_read_b128 v[175:178], v110 offset:816
	v_add_f32_e32 v1, v1, v2
	v_mul_f32_e32 v2, v170, v239
	v_fma_f32 v2, v169, v242, -v2
	v_add_f32_e32 v1, v1, v2
	v_mul_f32_e32 v2, v172, v241
	s_waitcnt vmcnt(12)
	v_mul_f32_e32 v179, v173, v244
	v_fma_f32 v2, v171, v240, -v2
	v_fmac_f32_e32 v179, v174, v243
	v_add_f32_e32 v1, v1, v2
	v_mul_f32_e32 v2, v174, v244
	v_add_f32_e32 v10, v10, v179
	ds_read_b128 v[179:182], v110 offset:832
	s_waitcnt vmcnt(10) lgkmcnt(1)
	v_mul_f32_e32 v183, v175, v246
	v_fma_f32 v2, v173, v243, -v2
	v_fmac_f32_e32 v183, v176, v245
	v_add_f32_e32 v1, v1, v2
	v_mul_f32_e32 v2, v176, v246
	v_add_f32_e32 v10, v10, v183
	s_waitcnt vmcnt(9)
	v_mul_f32_e32 v183, v177, v247
	v_fma_f32 v2, v175, v245, -v2
	s_waitcnt vmcnt(6)
	v_fmac_f32_e32 v183, v178, v250
	v_add_f32_e32 v1, v1, v2
	v_mul_f32_e32 v2, v178, v247
	v_add_f32_e32 v10, v10, v183
	ds_read_b128 v[183:186], v110 offset:848
	v_fma_f32 v2, v177, v250, -v2
	v_add_f32_e32 v1, v1, v2
	s_waitcnt lgkmcnt(1)
	v_mul_f32_e32 v2, v180, v249
	v_mul_f32_e32 v11, v179, v249
	v_fma_f32 v2, v179, v248, -v2
	v_fmac_f32_e32 v11, v180, v248
	v_add_f32_e32 v1, v1, v2
	s_waitcnt vmcnt(4)
	v_mul_f32_e32 v2, v182, v252
	v_add_f32_e32 v10, v10, v11
	v_mul_f32_e32 v11, v181, v252
	v_fma_f32 v2, v181, v251, -v2
	v_fmac_f32_e32 v11, v182, v251
	v_add_f32_e32 v1, v1, v2
	s_waitcnt vmcnt(3) lgkmcnt(0)
	v_mul_f32_e32 v2, v184, v253
	v_add_f32_e32 v10, v10, v11
	v_mul_f32_e32 v11, v183, v253
	s_waitcnt vmcnt(0)
	v_fma_f32 v2, v183, v9, -v2
	v_fmac_f32_e32 v11, v184, v9
	v_add_f32_e32 v1, v1, v2
	v_mul_f32_e32 v2, v186, v255
	v_add_f32_e32 v10, v10, v11
	v_mul_f32_e32 v11, v185, v255
	v_fma_f32 v2, v185, v254, -v2
	v_fmac_f32_e32 v11, v186, v254
	v_add_f32_e32 v1, v1, v2
	v_add_f32_e32 v10, v10, v11
	v_sub_f32_e32 v1, v209, v1
	v_sub_f32_e32 v2, v210, v10
	buffer_store_dword v1, off, s[0:3], 0 offset:120
	buffer_store_dword v2, off, s[0:3], 0 offset:124
	s_and_saveexec_b64 s[4:5], vcc
	s_cbranch_execz .LBB53_309
; %bb.308:
	buffer_load_dword v110, off, s[0:3], 0 offset:112
	buffer_load_dword v111, off, s[0:3], 0 offset:116
	v_mov_b32_e32 v1, 0
	buffer_store_dword v1, off, s[0:3], 0 offset:112
	buffer_store_dword v1, off, s[0:3], 0 offset:116
	s_waitcnt vmcnt(2)
	ds_write_b64 v109, v[110:111]
.LBB53_309:
	s_or_b64 exec, exec, s[4:5]
	s_waitcnt lgkmcnt(0)
	; wave barrier
	buffer_load_dword v1, off, s[0:3], 0 offset:124
	buffer_load_dword v2, off, s[0:3], 0 offset:132
	;; [unrolled: 1-line block ×50, first 2 shown]
	v_mov_b32_e32 v110, 0
	ds_read2_b64 v[111:114], v110 offset0:69 offset1:70
	ds_read2_b64 v[115:118], v110 offset0:71 offset1:72
	;; [unrolled: 1-line block ×6, first 2 shown]
	buffer_load_dword v227, off, s[0:3], 0 offset:312
	buffer_load_dword v228, off, s[0:3], 0 offset:316
	;; [unrolled: 1-line block ×8, first 2 shown]
	v_cmp_lt_u32_e32 vcc, 13, v0
	s_waitcnt vmcnt(57) lgkmcnt(5)
	v_mul_f32_e32 v135, v111, v1
	s_waitcnt vmcnt(56)
	v_mul_f32_e32 v136, v113, v2
	s_waitcnt vmcnt(55) lgkmcnt(4)
	v_mul_f32_e32 v137, v115, v3
	s_waitcnt vmcnt(54)
	v_mul_f32_e32 v138, v117, v4
	;; [unrolled: 4-line block ×5, first 2 shown]
	s_waitcnt vmcnt(47) lgkmcnt(0)
	v_mul_f32_e32 v145, v131, v11
	s_waitcnt vmcnt(46)
	v_fmac_f32_e32 v137, v116, v12
	s_waitcnt vmcnt(45)
	v_fmac_f32_e32 v136, v114, v189
	;; [unrolled: 2-line block ×3, first 2 shown]
	v_add_f32_e32 v135, 0, v135
	v_add_f32_e32 v135, v135, v136
	;; [unrolled: 1-line block ×3, first 2 shown]
	s_waitcnt vmcnt(40)
	v_fmac_f32_e32 v138, v118, v194
	v_fmac_f32_e32 v139, v120, v193
	v_add_f32_e32 v135, v135, v138
	v_fmac_f32_e32 v140, v122, v192
	v_add_f32_e32 v135, v135, v139
	;; [unrolled: 2-line block ×3, first 2 shown]
	s_waitcnt vmcnt(36)
	v_fmac_f32_e32 v142, v126, v198
	v_add_f32_e32 v135, v135, v141
	v_fmac_f32_e32 v143, v128, v197
	v_add_f32_e32 v135, v135, v142
	;; [unrolled: 2-line block ×3, first 2 shown]
	v_add_f32_e32 v135, v135, v144
	v_fmac_f32_e32 v145, v132, v195
	v_add_f32_e32 v139, v135, v145
	ds_read2_b64 v[135:138], v110 offset0:81 offset1:82
	buffer_load_dword v235, off, s[0:3], 0 offset:344
	buffer_load_dword v236, off, s[0:3], 0 offset:348
	;; [unrolled: 1-line block ×6, first 2 shown]
	s_waitcnt vmcnt(41)
	v_mul_f32_e32 v140, v133, v199
	s_waitcnt vmcnt(34)
	v_fmac_f32_e32 v140, v134, v206
	v_add_f32_e32 v143, v139, v140
	ds_read2_b64 v[139:142], v110 offset0:83 offset1:84
	buffer_load_dword v241, off, s[0:3], 0 offset:368
	buffer_load_dword v242, off, s[0:3], 0 offset:372
	buffer_load_dword v243, off, s[0:3], 0 offset:376
	buffer_load_dword v244, off, s[0:3], 0 offset:380
	buffer_load_dword v245, off, s[0:3], 0 offset:388
	buffer_load_dword v246, off, s[0:3], 0 offset:392
	buffer_load_dword v247, off, s[0:3], 0 offset:396
	buffer_load_dword v248, off, s[0:3], 0 offset:384
	buffer_load_dword v249, off, s[0:3], 0 offset:400
	buffer_load_dword v250, off, s[0:3], 0 offset:404
	buffer_load_dword v251, off, s[0:3], 0 offset:408
	buffer_load_dword v252, off, s[0:3], 0 offset:412
	buffer_load_dword v253, off, s[0:3], 0 offset:420
	buffer_load_dword v254, off, s[0:3], 0 offset:424
	buffer_load_dword v255, off, s[0:3], 0 offset:428
	buffer_load_dword v13, off, s[0:3], 0 offset:416
	v_mul_f32_e32 v1, v112, v1
	v_fma_f32 v1, v111, v190, -v1
	v_mul_f32_e32 v2, v114, v2
	v_add_f32_e32 v1, 0, v1
	v_fma_f32 v2, v113, v189, -v2
	v_add_f32_e32 v1, v1, v2
	v_mul_f32_e32 v2, v116, v3
	v_fma_f32 v2, v115, v12, -v2
	s_waitcnt lgkmcnt(1)
	v_mul_f32_e32 v144, v135, v201
	v_add_f32_e32 v1, v1, v2
	v_mul_f32_e32 v2, v118, v4
	v_fmac_f32_e32 v144, v136, v200
	v_fma_f32 v2, v117, v194, -v2
	v_add_f32_e32 v143, v143, v144
	v_mul_f32_e32 v144, v137, v203
	v_add_f32_e32 v1, v1, v2
	v_mul_f32_e32 v2, v120, v5
	v_fmac_f32_e32 v144, v138, v202
	v_fma_f32 v2, v119, v193, -v2
	v_add_f32_e32 v143, v143, v144
	s_waitcnt lgkmcnt(0)
	v_mul_f32_e32 v144, v139, v205
	v_add_f32_e32 v1, v1, v2
	v_mul_f32_e32 v2, v122, v6
	v_fmac_f32_e32 v144, v140, v204
	v_fma_f32 v2, v121, v192, -v2
	v_add_f32_e32 v147, v143, v144
	ds_read2_b64 v[143:146], v110 offset0:85 offset1:86
	v_add_f32_e32 v1, v1, v2
	v_mul_f32_e32 v2, v124, v7
	v_fma_f32 v2, v123, v191, -v2
	s_waitcnt vmcnt(46)
	v_mul_f32_e32 v14, v141, v210
	v_add_f32_e32 v1, v1, v2
	v_mul_f32_e32 v2, v126, v8
	v_fmac_f32_e32 v14, v142, v209
	v_fma_f32 v2, v125, v198, -v2
	v_add_f32_e32 v14, v147, v14
	ds_read2_b64 v[147:150], v110 offset0:87 offset1:88
	v_add_f32_e32 v1, v1, v2
	v_mul_f32_e32 v2, v128, v9
	s_waitcnt vmcnt(44) lgkmcnt(1)
	v_mul_f32_e32 v151, v143, v212
	v_fma_f32 v2, v127, v197, -v2
	v_fmac_f32_e32 v151, v144, v211
	v_add_f32_e32 v1, v1, v2
	v_mul_f32_e32 v2, v130, v10
	v_add_f32_e32 v14, v14, v151
	s_waitcnt vmcnt(42)
	v_mul_f32_e32 v151, v145, v214
	v_fma_f32 v2, v129, v196, -v2
	v_fmac_f32_e32 v151, v146, v213
	v_add_f32_e32 v1, v1, v2
	v_mul_f32_e32 v2, v132, v11
	v_add_f32_e32 v14, v14, v151
	s_waitcnt vmcnt(40) lgkmcnt(0)
	v_mul_f32_e32 v151, v147, v216
	v_fma_f32 v2, v131, v195, -v2
	v_fmac_f32_e32 v151, v148, v215
	v_add_f32_e32 v1, v1, v2
	v_mul_f32_e32 v2, v134, v199
	v_add_f32_e32 v14, v14, v151
	ds_read2_b64 v[151:154], v110 offset0:89 offset1:90
	v_fma_f32 v2, v133, v206, -v2
	v_add_f32_e32 v1, v1, v2
	v_mul_f32_e32 v2, v136, v201
	s_waitcnt vmcnt(38)
	v_mul_f32_e32 v155, v149, v218
	v_fma_f32 v2, v135, v200, -v2
	v_fmac_f32_e32 v155, v150, v217
	v_add_f32_e32 v1, v1, v2
	v_mul_f32_e32 v2, v138, v203
	v_add_f32_e32 v14, v14, v155
	ds_read2_b64 v[155:158], v110 offset0:91 offset1:92
	v_fma_f32 v2, v137, v202, -v2
	s_waitcnt vmcnt(36) lgkmcnt(1)
	v_mul_f32_e32 v159, v151, v220
	v_add_f32_e32 v1, v1, v2
	v_mul_f32_e32 v2, v140, v205
	v_fmac_f32_e32 v159, v152, v219
	v_fma_f32 v2, v139, v204, -v2
	v_add_f32_e32 v14, v14, v159
	s_waitcnt vmcnt(34)
	v_mul_f32_e32 v159, v153, v222
	v_add_f32_e32 v1, v1, v2
	v_mul_f32_e32 v2, v142, v210
	v_fmac_f32_e32 v159, v154, v221
	v_fma_f32 v2, v141, v209, -v2
	v_add_f32_e32 v14, v14, v159
	s_waitcnt vmcnt(32) lgkmcnt(0)
	v_mul_f32_e32 v159, v155, v224
	v_add_f32_e32 v1, v1, v2
	v_mul_f32_e32 v2, v144, v212
	v_fmac_f32_e32 v159, v156, v223
	v_fma_f32 v2, v143, v211, -v2
	v_add_f32_e32 v14, v14, v159
	ds_read2_b64 v[159:162], v110 offset0:93 offset1:94
	v_add_f32_e32 v1, v1, v2
	v_mul_f32_e32 v2, v146, v214
	v_fma_f32 v2, v145, v213, -v2
	s_waitcnt vmcnt(30)
	v_mul_f32_e32 v163, v157, v226
	v_add_f32_e32 v1, v1, v2
	v_mul_f32_e32 v2, v148, v216
	v_fmac_f32_e32 v163, v158, v225
	v_fma_f32 v2, v147, v215, -v2
	v_add_f32_e32 v14, v14, v163
	ds_read2_b64 v[163:166], v110 offset0:95 offset1:96
	v_add_f32_e32 v1, v1, v2
	v_mul_f32_e32 v2, v150, v218
	s_waitcnt vmcnt(28) lgkmcnt(1)
	v_mul_f32_e32 v167, v159, v228
	v_fma_f32 v2, v149, v217, -v2
	v_fmac_f32_e32 v167, v160, v227
	v_add_f32_e32 v1, v1, v2
	v_mul_f32_e32 v2, v152, v220
	v_add_f32_e32 v14, v14, v167
	s_waitcnt vmcnt(27)
	v_mul_f32_e32 v167, v161, v229
	v_fma_f32 v2, v151, v219, -v2
	s_waitcnt vmcnt(24)
	v_fmac_f32_e32 v167, v162, v232
	v_add_f32_e32 v1, v1, v2
	v_mul_f32_e32 v2, v154, v222
	v_add_f32_e32 v14, v14, v167
	s_waitcnt lgkmcnt(0)
	v_mul_f32_e32 v167, v163, v231
	v_fma_f32 v2, v153, v221, -v2
	v_fmac_f32_e32 v167, v164, v230
	v_add_f32_e32 v1, v1, v2
	v_mul_f32_e32 v2, v156, v224
	v_add_f32_e32 v14, v14, v167
	ds_read2_b64 v[167:170], v110 offset0:97 offset1:98
	v_fma_f32 v2, v155, v223, -v2
	v_add_f32_e32 v1, v1, v2
	v_mul_f32_e32 v2, v158, v226
	s_waitcnt vmcnt(22)
	v_mul_f32_e32 v171, v165, v234
	v_fma_f32 v2, v157, v225, -v2
	v_fmac_f32_e32 v171, v166, v233
	v_add_f32_e32 v1, v1, v2
	v_mul_f32_e32 v2, v160, v228
	v_add_f32_e32 v14, v14, v171
	ds_read2_b64 v[171:174], v110 offset0:99 offset1:100
	v_fma_f32 v2, v159, v227, -v2
	s_waitcnt vmcnt(20) lgkmcnt(1)
	v_mul_f32_e32 v175, v167, v236
	v_add_f32_e32 v1, v1, v2
	v_mul_f32_e32 v2, v162, v229
	v_fmac_f32_e32 v175, v168, v235
	v_fma_f32 v2, v161, v232, -v2
	v_add_f32_e32 v14, v14, v175
	s_waitcnt vmcnt(19)
	v_mul_f32_e32 v175, v169, v237
	v_add_f32_e32 v1, v1, v2
	v_mul_f32_e32 v2, v164, v231
	s_waitcnt vmcnt(16)
	v_fmac_f32_e32 v175, v170, v240
	v_fma_f32 v2, v163, v230, -v2
	v_add_f32_e32 v14, v14, v175
	s_waitcnt lgkmcnt(0)
	v_mul_f32_e32 v175, v171, v239
	v_add_f32_e32 v1, v1, v2
	v_mul_f32_e32 v2, v166, v234
	v_fmac_f32_e32 v175, v172, v238
	v_fma_f32 v2, v165, v233, -v2
	v_add_f32_e32 v14, v14, v175
	ds_read2_b64 v[175:178], v110 offset0:101 offset1:102
	v_add_f32_e32 v1, v1, v2
	v_mul_f32_e32 v2, v168, v236
	v_fma_f32 v2, v167, v235, -v2
	s_waitcnt vmcnt(14)
	v_mul_f32_e32 v179, v173, v242
	v_add_f32_e32 v1, v1, v2
	v_mul_f32_e32 v2, v170, v237
	v_fmac_f32_e32 v179, v174, v241
	v_fma_f32 v2, v169, v240, -v2
	v_add_f32_e32 v14, v14, v179
	ds_read2_b64 v[179:182], v110 offset0:103 offset1:104
	v_add_f32_e32 v1, v1, v2
	v_mul_f32_e32 v2, v172, v239
	s_waitcnt vmcnt(12) lgkmcnt(1)
	v_mul_f32_e32 v183, v175, v244
	v_fma_f32 v2, v171, v238, -v2
	v_fmac_f32_e32 v183, v176, v243
	v_add_f32_e32 v1, v1, v2
	v_mul_f32_e32 v2, v174, v242
	v_add_f32_e32 v14, v14, v183
	s_waitcnt vmcnt(11)
	v_mul_f32_e32 v183, v177, v245
	v_fma_f32 v2, v173, v241, -v2
	s_waitcnt vmcnt(8)
	v_fmac_f32_e32 v183, v178, v248
	v_add_f32_e32 v1, v1, v2
	v_mul_f32_e32 v2, v176, v244
	v_add_f32_e32 v14, v14, v183
	s_waitcnt lgkmcnt(0)
	v_mul_f32_e32 v183, v179, v247
	v_fma_f32 v2, v175, v243, -v2
	v_fmac_f32_e32 v183, v180, v246
	v_add_f32_e32 v1, v1, v2
	v_mul_f32_e32 v2, v178, v245
	v_add_f32_e32 v14, v14, v183
	ds_read2_b64 v[183:186], v110 offset0:105 offset1:106
	v_fma_f32 v2, v177, v248, -v2
	v_add_f32_e32 v1, v1, v2
	v_mul_f32_e32 v2, v180, v247
	s_waitcnt vmcnt(6)
	v_mul_f32_e32 v187, v181, v250
	v_fma_f32 v2, v179, v246, -v2
	v_fmac_f32_e32 v187, v182, v249
	v_add_f32_e32 v1, v1, v2
	v_mul_f32_e32 v2, v182, v250
	v_add_f32_e32 v14, v14, v187
	ds_read_b64 v[187:188], v110 offset:856
	v_fma_f32 v2, v181, v249, -v2
	v_add_f32_e32 v1, v1, v2
	s_waitcnt vmcnt(4) lgkmcnt(1)
	v_mul_f32_e32 v2, v184, v252
	v_mul_f32_e32 v15, v183, v252
	v_fma_f32 v2, v183, v251, -v2
	v_fmac_f32_e32 v15, v184, v251
	v_add_f32_e32 v1, v1, v2
	s_waitcnt vmcnt(3)
	v_mul_f32_e32 v2, v186, v253
	v_add_f32_e32 v14, v14, v15
	v_mul_f32_e32 v15, v185, v253
	s_waitcnt vmcnt(0)
	v_fma_f32 v2, v185, v13, -v2
	v_fmac_f32_e32 v15, v186, v13
	v_add_f32_e32 v1, v1, v2
	s_waitcnt lgkmcnt(0)
	v_mul_f32_e32 v2, v188, v255
	v_add_f32_e32 v14, v14, v15
	v_mul_f32_e32 v15, v187, v255
	v_fma_f32 v2, v187, v254, -v2
	v_fmac_f32_e32 v15, v188, v254
	v_add_f32_e32 v1, v1, v2
	v_add_f32_e32 v14, v14, v15
	v_sub_f32_e32 v1, v207, v1
	v_sub_f32_e32 v2, v208, v14
	buffer_store_dword v1, off, s[0:3], 0 offset:112
	buffer_store_dword v2, off, s[0:3], 0 offset:116
	s_and_saveexec_b64 s[4:5], vcc
	s_cbranch_execz .LBB53_311
; %bb.310:
	buffer_load_dword v111, off, s[0:3], 0 offset:104
	buffer_load_dword v112, off, s[0:3], 0 offset:108
	s_waitcnt vmcnt(0)
	ds_write_b64 v109, v[111:112]
	buffer_store_dword v110, off, s[0:3], 0 offset:104
	buffer_store_dword v110, off, s[0:3], 0 offset:108
.LBB53_311:
	s_or_b64 exec, exec, s[4:5]
	s_waitcnt lgkmcnt(0)
	; wave barrier
	buffer_load_dword v1, off, s[0:3], 0 offset:116
	buffer_load_dword v2, off, s[0:3], 0 offset:124
	;; [unrolled: 1-line block ×32, first 2 shown]
	ds_read_b128 v[111:114], v110 offset:544
	ds_read_b128 v[115:118], v110 offset:560
	;; [unrolled: 1-line block ×6, first 2 shown]
	buffer_load_dword v207, off, s[0:3], 0 offset:232
	buffer_load_dword v208, off, s[0:3], 0 offset:236
	;; [unrolled: 1-line block ×26, first 2 shown]
	v_cmp_lt_u32_e32 vcc, 12, v0
	s_waitcnt vmcnt(57) lgkmcnt(5)
	v_mul_f32_e32 v135, v111, v1
	s_waitcnt vmcnt(56)
	v_mul_f32_e32 v136, v113, v2
	s_waitcnt vmcnt(55) lgkmcnt(4)
	v_mul_f32_e32 v137, v115, v3
	s_waitcnt vmcnt(54)
	v_mul_f32_e32 v138, v117, v4
	s_waitcnt vmcnt(53) lgkmcnt(3)
	v_mul_f32_e32 v139, v119, v5
	s_waitcnt vmcnt(52)
	v_mul_f32_e32 v140, v121, v6
	s_waitcnt vmcnt(51) lgkmcnt(2)
	v_mul_f32_e32 v141, v123, v7
	s_waitcnt vmcnt(50)
	v_mul_f32_e32 v142, v125, v8
	s_waitcnt vmcnt(49) lgkmcnt(1)
	v_mul_f32_e32 v143, v127, v9
	s_waitcnt vmcnt(48)
	v_mul_f32_e32 v144, v129, v10
	s_waitcnt vmcnt(47) lgkmcnt(0)
	v_mul_f32_e32 v145, v131, v11
	s_waitcnt vmcnt(46)
	v_fmac_f32_e32 v137, v116, v12
	s_waitcnt vmcnt(45)
	v_fmac_f32_e32 v136, v114, v13
	;; [unrolled: 2-line block ×3, first 2 shown]
	v_add_f32_e32 v135, 0, v135
	v_add_f32_e32 v135, v135, v136
	;; [unrolled: 1-line block ×3, first 2 shown]
	s_waitcnt vmcnt(40)
	v_fmac_f32_e32 v138, v118, v192
	v_fmac_f32_e32 v139, v120, v191
	v_add_f32_e32 v135, v135, v138
	v_fmac_f32_e32 v140, v122, v16
	v_add_f32_e32 v135, v135, v139
	;; [unrolled: 2-line block ×3, first 2 shown]
	s_waitcnt vmcnt(36)
	v_fmac_f32_e32 v142, v126, v196
	v_add_f32_e32 v135, v135, v141
	v_fmac_f32_e32 v143, v128, v195
	v_add_f32_e32 v135, v135, v142
	;; [unrolled: 2-line block ×4, first 2 shown]
	v_add_f32_e32 v139, v135, v145
	ds_read_b128 v[135:138], v110 offset:640
	buffer_load_dword v233, off, s[0:3], 0 offset:336
	buffer_load_dword v234, off, s[0:3], 0 offset:340
	;; [unrolled: 1-line block ×6, first 2 shown]
	s_waitcnt vmcnt(41)
	v_mul_f32_e32 v140, v133, v197
	s_waitcnt vmcnt(35)
	v_fmac_f32_e32 v140, v134, v203
	v_add_f32_e32 v143, v139, v140
	ds_read_b128 v[139:142], v110 offset:656
	buffer_load_dword v239, off, s[0:3], 0 offset:360
	buffer_load_dword v240, off, s[0:3], 0 offset:364
	;; [unrolled: 1-line block ×10, first 2 shown]
	s_waitcnt vmcnt(44) lgkmcnt(1)
	v_mul_f32_e32 v144, v135, v204
	v_fmac_f32_e32 v144, v136, v202
	v_add_f32_e32 v143, v143, v144
	v_mul_f32_e32 v144, v137, v199
	v_fmac_f32_e32 v144, v138, v198
	v_add_f32_e32 v143, v143, v144
	s_waitcnt lgkmcnt(0)
	v_mul_f32_e32 v144, v139, v201
	buffer_load_dword v249, off, s[0:3], 0 offset:400
	buffer_load_dword v250, off, s[0:3], 0 offset:404
	;; [unrolled: 1-line block ×6, first 2 shown]
	v_fmac_f32_e32 v144, v140, v200
	s_waitcnt vmcnt(46)
	v_mul_f32_e32 v148, v141, v208
	v_add_f32_e32 v147, v143, v144
	v_fmac_f32_e32 v148, v142, v207
	ds_read_b128 v[143:146], v110 offset:672
	v_add_f32_e32 v151, v147, v148
	ds_read_b128 v[147:150], v110 offset:688
	buffer_load_dword v255, off, s[0:3], 0 offset:424
	buffer_load_dword v17, off, s[0:3], 0 offset:428
	v_mul_f32_e32 v1, v112, v1
	v_fma_f32 v1, v111, v14, -v1
	v_mul_f32_e32 v2, v114, v2
	v_add_f32_e32 v1, 0, v1
	v_fma_f32 v2, v113, v13, -v2
	v_add_f32_e32 v1, v1, v2
	v_mul_f32_e32 v2, v116, v3
	v_fma_f32 v2, v115, v12, -v2
	v_add_f32_e32 v1, v1, v2
	v_mul_f32_e32 v2, v118, v4
	;; [unrolled: 3-line block ×7, first 2 shown]
	s_waitcnt vmcnt(46) lgkmcnt(1)
	v_mul_f32_e32 v18, v143, v210
	v_fma_f32 v2, v127, v195, -v2
	v_fmac_f32_e32 v18, v144, v209
	v_add_f32_e32 v1, v1, v2
	v_mul_f32_e32 v2, v130, v10
	v_add_f32_e32 v18, v151, v18
	s_waitcnt vmcnt(44)
	v_mul_f32_e32 v151, v145, v212
	v_fma_f32 v2, v129, v194, -v2
	v_fmac_f32_e32 v151, v146, v211
	v_add_f32_e32 v1, v1, v2
	v_mul_f32_e32 v2, v132, v11
	v_add_f32_e32 v18, v18, v151
	s_waitcnt vmcnt(42) lgkmcnt(0)
	v_mul_f32_e32 v151, v147, v214
	v_fma_f32 v2, v131, v193, -v2
	v_fmac_f32_e32 v151, v148, v213
	v_add_f32_e32 v1, v1, v2
	v_mul_f32_e32 v2, v134, v197
	v_add_f32_e32 v18, v18, v151
	ds_read_b128 v[151:154], v110 offset:704
	v_fma_f32 v2, v133, v203, -v2
	v_add_f32_e32 v1, v1, v2
	v_mul_f32_e32 v2, v136, v204
	s_waitcnt vmcnt(40)
	v_mul_f32_e32 v155, v149, v216
	v_fma_f32 v2, v135, v202, -v2
	v_fmac_f32_e32 v155, v150, v215
	v_add_f32_e32 v1, v1, v2
	v_mul_f32_e32 v2, v138, v199
	v_add_f32_e32 v18, v18, v155
	ds_read_b128 v[155:158], v110 offset:720
	v_fma_f32 v2, v137, v198, -v2
	s_waitcnt vmcnt(38) lgkmcnt(1)
	v_mul_f32_e32 v159, v151, v218
	v_add_f32_e32 v1, v1, v2
	v_mul_f32_e32 v2, v140, v201
	v_fmac_f32_e32 v159, v152, v217
	v_fma_f32 v2, v139, v200, -v2
	v_add_f32_e32 v18, v18, v159
	s_waitcnt vmcnt(36)
	v_mul_f32_e32 v159, v153, v220
	v_add_f32_e32 v1, v1, v2
	v_mul_f32_e32 v2, v142, v208
	v_fmac_f32_e32 v159, v154, v219
	v_fma_f32 v2, v141, v207, -v2
	v_add_f32_e32 v18, v18, v159
	s_waitcnt vmcnt(34) lgkmcnt(0)
	v_mul_f32_e32 v159, v155, v222
	v_add_f32_e32 v1, v1, v2
	v_mul_f32_e32 v2, v144, v210
	v_fmac_f32_e32 v159, v156, v221
	v_fma_f32 v2, v143, v209, -v2
	v_add_f32_e32 v18, v18, v159
	ds_read_b128 v[159:162], v110 offset:736
	v_add_f32_e32 v1, v1, v2
	v_mul_f32_e32 v2, v146, v212
	v_fma_f32 v2, v145, v211, -v2
	s_waitcnt vmcnt(32)
	v_mul_f32_e32 v163, v157, v224
	v_add_f32_e32 v1, v1, v2
	v_mul_f32_e32 v2, v148, v214
	v_fmac_f32_e32 v163, v158, v223
	v_fma_f32 v2, v147, v213, -v2
	v_add_f32_e32 v18, v18, v163
	ds_read_b128 v[163:166], v110 offset:752
	v_add_f32_e32 v1, v1, v2
	v_mul_f32_e32 v2, v150, v216
	s_waitcnt vmcnt(30) lgkmcnt(1)
	v_mul_f32_e32 v167, v159, v226
	v_fma_f32 v2, v149, v215, -v2
	v_fmac_f32_e32 v167, v160, v225
	v_add_f32_e32 v1, v1, v2
	v_mul_f32_e32 v2, v152, v218
	v_add_f32_e32 v18, v18, v167
	s_waitcnt vmcnt(29)
	v_mul_f32_e32 v167, v161, v227
	v_fma_f32 v2, v151, v217, -v2
	s_waitcnt vmcnt(26)
	v_fmac_f32_e32 v167, v162, v230
	v_add_f32_e32 v1, v1, v2
	v_mul_f32_e32 v2, v154, v220
	v_add_f32_e32 v18, v18, v167
	s_waitcnt lgkmcnt(0)
	v_mul_f32_e32 v167, v163, v229
	v_fma_f32 v2, v153, v219, -v2
	v_fmac_f32_e32 v167, v164, v228
	v_add_f32_e32 v1, v1, v2
	v_mul_f32_e32 v2, v156, v222
	v_add_f32_e32 v18, v18, v167
	ds_read_b128 v[167:170], v110 offset:768
	v_fma_f32 v2, v155, v221, -v2
	v_add_f32_e32 v1, v1, v2
	v_mul_f32_e32 v2, v158, v224
	s_waitcnt vmcnt(24)
	v_mul_f32_e32 v171, v165, v232
	v_fma_f32 v2, v157, v223, -v2
	v_fmac_f32_e32 v171, v166, v231
	v_add_f32_e32 v1, v1, v2
	v_mul_f32_e32 v2, v160, v226
	v_add_f32_e32 v18, v18, v171
	ds_read_b128 v[171:174], v110 offset:784
	v_fma_f32 v2, v159, v225, -v2
	s_waitcnt vmcnt(22) lgkmcnt(1)
	v_mul_f32_e32 v175, v167, v234
	v_add_f32_e32 v1, v1, v2
	v_mul_f32_e32 v2, v162, v227
	v_fmac_f32_e32 v175, v168, v233
	v_fma_f32 v2, v161, v230, -v2
	v_add_f32_e32 v18, v18, v175
	s_waitcnt vmcnt(21)
	v_mul_f32_e32 v175, v169, v235
	v_add_f32_e32 v1, v1, v2
	v_mul_f32_e32 v2, v164, v229
	s_waitcnt vmcnt(18)
	v_fmac_f32_e32 v175, v170, v238
	v_fma_f32 v2, v163, v228, -v2
	v_add_f32_e32 v18, v18, v175
	s_waitcnt lgkmcnt(0)
	v_mul_f32_e32 v175, v171, v237
	v_add_f32_e32 v1, v1, v2
	v_mul_f32_e32 v2, v166, v232
	v_fmac_f32_e32 v175, v172, v236
	v_fma_f32 v2, v165, v231, -v2
	v_add_f32_e32 v18, v18, v175
	ds_read_b128 v[175:178], v110 offset:800
	v_add_f32_e32 v1, v1, v2
	v_mul_f32_e32 v2, v168, v234
	v_fma_f32 v2, v167, v233, -v2
	s_waitcnt vmcnt(16)
	v_mul_f32_e32 v179, v173, v240
	v_add_f32_e32 v1, v1, v2
	v_mul_f32_e32 v2, v170, v235
	v_fmac_f32_e32 v179, v174, v239
	v_fma_f32 v2, v169, v238, -v2
	v_add_f32_e32 v18, v18, v179
	ds_read_b128 v[179:182], v110 offset:816
	v_add_f32_e32 v1, v1, v2
	v_mul_f32_e32 v2, v172, v237
	s_waitcnt vmcnt(14) lgkmcnt(1)
	v_mul_f32_e32 v183, v175, v242
	v_fma_f32 v2, v171, v236, -v2
	v_fmac_f32_e32 v183, v176, v241
	v_add_f32_e32 v1, v1, v2
	v_mul_f32_e32 v2, v174, v240
	v_add_f32_e32 v18, v18, v183
	s_waitcnt vmcnt(13)
	v_mul_f32_e32 v183, v177, v243
	v_fma_f32 v2, v173, v239, -v2
	s_waitcnt vmcnt(10)
	v_fmac_f32_e32 v183, v178, v246
	v_add_f32_e32 v1, v1, v2
	v_mul_f32_e32 v2, v176, v242
	v_add_f32_e32 v18, v18, v183
	s_waitcnt lgkmcnt(0)
	v_mul_f32_e32 v183, v179, v245
	v_fma_f32 v2, v175, v241, -v2
	v_fmac_f32_e32 v183, v180, v244
	v_add_f32_e32 v1, v1, v2
	v_mul_f32_e32 v2, v178, v243
	v_add_f32_e32 v18, v18, v183
	ds_read_b128 v[183:186], v110 offset:832
	v_fma_f32 v2, v177, v246, -v2
	v_add_f32_e32 v1, v1, v2
	v_mul_f32_e32 v2, v180, v245
	s_waitcnt vmcnt(8)
	v_mul_f32_e32 v187, v181, v248
	v_fma_f32 v2, v179, v244, -v2
	v_fmac_f32_e32 v187, v182, v247
	v_add_f32_e32 v1, v1, v2
	v_mul_f32_e32 v2, v182, v248
	v_add_f32_e32 v18, v18, v187
	ds_read_b128 v[187:190], v110 offset:848
	v_fma_f32 v2, v181, v247, -v2
	v_add_f32_e32 v1, v1, v2
	s_waitcnt vmcnt(6) lgkmcnt(1)
	v_mul_f32_e32 v2, v184, v250
	v_mul_f32_e32 v110, v183, v250
	v_fma_f32 v2, v183, v249, -v2
	v_fmac_f32_e32 v110, v184, v249
	v_add_f32_e32 v1, v1, v2
	s_waitcnt vmcnt(5)
	v_mul_f32_e32 v2, v186, v251
	v_add_f32_e32 v18, v18, v110
	v_mul_f32_e32 v110, v185, v251
	s_waitcnt vmcnt(2)
	v_fma_f32 v2, v185, v254, -v2
	v_fmac_f32_e32 v110, v186, v254
	v_add_f32_e32 v1, v1, v2
	s_waitcnt lgkmcnt(0)
	v_mul_f32_e32 v2, v188, v253
	v_add_f32_e32 v18, v18, v110
	v_mul_f32_e32 v110, v187, v253
	v_fma_f32 v2, v187, v252, -v2
	v_fmac_f32_e32 v110, v188, v252
	v_add_f32_e32 v1, v1, v2
	s_waitcnt vmcnt(0)
	v_mul_f32_e32 v2, v190, v17
	v_add_f32_e32 v18, v18, v110
	v_mul_f32_e32 v110, v189, v17
	v_fma_f32 v2, v189, v255, -v2
	v_fmac_f32_e32 v110, v190, v255
	v_add_f32_e32 v1, v1, v2
	v_add_f32_e32 v18, v18, v110
	v_sub_f32_e32 v1, v205, v1
	v_sub_f32_e32 v2, v206, v18
	buffer_store_dword v1, off, s[0:3], 0 offset:104
	buffer_store_dword v2, off, s[0:3], 0 offset:108
	s_and_saveexec_b64 s[4:5], vcc
	s_cbranch_execz .LBB53_313
; %bb.312:
	buffer_load_dword v110, off, s[0:3], 0 offset:96
	buffer_load_dword v111, off, s[0:3], 0 offset:100
	v_mov_b32_e32 v1, 0
	buffer_store_dword v1, off, s[0:3], 0 offset:96
	buffer_store_dword v1, off, s[0:3], 0 offset:100
	s_waitcnt vmcnt(2)
	ds_write_b64 v109, v[110:111]
.LBB53_313:
	s_or_b64 exec, exec, s[4:5]
	s_waitcnt lgkmcnt(0)
	; wave barrier
	buffer_load_dword v119, off, s[0:3], 0 offset:108
	buffer_load_dword v118, off, s[0:3], 0 offset:116
	;; [unrolled: 1-line block ×50, first 2 shown]
	v_mov_b32_e32 v110, 0
	ds_read2_b64 v[120:123], v110 offset0:67 offset1:68
	ds_read2_b64 v[124:127], v110 offset0:69 offset1:70
	;; [unrolled: 1-line block ×6, first 2 shown]
	buffer_load_dword v225, off, s[0:3], 0 offset:296
	buffer_load_dword v226, off, s[0:3], 0 offset:300
	;; [unrolled: 1-line block ×6, first 2 shown]
	v_cmp_lt_u32_e32 vcc, 11, v0
	s_waitcnt vmcnt(55) lgkmcnt(5)
	v_mul_f32_e32 v144, v120, v119
	s_waitcnt vmcnt(54)
	v_mul_f32_e32 v145, v122, v118
	s_waitcnt vmcnt(53) lgkmcnt(4)
	v_mul_f32_e32 v146, v124, v117
	s_waitcnt vmcnt(52)
	v_mul_f32_e32 v147, v126, v116
	s_waitcnt vmcnt(51) lgkmcnt(3)
	v_mul_f32_e32 v148, v128, v115
	s_waitcnt vmcnt(50)
	v_mul_f32_e32 v149, v130, v112
	s_waitcnt vmcnt(49) lgkmcnt(2)
	v_mul_f32_e32 v150, v132, v111
	s_waitcnt vmcnt(48)
	v_mul_f32_e32 v151, v134, v1
	s_waitcnt vmcnt(47) lgkmcnt(1)
	v_mul_f32_e32 v152, v136, v2
	s_waitcnt vmcnt(46)
	v_mul_f32_e32 v153, v138, v3
	s_waitcnt vmcnt(45) lgkmcnt(0)
	v_mul_f32_e32 v154, v140, v4
	s_waitcnt vmcnt(44)
	v_fmac_f32_e32 v146, v125, v5
	s_waitcnt vmcnt(43)
	v_fmac_f32_e32 v145, v123, v6
	;; [unrolled: 2-line block ×3, first 2 shown]
	v_add_f32_e32 v144, 0, v144
	v_add_f32_e32 v144, v144, v145
	;; [unrolled: 1-line block ×3, first 2 shown]
	s_waitcnt vmcnt(38)
	v_fmac_f32_e32 v147, v127, v11
	v_fmac_f32_e32 v148, v129, v10
	v_add_f32_e32 v144, v144, v147
	v_fmac_f32_e32 v149, v131, v9
	v_add_f32_e32 v144, v144, v148
	;; [unrolled: 2-line block ×3, first 2 shown]
	s_waitcnt vmcnt(34)
	v_fmac_f32_e32 v151, v135, v15
	v_add_f32_e32 v144, v144, v150
	v_fmac_f32_e32 v152, v137, v14
	v_add_f32_e32 v144, v144, v151
	v_fmac_f32_e32 v153, v139, v13
	v_add_f32_e32 v144, v144, v152
	v_fmac_f32_e32 v154, v141, v12
	v_add_f32_e32 v144, v144, v153
	v_add_f32_e32 v148, v144, v154
	ds_read2_b64 v[144:147], v110 offset0:79 offset1:80
	buffer_load_dword v231, off, s[0:3], 0 offset:320
	buffer_load_dword v232, off, s[0:3], 0 offset:324
	s_waitcnt vmcnt(35)
	v_mul_f32_e32 v149, v142, v16
	s_waitcnt vmcnt(29)
	v_fmac_f32_e32 v149, v143, v205
	v_add_f32_e32 v152, v148, v149
	ds_read2_b64 v[148:151], v110 offset0:81 offset1:82
	buffer_load_dword v233, off, s[0:3], 0 offset:328
	buffer_load_dword v234, off, s[0:3], 0 offset:332
	;; [unrolled: 1-line block ×14, first 2 shown]
	s_waitcnt vmcnt(42) lgkmcnt(1)
	v_mul_f32_e32 v153, v144, v206
	v_fmac_f32_e32 v153, v145, v204
	buffer_load_dword v247, off, s[0:3], 0 offset:384
	buffer_load_dword v248, off, s[0:3], 0 offset:388
	v_add_f32_e32 v152, v152, v153
	v_mul_f32_e32 v153, v146, v18
	v_fmac_f32_e32 v153, v147, v17
	v_add_f32_e32 v152, v152, v153
	s_waitcnt lgkmcnt(0)
	v_mul_f32_e32 v153, v148, v203
	v_fmac_f32_e32 v153, v149, v202
	v_add_f32_e32 v156, v152, v153
	ds_read2_b64 v[152:155], v110 offset0:83 offset1:84
	buffer_load_dword v249, off, s[0:3], 0 offset:392
	buffer_load_dword v250, off, s[0:3], 0 offset:396
	;; [unrolled: 1-line block ×6, first 2 shown]
	s_waitcnt vmcnt(46)
	v_mul_f32_e32 v157, v150, v208
	v_fmac_f32_e32 v157, v151, v207
	v_add_f32_e32 v160, v156, v157
	ds_read2_b64 v[156:159], v110 offset0:85 offset1:86
	buffer_load_dword v255, off, s[0:3], 0 offset:420
	buffer_load_dword v19, off, s[0:3], 0 offset:424
	;; [unrolled: 1-line block ×4, first 2 shown]
	s_waitcnt vmcnt(48) lgkmcnt(1)
	v_mul_f32_e32 v161, v152, v210
	v_fmac_f32_e32 v161, v153, v209
	v_add_f32_e32 v22, v160, v161
	s_waitcnt vmcnt(46)
	v_mul_f32_e32 v160, v154, v212
	v_fmac_f32_e32 v160, v155, v211
	v_add_f32_e32 v22, v22, v160
	s_waitcnt vmcnt(44) lgkmcnt(0)
	v_mul_f32_e32 v160, v156, v214
	v_fmac_f32_e32 v160, v157, v213
	v_add_f32_e32 v22, v22, v160
	ds_read2_b64 v[160:163], v110 offset0:87 offset1:88
	s_waitcnt vmcnt(42)
	v_mul_f32_e32 v164, v158, v216
	v_fmac_f32_e32 v164, v159, v215
	v_add_f32_e32 v22, v22, v164
	ds_read2_b64 v[164:167], v110 offset0:89 offset1:90
	s_waitcnt vmcnt(40) lgkmcnt(1)
	v_mul_f32_e32 v168, v160, v218
	v_fmac_f32_e32 v168, v161, v217
	v_add_f32_e32 v22, v22, v168
	s_waitcnt vmcnt(38)
	v_mul_f32_e32 v168, v162, v220
	v_fmac_f32_e32 v168, v163, v219
	v_add_f32_e32 v22, v22, v168
	s_waitcnt vmcnt(36) lgkmcnt(0)
	v_mul_f32_e32 v168, v164, v222
	v_fmac_f32_e32 v168, v165, v221
	v_add_f32_e32 v22, v22, v168
	ds_read2_b64 v[168:171], v110 offset0:91 offset1:92
	s_waitcnt vmcnt(34)
	v_mul_f32_e32 v172, v166, v224
	v_fmac_f32_e32 v172, v167, v223
	v_add_f32_e32 v22, v22, v172
	ds_read2_b64 v[172:175], v110 offset0:93 offset1:94
	s_waitcnt vmcnt(32) lgkmcnt(1)
	v_mul_f32_e32 v176, v168, v226
	v_fmac_f32_e32 v176, v169, v225
	v_add_f32_e32 v22, v22, v176
	s_waitcnt vmcnt(31)
	v_mul_f32_e32 v176, v170, v227
	s_waitcnt vmcnt(28)
	v_fmac_f32_e32 v176, v171, v230
	v_add_f32_e32 v22, v22, v176
	s_waitcnt lgkmcnt(0)
	v_mul_f32_e32 v176, v172, v229
	v_fmac_f32_e32 v176, v173, v228
	v_add_f32_e32 v22, v22, v176
	ds_read2_b64 v[176:179], v110 offset0:95 offset1:96
	v_mul_f32_e32 v1, v135, v1
	v_fma_f32 v1, v134, v15, -v1
	v_mul_f32_e32 v2, v137, v2
	v_fma_f32 v2, v136, v14, -v2
	s_waitcnt vmcnt(26)
	v_mul_f32_e32 v180, v174, v232
	v_fmac_f32_e32 v180, v175, v231
	v_add_f32_e32 v22, v22, v180
	ds_read2_b64 v[180:183], v110 offset0:97 offset1:98
	s_waitcnt vmcnt(24) lgkmcnt(1)
	v_mul_f32_e32 v184, v176, v234
	v_fmac_f32_e32 v184, v177, v233
	v_add_f32_e32 v22, v22, v184
	s_waitcnt vmcnt(23)
	v_mul_f32_e32 v184, v178, v235
	s_waitcnt vmcnt(20)
	v_fmac_f32_e32 v184, v179, v238
	v_add_f32_e32 v22, v22, v184
	s_waitcnt lgkmcnt(0)
	v_mul_f32_e32 v184, v180, v237
	v_fmac_f32_e32 v184, v181, v236
	v_add_f32_e32 v22, v22, v184
	ds_read2_b64 v[184:187], v110 offset0:99 offset1:100
	s_waitcnt vmcnt(18)
	v_mul_f32_e32 v188, v182, v240
	v_fmac_f32_e32 v188, v183, v239
	v_add_f32_e32 v22, v22, v188
	ds_read2_b64 v[188:191], v110 offset0:101 offset1:102
	s_waitcnt vmcnt(16) lgkmcnt(1)
	v_mul_f32_e32 v192, v184, v242
	v_fmac_f32_e32 v192, v185, v241
	v_add_f32_e32 v22, v22, v192
	s_waitcnt vmcnt(15)
	v_mul_f32_e32 v192, v186, v243
	s_waitcnt vmcnt(12)
	v_fmac_f32_e32 v192, v187, v246
	v_add_f32_e32 v22, v22, v192
	s_waitcnt lgkmcnt(0)
	v_mul_f32_e32 v192, v188, v245
	v_fmac_f32_e32 v192, v189, v244
	v_add_f32_e32 v22, v22, v192
	ds_read2_b64 v[192:195], v110 offset0:103 offset1:104
	s_waitcnt vmcnt(10)
	v_mul_f32_e32 v196, v190, v248
	v_fmac_f32_e32 v196, v191, v247
	v_add_f32_e32 v22, v22, v196
	ds_read2_b64 v[196:199], v110 offset0:105 offset1:106
	s_waitcnt vmcnt(8) lgkmcnt(1)
	v_mul_f32_e32 v200, v192, v250
	v_fmac_f32_e32 v200, v193, v249
	v_add_f32_e32 v22, v22, v200
	s_waitcnt vmcnt(7)
	v_mul_f32_e32 v200, v194, v251
	s_waitcnt vmcnt(4)
	v_fmac_f32_e32 v200, v195, v254
	v_add_f32_e32 v22, v22, v200
	ds_read_b64 v[200:201], v110 offset:856
	s_waitcnt lgkmcnt(1)
	v_mul_f32_e32 v23, v196, v253
	v_fmac_f32_e32 v23, v197, v252
	v_add_f32_e32 v22, v22, v23
	s_waitcnt vmcnt(3)
	v_mul_f32_e32 v23, v198, v255
	s_waitcnt vmcnt(0)
	v_fmac_f32_e32 v23, v199, v21
	v_add_f32_e32 v22, v22, v23
	s_waitcnt lgkmcnt(0)
	v_mul_f32_e32 v23, v200, v20
	v_fmac_f32_e32 v23, v201, v19
	v_add_f32_e32 v22, v22, v23
	v_mul_f32_e32 v23, v121, v119
	v_fma_f32 v7, v120, v7, -v23
	v_mul_f32_e32 v23, v123, v118
	v_add_f32_e32 v7, 0, v7
	v_fma_f32 v6, v122, v6, -v23
	v_add_f32_e32 v6, v7, v6
	v_mul_f32_e32 v7, v125, v117
	v_fma_f32 v5, v124, v5, -v7
	v_add_f32_e32 v5, v6, v5
	v_mul_f32_e32 v6, v127, v116
	;; [unrolled: 3-line block ×5, first 2 shown]
	v_fma_f32 v6, v132, v8, -v6
	v_add_f32_e32 v5, v5, v6
	v_add_f32_e32 v1, v5, v1
	;; [unrolled: 1-line block ×3, first 2 shown]
	v_mul_f32_e32 v2, v139, v3
	v_fma_f32 v2, v138, v13, -v2
	v_add_f32_e32 v1, v1, v2
	v_mul_f32_e32 v2, v141, v4
	v_fma_f32 v2, v140, v12, -v2
	v_add_f32_e32 v1, v1, v2
	;; [unrolled: 3-line block ×32, first 2 shown]
	v_sub_f32_e32 v1, v113, v1
	v_sub_f32_e32 v2, v114, v22
	buffer_store_dword v1, off, s[0:3], 0 offset:96
	buffer_store_dword v2, off, s[0:3], 0 offset:100
	s_and_saveexec_b64 s[4:5], vcc
	s_cbranch_execz .LBB53_315
; %bb.314:
	buffer_load_dword v111, off, s[0:3], 0 offset:88
	buffer_load_dword v112, off, s[0:3], 0 offset:92
	s_waitcnt vmcnt(0)
	ds_write_b64 v109, v[111:112]
	buffer_store_dword v110, off, s[0:3], 0 offset:88
	buffer_store_dword v110, off, s[0:3], 0 offset:92
.LBB53_315:
	s_or_b64 exec, exec, s[4:5]
	s_waitcnt lgkmcnt(0)
	; wave barrier
	buffer_load_dword v1, off, s[0:3], 0 offset:100
	buffer_load_dword v2, off, s[0:3], 0 offset:108
	;; [unrolled: 1-line block ×32, first 2 shown]
	ds_read_b128 v[111:114], v110 offset:528
	ds_read_b128 v[115:118], v110 offset:544
	;; [unrolled: 1-line block ×6, first 2 shown]
	buffer_load_dword v203, off, s[0:3], 0 offset:216
	buffer_load_dword v204, off, s[0:3], 0 offset:220
	;; [unrolled: 1-line block ×18, first 2 shown]
	v_cmp_lt_u32_e32 vcc, 10, v0
	s_waitcnt vmcnt(49) lgkmcnt(5)
	v_mul_f32_e32 v135, v111, v1
	s_waitcnt vmcnt(48)
	v_mul_f32_e32 v136, v113, v2
	s_waitcnt vmcnt(47) lgkmcnt(4)
	v_mul_f32_e32 v137, v115, v3
	s_waitcnt vmcnt(46)
	v_mul_f32_e32 v138, v117, v4
	;; [unrolled: 4-line block ×6, first 2 shown]
	s_waitcnt vmcnt(37)
	v_fmac_f32_e32 v137, v116, v13
	s_waitcnt vmcnt(36)
	v_fmac_f32_e32 v136, v114, v14
	s_waitcnt vmcnt(35)
	v_fmac_f32_e32 v135, v112, v15
	v_add_f32_e32 v135, 0, v135
	v_add_f32_e32 v135, v135, v136
	;; [unrolled: 1-line block ×3, first 2 shown]
	s_waitcnt vmcnt(31)
	v_fmac_f32_e32 v138, v118, v19
	v_fmac_f32_e32 v139, v120, v18
	v_add_f32_e32 v135, v135, v138
	v_fmac_f32_e32 v140, v122, v17
	v_add_f32_e32 v135, v135, v139
	;; [unrolled: 2-line block ×3, first 2 shown]
	s_waitcnt vmcnt(27)
	v_fmac_f32_e32 v142, v126, v23
	v_add_f32_e32 v135, v135, v141
	v_fmac_f32_e32 v143, v128, v22
	v_add_f32_e32 v135, v135, v142
	v_fmac_f32_e32 v144, v130, v21
	v_add_f32_e32 v135, v135, v143
	v_add_f32_e32 v139, v135, v144
	ds_read_b128 v[135:138], v110 offset:624
	buffer_load_dword v221, off, s[0:3], 0 offset:288
	buffer_load_dword v222, off, s[0:3], 0 offset:292
	;; [unrolled: 1-line block ×6, first 2 shown]
	v_fmac_f32_e32 v145, v132, v20
	s_waitcnt vmcnt(27)
	v_fmac_f32_e32 v146, v134, v199
	v_add_f32_e32 v139, v139, v145
	v_add_f32_e32 v143, v139, v146
	ds_read_b128 v[139:142], v110 offset:640
	buffer_load_dword v227, off, s[0:3], 0 offset:312
	buffer_load_dword v228, off, s[0:3], 0 offset:316
	;; [unrolled: 1-line block ×10, first 2 shown]
	s_waitcnt vmcnt(36) lgkmcnt(1)
	v_mul_f32_e32 v144, v135, v200
	buffer_load_dword v237, off, s[0:3], 0 offset:352
	buffer_load_dword v238, off, s[0:3], 0 offset:356
	;; [unrolled: 1-line block ×6, first 2 shown]
	v_fmac_f32_e32 v144, v136, v198
	v_add_f32_e32 v143, v143, v144
	v_mul_f32_e32 v144, v137, v195
	v_fmac_f32_e32 v144, v138, v24
	v_add_f32_e32 v143, v143, v144
	s_waitcnt lgkmcnt(0)
	v_mul_f32_e32 v144, v139, v197
	v_fmac_f32_e32 v144, v140, v196
	v_add_f32_e32 v147, v143, v144
	ds_read_b128 v[143:146], v110 offset:656
	buffer_load_dword v243, off, s[0:3], 0 offset:376
	buffer_load_dword v244, off, s[0:3], 0 offset:380
	s_waitcnt vmcnt(40)
	v_mul_f32_e32 v148, v141, v204
	v_fmac_f32_e32 v148, v142, v203
	v_add_f32_e32 v151, v147, v148
	ds_read_b128 v[147:150], v110 offset:672
	buffer_load_dword v245, off, s[0:3], 0 offset:384
	buffer_load_dword v246, off, s[0:3], 0 offset:388
	;; [unrolled: 1-line block ×12, first 2 shown]
	v_mul_f32_e32 v1, v112, v1
	v_fma_f32 v1, v111, v15, -v1
	v_mul_f32_e32 v2, v114, v2
	v_add_f32_e32 v1, 0, v1
	v_fma_f32 v2, v113, v14, -v2
	v_add_f32_e32 v1, v1, v2
	v_mul_f32_e32 v2, v116, v3
	v_fma_f32 v2, v115, v13, -v2
	v_add_f32_e32 v1, v1, v2
	v_mul_f32_e32 v2, v118, v4
	;; [unrolled: 3-line block ×6, first 2 shown]
	v_fma_f32 v2, v125, v23, -v2
	s_waitcnt vmcnt(50) lgkmcnt(1)
	v_mul_f32_e32 v152, v143, v206
	v_add_f32_e32 v1, v1, v2
	v_mul_f32_e32 v2, v128, v9
	v_fmac_f32_e32 v152, v144, v205
	v_fma_f32 v2, v127, v22, -v2
	v_add_f32_e32 v151, v151, v152
	s_waitcnt vmcnt(48)
	v_mul_f32_e32 v152, v145, v208
	v_add_f32_e32 v1, v1, v2
	v_mul_f32_e32 v2, v130, v10
	v_fmac_f32_e32 v152, v146, v207
	v_fma_f32 v2, v129, v21, -v2
	v_add_f32_e32 v26, v151, v152
	s_waitcnt vmcnt(46) lgkmcnt(0)
	v_mul_f32_e32 v151, v147, v210
	v_add_f32_e32 v1, v1, v2
	v_mul_f32_e32 v2, v132, v11
	v_fmac_f32_e32 v151, v148, v209
	v_fma_f32 v2, v131, v20, -v2
	v_add_f32_e32 v26, v26, v151
	ds_read_b128 v[151:154], v110 offset:688
	v_add_f32_e32 v1, v1, v2
	v_mul_f32_e32 v2, v134, v12
	v_fma_f32 v2, v133, v199, -v2
	s_waitcnt vmcnt(44)
	v_mul_f32_e32 v155, v149, v212
	v_add_f32_e32 v1, v1, v2
	v_mul_f32_e32 v2, v136, v200
	v_fmac_f32_e32 v155, v150, v211
	v_fma_f32 v2, v135, v198, -v2
	v_add_f32_e32 v26, v26, v155
	ds_read_b128 v[155:158], v110 offset:704
	v_add_f32_e32 v1, v1, v2
	v_mul_f32_e32 v2, v138, v195
	s_waitcnt vmcnt(42) lgkmcnt(1)
	v_mul_f32_e32 v159, v151, v214
	v_fma_f32 v2, v137, v24, -v2
	v_fmac_f32_e32 v159, v152, v213
	v_add_f32_e32 v1, v1, v2
	v_mul_f32_e32 v2, v140, v197
	v_add_f32_e32 v26, v26, v159
	s_waitcnt vmcnt(40)
	v_mul_f32_e32 v159, v153, v216
	v_fma_f32 v2, v139, v196, -v2
	v_fmac_f32_e32 v159, v154, v215
	v_add_f32_e32 v1, v1, v2
	v_mul_f32_e32 v2, v142, v204
	v_add_f32_e32 v26, v26, v159
	s_waitcnt vmcnt(38) lgkmcnt(0)
	v_mul_f32_e32 v159, v155, v218
	v_fma_f32 v2, v141, v203, -v2
	v_fmac_f32_e32 v159, v156, v217
	v_add_f32_e32 v1, v1, v2
	v_mul_f32_e32 v2, v144, v206
	v_add_f32_e32 v26, v26, v159
	ds_read_b128 v[159:162], v110 offset:720
	v_fma_f32 v2, v143, v205, -v2
	v_add_f32_e32 v1, v1, v2
	v_mul_f32_e32 v2, v146, v208
	s_waitcnt vmcnt(36)
	v_mul_f32_e32 v163, v157, v220
	v_fma_f32 v2, v145, v207, -v2
	v_fmac_f32_e32 v163, v158, v219
	v_add_f32_e32 v1, v1, v2
	v_mul_f32_e32 v2, v148, v210
	v_add_f32_e32 v26, v26, v163
	ds_read_b128 v[163:166], v110 offset:736
	v_fma_f32 v2, v147, v209, -v2
	s_waitcnt vmcnt(34) lgkmcnt(1)
	v_mul_f32_e32 v167, v159, v222
	v_add_f32_e32 v1, v1, v2
	v_mul_f32_e32 v2, v150, v212
	v_fmac_f32_e32 v167, v160, v221
	v_fma_f32 v2, v149, v211, -v2
	v_add_f32_e32 v26, v26, v167
	s_waitcnt vmcnt(33)
	v_mul_f32_e32 v167, v161, v223
	v_add_f32_e32 v1, v1, v2
	v_mul_f32_e32 v2, v152, v214
	s_waitcnt vmcnt(30)
	v_fmac_f32_e32 v167, v162, v226
	v_fma_f32 v2, v151, v213, -v2
	v_add_f32_e32 v26, v26, v167
	s_waitcnt lgkmcnt(0)
	v_mul_f32_e32 v167, v163, v225
	v_add_f32_e32 v1, v1, v2
	v_mul_f32_e32 v2, v154, v216
	v_fmac_f32_e32 v167, v164, v224
	v_fma_f32 v2, v153, v215, -v2
	v_add_f32_e32 v26, v26, v167
	ds_read_b128 v[167:170], v110 offset:752
	v_add_f32_e32 v1, v1, v2
	v_mul_f32_e32 v2, v156, v218
	v_fma_f32 v2, v155, v217, -v2
	s_waitcnt vmcnt(28)
	v_mul_f32_e32 v171, v165, v228
	v_add_f32_e32 v1, v1, v2
	v_mul_f32_e32 v2, v158, v220
	v_fmac_f32_e32 v171, v166, v227
	v_fma_f32 v2, v157, v219, -v2
	v_add_f32_e32 v26, v26, v171
	ds_read_b128 v[171:174], v110 offset:768
	v_add_f32_e32 v1, v1, v2
	v_mul_f32_e32 v2, v160, v222
	s_waitcnt vmcnt(26) lgkmcnt(1)
	v_mul_f32_e32 v175, v167, v230
	v_fma_f32 v2, v159, v221, -v2
	v_fmac_f32_e32 v175, v168, v229
	v_add_f32_e32 v1, v1, v2
	v_mul_f32_e32 v2, v162, v223
	v_add_f32_e32 v26, v26, v175
	s_waitcnt vmcnt(25)
	v_mul_f32_e32 v175, v169, v231
	v_fma_f32 v2, v161, v226, -v2
	s_waitcnt vmcnt(22)
	v_fmac_f32_e32 v175, v170, v234
	v_add_f32_e32 v1, v1, v2
	v_mul_f32_e32 v2, v164, v225
	v_add_f32_e32 v26, v26, v175
	s_waitcnt lgkmcnt(0)
	v_mul_f32_e32 v175, v171, v233
	v_fma_f32 v2, v163, v224, -v2
	v_fmac_f32_e32 v175, v172, v232
	v_add_f32_e32 v1, v1, v2
	v_mul_f32_e32 v2, v166, v228
	v_add_f32_e32 v26, v26, v175
	ds_read_b128 v[175:178], v110 offset:784
	v_fma_f32 v2, v165, v227, -v2
	v_add_f32_e32 v1, v1, v2
	v_mul_f32_e32 v2, v168, v230
	s_waitcnt vmcnt(20)
	v_mul_f32_e32 v179, v173, v236
	v_fma_f32 v2, v167, v229, -v2
	v_fmac_f32_e32 v179, v174, v235
	v_add_f32_e32 v1, v1, v2
	v_mul_f32_e32 v2, v170, v231
	v_add_f32_e32 v26, v26, v179
	ds_read_b128 v[179:182], v110 offset:800
	v_fma_f32 v2, v169, v234, -v2
	s_waitcnt vmcnt(18) lgkmcnt(1)
	v_mul_f32_e32 v183, v175, v238
	v_add_f32_e32 v1, v1, v2
	v_mul_f32_e32 v2, v172, v233
	v_fmac_f32_e32 v183, v176, v237
	v_fma_f32 v2, v171, v232, -v2
	v_add_f32_e32 v26, v26, v183
	s_waitcnt vmcnt(17)
	v_mul_f32_e32 v183, v177, v239
	v_add_f32_e32 v1, v1, v2
	v_mul_f32_e32 v2, v174, v236
	s_waitcnt vmcnt(14)
	v_fmac_f32_e32 v183, v178, v242
	v_fma_f32 v2, v173, v235, -v2
	v_add_f32_e32 v26, v26, v183
	s_waitcnt lgkmcnt(0)
	v_mul_f32_e32 v183, v179, v241
	v_add_f32_e32 v1, v1, v2
	v_mul_f32_e32 v2, v176, v238
	v_fmac_f32_e32 v183, v180, v240
	v_fma_f32 v2, v175, v237, -v2
	v_add_f32_e32 v26, v26, v183
	ds_read_b128 v[183:186], v110 offset:816
	v_add_f32_e32 v1, v1, v2
	v_mul_f32_e32 v2, v178, v239
	v_fma_f32 v2, v177, v242, -v2
	v_add_f32_e32 v1, v1, v2
	v_mul_f32_e32 v2, v180, v241
	s_waitcnt vmcnt(12)
	v_mul_f32_e32 v187, v181, v244
	v_fma_f32 v2, v179, v240, -v2
	v_fmac_f32_e32 v187, v182, v243
	v_add_f32_e32 v1, v1, v2
	v_mul_f32_e32 v2, v182, v244
	v_add_f32_e32 v26, v26, v187
	ds_read_b128 v[187:190], v110 offset:832
	s_waitcnt vmcnt(10) lgkmcnt(1)
	v_mul_f32_e32 v191, v183, v246
	v_fma_f32 v2, v181, v243, -v2
	v_fmac_f32_e32 v191, v184, v245
	v_add_f32_e32 v1, v1, v2
	v_mul_f32_e32 v2, v184, v246
	v_add_f32_e32 v26, v26, v191
	s_waitcnt vmcnt(9)
	v_mul_f32_e32 v191, v185, v247
	v_fma_f32 v2, v183, v245, -v2
	s_waitcnt vmcnt(6)
	v_fmac_f32_e32 v191, v186, v250
	v_add_f32_e32 v1, v1, v2
	v_mul_f32_e32 v2, v186, v247
	v_add_f32_e32 v26, v26, v191
	ds_read_b128 v[191:194], v110 offset:848
	v_fma_f32 v2, v185, v250, -v2
	v_add_f32_e32 v1, v1, v2
	s_waitcnt lgkmcnt(1)
	v_mul_f32_e32 v2, v188, v249
	v_mul_f32_e32 v27, v187, v249
	v_fma_f32 v2, v187, v248, -v2
	v_fmac_f32_e32 v27, v188, v248
	v_add_f32_e32 v1, v1, v2
	s_waitcnt vmcnt(4)
	v_mul_f32_e32 v2, v190, v252
	v_add_f32_e32 v26, v26, v27
	v_mul_f32_e32 v27, v189, v252
	v_fma_f32 v2, v189, v251, -v2
	v_fmac_f32_e32 v27, v190, v251
	v_add_f32_e32 v1, v1, v2
	s_waitcnt vmcnt(3) lgkmcnt(0)
	v_mul_f32_e32 v2, v192, v253
	v_add_f32_e32 v26, v26, v27
	v_mul_f32_e32 v27, v191, v253
	s_waitcnt vmcnt(0)
	v_fma_f32 v2, v191, v25, -v2
	v_fmac_f32_e32 v27, v192, v25
	v_add_f32_e32 v1, v1, v2
	v_mul_f32_e32 v2, v194, v255
	v_add_f32_e32 v26, v26, v27
	v_mul_f32_e32 v27, v193, v255
	v_fma_f32 v2, v193, v254, -v2
	v_fmac_f32_e32 v27, v194, v254
	v_add_f32_e32 v1, v1, v2
	v_add_f32_e32 v26, v26, v27
	v_sub_f32_e32 v1, v201, v1
	v_sub_f32_e32 v2, v202, v26
	buffer_store_dword v1, off, s[0:3], 0 offset:88
	buffer_store_dword v2, off, s[0:3], 0 offset:92
	s_and_saveexec_b64 s[4:5], vcc
	s_cbranch_execz .LBB53_317
; %bb.316:
	buffer_load_dword v110, off, s[0:3], 0 offset:80
	buffer_load_dword v111, off, s[0:3], 0 offset:84
	v_mov_b32_e32 v1, 0
	buffer_store_dword v1, off, s[0:3], 0 offset:80
	buffer_store_dword v1, off, s[0:3], 0 offset:84
	s_waitcnt vmcnt(2)
	ds_write_b64 v109, v[110:111]
.LBB53_317:
	s_or_b64 exec, exec, s[4:5]
	s_waitcnt lgkmcnt(0)
	; wave barrier
	buffer_load_dword v119, off, s[0:3], 0 offset:92
	buffer_load_dword v118, off, s[0:3], 0 offset:100
	;; [unrolled: 1-line block ×48, first 2 shown]
	v_mov_b32_e32 v110, 0
	ds_read2_b64 v[125:128], v110 offset0:65 offset1:66
	ds_read2_b64 v[129:132], v110 offset0:67 offset1:68
	ds_read2_b64 v[133:136], v110 offset0:69 offset1:70
	ds_read2_b64 v[137:140], v110 offset0:71 offset1:72
	ds_read2_b64 v[141:144], v110 offset0:73 offset1:74
	ds_read2_b64 v[145:148], v110 offset0:75 offset1:76
	buffer_load_dword v217, off, s[0:3], 0 offset:272
	buffer_load_dword v218, off, s[0:3], 0 offset:276
	v_cmp_lt_u32_e32 vcc, 9, v0
	s_waitcnt vmcnt(49) lgkmcnt(5)
	v_mul_f32_e32 v149, v125, v119
	s_waitcnt vmcnt(48)
	v_mul_f32_e32 v150, v127, v118
	s_waitcnt vmcnt(47) lgkmcnt(4)
	v_mul_f32_e32 v151, v129, v117
	s_waitcnt vmcnt(46)
	v_mul_f32_e32 v152, v131, v116
	s_waitcnt vmcnt(45) lgkmcnt(3)
	v_mul_f32_e32 v153, v133, v115
	s_waitcnt vmcnt(44)
	v_mul_f32_e32 v154, v135, v114
	s_waitcnt vmcnt(43) lgkmcnt(2)
	v_mul_f32_e32 v155, v137, v113
	s_waitcnt vmcnt(42)
	v_mul_f32_e32 v156, v139, v120
	s_waitcnt vmcnt(41) lgkmcnt(1)
	v_mul_f32_e32 v157, v141, v121
	s_waitcnt vmcnt(40)
	v_mul_f32_e32 v158, v143, v122
	s_waitcnt vmcnt(39) lgkmcnt(0)
	v_mul_f32_e32 v159, v145, v123
	s_waitcnt vmcnt(38)
	v_mul_f32_e32 v160, v147, v124
	s_waitcnt vmcnt(37)
	v_fmac_f32_e32 v151, v130, v1
	s_waitcnt vmcnt(36)
	v_fmac_f32_e32 v150, v128, v2
	;; [unrolled: 2-line block ×3, first 2 shown]
	v_add_f32_e32 v149, 0, v149
	v_add_f32_e32 v149, v149, v150
	v_add_f32_e32 v149, v149, v151
	s_waitcnt vmcnt(31)
	v_fmac_f32_e32 v152, v132, v7
	v_fmac_f32_e32 v153, v134, v6
	v_add_f32_e32 v149, v149, v152
	v_fmac_f32_e32 v154, v136, v5
	v_add_f32_e32 v149, v149, v153
	;; [unrolled: 2-line block ×3, first 2 shown]
	s_waitcnt vmcnt(27)
	v_fmac_f32_e32 v156, v140, v11
	v_add_f32_e32 v149, v149, v155
	v_fmac_f32_e32 v157, v142, v10
	v_add_f32_e32 v149, v149, v156
	;; [unrolled: 2-line block ×4, first 2 shown]
	v_add_f32_e32 v153, v149, v159
	ds_read2_b64 v[149:152], v110 offset0:77 offset1:78
	buffer_load_dword v219, off, s[0:3], 0 offset:280
	buffer_load_dword v220, off, s[0:3], 0 offset:284
	buffer_load_dword v221, off, s[0:3], 0 offset:292
	buffer_load_dword v222, off, s[0:3], 0 offset:296
	buffer_load_dword v223, off, s[0:3], 0 offset:300
	buffer_load_dword v224, off, s[0:3], 0 offset:288
	s_waitcnt vmcnt(28)
	v_fmac_f32_e32 v160, v148, v16
	v_add_f32_e32 v157, v153, v160
	ds_read2_b64 v[153:156], v110 offset0:79 offset1:80
	buffer_load_dword v225, off, s[0:3], 0 offset:304
	buffer_load_dword v226, off, s[0:3], 0 offset:308
	buffer_load_dword v227, off, s[0:3], 0 offset:312
	buffer_load_dword v228, off, s[0:3], 0 offset:316
	buffer_load_dword v229, off, s[0:3], 0 offset:324
	buffer_load_dword v230, off, s[0:3], 0 offset:328
	buffer_load_dword v231, off, s[0:3], 0 offset:332
	buffer_load_dword v232, off, s[0:3], 0 offset:320
	s_waitcnt vmcnt(35) lgkmcnt(1)
	v_mul_f32_e32 v158, v149, v17
	buffer_load_dword v233, off, s[0:3], 0 offset:336
	buffer_load_dword v234, off, s[0:3], 0 offset:340
	v_fmac_f32_e32 v158, v150, v15
	v_add_f32_e32 v157, v157, v158
	s_waitcnt vmcnt(36)
	v_mul_f32_e32 v158, v151, v18
	v_fmac_f32_e32 v158, v152, v14
	v_add_f32_e32 v157, v157, v158
	s_waitcnt lgkmcnt(0)
	v_mul_f32_e32 v158, v153, v13
	v_fmac_f32_e32 v158, v154, v12
	v_add_f32_e32 v161, v157, v158
	ds_read2_b64 v[157:160], v110 offset0:81 offset1:82
	buffer_load_dword v235, off, s[0:3], 0 offset:344
	buffer_load_dword v236, off, s[0:3], 0 offset:348
	;; [unrolled: 1-line block ×6, first 2 shown]
	s_waitcnt vmcnt(38)
	v_mul_f32_e32 v162, v155, v20
	v_fmac_f32_e32 v162, v156, v19
	v_add_f32_e32 v165, v161, v162
	ds_read2_b64 v[161:164], v110 offset0:83 offset1:84
	buffer_load_dword v241, off, s[0:3], 0 offset:368
	buffer_load_dword v242, off, s[0:3], 0 offset:372
	;; [unrolled: 1-line block ×16, first 2 shown]
	s_waitcnt vmcnt(52) lgkmcnt(1)
	v_mul_f32_e32 v166, v157, v22
	v_fmac_f32_e32 v166, v158, v21
	v_add_f32_e32 v165, v165, v166
	s_waitcnt vmcnt(50)
	v_mul_f32_e32 v166, v159, v24
	v_fmac_f32_e32 v166, v160, v23
	v_add_f32_e32 v165, v165, v166
	s_waitcnt vmcnt(48) lgkmcnt(0)
	v_mul_f32_e32 v166, v161, v26
	v_fmac_f32_e32 v166, v162, v25
	v_add_f32_e32 v169, v165, v166
	ds_read2_b64 v[165:168], v110 offset0:85 offset1:86
	s_waitcnt vmcnt(46)
	v_mul_f32_e32 v30, v163, v28
	v_fmac_f32_e32 v30, v164, v27
	v_add_f32_e32 v30, v169, v30
	ds_read2_b64 v[169:172], v110 offset0:87 offset1:88
	s_waitcnt vmcnt(44) lgkmcnt(1)
	v_mul_f32_e32 v173, v165, v212
	v_fmac_f32_e32 v173, v166, v211
	v_add_f32_e32 v30, v30, v173
	s_waitcnt vmcnt(42)
	v_mul_f32_e32 v173, v167, v214
	v_fmac_f32_e32 v173, v168, v213
	v_add_f32_e32 v30, v30, v173
	s_waitcnt vmcnt(40) lgkmcnt(0)
	v_mul_f32_e32 v173, v169, v216
	v_fmac_f32_e32 v173, v170, v215
	v_add_f32_e32 v30, v30, v173
	ds_read2_b64 v[173:176], v110 offset0:89 offset1:90
	s_waitcnt vmcnt(38)
	v_mul_f32_e32 v177, v171, v218
	v_fmac_f32_e32 v177, v172, v217
	v_add_f32_e32 v30, v30, v177
	ds_read2_b64 v[177:180], v110 offset0:91 offset1:92
	s_waitcnt vmcnt(36) lgkmcnt(1)
	v_mul_f32_e32 v181, v173, v220
	v_fmac_f32_e32 v181, v174, v219
	v_add_f32_e32 v30, v30, v181
	s_waitcnt vmcnt(35)
	v_mul_f32_e32 v181, v175, v221
	s_waitcnt vmcnt(32)
	v_fmac_f32_e32 v181, v176, v224
	v_add_f32_e32 v30, v30, v181
	s_waitcnt lgkmcnt(0)
	v_mul_f32_e32 v181, v177, v223
	v_fmac_f32_e32 v181, v178, v222
	v_add_f32_e32 v30, v30, v181
	ds_read2_b64 v[181:184], v110 offset0:93 offset1:94
	s_waitcnt vmcnt(30)
	v_mul_f32_e32 v185, v179, v226
	v_fmac_f32_e32 v185, v180, v225
	v_add_f32_e32 v30, v30, v185
	ds_read2_b64 v[185:188], v110 offset0:95 offset1:96
	s_waitcnt vmcnt(28) lgkmcnt(1)
	v_mul_f32_e32 v189, v181, v228
	v_fmac_f32_e32 v189, v182, v227
	v_add_f32_e32 v30, v30, v189
	s_waitcnt vmcnt(27)
	v_mul_f32_e32 v189, v183, v229
	s_waitcnt vmcnt(24)
	v_fmac_f32_e32 v189, v184, v232
	v_add_f32_e32 v30, v30, v189
	s_waitcnt lgkmcnt(0)
	;; [unrolled: 19-line block ×4, first 2 shown]
	v_mul_f32_e32 v205, v201, v247
	v_fmac_f32_e32 v205, v202, v246
	v_add_f32_e32 v30, v30, v205
	ds_read2_b64 v[205:208], v110 offset0:105 offset1:106
	s_waitcnt vmcnt(6)
	v_mul_f32_e32 v209, v203, v250
	v_fmac_f32_e32 v209, v204, v249
	v_add_f32_e32 v30, v30, v209
	ds_read_b64 v[209:210], v110 offset:856
	s_waitcnt vmcnt(4) lgkmcnt(1)
	v_mul_f32_e32 v31, v205, v252
	v_fmac_f32_e32 v31, v206, v251
	v_add_f32_e32 v30, v30, v31
	s_waitcnt vmcnt(3)
	v_mul_f32_e32 v31, v207, v253
	s_waitcnt vmcnt(0)
	v_fmac_f32_e32 v31, v208, v29
	v_add_f32_e32 v30, v30, v31
	s_waitcnt lgkmcnt(0)
	v_mul_f32_e32 v31, v209, v255
	v_fmac_f32_e32 v31, v210, v254
	v_add_f32_e32 v30, v30, v31
	v_mul_f32_e32 v31, v126, v119
	v_fma_f32 v3, v125, v3, -v31
	v_mul_f32_e32 v31, v128, v118
	v_add_f32_e32 v3, 0, v3
	v_fma_f32 v2, v127, v2, -v31
	v_add_f32_e32 v2, v3, v2
	v_mul_f32_e32 v3, v130, v117
	v_fma_f32 v1, v129, v1, -v3
	v_add_f32_e32 v1, v2, v1
	v_mul_f32_e32 v2, v132, v116
	;; [unrolled: 3-line block ×41, first 2 shown]
	v_fma_f32 v2, v209, v254, -v2
	v_add_f32_e32 v1, v1, v2
	v_sub_f32_e32 v1, v111, v1
	v_sub_f32_e32 v2, v112, v30
	buffer_store_dword v1, off, s[0:3], 0 offset:80
	buffer_store_dword v2, off, s[0:3], 0 offset:84
	s_and_saveexec_b64 s[4:5], vcc
	s_cbranch_execz .LBB53_319
; %bb.318:
	buffer_load_dword v111, off, s[0:3], 0 offset:72
	buffer_load_dword v112, off, s[0:3], 0 offset:76
	s_waitcnt vmcnt(0)
	ds_write_b64 v109, v[111:112]
	buffer_store_dword v110, off, s[0:3], 0 offset:72
	buffer_store_dword v110, off, s[0:3], 0 offset:76
.LBB53_319:
	s_or_b64 exec, exec, s[4:5]
	s_waitcnt lgkmcnt(0)
	; wave barrier
	buffer_load_dword v119, off, s[0:3], 0 offset:84
	buffer_load_dword v118, off, s[0:3], 0 offset:92
	;; [unrolled: 1-line block ×32, first 2 shown]
	ds_read_b128 v[125:128], v110 offset:512
	ds_read_b128 v[129:132], v110 offset:528
	;; [unrolled: 1-line block ×4, first 2 shown]
	buffer_load_dword v19, off, s[0:3], 0 offset:200
	buffer_load_dword v20, off, s[0:3], 0 offset:204
	ds_read_b128 v[141:144], v110 offset:576
	ds_read_b128 v[145:148], v110 offset:592
	;; [unrolled: 1-line block ×3, first 2 shown]
	buffer_load_dword v21, off, s[0:3], 0 offset:208
	buffer_load_dword v22, off, s[0:3], 0 offset:212
	buffer_load_dword v23, off, s[0:3], 0 offset:216
	buffer_load_dword v24, off, s[0:3], 0 offset:220
	buffer_load_dword v25, off, s[0:3], 0 offset:224
	buffer_load_dword v26, off, s[0:3], 0 offset:228
	buffer_load_dword v27, off, s[0:3], 0 offset:232
	buffer_load_dword v28, off, s[0:3], 0 offset:236
	buffer_load_dword v29, off, s[0:3], 0 offset:240
	buffer_load_dword v30, off, s[0:3], 0 offset:244
	buffer_load_dword v31, off, s[0:3], 0 offset:248
	buffer_load_dword v32, off, s[0:3], 0 offset:252
	buffer_load_dword v213, off, s[0:3], 0 offset:256
	buffer_load_dword v214, off, s[0:3], 0 offset:260
	buffer_load_dword v215, off, s[0:3], 0 offset:264
	buffer_load_dword v216, off, s[0:3], 0 offset:268
	v_cmp_lt_u32_e32 vcc, 8, v0
	s_waitcnt vmcnt(49) lgkmcnt(6)
	v_mul_f32_e32 v153, v125, v119
	s_waitcnt vmcnt(48)
	v_mul_f32_e32 v154, v127, v118
	s_waitcnt vmcnt(47) lgkmcnt(5)
	v_mul_f32_e32 v155, v129, v117
	s_waitcnt vmcnt(46)
	v_mul_f32_e32 v156, v131, v116
	;; [unrolled: 4-line block ×6, first 2 shown]
	s_waitcnt vmcnt(37)
	v_fmac_f32_e32 v155, v130, v1
	s_waitcnt vmcnt(36)
	v_fmac_f32_e32 v154, v128, v2
	;; [unrolled: 2-line block ×3, first 2 shown]
	v_add_f32_e32 v153, 0, v153
	v_add_f32_e32 v153, v153, v154
	;; [unrolled: 1-line block ×3, first 2 shown]
	s_waitcnt vmcnt(31)
	v_fmac_f32_e32 v156, v132, v7
	v_fmac_f32_e32 v157, v134, v6
	v_add_f32_e32 v153, v153, v156
	v_fmac_f32_e32 v158, v136, v5
	v_add_f32_e32 v153, v153, v157
	;; [unrolled: 2-line block ×3, first 2 shown]
	s_waitcnt vmcnt(27)
	v_fmac_f32_e32 v160, v140, v11
	v_add_f32_e32 v153, v153, v159
	v_fmac_f32_e32 v161, v142, v10
	v_add_f32_e32 v153, v153, v160
	;; [unrolled: 2-line block ×4, first 2 shown]
	s_waitcnt vmcnt(23)
	v_fmac_f32_e32 v164, v148, v15
	v_add_f32_e32 v153, v153, v163
	v_add_f32_e32 v157, v153, v164
	ds_read_b128 v[153:156], v110 offset:624
	buffer_load_dword v217, off, s[0:3], 0 offset:272
	buffer_load_dword v218, off, s[0:3], 0 offset:276
	;; [unrolled: 1-line block ×14, first 2 shown]
	s_waitcnt vmcnt(36) lgkmcnt(1)
	v_mul_f32_e32 v158, v149, v16
	buffer_load_dword v231, off, s[0:3], 0 offset:328
	buffer_load_dword v232, off, s[0:3], 0 offset:332
	v_fmac_f32_e32 v158, v150, v14
	v_add_f32_e32 v157, v157, v158
	s_waitcnt vmcnt(37)
	v_mul_f32_e32 v158, v151, v17
	v_fmac_f32_e32 v158, v152, v13
	v_add_f32_e32 v157, v157, v158
	s_waitcnt vmcnt(36) lgkmcnt(0)
	v_mul_f32_e32 v158, v153, v18
	v_fmac_f32_e32 v158, v154, v12
	v_add_f32_e32 v161, v157, v158
	ds_read_b128 v[157:160], v110 offset:640
	buffer_load_dword v233, off, s[0:3], 0 offset:336
	buffer_load_dword v234, off, s[0:3], 0 offset:340
	;; [unrolled: 1-line block ×6, first 2 shown]
	s_waitcnt vmcnt(38)
	v_mul_f32_e32 v162, v155, v20
	v_fmac_f32_e32 v162, v156, v19
	v_add_f32_e32 v165, v161, v162
	ds_read_b128 v[161:164], v110 offset:656
	buffer_load_dword v239, off, s[0:3], 0 offset:360
	buffer_load_dword v240, off, s[0:3], 0 offset:364
	;; [unrolled: 1-line block ×10, first 2 shown]
	s_waitcnt vmcnt(46) lgkmcnt(1)
	v_mul_f32_e32 v166, v157, v22
	v_fmac_f32_e32 v166, v158, v21
	v_add_f32_e32 v165, v165, v166
	s_waitcnt vmcnt(44)
	v_mul_f32_e32 v166, v159, v24
	v_fmac_f32_e32 v166, v160, v23
	v_add_f32_e32 v165, v165, v166
	s_waitcnt vmcnt(42) lgkmcnt(0)
	v_mul_f32_e32 v166, v161, v26
	buffer_load_dword v249, off, s[0:3], 0 offset:400
	buffer_load_dword v250, off, s[0:3], 0 offset:404
	;; [unrolled: 1-line block ×6, first 2 shown]
	v_fmac_f32_e32 v166, v162, v25
	s_waitcnt vmcnt(46)
	v_mul_f32_e32 v170, v163, v28
	v_add_f32_e32 v169, v165, v166
	v_fmac_f32_e32 v170, v164, v27
	ds_read_b128 v[165:168], v110 offset:672
	v_add_f32_e32 v173, v169, v170
	ds_read_b128 v[169:172], v110 offset:688
	buffer_load_dword v255, off, s[0:3], 0 offset:424
	buffer_load_dword v33, off, s[0:3], 0 offset:428
	s_waitcnt vmcnt(46) lgkmcnt(1)
	v_mul_f32_e32 v34, v165, v30
	v_fmac_f32_e32 v34, v166, v29
	v_add_f32_e32 v34, v173, v34
	s_waitcnt vmcnt(44)
	v_mul_f32_e32 v173, v167, v32
	v_fmac_f32_e32 v173, v168, v31
	v_add_f32_e32 v34, v34, v173
	s_waitcnt vmcnt(42) lgkmcnt(0)
	v_mul_f32_e32 v173, v169, v214
	v_fmac_f32_e32 v173, v170, v213
	v_add_f32_e32 v34, v34, v173
	ds_read_b128 v[173:176], v110 offset:704
	s_waitcnt vmcnt(40)
	v_mul_f32_e32 v177, v171, v216
	v_fmac_f32_e32 v177, v172, v215
	v_add_f32_e32 v34, v34, v177
	ds_read_b128 v[177:180], v110 offset:720
	s_waitcnt vmcnt(38) lgkmcnt(1)
	v_mul_f32_e32 v181, v173, v218
	v_fmac_f32_e32 v181, v174, v217
	v_add_f32_e32 v34, v34, v181
	s_waitcnt vmcnt(37)
	v_mul_f32_e32 v181, v175, v219
	s_waitcnt vmcnt(34)
	v_fmac_f32_e32 v181, v176, v222
	v_add_f32_e32 v34, v34, v181
	s_waitcnt lgkmcnt(0)
	v_mul_f32_e32 v181, v177, v221
	v_fmac_f32_e32 v181, v178, v220
	v_add_f32_e32 v34, v34, v181
	ds_read_b128 v[181:184], v110 offset:736
	s_waitcnt vmcnt(32)
	v_mul_f32_e32 v185, v179, v224
	v_fmac_f32_e32 v185, v180, v223
	v_add_f32_e32 v34, v34, v185
	ds_read_b128 v[185:188], v110 offset:752
	s_waitcnt vmcnt(30) lgkmcnt(1)
	v_mul_f32_e32 v189, v181, v226
	v_fmac_f32_e32 v189, v182, v225
	v_add_f32_e32 v34, v34, v189
	s_waitcnt vmcnt(29)
	v_mul_f32_e32 v189, v183, v227
	s_waitcnt vmcnt(26)
	v_fmac_f32_e32 v189, v184, v230
	v_add_f32_e32 v34, v34, v189
	s_waitcnt lgkmcnt(0)
	;; [unrolled: 19-line block ×5, first 2 shown]
	v_mul_f32_e32 v110, v209, v253
	v_fmac_f32_e32 v110, v210, v252
	v_add_f32_e32 v34, v34, v110
	s_waitcnt vmcnt(0)
	v_mul_f32_e32 v110, v211, v33
	v_fmac_f32_e32 v110, v212, v255
	v_add_f32_e32 v34, v34, v110
	v_mul_f32_e32 v110, v126, v119
	v_fma_f32 v3, v125, v3, -v110
	v_mul_f32_e32 v110, v128, v118
	v_add_f32_e32 v3, 0, v3
	v_fma_f32 v2, v127, v2, -v110
	v_add_f32_e32 v2, v3, v2
	v_mul_f32_e32 v3, v130, v117
	v_fma_f32 v1, v129, v1, -v3
	v_add_f32_e32 v1, v2, v1
	v_mul_f32_e32 v2, v132, v116
	;; [unrolled: 3-line block ×42, first 2 shown]
	v_fma_f32 v2, v211, v255, -v2
	v_add_f32_e32 v1, v1, v2
	v_sub_f32_e32 v1, v111, v1
	v_sub_f32_e32 v2, v112, v34
	buffer_store_dword v1, off, s[0:3], 0 offset:72
	buffer_store_dword v2, off, s[0:3], 0 offset:76
	s_and_saveexec_b64 s[4:5], vcc
	s_cbranch_execz .LBB53_321
; %bb.320:
	buffer_load_dword v110, off, s[0:3], 0 offset:64
	buffer_load_dword v111, off, s[0:3], 0 offset:68
	v_mov_b32_e32 v1, 0
	buffer_store_dword v1, off, s[0:3], 0 offset:64
	buffer_store_dword v1, off, s[0:3], 0 offset:68
	s_waitcnt vmcnt(2)
	ds_write_b64 v109, v[110:111]
.LBB53_321:
	s_or_b64 exec, exec, s[4:5]
	s_waitcnt lgkmcnt(0)
	; wave barrier
	buffer_load_dword v1, off, s[0:3], 0 offset:76
	buffer_load_dword v2, off, s[0:3], 0 offset:84
	;; [unrolled: 1-line block ×48, first 2 shown]
	v_mov_b32_e32 v110, 0
	ds_read2_b64 v[113:116], v110 offset0:63 offset1:64
	ds_read2_b64 v[117:120], v110 offset0:65 offset1:66
	;; [unrolled: 1-line block ×7, first 2 shown]
	v_cmp_lt_u32_e32 vcc, 7, v0
	s_waitcnt vmcnt(47) lgkmcnt(6)
	v_mul_f32_e32 v141, v113, v1
	s_waitcnt vmcnt(46)
	v_mul_f32_e32 v142, v115, v2
	s_waitcnt vmcnt(45) lgkmcnt(5)
	v_mul_f32_e32 v143, v117, v3
	s_waitcnt vmcnt(44)
	v_mul_f32_e32 v144, v119, v4
	;; [unrolled: 4-line block ×6, first 2 shown]
	s_waitcnt vmcnt(35)
	v_fmac_f32_e32 v143, v118, v13
	s_waitcnt vmcnt(34)
	v_fmac_f32_e32 v142, v116, v14
	;; [unrolled: 2-line block ×3, first 2 shown]
	v_add_f32_e32 v141, 0, v141
	v_add_f32_e32 v141, v141, v142
	;; [unrolled: 1-line block ×3, first 2 shown]
	s_waitcnt vmcnt(29)
	v_fmac_f32_e32 v144, v120, v19
	v_fmac_f32_e32 v145, v122, v18
	v_add_f32_e32 v141, v141, v144
	v_fmac_f32_e32 v146, v124, v17
	v_add_f32_e32 v141, v141, v145
	;; [unrolled: 2-line block ×3, first 2 shown]
	s_waitcnt vmcnt(25)
	v_fmac_f32_e32 v148, v128, v23
	v_add_f32_e32 v141, v141, v147
	v_fmac_f32_e32 v149, v130, v22
	v_add_f32_e32 v141, v141, v148
	;; [unrolled: 2-line block ×4, first 2 shown]
	s_waitcnt vmcnt(21)
	v_fmac_f32_e32 v152, v136, v27
	v_add_f32_e32 v141, v141, v151
	v_add_f32_e32 v145, v141, v152
	ds_read2_b64 v[141:144], v110 offset0:77 offset1:78
	buffer_load_dword v215, off, s[0:3], 0 offset:256
	buffer_load_dword v216, off, s[0:3], 0 offset:260
	;; [unrolled: 1-line block ×10, first 2 shown]
	s_waitcnt vmcnt(30) lgkmcnt(1)
	v_mul_f32_e32 v146, v137, v28
	v_fmac_f32_e32 v146, v138, v26
	buffer_load_dword v225, off, s[0:3], 0 offset:296
	buffer_load_dword v226, off, s[0:3], 0 offset:300
	;; [unrolled: 1-line block ×6, first 2 shown]
	v_add_f32_e32 v145, v145, v146
	s_waitcnt vmcnt(35)
	v_mul_f32_e32 v146, v139, v29
	v_fmac_f32_e32 v146, v140, v25
	v_add_f32_e32 v145, v145, v146
	s_waitcnt vmcnt(34) lgkmcnt(0)
	v_mul_f32_e32 v146, v141, v30
	v_fmac_f32_e32 v146, v142, v24
	v_add_f32_e32 v149, v145, v146
	ds_read2_b64 v[145:148], v110 offset0:79 offset1:80
	buffer_load_dword v231, off, s[0:3], 0 offset:320
	buffer_load_dword v232, off, s[0:3], 0 offset:324
	s_waitcnt vmcnt(32)
	v_mul_f32_e32 v150, v143, v32
	v_fmac_f32_e32 v150, v144, v31
	v_add_f32_e32 v153, v149, v150
	ds_read2_b64 v[149:152], v110 offset0:81 offset1:82
	buffer_load_dword v233, off, s[0:3], 0 offset:328
	buffer_load_dword v234, off, s[0:3], 0 offset:332
	;; [unrolled: 1-line block ×14, first 2 shown]
	s_waitcnt vmcnt(44) lgkmcnt(1)
	v_mul_f32_e32 v154, v145, v34
	v_fmac_f32_e32 v154, v146, v33
	buffer_load_dword v247, off, s[0:3], 0 offset:384
	buffer_load_dword v248, off, s[0:3], 0 offset:388
	v_add_f32_e32 v153, v153, v154
	s_waitcnt vmcnt(44)
	v_mul_f32_e32 v154, v147, v204
	v_fmac_f32_e32 v154, v148, v203
	v_add_f32_e32 v153, v153, v154
	s_waitcnt vmcnt(42) lgkmcnt(0)
	v_mul_f32_e32 v154, v149, v206
	v_fmac_f32_e32 v154, v150, v205
	v_mul_f32_e32 v1, v114, v1
	v_add_f32_e32 v157, v153, v154
	ds_read2_b64 v[153:156], v110 offset0:83 offset1:84
	buffer_load_dword v249, off, s[0:3], 0 offset:392
	buffer_load_dword v250, off, s[0:3], 0 offset:396
	;; [unrolled: 1-line block ×6, first 2 shown]
	v_fma_f32 v1, v113, v15, -v1
	v_mul_f32_e32 v2, v116, v2
	v_add_f32_e32 v1, 0, v1
	v_fma_f32 v2, v115, v14, -v2
	v_add_f32_e32 v1, v1, v2
	v_mul_f32_e32 v2, v118, v3
	s_waitcnt vmcnt(46)
	v_mul_f32_e32 v158, v151, v208
	v_fma_f32 v2, v117, v13, -v2
	v_fmac_f32_e32 v158, v152, v207
	v_add_f32_e32 v1, v1, v2
	v_mul_f32_e32 v2, v120, v4
	v_add_f32_e32 v161, v157, v158
	ds_read2_b64 v[157:160], v110 offset0:85 offset1:86
	buffer_load_dword v255, off, s[0:3], 0 offset:420
	buffer_load_dword v35, off, s[0:3], 0 offset:424
	;; [unrolled: 1-line block ×4, first 2 shown]
	v_fma_f32 v2, v119, v19, -v2
	v_add_f32_e32 v1, v1, v2
	v_mul_f32_e32 v2, v122, v5
	v_fma_f32 v2, v121, v18, -v2
	v_add_f32_e32 v1, v1, v2
	v_mul_f32_e32 v2, v124, v6
	;; [unrolled: 3-line block ×8, first 2 shown]
	v_fma_f32 v2, v135, v27, -v2
	s_waitcnt vmcnt(48) lgkmcnt(1)
	v_mul_f32_e32 v162, v153, v210
	v_add_f32_e32 v1, v1, v2
	v_mul_f32_e32 v2, v138, v28
	v_fmac_f32_e32 v162, v154, v209
	v_fma_f32 v2, v137, v26, -v2
	v_add_f32_e32 v38, v161, v162
	s_waitcnt vmcnt(46)
	v_mul_f32_e32 v161, v155, v212
	v_add_f32_e32 v1, v1, v2
	v_mul_f32_e32 v2, v140, v29
	v_fmac_f32_e32 v161, v156, v211
	v_fma_f32 v2, v139, v25, -v2
	v_add_f32_e32 v38, v38, v161
	s_waitcnt vmcnt(44) lgkmcnt(0)
	v_mul_f32_e32 v161, v157, v214
	v_add_f32_e32 v1, v1, v2
	v_mul_f32_e32 v2, v142, v30
	v_fmac_f32_e32 v161, v158, v213
	v_fma_f32 v2, v141, v24, -v2
	v_add_f32_e32 v38, v38, v161
	ds_read2_b64 v[161:164], v110 offset0:87 offset1:88
	v_add_f32_e32 v1, v1, v2
	v_mul_f32_e32 v2, v144, v32
	v_fma_f32 v2, v143, v31, -v2
	s_waitcnt vmcnt(42)
	v_mul_f32_e32 v165, v159, v216
	v_add_f32_e32 v1, v1, v2
	v_mul_f32_e32 v2, v146, v34
	v_fmac_f32_e32 v165, v160, v215
	v_fma_f32 v2, v145, v33, -v2
	v_add_f32_e32 v38, v38, v165
	ds_read2_b64 v[165:168], v110 offset0:89 offset1:90
	v_add_f32_e32 v1, v1, v2
	v_mul_f32_e32 v2, v148, v204
	s_waitcnt vmcnt(40) lgkmcnt(1)
	v_mul_f32_e32 v169, v161, v218
	v_fma_f32 v2, v147, v203, -v2
	v_fmac_f32_e32 v169, v162, v217
	v_add_f32_e32 v1, v1, v2
	v_mul_f32_e32 v2, v150, v206
	v_add_f32_e32 v38, v38, v169
	s_waitcnt vmcnt(39)
	v_mul_f32_e32 v169, v163, v219
	v_fma_f32 v2, v149, v205, -v2
	s_waitcnt vmcnt(36)
	v_fmac_f32_e32 v169, v164, v222
	v_add_f32_e32 v1, v1, v2
	v_mul_f32_e32 v2, v152, v208
	v_add_f32_e32 v38, v38, v169
	s_waitcnt lgkmcnt(0)
	v_mul_f32_e32 v169, v165, v221
	v_fma_f32 v2, v151, v207, -v2
	v_fmac_f32_e32 v169, v166, v220
	v_add_f32_e32 v1, v1, v2
	v_mul_f32_e32 v2, v154, v210
	v_add_f32_e32 v38, v38, v169
	ds_read2_b64 v[169:172], v110 offset0:91 offset1:92
	v_fma_f32 v2, v153, v209, -v2
	v_add_f32_e32 v1, v1, v2
	v_mul_f32_e32 v2, v156, v212
	s_waitcnt vmcnt(34)
	v_mul_f32_e32 v173, v167, v224
	v_fma_f32 v2, v155, v211, -v2
	v_fmac_f32_e32 v173, v168, v223
	v_add_f32_e32 v1, v1, v2
	v_mul_f32_e32 v2, v158, v214
	v_add_f32_e32 v38, v38, v173
	ds_read2_b64 v[173:176], v110 offset0:93 offset1:94
	v_fma_f32 v2, v157, v213, -v2
	s_waitcnt vmcnt(32) lgkmcnt(1)
	v_mul_f32_e32 v177, v169, v226
	v_add_f32_e32 v1, v1, v2
	v_mul_f32_e32 v2, v160, v216
	v_fmac_f32_e32 v177, v170, v225
	v_fma_f32 v2, v159, v215, -v2
	v_add_f32_e32 v38, v38, v177
	s_waitcnt vmcnt(31)
	v_mul_f32_e32 v177, v171, v227
	v_add_f32_e32 v1, v1, v2
	v_mul_f32_e32 v2, v162, v218
	s_waitcnt vmcnt(28)
	v_fmac_f32_e32 v177, v172, v230
	v_fma_f32 v2, v161, v217, -v2
	v_add_f32_e32 v38, v38, v177
	s_waitcnt lgkmcnt(0)
	v_mul_f32_e32 v177, v173, v229
	v_add_f32_e32 v1, v1, v2
	v_mul_f32_e32 v2, v164, v219
	v_fmac_f32_e32 v177, v174, v228
	v_fma_f32 v2, v163, v222, -v2
	v_add_f32_e32 v38, v38, v177
	ds_read2_b64 v[177:180], v110 offset0:95 offset1:96
	v_add_f32_e32 v1, v1, v2
	v_mul_f32_e32 v2, v166, v221
	v_fma_f32 v2, v165, v220, -v2
	s_waitcnt vmcnt(26)
	v_mul_f32_e32 v181, v175, v232
	v_add_f32_e32 v1, v1, v2
	v_mul_f32_e32 v2, v168, v224
	v_fmac_f32_e32 v181, v176, v231
	v_fma_f32 v2, v167, v223, -v2
	v_add_f32_e32 v38, v38, v181
	ds_read2_b64 v[181:184], v110 offset0:97 offset1:98
	v_add_f32_e32 v1, v1, v2
	v_mul_f32_e32 v2, v170, v226
	s_waitcnt vmcnt(24) lgkmcnt(1)
	v_mul_f32_e32 v185, v177, v234
	v_fma_f32 v2, v169, v225, -v2
	v_fmac_f32_e32 v185, v178, v233
	v_add_f32_e32 v1, v1, v2
	v_mul_f32_e32 v2, v172, v227
	v_add_f32_e32 v38, v38, v185
	s_waitcnt vmcnt(23)
	v_mul_f32_e32 v185, v179, v235
	v_fma_f32 v2, v171, v230, -v2
	s_waitcnt vmcnt(20)
	v_fmac_f32_e32 v185, v180, v238
	v_add_f32_e32 v1, v1, v2
	v_mul_f32_e32 v2, v174, v229
	v_add_f32_e32 v38, v38, v185
	s_waitcnt lgkmcnt(0)
	v_mul_f32_e32 v185, v181, v237
	v_fma_f32 v2, v173, v228, -v2
	v_fmac_f32_e32 v185, v182, v236
	v_add_f32_e32 v1, v1, v2
	v_mul_f32_e32 v2, v176, v232
	v_add_f32_e32 v38, v38, v185
	ds_read2_b64 v[185:188], v110 offset0:99 offset1:100
	v_fma_f32 v2, v175, v231, -v2
	v_add_f32_e32 v1, v1, v2
	v_mul_f32_e32 v2, v178, v234
	s_waitcnt vmcnt(18)
	v_mul_f32_e32 v189, v183, v240
	v_fma_f32 v2, v177, v233, -v2
	v_fmac_f32_e32 v189, v184, v239
	v_add_f32_e32 v1, v1, v2
	v_mul_f32_e32 v2, v180, v235
	v_add_f32_e32 v38, v38, v189
	ds_read2_b64 v[189:192], v110 offset0:101 offset1:102
	v_fma_f32 v2, v179, v238, -v2
	s_waitcnt vmcnt(16) lgkmcnt(1)
	v_mul_f32_e32 v193, v185, v242
	v_add_f32_e32 v1, v1, v2
	v_mul_f32_e32 v2, v182, v237
	v_fmac_f32_e32 v193, v186, v241
	v_fma_f32 v2, v181, v236, -v2
	v_add_f32_e32 v38, v38, v193
	s_waitcnt vmcnt(15)
	v_mul_f32_e32 v193, v187, v243
	v_add_f32_e32 v1, v1, v2
	v_mul_f32_e32 v2, v184, v240
	s_waitcnt vmcnt(12)
	v_fmac_f32_e32 v193, v188, v246
	v_fma_f32 v2, v183, v239, -v2
	v_add_f32_e32 v38, v38, v193
	s_waitcnt lgkmcnt(0)
	v_mul_f32_e32 v193, v189, v245
	v_add_f32_e32 v1, v1, v2
	v_mul_f32_e32 v2, v186, v242
	v_fmac_f32_e32 v193, v190, v244
	v_fma_f32 v2, v185, v241, -v2
	v_add_f32_e32 v38, v38, v193
	ds_read2_b64 v[193:196], v110 offset0:103 offset1:104
	v_add_f32_e32 v1, v1, v2
	v_mul_f32_e32 v2, v188, v243
	v_fma_f32 v2, v187, v246, -v2
	v_add_f32_e32 v1, v1, v2
	v_mul_f32_e32 v2, v190, v245
	s_waitcnt vmcnt(10)
	v_mul_f32_e32 v197, v191, v248
	v_fma_f32 v2, v189, v244, -v2
	v_fmac_f32_e32 v197, v192, v247
	v_add_f32_e32 v1, v1, v2
	v_mul_f32_e32 v2, v192, v248
	v_add_f32_e32 v38, v38, v197
	ds_read2_b64 v[197:200], v110 offset0:105 offset1:106
	s_waitcnt vmcnt(8) lgkmcnt(1)
	v_mul_f32_e32 v201, v193, v250
	v_fma_f32 v2, v191, v247, -v2
	v_fmac_f32_e32 v201, v194, v249
	v_add_f32_e32 v1, v1, v2
	v_mul_f32_e32 v2, v194, v250
	v_add_f32_e32 v38, v38, v201
	s_waitcnt vmcnt(7)
	v_mul_f32_e32 v201, v195, v251
	v_fma_f32 v2, v193, v249, -v2
	s_waitcnt vmcnt(4)
	v_fmac_f32_e32 v201, v196, v254
	v_add_f32_e32 v1, v1, v2
	v_mul_f32_e32 v2, v196, v251
	v_add_f32_e32 v38, v38, v201
	ds_read_b64 v[201:202], v110 offset:856
	v_fma_f32 v2, v195, v254, -v2
	v_add_f32_e32 v1, v1, v2
	s_waitcnt lgkmcnt(1)
	v_mul_f32_e32 v2, v198, v253
	v_mul_f32_e32 v39, v197, v253
	v_fma_f32 v2, v197, v252, -v2
	v_fmac_f32_e32 v39, v198, v252
	v_add_f32_e32 v1, v1, v2
	s_waitcnt vmcnt(3)
	v_mul_f32_e32 v2, v200, v255
	v_add_f32_e32 v38, v38, v39
	v_mul_f32_e32 v39, v199, v255
	s_waitcnt vmcnt(0)
	v_fma_f32 v2, v199, v37, -v2
	v_fmac_f32_e32 v39, v200, v37
	v_add_f32_e32 v1, v1, v2
	s_waitcnt lgkmcnt(0)
	v_mul_f32_e32 v2, v202, v36
	v_add_f32_e32 v38, v38, v39
	v_mul_f32_e32 v39, v201, v36
	v_fma_f32 v2, v201, v35, -v2
	v_fmac_f32_e32 v39, v202, v35
	v_add_f32_e32 v1, v1, v2
	v_add_f32_e32 v38, v38, v39
	v_sub_f32_e32 v1, v111, v1
	v_sub_f32_e32 v2, v112, v38
	buffer_store_dword v1, off, s[0:3], 0 offset:64
	buffer_store_dword v2, off, s[0:3], 0 offset:68
	s_and_saveexec_b64 s[4:5], vcc
	s_cbranch_execz .LBB53_323
; %bb.322:
	buffer_load_dword v111, off, s[0:3], 0 offset:56
	buffer_load_dword v112, off, s[0:3], 0 offset:60
	s_waitcnt vmcnt(0)
	ds_write_b64 v109, v[111:112]
	buffer_store_dword v110, off, s[0:3], 0 offset:56
	buffer_store_dword v110, off, s[0:3], 0 offset:60
.LBB53_323:
	s_or_b64 exec, exec, s[4:5]
	s_waitcnt lgkmcnt(0)
	; wave barrier
	buffer_load_dword v119, off, s[0:3], 0 offset:68
	buffer_load_dword v118, off, s[0:3], 0 offset:76
	;; [unrolled: 1-line block ×33, first 2 shown]
	ds_read_b128 v[120:123], v110 offset:496
	ds_read_b128 v[124:127], v110 offset:512
	;; [unrolled: 1-line block ×6, first 2 shown]
	buffer_load_dword v25, off, s[0:3], 0 offset:184
	buffer_load_dword v26, off, s[0:3], 0 offset:196
	;; [unrolled: 1-line block ×7, first 2 shown]
	ds_read_b128 v[144:147], v110 offset:592
	ds_read_b128 v[148:151], v110 offset:608
	buffer_load_dword v32, off, s[0:3], 0 offset:216
	buffer_load_dword v33, off, s[0:3], 0 offset:220
	;; [unrolled: 1-line block ×18, first 2 shown]
	v_cmp_lt_u32_e32 vcc, 6, v0
	s_waitcnt vmcnt(57) lgkmcnt(7)
	v_mul_f32_e32 v40, v120, v119
	s_waitcnt vmcnt(56)
	v_mul_f32_e32 v152, v122, v118
	s_waitcnt vmcnt(55) lgkmcnt(6)
	v_mul_f32_e32 v153, v124, v117
	s_waitcnt vmcnt(54)
	v_mul_f32_e32 v154, v126, v116
	;; [unrolled: 4-line block ×6, first 2 shown]
	s_waitcnt vmcnt(45)
	v_fmac_f32_e32 v153, v125, v6
	s_waitcnt vmcnt(44)
	v_fmac_f32_e32 v152, v123, v7
	;; [unrolled: 2-line block ×3, first 2 shown]
	v_add_f32_e32 v40, 0, v40
	v_add_f32_e32 v40, v40, v152
	;; [unrolled: 1-line block ×3, first 2 shown]
	s_waitcnt vmcnt(39)
	v_fmac_f32_e32 v154, v127, v12
	v_fmac_f32_e32 v155, v129, v11
	v_add_f32_e32 v40, v40, v154
	v_fmac_f32_e32 v156, v131, v10
	v_add_f32_e32 v40, v40, v155
	;; [unrolled: 2-line block ×3, first 2 shown]
	s_waitcnt vmcnt(35)
	v_fmac_f32_e32 v158, v135, v16
	v_add_f32_e32 v40, v40, v157
	v_fmac_f32_e32 v159, v137, v15
	v_add_f32_e32 v40, v40, v158
	v_fmac_f32_e32 v160, v139, v14
	v_add_f32_e32 v40, v40, v159
	v_fmac_f32_e32 v161, v141, v13
	v_add_f32_e32 v40, v40, v160
	s_waitcnt vmcnt(31)
	v_fmac_f32_e32 v162, v143, v20
	v_add_f32_e32 v40, v40, v161
	s_waitcnt vmcnt(30) lgkmcnt(1)
	v_mul_f32_e32 v152, v144, v21
	v_add_f32_e32 v40, v40, v162
	v_fmac_f32_e32 v152, v145, v19
	v_add_f32_e32 v40, v40, v152
	s_waitcnt vmcnt(29)
	v_mul_f32_e32 v152, v146, v22
	v_fmac_f32_e32 v152, v147, v18
	v_add_f32_e32 v40, v40, v152
	s_waitcnt vmcnt(28) lgkmcnt(0)
	v_mul_f32_e32 v152, v148, v23
	v_fmac_f32_e32 v152, v149, v17
	v_add_f32_e32 v40, v40, v152
	ds_read_b128 v[152:155], v110 offset:624
	buffer_load_dword v222, off, s[0:3], 0 offset:288
	buffer_load_dword v223, off, s[0:3], 0 offset:292
	;; [unrolled: 1-line block ×6, first 2 shown]
	s_waitcnt vmcnt(33)
	v_mul_f32_e32 v156, v150, v24
	s_waitcnt vmcnt(30)
	v_fmac_f32_e32 v156, v151, v25
	v_add_f32_e32 v40, v40, v156
	ds_read_b128 v[156:159], v110 offset:640
	buffer_load_dword v228, off, s[0:3], 0 offset:312
	buffer_load_dword v229, off, s[0:3], 0 offset:316
	;; [unrolled: 1-line block ×10, first 2 shown]
	s_waitcnt vmcnt(39) lgkmcnt(1)
	v_mul_f32_e32 v160, v152, v26
	buffer_load_dword v238, off, s[0:3], 0 offset:352
	buffer_load_dword v239, off, s[0:3], 0 offset:356
	;; [unrolled: 1-line block ×6, first 2 shown]
	s_waitcnt vmcnt(40)
	v_fmac_f32_e32 v160, v153, v31
	v_add_f32_e32 v40, v40, v160
	v_mul_f32_e32 v160, v154, v28
	v_fmac_f32_e32 v160, v155, v27
	v_add_f32_e32 v40, v40, v160
	s_waitcnt lgkmcnt(0)
	v_mul_f32_e32 v160, v156, v30
	v_fmac_f32_e32 v160, v157, v29
	v_add_f32_e32 v40, v40, v160
	ds_read_b128 v[160:163], v110 offset:656
	buffer_load_dword v244, off, s[0:3], 0 offset:376
	buffer_load_dword v245, off, s[0:3], 0 offset:380
	s_waitcnt vmcnt(40)
	v_mul_f32_e32 v164, v158, v33
	v_fmac_f32_e32 v164, v159, v32
	v_add_f32_e32 v40, v40, v164
	ds_read_b128 v[164:167], v110 offset:672
	buffer_load_dword v246, off, s[0:3], 0 offset:384
	buffer_load_dword v247, off, s[0:3], 0 offset:388
	;; [unrolled: 1-line block ×12, first 2 shown]
	s_waitcnt vmcnt(50) lgkmcnt(1)
	v_mul_f32_e32 v168, v160, v35
	v_fmac_f32_e32 v168, v161, v34
	v_add_f32_e32 v40, v40, v168
	s_waitcnt vmcnt(48)
	v_mul_f32_e32 v168, v162, v37
	v_fmac_f32_e32 v168, v163, v36
	v_add_f32_e32 v40, v40, v168
	s_waitcnt vmcnt(46) lgkmcnt(0)
	v_mul_f32_e32 v168, v164, v39
	v_fmac_f32_e32 v168, v165, v38
	v_add_f32_e32 v40, v40, v168
	ds_read_b128 v[168:171], v110 offset:688
	s_waitcnt vmcnt(44)
	v_mul_f32_e32 v172, v166, v213
	v_fmac_f32_e32 v172, v167, v212
	v_add_f32_e32 v40, v40, v172
	ds_read_b128 v[172:175], v110 offset:704
	s_waitcnt vmcnt(42) lgkmcnt(1)
	v_mul_f32_e32 v176, v168, v215
	v_fmac_f32_e32 v176, v169, v214
	v_add_f32_e32 v40, v40, v176
	s_waitcnt vmcnt(41)
	v_mul_f32_e32 v176, v170, v216
	s_waitcnt vmcnt(38)
	v_fmac_f32_e32 v176, v171, v219
	v_add_f32_e32 v40, v40, v176
	s_waitcnt lgkmcnt(0)
	v_mul_f32_e32 v176, v172, v218
	v_fmac_f32_e32 v176, v173, v217
	v_add_f32_e32 v40, v40, v176
	ds_read_b128 v[176:179], v110 offset:720
	s_waitcnt vmcnt(36)
	v_mul_f32_e32 v180, v174, v221
	v_fmac_f32_e32 v180, v175, v220
	v_add_f32_e32 v40, v40, v180
	ds_read_b128 v[180:183], v110 offset:736
	v_mul_f32_e32 v1, v135, v1
	v_fma_f32 v1, v134, v16, -v1
	v_mul_f32_e32 v2, v137, v2
	v_fma_f32 v2, v136, v15, -v2
	s_waitcnt vmcnt(34) lgkmcnt(1)
	v_mul_f32_e32 v184, v176, v223
	v_fmac_f32_e32 v184, v177, v222
	v_add_f32_e32 v40, v40, v184
	s_waitcnt vmcnt(33)
	v_mul_f32_e32 v184, v178, v224
	s_waitcnt vmcnt(30)
	v_fmac_f32_e32 v184, v179, v227
	v_add_f32_e32 v40, v40, v184
	s_waitcnt lgkmcnt(0)
	v_mul_f32_e32 v184, v180, v226
	v_fmac_f32_e32 v184, v181, v225
	v_add_f32_e32 v40, v40, v184
	ds_read_b128 v[184:187], v110 offset:752
	s_waitcnt vmcnt(28)
	v_mul_f32_e32 v188, v182, v229
	v_fmac_f32_e32 v188, v183, v228
	v_add_f32_e32 v40, v40, v188
	ds_read_b128 v[188:191], v110 offset:768
	s_waitcnt vmcnt(26) lgkmcnt(1)
	v_mul_f32_e32 v192, v184, v231
	v_fmac_f32_e32 v192, v185, v230
	v_add_f32_e32 v40, v40, v192
	s_waitcnt vmcnt(25)
	v_mul_f32_e32 v192, v186, v232
	s_waitcnt vmcnt(22)
	v_fmac_f32_e32 v192, v187, v235
	v_add_f32_e32 v40, v40, v192
	s_waitcnt lgkmcnt(0)
	v_mul_f32_e32 v192, v188, v234
	v_fmac_f32_e32 v192, v189, v233
	v_add_f32_e32 v40, v40, v192
	ds_read_b128 v[192:195], v110 offset:784
	s_waitcnt vmcnt(20)
	v_mul_f32_e32 v196, v190, v237
	v_fmac_f32_e32 v196, v191, v236
	v_add_f32_e32 v40, v40, v196
	ds_read_b128 v[196:199], v110 offset:800
	s_waitcnt vmcnt(18) lgkmcnt(1)
	v_mul_f32_e32 v200, v192, v239
	v_fmac_f32_e32 v200, v193, v238
	v_add_f32_e32 v40, v40, v200
	s_waitcnt vmcnt(17)
	v_mul_f32_e32 v200, v194, v240
	s_waitcnt vmcnt(14)
	v_fmac_f32_e32 v200, v195, v243
	v_add_f32_e32 v40, v40, v200
	s_waitcnt lgkmcnt(0)
	v_mul_f32_e32 v200, v196, v242
	v_fmac_f32_e32 v200, v197, v241
	v_add_f32_e32 v40, v40, v200
	ds_read_b128 v[200:203], v110 offset:816
	s_waitcnt vmcnt(12)
	v_mul_f32_e32 v204, v198, v245
	v_fmac_f32_e32 v204, v199, v244
	v_add_f32_e32 v40, v40, v204
	ds_read_b128 v[204:207], v110 offset:832
	s_waitcnt vmcnt(10) lgkmcnt(1)
	v_mul_f32_e32 v208, v200, v247
	v_fmac_f32_e32 v208, v201, v246
	v_add_f32_e32 v40, v40, v208
	s_waitcnt vmcnt(9)
	v_mul_f32_e32 v208, v202, v248
	s_waitcnt vmcnt(6)
	v_fmac_f32_e32 v208, v203, v251
	v_add_f32_e32 v40, v40, v208
	ds_read_b128 v[208:211], v110 offset:848
	s_waitcnt lgkmcnt(1)
	v_mul_f32_e32 v43, v204, v250
	v_fmac_f32_e32 v43, v205, v249
	v_add_f32_e32 v40, v40, v43
	s_waitcnt vmcnt(4)
	v_mul_f32_e32 v43, v206, v253
	v_fmac_f32_e32 v43, v207, v252
	v_add_f32_e32 v40, v40, v43
	s_waitcnt vmcnt(3) lgkmcnt(0)
	v_mul_f32_e32 v43, v208, v254
	s_waitcnt vmcnt(0)
	v_fmac_f32_e32 v43, v209, v42
	v_add_f32_e32 v40, v40, v43
	v_mul_f32_e32 v43, v210, v41
	v_fmac_f32_e32 v43, v211, v255
	v_add_f32_e32 v40, v40, v43
	v_mul_f32_e32 v43, v121, v119
	v_fma_f32 v8, v120, v8, -v43
	v_mul_f32_e32 v43, v123, v118
	v_add_f32_e32 v8, 0, v8
	v_fma_f32 v7, v122, v7, -v43
	v_add_f32_e32 v7, v8, v7
	v_mul_f32_e32 v8, v125, v117
	v_fma_f32 v6, v124, v6, -v8
	v_add_f32_e32 v6, v7, v6
	v_mul_f32_e32 v7, v127, v116
	;; [unrolled: 3-line block ×5, first 2 shown]
	v_fma_f32 v7, v132, v9, -v7
	v_add_f32_e32 v6, v6, v7
	v_add_f32_e32 v1, v6, v1
	v_add_f32_e32 v1, v1, v2
	v_mul_f32_e32 v2, v139, v3
	v_fma_f32 v2, v138, v14, -v2
	v_add_f32_e32 v1, v1, v2
	v_mul_f32_e32 v2, v141, v4
	v_fma_f32 v2, v140, v13, -v2
	v_add_f32_e32 v1, v1, v2
	;; [unrolled: 3-line block ×37, first 2 shown]
	v_sub_f32_e32 v1, v111, v1
	v_sub_f32_e32 v2, v112, v40
	buffer_store_dword v1, off, s[0:3], 0 offset:56
	buffer_store_dword v2, off, s[0:3], 0 offset:60
	s_and_saveexec_b64 s[4:5], vcc
	s_cbranch_execz .LBB53_325
; %bb.324:
	buffer_load_dword v110, off, s[0:3], 0 offset:48
	buffer_load_dword v111, off, s[0:3], 0 offset:52
	v_mov_b32_e32 v1, 0
	buffer_store_dword v1, off, s[0:3], 0 offset:48
	buffer_store_dword v1, off, s[0:3], 0 offset:52
	s_waitcnt vmcnt(2)
	ds_write_b64 v109, v[110:111]
.LBB53_325:
	s_or_b64 exec, exec, s[4:5]
	s_waitcnt lgkmcnt(0)
	; wave barrier
	buffer_load_dword v117, off, s[0:3], 0 offset:60
	buffer_load_dword v116, off, s[0:3], 0 offset:68
	;; [unrolled: 1-line block ×48, first 2 shown]
	v_mov_b32_e32 v110, 0
	ds_read2_b64 v[120:123], v110 offset0:61 offset1:62
	ds_read2_b64 v[124:127], v110 offset0:63 offset1:64
	;; [unrolled: 1-line block ×7, first 2 shown]
	v_cmp_lt_u32_e32 vcc, 5, v0
	s_waitcnt vmcnt(47) lgkmcnt(6)
	v_mul_f32_e32 v40, v120, v117
	s_waitcnt vmcnt(46)
	v_mul_f32_e32 v41, v122, v116
	s_waitcnt vmcnt(45) lgkmcnt(5)
	v_mul_f32_e32 v42, v124, v115
	s_waitcnt vmcnt(44)
	v_mul_f32_e32 v43, v126, v114
	;; [unrolled: 4-line block ×6, first 2 shown]
	s_waitcnt vmcnt(35)
	v_fmac_f32_e32 v42, v125, v6
	s_waitcnt vmcnt(34)
	v_fmac_f32_e32 v41, v123, v7
	;; [unrolled: 2-line block ×3, first 2 shown]
	v_add_f32_e32 v40, 0, v40
	v_add_f32_e32 v40, v40, v41
	;; [unrolled: 1-line block ×3, first 2 shown]
	s_waitcnt vmcnt(29)
	v_fmac_f32_e32 v43, v127, v12
	v_fmac_f32_e32 v44, v129, v11
	v_add_f32_e32 v40, v40, v43
	v_fmac_f32_e32 v148, v131, v10
	v_add_f32_e32 v40, v40, v44
	;; [unrolled: 2-line block ×3, first 2 shown]
	s_waitcnt vmcnt(25)
	v_fmac_f32_e32 v150, v135, v16
	v_add_f32_e32 v40, v40, v149
	v_fmac_f32_e32 v151, v137, v15
	v_add_f32_e32 v40, v40, v150
	v_add_f32_e32 v40, v40, v151
	ds_read2_b64 v[148:151], v110 offset0:75 offset1:76
	buffer_load_dword v41, off, s[0:3], 0 offset:240
	buffer_load_dword v42, off, s[0:3], 0 offset:244
	;; [unrolled: 1-line block ×8, first 2 shown]
	v_fmac_f32_e32 v152, v139, v14
	v_fmac_f32_e32 v153, v141, v13
	v_add_f32_e32 v40, v40, v152
	s_waitcnt vmcnt(29)
	v_fmac_f32_e32 v154, v143, v20
	v_add_f32_e32 v40, v40, v153
	s_waitcnt vmcnt(28) lgkmcnt(1)
	v_mul_f32_e32 v43, v144, v21
	v_add_f32_e32 v40, v40, v154
	v_fmac_f32_e32 v43, v145, v19
	v_add_f32_e32 v40, v40, v43
	s_waitcnt vmcnt(27)
	v_mul_f32_e32 v43, v146, v22
	buffer_load_dword v219, off, s[0:3], 0 offset:272
	buffer_load_dword v220, off, s[0:3], 0 offset:276
	v_fmac_f32_e32 v43, v147, v18
	v_add_f32_e32 v40, v40, v43
	s_waitcnt vmcnt(28) lgkmcnt(0)
	v_mul_f32_e32 v43, v148, v23
	v_fmac_f32_e32 v43, v149, v17
	v_add_f32_e32 v40, v40, v43
	s_waitcnt vmcnt(27)
	v_mul_f32_e32 v43, v150, v24
	s_waitcnt vmcnt(20)
	v_fmac_f32_e32 v43, v151, v31
	ds_read2_b64 v[152:155], v110 offset0:77 offset1:78
	v_add_f32_e32 v40, v40, v43
	buffer_load_dword v43, off, s[0:3], 0 offset:280
	buffer_load_dword v221, off, s[0:3], 0 offset:284
	;; [unrolled: 1-line block ×6, first 2 shown]
	ds_read2_b64 v[156:159], v110 offset0:79 offset1:80
	buffer_load_dword v226, off, s[0:3], 0 offset:304
	buffer_load_dword v227, off, s[0:3], 0 offset:308
	;; [unrolled: 1-line block ×8, first 2 shown]
	s_waitcnt lgkmcnt(1)
	v_mul_f32_e32 v160, v152, v26
	buffer_load_dword v234, off, s[0:3], 0 offset:336
	buffer_load_dword v235, off, s[0:3], 0 offset:340
	v_fmac_f32_e32 v160, v153, v25
	v_add_f32_e32 v40, v40, v160
	v_mul_f32_e32 v160, v154, v28
	v_fmac_f32_e32 v160, v155, v27
	v_add_f32_e32 v40, v40, v160
	s_waitcnt lgkmcnt(0)
	v_mul_f32_e32 v160, v156, v30
	v_fmac_f32_e32 v160, v157, v29
	v_add_f32_e32 v40, v40, v160
	ds_read2_b64 v[160:163], v110 offset0:81 offset1:82
	buffer_load_dword v236, off, s[0:3], 0 offset:344
	buffer_load_dword v237, off, s[0:3], 0 offset:348
	;; [unrolled: 1-line block ×6, first 2 shown]
	s_waitcnt vmcnt(38)
	v_mul_f32_e32 v164, v158, v33
	v_fmac_f32_e32 v164, v159, v32
	v_add_f32_e32 v40, v40, v164
	ds_read2_b64 v[164:167], v110 offset0:83 offset1:84
	buffer_load_dword v242, off, s[0:3], 0 offset:368
	buffer_load_dword v243, off, s[0:3], 0 offset:372
	buffer_load_dword v244, off, s[0:3], 0 offset:376
	buffer_load_dword v245, off, s[0:3], 0 offset:380
	buffer_load_dword v246, off, s[0:3], 0 offset:388
	buffer_load_dword v247, off, s[0:3], 0 offset:392
	buffer_load_dword v248, off, s[0:3], 0 offset:396
	buffer_load_dword v249, off, s[0:3], 0 offset:384
	buffer_load_dword v250, off, s[0:3], 0 offset:400
	buffer_load_dword v251, off, s[0:3], 0 offset:404
	buffer_load_dword v252, off, s[0:3], 0 offset:408
	buffer_load_dword v253, off, s[0:3], 0 offset:412
	buffer_load_dword v254, off, s[0:3], 0 offset:420
	buffer_load_dword v255, off, s[0:3], 0 offset:424
	buffer_load_dword v45, off, s[0:3], 0 offset:428
	buffer_load_dword v46, off, s[0:3], 0 offset:416
	s_waitcnt vmcnt(52) lgkmcnt(1)
	v_mul_f32_e32 v168, v160, v35
	v_fmac_f32_e32 v168, v161, v34
	v_add_f32_e32 v40, v40, v168
	s_waitcnt vmcnt(50)
	v_mul_f32_e32 v168, v162, v37
	v_fmac_f32_e32 v168, v163, v36
	v_add_f32_e32 v40, v40, v168
	s_waitcnt vmcnt(48) lgkmcnt(0)
	v_mul_f32_e32 v168, v164, v39
	v_fmac_f32_e32 v168, v165, v38
	v_add_f32_e32 v40, v40, v168
	ds_read2_b64 v[168:171], v110 offset0:85 offset1:86
	v_mul_f32_e32 v1, v135, v1
	v_fma_f32 v1, v134, v16, -v1
	v_mul_f32_e32 v2, v137, v2
	v_fma_f32 v2, v136, v15, -v2
	s_waitcnt vmcnt(46)
	v_mul_f32_e32 v172, v166, v42
	v_fmac_f32_e32 v172, v167, v41
	v_add_f32_e32 v40, v40, v172
	ds_read2_b64 v[172:175], v110 offset0:87 offset1:88
	s_waitcnt vmcnt(44) lgkmcnt(1)
	v_mul_f32_e32 v176, v168, v214
	v_fmac_f32_e32 v176, v169, v44
	v_add_f32_e32 v40, v40, v176
	s_waitcnt vmcnt(43)
	v_mul_f32_e32 v176, v170, v215
	s_waitcnt vmcnt(40)
	v_fmac_f32_e32 v176, v171, v218
	v_add_f32_e32 v40, v40, v176
	s_waitcnt lgkmcnt(0)
	v_mul_f32_e32 v176, v172, v217
	v_fmac_f32_e32 v176, v173, v216
	v_add_f32_e32 v40, v40, v176
	ds_read2_b64 v[176:179], v110 offset0:89 offset1:90
	s_waitcnt vmcnt(38)
	v_mul_f32_e32 v180, v174, v220
	v_fmac_f32_e32 v180, v175, v219
	v_add_f32_e32 v40, v40, v180
	ds_read2_b64 v[180:183], v110 offset0:91 offset1:92
	s_waitcnt vmcnt(36) lgkmcnt(1)
	v_mul_f32_e32 v184, v176, v221
	v_fmac_f32_e32 v184, v177, v43
	v_add_f32_e32 v40, v40, v184
	s_waitcnt vmcnt(35)
	v_mul_f32_e32 v184, v178, v222
	s_waitcnt vmcnt(32)
	v_fmac_f32_e32 v184, v179, v225
	v_add_f32_e32 v40, v40, v184
	s_waitcnt lgkmcnt(0)
	v_mul_f32_e32 v184, v180, v224
	v_fmac_f32_e32 v184, v181, v223
	v_add_f32_e32 v40, v40, v184
	ds_read2_b64 v[184:187], v110 offset0:93 offset1:94
	;; [unrolled: 19-line block ×5, first 2 shown]
	s_waitcnt vmcnt(6)
	v_mul_f32_e32 v212, v206, v251
	v_fmac_f32_e32 v212, v207, v250
	v_add_f32_e32 v40, v40, v212
	ds_read_b64 v[212:213], v110 offset:856
	s_waitcnt vmcnt(4) lgkmcnt(1)
	v_mul_f32_e32 v47, v208, v253
	v_fmac_f32_e32 v47, v209, v252
	v_add_f32_e32 v40, v40, v47
	s_waitcnt vmcnt(3)
	v_mul_f32_e32 v47, v210, v254
	s_waitcnt vmcnt(0)
	v_fmac_f32_e32 v47, v211, v46
	v_add_f32_e32 v40, v40, v47
	s_waitcnt lgkmcnt(0)
	v_mul_f32_e32 v47, v212, v45
	v_fmac_f32_e32 v47, v213, v255
	v_add_f32_e32 v40, v40, v47
	v_mul_f32_e32 v47, v121, v117
	v_fma_f32 v8, v120, v8, -v47
	v_mul_f32_e32 v47, v123, v116
	v_add_f32_e32 v8, 0, v8
	v_fma_f32 v7, v122, v7, -v47
	v_add_f32_e32 v7, v8, v7
	v_mul_f32_e32 v8, v125, v115
	v_fma_f32 v6, v124, v6, -v8
	v_add_f32_e32 v6, v7, v6
	v_mul_f32_e32 v7, v127, v114
	v_fma_f32 v7, v126, v12, -v7
	v_add_f32_e32 v6, v6, v7
	v_mul_f32_e32 v7, v129, v113
	v_fma_f32 v7, v128, v11, -v7
	v_add_f32_e32 v6, v6, v7
	v_mul_f32_e32 v7, v131, v112
	v_fma_f32 v7, v130, v10, -v7
	v_add_f32_e32 v6, v6, v7
	v_mul_f32_e32 v7, v133, v111
	v_fma_f32 v7, v132, v9, -v7
	v_add_f32_e32 v6, v6, v7
	v_add_f32_e32 v1, v6, v1
	;; [unrolled: 1-line block ×3, first 2 shown]
	v_mul_f32_e32 v2, v139, v3
	v_fma_f32 v2, v138, v14, -v2
	v_add_f32_e32 v1, v1, v2
	v_mul_f32_e32 v2, v141, v4
	v_fma_f32 v2, v140, v13, -v2
	v_add_f32_e32 v1, v1, v2
	;; [unrolled: 3-line block ×38, first 2 shown]
	v_sub_f32_e32 v1, v118, v1
	v_sub_f32_e32 v2, v119, v40
	buffer_store_dword v1, off, s[0:3], 0 offset:48
	buffer_store_dword v2, off, s[0:3], 0 offset:52
	s_and_saveexec_b64 s[4:5], vcc
	s_cbranch_execz .LBB53_327
; %bb.326:
	buffer_load_dword v111, off, s[0:3], 0 offset:40
	buffer_load_dword v112, off, s[0:3], 0 offset:44
	s_waitcnt vmcnt(0)
	ds_write_b64 v109, v[111:112]
	buffer_store_dword v110, off, s[0:3], 0 offset:40
	buffer_store_dword v110, off, s[0:3], 0 offset:44
.LBB53_327:
	s_or_b64 exec, exec, s[4:5]
	s_waitcnt lgkmcnt(0)
	; wave barrier
	buffer_load_dword v117, off, s[0:3], 0 offset:52
	buffer_load_dword v116, off, s[0:3], 0 offset:60
	;; [unrolled: 1-line block ×40, first 2 shown]
	ds_read_b128 v[148:151], v110 offset:480
	ds_read_b128 v[152:155], v110 offset:496
	;; [unrolled: 1-line block ×7, first 2 shown]
	buffer_load_dword v4, off, s[0:3], 0 offset:200
	buffer_load_dword v5, off, s[0:3], 0 offset:204
	;; [unrolled: 1-line block ×8, first 2 shown]
	v_cmp_lt_u32_e32 vcc, 4, v0
	s_waitcnt vmcnt(47) lgkmcnt(6)
	v_mul_f32_e32 v12, v148, v117
	s_waitcnt vmcnt(46)
	v_mul_f32_e32 v13, v150, v116
	s_waitcnt vmcnt(45) lgkmcnt(5)
	v_mul_f32_e32 v14, v152, v115
	s_waitcnt vmcnt(44)
	v_mul_f32_e32 v15, v154, v114
	;; [unrolled: 4-line block ×6, first 2 shown]
	s_waitcnt vmcnt(35)
	v_fmac_f32_e32 v14, v153, v130
	s_waitcnt vmcnt(34)
	v_fmac_f32_e32 v13, v151, v133
	;; [unrolled: 2-line block ×3, first 2 shown]
	v_add_f32_e32 v12, 0, v12
	v_add_f32_e32 v12, v12, v13
	;; [unrolled: 1-line block ×3, first 2 shown]
	buffer_load_dword v13, off, s[0:3], 0 offset:232
	buffer_load_dword v14, off, s[0:3], 0 offset:236
	s_waitcnt vmcnt(31)
	v_fmac_f32_e32 v15, v155, v135
	v_fmac_f32_e32 v16, v157, v132
	v_add_f32_e32 v12, v12, v15
	v_fmac_f32_e32 v17, v159, v129
	v_add_f32_e32 v12, v12, v16
	;; [unrolled: 2-line block ×3, first 2 shown]
	s_waitcnt vmcnt(27)
	v_fmac_f32_e32 v19, v163, v131
	v_add_f32_e32 v12, v12, v18
	v_fmac_f32_e32 v20, v165, v128
	v_add_f32_e32 v12, v12, v19
	;; [unrolled: 2-line block ×4, first 2 shown]
	ds_read_b128 v[176:179], v110 offset:592
	s_waitcnt vmcnt(23)
	v_fmac_f32_e32 v23, v171, v143
	v_add_f32_e32 v12, v12, v22
	s_waitcnt vmcnt(22) lgkmcnt(1)
	v_mul_f32_e32 v15, v172, v142
	v_add_f32_e32 v12, v12, v23
	v_fmac_f32_e32 v15, v173, v139
	v_add_f32_e32 v12, v12, v15
	s_waitcnt vmcnt(21)
	v_mul_f32_e32 v15, v174, v140
	v_fmac_f32_e32 v15, v175, v137
	v_add_f32_e32 v12, v12, v15
	s_waitcnt vmcnt(20) lgkmcnt(0)
	v_mul_f32_e32 v15, v176, v138
	v_fmac_f32_e32 v15, v177, v134
	v_add_f32_e32 v12, v12, v15
	buffer_load_dword v15, off, s[0:3], 0 offset:240
	buffer_load_dword v16, off, s[0:3], 0 offset:244
	buffer_load_dword v17, off, s[0:3], 0 offset:252
	buffer_load_dword v18, off, s[0:3], 0 offset:256
	buffer_load_dword v19, off, s[0:3], 0 offset:260
	buffer_load_dword v20, off, s[0:3], 0 offset:248
	s_waitcnt vmcnt(25)
	v_mul_f32_e32 v21, v178, v141
	s_waitcnt vmcnt(18)
	v_fmac_f32_e32 v21, v179, v3
	ds_read_b128 v[180:183], v110 offset:608
	v_add_f32_e32 v12, v12, v21
	buffer_load_dword v21, off, s[0:3], 0 offset:264
	buffer_load_dword v22, off, s[0:3], 0 offset:268
	ds_read_b128 v[184:187], v110 offset:624
	buffer_load_dword v24, off, s[0:3], 0 offset:272
	buffer_load_dword v25, off, s[0:3], 0 offset:276
	;; [unrolled: 1-line block ×14, first 2 shown]
	s_waitcnt lgkmcnt(1)
	v_mul_f32_e32 v23, v180, v145
	v_fmac_f32_e32 v23, v181, v144
	v_add_f32_e32 v12, v12, v23
	v_mul_f32_e32 v23, v182, v147
	buffer_load_dword v38, off, s[0:3], 0 offset:328
	buffer_load_dword v39, off, s[0:3], 0 offset:332
	v_fmac_f32_e32 v23, v183, v146
	v_add_f32_e32 v12, v12, v23
	s_waitcnt lgkmcnt(0)
	v_mul_f32_e32 v23, v184, v2
	v_fmac_f32_e32 v23, v185, v1
	v_add_f32_e32 v12, v12, v23
	s_waitcnt vmcnt(32)
	v_mul_f32_e32 v23, v186, v5
	ds_read_b128 v[188:191], v110 offset:640
	v_fmac_f32_e32 v23, v187, v4
	v_add_f32_e32 v12, v12, v23
	buffer_load_dword v23, off, s[0:3], 0 offset:336
	buffer_load_dword v40, off, s[0:3], 0 offset:340
	buffer_load_dword v41, off, s[0:3], 0 offset:348
	buffer_load_dword v42, off, s[0:3], 0 offset:352
	buffer_load_dword v43, off, s[0:3], 0 offset:356
	buffer_load_dword v44, off, s[0:3], 0 offset:344
	ds_read_b128 v[192:195], v110 offset:656
	s_waitcnt vmcnt(36) lgkmcnt(1)
	v_mul_f32_e32 v45, v188, v7
	v_fmac_f32_e32 v45, v189, v6
	v_add_f32_e32 v12, v12, v45
	buffer_load_dword v45, off, s[0:3], 0 offset:360
	buffer_load_dword v46, off, s[0:3], 0 offset:364
	;; [unrolled: 1-line block ×8, first 2 shown]
	s_waitcnt vmcnt(42)
	v_mul_f32_e32 v47, v190, v9
	v_fmac_f32_e32 v47, v191, v8
	v_add_f32_e32 v12, v12, v47
	s_waitcnt vmcnt(40) lgkmcnt(0)
	v_mul_f32_e32 v47, v192, v11
	v_fmac_f32_e32 v47, v193, v10
	v_add_f32_e32 v12, v12, v47
	buffer_load_dword v47, off, s[0:3], 0 offset:392
	buffer_load_dword v249, off, s[0:3], 0 offset:396
	;; [unrolled: 1-line block ×8, first 2 shown]
	ds_read_b128 v[196:199], v110 offset:672
	v_mul_f32_e32 v116, v151, v116
	v_fma_f32 v116, v150, v133, -v116
	v_mul_f32_e32 v115, v153, v115
	v_fma_f32 v115, v152, v130, -v115
	;; [unrolled: 2-line block ×5, first 2 shown]
	v_mul_f32_e32 v111, v161, v111
	s_waitcnt vmcnt(46)
	v_mul_f32_e32 v200, v194, v14
	v_fmac_f32_e32 v200, v195, v13
	v_add_f32_e32 v12, v12, v200
	ds_read_b128 v[200:203], v110 offset:688
	buffer_load_dword v49, off, s[0:3], 0 offset:424
	buffer_load_dword v50, off, s[0:3], 0 offset:428
	v_fma_f32 v111, v160, v127, -v111
	v_mul_f32_e32 v2, v185, v2
	v_fma_f32 v1, v184, v1, -v2
	v_mul_f32_e32 v2, v187, v5
	v_fma_f32 v2, v186, v4, -v2
	s_waitcnt vmcnt(46) lgkmcnt(1)
	v_mul_f32_e32 v204, v196, v16
	v_fmac_f32_e32 v204, v197, v15
	v_add_f32_e32 v12, v12, v204
	s_waitcnt vmcnt(45)
	v_mul_f32_e32 v204, v198, v17
	s_waitcnt vmcnt(42)
	v_fmac_f32_e32 v204, v199, v20
	v_add_f32_e32 v12, v12, v204
	s_waitcnt lgkmcnt(0)
	v_mul_f32_e32 v204, v200, v19
	v_fmac_f32_e32 v204, v201, v18
	v_add_f32_e32 v12, v12, v204
	ds_read_b128 v[204:207], v110 offset:704
	s_waitcnt vmcnt(40)
	v_mul_f32_e32 v208, v202, v22
	v_fmac_f32_e32 v208, v203, v21
	v_add_f32_e32 v12, v12, v208
	ds_read_b128 v[208:211], v110 offset:720
	s_waitcnt vmcnt(38) lgkmcnt(1)
	v_mul_f32_e32 v212, v204, v25
	v_fmac_f32_e32 v212, v205, v24
	v_add_f32_e32 v12, v12, v212
	s_waitcnt vmcnt(37)
	v_mul_f32_e32 v212, v206, v26
	s_waitcnt vmcnt(34)
	v_fmac_f32_e32 v212, v207, v29
	v_add_f32_e32 v12, v12, v212
	s_waitcnt lgkmcnt(0)
	v_mul_f32_e32 v212, v208, v28
	v_fmac_f32_e32 v212, v209, v27
	v_add_f32_e32 v12, v12, v212
	ds_read_b128 v[212:215], v110 offset:736
	s_waitcnt vmcnt(32)
	v_mul_f32_e32 v216, v210, v31
	v_fmac_f32_e32 v216, v211, v30
	v_add_f32_e32 v12, v12, v216
	ds_read_b128 v[216:219], v110 offset:752
	;; [unrolled: 19-line block ×5, first 2 shown]
	s_waitcnt vmcnt(6) lgkmcnt(1)
	v_mul_f32_e32 v110, v236, v251
	v_fmac_f32_e32 v110, v237, v250
	v_add_f32_e32 v12, v12, v110
	s_waitcnt vmcnt(5)
	v_mul_f32_e32 v110, v238, v252
	s_waitcnt vmcnt(2)
	v_fmac_f32_e32 v110, v239, v255
	v_add_f32_e32 v12, v12, v110
	s_waitcnt lgkmcnt(0)
	v_mul_f32_e32 v110, v240, v254
	v_fmac_f32_e32 v110, v241, v253
	v_add_f32_e32 v12, v12, v110
	s_waitcnt vmcnt(0)
	v_mul_f32_e32 v110, v242, v50
	v_fmac_f32_e32 v110, v243, v49
	v_add_f32_e32 v12, v12, v110
	v_mul_f32_e32 v110, v149, v117
	v_fma_f32 v110, v148, v136, -v110
	v_add_f32_e32 v110, 0, v110
	v_add_f32_e32 v110, v110, v116
	;; [unrolled: 1-line block ×7, first 2 shown]
	v_mul_f32_e32 v111, v163, v120
	v_fma_f32 v111, v162, v131, -v111
	v_add_f32_e32 v110, v110, v111
	v_mul_f32_e32 v111, v165, v121
	v_fma_f32 v111, v164, v128, -v111
	v_add_f32_e32 v110, v110, v111
	;; [unrolled: 3-line block ×11, first 2 shown]
	v_add_f32_e32 v1, v3, v1
	v_add_f32_e32 v1, v1, v2
	v_mul_f32_e32 v2, v189, v7
	v_fma_f32 v2, v188, v6, -v2
	v_add_f32_e32 v1, v1, v2
	v_mul_f32_e32 v2, v191, v9
	v_fma_f32 v2, v190, v8, -v2
	v_add_f32_e32 v1, v1, v2
	v_mul_f32_e32 v2, v193, v11
	v_fma_f32 v2, v192, v10, -v2
	v_add_f32_e32 v1, v1, v2
	v_mul_f32_e32 v2, v195, v14
	v_fma_f32 v2, v194, v13, -v2
	v_add_f32_e32 v1, v1, v2
	v_mul_f32_e32 v2, v197, v16
	v_fma_f32 v2, v196, v15, -v2
	v_add_f32_e32 v1, v1, v2
	v_mul_f32_e32 v2, v199, v17
	v_fma_f32 v2, v198, v20, -v2
	v_add_f32_e32 v1, v1, v2
	v_mul_f32_e32 v2, v201, v19
	v_fma_f32 v2, v200, v18, -v2
	v_add_f32_e32 v1, v1, v2
	v_mul_f32_e32 v2, v203, v22
	v_fma_f32 v2, v202, v21, -v2
	v_add_f32_e32 v1, v1, v2
	v_mul_f32_e32 v2, v205, v25
	v_fma_f32 v2, v204, v24, -v2
	v_add_f32_e32 v1, v1, v2
	v_mul_f32_e32 v2, v207, v26
	v_fma_f32 v2, v206, v29, -v2
	v_add_f32_e32 v1, v1, v2
	v_mul_f32_e32 v2, v209, v28
	v_fma_f32 v2, v208, v27, -v2
	v_add_f32_e32 v1, v1, v2
	v_mul_f32_e32 v2, v211, v31
	v_fma_f32 v2, v210, v30, -v2
	v_add_f32_e32 v1, v1, v2
	v_mul_f32_e32 v2, v213, v33
	v_fma_f32 v2, v212, v32, -v2
	v_add_f32_e32 v1, v1, v2
	v_mul_f32_e32 v2, v215, v34
	v_fma_f32 v2, v214, v37, -v2
	v_add_f32_e32 v1, v1, v2
	v_mul_f32_e32 v2, v217, v36
	v_fma_f32 v2, v216, v35, -v2
	v_add_f32_e32 v1, v1, v2
	v_mul_f32_e32 v2, v219, v39
	v_fma_f32 v2, v218, v38, -v2
	v_add_f32_e32 v1, v1, v2
	v_mul_f32_e32 v2, v221, v40
	v_fma_f32 v2, v220, v23, -v2
	v_add_f32_e32 v1, v1, v2
	v_mul_f32_e32 v2, v223, v41
	v_fma_f32 v2, v222, v44, -v2
	v_add_f32_e32 v1, v1, v2
	v_mul_f32_e32 v2, v225, v43
	v_fma_f32 v2, v224, v42, -v2
	v_add_f32_e32 v1, v1, v2
	v_mul_f32_e32 v2, v227, v46
	v_fma_f32 v2, v226, v45, -v2
	v_add_f32_e32 v1, v1, v2
	v_mul_f32_e32 v2, v229, v244
	v_fma_f32 v2, v228, v48, -v2
	v_add_f32_e32 v1, v1, v2
	v_mul_f32_e32 v2, v231, v245
	v_fma_f32 v2, v230, v248, -v2
	v_add_f32_e32 v1, v1, v2
	v_mul_f32_e32 v2, v233, v247
	v_fma_f32 v2, v232, v246, -v2
	v_add_f32_e32 v1, v1, v2
	v_mul_f32_e32 v2, v235, v249
	v_fma_f32 v2, v234, v47, -v2
	v_add_f32_e32 v1, v1, v2
	v_mul_f32_e32 v2, v237, v251
	v_fma_f32 v2, v236, v250, -v2
	v_add_f32_e32 v1, v1, v2
	v_mul_f32_e32 v2, v239, v252
	v_fma_f32 v2, v238, v255, -v2
	v_add_f32_e32 v1, v1, v2
	v_mul_f32_e32 v2, v241, v254
	v_fma_f32 v2, v240, v253, -v2
	v_add_f32_e32 v1, v1, v2
	v_mul_f32_e32 v2, v243, v50
	v_fma_f32 v2, v242, v49, -v2
	v_add_f32_e32 v1, v1, v2
	v_sub_f32_e32 v1, v118, v1
	v_sub_f32_e32 v2, v119, v12
	buffer_store_dword v1, off, s[0:3], 0 offset:40
	buffer_store_dword v2, off, s[0:3], 0 offset:44
	s_and_saveexec_b64 s[4:5], vcc
	s_cbranch_execz .LBB53_329
; %bb.328:
	buffer_load_dword v110, off, s[0:3], 0 offset:32
	buffer_load_dword v111, off, s[0:3], 0 offset:36
	v_mov_b32_e32 v1, 0
	buffer_store_dword v1, off, s[0:3], 0 offset:32
	buffer_store_dword v1, off, s[0:3], 0 offset:36
	s_waitcnt vmcnt(2)
	ds_write_b64 v109, v[110:111]
.LBB53_329:
	s_or_b64 exec, exec, s[4:5]
	s_waitcnt lgkmcnt(0)
	; wave barrier
	buffer_load_dword v117, off, s[0:3], 0 offset:44
	buffer_load_dword v116, off, s[0:3], 0 offset:52
	;; [unrolled: 1-line block ×50, first 2 shown]
	v_mov_b32_e32 v110, 0
	ds_read2_b64 v[124:127], v110 offset0:59 offset1:60
	ds_read2_b64 v[128:131], v110 offset0:61 offset1:62
	;; [unrolled: 1-line block ×8, first 2 shown]
	v_cmp_lt_u32_e32 vcc, 3, v0
	s_waitcnt vmcnt(49) lgkmcnt(7)
	v_mul_f32_e32 v38, v124, v117
	s_waitcnt vmcnt(48)
	v_mul_f32_e32 v39, v126, v116
	s_waitcnt vmcnt(47) lgkmcnt(6)
	v_mul_f32_e32 v40, v128, v115
	s_waitcnt vmcnt(46)
	v_mul_f32_e32 v41, v130, v114
	;; [unrolled: 4-line block ×5, first 2 shown]
	s_waitcnt vmcnt(39) lgkmcnt(2)
	v_mul_f32_e32 v48, v144, v123
	s_waitcnt vmcnt(38)
	v_fmac_f32_e32 v40, v129, v1
	s_waitcnt vmcnt(37)
	v_fmac_f32_e32 v39, v127, v2
	s_waitcnt vmcnt(36)
	v_fmac_f32_e32 v38, v125, v3
	v_add_f32_e32 v38, 0, v38
	v_add_f32_e32 v38, v38, v39
	;; [unrolled: 1-line block ×3, first 2 shown]
	s_waitcnt vmcnt(32)
	v_fmac_f32_e32 v41, v131, v7
	v_fmac_f32_e32 v42, v133, v6
	v_add_f32_e32 v38, v38, v41
	v_fmac_f32_e32 v43, v135, v5
	v_add_f32_e32 v38, v38, v42
	;; [unrolled: 2-line block ×3, first 2 shown]
	s_waitcnt vmcnt(28)
	v_fmac_f32_e32 v45, v139, v11
	v_add_f32_e32 v38, v38, v44
	v_fmac_f32_e32 v46, v141, v10
	v_add_f32_e32 v38, v38, v45
	;; [unrolled: 2-line block ×4, first 2 shown]
	s_waitcnt vmcnt(27)
	v_mul_f32_e32 v39, v146, v12
	v_add_f32_e32 v38, v38, v48
	s_waitcnt vmcnt(23)
	v_fmac_f32_e32 v39, v147, v16
	v_add_f32_e32 v38, v38, v39
	s_waitcnt vmcnt(22) lgkmcnt(1)
	v_mul_f32_e32 v39, v148, v17
	v_fmac_f32_e32 v39, v149, v15
	v_add_f32_e32 v38, v38, v39
	buffer_load_dword v39, off, s[0:3], 0 offset:232
	buffer_load_dword v40, off, s[0:3], 0 offset:236
	ds_read2_b64 v[156:159], v110 offset0:75 offset1:76
	buffer_load_dword v42, off, s[0:3], 0 offset:244
	buffer_load_dword v43, off, s[0:3], 0 offset:248
	;; [unrolled: 1-line block ×4, first 2 shown]
	s_waitcnt vmcnt(27)
	v_mul_f32_e32 v41, v150, v18
	v_fmac_f32_e32 v41, v151, v14
	v_add_f32_e32 v38, v38, v41
	s_waitcnt vmcnt(26) lgkmcnt(1)
	v_mul_f32_e32 v41, v152, v19
	ds_read2_b64 v[160:163], v110 offset0:77 offset1:78
	buffer_load_dword v46, off, s[0:3], 0 offset:256
	buffer_load_dword v47, off, s[0:3], 0 offset:260
	v_fmac_f32_e32 v41, v153, v13
	v_add_f32_e32 v38, v38, v41
	s_waitcnt vmcnt(27)
	v_mul_f32_e32 v41, v154, v20
	s_waitcnt vmcnt(21)
	v_fmac_f32_e32 v41, v155, v26
	v_add_f32_e32 v38, v38, v41
	s_waitcnt vmcnt(20) lgkmcnt(1)
	v_mul_f32_e32 v41, v156, v27
	v_fmac_f32_e32 v41, v157, v25
	v_add_f32_e32 v38, v38, v41
	buffer_load_dword v41, off, s[0:3], 0 offset:264
	buffer_load_dword v48, off, s[0:3], 0 offset:268
	;; [unrolled: 1-line block ×14, first 2 shown]
	v_mul_f32_e32 v164, v158, v22
	v_fmac_f32_e32 v164, v159, v21
	v_add_f32_e32 v38, v38, v164
	s_waitcnt lgkmcnt(0)
	v_mul_f32_e32 v164, v160, v24
	v_fmac_f32_e32 v164, v161, v23
	v_add_f32_e32 v38, v38, v164
	ds_read2_b64 v[164:167], v110 offset0:79 offset1:80
	buffer_load_dword v232, off, s[0:3], 0 offset:320
	buffer_load_dword v233, off, s[0:3], 0 offset:324
	s_waitcnt vmcnt(32)
	v_mul_f32_e32 v168, v162, v29
	v_fmac_f32_e32 v168, v163, v28
	v_add_f32_e32 v38, v38, v168
	ds_read2_b64 v[168:171], v110 offset0:81 offset1:82
	buffer_load_dword v234, off, s[0:3], 0 offset:328
	buffer_load_dword v235, off, s[0:3], 0 offset:332
	;; [unrolled: 1-line block ×14, first 2 shown]
	s_waitcnt vmcnt(44) lgkmcnt(1)
	v_mul_f32_e32 v172, v164, v31
	v_fmac_f32_e32 v172, v165, v30
	buffer_load_dword v248, off, s[0:3], 0 offset:384
	buffer_load_dword v249, off, s[0:3], 0 offset:388
	v_add_f32_e32 v38, v38, v172
	s_waitcnt vmcnt(44)
	v_mul_f32_e32 v172, v166, v33
	v_fmac_f32_e32 v172, v167, v32
	v_add_f32_e32 v38, v38, v172
	s_waitcnt vmcnt(42) lgkmcnt(0)
	v_mul_f32_e32 v172, v168, v35
	v_fmac_f32_e32 v172, v169, v34
	v_add_f32_e32 v38, v38, v172
	ds_read2_b64 v[172:175], v110 offset0:83 offset1:84
	buffer_load_dword v250, off, s[0:3], 0 offset:392
	buffer_load_dword v251, off, s[0:3], 0 offset:396
	;; [unrolled: 1-line block ×6, first 2 shown]
	s_waitcnt vmcnt(46)
	v_mul_f32_e32 v176, v170, v37
	v_fmac_f32_e32 v176, v171, v36
	v_add_f32_e32 v38, v38, v176
	ds_read2_b64 v[176:179], v110 offset0:85 offset1:86
	buffer_load_dword v51, off, s[0:3], 0 offset:420
	buffer_load_dword v52, off, s[0:3], 0 offset:424
	;; [unrolled: 1-line block ×4, first 2 shown]
	s_waitcnt vmcnt(48) lgkmcnt(1)
	v_mul_f32_e32 v180, v172, v40
	v_fmac_f32_e32 v180, v173, v39
	v_add_f32_e32 v38, v38, v180
	s_waitcnt vmcnt(47)
	v_mul_f32_e32 v180, v174, v42
	s_waitcnt vmcnt(44)
	v_fmac_f32_e32 v180, v175, v45
	v_add_f32_e32 v38, v38, v180
	s_waitcnt lgkmcnt(0)
	v_mul_f32_e32 v180, v176, v44
	v_fmac_f32_e32 v180, v177, v43
	v_add_f32_e32 v38, v38, v180
	ds_read2_b64 v[180:183], v110 offset0:87 offset1:88
	s_waitcnt vmcnt(42)
	v_mul_f32_e32 v184, v178, v47
	v_fmac_f32_e32 v184, v179, v46
	v_add_f32_e32 v38, v38, v184
	ds_read2_b64 v[184:187], v110 offset0:89 offset1:90
	s_waitcnt vmcnt(40) lgkmcnt(1)
	v_mul_f32_e32 v188, v180, v48
	v_fmac_f32_e32 v188, v181, v41
	v_add_f32_e32 v38, v38, v188
	s_waitcnt vmcnt(39)
	v_mul_f32_e32 v188, v182, v49
	s_waitcnt vmcnt(36)
	v_fmac_f32_e32 v188, v183, v223
	v_add_f32_e32 v38, v38, v188
	s_waitcnt lgkmcnt(0)
	v_mul_f32_e32 v188, v184, v222
	v_fmac_f32_e32 v188, v185, v50
	v_add_f32_e32 v38, v38, v188
	ds_read2_b64 v[188:191], v110 offset0:91 offset1:92
	s_waitcnt vmcnt(34)
	v_mul_f32_e32 v192, v186, v225
	v_fmac_f32_e32 v192, v187, v224
	v_add_f32_e32 v38, v38, v192
	ds_read2_b64 v[192:195], v110 offset0:93 offset1:94
	;; [unrolled: 19-line block ×5, first 2 shown]
	s_waitcnt vmcnt(8) lgkmcnt(1)
	v_mul_f32_e32 v220, v212, v251
	v_fmac_f32_e32 v220, v213, v250
	v_add_f32_e32 v38, v38, v220
	s_waitcnt vmcnt(7)
	v_mul_f32_e32 v220, v214, v252
	s_waitcnt vmcnt(4)
	v_fmac_f32_e32 v220, v215, v255
	v_add_f32_e32 v38, v38, v220
	ds_read_b64 v[220:221], v110 offset:856
	s_waitcnt lgkmcnt(1)
	v_mul_f32_e32 v55, v216, v254
	v_fmac_f32_e32 v55, v217, v253
	v_add_f32_e32 v38, v38, v55
	s_waitcnt vmcnt(3)
	v_mul_f32_e32 v55, v218, v51
	s_waitcnt vmcnt(0)
	v_fmac_f32_e32 v55, v219, v54
	v_add_f32_e32 v38, v38, v55
	s_waitcnt lgkmcnt(0)
	v_mul_f32_e32 v55, v220, v53
	v_fmac_f32_e32 v55, v221, v52
	v_add_f32_e32 v38, v38, v55
	v_mul_f32_e32 v55, v125, v117
	v_fma_f32 v3, v124, v3, -v55
	v_mul_f32_e32 v55, v127, v116
	v_add_f32_e32 v3, 0, v3
	v_fma_f32 v2, v126, v2, -v55
	v_add_f32_e32 v2, v3, v2
	v_mul_f32_e32 v3, v129, v115
	v_fma_f32 v1, v128, v1, -v3
	v_add_f32_e32 v1, v2, v1
	v_mul_f32_e32 v2, v131, v114
	;; [unrolled: 3-line block ×47, first 2 shown]
	v_fma_f32 v2, v220, v52, -v2
	v_add_f32_e32 v1, v1, v2
	v_sub_f32_e32 v1, v118, v1
	v_sub_f32_e32 v2, v119, v38
	buffer_store_dword v1, off, s[0:3], 0 offset:32
	buffer_store_dword v2, off, s[0:3], 0 offset:36
	s_and_saveexec_b64 s[4:5], vcc
	s_cbranch_execz .LBB53_331
; %bb.330:
	buffer_load_dword v111, off, s[0:3], 0 offset:24
	buffer_load_dword v112, off, s[0:3], 0 offset:28
	s_waitcnt vmcnt(0)
	ds_write_b64 v109, v[111:112]
	buffer_store_dword v110, off, s[0:3], 0 offset:24
	buffer_store_dword v110, off, s[0:3], 0 offset:28
.LBB53_331:
	s_or_b64 exec, exec, s[4:5]
	s_waitcnt lgkmcnt(0)
	; wave barrier
	buffer_load_dword v117, off, s[0:3], 0 offset:36
	buffer_load_dword v116, off, s[0:3], 0 offset:44
	;; [unrolled: 1-line block ×40, first 2 shown]
	ds_read_b128 v[125:128], v110 offset:464
	ds_read_b128 v[129:132], v110 offset:480
	;; [unrolled: 1-line block ×7, first 2 shown]
	buffer_load_dword v27, off, s[0:3], 0 offset:184
	buffer_load_dword v28, off, s[0:3], 0 offset:188
	;; [unrolled: 1-line block ×10, first 2 shown]
	ds_read_b128 v[153:156], v110 offset:576
	v_cmp_lt_u32_e32 vcc, 2, v0
	s_waitcnt vmcnt(49) lgkmcnt(7)
	v_mul_f32_e32 v37, v125, v117
	s_waitcnt vmcnt(48)
	v_mul_f32_e32 v38, v127, v116
	s_waitcnt vmcnt(47) lgkmcnt(6)
	v_mul_f32_e32 v39, v129, v115
	s_waitcnt vmcnt(46)
	v_mul_f32_e32 v40, v131, v114
	;; [unrolled: 4-line block ×6, first 2 shown]
	s_waitcnt vmcnt(37)
	v_fmac_f32_e32 v39, v130, v1
	s_waitcnt vmcnt(36)
	v_fmac_f32_e32 v38, v128, v2
	;; [unrolled: 2-line block ×3, first 2 shown]
	v_add_f32_e32 v37, 0, v37
	v_add_f32_e32 v37, v37, v38
	;; [unrolled: 1-line block ×3, first 2 shown]
	s_waitcnt vmcnt(31)
	v_fmac_f32_e32 v40, v132, v7
	v_fmac_f32_e32 v41, v134, v6
	v_add_f32_e32 v37, v37, v40
	v_fmac_f32_e32 v42, v136, v5
	v_add_f32_e32 v37, v37, v41
	;; [unrolled: 2-line block ×3, first 2 shown]
	s_waitcnt vmcnt(27)
	v_fmac_f32_e32 v44, v140, v11
	v_add_f32_e32 v37, v37, v43
	v_fmac_f32_e32 v45, v142, v10
	v_add_f32_e32 v37, v37, v44
	;; [unrolled: 2-line block ×4, first 2 shown]
	v_add_f32_e32 v37, v37, v47
	s_waitcnt vmcnt(23)
	v_fmac_f32_e32 v48, v148, v15
	s_waitcnt vmcnt(22) lgkmcnt(1)
	v_mul_f32_e32 v38, v149, v16
	v_add_f32_e32 v37, v37, v48
	v_fmac_f32_e32 v38, v150, v14
	buffer_load_dword v39, off, s[0:3], 0 offset:228
	v_add_f32_e32 v37, v37, v38
	s_waitcnt vmcnt(22)
	v_mul_f32_e32 v38, v151, v17
	v_fmac_f32_e32 v38, v152, v13
	buffer_load_dword v40, off, s[0:3], 0 offset:224
	buffer_load_dword v41, off, s[0:3], 0 offset:232
	;; [unrolled: 1-line block ×3, first 2 shown]
	ds_read_b128 v[157:160], v110 offset:592
	v_add_f32_e32 v37, v37, v38
	s_waitcnt vmcnt(24) lgkmcnt(1)
	v_mul_f32_e32 v38, v153, v18
	v_fmac_f32_e32 v38, v154, v12
	v_add_f32_e32 v37, v37, v38
	s_waitcnt vmcnt(23)
	v_mul_f32_e32 v38, v155, v19
	buffer_load_dword v43, off, s[0:3], 0 offset:240
	buffer_load_dword v44, off, s[0:3], 0 offset:244
	s_waitcnt vmcnt(19)
	v_fmac_f32_e32 v38, v156, v25
	v_add_f32_e32 v37, v37, v38
	s_waitcnt vmcnt(18) lgkmcnt(0)
	v_mul_f32_e32 v38, v157, v26
	v_fmac_f32_e32 v38, v158, v24
	ds_read_b128 v[161:164], v110 offset:608
	v_add_f32_e32 v37, v37, v38
	buffer_load_dword v38, off, s[0:3], 0 offset:248
	buffer_load_dword v45, off, s[0:3], 0 offset:252
	;; [unrolled: 1-line block ×8, first 2 shown]
	v_mul_f32_e32 v46, v159, v21
	v_fmac_f32_e32 v46, v160, v20
	v_add_f32_e32 v37, v37, v46
	s_waitcnt lgkmcnt(0)
	v_mul_f32_e32 v46, v161, v23
	v_fmac_f32_e32 v46, v162, v22
	v_add_f32_e32 v37, v37, v46
	buffer_load_dword v46, off, s[0:3], 0 offset:280
	buffer_load_dword v53, off, s[0:3], 0 offset:284
	ds_read_b128 v[165:168], v110 offset:624
	buffer_load_dword v55, off, s[0:3], 0 offset:288
	buffer_load_dword v56, off, s[0:3], 0 offset:292
	;; [unrolled: 1-line block ×6, first 2 shown]
	ds_read_b128 v[169:172], v110 offset:640
	buffer_load_dword v229, off, s[0:3], 0 offset:312
	buffer_load_dword v230, off, s[0:3], 0 offset:316
	s_waitcnt vmcnt(32)
	v_mul_f32_e32 v54, v163, v28
	v_fmac_f32_e32 v54, v164, v27
	v_add_f32_e32 v37, v37, v54
	s_waitcnt vmcnt(30) lgkmcnt(1)
	v_mul_f32_e32 v54, v165, v30
	v_fmac_f32_e32 v54, v166, v29
	v_add_f32_e32 v37, v37, v54
	buffer_load_dword v54, off, s[0:3], 0 offset:320
	buffer_load_dword v231, off, s[0:3], 0 offset:324
	;; [unrolled: 1-line block ×14, first 2 shown]
	s_waitcnt vmcnt(42)
	v_mul_f32_e32 v173, v167, v32
	v_fmac_f32_e32 v173, v168, v31
	v_add_f32_e32 v37, v37, v173
	s_waitcnt vmcnt(40) lgkmcnt(0)
	v_mul_f32_e32 v173, v169, v34
	v_fmac_f32_e32 v173, v170, v33
	v_add_f32_e32 v37, v37, v173
	ds_read_b128 v[173:176], v110 offset:656
	buffer_load_dword v244, off, s[0:3], 0 offset:376
	buffer_load_dword v245, off, s[0:3], 0 offset:380
	s_waitcnt vmcnt(40)
	v_mul_f32_e32 v177, v171, v36
	v_fmac_f32_e32 v177, v172, v35
	v_add_f32_e32 v37, v37, v177
	ds_read_b128 v[177:180], v110 offset:672
	buffer_load_dword v246, off, s[0:3], 0 offset:384
	buffer_load_dword v247, off, s[0:3], 0 offset:388
	;; [unrolled: 1-line block ×12, first 2 shown]
	s_waitcnt vmcnt(51) lgkmcnt(1)
	v_mul_f32_e32 v181, v173, v39
	s_waitcnt vmcnt(50)
	v_fmac_f32_e32 v181, v174, v40
	v_add_f32_e32 v37, v37, v181
	s_waitcnt vmcnt(48)
	v_mul_f32_e32 v181, v175, v42
	v_fmac_f32_e32 v181, v176, v41
	v_add_f32_e32 v37, v37, v181
	s_waitcnt vmcnt(46) lgkmcnt(0)
	v_mul_f32_e32 v181, v177, v44
	v_fmac_f32_e32 v181, v178, v43
	v_add_f32_e32 v37, v37, v181
	ds_read_b128 v[181:184], v110 offset:688
	s_waitcnt vmcnt(44)
	v_mul_f32_e32 v185, v179, v45
	v_fmac_f32_e32 v185, v180, v38
	v_add_f32_e32 v37, v37, v185
	ds_read_b128 v[185:188], v110 offset:704
	s_waitcnt vmcnt(42) lgkmcnt(1)
	v_mul_f32_e32 v189, v181, v48
	v_fmac_f32_e32 v189, v182, v47
	v_add_f32_e32 v37, v37, v189
	s_waitcnt vmcnt(41)
	v_mul_f32_e32 v189, v183, v49
	s_waitcnt vmcnt(38)
	v_fmac_f32_e32 v189, v184, v52
	v_add_f32_e32 v37, v37, v189
	s_waitcnt lgkmcnt(0)
	v_mul_f32_e32 v189, v185, v51
	v_fmac_f32_e32 v189, v186, v50
	v_add_f32_e32 v37, v37, v189
	ds_read_b128 v[189:192], v110 offset:720
	s_waitcnt vmcnt(36)
	v_mul_f32_e32 v193, v187, v53
	v_fmac_f32_e32 v193, v188, v46
	v_add_f32_e32 v37, v37, v193
	ds_read_b128 v[193:196], v110 offset:736
	s_waitcnt vmcnt(34) lgkmcnt(1)
	v_mul_f32_e32 v197, v189, v56
	v_fmac_f32_e32 v197, v190, v55
	v_add_f32_e32 v37, v37, v197
	s_waitcnt vmcnt(33)
	v_mul_f32_e32 v197, v191, v225
	s_waitcnt vmcnt(30)
	v_fmac_f32_e32 v197, v192, v228
	v_add_f32_e32 v37, v37, v197
	s_waitcnt lgkmcnt(0)
	;; [unrolled: 19-line block ×4, first 2 shown]
	v_mul_f32_e32 v213, v209, v242
	v_fmac_f32_e32 v213, v210, v241
	v_add_f32_e32 v37, v37, v213
	ds_read_b128 v[213:216], v110 offset:816
	s_waitcnt vmcnt(12)
	v_mul_f32_e32 v217, v211, v245
	v_fmac_f32_e32 v217, v212, v244
	v_add_f32_e32 v37, v37, v217
	ds_read_b128 v[217:220], v110 offset:832
	s_waitcnt vmcnt(10) lgkmcnt(1)
	v_mul_f32_e32 v221, v213, v247
	v_fmac_f32_e32 v221, v214, v246
	v_add_f32_e32 v37, v37, v221
	s_waitcnt vmcnt(9)
	v_mul_f32_e32 v221, v215, v248
	s_waitcnt vmcnt(6)
	v_fmac_f32_e32 v221, v216, v251
	v_add_f32_e32 v37, v37, v221
	ds_read_b128 v[221:224], v110 offset:848
	s_waitcnt lgkmcnt(1)
	v_mul_f32_e32 v59, v217, v250
	v_fmac_f32_e32 v59, v218, v249
	v_add_f32_e32 v37, v37, v59
	s_waitcnt vmcnt(4)
	v_mul_f32_e32 v59, v219, v253
	v_fmac_f32_e32 v59, v220, v252
	v_add_f32_e32 v37, v37, v59
	s_waitcnt vmcnt(3) lgkmcnt(0)
	v_mul_f32_e32 v59, v221, v254
	s_waitcnt vmcnt(0)
	v_fmac_f32_e32 v59, v222, v58
	v_add_f32_e32 v37, v37, v59
	v_mul_f32_e32 v59, v223, v57
	v_fmac_f32_e32 v59, v224, v255
	v_add_f32_e32 v37, v37, v59
	v_mul_f32_e32 v59, v126, v117
	v_fma_f32 v3, v125, v3, -v59
	v_mul_f32_e32 v59, v128, v116
	v_add_f32_e32 v3, 0, v3
	v_fma_f32 v2, v127, v2, -v59
	v_add_f32_e32 v2, v3, v2
	v_mul_f32_e32 v3, v130, v115
	v_fma_f32 v1, v129, v1, -v3
	v_add_f32_e32 v1, v2, v1
	v_mul_f32_e32 v2, v132, v114
	;; [unrolled: 3-line block ×48, first 2 shown]
	v_fma_f32 v2, v223, v255, -v2
	v_add_f32_e32 v1, v1, v2
	v_sub_f32_e32 v1, v118, v1
	v_sub_f32_e32 v2, v119, v37
	buffer_store_dword v1, off, s[0:3], 0 offset:24
	buffer_store_dword v2, off, s[0:3], 0 offset:28
	s_and_saveexec_b64 s[4:5], vcc
	s_cbranch_execz .LBB53_333
; %bb.332:
	buffer_load_dword v110, off, s[0:3], 0 offset:16
	buffer_load_dword v111, off, s[0:3], 0 offset:20
	v_mov_b32_e32 v1, 0
	buffer_store_dword v1, off, s[0:3], 0 offset:16
	buffer_store_dword v1, off, s[0:3], 0 offset:20
	s_waitcnt vmcnt(2)
	ds_write_b64 v109, v[110:111]
.LBB53_333:
	s_or_b64 exec, exec, s[4:5]
	s_waitcnt lgkmcnt(0)
	; wave barrier
	buffer_load_dword v119, off, s[0:3], 0 offset:28
	buffer_load_dword v118, off, s[0:3], 0 offset:36
	;; [unrolled: 1-line block ×50, first 2 shown]
	v_mov_b32_e32 v110, 0
	ds_read2_b64 v[126:129], v110 offset0:57 offset1:58
	ds_read2_b64 v[130:133], v110 offset0:59 offset1:60
	;; [unrolled: 1-line block ×7, first 2 shown]
	v_cmp_lt_u32_e32 vcc, 1, v0
	s_waitcnt vmcnt(49) lgkmcnt(6)
	v_mul_f32_e32 v36, v126, v119
	s_waitcnt vmcnt(48)
	v_mul_f32_e32 v37, v128, v118
	s_waitcnt vmcnt(47) lgkmcnt(5)
	v_mul_f32_e32 v38, v130, v115
	s_waitcnt vmcnt(46)
	v_mul_f32_e32 v39, v132, v114
	;; [unrolled: 4-line block ×6, first 2 shown]
	s_waitcnt vmcnt(37)
	v_fmac_f32_e32 v38, v131, v1
	s_waitcnt vmcnt(36)
	v_fmac_f32_e32 v37, v129, v2
	;; [unrolled: 2-line block ×3, first 2 shown]
	v_add_f32_e32 v36, 0, v36
	v_add_f32_e32 v36, v36, v37
	;; [unrolled: 1-line block ×3, first 2 shown]
	s_waitcnt vmcnt(31)
	v_fmac_f32_e32 v39, v133, v7
	v_fmac_f32_e32 v40, v135, v6
	v_add_f32_e32 v36, v36, v39
	v_fmac_f32_e32 v41, v137, v5
	v_add_f32_e32 v36, v36, v40
	;; [unrolled: 2-line block ×3, first 2 shown]
	s_waitcnt vmcnt(27)
	v_fmac_f32_e32 v43, v141, v10
	v_add_f32_e32 v36, v36, v42
	v_fmac_f32_e32 v44, v143, v9
	v_add_f32_e32 v36, v36, v43
	;; [unrolled: 2-line block ×4, first 2 shown]
	buffer_load_dword v37, off, s[0:3], 0 offset:216
	buffer_load_dword v38, off, s[0:3], 0 offset:220
	ds_read2_b64 v[154:157], v110 offset0:71 offset1:72
	v_add_f32_e32 v36, v36, v46
	s_waitcnt vmcnt(25)
	v_fmac_f32_e32 v47, v149, v14
	s_waitcnt vmcnt(24) lgkmcnt(1)
	v_mul_f32_e32 v39, v150, v15
	v_add_f32_e32 v36, v36, v47
	v_fmac_f32_e32 v39, v151, v13
	v_add_f32_e32 v36, v36, v39
	s_waitcnt vmcnt(23)
	v_mul_f32_e32 v39, v152, v16
	v_fmac_f32_e32 v39, v153, v12
	v_add_f32_e32 v36, v36, v39
	s_waitcnt vmcnt(22) lgkmcnt(0)
	v_mul_f32_e32 v39, v154, v17
	v_fmac_f32_e32 v39, v155, v11
	v_add_f32_e32 v36, v36, v39
	buffer_load_dword v39, off, s[0:3], 0 offset:228
	buffer_load_dword v40, off, s[0:3], 0 offset:224
	;; [unrolled: 1-line block ×4, first 2 shown]
	s_waitcnt vmcnt(25)
	v_mul_f32_e32 v43, v156, v18
	s_waitcnt vmcnt(18)
	v_fmac_f32_e32 v43, v157, v25
	ds_read2_b64 v[158:161], v110 offset0:73 offset1:74
	ds_read2_b64 v[162:165], v110 offset0:75 offset1:76
	v_add_f32_e32 v36, v36, v43
	buffer_load_dword v43, off, s[0:3], 0 offset:240
	buffer_load_dword v44, off, s[0:3], 0 offset:244
	;; [unrolled: 1-line block ×8, first 2 shown]
	s_waitcnt lgkmcnt(1)
	v_mul_f32_e32 v45, v158, v20
	v_fmac_f32_e32 v45, v159, v19
	v_add_f32_e32 v36, v36, v45
	v_mul_f32_e32 v45, v160, v22
	buffer_load_dword v52, off, s[0:3], 0 offset:272
	buffer_load_dword v53, off, s[0:3], 0 offset:276
	v_fmac_f32_e32 v45, v161, v21
	v_add_f32_e32 v36, v36, v45
	s_waitcnt lgkmcnt(0)
	v_mul_f32_e32 v45, v162, v24
	v_fmac_f32_e32 v45, v163, v23
	v_add_f32_e32 v36, v36, v45
	s_waitcnt vmcnt(24)
	v_mul_f32_e32 v45, v164, v27
	ds_read2_b64 v[166:169], v110 offset0:77 offset1:78
	v_fmac_f32_e32 v45, v165, v26
	v_add_f32_e32 v36, v36, v45
	buffer_load_dword v45, off, s[0:3], 0 offset:280
	buffer_load_dword v54, off, s[0:3], 0 offset:284
	;; [unrolled: 1-line block ×6, first 2 shown]
	ds_read2_b64 v[170:173], v110 offset0:79 offset1:80
	s_waitcnt vmcnt(28) lgkmcnt(1)
	v_mul_f32_e32 v59, v166, v29
	v_fmac_f32_e32 v59, v167, v28
	v_add_f32_e32 v36, v36, v59
	buffer_load_dword v59, off, s[0:3], 0 offset:304
	buffer_load_dword v60, off, s[0:3], 0 offset:308
	;; [unrolled: 1-line block ×10, first 2 shown]
	s_waitcnt vmcnt(36)
	v_mul_f32_e32 v174, v168, v31
	v_fmac_f32_e32 v174, v169, v30
	v_add_f32_e32 v36, v36, v174
	s_waitcnt vmcnt(34) lgkmcnt(0)
	v_mul_f32_e32 v174, v170, v33
	v_fmac_f32_e32 v174, v171, v32
	v_add_f32_e32 v36, v36, v174
	ds_read2_b64 v[174:177], v110 offset0:81 offset1:82
	buffer_load_dword v236, off, s[0:3], 0 offset:344
	buffer_load_dword v237, off, s[0:3], 0 offset:348
	;; [unrolled: 1-line block ×6, first 2 shown]
	s_waitcnt vmcnt(38)
	v_mul_f32_e32 v178, v172, v35
	v_fmac_f32_e32 v178, v173, v34
	v_add_f32_e32 v36, v36, v178
	ds_read2_b64 v[178:181], v110 offset0:83 offset1:84
	buffer_load_dword v242, off, s[0:3], 0 offset:368
	buffer_load_dword v243, off, s[0:3], 0 offset:372
	;; [unrolled: 1-line block ×16, first 2 shown]
	s_waitcnt vmcnt(52) lgkmcnt(1)
	v_mul_f32_e32 v182, v174, v38
	v_fmac_f32_e32 v182, v175, v37
	v_add_f32_e32 v36, v36, v182
	s_waitcnt vmcnt(51)
	v_mul_f32_e32 v182, v176, v39
	s_waitcnt vmcnt(50)
	v_fmac_f32_e32 v182, v177, v40
	v_add_f32_e32 v36, v36, v182
	s_waitcnt vmcnt(48) lgkmcnt(0)
	v_mul_f32_e32 v182, v178, v42
	v_fmac_f32_e32 v182, v179, v41
	v_add_f32_e32 v36, v36, v182
	ds_read2_b64 v[182:185], v110 offset0:85 offset1:86
	s_waitcnt vmcnt(46)
	v_mul_f32_e32 v186, v180, v44
	v_fmac_f32_e32 v186, v181, v43
	v_add_f32_e32 v36, v36, v186
	ds_read2_b64 v[186:189], v110 offset0:87 offset1:88
	s_waitcnt vmcnt(44) lgkmcnt(1)
	v_mul_f32_e32 v190, v182, v47
	v_fmac_f32_e32 v190, v183, v46
	v_add_f32_e32 v36, v36, v190
	s_waitcnt vmcnt(43)
	v_mul_f32_e32 v190, v184, v48
	s_waitcnt vmcnt(40)
	v_fmac_f32_e32 v190, v185, v51
	v_add_f32_e32 v36, v36, v190
	s_waitcnt lgkmcnt(0)
	v_mul_f32_e32 v190, v186, v50
	v_fmac_f32_e32 v190, v187, v49
	v_add_f32_e32 v36, v36, v190
	ds_read2_b64 v[190:193], v110 offset0:89 offset1:90
	s_waitcnt vmcnt(38)
	v_mul_f32_e32 v194, v188, v53
	v_fmac_f32_e32 v194, v189, v52
	v_add_f32_e32 v36, v36, v194
	ds_read2_b64 v[194:197], v110 offset0:91 offset1:92
	s_waitcnt vmcnt(36) lgkmcnt(1)
	v_mul_f32_e32 v198, v190, v54
	v_fmac_f32_e32 v198, v191, v45
	v_add_f32_e32 v36, v36, v198
	s_waitcnt vmcnt(35)
	v_mul_f32_e32 v198, v192, v55
	s_waitcnt vmcnt(32)
	v_fmac_f32_e32 v198, v193, v58
	v_add_f32_e32 v36, v36, v198
	s_waitcnt lgkmcnt(0)
	;; [unrolled: 19-line block ×5, first 2 shown]
	v_mul_f32_e32 v222, v218, v248
	v_fmac_f32_e32 v222, v219, v247
	v_add_f32_e32 v36, v36, v222
	ds_read2_b64 v[222:225], v110 offset0:105 offset1:106
	s_waitcnt vmcnt(6)
	v_mul_f32_e32 v226, v220, v251
	v_fmac_f32_e32 v226, v221, v250
	v_add_f32_e32 v36, v36, v226
	ds_read_b64 v[226:227], v110 offset:856
	s_waitcnt vmcnt(4) lgkmcnt(1)
	v_mul_f32_e32 v63, v222, v253
	v_fmac_f32_e32 v63, v223, v252
	v_add_f32_e32 v36, v36, v63
	s_waitcnt vmcnt(3)
	v_mul_f32_e32 v63, v224, v254
	s_waitcnt vmcnt(0)
	v_fmac_f32_e32 v63, v225, v62
	v_add_f32_e32 v36, v36, v63
	s_waitcnt lgkmcnt(0)
	v_mul_f32_e32 v63, v226, v61
	v_fmac_f32_e32 v63, v227, v255
	v_add_f32_e32 v36, v36, v63
	v_mul_f32_e32 v63, v127, v119
	v_fma_f32 v3, v126, v3, -v63
	v_mul_f32_e32 v63, v129, v118
	v_add_f32_e32 v3, 0, v3
	v_fma_f32 v2, v128, v2, -v63
	v_add_f32_e32 v2, v3, v2
	v_mul_f32_e32 v3, v131, v115
	v_fma_f32 v1, v130, v1, -v3
	v_add_f32_e32 v1, v2, v1
	v_mul_f32_e32 v2, v133, v114
	;; [unrolled: 3-line block ×49, first 2 shown]
	v_fma_f32 v2, v226, v255, -v2
	v_add_f32_e32 v1, v1, v2
	v_sub_f32_e32 v1, v116, v1
	v_sub_f32_e32 v2, v117, v36
	buffer_store_dword v1, off, s[0:3], 0 offset:16
	buffer_store_dword v2, off, s[0:3], 0 offset:20
	s_and_saveexec_b64 s[4:5], vcc
	s_cbranch_execz .LBB53_335
; %bb.334:
	buffer_load_dword v111, off, s[0:3], 0 offset:8
	buffer_load_dword v112, off, s[0:3], 0 offset:12
	s_waitcnt vmcnt(0)
	ds_write_b64 v109, v[111:112]
	buffer_store_dword v110, off, s[0:3], 0 offset:8
	buffer_store_dword v110, off, s[0:3], 0 offset:12
.LBB53_335:
	s_or_b64 exec, exec, s[4:5]
	s_waitcnt lgkmcnt(0)
	; wave barrier
	buffer_load_dword v119, off, s[0:3], 0 offset:20
	buffer_load_dword v116, off, s[0:3], 0 offset:28
	buffer_load_dword v115, off, s[0:3], 0 offset:36
	buffer_load_dword v114, off, s[0:3], 0 offset:44
	buffer_load_dword v113, off, s[0:3], 0 offset:52
	buffer_load_dword v112, off, s[0:3], 0 offset:60
	buffer_load_dword v111, off, s[0:3], 0 offset:68
	buffer_load_dword v120, off, s[0:3], 0 offset:76
	buffer_load_dword v121, off, s[0:3], 0 offset:84
	buffer_load_dword v122, off, s[0:3], 0 offset:92
	buffer_load_dword v123, off, s[0:3], 0 offset:100
	buffer_load_dword v130, off, s[0:3], 0 offset:32
	buffer_load_dword v133, off, s[0:3], 0 offset:24
	buffer_load_dword v1, off, s[0:3], 0 offset:16
	buffer_load_dword v126, off, s[0:3], 0 offset:64
	buffer_load_dword v129, off, s[0:3], 0 offset:56
	buffer_load_dword v132, off, s[0:3], 0 offset:48
	buffer_load_dword v2, off, s[0:3], 0 offset:40
	buffer_load_dword v124, off, s[0:3], 0 offset:96
	buffer_load_dword v125, off, s[0:3], 0 offset:88
	buffer_load_dword v128, off, s[0:3], 0 offset:80
	buffer_load_dword v131, off, s[0:3], 0 offset:72
	buffer_load_dword v127, off, s[0:3], 0 offset:108
	buffer_load_dword v3, off, s[0:3], 0 offset:128
	buffer_load_dword v4, off, s[0:3], 0 offset:120
	buffer_load_dword v5, off, s[0:3], 0 offset:112
	buffer_load_dword v6, off, s[0:3], 0 offset:104
	buffer_load_dword v7, off, s[0:3], 0 offset:116
	buffer_load_dword v8, off, s[0:3], 0 offset:124
	buffer_load_dword v9, off, s[0:3], 0 offset:132
	buffer_load_dword v10, off, s[0:3], 0 offset:140
	buffer_load_dword v11, off, s[0:3], 0 offset:152
	buffer_load_dword v12, off, s[0:3], 0 offset:156
	buffer_load_dword v13, off, s[0:3], 0 offset:160
	buffer_load_dword v14, off, s[0:3], 0 offset:164
	buffer_load_dword v15, off, s[0:3], 0 offset:144
	buffer_load_dword v16, off, s[0:3], 0 offset:136
	buffer_load_dword v17, off, s[0:3], 0 offset:148
	buffer_load_dword v117, off, s[0:3], 0 offset:8
	buffer_load_dword v118, off, s[0:3], 0 offset:12
	ds_read_b128 v[134:137], v110 offset:448
	ds_read_b128 v[138:141], v110 offset:464
	ds_read_b128 v[142:145], v110 offset:480
	ds_read_b128 v[146:149], v110 offset:496
	ds_read_b128 v[150:153], v110 offset:512
	ds_read_b128 v[154:157], v110 offset:528
	buffer_load_dword v18, off, s[0:3], 0 offset:168
	buffer_load_dword v19, off, s[0:3], 0 offset:172
	;; [unrolled: 1-line block ×12, first 2 shown]
	ds_read_b128 v[158:161], v110 offset:544
	ds_read_b128 v[162:165], v110 offset:560
	v_cmp_ne_u32_e32 vcc, 0, v0
	s_waitcnt vmcnt(51) lgkmcnt(7)
	v_mul_f32_e32 v30, v134, v119
	s_waitcnt vmcnt(50)
	v_mul_f32_e32 v31, v136, v116
	s_waitcnt vmcnt(49) lgkmcnt(6)
	v_mul_f32_e32 v32, v138, v115
	s_waitcnt vmcnt(48)
	v_mul_f32_e32 v33, v140, v114
	;; [unrolled: 4-line block ×5, first 2 shown]
	s_waitcnt vmcnt(41) lgkmcnt(2)
	v_mul_f32_e32 v40, v154, v123
	s_waitcnt vmcnt(40)
	v_fmac_f32_e32 v32, v139, v130
	s_waitcnt vmcnt(39)
	v_fmac_f32_e32 v31, v137, v133
	;; [unrolled: 2-line block ×3, first 2 shown]
	v_add_f32_e32 v30, 0, v30
	v_add_f32_e32 v30, v30, v31
	;; [unrolled: 1-line block ×3, first 2 shown]
	s_waitcnt vmcnt(34)
	v_fmac_f32_e32 v33, v141, v2
	v_fmac_f32_e32 v34, v143, v132
	v_add_f32_e32 v30, v30, v33
	v_fmac_f32_e32 v35, v145, v129
	v_add_f32_e32 v30, v30, v34
	buffer_load_dword v32, off, s[0:3], 0 offset:216
	buffer_load_dword v33, off, s[0:3], 0 offset:220
	v_fmac_f32_e32 v36, v147, v126
	v_add_f32_e32 v30, v30, v35
	s_waitcnt vmcnt(32)
	v_fmac_f32_e32 v37, v149, v131
	v_add_f32_e32 v30, v30, v36
	buffer_load_dword v34, off, s[0:3], 0 offset:224
	buffer_load_dword v35, off, s[0:3], 0 offset:228
	v_add_f32_e32 v30, v30, v37
	ds_read_b128 v[166:169], v110 offset:576
	buffer_load_dword v36, off, s[0:3], 0 offset:232
	buffer_load_dword v37, off, s[0:3], 0 offset:236
	v_fmac_f32_e32 v38, v151, v128
	v_fmac_f32_e32 v39, v153, v125
	v_add_f32_e32 v30, v30, v38
	v_fmac_f32_e32 v40, v155, v124
	v_add_f32_e32 v30, v30, v39
	s_waitcnt vmcnt(35)
	v_mul_f32_e32 v31, v156, v127
	v_add_f32_e32 v30, v30, v40
	s_waitcnt vmcnt(31)
	v_fmac_f32_e32 v31, v157, v6
	v_add_f32_e32 v30, v30, v31
	s_waitcnt vmcnt(30) lgkmcnt(2)
	v_mul_f32_e32 v31, v158, v7
	v_fmac_f32_e32 v31, v159, v5
	v_add_f32_e32 v30, v30, v31
	s_waitcnt vmcnt(29)
	v_mul_f32_e32 v31, v160, v8
	v_fmac_f32_e32 v31, v161, v4
	v_add_f32_e32 v30, v30, v31
	s_waitcnt vmcnt(28) lgkmcnt(1)
	v_mul_f32_e32 v31, v162, v9
	v_fmac_f32_e32 v31, v163, v3
	v_add_f32_e32 v30, v30, v31
	s_waitcnt vmcnt(27)
	v_mul_f32_e32 v31, v164, v10
	s_waitcnt vmcnt(21)
	v_fmac_f32_e32 v31, v165, v16
	ds_read_b128 v[170:173], v110 offset:592
	v_add_f32_e32 v30, v30, v31
	s_waitcnt vmcnt(20) lgkmcnt(1)
	v_mul_f32_e32 v31, v166, v17
	v_fmac_f32_e32 v31, v167, v15
	v_add_f32_e32 v30, v30, v31
	v_mul_f32_e32 v31, v168, v12
	v_fmac_f32_e32 v31, v169, v11
	v_add_f32_e32 v30, v30, v31
	s_waitcnt lgkmcnt(0)
	v_mul_f32_e32 v31, v170, v14
	v_fmac_f32_e32 v31, v171, v13
	v_add_f32_e32 v30, v30, v31
	buffer_load_dword v31, off, s[0:3], 0 offset:240
	buffer_load_dword v38, off, s[0:3], 0 offset:244
	;; [unrolled: 1-line block ×6, first 2 shown]
	s_waitcnt vmcnt(22)
	v_mul_f32_e32 v43, v172, v19
	v_fmac_f32_e32 v43, v173, v18
	ds_read_b128 v[174:177], v110 offset:608
	v_add_f32_e32 v30, v30, v43
	buffer_load_dword v43, off, s[0:3], 0 offset:264
	buffer_load_dword v44, off, s[0:3], 0 offset:268
	ds_read_b128 v[178:181], v110 offset:624
	buffer_load_dword v46, off, s[0:3], 0 offset:272
	buffer_load_dword v47, off, s[0:3], 0 offset:276
	;; [unrolled: 1-line block ×14, first 2 shown]
	s_waitcnt vmcnt(36) lgkmcnt(1)
	v_mul_f32_e32 v45, v174, v21
	v_fmac_f32_e32 v45, v175, v20
	v_add_f32_e32 v30, v30, v45
	s_waitcnt vmcnt(34)
	v_mul_f32_e32 v45, v176, v23
	buffer_load_dword v60, off, s[0:3], 0 offset:328
	buffer_load_dword v61, off, s[0:3], 0 offset:332
	v_fmac_f32_e32 v45, v177, v22
	v_add_f32_e32 v30, v30, v45
	s_waitcnt vmcnt(34) lgkmcnt(0)
	v_mul_f32_e32 v45, v178, v25
	v_fmac_f32_e32 v45, v179, v24
	v_add_f32_e32 v30, v30, v45
	s_waitcnt vmcnt(32)
	v_mul_f32_e32 v45, v180, v27
	v_fmac_f32_e32 v45, v181, v26
	ds_read_b128 v[182:185], v110 offset:640
	v_add_f32_e32 v30, v30, v45
	buffer_load_dword v45, off, s[0:3], 0 offset:336
	buffer_load_dword v62, off, s[0:3], 0 offset:340
	buffer_load_dword v63, off, s[0:3], 0 offset:348
	buffer_load_dword v64, off, s[0:3], 0 offset:352
	buffer_load_dword v238, off, s[0:3], 0 offset:356
	buffer_load_dword v239, off, s[0:3], 0 offset:344
	ds_read_b128 v[186:189], v110 offset:656
	buffer_load_dword v240, off, s[0:3], 0 offset:360
	buffer_load_dword v241, off, s[0:3], 0 offset:364
	;; [unrolled: 1-line block ×10, first 2 shown]
	s_waitcnt vmcnt(46) lgkmcnt(1)
	v_mul_f32_e32 v190, v182, v29
	v_fmac_f32_e32 v190, v183, v28
	v_add_f32_e32 v30, v30, v190
	buffer_load_dword v250, off, s[0:3], 0 offset:400
	buffer_load_dword v251, off, s[0:3], 0 offset:404
	;; [unrolled: 1-line block ×6, first 2 shown]
	s_waitcnt vmcnt(50)
	v_mul_f32_e32 v190, v184, v33
	v_fmac_f32_e32 v190, v185, v32
	v_add_f32_e32 v30, v30, v190
	s_waitcnt vmcnt(48) lgkmcnt(0)
	v_mul_f32_e32 v190, v186, v35
	v_fmac_f32_e32 v190, v187, v34
	v_add_f32_e32 v30, v30, v190
	s_waitcnt vmcnt(46)
	v_mul_f32_e32 v194, v188, v37
	v_fmac_f32_e32 v194, v189, v36
	ds_read_b128 v[190:193], v110 offset:672
	v_add_f32_e32 v30, v30, v194
	ds_read_b128 v[194:197], v110 offset:688
	buffer_load_dword v65, off, s[0:3], 0 offset:424
	buffer_load_dword v66, off, s[0:3], 0 offset:428
	s_waitcnt vmcnt(46) lgkmcnt(1)
	v_mul_f32_e32 v198, v190, v38
	v_fmac_f32_e32 v198, v191, v31
	v_add_f32_e32 v30, v30, v198
	s_waitcnt vmcnt(45)
	v_mul_f32_e32 v198, v192, v39
	s_waitcnt vmcnt(42)
	v_fmac_f32_e32 v198, v193, v42
	v_add_f32_e32 v30, v30, v198
	s_waitcnt lgkmcnt(0)
	v_mul_f32_e32 v198, v194, v41
	v_fmac_f32_e32 v198, v195, v40
	v_add_f32_e32 v30, v30, v198
	ds_read_b128 v[198:201], v110 offset:704
	s_waitcnt vmcnt(40)
	v_mul_f32_e32 v202, v196, v44
	v_fmac_f32_e32 v202, v197, v43
	v_add_f32_e32 v30, v30, v202
	ds_read_b128 v[202:205], v110 offset:720
	s_waitcnt vmcnt(38) lgkmcnt(1)
	v_mul_f32_e32 v206, v198, v47
	v_fmac_f32_e32 v206, v199, v46
	v_add_f32_e32 v30, v30, v206
	s_waitcnt vmcnt(37)
	v_mul_f32_e32 v206, v200, v48
	s_waitcnt vmcnt(34)
	v_fmac_f32_e32 v206, v201, v51
	v_add_f32_e32 v30, v30, v206
	s_waitcnt lgkmcnt(0)
	v_mul_f32_e32 v206, v202, v50
	v_fmac_f32_e32 v206, v203, v49
	v_add_f32_e32 v30, v30, v206
	ds_read_b128 v[206:209], v110 offset:736
	s_waitcnt vmcnt(32)
	v_mul_f32_e32 v210, v204, v53
	v_fmac_f32_e32 v210, v205, v52
	v_add_f32_e32 v30, v30, v210
	ds_read_b128 v[210:213], v110 offset:752
	;; [unrolled: 19-line block ×5, first 2 shown]
	s_waitcnt vmcnt(6) lgkmcnt(1)
	v_mul_f32_e32 v110, v230, v251
	v_fmac_f32_e32 v110, v231, v250
	v_add_f32_e32 v30, v30, v110
	s_waitcnt vmcnt(5)
	v_mul_f32_e32 v110, v232, v252
	s_waitcnt vmcnt(2)
	v_fmac_f32_e32 v110, v233, v255
	v_add_f32_e32 v30, v30, v110
	s_waitcnt lgkmcnt(0)
	v_mul_f32_e32 v110, v234, v254
	v_fmac_f32_e32 v110, v235, v253
	v_add_f32_e32 v30, v30, v110
	s_waitcnt vmcnt(0)
	v_mul_f32_e32 v110, v236, v66
	v_fmac_f32_e32 v110, v237, v65
	v_add_f32_e32 v30, v30, v110
	v_mul_f32_e32 v110, v135, v119
	v_fma_f32 v1, v134, v1, -v110
	v_mul_f32_e32 v110, v137, v116
	v_add_f32_e32 v1, 0, v1
	v_fma_f32 v110, v136, v133, -v110
	v_add_f32_e32 v1, v1, v110
	v_mul_f32_e32 v110, v139, v115
	v_fma_f32 v110, v138, v130, -v110
	v_add_f32_e32 v1, v1, v110
	v_mul_f32_e32 v110, v141, v114
	;; [unrolled: 3-line block ×50, first 2 shown]
	v_fma_f32 v2, v236, v65, -v2
	v_add_f32_e32 v1, v1, v2
	v_sub_f32_e32 v1, v117, v1
	v_sub_f32_e32 v2, v118, v30
	buffer_store_dword v1, off, s[0:3], 0 offset:8
	buffer_store_dword v2, off, s[0:3], 0 offset:12
	s_and_saveexec_b64 s[4:5], vcc
	s_cbranch_execz .LBB53_337
; %bb.336:
	buffer_load_dword v110, off, s[0:3], 0
	buffer_load_dword v111, off, s[0:3], 0 offset:4
	v_mov_b32_e32 v0, 0
	buffer_store_dword v0, off, s[0:3], 0
	buffer_store_dword v0, off, s[0:3], 0 offset:4
	s_waitcnt vmcnt(2)
	ds_write_b64 v109, v[110:111]
.LBB53_337:
	s_or_b64 exec, exec, s[4:5]
	s_waitcnt lgkmcnt(0)
	; wave barrier
	buffer_load_dword v117, off, s[0:3], 0 offset:12
	buffer_load_dword v116, off, s[0:3], 0 offset:20
	;; [unrolled: 1-line block ×38, first 2 shown]
	buffer_load_dword v109, off, s[0:3], 0
	buffer_load_dword v110, off, s[0:3], 0 offset:4
	buffer_load_dword v5, off, s[0:3], 0 offset:160
	;; [unrolled: 1-line block ×12, first 2 shown]
	v_mov_b32_e32 v0, 0
	ds_read2_b64 v[145:148], v0 offset0:55 offset1:56
	ds_read2_b64 v[149:152], v0 offset0:57 offset1:58
	;; [unrolled: 1-line block ×8, first 2 shown]
	s_and_b64 vcc, exec, s[22:23]
	s_waitcnt vmcnt(50) lgkmcnt(7)
	v_mul_f32_e32 v16, v145, v117
	s_waitcnt vmcnt(49)
	v_mul_f32_e32 v17, v147, v116
	s_waitcnt vmcnt(48) lgkmcnt(6)
	v_mul_f32_e32 v18, v149, v115
	s_waitcnt vmcnt(47)
	v_mul_f32_e32 v19, v151, v114
	;; [unrolled: 4-line block ×5, first 2 shown]
	s_waitcnt vmcnt(40) lgkmcnt(2)
	v_mul_f32_e32 v26, v165, v121
	s_waitcnt vmcnt(39)
	v_fmac_f32_e32 v18, v150, v128
	s_waitcnt vmcnt(38)
	v_fmac_f32_e32 v17, v148, v131
	s_waitcnt vmcnt(37)
	v_fmac_f32_e32 v16, v146, v133
	v_add_f32_e32 v16, 0, v16
	v_add_f32_e32 v16, v16, v17
	;; [unrolled: 1-line block ×3, first 2 shown]
	s_waitcnt vmcnt(33)
	v_fmac_f32_e32 v19, v152, v132
	v_fmac_f32_e32 v20, v154, v130
	v_add_f32_e32 v16, v16, v19
	v_fmac_f32_e32 v21, v156, v127
	v_add_f32_e32 v16, v16, v20
	;; [unrolled: 2-line block ×3, first 2 shown]
	s_waitcnt vmcnt(29)
	v_fmac_f32_e32 v23, v160, v129
	v_add_f32_e32 v16, v16, v22
	v_fmac_f32_e32 v24, v162, v126
	v_add_f32_e32 v16, v16, v23
	v_fmac_f32_e32 v25, v164, v123
	v_add_f32_e32 v16, v16, v24
	v_fmac_f32_e32 v26, v166, v122
	v_add_f32_e32 v16, v16, v25
	s_waitcnt vmcnt(28)
	v_mul_f32_e32 v17, v167, v125
	v_add_f32_e32 v16, v16, v26
	s_waitcnt vmcnt(24)
	v_fmac_f32_e32 v17, v168, v140
	s_waitcnt vmcnt(23) lgkmcnt(1)
	v_mul_f32_e32 v20, v169, v139
	v_add_f32_e32 v16, v16, v17
	buffer_load_dword v17, off, s[0:3], 0 offset:200
	buffer_load_dword v18, off, s[0:3], 0 offset:208
	;; [unrolled: 1-line block ×3, first 2 shown]
	v_fmac_f32_e32 v20, v170, v137
	s_waitcnt vmcnt(25)
	v_mul_f32_e32 v22, v171, v138
	v_add_f32_e32 v16, v16, v20
	v_fmac_f32_e32 v22, v172, v135
	buffer_load_dword v20, off, s[0:3], 0 offset:216
	buffer_load_dword v21, off, s[0:3], 0 offset:220
	v_add_f32_e32 v16, v16, v22
	s_waitcnt vmcnt(26) lgkmcnt(0)
	v_mul_f32_e32 v22, v173, v136
	v_fmac_f32_e32 v22, v174, v134
	v_add_f32_e32 v16, v16, v22
	ds_read2_b64 v[177:180], v0 offset0:71 offset1:72
	buffer_load_dword v22, off, s[0:3], 0 offset:224
	buffer_load_dword v23, off, s[0:3], 0 offset:228
	s_waitcnt vmcnt(27)
	v_mul_f32_e32 v24, v175, v141
	s_waitcnt vmcnt(20)
	v_fmac_f32_e32 v24, v176, v4
	v_add_f32_e32 v16, v16, v24
	s_waitcnt lgkmcnt(0)
	v_mul_f32_e32 v24, v177, v143
	v_fmac_f32_e32 v24, v178, v142
	ds_read2_b64 v[181:184], v0 offset0:73 offset1:74
	v_add_f32_e32 v16, v16, v24
	buffer_load_dword v24, off, s[0:3], 0 offset:232
	buffer_load_dword v25, off, s[0:3], 0 offset:236
	ds_read2_b64 v[185:188], v0 offset0:75 offset1:76
	buffer_load_dword v27, off, s[0:3], 0 offset:244
	buffer_load_dword v28, off, s[0:3], 0 offset:248
	;; [unrolled: 1-line block ×4, first 2 shown]
	v_mul_f32_e32 v26, v179, v1
	v_fmac_f32_e32 v26, v180, v144
	v_add_f32_e32 v16, v16, v26
	s_waitcnt lgkmcnt(1)
	v_mul_f32_e32 v26, v181, v3
	ds_read2_b64 v[189:192], v0 offset0:77 offset1:78
	buffer_load_dword v31, off, s[0:3], 0 offset:256
	buffer_load_dword v32, off, s[0:3], 0 offset:260
	v_fmac_f32_e32 v26, v182, v2
	v_add_f32_e32 v16, v16, v26
	s_waitcnt vmcnt(24)
	v_mul_f32_e32 v26, v183, v6
	v_fmac_f32_e32 v26, v184, v5
	v_add_f32_e32 v16, v16, v26
	s_waitcnt vmcnt(22) lgkmcnt(1)
	v_mul_f32_e32 v26, v185, v8
	v_fmac_f32_e32 v26, v186, v7
	v_add_f32_e32 v16, v16, v26
	buffer_load_dword v26, off, s[0:3], 0 offset:264
	buffer_load_dword v33, off, s[0:3], 0 offset:268
	;; [unrolled: 1-line block ×8, first 2 shown]
	s_waitcnt vmcnt(28)
	v_mul_f32_e32 v38, v187, v10
	v_fmac_f32_e32 v38, v188, v9
	v_add_f32_e32 v16, v16, v38
	s_waitcnt vmcnt(26) lgkmcnt(0)
	v_mul_f32_e32 v38, v189, v12
	v_fmac_f32_e32 v38, v190, v11
	v_add_f32_e32 v16, v16, v38
	buffer_load_dword v38, off, s[0:3], 0 offset:296
	buffer_load_dword v41, off, s[0:3], 0 offset:300
	;; [unrolled: 1-line block ×6, first 2 shown]
	s_waitcnt vmcnt(30)
	v_mul_f32_e32 v46, v191, v14
	v_fmac_f32_e32 v46, v192, v13
	ds_read2_b64 v[193:196], v0 offset0:79 offset1:80
	v_add_f32_e32 v16, v16, v46
	buffer_load_dword v46, off, s[0:3], 0 offset:320
	buffer_load_dword v47, off, s[0:3], 0 offset:324
	ds_read2_b64 v[197:200], v0 offset0:81 offset1:82
	buffer_load_dword v49, off, s[0:3], 0 offset:328
	buffer_load_dword v50, off, s[0:3], 0 offset:332
	;; [unrolled: 1-line block ×14, first 2 shown]
	s_waitcnt vmcnt(45) lgkmcnt(1)
	v_mul_f32_e32 v48, v193, v15
	buffer_load_dword v63, off, s[0:3], 0 offset:384
	buffer_load_dword v64, off, s[0:3], 0 offset:388
	ds_read2_b64 v[201:204], v0 offset0:83 offset1:84
	v_mul_f32_e32 v70, v148, v116
	v_fma_f32 v70, v147, v131, -v70
	v_mul_f32_e32 v1, v180, v1
	v_fma_f32 v1, v179, v144, -v1
	;; [unrolled: 2-line block ×3, first 2 shown]
	s_waitcnt vmcnt(46)
	v_fmac_f32_e32 v48, v194, v17
	v_add_f32_e32 v16, v16, v48
	s_waitcnt vmcnt(44)
	v_mul_f32_e32 v48, v195, v19
	v_fmac_f32_e32 v48, v196, v18
	v_add_f32_e32 v16, v16, v48
	s_waitcnt vmcnt(42) lgkmcnt(1)
	v_mul_f32_e32 v48, v197, v21
	v_fmac_f32_e32 v48, v198, v20
	v_add_f32_e32 v16, v16, v48
	s_waitcnt vmcnt(40)
	v_mul_f32_e32 v48, v199, v23
	v_fmac_f32_e32 v48, v200, v22
	v_add_f32_e32 v16, v16, v48
	buffer_load_dword v48, off, s[0:3], 0 offset:392
	buffer_load_dword v65, off, s[0:3], 0 offset:396
	;; [unrolled: 1-line block ×6, first 2 shown]
	ds_read2_b64 v[205:208], v0 offset0:85 offset1:86
	buffer_load_dword v254, off, s[0:3], 0 offset:420
	buffer_load_dword v255, off, s[0:3], 0 offset:424
	;; [unrolled: 1-line block ×4, first 2 shown]
	s_waitcnt vmcnt(48) lgkmcnt(1)
	v_mul_f32_e32 v209, v201, v25
	v_fmac_f32_e32 v209, v202, v24
	v_add_f32_e32 v16, v16, v209
	s_waitcnt vmcnt(47)
	v_mul_f32_e32 v209, v203, v27
	s_waitcnt vmcnt(44)
	v_fmac_f32_e32 v209, v204, v30
	v_add_f32_e32 v16, v16, v209
	s_waitcnt lgkmcnt(0)
	v_mul_f32_e32 v209, v205, v29
	v_fmac_f32_e32 v209, v206, v28
	v_add_f32_e32 v16, v16, v209
	ds_read2_b64 v[209:212], v0 offset0:87 offset1:88
	s_waitcnt vmcnt(42)
	v_mul_f32_e32 v213, v207, v32
	v_fmac_f32_e32 v213, v208, v31
	v_add_f32_e32 v16, v16, v213
	ds_read2_b64 v[213:216], v0 offset0:89 offset1:90
	s_waitcnt vmcnt(40) lgkmcnt(1)
	v_mul_f32_e32 v217, v209, v33
	v_fmac_f32_e32 v217, v210, v26
	v_add_f32_e32 v16, v16, v217
	s_waitcnt vmcnt(39)
	v_mul_f32_e32 v217, v211, v34
	s_waitcnt vmcnt(36)
	v_fmac_f32_e32 v217, v212, v37
	v_add_f32_e32 v16, v16, v217
	s_waitcnt lgkmcnt(0)
	v_mul_f32_e32 v217, v213, v36
	v_fmac_f32_e32 v217, v214, v35
	v_add_f32_e32 v16, v16, v217
	ds_read2_b64 v[217:220], v0 offset0:91 offset1:92
	s_waitcnt vmcnt(34)
	v_mul_f32_e32 v221, v215, v40
	v_fmac_f32_e32 v221, v216, v39
	v_add_f32_e32 v16, v16, v221
	ds_read2_b64 v[221:224], v0 offset0:93 offset1:94
	;; [unrolled: 19-line block ×5, first 2 shown]
	s_waitcnt vmcnt(8) lgkmcnt(1)
	v_mul_f32_e32 v249, v241, v65
	v_fmac_f32_e32 v249, v242, v48
	v_add_f32_e32 v16, v16, v249
	s_waitcnt vmcnt(7)
	v_mul_f32_e32 v249, v243, v66
	s_waitcnt vmcnt(4)
	v_fmac_f32_e32 v249, v244, v253
	v_add_f32_e32 v16, v16, v249
	ds_read_b64 v[249:250], v0 offset:856
	s_waitcnt lgkmcnt(1)
	v_mul_f32_e32 v69, v245, v252
	v_fmac_f32_e32 v69, v246, v251
	v_add_f32_e32 v16, v16, v69
	s_waitcnt vmcnt(3)
	v_mul_f32_e32 v69, v247, v254
	s_waitcnt vmcnt(0)
	v_fmac_f32_e32 v69, v248, v68
	v_add_f32_e32 v16, v16, v69
	s_waitcnt lgkmcnt(0)
	v_mul_f32_e32 v69, v249, v67
	v_fmac_f32_e32 v69, v250, v255
	v_add_f32_e32 v16, v16, v69
	v_mul_f32_e32 v69, v146, v117
	v_fma_f32 v69, v145, v133, -v69
	v_add_f32_e32 v69, 0, v69
	v_add_f32_e32 v69, v69, v70
	v_mul_f32_e32 v70, v150, v115
	v_fma_f32 v70, v149, v128, -v70
	v_add_f32_e32 v69, v69, v70
	v_mul_f32_e32 v70, v152, v114
	v_fma_f32 v70, v151, v132, -v70
	;; [unrolled: 3-line block ×15, first 2 shown]
	v_add_f32_e32 v4, v4, v69
	v_add_f32_e32 v1, v4, v1
	;; [unrolled: 1-line block ×3, first 2 shown]
	v_mul_f32_e32 v2, v184, v6
	v_fma_f32 v2, v183, v5, -v2
	v_add_f32_e32 v1, v1, v2
	v_mul_f32_e32 v2, v186, v8
	v_fma_f32 v2, v185, v7, -v2
	v_add_f32_e32 v1, v1, v2
	v_mul_f32_e32 v2, v188, v10
	v_fma_f32 v2, v187, v9, -v2
	v_add_f32_e32 v1, v1, v2
	v_mul_f32_e32 v2, v190, v12
	v_fma_f32 v2, v189, v11, -v2
	v_add_f32_e32 v1, v1, v2
	v_mul_f32_e32 v2, v192, v14
	v_fma_f32 v2, v191, v13, -v2
	v_add_f32_e32 v1, v1, v2
	v_mul_f32_e32 v2, v194, v15
	v_fma_f32 v2, v193, v17, -v2
	v_add_f32_e32 v1, v1, v2
	v_mul_f32_e32 v2, v196, v19
	v_fma_f32 v2, v195, v18, -v2
	v_add_f32_e32 v1, v1, v2
	v_mul_f32_e32 v2, v198, v21
	v_fma_f32 v2, v197, v20, -v2
	v_add_f32_e32 v1, v1, v2
	v_mul_f32_e32 v2, v200, v23
	v_fma_f32 v2, v199, v22, -v2
	v_add_f32_e32 v1, v1, v2
	v_mul_f32_e32 v2, v202, v25
	v_fma_f32 v2, v201, v24, -v2
	v_add_f32_e32 v1, v1, v2
	v_mul_f32_e32 v2, v204, v27
	v_fma_f32 v2, v203, v30, -v2
	v_add_f32_e32 v1, v1, v2
	v_mul_f32_e32 v2, v206, v29
	v_fma_f32 v2, v205, v28, -v2
	v_add_f32_e32 v1, v1, v2
	v_mul_f32_e32 v2, v208, v32
	v_fma_f32 v2, v207, v31, -v2
	v_add_f32_e32 v1, v1, v2
	v_mul_f32_e32 v2, v210, v33
	v_fma_f32 v2, v209, v26, -v2
	v_add_f32_e32 v1, v1, v2
	v_mul_f32_e32 v2, v212, v34
	v_fma_f32 v2, v211, v37, -v2
	v_add_f32_e32 v1, v1, v2
	v_mul_f32_e32 v2, v214, v36
	v_fma_f32 v2, v213, v35, -v2
	v_add_f32_e32 v1, v1, v2
	v_mul_f32_e32 v2, v216, v40
	v_fma_f32 v2, v215, v39, -v2
	v_add_f32_e32 v1, v1, v2
	v_mul_f32_e32 v2, v218, v41
	v_fma_f32 v2, v217, v38, -v2
	v_add_f32_e32 v1, v1, v2
	v_mul_f32_e32 v2, v220, v42
	v_fma_f32 v2, v219, v45, -v2
	v_add_f32_e32 v1, v1, v2
	v_mul_f32_e32 v2, v222, v44
	v_fma_f32 v2, v221, v43, -v2
	v_add_f32_e32 v1, v1, v2
	v_mul_f32_e32 v2, v224, v47
	v_fma_f32 v2, v223, v46, -v2
	v_add_f32_e32 v1, v1, v2
	v_mul_f32_e32 v2, v226, v50
	v_fma_f32 v2, v225, v49, -v2
	v_add_f32_e32 v1, v1, v2
	v_mul_f32_e32 v2, v228, v51
	v_fma_f32 v2, v227, v54, -v2
	v_add_f32_e32 v1, v1, v2
	v_mul_f32_e32 v2, v230, v53
	v_fma_f32 v2, v229, v52, -v2
	v_add_f32_e32 v1, v1, v2
	v_mul_f32_e32 v2, v232, v56
	v_fma_f32 v2, v231, v55, -v2
	v_add_f32_e32 v1, v1, v2
	v_mul_f32_e32 v2, v234, v58
	v_fma_f32 v2, v233, v57, -v2
	v_add_f32_e32 v1, v1, v2
	v_mul_f32_e32 v2, v236, v59
	v_fma_f32 v2, v235, v62, -v2
	v_add_f32_e32 v1, v1, v2
	v_mul_f32_e32 v2, v238, v61
	v_fma_f32 v2, v237, v60, -v2
	v_add_f32_e32 v1, v1, v2
	v_mul_f32_e32 v2, v240, v64
	v_fma_f32 v2, v239, v63, -v2
	v_add_f32_e32 v1, v1, v2
	v_mul_f32_e32 v2, v242, v65
	v_fma_f32 v2, v241, v48, -v2
	v_add_f32_e32 v1, v1, v2
	v_mul_f32_e32 v2, v244, v66
	v_fma_f32 v2, v243, v253, -v2
	v_add_f32_e32 v1, v1, v2
	v_mul_f32_e32 v2, v246, v252
	v_fma_f32 v2, v245, v251, -v2
	v_add_f32_e32 v1, v1, v2
	v_mul_f32_e32 v2, v248, v254
	v_fma_f32 v2, v247, v68, -v2
	v_add_f32_e32 v1, v1, v2
	v_mul_f32_e32 v2, v250, v67
	v_fma_f32 v2, v249, v255, -v2
	v_add_f32_e32 v1, v1, v2
	v_sub_f32_e32 v1, v109, v1
	v_sub_f32_e32 v2, v110, v16
	buffer_store_dword v1, off, s[0:3], 0
	buffer_store_dword v2, off, s[0:3], 0 offset:4
	s_cbranch_vccz .LBB53_444
; %bb.338:
	global_load_dword v0, v0, s[20:21] offset:208
	s_waitcnt vmcnt(0)
	v_add_u32_e32 v0, -1, v0
	v_cmp_ne_u32_e32 vcc, 52, v0
	s_cbranch_vccz .LBB53_340
; %bb.339:
	v_lshlrev_b32_e32 v0, 3, v0
	buffer_load_dword v1, v0, s[0:3], 0 offen
	buffer_load_dword v2, v0, s[0:3], 0 offen offset:4
	buffer_load_dword v3, off, s[0:3], 0 offset:420
	buffer_load_dword v4, off, s[0:3], 0 offset:416
	s_waitcnt vmcnt(3)
	buffer_store_dword v1, off, s[0:3], 0 offset:416
	s_waitcnt vmcnt(3)
	buffer_store_dword v2, off, s[0:3], 0 offset:420
	s_waitcnt vmcnt(3)
	buffer_store_dword v3, v0, s[0:3], 0 offen offset:4
	s_waitcnt vmcnt(3)
	buffer_store_dword v4, v0, s[0:3], 0 offen
.LBB53_340:
	v_mov_b32_e32 v0, 0
	global_load_dword v1, v0, s[20:21] offset:204
	s_waitcnt vmcnt(0)
	v_add_u32_e32 v109, -1, v1
	v_cmp_eq_u32_e32 vcc, 51, v109
	s_cbranch_vccnz .LBB53_342
; %bb.341:
	v_lshlrev_b32_e32 v1, 3, v109
	buffer_load_dword v2, v1, s[0:3], 0 offen
	buffer_load_dword v3, v1, s[0:3], 0 offen offset:4
	buffer_load_dword v4, off, s[0:3], 0 offset:408
	buffer_load_dword v5, off, s[0:3], 0 offset:412
	s_waitcnt vmcnt(3)
	buffer_store_dword v2, off, s[0:3], 0 offset:408
	s_waitcnt vmcnt(3)
	buffer_store_dword v3, off, s[0:3], 0 offset:412
	s_waitcnt vmcnt(3)
	buffer_store_dword v4, v1, s[0:3], 0 offen
	s_waitcnt vmcnt(3)
	buffer_store_dword v5, v1, s[0:3], 0 offen offset:4
.LBB53_342:
	global_load_dword v0, v0, s[20:21] offset:200
	s_waitcnt vmcnt(0)
	v_add_u32_e32 v0, -1, v0
	v_cmp_eq_u32_e32 vcc, 50, v0
	s_cbranch_vccnz .LBB53_344
; %bb.343:
	v_lshlrev_b32_e32 v0, 3, v0
	buffer_load_dword v1, v0, s[0:3], 0 offen
	buffer_load_dword v2, v0, s[0:3], 0 offen offset:4
	buffer_load_dword v3, off, s[0:3], 0 offset:404
	buffer_load_dword v4, off, s[0:3], 0 offset:400
	s_waitcnt vmcnt(3)
	buffer_store_dword v1, off, s[0:3], 0 offset:400
	s_waitcnt vmcnt(3)
	buffer_store_dword v2, off, s[0:3], 0 offset:404
	s_waitcnt vmcnt(3)
	buffer_store_dword v3, v0, s[0:3], 0 offen offset:4
	s_waitcnt vmcnt(3)
	buffer_store_dword v4, v0, s[0:3], 0 offen
.LBB53_344:
	v_mov_b32_e32 v0, 0
	global_load_dword v1, v0, s[20:21] offset:196
	s_waitcnt vmcnt(0)
	v_add_u32_e32 v109, -1, v1
	v_cmp_eq_u32_e32 vcc, 49, v109
	s_cbranch_vccnz .LBB53_346
; %bb.345:
	v_lshlrev_b32_e32 v1, 3, v109
	buffer_load_dword v2, v1, s[0:3], 0 offen
	buffer_load_dword v3, v1, s[0:3], 0 offen offset:4
	buffer_load_dword v4, off, s[0:3], 0 offset:392
	buffer_load_dword v5, off, s[0:3], 0 offset:396
	s_waitcnt vmcnt(3)
	buffer_store_dword v2, off, s[0:3], 0 offset:392
	s_waitcnt vmcnt(3)
	buffer_store_dword v3, off, s[0:3], 0 offset:396
	s_waitcnt vmcnt(3)
	buffer_store_dword v4, v1, s[0:3], 0 offen
	s_waitcnt vmcnt(3)
	buffer_store_dword v5, v1, s[0:3], 0 offen offset:4
.LBB53_346:
	global_load_dword v0, v0, s[20:21] offset:192
	s_waitcnt vmcnt(0)
	v_add_u32_e32 v0, -1, v0
	v_cmp_eq_u32_e32 vcc, 48, v0
	s_cbranch_vccnz .LBB53_348
; %bb.347:
	v_lshlrev_b32_e32 v0, 3, v0
	buffer_load_dword v1, v0, s[0:3], 0 offen
	buffer_load_dword v2, v0, s[0:3], 0 offen offset:4
	buffer_load_dword v3, off, s[0:3], 0 offset:388
	buffer_load_dword v4, off, s[0:3], 0 offset:384
	s_waitcnt vmcnt(3)
	buffer_store_dword v1, off, s[0:3], 0 offset:384
	s_waitcnt vmcnt(3)
	buffer_store_dword v2, off, s[0:3], 0 offset:388
	s_waitcnt vmcnt(3)
	buffer_store_dword v3, v0, s[0:3], 0 offen offset:4
	s_waitcnt vmcnt(3)
	buffer_store_dword v4, v0, s[0:3], 0 offen
.LBB53_348:
	;; [unrolled: 41-line block ×25, first 2 shown]
	v_mov_b32_e32 v0, 0
	global_load_dword v1, v0, s[20:21] offset:4
	s_waitcnt vmcnt(0)
	v_add_u32_e32 v109, -1, v1
	v_cmp_eq_u32_e32 vcc, 1, v109
	s_cbranch_vccnz .LBB53_442
; %bb.441:
	v_lshlrev_b32_e32 v1, 3, v109
	buffer_load_dword v2, v1, s[0:3], 0 offen
	buffer_load_dword v3, v1, s[0:3], 0 offen offset:4
	buffer_load_dword v4, off, s[0:3], 0 offset:8
	buffer_load_dword v5, off, s[0:3], 0 offset:12
	s_waitcnt vmcnt(3)
	buffer_store_dword v2, off, s[0:3], 0 offset:8
	s_waitcnt vmcnt(3)
	buffer_store_dword v3, off, s[0:3], 0 offset:12
	s_waitcnt vmcnt(3)
	buffer_store_dword v4, v1, s[0:3], 0 offen
	s_waitcnt vmcnt(3)
	buffer_store_dword v5, v1, s[0:3], 0 offen offset:4
.LBB53_442:
	global_load_dword v0, v0, s[20:21]
	s_waitcnt vmcnt(0)
	v_add_u32_e32 v0, -1, v0
	v_cmp_eq_u32_e32 vcc, 0, v0
	s_cbranch_vccnz .LBB53_444
; %bb.443:
	v_lshlrev_b32_e32 v0, 3, v0
	buffer_load_dword v1, v0, s[0:3], 0 offen
	buffer_load_dword v2, v0, s[0:3], 0 offen offset:4
	buffer_load_dword v3, off, s[0:3], 0 offset:4
	buffer_load_dword v4, off, s[0:3], 0
	s_waitcnt vmcnt(3)
	buffer_store_dword v1, off, s[0:3], 0
	s_waitcnt vmcnt(3)
	buffer_store_dword v2, off, s[0:3], 0 offset:4
	s_waitcnt vmcnt(3)
	buffer_store_dword v3, v0, s[0:3], 0 offen offset:4
	s_waitcnt vmcnt(3)
	buffer_store_dword v4, v0, s[0:3], 0 offen
.LBB53_444:
	buffer_load_dword v109, off, s[0:3], 0
	buffer_load_dword v110, off, s[0:3], 0 offset:4
	buffer_load_dword v111, off, s[0:3], 0 offset:8
	buffer_load_dword v112, off, s[0:3], 0 offset:12
	buffer_load_dword v113, off, s[0:3], 0 offset:16
	buffer_load_dword v114, off, s[0:3], 0 offset:20
	buffer_load_dword v115, off, s[0:3], 0 offset:24
	buffer_load_dword v116, off, s[0:3], 0 offset:28
	buffer_load_dword v117, off, s[0:3], 0 offset:32
	buffer_load_dword v118, off, s[0:3], 0 offset:36
	buffer_load_dword v119, off, s[0:3], 0 offset:40
	buffer_load_dword v120, off, s[0:3], 0 offset:44
	buffer_load_dword v121, off, s[0:3], 0 offset:48
	buffer_load_dword v122, off, s[0:3], 0 offset:52
	buffer_load_dword v123, off, s[0:3], 0 offset:56
	buffer_load_dword v124, off, s[0:3], 0 offset:60
	buffer_load_dword v126, off, s[0:3], 0 offset:68
	buffer_load_dword v127, off, s[0:3], 0 offset:72
	buffer_load_dword v128, off, s[0:3], 0 offset:76
	buffer_load_dword v129, off, s[0:3], 0 offset:80
	buffer_load_dword v130, off, s[0:3], 0 offset:84
	buffer_load_dword v131, off, s[0:3], 0 offset:88
	buffer_load_dword v132, off, s[0:3], 0 offset:92
	buffer_load_dword v125, off, s[0:3], 0 offset:64
	buffer_load_dword v133, off, s[0:3], 0 offset:96
	buffer_load_dword v134, off, s[0:3], 0 offset:100
	buffer_load_dword v135, off, s[0:3], 0 offset:104
	buffer_load_dword v136, off, s[0:3], 0 offset:108
	buffer_load_dword v137, off, s[0:3], 0 offset:112
	buffer_load_dword v138, off, s[0:3], 0 offset:116
	buffer_load_dword v139, off, s[0:3], 0 offset:120
	buffer_load_dword v140, off, s[0:3], 0 offset:124
	buffer_load_dword v141, off, s[0:3], 0 offset:128
	buffer_load_dword v142, off, s[0:3], 0 offset:132
	buffer_load_dword v143, off, s[0:3], 0 offset:136
	buffer_load_dword v144, off, s[0:3], 0 offset:140
	buffer_load_dword v145, off, s[0:3], 0 offset:144
	buffer_load_dword v146, off, s[0:3], 0 offset:148
	buffer_load_dword v147, off, s[0:3], 0 offset:152
	buffer_load_dword v148, off, s[0:3], 0 offset:156
	buffer_load_dword v149, off, s[0:3], 0 offset:160
	buffer_load_dword v150, off, s[0:3], 0 offset:164
	buffer_load_dword v151, off, s[0:3], 0 offset:168
	buffer_load_dword v152, off, s[0:3], 0 offset:172
	buffer_load_dword v153, off, s[0:3], 0 offset:176
	buffer_load_dword v154, off, s[0:3], 0 offset:180
	buffer_load_dword v155, off, s[0:3], 0 offset:184
	buffer_load_dword v156, off, s[0:3], 0 offset:188
	buffer_load_dword v157, off, s[0:3], 0 offset:192
	buffer_load_dword v158, off, s[0:3], 0 offset:196
	buffer_load_dword v159, off, s[0:3], 0 offset:200
	buffer_load_dword v160, off, s[0:3], 0 offset:204
	buffer_load_dword v161, off, s[0:3], 0 offset:208
	buffer_load_dword v162, off, s[0:3], 0 offset:212
	buffer_load_dword v163, off, s[0:3], 0 offset:216
	buffer_load_dword v164, off, s[0:3], 0 offset:220
	buffer_load_dword v165, off, s[0:3], 0 offset:224
	buffer_load_dword v166, off, s[0:3], 0 offset:228
	buffer_load_dword v167, off, s[0:3], 0 offset:232
	buffer_load_dword v168, off, s[0:3], 0 offset:236
	buffer_load_dword v169, off, s[0:3], 0 offset:240
	buffer_load_dword v170, off, s[0:3], 0 offset:244
	buffer_load_dword v171, off, s[0:3], 0 offset:248
	buffer_load_dword v172, off, s[0:3], 0 offset:252
	buffer_load_dword v173, off, s[0:3], 0 offset:256
	buffer_load_dword v174, off, s[0:3], 0 offset:260
	buffer_load_dword v175, off, s[0:3], 0 offset:264
	buffer_load_dword v176, off, s[0:3], 0 offset:268
	buffer_load_dword v177, off, s[0:3], 0 offset:272
	buffer_load_dword v178, off, s[0:3], 0 offset:276
	buffer_load_dword v179, off, s[0:3], 0 offset:280
	buffer_load_dword v180, off, s[0:3], 0 offset:284
	buffer_load_dword v181, off, s[0:3], 0 offset:288
	buffer_load_dword v182, off, s[0:3], 0 offset:292
	buffer_load_dword v183, off, s[0:3], 0 offset:296
	buffer_load_dword v184, off, s[0:3], 0 offset:300
	buffer_load_dword v185, off, s[0:3], 0 offset:304
	buffer_load_dword v186, off, s[0:3], 0 offset:308
	buffer_load_dword v187, off, s[0:3], 0 offset:312
	buffer_load_dword v188, off, s[0:3], 0 offset:316
	buffer_load_dword v189, off, s[0:3], 0 offset:320
	buffer_load_dword v190, off, s[0:3], 0 offset:324
	buffer_load_dword v191, off, s[0:3], 0 offset:328
	buffer_load_dword v192, off, s[0:3], 0 offset:332
	buffer_load_dword v193, off, s[0:3], 0 offset:336
	buffer_load_dword v194, off, s[0:3], 0 offset:340
	buffer_load_dword v195, off, s[0:3], 0 offset:344
	buffer_load_dword v196, off, s[0:3], 0 offset:348
	buffer_load_dword v197, off, s[0:3], 0 offset:352
	buffer_load_dword v198, off, s[0:3], 0 offset:356
	buffer_load_dword v199, off, s[0:3], 0 offset:360
	buffer_load_dword v200, off, s[0:3], 0 offset:364
	buffer_load_dword v201, off, s[0:3], 0 offset:368
	buffer_load_dword v202, off, s[0:3], 0 offset:372
	buffer_load_dword v203, off, s[0:3], 0 offset:376
	buffer_load_dword v204, off, s[0:3], 0 offset:380
	buffer_load_dword v205, off, s[0:3], 0 offset:384
	buffer_load_dword v206, off, s[0:3], 0 offset:388
	buffer_load_dword v207, off, s[0:3], 0 offset:392
	buffer_load_dword v208, off, s[0:3], 0 offset:396
	buffer_load_dword v209, off, s[0:3], 0 offset:400
	buffer_load_dword v210, off, s[0:3], 0 offset:404
	buffer_load_dword v211, off, s[0:3], 0 offset:408
	buffer_load_dword v212, off, s[0:3], 0 offset:412
	buffer_load_dword v213, off, s[0:3], 0 offset:416
	buffer_load_dword v214, off, s[0:3], 0 offset:420
	buffer_load_dword v215, off, s[0:3], 0 offset:424
	buffer_load_dword v216, off, s[0:3], 0 offset:428
	s_waitcnt vmcnt(62)
	global_store_dwordx2 v[97:98], v[109:110], off
	global_store_dwordx2 v[101:102], v[111:112], off
	buffer_load_dword v0, off, s[0:3], 0 offset:432 ; 4-byte Folded Reload
	buffer_load_dword v1, off, s[0:3], 0 offset:436 ; 4-byte Folded Reload
	s_waitcnt vmcnt(0)
	global_store_dwordx2 v[0:1], v[113:114], off
	buffer_load_dword v0, off, s[0:3], 0 offset:440 ; 4-byte Folded Reload
	s_nop 0
	buffer_load_dword v1, off, s[0:3], 0 offset:444 ; 4-byte Folded Reload
	s_waitcnt vmcnt(0)
	global_store_dwordx2 v[0:1], v[115:116], off
	buffer_load_dword v0, off, s[0:3], 0 offset:448 ; 4-byte Folded Reload
	s_nop 0
	;; [unrolled: 5-line block ×34, first 2 shown]
	buffer_load_dword v1, off, s[0:3], 0 offset:708 ; 4-byte Folded Reload
	s_waitcnt vmcnt(0)
	global_store_dwordx2 v[0:1], v[181:182], off
	global_store_dwordx2 v[71:72], v[183:184], off
	;; [unrolled: 1-line block ×18, first 2 shown]
	s_endpgm
	.section	.rodata,"a",@progbits
	.p2align	6, 0x0
	.amdhsa_kernel _ZN9rocsolver6v33100L18getri_kernel_smallILi54E19rocblas_complex_numIfEPS3_EEvT1_iilPiilS6_bb
		.amdhsa_group_segment_fixed_size 868
		.amdhsa_private_segment_fixed_size 720
		.amdhsa_kernarg_size 60
		.amdhsa_user_sgpr_count 6
		.amdhsa_user_sgpr_private_segment_buffer 1
		.amdhsa_user_sgpr_dispatch_ptr 0
		.amdhsa_user_sgpr_queue_ptr 0
		.amdhsa_user_sgpr_kernarg_segment_ptr 1
		.amdhsa_user_sgpr_dispatch_id 0
		.amdhsa_user_sgpr_flat_scratch_init 0
		.amdhsa_user_sgpr_private_segment_size 0
		.amdhsa_uses_dynamic_stack 0
		.amdhsa_system_sgpr_private_segment_wavefront_offset 1
		.amdhsa_system_sgpr_workgroup_id_x 1
		.amdhsa_system_sgpr_workgroup_id_y 0
		.amdhsa_system_sgpr_workgroup_id_z 0
		.amdhsa_system_sgpr_workgroup_info 0
		.amdhsa_system_vgpr_workitem_id 0
		.amdhsa_next_free_vgpr 256
		.amdhsa_next_free_sgpr 24
		.amdhsa_reserve_vcc 1
		.amdhsa_reserve_flat_scratch 0
		.amdhsa_float_round_mode_32 0
		.amdhsa_float_round_mode_16_64 0
		.amdhsa_float_denorm_mode_32 3
		.amdhsa_float_denorm_mode_16_64 3
		.amdhsa_dx10_clamp 1
		.amdhsa_ieee_mode 1
		.amdhsa_fp16_overflow 0
		.amdhsa_exception_fp_ieee_invalid_op 0
		.amdhsa_exception_fp_denorm_src 0
		.amdhsa_exception_fp_ieee_div_zero 0
		.amdhsa_exception_fp_ieee_overflow 0
		.amdhsa_exception_fp_ieee_underflow 0
		.amdhsa_exception_fp_ieee_inexact 0
		.amdhsa_exception_int_div_zero 0
	.end_amdhsa_kernel
	.section	.text._ZN9rocsolver6v33100L18getri_kernel_smallILi54E19rocblas_complex_numIfEPS3_EEvT1_iilPiilS6_bb,"axG",@progbits,_ZN9rocsolver6v33100L18getri_kernel_smallILi54E19rocblas_complex_numIfEPS3_EEvT1_iilPiilS6_bb,comdat
.Lfunc_end53:
	.size	_ZN9rocsolver6v33100L18getri_kernel_smallILi54E19rocblas_complex_numIfEPS3_EEvT1_iilPiilS6_bb, .Lfunc_end53-_ZN9rocsolver6v33100L18getri_kernel_smallILi54E19rocblas_complex_numIfEPS3_EEvT1_iilPiilS6_bb
                                        ; -- End function
	.set _ZN9rocsolver6v33100L18getri_kernel_smallILi54E19rocblas_complex_numIfEPS3_EEvT1_iilPiilS6_bb.num_vgpr, 256
	.set _ZN9rocsolver6v33100L18getri_kernel_smallILi54E19rocblas_complex_numIfEPS3_EEvT1_iilPiilS6_bb.num_agpr, 0
	.set _ZN9rocsolver6v33100L18getri_kernel_smallILi54E19rocblas_complex_numIfEPS3_EEvT1_iilPiilS6_bb.numbered_sgpr, 24
	.set _ZN9rocsolver6v33100L18getri_kernel_smallILi54E19rocblas_complex_numIfEPS3_EEvT1_iilPiilS6_bb.num_named_barrier, 0
	.set _ZN9rocsolver6v33100L18getri_kernel_smallILi54E19rocblas_complex_numIfEPS3_EEvT1_iilPiilS6_bb.private_seg_size, 720
	.set _ZN9rocsolver6v33100L18getri_kernel_smallILi54E19rocblas_complex_numIfEPS3_EEvT1_iilPiilS6_bb.uses_vcc, 1
	.set _ZN9rocsolver6v33100L18getri_kernel_smallILi54E19rocblas_complex_numIfEPS3_EEvT1_iilPiilS6_bb.uses_flat_scratch, 0
	.set _ZN9rocsolver6v33100L18getri_kernel_smallILi54E19rocblas_complex_numIfEPS3_EEvT1_iilPiilS6_bb.has_dyn_sized_stack, 0
	.set _ZN9rocsolver6v33100L18getri_kernel_smallILi54E19rocblas_complex_numIfEPS3_EEvT1_iilPiilS6_bb.has_recursion, 0
	.set _ZN9rocsolver6v33100L18getri_kernel_smallILi54E19rocblas_complex_numIfEPS3_EEvT1_iilPiilS6_bb.has_indirect_call, 0
	.section	.AMDGPU.csdata,"",@progbits
; Kernel info:
; codeLenInByte = 107080
; TotalNumSgprs: 28
; NumVgprs: 256
; ScratchSize: 720
; MemoryBound: 0
; FloatMode: 240
; IeeeMode: 1
; LDSByteSize: 868 bytes/workgroup (compile time only)
; SGPRBlocks: 3
; VGPRBlocks: 63
; NumSGPRsForWavesPerEU: 28
; NumVGPRsForWavesPerEU: 256
; Occupancy: 1
; WaveLimiterHint : 1
; COMPUTE_PGM_RSRC2:SCRATCH_EN: 1
; COMPUTE_PGM_RSRC2:USER_SGPR: 6
; COMPUTE_PGM_RSRC2:TRAP_HANDLER: 0
; COMPUTE_PGM_RSRC2:TGID_X_EN: 1
; COMPUTE_PGM_RSRC2:TGID_Y_EN: 0
; COMPUTE_PGM_RSRC2:TGID_Z_EN: 0
; COMPUTE_PGM_RSRC2:TIDIG_COMP_CNT: 0
	.section	.text._ZN9rocsolver6v33100L18getri_kernel_smallILi55E19rocblas_complex_numIfEPS3_EEvT1_iilPiilS6_bb,"axG",@progbits,_ZN9rocsolver6v33100L18getri_kernel_smallILi55E19rocblas_complex_numIfEPS3_EEvT1_iilPiilS6_bb,comdat
	.globl	_ZN9rocsolver6v33100L18getri_kernel_smallILi55E19rocblas_complex_numIfEPS3_EEvT1_iilPiilS6_bb ; -- Begin function _ZN9rocsolver6v33100L18getri_kernel_smallILi55E19rocblas_complex_numIfEPS3_EEvT1_iilPiilS6_bb
	.p2align	8
	.type	_ZN9rocsolver6v33100L18getri_kernel_smallILi55E19rocblas_complex_numIfEPS3_EEvT1_iilPiilS6_bb,@function
_ZN9rocsolver6v33100L18getri_kernel_smallILi55E19rocblas_complex_numIfEPS3_EEvT1_iilPiilS6_bb: ; @_ZN9rocsolver6v33100L18getri_kernel_smallILi55E19rocblas_complex_numIfEPS3_EEvT1_iilPiilS6_bb
; %bb.0:
	s_add_u32 s0, s0, s7
	s_addc_u32 s1, s1, 0
	v_cmp_gt_u32_e32 vcc, 55, v0
	s_and_saveexec_b64 s[8:9], vcc
	s_cbranch_execz .LBB54_234
; %bb.1:
	s_load_dword s12, s[4:5], 0x38
	s_load_dwordx4 s[16:19], s[4:5], 0x10
	s_load_dwordx4 s[8:11], s[4:5], 0x28
                                        ; implicit-def: $sgpr20_sgpr21
	s_waitcnt lgkmcnt(0)
	s_bitcmp1_b32 s12, 8
	s_cselect_b64 s[22:23], -1, 0
	s_ashr_i32 s7, s6, 31
	s_bfe_u32 s12, s12, 0x10008
	s_cmp_eq_u32 s12, 0
	s_cbranch_scc1 .LBB54_3
; %bb.2:
	s_load_dword s12, s[4:5], 0x20
	s_mul_i32 s13, s8, s7
	s_mul_hi_u32 s14, s8, s6
	s_mul_i32 s9, s9, s6
	s_add_i32 s14, s14, s13
	s_add_i32 s9, s14, s9
	s_mul_i32 s8, s8, s6
	s_waitcnt lgkmcnt(0)
	s_ashr_i32 s13, s12, 31
	s_lshl_b64 s[8:9], s[8:9], 2
	s_add_u32 s14, s18, s8
	s_addc_u32 s15, s19, s9
	s_lshl_b64 s[8:9], s[12:13], 2
	s_add_u32 s20, s14, s8
	s_addc_u32 s21, s15, s9
.LBB54_3:
	s_load_dwordx4 s[12:15], s[4:5], 0x0
	s_load_dword s8, s[4:5], 0x38
	s_mul_i32 s9, s16, s7
	s_mul_hi_u32 s18, s16, s6
	s_add_i32 s9, s18, s9
	s_waitcnt lgkmcnt(0)
	s_ashr_i32 s5, s14, 31
	s_mov_b32 s4, s14
	s_mul_i32 s14, s17, s6
	s_add_i32 s17, s9, s14
	s_mul_i32 s16, s16, s6
	s_lshl_b64 s[16:17], s[16:17], 3
	s_add_u32 s9, s12, s16
	s_addc_u32 s12, s13, s17
	s_lshl_b64 s[4:5], s[4:5], 3
	s_add_u32 s4, s9, s4
	s_addc_u32 s5, s12, s5
	s_add_i32 s9, s15, s15
	v_add_u32_e32 v3, s9, v0
	v_ashrrev_i32_e32 v4, 31, v3
	v_lshlrev_b64 v[1:2], 3, v[3:4]
	v_add_u32_e32 v5, s15, v3
	v_mov_b32_e32 v4, s5
	v_add_co_u32_e32 v1, vcc, s4, v1
	v_ashrrev_i32_e32 v6, 31, v5
	v_addc_co_u32_e32 v2, vcc, v4, v2, vcc
	v_lshlrev_b64 v[3:4], 3, v[5:6]
	v_add_u32_e32 v7, s15, v5
	v_mov_b32_e32 v6, s5
	v_add_co_u32_e32 v3, vcc, s4, v3
	v_ashrrev_i32_e32 v8, 31, v7
	v_addc_co_u32_e32 v4, vcc, v6, v4, vcc
	;; [unrolled: 6-line block ×8, first 2 shown]
	v_lshlrev_b64 v[17:18], 3, v[19:20]
	v_mov_b32_e32 v21, s5
	v_add_co_u32_e32 v17, vcc, s4, v17
	v_addc_co_u32_e32 v18, vcc, v21, v18, vcc
	v_add_u32_e32 v21, s15, v19
	v_ashrrev_i32_e32 v22, 31, v21
	v_lshlrev_b64 v[19:20], 3, v[21:22]
	v_mov_b32_e32 v23, s5
	v_add_co_u32_e32 v19, vcc, s4, v19
	v_addc_co_u32_e32 v20, vcc, v23, v20, vcc
	v_add_u32_e32 v23, s15, v21
	v_ashrrev_i32_e32 v24, 31, v23
	v_lshlrev_b64 v[21:22], 3, v[23:24]
	v_mov_b32_e32 v25, s5
	v_add_co_u32_e32 v21, vcc, s4, v21
	v_addc_co_u32_e32 v22, vcc, v25, v22, vcc
	v_add_u32_e32 v25, s15, v23
	v_ashrrev_i32_e32 v26, 31, v25
	v_lshlrev_b64 v[23:24], 3, v[25:26]
	v_mov_b32_e32 v27, s5
	v_add_co_u32_e32 v23, vcc, s4, v23
	v_addc_co_u32_e32 v24, vcc, v27, v24, vcc
	v_add_u32_e32 v27, s15, v25
	v_ashrrev_i32_e32 v28, 31, v27
	v_lshlrev_b64 v[25:26], 3, v[27:28]
	v_mov_b32_e32 v29, s5
	v_add_co_u32_e32 v25, vcc, s4, v25
	v_addc_co_u32_e32 v26, vcc, v29, v26, vcc
	v_add_u32_e32 v29, s15, v27
	v_ashrrev_i32_e32 v30, 31, v29
	v_lshlrev_b64 v[27:28], 3, v[29:30]
	v_mov_b32_e32 v31, s5
	v_add_co_u32_e32 v27, vcc, s4, v27
	v_addc_co_u32_e32 v28, vcc, v31, v28, vcc
	v_add_u32_e32 v31, s15, v29
	v_ashrrev_i32_e32 v32, 31, v31
	v_lshlrev_b64 v[29:30], 3, v[31:32]
	v_mov_b32_e32 v33, s5
	v_add_co_u32_e32 v29, vcc, s4, v29
	v_addc_co_u32_e32 v30, vcc, v33, v30, vcc
	v_add_u32_e32 v33, s15, v31
	v_ashrrev_i32_e32 v34, 31, v33
	v_lshlrev_b64 v[31:32], 3, v[33:34]
	v_mov_b32_e32 v35, s5
	v_add_co_u32_e32 v31, vcc, s4, v31
	v_addc_co_u32_e32 v32, vcc, v35, v32, vcc
	v_add_u32_e32 v35, s15, v33
	v_ashrrev_i32_e32 v36, 31, v35
	v_lshlrev_b64 v[33:34], 3, v[35:36]
	v_mov_b32_e32 v37, s5
	v_add_co_u32_e32 v33, vcc, s4, v33
	v_addc_co_u32_e32 v34, vcc, v37, v34, vcc
	v_add_u32_e32 v37, s15, v35
	v_ashrrev_i32_e32 v38, 31, v37
	v_lshlrev_b64 v[35:36], 3, v[37:38]
	v_mov_b32_e32 v39, s5
	v_add_co_u32_e32 v35, vcc, s4, v35
	v_addc_co_u32_e32 v36, vcc, v39, v36, vcc
	v_add_u32_e32 v39, s15, v37
	v_ashrrev_i32_e32 v40, 31, v39
	v_lshlrev_b64 v[37:38], 3, v[39:40]
	v_mov_b32_e32 v41, s5
	v_add_co_u32_e32 v37, vcc, s4, v37
	v_addc_co_u32_e32 v38, vcc, v41, v38, vcc
	v_add_u32_e32 v41, s15, v39
	v_ashrrev_i32_e32 v42, 31, v41
	v_lshlrev_b64 v[39:40], 3, v[41:42]
	v_mov_b32_e32 v43, s5
	v_add_co_u32_e32 v39, vcc, s4, v39
	v_addc_co_u32_e32 v40, vcc, v43, v40, vcc
	v_add_u32_e32 v43, s15, v41
	v_ashrrev_i32_e32 v44, 31, v43
	v_lshlrev_b64 v[41:42], 3, v[43:44]
	v_mov_b32_e32 v45, s5
	v_add_co_u32_e32 v41, vcc, s4, v41
	v_addc_co_u32_e32 v42, vcc, v45, v42, vcc
	v_add_u32_e32 v45, s15, v43
	v_ashrrev_i32_e32 v46, 31, v45
	v_lshlrev_b64 v[43:44], 3, v[45:46]
	v_mov_b32_e32 v47, s5
	v_add_co_u32_e32 v43, vcc, s4, v43
	v_addc_co_u32_e32 v44, vcc, v47, v44, vcc
	v_add_u32_e32 v47, s15, v45
	v_ashrrev_i32_e32 v48, 31, v47
	v_lshlrev_b64 v[45:46], 3, v[47:48]
	v_mov_b32_e32 v49, s5
	v_add_co_u32_e32 v45, vcc, s4, v45
	v_addc_co_u32_e32 v46, vcc, v49, v46, vcc
	v_add_u32_e32 v49, s15, v47
	v_ashrrev_i32_e32 v50, 31, v49
	v_lshlrev_b64 v[47:48], 3, v[49:50]
	v_mov_b32_e32 v51, s5
	v_add_co_u32_e32 v47, vcc, s4, v47
	v_addc_co_u32_e32 v48, vcc, v51, v48, vcc
	v_add_u32_e32 v51, s15, v49
	v_ashrrev_i32_e32 v52, 31, v51
	v_lshlrev_b64 v[49:50], 3, v[51:52]
	v_mov_b32_e32 v53, s5
	v_add_co_u32_e32 v49, vcc, s4, v49
	v_addc_co_u32_e32 v50, vcc, v53, v50, vcc
	v_add_u32_e32 v53, s15, v51
	v_ashrrev_i32_e32 v54, 31, v53
	v_lshlrev_b64 v[51:52], 3, v[53:54]
	v_mov_b32_e32 v55, s5
	v_add_co_u32_e32 v51, vcc, s4, v51
	v_addc_co_u32_e32 v52, vcc, v55, v52, vcc
	v_add_u32_e32 v55, s15, v53
	v_ashrrev_i32_e32 v56, 31, v55
	v_lshlrev_b64 v[53:54], 3, v[55:56]
	v_mov_b32_e32 v57, s5
	v_add_co_u32_e32 v53, vcc, s4, v53
	v_addc_co_u32_e32 v54, vcc, v57, v54, vcc
	v_add_u32_e32 v57, s15, v55
	v_ashrrev_i32_e32 v58, 31, v57
	v_lshlrev_b64 v[55:56], 3, v[57:58]
	v_mov_b32_e32 v59, s5
	v_add_co_u32_e32 v55, vcc, s4, v55
	v_addc_co_u32_e32 v56, vcc, v59, v56, vcc
	v_add_u32_e32 v59, s15, v57
	v_ashrrev_i32_e32 v60, 31, v59
	v_lshlrev_b64 v[57:58], 3, v[59:60]
	v_mov_b32_e32 v61, s5
	v_add_co_u32_e32 v57, vcc, s4, v57
	v_addc_co_u32_e32 v58, vcc, v61, v58, vcc
	v_add_u32_e32 v61, s15, v59
	v_ashrrev_i32_e32 v62, 31, v61
	v_lshlrev_b64 v[59:60], 3, v[61:62]
	v_mov_b32_e32 v63, s5
	v_add_co_u32_e32 v59, vcc, s4, v59
	v_addc_co_u32_e32 v60, vcc, v63, v60, vcc
	v_add_u32_e32 v63, s15, v61
	v_ashrrev_i32_e32 v64, 31, v63
	v_lshlrev_b64 v[61:62], 3, v[63:64]
	v_mov_b32_e32 v65, s5
	v_add_co_u32_e32 v61, vcc, s4, v61
	v_addc_co_u32_e32 v62, vcc, v65, v62, vcc
	v_add_u32_e32 v65, s15, v63
	v_ashrrev_i32_e32 v66, 31, v65
	v_lshlrev_b64 v[63:64], 3, v[65:66]
	v_mov_b32_e32 v67, s5
	v_add_co_u32_e32 v63, vcc, s4, v63
	v_addc_co_u32_e32 v64, vcc, v67, v64, vcc
	v_add_u32_e32 v67, s15, v65
	v_ashrrev_i32_e32 v68, 31, v67
	v_lshlrev_b64 v[65:66], 3, v[67:68]
	v_mov_b32_e32 v69, s5
	v_add_co_u32_e32 v65, vcc, s4, v65
	v_addc_co_u32_e32 v66, vcc, v69, v66, vcc
	v_add_u32_e32 v69, s15, v67
	v_ashrrev_i32_e32 v70, 31, v69
	v_lshlrev_b64 v[67:68], 3, v[69:70]
	v_mov_b32_e32 v71, s5
	v_add_co_u32_e32 v67, vcc, s4, v67
	v_addc_co_u32_e32 v68, vcc, v71, v68, vcc
	v_add_u32_e32 v71, s15, v69
	v_ashrrev_i32_e32 v72, 31, v71
	v_lshlrev_b64 v[69:70], 3, v[71:72]
	v_mov_b32_e32 v73, s5
	v_add_co_u32_e32 v69, vcc, s4, v69
	v_addc_co_u32_e32 v70, vcc, v73, v70, vcc
	v_add_u32_e32 v73, s15, v71
	v_ashrrev_i32_e32 v74, 31, v73
	v_lshlrev_b64 v[71:72], 3, v[73:74]
	v_mov_b32_e32 v75, s5
	v_add_co_u32_e32 v71, vcc, s4, v71
	v_addc_co_u32_e32 v72, vcc, v75, v72, vcc
	v_add_u32_e32 v75, s15, v73
	v_ashrrev_i32_e32 v76, 31, v75
	v_lshlrev_b64 v[73:74], 3, v[75:76]
	v_mov_b32_e32 v77, s5
	v_add_co_u32_e32 v73, vcc, s4, v73
	v_addc_co_u32_e32 v74, vcc, v77, v74, vcc
	v_add_u32_e32 v77, s15, v75
	v_ashrrev_i32_e32 v78, 31, v77
	v_lshlrev_b64 v[75:76], 3, v[77:78]
	v_mov_b32_e32 v79, s5
	v_add_co_u32_e32 v75, vcc, s4, v75
	v_addc_co_u32_e32 v76, vcc, v79, v76, vcc
	v_add_u32_e32 v79, s15, v77
	v_ashrrev_i32_e32 v80, 31, v79
	v_lshlrev_b64 v[77:78], 3, v[79:80]
	v_mov_b32_e32 v81, s5
	v_add_co_u32_e32 v77, vcc, s4, v77
	v_addc_co_u32_e32 v78, vcc, v81, v78, vcc
	v_add_u32_e32 v81, s15, v79
	v_ashrrev_i32_e32 v82, 31, v81
	v_lshlrev_b64 v[79:80], 3, v[81:82]
	v_mov_b32_e32 v83, s5
	v_add_co_u32_e32 v79, vcc, s4, v79
	v_addc_co_u32_e32 v80, vcc, v83, v80, vcc
	v_add_u32_e32 v83, s15, v81
	v_ashrrev_i32_e32 v84, 31, v83
	v_lshlrev_b64 v[81:82], 3, v[83:84]
	v_mov_b32_e32 v85, s5
	v_add_co_u32_e32 v81, vcc, s4, v81
	v_addc_co_u32_e32 v82, vcc, v85, v82, vcc
	v_add_u32_e32 v85, s15, v83
	v_ashrrev_i32_e32 v86, 31, v85
	v_lshlrev_b64 v[83:84], 3, v[85:86]
	v_mov_b32_e32 v87, s5
	v_add_co_u32_e32 v83, vcc, s4, v83
	v_addc_co_u32_e32 v84, vcc, v87, v84, vcc
	v_add_u32_e32 v87, s15, v85
	v_ashrrev_i32_e32 v88, 31, v87
	v_lshlrev_b64 v[85:86], 3, v[87:88]
	v_mov_b32_e32 v89, s5
	v_add_co_u32_e32 v85, vcc, s4, v85
	v_addc_co_u32_e32 v86, vcc, v89, v86, vcc
	v_add_u32_e32 v89, s15, v87
	v_ashrrev_i32_e32 v90, 31, v89
	v_lshlrev_b64 v[87:88], 3, v[89:90]
	v_mov_b32_e32 v91, s5
	v_add_co_u32_e32 v87, vcc, s4, v87
	v_addc_co_u32_e32 v88, vcc, v91, v88, vcc
	v_add_u32_e32 v91, s15, v89
	v_ashrrev_i32_e32 v92, 31, v91
	v_lshlrev_b64 v[89:90], 3, v[91:92]
	v_mov_b32_e32 v93, s5
	v_add_co_u32_e32 v89, vcc, s4, v89
	v_addc_co_u32_e32 v90, vcc, v93, v90, vcc
	v_add_u32_e32 v93, s15, v91
	v_ashrrev_i32_e32 v94, 31, v93
	v_lshlrev_b64 v[91:92], 3, v[93:94]
	v_mov_b32_e32 v95, s5
	v_add_co_u32_e32 v91, vcc, s4, v91
	v_addc_co_u32_e32 v92, vcc, v95, v92, vcc
	v_add_u32_e32 v95, s15, v93
	v_ashrrev_i32_e32 v96, 31, v95
	v_lshlrev_b32_e32 v113, 3, v0
	v_lshlrev_b64 v[93:94], 3, v[95:96]
	v_mov_b32_e32 v96, s5
	v_add_co_u32_e32 v99, vcc, s4, v113
	s_ashr_i32 s13, s15, 31
	s_mov_b32 s12, s15
	v_addc_co_u32_e32 v100, vcc, 0, v96, vcc
	s_lshl_b64 s[12:13], s[12:13], 3
	v_mov_b32_e32 v96, s13
	v_add_co_u32_e32 v103, vcc, s12, v99
	v_addc_co_u32_e32 v104, vcc, v100, v96, vcc
	global_load_dwordx2 v[111:112], v113, s[4:5]
	global_load_dwordx2 v[114:115], v[103:104], off
	s_nop 0
	buffer_store_dword v1, off, s[0:3], 0 offset:440 ; 4-byte Folded Spill
	s_nop 0
	buffer_store_dword v2, off, s[0:3], 0 offset:444 ; 4-byte Folded Spill
	v_mov_b32_e32 v97, s5
	v_add_co_u32_e32 v93, vcc, s4, v93
	v_addc_co_u32_e32 v94, vcc, v97, v94, vcc
	v_add_u32_e32 v97, s15, v95
	v_ashrrev_i32_e32 v98, 31, v97
	v_lshlrev_b64 v[95:96], 3, v[97:98]
	v_mov_b32_e32 v101, s5
	v_add_co_u32_e32 v95, vcc, s4, v95
	v_addc_co_u32_e32 v96, vcc, v101, v96, vcc
	v_add_u32_e32 v101, s15, v97
	v_ashrrev_i32_e32 v102, 31, v101
	v_lshlrev_b64 v[97:98], 3, v[101:102]
	v_mov_b32_e32 v105, s5
	v_add_co_u32_e32 v97, vcc, s4, v97
	v_addc_co_u32_e32 v98, vcc, v105, v98, vcc
	v_add_u32_e32 v105, s15, v101
	v_ashrrev_i32_e32 v106, 31, v105
	v_lshlrev_b64 v[101:102], 3, v[105:106]
	v_mov_b32_e32 v107, s5
	v_add_co_u32_e32 v101, vcc, s4, v101
	v_addc_co_u32_e32 v102, vcc, v107, v102, vcc
	v_add_u32_e32 v107, s15, v105
	v_ashrrev_i32_e32 v108, 31, v107
	v_lshlrev_b64 v[105:106], 3, v[107:108]
	v_mov_b32_e32 v109, s5
	v_add_co_u32_e32 v105, vcc, s4, v105
	v_addc_co_u32_e32 v106, vcc, v109, v106, vcc
	v_add_u32_e32 v109, s15, v107
	v_ashrrev_i32_e32 v110, 31, v109
	v_lshlrev_b64 v[107:108], 3, v[109:110]
	v_mov_b32_e32 v146, s5
	v_add_co_u32_e32 v107, vcc, s4, v107
	v_addc_co_u32_e32 v108, vcc, v146, v108, vcc
	v_add_u32_e32 v109, s15, v109
	v_ashrrev_i32_e32 v110, 31, v109
	v_lshlrev_b64 v[109:110], 3, v[109:110]
	v_mov_b32_e32 v162, s5
	v_add_co_u32_e32 v109, vcc, s4, v109
	v_addc_co_u32_e32 v110, vcc, v162, v110, vcc
	s_bitcmp0_b32 s8, 0
	s_mov_b64 s[8:9], -1
	global_load_dwordx2 v[116:117], v[1:2], off
	s_nop 0
	buffer_store_dword v3, off, s[0:3], 0 offset:448 ; 4-byte Folded Spill
	s_nop 0
	buffer_store_dword v4, off, s[0:3], 0 offset:452 ; 4-byte Folded Spill
	global_load_dwordx2 v[118:119], v[3:4], off
	s_nop 0
	buffer_store_dword v5, off, s[0:3], 0 offset:456 ; 4-byte Folded Spill
	s_nop 0
	buffer_store_dword v6, off, s[0:3], 0 offset:460 ; 4-byte Folded Spill
	;; [unrolled: 5-line block ×23, first 2 shown]
	global_load_dwordx2 v[162:163], v[47:48], off
	s_waitcnt vmcnt(62)
	buffer_store_dword v112, off, s[0:3], 0 offset:4
	buffer_store_dword v49, off, s[0:3], 0 offset:632 ; 4-byte Folded Spill
	s_nop 0
	buffer_store_dword v50, off, s[0:3], 0 offset:636 ; 4-byte Folded Spill
	global_load_dwordx2 v[164:165], v[49:50], off
	s_nop 0
	buffer_store_dword v111, off, s[0:3], 0
	buffer_store_dword v51, off, s[0:3], 0 offset:640 ; 4-byte Folded Spill
	s_nop 0
	buffer_store_dword v52, off, s[0:3], 0 offset:644 ; 4-byte Folded Spill
	global_load_dwordx2 v[111:112], v[51:52], off
	s_nop 0
	buffer_store_dword v115, off, s[0:3], 0 offset:12
	buffer_store_dword v53, off, s[0:3], 0 offset:648 ; 4-byte Folded Spill
	s_nop 0
	buffer_store_dword v54, off, s[0:3], 0 offset:652 ; 4-byte Folded Spill
	global_load_dwordx2 v[166:167], v[53:54], off
	s_nop 0
	buffer_store_dword v114, off, s[0:3], 0 offset:8
	;; [unrolled: 6-line block ×8, first 2 shown]
	buffer_store_dword v67, off, s[0:3], 0 offset:704 ; 4-byte Folded Spill
	s_nop 0
	buffer_store_dword v68, off, s[0:3], 0 offset:708 ; 4-byte Folded Spill
	global_load_dwordx2 v[120:121], v[67:68], off
	s_waitcnt vmcnt(62)
	buffer_store_dword v123, off, s[0:3], 0 offset:44
	buffer_store_dword v69, off, s[0:3], 0 offset:712 ; 4-byte Folded Spill
	s_nop 0
	buffer_store_dword v70, off, s[0:3], 0 offset:716 ; 4-byte Folded Spill
	global_load_dwordx2 v[174:175], v[69:70], off
	s_nop 0
	buffer_store_dword v122, off, s[0:3], 0 offset:40
	buffer_store_dword v71, off, s[0:3], 0 offset:720 ; 4-byte Folded Spill
	s_nop 0
	buffer_store_dword v72, off, s[0:3], 0 offset:724 ; 4-byte Folded Spill
	global_load_dwordx2 v[122:123], v[71:72], off
	s_nop 0
	;; [unrolled: 6-line block ×3, first 2 shown]
	buffer_store_dword v124, off, s[0:3], 0 offset:48
	buffer_store_dword v75, off, s[0:3], 0 offset:736 ; 4-byte Folded Spill
	s_nop 0
	buffer_store_dword v76, off, s[0:3], 0 offset:740 ; 4-byte Folded Spill
	global_load_dwordx2 v[178:179], v[77:78], off
	global_load_dwordx2 v[180:181], v[81:82], off
	;; [unrolled: 1-line block ×9, first 2 shown]
	s_nop 0
	buffer_store_dword v127, off, s[0:3], 0 offset:60
	buffer_store_dword v126, off, s[0:3], 0 offset:56
	global_load_dwordx2 v[126:127], v[79:80], off
	s_nop 0
	buffer_store_dword v129, off, s[0:3], 0 offset:68
	buffer_store_dword v128, off, s[0:3], 0 offset:64
	global_load_dwordx2 v[128:129], v[83:84], off
	;; [unrolled: 4-line block ×7, first 2 shown]
	s_nop 0
	buffer_store_dword v141, off, s[0:3], 0 offset:116
	buffer_store_dword v140, off, s[0:3], 0 offset:112
	;; [unrolled: 1-line block ×8, first 2 shown]
	s_waitcnt vmcnt(62)
	buffer_store_dword v148, off, s[0:3], 0 offset:144
	buffer_store_dword v149, off, s[0:3], 0 offset:148
	;; [unrolled: 1-line block ×30, first 2 shown]
	s_waitcnt vmcnt(62)
	buffer_store_dword v118, off, s[0:3], 0 offset:264
	buffer_store_dword v119, off, s[0:3], 0 offset:268
	;; [unrolled: 1-line block ×12, first 2 shown]
	s_waitcnt vmcnt(62)
	buffer_store_dword v124, off, s[0:3], 0 offset:312
	buffer_store_dword v125, off, s[0:3], 0 offset:316
	;; [unrolled: 1-line block ×16, first 2 shown]
	s_waitcnt vmcnt(62)
	buffer_store_dword v132, off, s[0:3], 0 offset:376
	buffer_store_dword v133, off, s[0:3], 0 offset:380
	buffer_store_dword v186, off, s[0:3], 0 offset:384
	buffer_store_dword v187, off, s[0:3], 0 offset:388
	buffer_store_dword v135, off, s[0:3], 0 offset:396
	buffer_store_dword v134, off, s[0:3], 0 offset:392
	buffer_store_dword v189, off, s[0:3], 0 offset:404
	buffer_store_dword v188, off, s[0:3], 0 offset:400
	buffer_store_dword v136, off, s[0:3], 0 offset:408
	buffer_store_dword v137, off, s[0:3], 0 offset:412
	buffer_store_dword v190, off, s[0:3], 0 offset:416
	buffer_store_dword v191, off, s[0:3], 0 offset:420
	buffer_store_dword v138, off, s[0:3], 0 offset:424
	buffer_store_dword v139, off, s[0:3], 0 offset:428
	buffer_store_dword v192, off, s[0:3], 0 offset:432
	buffer_store_dword v193, off, s[0:3], 0 offset:436
	s_cbranch_scc1 .LBB54_232
; %bb.4:
	v_cmp_eq_u32_e64 s[4:5], 0, v0
	s_and_saveexec_b64 s[8:9], s[4:5]
; %bb.5:
	v_mov_b32_e32 v111, 0
	ds_write_b32 v111, v111 offset:440
; %bb.6:
	s_or_b64 exec, exec, s[8:9]
	v_mov_b32_e32 v111, 0
	v_lshl_add_u32 v115, v0, 3, v111
	s_waitcnt lgkmcnt(0)
	; wave barrier
	buffer_load_dword v111, v115, s[0:3], 0 offen
	buffer_load_dword v112, v115, s[0:3], 0 offen offset:4
	s_waitcnt vmcnt(1)
	v_cmp_eq_f32_e32 vcc, 0, v111
	s_waitcnt vmcnt(0)
	v_cmp_eq_f32_e64 s[8:9], 0, v112
	s_and_b64 s[8:9], vcc, s[8:9]
	s_and_saveexec_b64 s[12:13], s[8:9]
	s_cbranch_execz .LBB54_10
; %bb.7:
	v_mov_b32_e32 v111, 0
	ds_read_b32 v114, v111 offset:440
	v_add_u32_e32 v112, 1, v0
	s_waitcnt lgkmcnt(0)
	v_readfirstlane_b32 s8, v114
	s_cmp_eq_u32 s8, 0
	s_cselect_b64 s[14:15], -1, 0
	v_cmp_gt_i32_e32 vcc, s8, v112
	s_or_b64 s[14:15], s[14:15], vcc
	s_and_b64 exec, exec, s[14:15]
	s_cbranch_execz .LBB54_10
; %bb.8:
	s_mov_b64 s[14:15], 0
	v_mov_b32_e32 v114, s8
.LBB54_9:                               ; =>This Inner Loop Header: Depth=1
	ds_cmpst_rtn_b32 v114, v111, v114, v112 offset:440
	s_waitcnt lgkmcnt(0)
	v_cmp_ne_u32_e32 vcc, 0, v114
	v_cmp_le_i32_e64 s[8:9], v114, v112
	s_and_b64 s[8:9], vcc, s[8:9]
	s_and_b64 s[8:9], exec, s[8:9]
	s_or_b64 s[14:15], s[8:9], s[14:15]
	s_andn2_b64 exec, exec, s[14:15]
	s_cbranch_execnz .LBB54_9
.LBB54_10:
	s_or_b64 exec, exec, s[12:13]
	v_mov_b32_e32 v112, 0
	; wave barrier
	ds_read_b32 v111, v112 offset:440
	s_and_saveexec_b64 s[8:9], s[4:5]
	s_cbranch_execz .LBB54_12
; %bb.11:
	s_lshl_b64 s[12:13], s[6:7], 2
	s_add_u32 s12, s10, s12
	s_addc_u32 s13, s11, s13
	s_waitcnt lgkmcnt(0)
	global_store_dword v112, v111, s[12:13]
.LBB54_12:
	s_or_b64 exec, exec, s[8:9]
	s_waitcnt lgkmcnt(0)
	v_cmp_ne_u32_e32 vcc, 0, v111
	s_mov_b64 s[8:9], 0
	s_cbranch_vccnz .LBB54_232
; %bb.13:
	buffer_load_dword v112, v115, s[0:3], 0 offen
	buffer_load_dword v114, v115, s[0:3], 0 offen offset:4
                                        ; implicit-def: $vgpr117
                                        ; implicit-def: $vgpr116
                                        ; implicit-def: $vgpr111
	s_waitcnt vmcnt(0)
	v_cmp_ngt_f32_e64 s[8:9], |v112|, |v114|
	s_and_saveexec_b64 s[12:13], s[8:9]
	s_xor_b64 s[8:9], exec, s[12:13]
	s_cbranch_execz .LBB54_15
; %bb.14:
	v_div_scale_f32 v111, s[12:13], v114, v114, v112
	v_div_scale_f32 v116, vcc, v112, v114, v112
	v_rcp_f32_e32 v117, v111
	v_fma_f32 v118, -v111, v117, 1.0
	v_fmac_f32_e32 v117, v118, v117
	v_mul_f32_e32 v118, v116, v117
	v_fma_f32 v119, -v111, v118, v116
	v_fmac_f32_e32 v118, v119, v117
	v_fma_f32 v111, -v111, v118, v116
	v_div_fmas_f32 v111, v111, v117, v118
	v_div_fixup_f32 v111, v111, v114, v112
	v_fmac_f32_e32 v114, v112, v111
	v_div_scale_f32 v112, s[12:13], v114, v114, 1.0
	v_div_scale_f32 v116, vcc, 1.0, v114, 1.0
	v_rcp_f32_e32 v117, v112
	v_fma_f32 v118, -v112, v117, 1.0
	v_fmac_f32_e32 v117, v118, v117
	v_mul_f32_e32 v118, v116, v117
	v_fma_f32 v119, -v112, v118, v116
	v_fmac_f32_e32 v118, v119, v117
	v_fma_f32 v112, -v112, v118, v116
	v_div_fmas_f32 v112, v112, v117, v118
	v_div_fixup_f32 v112, v112, v114, 1.0
	v_mul_f32_e32 v117, v111, v112
	v_xor_b32_e32 v116, 0x80000000, v112
	v_xor_b32_e32 v111, 0x80000000, v117
                                        ; implicit-def: $vgpr112
                                        ; implicit-def: $vgpr114
.LBB54_15:
	s_andn2_saveexec_b64 s[8:9], s[8:9]
	s_cbranch_execz .LBB54_17
; %bb.16:
	v_div_scale_f32 v111, s[12:13], v112, v112, v114
	v_div_scale_f32 v116, vcc, v114, v112, v114
	v_rcp_f32_e32 v117, v111
	v_fma_f32 v118, -v111, v117, 1.0
	v_fmac_f32_e32 v117, v118, v117
	v_mul_f32_e32 v118, v116, v117
	v_fma_f32 v119, -v111, v118, v116
	v_fmac_f32_e32 v118, v119, v117
	v_fma_f32 v111, -v111, v118, v116
	v_div_fmas_f32 v111, v111, v117, v118
	v_div_fixup_f32 v116, v111, v112, v114
	v_fmac_f32_e32 v112, v114, v116
	v_div_scale_f32 v111, s[12:13], v112, v112, 1.0
	v_div_scale_f32 v114, vcc, 1.0, v112, 1.0
	v_rcp_f32_e32 v117, v111
	v_fma_f32 v118, -v111, v117, 1.0
	v_fmac_f32_e32 v117, v118, v117
	v_mul_f32_e32 v118, v114, v117
	v_fma_f32 v119, -v111, v118, v114
	v_fmac_f32_e32 v118, v119, v117
	v_fma_f32 v111, -v111, v118, v114
	v_div_fmas_f32 v111, v111, v117, v118
	v_div_fixup_f32 v117, v111, v112, 1.0
	v_xor_b32_e32 v111, 0x80000000, v117
	v_mul_f32_e64 v116, v116, -v117
.LBB54_17:
	s_or_b64 exec, exec, s[8:9]
	buffer_store_dword v117, v115, s[0:3], 0 offen
	buffer_store_dword v116, v115, s[0:3], 0 offen offset:4
	buffer_load_dword v118, off, s[0:3], 0 offset:12
	s_nop 0
	buffer_load_dword v117, off, s[0:3], 0 offset:8
	v_xor_b32_e32 v112, 0x80000000, v116
	v_add_u32_e32 v114, 0x1c0, v113
	s_waitcnt vmcnt(0)
	ds_write2_b64 v113, v[111:112], v[117:118] offset1:56
	s_waitcnt lgkmcnt(0)
	; wave barrier
	s_and_saveexec_b64 s[8:9], s[4:5]
	s_cbranch_execz .LBB54_19
; %bb.18:
	buffer_load_dword v118, v115, s[0:3], 0 offen offset:4
	buffer_load_dword v119, v115, s[0:3], 0 offen
	ds_read_b64 v[111:112], v114
	v_mov_b32_e32 v116, 0
	ds_read_b64 v[116:117], v116 offset:8
	s_waitcnt vmcnt(1) lgkmcnt(1)
	v_mul_f32_e32 v120, v112, v118
	v_mul_f32_e32 v118, v111, v118
	s_waitcnt vmcnt(0)
	v_fmac_f32_e32 v118, v112, v119
	v_fma_f32 v111, v111, v119, -v120
	v_add_f32_e32 v112, 0, v118
	v_add_f32_e32 v111, 0, v111
	s_waitcnt lgkmcnt(0)
	v_mul_f32_e32 v118, v112, v117
	v_mul_f32_e32 v117, v111, v117
	v_fma_f32 v111, v111, v116, -v118
	v_fmac_f32_e32 v117, v112, v116
	buffer_store_dword v111, off, s[0:3], 0 offset:8
	buffer_store_dword v117, off, s[0:3], 0 offset:12
.LBB54_19:
	s_or_b64 exec, exec, s[8:9]
	; wave barrier
	buffer_load_dword v111, off, s[0:3], 0 offset:16
	buffer_load_dword v112, off, s[0:3], 0 offset:20
	v_cmp_gt_u32_e32 vcc, 2, v0
	s_waitcnt vmcnt(0)
	ds_write_b64 v114, v[111:112]
	s_waitcnt lgkmcnt(0)
	; wave barrier
	s_and_saveexec_b64 s[8:9], vcc
	s_cbranch_execz .LBB54_23
; %bb.20:
	buffer_load_dword v116, v115, s[0:3], 0 offen offset:4
	buffer_load_dword v117, v115, s[0:3], 0 offen
	ds_read_b64 v[111:112], v114
	s_waitcnt vmcnt(1) lgkmcnt(0)
	v_mul_f32_e32 v115, v112, v116
	v_mul_f32_e32 v116, v111, v116
	s_waitcnt vmcnt(0)
	v_fma_f32 v111, v111, v117, -v115
	v_fmac_f32_e32 v116, v112, v117
	v_add_f32_e32 v112, 0, v111
	v_add_f32_e32 v111, 0, v116
	s_and_saveexec_b64 s[12:13], s[4:5]
	s_cbranch_execz .LBB54_22
; %bb.21:
	buffer_load_dword v117, off, s[0:3], 0 offset:12
	buffer_load_dword v118, off, s[0:3], 0 offset:8
	v_mov_b32_e32 v115, 0
	ds_read_b64 v[115:116], v115 offset:456
	s_waitcnt vmcnt(1) lgkmcnt(0)
	v_mul_f32_e32 v119, v115, v117
	v_mul_f32_e32 v117, v116, v117
	s_waitcnt vmcnt(0)
	v_fmac_f32_e32 v119, v116, v118
	v_fma_f32 v115, v115, v118, -v117
	v_add_f32_e32 v111, v111, v119
	v_add_f32_e32 v112, v112, v115
.LBB54_22:
	s_or_b64 exec, exec, s[12:13]
	v_mov_b32_e32 v115, 0
	ds_read_b64 v[115:116], v115 offset:16
	s_waitcnt lgkmcnt(0)
	v_mul_f32_e32 v117, v111, v116
	v_mul_f32_e32 v116, v112, v116
	v_fma_f32 v112, v112, v115, -v117
	v_fmac_f32_e32 v116, v111, v115
	buffer_store_dword v112, off, s[0:3], 0 offset:16
	buffer_store_dword v116, off, s[0:3], 0 offset:20
.LBB54_23:
	s_or_b64 exec, exec, s[8:9]
	; wave barrier
	buffer_load_dword v111, off, s[0:3], 0 offset:24
	buffer_load_dword v112, off, s[0:3], 0 offset:28
	v_cmp_gt_u32_e32 vcc, 3, v0
	s_waitcnt vmcnt(0)
	ds_write_b64 v114, v[111:112]
	v_add_u32_e32 v111, -1, v0
	s_waitcnt lgkmcnt(0)
	; wave barrier
	s_and_saveexec_b64 s[4:5], vcc
	s_cbranch_execz .LBB54_27
; %bb.24:
	v_add_u32_e32 v115, -1, v0
	v_add_u32_e32 v116, 0x1c0, v113
	v_mov_b32_e32 v117, v113
	v_mov_b32_e32 v112, 0
	s_mov_b64 s[8:9], 0
	v_mov_b32_e32 v118, 0
.LBB54_25:                              ; =>This Inner Loop Header: Depth=1
	buffer_load_dword v121, v117, s[0:3], 0 offen offset:4
	buffer_load_dword v122, v117, s[0:3], 0 offen
	ds_read_b64 v[119:120], v116
	v_add_u32_e32 v115, 1, v115
	v_cmp_lt_u32_e32 vcc, 1, v115
	v_add_u32_e32 v116, 8, v116
	v_add_u32_e32 v117, 8, v117
	s_or_b64 s[8:9], vcc, s[8:9]
	s_waitcnt vmcnt(1) lgkmcnt(0)
	v_mul_f32_e32 v123, v120, v121
	v_mul_f32_e32 v121, v119, v121
	s_waitcnt vmcnt(0)
	v_fma_f32 v119, v119, v122, -v123
	v_fmac_f32_e32 v121, v120, v122
	v_add_f32_e32 v118, v118, v119
	v_add_f32_e32 v112, v112, v121
	s_andn2_b64 exec, exec, s[8:9]
	s_cbranch_execnz .LBB54_25
; %bb.26:
	s_or_b64 exec, exec, s[8:9]
	v_mov_b32_e32 v115, 0
	ds_read_b64 v[115:116], v115 offset:24
	s_waitcnt lgkmcnt(0)
	v_mul_f32_e32 v117, v112, v116
	v_mul_f32_e32 v116, v118, v116
	v_fma_f32 v117, v118, v115, -v117
	v_fmac_f32_e32 v116, v112, v115
	buffer_store_dword v117, off, s[0:3], 0 offset:24
	buffer_store_dword v116, off, s[0:3], 0 offset:28
.LBB54_27:
	s_or_b64 exec, exec, s[4:5]
	; wave barrier
	buffer_load_dword v115, off, s[0:3], 0 offset:32
	buffer_load_dword v116, off, s[0:3], 0 offset:36
	v_cmp_gt_u32_e32 vcc, 4, v0
	s_waitcnt vmcnt(0)
	ds_write_b64 v114, v[115:116]
	s_waitcnt lgkmcnt(0)
	; wave barrier
	s_and_saveexec_b64 s[4:5], vcc
	s_cbranch_execz .LBB54_31
; %bb.28:
	v_add_u32_e32 v115, -1, v0
	v_add_u32_e32 v116, 0x1c0, v113
	v_mov_b32_e32 v117, v113
	v_mov_b32_e32 v112, 0
	s_mov_b64 s[8:9], 0
	v_mov_b32_e32 v118, 0
.LBB54_29:                              ; =>This Inner Loop Header: Depth=1
	buffer_load_dword v121, v117, s[0:3], 0 offen offset:4
	buffer_load_dword v122, v117, s[0:3], 0 offen
	ds_read_b64 v[119:120], v116
	v_add_u32_e32 v115, 1, v115
	v_cmp_lt_u32_e32 vcc, 2, v115
	v_add_u32_e32 v116, 8, v116
	v_add_u32_e32 v117, 8, v117
	s_or_b64 s[8:9], vcc, s[8:9]
	s_waitcnt vmcnt(1) lgkmcnt(0)
	v_mul_f32_e32 v123, v120, v121
	v_mul_f32_e32 v121, v119, v121
	s_waitcnt vmcnt(0)
	v_fma_f32 v119, v119, v122, -v123
	v_fmac_f32_e32 v121, v120, v122
	v_add_f32_e32 v118, v118, v119
	v_add_f32_e32 v112, v112, v121
	s_andn2_b64 exec, exec, s[8:9]
	s_cbranch_execnz .LBB54_29
; %bb.30:
	s_or_b64 exec, exec, s[8:9]
	v_mov_b32_e32 v115, 0
	ds_read_b64 v[115:116], v115 offset:32
	s_waitcnt lgkmcnt(0)
	v_mul_f32_e32 v117, v112, v116
	v_mul_f32_e32 v116, v118, v116
	v_fma_f32 v117, v118, v115, -v117
	v_fmac_f32_e32 v116, v112, v115
	buffer_store_dword v117, off, s[0:3], 0 offset:32
	buffer_store_dword v116, off, s[0:3], 0 offset:36
.LBB54_31:
	s_or_b64 exec, exec, s[4:5]
	; wave barrier
	buffer_load_dword v115, off, s[0:3], 0 offset:40
	buffer_load_dword v116, off, s[0:3], 0 offset:44
	v_cmp_gt_u32_e32 vcc, 5, v0
	s_waitcnt vmcnt(0)
	ds_write_b64 v114, v[115:116]
	;; [unrolled: 49-line block ×19, first 2 shown]
	s_waitcnt lgkmcnt(0)
	; wave barrier
	s_and_saveexec_b64 s[4:5], vcc
	s_cbranch_execz .LBB54_103
; %bb.100:
	v_add_u32_e32 v115, -1, v0
	v_add_u32_e32 v116, 0x1c0, v113
	v_mov_b32_e32 v117, v113
	v_mov_b32_e32 v112, 0
	s_mov_b64 s[8:9], 0
	v_mov_b32_e32 v118, 0
.LBB54_101:                             ; =>This Inner Loop Header: Depth=1
	buffer_load_dword v121, v117, s[0:3], 0 offen offset:4
	buffer_load_dword v122, v117, s[0:3], 0 offen
	ds_read_b64 v[119:120], v116
	v_add_u32_e32 v115, 1, v115
	v_cmp_lt_u32_e32 vcc, 20, v115
	v_add_u32_e32 v116, 8, v116
	v_add_u32_e32 v117, 8, v117
	s_or_b64 s[8:9], vcc, s[8:9]
	s_waitcnt vmcnt(1) lgkmcnt(0)
	v_mul_f32_e32 v123, v120, v121
	v_mul_f32_e32 v121, v119, v121
	s_waitcnt vmcnt(0)
	v_fma_f32 v119, v119, v122, -v123
	v_fmac_f32_e32 v121, v120, v122
	v_add_f32_e32 v118, v118, v119
	v_add_f32_e32 v112, v112, v121
	s_andn2_b64 exec, exec, s[8:9]
	s_cbranch_execnz .LBB54_101
; %bb.102:
	s_or_b64 exec, exec, s[8:9]
	v_mov_b32_e32 v115, 0
	ds_read_b64 v[115:116], v115 offset:176
	s_waitcnt lgkmcnt(0)
	v_mul_f32_e32 v117, v112, v116
	v_mul_f32_e32 v116, v118, v116
	v_fma_f32 v117, v118, v115, -v117
	v_fmac_f32_e32 v116, v112, v115
	buffer_store_dword v117, off, s[0:3], 0 offset:176
	buffer_store_dword v116, off, s[0:3], 0 offset:180
.LBB54_103:
	s_or_b64 exec, exec, s[4:5]
	; wave barrier
	buffer_load_dword v115, off, s[0:3], 0 offset:184
	buffer_load_dword v116, off, s[0:3], 0 offset:188
	v_cmp_gt_u32_e32 vcc, 23, v0
	s_waitcnt vmcnt(0)
	ds_write_b64 v114, v[115:116]
	s_waitcnt lgkmcnt(0)
	; wave barrier
	s_and_saveexec_b64 s[4:5], vcc
	s_cbranch_execz .LBB54_107
; %bb.104:
	v_add_u32_e32 v115, -1, v0
	v_add_u32_e32 v116, 0x1c0, v113
	v_mov_b32_e32 v117, v113
	v_mov_b32_e32 v112, 0
	s_mov_b64 s[8:9], 0
	v_mov_b32_e32 v118, 0
.LBB54_105:                             ; =>This Inner Loop Header: Depth=1
	buffer_load_dword v121, v117, s[0:3], 0 offen offset:4
	buffer_load_dword v122, v117, s[0:3], 0 offen
	ds_read_b64 v[119:120], v116
	v_add_u32_e32 v115, 1, v115
	v_cmp_lt_u32_e32 vcc, 21, v115
	v_add_u32_e32 v116, 8, v116
	v_add_u32_e32 v117, 8, v117
	s_or_b64 s[8:9], vcc, s[8:9]
	s_waitcnt vmcnt(1) lgkmcnt(0)
	v_mul_f32_e32 v123, v120, v121
	v_mul_f32_e32 v121, v119, v121
	s_waitcnt vmcnt(0)
	v_fma_f32 v119, v119, v122, -v123
	v_fmac_f32_e32 v121, v120, v122
	v_add_f32_e32 v118, v118, v119
	v_add_f32_e32 v112, v112, v121
	s_andn2_b64 exec, exec, s[8:9]
	s_cbranch_execnz .LBB54_105
; %bb.106:
	s_or_b64 exec, exec, s[8:9]
	v_mov_b32_e32 v115, 0
	ds_read_b64 v[115:116], v115 offset:184
	s_waitcnt lgkmcnt(0)
	v_mul_f32_e32 v117, v112, v116
	v_mul_f32_e32 v116, v118, v116
	v_fma_f32 v117, v118, v115, -v117
	v_fmac_f32_e32 v116, v112, v115
	buffer_store_dword v117, off, s[0:3], 0 offset:184
	buffer_store_dword v116, off, s[0:3], 0 offset:188
.LBB54_107:
	s_or_b64 exec, exec, s[4:5]
	; wave barrier
	buffer_load_dword v115, off, s[0:3], 0 offset:192
	buffer_load_dword v116, off, s[0:3], 0 offset:196
	v_cmp_gt_u32_e32 vcc, 24, v0
	s_waitcnt vmcnt(0)
	ds_write_b64 v114, v[115:116]
	;; [unrolled: 49-line block ×31, first 2 shown]
	s_waitcnt lgkmcnt(0)
	; wave barrier
	s_and_saveexec_b64 s[4:5], vcc
	s_cbranch_execz .LBB54_227
; %bb.224:
	v_add_u32_e32 v115, -1, v0
	v_add_u32_e32 v116, 0x1c0, v113
	v_mov_b32_e32 v117, v113
	v_mov_b32_e32 v112, 0
	s_mov_b64 s[8:9], 0
	v_mov_b32_e32 v118, 0
.LBB54_225:                             ; =>This Inner Loop Header: Depth=1
	buffer_load_dword v121, v117, s[0:3], 0 offen offset:4
	buffer_load_dword v122, v117, s[0:3], 0 offen
	ds_read_b64 v[119:120], v116
	v_add_u32_e32 v115, 1, v115
	v_cmp_lt_u32_e32 vcc, 51, v115
	v_add_u32_e32 v116, 8, v116
	v_add_u32_e32 v117, 8, v117
	s_or_b64 s[8:9], vcc, s[8:9]
	s_waitcnt vmcnt(1) lgkmcnt(0)
	v_mul_f32_e32 v123, v120, v121
	v_mul_f32_e32 v121, v119, v121
	s_waitcnt vmcnt(0)
	v_fma_f32 v119, v119, v122, -v123
	v_fmac_f32_e32 v121, v120, v122
	v_add_f32_e32 v118, v118, v119
	v_add_f32_e32 v112, v112, v121
	s_andn2_b64 exec, exec, s[8:9]
	s_cbranch_execnz .LBB54_225
; %bb.226:
	s_or_b64 exec, exec, s[8:9]
	v_mov_b32_e32 v115, 0
	ds_read_b64 v[115:116], v115 offset:424
	s_waitcnt lgkmcnt(0)
	v_mul_f32_e32 v117, v112, v116
	v_mul_f32_e32 v116, v118, v116
	v_fma_f32 v117, v118, v115, -v117
	v_fmac_f32_e32 v116, v112, v115
	buffer_store_dword v117, off, s[0:3], 0 offset:424
	buffer_store_dword v116, off, s[0:3], 0 offset:428
.LBB54_227:
	s_or_b64 exec, exec, s[4:5]
	; wave barrier
	buffer_load_dword v115, off, s[0:3], 0 offset:432
	buffer_load_dword v116, off, s[0:3], 0 offset:436
	v_cmp_ne_u32_e32 vcc, 54, v0
	s_waitcnt vmcnt(0)
	ds_write_b64 v114, v[115:116]
	s_waitcnt lgkmcnt(0)
	; wave barrier
	s_and_saveexec_b64 s[4:5], vcc
	s_cbranch_execz .LBB54_231
; %bb.228:
	v_add_u32_e32 v114, 0x1c0, v113
	v_mov_b32_e32 v112, 0
	s_mov_b64 s[8:9], 0
	v_mov_b32_e32 v115, 0
.LBB54_229:                             ; =>This Inner Loop Header: Depth=1
	buffer_load_dword v118, v113, s[0:3], 0 offen offset:4
	buffer_load_dword v119, v113, s[0:3], 0 offen
	ds_read_b64 v[116:117], v114
	v_add_u32_e32 v111, 1, v111
	v_cmp_lt_u32_e32 vcc, 52, v111
	v_add_u32_e32 v114, 8, v114
	v_add_u32_e32 v113, 8, v113
	s_or_b64 s[8:9], vcc, s[8:9]
	s_waitcnt vmcnt(1) lgkmcnt(0)
	v_mul_f32_e32 v120, v117, v118
	v_mul_f32_e32 v118, v116, v118
	s_waitcnt vmcnt(0)
	v_fma_f32 v116, v116, v119, -v120
	v_fmac_f32_e32 v118, v117, v119
	v_add_f32_e32 v115, v115, v116
	v_add_f32_e32 v112, v112, v118
	s_andn2_b64 exec, exec, s[8:9]
	s_cbranch_execnz .LBB54_229
; %bb.230:
	s_or_b64 exec, exec, s[8:9]
	v_mov_b32_e32 v111, 0
	ds_read_b64 v[113:114], v111 offset:432
	s_waitcnt lgkmcnt(0)
	v_mul_f32_e32 v111, v112, v114
	v_mul_f32_e32 v114, v115, v114
	v_fma_f32 v111, v115, v113, -v111
	v_fmac_f32_e32 v114, v112, v113
	buffer_store_dword v111, off, s[0:3], 0 offset:432
	buffer_store_dword v114, off, s[0:3], 0 offset:436
.LBB54_231:
	s_or_b64 exec, exec, s[4:5]
	s_mov_b64 s[8:9], -1
	; wave barrier
.LBB54_232:
	s_and_b64 vcc, exec, s[8:9]
	s_cbranch_vccz .LBB54_234
; %bb.233:
	s_lshl_b64 s[4:5], s[6:7], 2
	s_add_u32 s4, s10, s4
	s_addc_u32 s5, s11, s5
	v_mov_b32_e32 v111, 0
	global_load_dword v111, v111, s[4:5]
	s_waitcnt vmcnt(0)
	v_cmp_ne_u32_e32 vcc, 0, v111
	s_cbranch_vccz .LBB54_235
.LBB54_234:
	s_endpgm
.LBB54_235:
	v_mov_b32_e32 v111, 0x1c0
	v_lshl_add_u32 v111, v0, 3, v111
	v_cmp_eq_u32_e32 vcc, 54, v0
	s_and_saveexec_b64 s[4:5], vcc
	s_cbranch_execz .LBB54_237
; %bb.236:
	buffer_load_dword v112, off, s[0:3], 0 offset:424
	buffer_load_dword v113, off, s[0:3], 0 offset:428
	v_mov_b32_e32 v114, 0
	buffer_store_dword v114, off, s[0:3], 0 offset:424
	buffer_store_dword v114, off, s[0:3], 0 offset:428
	s_waitcnt vmcnt(2)
	ds_write_b64 v111, v[112:113]
.LBB54_237:
	s_or_b64 exec, exec, s[4:5]
	s_waitcnt lgkmcnt(0)
	; wave barrier
	buffer_load_dword v115, off, s[0:3], 0 offset:436
	buffer_load_dword v116, off, s[0:3], 0 offset:432
	;; [unrolled: 1-line block ×4, first 2 shown]
	v_mov_b32_e32 v112, 0
	ds_read_b64 v[113:114], v112 offset:880
	v_cmp_lt_u32_e32 vcc, 52, v0
	s_waitcnt vmcnt(3) lgkmcnt(0)
	v_mul_f32_e32 v119, v113, v115
	v_mul_f32_e32 v115, v114, v115
	s_waitcnt vmcnt(2)
	v_fma_f32 v113, v113, v116, -v115
	v_fmac_f32_e32 v119, v114, v116
	v_add_f32_e32 v113, 0, v113
	v_add_f32_e32 v114, 0, v119
	s_waitcnt vmcnt(1)
	v_sub_f32_e32 v113, v117, v113
	s_waitcnt vmcnt(0)
	v_sub_f32_e32 v114, v118, v114
	buffer_store_dword v113, off, s[0:3], 0 offset:424
	buffer_store_dword v114, off, s[0:3], 0 offset:428
	s_and_saveexec_b64 s[4:5], vcc
	s_cbranch_execz .LBB54_239
; %bb.238:
	buffer_load_dword v113, off, s[0:3], 0 offset:416
	buffer_load_dword v114, off, s[0:3], 0 offset:420
	s_waitcnt vmcnt(0)
	ds_write_b64 v111, v[113:114]
	buffer_store_dword v112, off, s[0:3], 0 offset:416
	buffer_store_dword v112, off, s[0:3], 0 offset:420
.LBB54_239:
	s_or_b64 exec, exec, s[4:5]
	s_waitcnt lgkmcnt(0)
	; wave barrier
	buffer_load_dword v116, off, s[0:3], 0 offset:428
	buffer_load_dword v117, off, s[0:3], 0 offset:436
	;; [unrolled: 1-line block ×6, first 2 shown]
	ds_read2_b64 v[112:115], v112 offset0:109 offset1:110
	v_cmp_lt_u32_e32 vcc, 51, v0
	s_waitcnt vmcnt(5) lgkmcnt(0)
	v_mul_f32_e32 v122, v112, v116
	v_mul_f32_e32 v116, v113, v116
	s_waitcnt vmcnt(4)
	v_mul_f32_e32 v123, v114, v117
	v_mul_f32_e32 v117, v115, v117
	s_waitcnt vmcnt(3)
	v_fma_f32 v112, v112, v118, -v116
	v_fmac_f32_e32 v122, v113, v118
	s_waitcnt vmcnt(2)
	v_fma_f32 v113, v114, v119, -v117
	v_add_f32_e32 v112, 0, v112
	v_fmac_f32_e32 v123, v115, v119
	v_add_f32_e32 v114, 0, v122
	v_add_f32_e32 v112, v112, v113
	;; [unrolled: 1-line block ×3, first 2 shown]
	s_waitcnt vmcnt(1)
	v_sub_f32_e32 v112, v120, v112
	s_waitcnt vmcnt(0)
	v_sub_f32_e32 v113, v121, v114
	buffer_store_dword v112, off, s[0:3], 0 offset:416
	buffer_store_dword v113, off, s[0:3], 0 offset:420
	s_and_saveexec_b64 s[4:5], vcc
	s_cbranch_execz .LBB54_241
; %bb.240:
	buffer_load_dword v112, off, s[0:3], 0 offset:408
	buffer_load_dword v113, off, s[0:3], 0 offset:412
	v_mov_b32_e32 v114, 0
	buffer_store_dword v114, off, s[0:3], 0 offset:408
	buffer_store_dword v114, off, s[0:3], 0 offset:412
	s_waitcnt vmcnt(2)
	ds_write_b64 v111, v[112:113]
.LBB54_241:
	s_or_b64 exec, exec, s[4:5]
	s_waitcnt lgkmcnt(0)
	; wave barrier
	buffer_load_dword v119, off, s[0:3], 0 offset:420
	buffer_load_dword v120, off, s[0:3], 0 offset:428
	;; [unrolled: 1-line block ×8, first 2 shown]
	v_mov_b32_e32 v112, 0
	ds_read_b128 v[113:116], v112 offset:864
	ds_read_b64 v[117:118], v112 offset:880
	v_cmp_lt_u32_e32 vcc, 50, v0
	s_waitcnt vmcnt(7) lgkmcnt(1)
	v_mul_f32_e32 v127, v113, v119
	v_mul_f32_e32 v119, v114, v119
	s_waitcnt vmcnt(6)
	v_mul_f32_e32 v128, v115, v120
	v_mul_f32_e32 v120, v116, v120
	s_waitcnt vmcnt(4)
	v_fma_f32 v113, v113, v122, -v119
	s_waitcnt lgkmcnt(0)
	v_mul_f32_e32 v129, v117, v121
	v_mul_f32_e32 v121, v118, v121
	v_fmac_f32_e32 v127, v114, v122
	s_waitcnt vmcnt(3)
	v_fma_f32 v114, v115, v123, -v120
	v_add_f32_e32 v113, 0, v113
	v_fmac_f32_e32 v128, v116, v123
	s_waitcnt vmcnt(2)
	v_fma_f32 v115, v117, v124, -v121
	v_add_f32_e32 v116, 0, v127
	v_add_f32_e32 v113, v113, v114
	v_fmac_f32_e32 v129, v118, v124
	v_add_f32_e32 v116, v116, v128
	v_add_f32_e32 v113, v113, v115
	;; [unrolled: 1-line block ×3, first 2 shown]
	s_waitcnt vmcnt(1)
	v_sub_f32_e32 v113, v125, v113
	s_waitcnt vmcnt(0)
	v_sub_f32_e32 v114, v126, v114
	buffer_store_dword v113, off, s[0:3], 0 offset:408
	buffer_store_dword v114, off, s[0:3], 0 offset:412
	s_and_saveexec_b64 s[4:5], vcc
	s_cbranch_execz .LBB54_243
; %bb.242:
	buffer_load_dword v113, off, s[0:3], 0 offset:400
	buffer_load_dword v114, off, s[0:3], 0 offset:404
	s_waitcnt vmcnt(0)
	ds_write_b64 v111, v[113:114]
	buffer_store_dword v112, off, s[0:3], 0 offset:400
	buffer_store_dword v112, off, s[0:3], 0 offset:404
.LBB54_243:
	s_or_b64 exec, exec, s[4:5]
	s_waitcnt lgkmcnt(0)
	; wave barrier
	buffer_load_dword v121, off, s[0:3], 0 offset:412
	buffer_load_dword v122, off, s[0:3], 0 offset:420
	;; [unrolled: 1-line block ×10, first 2 shown]
	ds_read2_b64 v[113:116], v112 offset0:107 offset1:108
	ds_read2_b64 v[117:120], v112 offset0:109 offset1:110
	v_cmp_lt_u32_e32 vcc, 49, v0
	s_waitcnt vmcnt(9) lgkmcnt(1)
	v_mul_f32_e32 v112, v113, v121
	v_mul_f32_e32 v121, v114, v121
	s_waitcnt vmcnt(8)
	v_mul_f32_e32 v131, v115, v122
	v_mul_f32_e32 v122, v116, v122
	s_waitcnt vmcnt(5)
	v_fma_f32 v113, v113, v125, -v121
	s_waitcnt lgkmcnt(0)
	v_mul_f32_e32 v132, v117, v123
	v_mul_f32_e32 v123, v118, v123
	v_fmac_f32_e32 v112, v114, v125
	s_waitcnt vmcnt(4)
	v_fma_f32 v114, v115, v126, -v122
	v_add_f32_e32 v113, 0, v113
	v_mul_f32_e32 v133, v119, v124
	v_mul_f32_e32 v124, v120, v124
	v_fmac_f32_e32 v131, v116, v126
	s_waitcnt vmcnt(3)
	v_fma_f32 v115, v117, v127, -v123
	v_add_f32_e32 v112, 0, v112
	v_add_f32_e32 v113, v113, v114
	v_fmac_f32_e32 v132, v118, v127
	s_waitcnt vmcnt(2)
	v_fma_f32 v116, v119, v128, -v124
	v_add_f32_e32 v112, v112, v131
	v_add_f32_e32 v113, v113, v115
	v_fmac_f32_e32 v133, v120, v128
	v_add_f32_e32 v112, v112, v132
	v_add_f32_e32 v113, v113, v116
	;; [unrolled: 1-line block ×3, first 2 shown]
	s_waitcnt vmcnt(1)
	v_sub_f32_e32 v113, v129, v113
	s_waitcnt vmcnt(0)
	v_sub_f32_e32 v112, v130, v112
	buffer_store_dword v113, off, s[0:3], 0 offset:400
	buffer_store_dword v112, off, s[0:3], 0 offset:404
	s_and_saveexec_b64 s[4:5], vcc
	s_cbranch_execz .LBB54_245
; %bb.244:
	buffer_load_dword v112, off, s[0:3], 0 offset:392
	buffer_load_dword v113, off, s[0:3], 0 offset:396
	v_mov_b32_e32 v114, 0
	buffer_store_dword v114, off, s[0:3], 0 offset:392
	buffer_store_dword v114, off, s[0:3], 0 offset:396
	s_waitcnt vmcnt(2)
	ds_write_b64 v111, v[112:113]
.LBB54_245:
	s_or_b64 exec, exec, s[4:5]
	s_waitcnt lgkmcnt(0)
	; wave barrier
	buffer_load_dword v123, off, s[0:3], 0 offset:404
	buffer_load_dword v124, off, s[0:3], 0 offset:412
	;; [unrolled: 1-line block ×12, first 2 shown]
	v_mov_b32_e32 v112, 0
	ds_read_b128 v[113:116], v112 offset:848
	ds_read_b128 v[117:120], v112 offset:864
	ds_read_b64 v[121:122], v112 offset:880
	v_cmp_lt_u32_e32 vcc, 48, v0
	s_waitcnt vmcnt(11) lgkmcnt(2)
	v_mul_f32_e32 v135, v113, v123
	v_mul_f32_e32 v123, v114, v123
	s_waitcnt vmcnt(10)
	v_mul_f32_e32 v136, v115, v124
	v_mul_f32_e32 v124, v116, v124
	s_waitcnt vmcnt(9) lgkmcnt(1)
	v_mul_f32_e32 v137, v117, v125
	s_waitcnt vmcnt(6)
	v_fma_f32 v113, v113, v128, -v123
	v_mul_f32_e32 v125, v118, v125
	v_fmac_f32_e32 v135, v114, v128
	s_waitcnt vmcnt(5)
	v_fma_f32 v114, v115, v129, -v124
	v_add_f32_e32 v113, 0, v113
	v_mul_f32_e32 v138, v119, v126
	v_mul_f32_e32 v126, v120, v126
	v_fmac_f32_e32 v136, v116, v129
	s_waitcnt vmcnt(4)
	v_fmac_f32_e32 v137, v118, v130
	v_fma_f32 v115, v117, v130, -v125
	v_add_f32_e32 v118, 0, v135
	v_add_f32_e32 v113, v113, v114
	s_waitcnt lgkmcnt(0)
	v_mul_f32_e32 v139, v121, v127
	v_mul_f32_e32 v127, v122, v127
	s_waitcnt vmcnt(3)
	v_fma_f32 v116, v119, v131, -v126
	v_add_f32_e32 v118, v118, v136
	v_add_f32_e32 v113, v113, v115
	v_fmac_f32_e32 v138, v120, v131
	s_waitcnt vmcnt(2)
	v_fma_f32 v117, v121, v132, -v127
	v_add_f32_e32 v114, v118, v137
	v_add_f32_e32 v113, v113, v116
	v_fmac_f32_e32 v139, v122, v132
	v_add_f32_e32 v114, v114, v138
	v_add_f32_e32 v113, v113, v117
	;; [unrolled: 1-line block ×3, first 2 shown]
	s_waitcnt vmcnt(1)
	v_sub_f32_e32 v113, v133, v113
	s_waitcnt vmcnt(0)
	v_sub_f32_e32 v114, v134, v114
	buffer_store_dword v113, off, s[0:3], 0 offset:392
	buffer_store_dword v114, off, s[0:3], 0 offset:396
	s_and_saveexec_b64 s[4:5], vcc
	s_cbranch_execz .LBB54_247
; %bb.246:
	buffer_load_dword v113, off, s[0:3], 0 offset:384
	buffer_load_dword v114, off, s[0:3], 0 offset:388
	s_waitcnt vmcnt(0)
	ds_write_b64 v111, v[113:114]
	buffer_store_dword v112, off, s[0:3], 0 offset:384
	buffer_store_dword v112, off, s[0:3], 0 offset:388
.LBB54_247:
	s_or_b64 exec, exec, s[4:5]
	s_waitcnt lgkmcnt(0)
	; wave barrier
	buffer_load_dword v125, off, s[0:3], 0 offset:396
	buffer_load_dword v126, off, s[0:3], 0 offset:404
	buffer_load_dword v127, off, s[0:3], 0 offset:412
	buffer_load_dword v128, off, s[0:3], 0 offset:420
	buffer_load_dword v129, off, s[0:3], 0 offset:428
	buffer_load_dword v130, off, s[0:3], 0 offset:436
	buffer_load_dword v131, off, s[0:3], 0 offset:392
	buffer_load_dword v132, off, s[0:3], 0 offset:400
	buffer_load_dword v133, off, s[0:3], 0 offset:408
	buffer_load_dword v134, off, s[0:3], 0 offset:416
	buffer_load_dword v135, off, s[0:3], 0 offset:424
	buffer_load_dword v136, off, s[0:3], 0 offset:432
	buffer_load_dword v137, off, s[0:3], 0 offset:384
	buffer_load_dword v138, off, s[0:3], 0 offset:388
	ds_read2_b64 v[113:116], v112 offset0:105 offset1:106
	ds_read2_b64 v[117:120], v112 offset0:107 offset1:108
	;; [unrolled: 1-line block ×3, first 2 shown]
	v_cmp_lt_u32_e32 vcc, 47, v0
	s_waitcnt vmcnt(13) lgkmcnt(2)
	v_mul_f32_e32 v112, v113, v125
	v_mul_f32_e32 v125, v114, v125
	s_waitcnt vmcnt(12)
	v_mul_f32_e32 v139, v115, v126
	v_mul_f32_e32 v126, v116, v126
	s_waitcnt vmcnt(11) lgkmcnt(1)
	v_mul_f32_e32 v140, v117, v127
	v_mul_f32_e32 v127, v118, v127
	s_waitcnt vmcnt(7)
	v_fma_f32 v113, v113, v131, -v125
	v_fmac_f32_e32 v112, v114, v131
	s_waitcnt vmcnt(6)
	v_fma_f32 v114, v115, v132, -v126
	v_add_f32_e32 v113, 0, v113
	v_mul_f32_e32 v141, v119, v128
	v_mul_f32_e32 v128, v120, v128
	v_fmac_f32_e32 v139, v116, v132
	s_waitcnt vmcnt(5)
	v_fma_f32 v115, v117, v133, -v127
	v_add_f32_e32 v112, 0, v112
	v_add_f32_e32 v113, v113, v114
	s_waitcnt lgkmcnt(0)
	v_mul_f32_e32 v142, v121, v129
	v_mul_f32_e32 v129, v122, v129
	v_fmac_f32_e32 v140, v118, v133
	s_waitcnt vmcnt(4)
	v_fma_f32 v116, v119, v134, -v128
	v_add_f32_e32 v112, v112, v139
	v_add_f32_e32 v113, v113, v115
	v_mul_f32_e32 v143, v123, v130
	v_mul_f32_e32 v130, v124, v130
	v_fmac_f32_e32 v141, v120, v134
	s_waitcnt vmcnt(3)
	v_fma_f32 v117, v121, v135, -v129
	v_add_f32_e32 v112, v112, v140
	v_add_f32_e32 v113, v113, v116
	v_fmac_f32_e32 v142, v122, v135
	s_waitcnt vmcnt(2)
	v_fma_f32 v118, v123, v136, -v130
	v_add_f32_e32 v112, v112, v141
	v_add_f32_e32 v113, v113, v117
	v_fmac_f32_e32 v143, v124, v136
	v_add_f32_e32 v112, v112, v142
	v_add_f32_e32 v113, v113, v118
	;; [unrolled: 1-line block ×3, first 2 shown]
	s_waitcnt vmcnt(1)
	v_sub_f32_e32 v113, v137, v113
	s_waitcnt vmcnt(0)
	v_sub_f32_e32 v112, v138, v112
	buffer_store_dword v113, off, s[0:3], 0 offset:384
	buffer_store_dword v112, off, s[0:3], 0 offset:388
	s_and_saveexec_b64 s[4:5], vcc
	s_cbranch_execz .LBB54_249
; %bb.248:
	buffer_load_dword v112, off, s[0:3], 0 offset:376
	buffer_load_dword v113, off, s[0:3], 0 offset:380
	v_mov_b32_e32 v114, 0
	buffer_store_dword v114, off, s[0:3], 0 offset:376
	buffer_store_dword v114, off, s[0:3], 0 offset:380
	s_waitcnt vmcnt(2)
	ds_write_b64 v111, v[112:113]
.LBB54_249:
	s_or_b64 exec, exec, s[4:5]
	s_waitcnt lgkmcnt(0)
	; wave barrier
	buffer_load_dword v127, off, s[0:3], 0 offset:388
	buffer_load_dword v128, off, s[0:3], 0 offset:396
	;; [unrolled: 1-line block ×16, first 2 shown]
	v_mov_b32_e32 v112, 0
	ds_read_b128 v[113:116], v112 offset:832
	ds_read_b128 v[117:120], v112 offset:848
	;; [unrolled: 1-line block ×3, first 2 shown]
	ds_read_b64 v[125:126], v112 offset:880
	v_cmp_lt_u32_e32 vcc, 46, v0
	s_waitcnt vmcnt(15) lgkmcnt(3)
	v_mul_f32_e32 v143, v113, v127
	v_mul_f32_e32 v127, v114, v127
	s_waitcnt vmcnt(14)
	v_mul_f32_e32 v144, v115, v128
	v_mul_f32_e32 v128, v116, v128
	s_waitcnt vmcnt(13) lgkmcnt(2)
	v_mul_f32_e32 v145, v117, v129
	s_waitcnt vmcnt(12)
	v_mul_f32_e32 v146, v119, v130
	v_mul_f32_e32 v129, v118, v129
	s_waitcnt vmcnt(8)
	v_fma_f32 v113, v113, v134, -v127
	v_fmac_f32_e32 v143, v114, v134
	s_waitcnt vmcnt(7)
	v_fma_f32 v114, v115, v135, -v128
	v_add_f32_e32 v113, 0, v113
	v_mul_f32_e32 v130, v120, v130
	v_fmac_f32_e32 v144, v116, v135
	s_waitcnt vmcnt(5)
	v_fmac_f32_e32 v146, v120, v137
	v_fma_f32 v115, v117, v136, -v129
	v_add_f32_e32 v120, 0, v143
	v_add_f32_e32 v113, v113, v114
	s_waitcnt lgkmcnt(1)
	v_mul_f32_e32 v147, v121, v131
	v_mul_f32_e32 v131, v122, v131
	v_fmac_f32_e32 v145, v118, v136
	v_fma_f32 v116, v119, v137, -v130
	v_add_f32_e32 v120, v120, v144
	v_add_f32_e32 v113, v113, v115
	v_mul_f32_e32 v148, v123, v132
	v_mul_f32_e32 v132, v124, v132
	s_waitcnt vmcnt(4)
	v_fma_f32 v117, v121, v138, -v131
	v_add_f32_e32 v114, v120, v145
	v_add_f32_e32 v113, v113, v116
	s_waitcnt lgkmcnt(0)
	v_mul_f32_e32 v149, v125, v133
	v_mul_f32_e32 v133, v126, v133
	v_fmac_f32_e32 v147, v122, v138
	s_waitcnt vmcnt(3)
	v_fma_f32 v118, v123, v139, -v132
	v_add_f32_e32 v114, v114, v146
	v_add_f32_e32 v113, v113, v117
	v_fmac_f32_e32 v148, v124, v139
	s_waitcnt vmcnt(2)
	v_fma_f32 v119, v125, v140, -v133
	v_add_f32_e32 v114, v114, v147
	v_add_f32_e32 v113, v113, v118
	v_fmac_f32_e32 v149, v126, v140
	v_add_f32_e32 v114, v114, v148
	v_add_f32_e32 v113, v113, v119
	;; [unrolled: 1-line block ×3, first 2 shown]
	s_waitcnt vmcnt(1)
	v_sub_f32_e32 v113, v141, v113
	s_waitcnt vmcnt(0)
	v_sub_f32_e32 v114, v142, v114
	buffer_store_dword v113, off, s[0:3], 0 offset:376
	buffer_store_dword v114, off, s[0:3], 0 offset:380
	s_and_saveexec_b64 s[4:5], vcc
	s_cbranch_execz .LBB54_251
; %bb.250:
	buffer_load_dword v113, off, s[0:3], 0 offset:368
	buffer_load_dword v114, off, s[0:3], 0 offset:372
	s_waitcnt vmcnt(0)
	ds_write_b64 v111, v[113:114]
	buffer_store_dword v112, off, s[0:3], 0 offset:368
	buffer_store_dword v112, off, s[0:3], 0 offset:372
.LBB54_251:
	s_or_b64 exec, exec, s[4:5]
	s_waitcnt lgkmcnt(0)
	; wave barrier
	buffer_load_dword v129, off, s[0:3], 0 offset:380
	buffer_load_dword v130, off, s[0:3], 0 offset:388
	;; [unrolled: 1-line block ×18, first 2 shown]
	ds_read2_b64 v[113:116], v112 offset0:103 offset1:104
	ds_read2_b64 v[117:120], v112 offset0:105 offset1:106
	;; [unrolled: 1-line block ×4, first 2 shown]
	v_cmp_lt_u32_e32 vcc, 45, v0
	s_waitcnt vmcnt(17) lgkmcnt(3)
	v_mul_f32_e32 v112, v113, v129
	v_mul_f32_e32 v129, v114, v129
	s_waitcnt vmcnt(16)
	v_mul_f32_e32 v147, v115, v130
	v_mul_f32_e32 v130, v116, v130
	s_waitcnt vmcnt(15) lgkmcnt(2)
	v_mul_f32_e32 v148, v117, v131
	v_mul_f32_e32 v131, v118, v131
	s_waitcnt vmcnt(14)
	v_mul_f32_e32 v149, v119, v132
	v_mul_f32_e32 v132, v120, v132
	s_waitcnt vmcnt(9)
	v_fma_f32 v113, v113, v137, -v129
	v_fmac_f32_e32 v112, v114, v137
	s_waitcnt vmcnt(8)
	v_fma_f32 v114, v115, v138, -v130
	v_add_f32_e32 v113, 0, v113
	v_fmac_f32_e32 v147, v116, v138
	s_waitcnt vmcnt(7)
	v_fma_f32 v115, v117, v139, -v131
	v_add_f32_e32 v112, 0, v112
	v_add_f32_e32 v113, v113, v114
	s_waitcnt lgkmcnt(1)
	v_mul_f32_e32 v150, v121, v133
	v_mul_f32_e32 v133, v122, v133
	v_fmac_f32_e32 v148, v118, v139
	s_waitcnt vmcnt(6)
	v_fma_f32 v116, v119, v140, -v132
	v_add_f32_e32 v112, v112, v147
	v_add_f32_e32 v113, v113, v115
	v_mul_f32_e32 v151, v123, v134
	v_mul_f32_e32 v134, v124, v134
	v_fmac_f32_e32 v149, v120, v140
	s_waitcnt vmcnt(5)
	v_fma_f32 v117, v121, v141, -v133
	v_add_f32_e32 v112, v112, v148
	v_add_f32_e32 v113, v113, v116
	s_waitcnt lgkmcnt(0)
	v_mul_f32_e32 v152, v125, v135
	v_mul_f32_e32 v135, v126, v135
	v_fmac_f32_e32 v150, v122, v141
	s_waitcnt vmcnt(4)
	v_fma_f32 v118, v123, v142, -v134
	v_add_f32_e32 v112, v112, v149
	v_add_f32_e32 v113, v113, v117
	v_mul_f32_e32 v153, v127, v136
	v_mul_f32_e32 v136, v128, v136
	v_fmac_f32_e32 v151, v124, v142
	s_waitcnt vmcnt(3)
	v_fma_f32 v119, v125, v143, -v135
	v_add_f32_e32 v112, v112, v150
	v_add_f32_e32 v113, v113, v118
	v_fmac_f32_e32 v152, v126, v143
	s_waitcnt vmcnt(2)
	v_fma_f32 v120, v127, v144, -v136
	v_add_f32_e32 v112, v112, v151
	v_add_f32_e32 v113, v113, v119
	v_fmac_f32_e32 v153, v128, v144
	v_add_f32_e32 v112, v112, v152
	v_add_f32_e32 v113, v113, v120
	;; [unrolled: 1-line block ×3, first 2 shown]
	s_waitcnt vmcnt(1)
	v_sub_f32_e32 v113, v145, v113
	s_waitcnt vmcnt(0)
	v_sub_f32_e32 v112, v146, v112
	buffer_store_dword v113, off, s[0:3], 0 offset:368
	buffer_store_dword v112, off, s[0:3], 0 offset:372
	s_and_saveexec_b64 s[4:5], vcc
	s_cbranch_execz .LBB54_253
; %bb.252:
	buffer_load_dword v112, off, s[0:3], 0 offset:360
	buffer_load_dword v113, off, s[0:3], 0 offset:364
	v_mov_b32_e32 v114, 0
	buffer_store_dword v114, off, s[0:3], 0 offset:360
	buffer_store_dword v114, off, s[0:3], 0 offset:364
	s_waitcnt vmcnt(2)
	ds_write_b64 v111, v[112:113]
.LBB54_253:
	s_or_b64 exec, exec, s[4:5]
	s_waitcnt lgkmcnt(0)
	; wave barrier
	buffer_load_dword v131, off, s[0:3], 0 offset:372
	buffer_load_dword v132, off, s[0:3], 0 offset:380
	;; [unrolled: 1-line block ×20, first 2 shown]
	v_mov_b32_e32 v112, 0
	ds_read_b128 v[113:116], v112 offset:816
	ds_read_b128 v[117:120], v112 offset:832
	;; [unrolled: 1-line block ×4, first 2 shown]
	ds_read_b64 v[129:130], v112 offset:880
	v_cmp_lt_u32_e32 vcc, 44, v0
	s_waitcnt vmcnt(19) lgkmcnt(4)
	v_mul_f32_e32 v151, v113, v131
	v_mul_f32_e32 v131, v114, v131
	s_waitcnt vmcnt(18)
	v_mul_f32_e32 v152, v115, v132
	v_mul_f32_e32 v132, v116, v132
	s_waitcnt vmcnt(17) lgkmcnt(3)
	v_mul_f32_e32 v153, v117, v133
	s_waitcnt vmcnt(15) lgkmcnt(2)
	v_mul_f32_e32 v155, v121, v135
	v_mul_f32_e32 v133, v118, v133
	;; [unrolled: 1-line block ×4, first 2 shown]
	s_waitcnt vmcnt(10)
	v_fma_f32 v113, v113, v140, -v131
	v_fmac_f32_e32 v151, v114, v140
	s_waitcnt vmcnt(9)
	v_fma_f32 v114, v115, v141, -v132
	v_add_f32_e32 v113, 0, v113
	v_mul_f32_e32 v135, v122, v135
	v_fmac_f32_e32 v152, v116, v141
	s_waitcnt vmcnt(6)
	v_fmac_f32_e32 v155, v122, v144
	v_fma_f32 v115, v117, v142, -v133
	v_add_f32_e32 v122, 0, v151
	v_add_f32_e32 v113, v113, v114
	v_fmac_f32_e32 v153, v118, v142
	v_fma_f32 v116, v119, v143, -v134
	v_add_f32_e32 v122, v122, v152
	v_add_f32_e32 v113, v113, v115
	v_mul_f32_e32 v156, v123, v136
	v_mul_f32_e32 v136, v124, v136
	v_fmac_f32_e32 v154, v120, v143
	v_fma_f32 v117, v121, v144, -v135
	v_add_f32_e32 v114, v122, v153
	v_add_f32_e32 v113, v113, v116
	s_waitcnt lgkmcnt(1)
	v_mul_f32_e32 v157, v125, v137
	v_mul_f32_e32 v137, v126, v137
	s_waitcnt vmcnt(5)
	v_fma_f32 v118, v123, v145, -v136
	v_add_f32_e32 v114, v114, v154
	v_add_f32_e32 v113, v113, v117
	v_mul_f32_e32 v158, v127, v138
	v_mul_f32_e32 v138, v128, v138
	v_fmac_f32_e32 v156, v124, v145
	s_waitcnt vmcnt(4)
	v_fma_f32 v119, v125, v146, -v137
	v_add_f32_e32 v114, v114, v155
	v_add_f32_e32 v113, v113, v118
	s_waitcnt lgkmcnt(0)
	v_mul_f32_e32 v159, v129, v139
	v_mul_f32_e32 v139, v130, v139
	v_fmac_f32_e32 v157, v126, v146
	s_waitcnt vmcnt(3)
	v_fma_f32 v120, v127, v147, -v138
	v_add_f32_e32 v114, v114, v156
	v_add_f32_e32 v113, v113, v119
	v_fmac_f32_e32 v158, v128, v147
	s_waitcnt vmcnt(2)
	v_fma_f32 v121, v129, v148, -v139
	v_add_f32_e32 v114, v114, v157
	v_add_f32_e32 v113, v113, v120
	v_fmac_f32_e32 v159, v130, v148
	v_add_f32_e32 v114, v114, v158
	v_add_f32_e32 v113, v113, v121
	;; [unrolled: 1-line block ×3, first 2 shown]
	s_waitcnt vmcnt(1)
	v_sub_f32_e32 v113, v149, v113
	s_waitcnt vmcnt(0)
	v_sub_f32_e32 v114, v150, v114
	buffer_store_dword v113, off, s[0:3], 0 offset:360
	buffer_store_dword v114, off, s[0:3], 0 offset:364
	s_and_saveexec_b64 s[4:5], vcc
	s_cbranch_execz .LBB54_255
; %bb.254:
	buffer_load_dword v113, off, s[0:3], 0 offset:352
	buffer_load_dword v114, off, s[0:3], 0 offset:356
	s_waitcnt vmcnt(0)
	ds_write_b64 v111, v[113:114]
	buffer_store_dword v112, off, s[0:3], 0 offset:352
	buffer_store_dword v112, off, s[0:3], 0 offset:356
.LBB54_255:
	s_or_b64 exec, exec, s[4:5]
	s_waitcnt lgkmcnt(0)
	; wave barrier
	buffer_load_dword v133, off, s[0:3], 0 offset:364
	buffer_load_dword v134, off, s[0:3], 0 offset:372
	;; [unrolled: 1-line block ×22, first 2 shown]
	ds_read2_b64 v[113:116], v112 offset0:101 offset1:102
	ds_read2_b64 v[117:120], v112 offset0:103 offset1:104
	;; [unrolled: 1-line block ×5, first 2 shown]
	v_cmp_lt_u32_e32 vcc, 43, v0
	s_waitcnt vmcnt(21) lgkmcnt(4)
	v_mul_f32_e32 v112, v113, v133
	v_mul_f32_e32 v133, v114, v133
	s_waitcnt vmcnt(20)
	v_mul_f32_e32 v155, v115, v134
	v_mul_f32_e32 v134, v116, v134
	s_waitcnt vmcnt(19) lgkmcnt(3)
	v_mul_f32_e32 v156, v117, v135
	v_mul_f32_e32 v135, v118, v135
	s_waitcnt vmcnt(18)
	v_mul_f32_e32 v157, v119, v136
	v_mul_f32_e32 v136, v120, v136
	s_waitcnt vmcnt(17) lgkmcnt(2)
	v_mul_f32_e32 v158, v121, v137
	v_mul_f32_e32 v137, v122, v137
	s_waitcnt vmcnt(11)
	v_fma_f32 v113, v113, v143, -v133
	v_fmac_f32_e32 v112, v114, v143
	s_waitcnt vmcnt(10)
	v_fma_f32 v114, v115, v144, -v134
	v_add_f32_e32 v113, 0, v113
	v_fmac_f32_e32 v155, v116, v144
	s_waitcnt vmcnt(9)
	v_fma_f32 v115, v117, v145, -v135
	v_add_f32_e32 v112, 0, v112
	v_add_f32_e32 v113, v113, v114
	v_fmac_f32_e32 v156, v118, v145
	s_waitcnt vmcnt(8)
	v_fma_f32 v116, v119, v146, -v136
	v_add_f32_e32 v112, v112, v155
	v_add_f32_e32 v113, v113, v115
	v_mul_f32_e32 v159, v123, v138
	v_mul_f32_e32 v138, v124, v138
	v_fmac_f32_e32 v157, v120, v146
	s_waitcnt vmcnt(7)
	v_fma_f32 v117, v121, v147, -v137
	v_add_f32_e32 v112, v112, v156
	v_add_f32_e32 v113, v113, v116
	s_waitcnt lgkmcnt(1)
	v_mul_f32_e32 v160, v125, v139
	v_mul_f32_e32 v139, v126, v139
	v_fmac_f32_e32 v158, v122, v147
	s_waitcnt vmcnt(6)
	v_fma_f32 v118, v123, v148, -v138
	v_add_f32_e32 v112, v112, v157
	v_add_f32_e32 v113, v113, v117
	v_mul_f32_e32 v161, v127, v140
	v_mul_f32_e32 v140, v128, v140
	v_fmac_f32_e32 v159, v124, v148
	s_waitcnt vmcnt(5)
	v_fma_f32 v119, v125, v149, -v139
	v_add_f32_e32 v112, v112, v158
	v_add_f32_e32 v113, v113, v118
	s_waitcnt lgkmcnt(0)
	v_mul_f32_e32 v162, v129, v141
	v_mul_f32_e32 v141, v130, v141
	v_fmac_f32_e32 v160, v126, v149
	s_waitcnt vmcnt(4)
	v_fma_f32 v120, v127, v150, -v140
	v_add_f32_e32 v112, v112, v159
	v_add_f32_e32 v113, v113, v119
	v_mul_f32_e32 v163, v131, v142
	v_mul_f32_e32 v142, v132, v142
	v_fmac_f32_e32 v161, v128, v150
	s_waitcnt vmcnt(3)
	v_fma_f32 v121, v129, v151, -v141
	v_add_f32_e32 v112, v112, v160
	v_add_f32_e32 v113, v113, v120
	v_fmac_f32_e32 v162, v130, v151
	s_waitcnt vmcnt(2)
	v_fma_f32 v122, v131, v152, -v142
	v_add_f32_e32 v112, v112, v161
	v_add_f32_e32 v113, v113, v121
	v_fmac_f32_e32 v163, v132, v152
	v_add_f32_e32 v112, v112, v162
	v_add_f32_e32 v113, v113, v122
	;; [unrolled: 1-line block ×3, first 2 shown]
	s_waitcnt vmcnt(1)
	v_sub_f32_e32 v113, v153, v113
	s_waitcnt vmcnt(0)
	v_sub_f32_e32 v112, v154, v112
	buffer_store_dword v113, off, s[0:3], 0 offset:352
	buffer_store_dword v112, off, s[0:3], 0 offset:356
	s_and_saveexec_b64 s[4:5], vcc
	s_cbranch_execz .LBB54_257
; %bb.256:
	buffer_load_dword v112, off, s[0:3], 0 offset:344
	buffer_load_dword v113, off, s[0:3], 0 offset:348
	v_mov_b32_e32 v114, 0
	buffer_store_dword v114, off, s[0:3], 0 offset:344
	buffer_store_dword v114, off, s[0:3], 0 offset:348
	s_waitcnt vmcnt(2)
	ds_write_b64 v111, v[112:113]
.LBB54_257:
	s_or_b64 exec, exec, s[4:5]
	s_waitcnt lgkmcnt(0)
	; wave barrier
	buffer_load_dword v135, off, s[0:3], 0 offset:356
	buffer_load_dword v136, off, s[0:3], 0 offset:364
	;; [unrolled: 1-line block ×24, first 2 shown]
	v_mov_b32_e32 v112, 0
	ds_read_b128 v[113:116], v112 offset:800
	ds_read_b128 v[117:120], v112 offset:816
	;; [unrolled: 1-line block ×5, first 2 shown]
	ds_read_b64 v[133:134], v112 offset:880
	v_cmp_lt_u32_e32 vcc, 42, v0
	s_waitcnt vmcnt(23) lgkmcnt(5)
	v_mul_f32_e32 v159, v113, v135
	v_mul_f32_e32 v135, v114, v135
	s_waitcnt vmcnt(22)
	v_mul_f32_e32 v160, v115, v136
	v_mul_f32_e32 v136, v116, v136
	s_waitcnt vmcnt(21) lgkmcnt(4)
	v_mul_f32_e32 v161, v117, v137
	v_mul_f32_e32 v137, v118, v137
	s_waitcnt vmcnt(20)
	v_mul_f32_e32 v162, v119, v138
	s_waitcnt vmcnt(19) lgkmcnt(3)
	v_mul_f32_e32 v163, v121, v139
	v_mul_f32_e32 v138, v120, v138
	;; [unrolled: 1-line block ×3, first 2 shown]
	s_waitcnt vmcnt(18)
	v_mul_f32_e32 v164, v123, v140
	s_waitcnt vmcnt(12)
	v_fma_f32 v113, v113, v146, -v135
	v_fmac_f32_e32 v159, v114, v146
	s_waitcnt vmcnt(11)
	v_fma_f32 v114, v115, v147, -v136
	v_add_f32_e32 v113, 0, v113
	s_waitcnt vmcnt(10)
	v_fma_f32 v115, v117, v148, -v137
	v_add_f32_e32 v113, v113, v114
	v_fmac_f32_e32 v160, v116, v147
	s_waitcnt vmcnt(8)
	v_fmac_f32_e32 v163, v122, v150
	v_fma_f32 v116, v119, v149, -v138
	v_add_f32_e32 v122, 0, v159
	v_add_f32_e32 v113, v113, v115
	v_mul_f32_e32 v140, v124, v140
	v_fmac_f32_e32 v161, v118, v148
	v_fma_f32 v117, v121, v150, -v139
	v_add_f32_e32 v122, v122, v160
	v_add_f32_e32 v113, v113, v116
	s_waitcnt lgkmcnt(2)
	v_mul_f32_e32 v165, v125, v141
	v_mul_f32_e32 v141, v126, v141
	v_fmac_f32_e32 v162, v120, v149
	s_waitcnt vmcnt(7)
	v_fma_f32 v118, v123, v151, -v140
	v_add_f32_e32 v114, v122, v161
	v_add_f32_e32 v113, v113, v117
	v_mul_f32_e32 v166, v127, v142
	v_mul_f32_e32 v142, v128, v142
	s_waitcnt vmcnt(6)
	v_fma_f32 v119, v125, v152, -v141
	v_add_f32_e32 v114, v114, v162
	v_add_f32_e32 v113, v113, v118
	s_waitcnt lgkmcnt(1)
	v_mul_f32_e32 v167, v129, v143
	v_mul_f32_e32 v143, v130, v143
	v_fmac_f32_e32 v164, v124, v151
	s_waitcnt vmcnt(5)
	v_fma_f32 v120, v127, v153, -v142
	v_add_f32_e32 v114, v114, v163
	v_add_f32_e32 v113, v113, v119
	v_fmac_f32_e32 v165, v126, v152
	s_waitcnt vmcnt(4)
	v_fma_f32 v121, v129, v154, -v143
	v_add_f32_e32 v114, v114, v164
	v_add_f32_e32 v113, v113, v120
	v_mul_f32_e32 v115, v132, v144
	v_fmac_f32_e32 v166, v128, v153
	v_add_f32_e32 v114, v114, v165
	v_add_f32_e32 v113, v113, v121
	s_waitcnt vmcnt(3)
	v_fma_f32 v115, v131, v155, -v115
	v_mul_f32_e32 v168, v131, v144
	v_fmac_f32_e32 v167, v130, v154
	v_add_f32_e32 v114, v114, v166
	v_add_f32_e32 v113, v113, v115
	s_waitcnt lgkmcnt(0)
	v_mul_f32_e32 v115, v134, v145
	v_mul_f32_e32 v169, v133, v145
	v_fmac_f32_e32 v168, v132, v155
	v_add_f32_e32 v114, v114, v167
	s_waitcnt vmcnt(2)
	v_fma_f32 v115, v133, v156, -v115
	v_fmac_f32_e32 v169, v134, v156
	v_add_f32_e32 v114, v114, v168
	v_add_f32_e32 v113, v113, v115
	;; [unrolled: 1-line block ×3, first 2 shown]
	s_waitcnt vmcnt(1)
	v_sub_f32_e32 v113, v157, v113
	s_waitcnt vmcnt(0)
	v_sub_f32_e32 v114, v158, v114
	buffer_store_dword v113, off, s[0:3], 0 offset:344
	buffer_store_dword v114, off, s[0:3], 0 offset:348
	s_and_saveexec_b64 s[4:5], vcc
	s_cbranch_execz .LBB54_259
; %bb.258:
	buffer_load_dword v113, off, s[0:3], 0 offset:336
	buffer_load_dword v114, off, s[0:3], 0 offset:340
	s_waitcnt vmcnt(0)
	ds_write_b64 v111, v[113:114]
	buffer_store_dword v112, off, s[0:3], 0 offset:336
	buffer_store_dword v112, off, s[0:3], 0 offset:340
.LBB54_259:
	s_or_b64 exec, exec, s[4:5]
	s_waitcnt lgkmcnt(0)
	; wave barrier
	buffer_load_dword v137, off, s[0:3], 0 offset:348
	buffer_load_dword v138, off, s[0:3], 0 offset:356
	;; [unrolled: 1-line block ×26, first 2 shown]
	ds_read2_b64 v[113:116], v112 offset0:99 offset1:100
	ds_read2_b64 v[117:120], v112 offset0:101 offset1:102
	;; [unrolled: 1-line block ×6, first 2 shown]
	v_cmp_lt_u32_e32 vcc, 41, v0
	s_waitcnt vmcnt(25) lgkmcnt(5)
	v_mul_f32_e32 v112, v113, v137
	v_mul_f32_e32 v137, v114, v137
	s_waitcnt vmcnt(24)
	v_mul_f32_e32 v163, v115, v138
	v_mul_f32_e32 v138, v116, v138
	s_waitcnt vmcnt(23) lgkmcnt(4)
	v_mul_f32_e32 v164, v117, v139
	v_mul_f32_e32 v139, v118, v139
	s_waitcnt vmcnt(22)
	v_mul_f32_e32 v165, v119, v140
	v_mul_f32_e32 v140, v120, v140
	;; [unrolled: 6-line block ×3, first 2 shown]
	s_waitcnt vmcnt(13)
	v_fma_f32 v113, v113, v149, -v137
	v_fmac_f32_e32 v112, v114, v149
	s_waitcnt vmcnt(12)
	v_fma_f32 v114, v115, v150, -v138
	v_add_f32_e32 v113, 0, v113
	s_waitcnt vmcnt(11)
	v_fma_f32 v115, v117, v151, -v139
	v_add_f32_e32 v113, v113, v114
	v_fmac_f32_e32 v163, v116, v150
	s_waitcnt vmcnt(10)
	v_fma_f32 v116, v119, v152, -v140
	v_add_f32_e32 v113, v113, v115
	s_waitcnt vmcnt(9)
	v_fma_f32 v117, v121, v153, -v141
	v_add_f32_e32 v113, v113, v116
	s_waitcnt lgkmcnt(2)
	v_mul_f32_e32 v168, v125, v143
	v_mul_f32_e32 v143, v126, v143
	v_fmac_f32_e32 v164, v118, v151
	s_waitcnt vmcnt(8)
	v_fma_f32 v118, v123, v154, -v142
	v_add_f32_e32 v112, 0, v112
	v_add_f32_e32 v113, v113, v117
	v_mul_f32_e32 v169, v127, v144
	v_mul_f32_e32 v144, v128, v144
	s_waitcnt vmcnt(7)
	v_fma_f32 v119, v125, v155, -v143
	v_add_f32_e32 v112, v112, v163
	v_add_f32_e32 v113, v113, v118
	v_fmac_f32_e32 v165, v120, v152
	s_waitcnt vmcnt(6)
	v_fma_f32 v120, v127, v156, -v144
	v_add_f32_e32 v112, v112, v164
	v_add_f32_e32 v113, v113, v119
	s_waitcnt lgkmcnt(1)
	v_mul_f32_e32 v114, v130, v145
	v_fmac_f32_e32 v166, v122, v153
	v_add_f32_e32 v112, v112, v165
	v_add_f32_e32 v113, v113, v120
	s_waitcnt vmcnt(5)
	v_fma_f32 v114, v129, v157, -v114
	v_fmac_f32_e32 v167, v124, v154
	v_add_f32_e32 v112, v112, v166
	v_add_f32_e32 v113, v113, v114
	v_mul_f32_e32 v114, v132, v146
	v_fmac_f32_e32 v168, v126, v155
	v_add_f32_e32 v112, v112, v167
	s_waitcnt vmcnt(4)
	v_fma_f32 v114, v131, v158, -v114
	v_mul_f32_e32 v170, v129, v145
	v_fmac_f32_e32 v169, v128, v156
	v_add_f32_e32 v112, v112, v168
	v_add_f32_e32 v113, v113, v114
	s_waitcnt lgkmcnt(0)
	v_mul_f32_e32 v114, v134, v147
	v_mul_f32_e32 v171, v131, v146
	v_fmac_f32_e32 v170, v130, v157
	v_add_f32_e32 v112, v112, v169
	s_waitcnt vmcnt(3)
	v_fma_f32 v114, v133, v159, -v114
	v_mul_f32_e32 v172, v133, v147
	v_fmac_f32_e32 v171, v132, v158
	v_add_f32_e32 v112, v112, v170
	v_add_f32_e32 v113, v113, v114
	v_mul_f32_e32 v114, v136, v148
	v_mul_f32_e32 v173, v135, v148
	v_fmac_f32_e32 v172, v134, v159
	v_add_f32_e32 v112, v112, v171
	s_waitcnt vmcnt(2)
	v_fma_f32 v114, v135, v160, -v114
	v_fmac_f32_e32 v173, v136, v160
	v_add_f32_e32 v112, v112, v172
	v_add_f32_e32 v113, v113, v114
	;; [unrolled: 1-line block ×3, first 2 shown]
	s_waitcnt vmcnt(1)
	v_sub_f32_e32 v113, v161, v113
	s_waitcnt vmcnt(0)
	v_sub_f32_e32 v112, v162, v112
	buffer_store_dword v113, off, s[0:3], 0 offset:336
	buffer_store_dword v112, off, s[0:3], 0 offset:340
	s_and_saveexec_b64 s[4:5], vcc
	s_cbranch_execz .LBB54_261
; %bb.260:
	buffer_load_dword v112, off, s[0:3], 0 offset:328
	buffer_load_dword v113, off, s[0:3], 0 offset:332
	v_mov_b32_e32 v114, 0
	buffer_store_dword v114, off, s[0:3], 0 offset:328
	buffer_store_dword v114, off, s[0:3], 0 offset:332
	s_waitcnt vmcnt(2)
	ds_write_b64 v111, v[112:113]
.LBB54_261:
	s_or_b64 exec, exec, s[4:5]
	s_waitcnt lgkmcnt(0)
	; wave barrier
	buffer_load_dword v139, off, s[0:3], 0 offset:340
	buffer_load_dword v140, off, s[0:3], 0 offset:348
	buffer_load_dword v141, off, s[0:3], 0 offset:356
	buffer_load_dword v142, off, s[0:3], 0 offset:364
	buffer_load_dword v143, off, s[0:3], 0 offset:372
	buffer_load_dword v144, off, s[0:3], 0 offset:380
	buffer_load_dword v145, off, s[0:3], 0 offset:388
	buffer_load_dword v146, off, s[0:3], 0 offset:396
	buffer_load_dword v147, off, s[0:3], 0 offset:404
	buffer_load_dword v148, off, s[0:3], 0 offset:412
	buffer_load_dword v149, off, s[0:3], 0 offset:420
	buffer_load_dword v150, off, s[0:3], 0 offset:428
	buffer_load_dword v151, off, s[0:3], 0 offset:436
	buffer_load_dword v152, off, s[0:3], 0 offset:336
	buffer_load_dword v153, off, s[0:3], 0 offset:344
	buffer_load_dword v154, off, s[0:3], 0 offset:352
	buffer_load_dword v155, off, s[0:3], 0 offset:360
	buffer_load_dword v156, off, s[0:3], 0 offset:368
	buffer_load_dword v157, off, s[0:3], 0 offset:376
	buffer_load_dword v158, off, s[0:3], 0 offset:384
	buffer_load_dword v159, off, s[0:3], 0 offset:392
	buffer_load_dword v160, off, s[0:3], 0 offset:400
	buffer_load_dword v161, off, s[0:3], 0 offset:408
	buffer_load_dword v162, off, s[0:3], 0 offset:416
	buffer_load_dword v163, off, s[0:3], 0 offset:424
	buffer_load_dword v164, off, s[0:3], 0 offset:432
	buffer_load_dword v165, off, s[0:3], 0 offset:328
	buffer_load_dword v166, off, s[0:3], 0 offset:332
	v_mov_b32_e32 v112, 0
	ds_read_b128 v[113:116], v112 offset:784
	ds_read_b128 v[117:120], v112 offset:800
	;; [unrolled: 1-line block ×6, first 2 shown]
	ds_read_b64 v[137:138], v112 offset:880
	v_cmp_lt_u32_e32 vcc, 40, v0
	s_waitcnt vmcnt(27) lgkmcnt(6)
	v_mul_f32_e32 v167, v113, v139
	v_mul_f32_e32 v139, v114, v139
	s_waitcnt vmcnt(26)
	v_mul_f32_e32 v168, v115, v140
	v_mul_f32_e32 v140, v116, v140
	s_waitcnt vmcnt(25) lgkmcnt(5)
	v_mul_f32_e32 v169, v117, v141
	v_mul_f32_e32 v141, v118, v141
	s_waitcnt vmcnt(24)
	v_mul_f32_e32 v170, v119, v142
	v_mul_f32_e32 v142, v120, v142
	;; [unrolled: 6-line block ×3, first 2 shown]
	s_waitcnt vmcnt(21) lgkmcnt(3)
	v_mul_f32_e32 v173, v125, v145
	s_waitcnt vmcnt(14)
	v_fma_f32 v113, v113, v152, -v139
	v_fmac_f32_e32 v167, v114, v152
	s_waitcnt vmcnt(13)
	v_fma_f32 v114, v115, v153, -v140
	v_add_f32_e32 v113, 0, v113
	s_waitcnt vmcnt(12)
	v_fma_f32 v115, v117, v154, -v141
	v_add_f32_e32 v113, v113, v114
	v_fmac_f32_e32 v168, v116, v153
	s_waitcnt vmcnt(11)
	v_fma_f32 v116, v119, v155, -v142
	v_add_f32_e32 v113, v113, v115
	s_waitcnt vmcnt(10)
	v_fma_f32 v117, v121, v156, -v143
	v_add_f32_e32 v113, v113, v116
	v_fmac_f32_e32 v169, v118, v154
	s_waitcnt vmcnt(9)
	v_fma_f32 v118, v123, v157, -v144
	v_add_f32_e32 v113, v113, v117
	v_mul_f32_e32 v115, v126, v145
	v_add_f32_e32 v113, v113, v118
	s_waitcnt vmcnt(8)
	v_fma_f32 v115, v125, v158, -v115
	v_add_f32_e32 v113, v113, v115
	v_mul_f32_e32 v115, v128, v146
	v_add_f32_e32 v119, 0, v167
	s_waitcnt vmcnt(7)
	v_fma_f32 v115, v127, v159, -v115
	v_add_f32_e32 v119, v119, v168
	v_add_f32_e32 v113, v113, v115
	s_waitcnt lgkmcnt(2)
	v_mul_f32_e32 v115, v130, v147
	v_fmac_f32_e32 v170, v120, v155
	v_add_f32_e32 v114, v119, v169
	s_waitcnt vmcnt(6)
	v_fma_f32 v115, v129, v160, -v115
	v_fmac_f32_e32 v171, v122, v156
	v_add_f32_e32 v114, v114, v170
	v_add_f32_e32 v113, v113, v115
	v_mul_f32_e32 v115, v132, v148
	v_fmac_f32_e32 v172, v124, v157
	v_add_f32_e32 v114, v114, v171
	s_waitcnt vmcnt(5)
	v_fma_f32 v115, v131, v161, -v115
	v_mul_f32_e32 v174, v127, v146
	v_fmac_f32_e32 v173, v126, v158
	v_add_f32_e32 v114, v114, v172
	v_add_f32_e32 v113, v113, v115
	s_waitcnt lgkmcnt(1)
	v_mul_f32_e32 v115, v134, v149
	v_mul_f32_e32 v175, v129, v147
	v_fmac_f32_e32 v174, v128, v159
	v_add_f32_e32 v114, v114, v173
	s_waitcnt vmcnt(4)
	v_fma_f32 v115, v133, v162, -v115
	v_mul_f32_e32 v176, v131, v148
	v_fmac_f32_e32 v175, v130, v160
	v_add_f32_e32 v114, v114, v174
	v_add_f32_e32 v113, v113, v115
	v_mul_f32_e32 v115, v136, v150
	v_mul_f32_e32 v177, v133, v149
	v_fmac_f32_e32 v176, v132, v161
	v_add_f32_e32 v114, v114, v175
	s_waitcnt vmcnt(3)
	v_fma_f32 v115, v135, v163, -v115
	v_mul_f32_e32 v178, v135, v150
	v_fmac_f32_e32 v177, v134, v162
	v_add_f32_e32 v114, v114, v176
	v_add_f32_e32 v113, v113, v115
	s_waitcnt lgkmcnt(0)
	v_mul_f32_e32 v115, v138, v151
	v_mul_f32_e32 v179, v137, v151
	v_fmac_f32_e32 v178, v136, v163
	v_add_f32_e32 v114, v114, v177
	s_waitcnt vmcnt(2)
	v_fma_f32 v115, v137, v164, -v115
	v_fmac_f32_e32 v179, v138, v164
	v_add_f32_e32 v114, v114, v178
	v_add_f32_e32 v113, v113, v115
	;; [unrolled: 1-line block ×3, first 2 shown]
	s_waitcnt vmcnt(1)
	v_sub_f32_e32 v113, v165, v113
	s_waitcnt vmcnt(0)
	v_sub_f32_e32 v114, v166, v114
	buffer_store_dword v113, off, s[0:3], 0 offset:328
	buffer_store_dword v114, off, s[0:3], 0 offset:332
	s_and_saveexec_b64 s[4:5], vcc
	s_cbranch_execz .LBB54_263
; %bb.262:
	buffer_load_dword v113, off, s[0:3], 0 offset:320
	buffer_load_dword v114, off, s[0:3], 0 offset:324
	s_waitcnt vmcnt(0)
	ds_write_b64 v111, v[113:114]
	buffer_store_dword v112, off, s[0:3], 0 offset:320
	buffer_store_dword v112, off, s[0:3], 0 offset:324
.LBB54_263:
	s_or_b64 exec, exec, s[4:5]
	s_waitcnt lgkmcnt(0)
	; wave barrier
	buffer_load_dword v141, off, s[0:3], 0 offset:332
	buffer_load_dword v142, off, s[0:3], 0 offset:340
	;; [unrolled: 1-line block ×30, first 2 shown]
	ds_read2_b64 v[113:116], v112 offset0:97 offset1:98
	ds_read2_b64 v[117:120], v112 offset0:99 offset1:100
	ds_read2_b64 v[121:124], v112 offset0:101 offset1:102
	ds_read2_b64 v[125:128], v112 offset0:103 offset1:104
	ds_read2_b64 v[129:132], v112 offset0:105 offset1:106
	ds_read2_b64 v[133:136], v112 offset0:107 offset1:108
	ds_read2_b64 v[137:140], v112 offset0:109 offset1:110
	v_cmp_lt_u32_e32 vcc, 39, v0
	s_waitcnt vmcnt(29) lgkmcnt(6)
	v_mul_f32_e32 v112, v113, v141
	v_mul_f32_e32 v141, v114, v141
	s_waitcnt vmcnt(28)
	v_mul_f32_e32 v171, v115, v142
	v_mul_f32_e32 v142, v116, v142
	s_waitcnt vmcnt(27) lgkmcnt(5)
	v_mul_f32_e32 v172, v117, v143
	v_mul_f32_e32 v143, v118, v143
	s_waitcnt vmcnt(26)
	v_mul_f32_e32 v173, v119, v144
	v_mul_f32_e32 v144, v120, v144
	s_waitcnt vmcnt(25) lgkmcnt(4)
	v_mul_f32_e32 v174, v121, v145
	v_mul_f32_e32 v145, v122, v145
	s_waitcnt vmcnt(24)
	v_mul_f32_e32 v175, v123, v146
	s_waitcnt vmcnt(23) lgkmcnt(3)
	v_mul_f32_e32 v176, v125, v147
	s_waitcnt vmcnt(22)
	v_mul_f32_e32 v177, v127, v148
	s_waitcnt vmcnt(21) lgkmcnt(2)
	v_mul_f32_e32 v178, v129, v149
	s_waitcnt vmcnt(15)
	v_fma_f32 v113, v113, v155, -v141
	v_fmac_f32_e32 v112, v114, v155
	s_waitcnt vmcnt(14)
	v_fma_f32 v114, v115, v156, -v142
	v_add_f32_e32 v113, 0, v113
	s_waitcnt vmcnt(13)
	v_fma_f32 v115, v117, v157, -v143
	v_add_f32_e32 v113, v113, v114
	v_fmac_f32_e32 v171, v116, v156
	s_waitcnt vmcnt(12)
	v_fma_f32 v116, v119, v158, -v144
	v_add_f32_e32 v113, v113, v115
	s_waitcnt vmcnt(11)
	v_fma_f32 v117, v121, v159, -v145
	v_add_f32_e32 v113, v113, v116
	v_mul_f32_e32 v114, v124, v146
	v_add_f32_e32 v113, v113, v117
	s_waitcnt vmcnt(10)
	v_fma_f32 v114, v123, v160, -v114
	v_add_f32_e32 v113, v113, v114
	v_mul_f32_e32 v114, v126, v147
	s_waitcnt vmcnt(9)
	v_fma_f32 v114, v125, v161, -v114
	v_add_f32_e32 v113, v113, v114
	v_mul_f32_e32 v114, v128, v148
	s_waitcnt vmcnt(8)
	v_fma_f32 v114, v127, v162, -v114
	v_add_f32_e32 v112, 0, v112
	v_add_f32_e32 v113, v113, v114
	v_mul_f32_e32 v114, v130, v149
	v_fmac_f32_e32 v172, v118, v157
	v_add_f32_e32 v112, v112, v171
	s_waitcnt vmcnt(7)
	v_fma_f32 v114, v129, v163, -v114
	v_fmac_f32_e32 v173, v120, v158
	v_add_f32_e32 v112, v112, v172
	v_add_f32_e32 v113, v113, v114
	v_mul_f32_e32 v114, v132, v150
	v_fmac_f32_e32 v174, v122, v159
	v_add_f32_e32 v112, v112, v173
	s_waitcnt vmcnt(6)
	v_fma_f32 v114, v131, v164, -v114
	v_fmac_f32_e32 v175, v124, v160
	v_add_f32_e32 v112, v112, v174
	v_add_f32_e32 v113, v113, v114
	s_waitcnt lgkmcnt(1)
	v_mul_f32_e32 v114, v134, v151
	v_fmac_f32_e32 v176, v126, v161
	v_add_f32_e32 v112, v112, v175
	s_waitcnt vmcnt(5)
	v_fma_f32 v114, v133, v165, -v114
	v_fmac_f32_e32 v177, v128, v162
	v_add_f32_e32 v112, v112, v176
	v_add_f32_e32 v113, v113, v114
	v_mul_f32_e32 v114, v136, v152
	v_mul_f32_e32 v179, v131, v150
	v_fmac_f32_e32 v178, v130, v163
	v_add_f32_e32 v112, v112, v177
	s_waitcnt vmcnt(4)
	v_fma_f32 v114, v135, v166, -v114
	v_mul_f32_e32 v180, v133, v151
	v_fmac_f32_e32 v179, v132, v164
	v_add_f32_e32 v112, v112, v178
	v_add_f32_e32 v113, v113, v114
	s_waitcnt lgkmcnt(0)
	v_mul_f32_e32 v114, v138, v153
	v_mul_f32_e32 v181, v135, v152
	v_fmac_f32_e32 v180, v134, v165
	v_add_f32_e32 v112, v112, v179
	s_waitcnt vmcnt(3)
	v_fma_f32 v114, v137, v167, -v114
	v_mul_f32_e32 v182, v137, v153
	v_fmac_f32_e32 v181, v136, v166
	v_add_f32_e32 v112, v112, v180
	v_add_f32_e32 v113, v113, v114
	v_mul_f32_e32 v114, v140, v154
	v_mul_f32_e32 v183, v139, v154
	v_fmac_f32_e32 v182, v138, v167
	v_add_f32_e32 v112, v112, v181
	s_waitcnt vmcnt(2)
	v_fma_f32 v114, v139, v168, -v114
	v_fmac_f32_e32 v183, v140, v168
	v_add_f32_e32 v112, v112, v182
	v_add_f32_e32 v113, v113, v114
	;; [unrolled: 1-line block ×3, first 2 shown]
	s_waitcnt vmcnt(1)
	v_sub_f32_e32 v113, v169, v113
	s_waitcnt vmcnt(0)
	v_sub_f32_e32 v112, v170, v112
	buffer_store_dword v113, off, s[0:3], 0 offset:320
	buffer_store_dword v112, off, s[0:3], 0 offset:324
	s_and_saveexec_b64 s[4:5], vcc
	s_cbranch_execz .LBB54_265
; %bb.264:
	buffer_load_dword v112, off, s[0:3], 0 offset:312
	buffer_load_dword v113, off, s[0:3], 0 offset:316
	v_mov_b32_e32 v114, 0
	buffer_store_dword v114, off, s[0:3], 0 offset:312
	buffer_store_dword v114, off, s[0:3], 0 offset:316
	s_waitcnt vmcnt(2)
	ds_write_b64 v111, v[112:113]
.LBB54_265:
	s_or_b64 exec, exec, s[4:5]
	s_waitcnt lgkmcnt(0)
	; wave barrier
	buffer_load_dword v143, off, s[0:3], 0 offset:324
	buffer_load_dword v144, off, s[0:3], 0 offset:332
	;; [unrolled: 1-line block ×32, first 2 shown]
	v_mov_b32_e32 v112, 0
	ds_read_b128 v[113:116], v112 offset:768
	ds_read_b128 v[117:120], v112 offset:784
	;; [unrolled: 1-line block ×7, first 2 shown]
	ds_read_b64 v[141:142], v112 offset:880
	v_cmp_lt_u32_e32 vcc, 38, v0
	s_waitcnt vmcnt(31) lgkmcnt(7)
	v_mul_f32_e32 v175, v113, v143
	v_mul_f32_e32 v143, v114, v143
	s_waitcnt vmcnt(30)
	v_mul_f32_e32 v176, v115, v144
	v_mul_f32_e32 v144, v116, v144
	s_waitcnt vmcnt(29) lgkmcnt(6)
	v_mul_f32_e32 v177, v117, v145
	v_mul_f32_e32 v145, v118, v145
	s_waitcnt vmcnt(28)
	v_mul_f32_e32 v178, v119, v146
	s_waitcnt vmcnt(27) lgkmcnt(5)
	v_mul_f32_e32 v179, v121, v147
	s_waitcnt vmcnt(26)
	v_mul_f32_e32 v180, v123, v148
	s_waitcnt vmcnt(25) lgkmcnt(4)
	;; [unrolled: 4-line block ×4, first 2 shown]
	v_mul_f32_e32 v185, v133, v153
	s_waitcnt vmcnt(20)
	v_mul_f32_e32 v186, v135, v154
	s_waitcnt vmcnt(16)
	v_fma_f32 v113, v113, v158, -v143
	v_fmac_f32_e32 v175, v114, v158
	s_waitcnt vmcnt(15)
	v_fma_f32 v114, v115, v159, -v144
	v_add_f32_e32 v113, 0, v113
	s_waitcnt vmcnt(14)
	v_fma_f32 v115, v117, v160, -v145
	v_add_f32_e32 v113, v113, v114
	v_add_f32_e32 v113, v113, v115
	v_mul_f32_e32 v115, v120, v146
	s_waitcnt vmcnt(13)
	v_fma_f32 v115, v119, v161, -v115
	v_add_f32_e32 v113, v113, v115
	v_mul_f32_e32 v115, v122, v147
	s_waitcnt vmcnt(12)
	v_fma_f32 v115, v121, v162, -v115
	;; [unrolled: 4-line block ×5, first 2 shown]
	v_add_f32_e32 v113, v113, v115
	v_mul_f32_e32 v115, v130, v151
	v_fmac_f32_e32 v176, v116, v159
	v_add_f32_e32 v116, 0, v175
	s_waitcnt vmcnt(8)
	v_fma_f32 v115, v129, v166, -v115
	v_fmac_f32_e32 v177, v118, v160
	v_add_f32_e32 v116, v116, v176
	v_add_f32_e32 v113, v113, v115
	v_mul_f32_e32 v115, v132, v152
	v_fmac_f32_e32 v178, v120, v161
	v_add_f32_e32 v114, v116, v177
	s_waitcnt vmcnt(7)
	v_fma_f32 v115, v131, v167, -v115
	v_fmac_f32_e32 v179, v122, v162
	v_add_f32_e32 v114, v114, v178
	;; [unrolled: 8-line block ×4, first 2 shown]
	v_add_f32_e32 v113, v113, v115
	s_waitcnt lgkmcnt(1)
	v_mul_f32_e32 v115, v138, v155
	v_fmac_f32_e32 v184, v132, v167
	v_add_f32_e32 v114, v114, v183
	s_waitcnt vmcnt(4)
	v_fma_f32 v115, v137, v170, -v115
	v_fmac_f32_e32 v185, v134, v168
	v_add_f32_e32 v114, v114, v184
	v_add_f32_e32 v113, v113, v115
	v_mul_f32_e32 v115, v140, v156
	v_mul_f32_e32 v187, v137, v155
	v_fmac_f32_e32 v186, v136, v169
	v_add_f32_e32 v114, v114, v185
	s_waitcnt vmcnt(3)
	v_fma_f32 v115, v139, v171, -v115
	v_mul_f32_e32 v188, v139, v156
	v_fmac_f32_e32 v187, v138, v170
	v_add_f32_e32 v114, v114, v186
	v_add_f32_e32 v113, v113, v115
	s_waitcnt lgkmcnt(0)
	v_mul_f32_e32 v115, v142, v157
	v_mul_f32_e32 v189, v141, v157
	v_fmac_f32_e32 v188, v140, v171
	v_add_f32_e32 v114, v114, v187
	s_waitcnt vmcnt(2)
	v_fma_f32 v115, v141, v172, -v115
	v_fmac_f32_e32 v189, v142, v172
	v_add_f32_e32 v114, v114, v188
	v_add_f32_e32 v113, v113, v115
	;; [unrolled: 1-line block ×3, first 2 shown]
	s_waitcnt vmcnt(1)
	v_sub_f32_e32 v113, v173, v113
	s_waitcnt vmcnt(0)
	v_sub_f32_e32 v114, v174, v114
	buffer_store_dword v113, off, s[0:3], 0 offset:312
	buffer_store_dword v114, off, s[0:3], 0 offset:316
	s_and_saveexec_b64 s[4:5], vcc
	s_cbranch_execz .LBB54_267
; %bb.266:
	buffer_load_dword v113, off, s[0:3], 0 offset:304
	buffer_load_dword v114, off, s[0:3], 0 offset:308
	s_waitcnt vmcnt(0)
	ds_write_b64 v111, v[113:114]
	buffer_store_dword v112, off, s[0:3], 0 offset:304
	buffer_store_dword v112, off, s[0:3], 0 offset:308
.LBB54_267:
	s_or_b64 exec, exec, s[4:5]
	s_waitcnt lgkmcnt(0)
	; wave barrier
	buffer_load_dword v145, off, s[0:3], 0 offset:316
	buffer_load_dword v146, off, s[0:3], 0 offset:324
	buffer_load_dword v147, off, s[0:3], 0 offset:332
	buffer_load_dword v148, off, s[0:3], 0 offset:340
	buffer_load_dword v149, off, s[0:3], 0 offset:348
	buffer_load_dword v150, off, s[0:3], 0 offset:356
	buffer_load_dword v151, off, s[0:3], 0 offset:364
	buffer_load_dword v152, off, s[0:3], 0 offset:372
	buffer_load_dword v153, off, s[0:3], 0 offset:380
	buffer_load_dword v154, off, s[0:3], 0 offset:388
	buffer_load_dword v155, off, s[0:3], 0 offset:396
	buffer_load_dword v156, off, s[0:3], 0 offset:404
	buffer_load_dword v157, off, s[0:3], 0 offset:412
	buffer_load_dword v158, off, s[0:3], 0 offset:420
	buffer_load_dword v159, off, s[0:3], 0 offset:428
	buffer_load_dword v160, off, s[0:3], 0 offset:436
	buffer_load_dword v161, off, s[0:3], 0 offset:312
	buffer_load_dword v162, off, s[0:3], 0 offset:320
	buffer_load_dword v163, off, s[0:3], 0 offset:328
	buffer_load_dword v164, off, s[0:3], 0 offset:336
	buffer_load_dword v165, off, s[0:3], 0 offset:344
	buffer_load_dword v166, off, s[0:3], 0 offset:352
	buffer_load_dword v167, off, s[0:3], 0 offset:360
	buffer_load_dword v168, off, s[0:3], 0 offset:368
	buffer_load_dword v169, off, s[0:3], 0 offset:376
	buffer_load_dword v170, off, s[0:3], 0 offset:384
	buffer_load_dword v171, off, s[0:3], 0 offset:392
	buffer_load_dword v172, off, s[0:3], 0 offset:400
	buffer_load_dword v173, off, s[0:3], 0 offset:408
	buffer_load_dword v174, off, s[0:3], 0 offset:416
	buffer_load_dword v175, off, s[0:3], 0 offset:424
	buffer_load_dword v176, off, s[0:3], 0 offset:432
	buffer_load_dword v177, off, s[0:3], 0 offset:304
	buffer_load_dword v178, off, s[0:3], 0 offset:308
	ds_read2_b64 v[113:116], v112 offset0:95 offset1:96
	ds_read2_b64 v[117:120], v112 offset0:97 offset1:98
	;; [unrolled: 1-line block ×8, first 2 shown]
	v_cmp_lt_u32_e32 vcc, 37, v0
	s_waitcnt vmcnt(33) lgkmcnt(7)
	v_mul_f32_e32 v112, v113, v145
	v_mul_f32_e32 v145, v114, v145
	s_waitcnt vmcnt(32)
	v_mul_f32_e32 v179, v115, v146
	v_mul_f32_e32 v146, v116, v146
	s_waitcnt vmcnt(31) lgkmcnt(6)
	v_mul_f32_e32 v180, v117, v147
	s_waitcnt vmcnt(30)
	v_mul_f32_e32 v181, v119, v148
	s_waitcnt vmcnt(29) lgkmcnt(5)
	v_mul_f32_e32 v182, v121, v149
	s_waitcnt vmcnt(28)
	;; [unrolled: 4-line block ×6, first 2 shown]
	v_mul_f32_e32 v191, v139, v158
	s_waitcnt vmcnt(17)
	v_fma_f32 v113, v113, v161, -v145
	v_fmac_f32_e32 v112, v114, v161
	s_waitcnt vmcnt(16)
	v_fma_f32 v114, v115, v162, -v146
	v_add_f32_e32 v113, 0, v113
	v_add_f32_e32 v113, v113, v114
	v_mul_f32_e32 v114, v118, v147
	s_waitcnt vmcnt(15)
	v_fma_f32 v114, v117, v163, -v114
	v_add_f32_e32 v113, v113, v114
	v_mul_f32_e32 v114, v120, v148
	s_waitcnt vmcnt(14)
	v_fma_f32 v114, v119, v164, -v114
	;; [unrolled: 4-line block ×7, first 2 shown]
	v_fmac_f32_e32 v179, v116, v162
	v_add_f32_e32 v112, 0, v112
	v_add_f32_e32 v113, v113, v114
	v_mul_f32_e32 v114, v132, v154
	v_fmac_f32_e32 v180, v118, v163
	v_add_f32_e32 v112, v112, v179
	s_waitcnt vmcnt(8)
	v_fma_f32 v114, v131, v170, -v114
	v_fmac_f32_e32 v181, v120, v164
	v_add_f32_e32 v112, v112, v180
	v_add_f32_e32 v113, v113, v114
	v_mul_f32_e32 v114, v134, v155
	v_fmac_f32_e32 v182, v122, v165
	v_add_f32_e32 v112, v112, v181
	s_waitcnt vmcnt(7)
	v_fma_f32 v114, v133, v171, -v114
	;; [unrolled: 8-line block ×5, first 2 shown]
	v_fmac_f32_e32 v189, v136, v172
	v_add_f32_e32 v112, v112, v188
	v_add_f32_e32 v113, v113, v114
	s_waitcnt lgkmcnt(0)
	v_mul_f32_e32 v114, v142, v159
	v_fmac_f32_e32 v190, v138, v173
	v_add_f32_e32 v112, v112, v189
	s_waitcnt vmcnt(3)
	v_fma_f32 v114, v141, v175, -v114
	v_mul_f32_e32 v192, v141, v159
	v_fmac_f32_e32 v191, v140, v174
	v_add_f32_e32 v112, v112, v190
	v_add_f32_e32 v113, v113, v114
	v_mul_f32_e32 v114, v144, v160
	v_mul_f32_e32 v193, v143, v160
	v_fmac_f32_e32 v192, v142, v175
	v_add_f32_e32 v112, v112, v191
	s_waitcnt vmcnt(2)
	v_fma_f32 v114, v143, v176, -v114
	v_fmac_f32_e32 v193, v144, v176
	v_add_f32_e32 v112, v112, v192
	v_add_f32_e32 v113, v113, v114
	;; [unrolled: 1-line block ×3, first 2 shown]
	s_waitcnt vmcnt(1)
	v_sub_f32_e32 v113, v177, v113
	s_waitcnt vmcnt(0)
	v_sub_f32_e32 v112, v178, v112
	buffer_store_dword v113, off, s[0:3], 0 offset:304
	buffer_store_dword v112, off, s[0:3], 0 offset:308
	s_and_saveexec_b64 s[4:5], vcc
	s_cbranch_execz .LBB54_269
; %bb.268:
	buffer_load_dword v112, off, s[0:3], 0 offset:296
	buffer_load_dword v113, off, s[0:3], 0 offset:300
	v_mov_b32_e32 v114, 0
	buffer_store_dword v114, off, s[0:3], 0 offset:296
	buffer_store_dword v114, off, s[0:3], 0 offset:300
	s_waitcnt vmcnt(2)
	ds_write_b64 v111, v[112:113]
.LBB54_269:
	s_or_b64 exec, exec, s[4:5]
	s_waitcnt lgkmcnt(0)
	; wave barrier
	buffer_load_dword v147, off, s[0:3], 0 offset:308
	buffer_load_dword v148, off, s[0:3], 0 offset:316
	;; [unrolled: 1-line block ×36, first 2 shown]
	v_mov_b32_e32 v112, 0
	ds_read_b128 v[113:116], v112 offset:752
	ds_read_b128 v[117:120], v112 offset:768
	;; [unrolled: 1-line block ×8, first 2 shown]
	ds_read_b64 v[145:146], v112 offset:880
	v_cmp_lt_u32_e32 vcc, 36, v0
	s_waitcnt vmcnt(35) lgkmcnt(8)
	v_mul_f32_e32 v183, v113, v147
	s_waitcnt vmcnt(34)
	v_mul_f32_e32 v184, v115, v148
	s_waitcnt vmcnt(33) lgkmcnt(7)
	v_mul_f32_e32 v185, v117, v149
	s_waitcnt vmcnt(32)
	v_mul_f32_e32 v186, v119, v150
	;; [unrolled: 4-line block ×8, first 2 shown]
	s_waitcnt vmcnt(19) lgkmcnt(0)
	v_mul_f32_e32 v199, v145, v163
	s_waitcnt vmcnt(18)
	v_fmac_f32_e32 v183, v114, v164
	v_mul_f32_e32 v114, v114, v147
	v_fma_f32 v113, v113, v164, -v114
	v_mul_f32_e32 v114, v116, v148
	v_add_f32_e32 v113, 0, v113
	s_waitcnt vmcnt(17)
	v_fma_f32 v114, v115, v165, -v114
	v_add_f32_e32 v113, v113, v114
	v_mul_f32_e32 v114, v118, v149
	s_waitcnt vmcnt(16)
	v_fma_f32 v114, v117, v166, -v114
	v_add_f32_e32 v113, v113, v114
	v_mul_f32_e32 v114, v120, v150
	;; [unrolled: 4-line block ×8, first 2 shown]
	v_fmac_f32_e32 v184, v116, v165
	v_add_f32_e32 v183, 0, v183
	s_waitcnt vmcnt(9)
	v_fma_f32 v114, v131, v173, -v114
	v_fmac_f32_e32 v185, v118, v166
	v_add_f32_e32 v183, v183, v184
	v_add_f32_e32 v113, v113, v114
	v_mul_f32_e32 v114, v134, v157
	v_fmac_f32_e32 v186, v120, v167
	v_add_f32_e32 v183, v183, v185
	s_waitcnt vmcnt(8)
	v_fma_f32 v114, v133, v174, -v114
	v_fmac_f32_e32 v187, v122, v168
	v_add_f32_e32 v183, v183, v186
	v_add_f32_e32 v113, v113, v114
	v_mul_f32_e32 v114, v136, v158
	;; [unrolled: 8-line block ×7, first 2 shown]
	v_fmac_f32_e32 v198, v144, v179
	v_add_f32_e32 v183, v183, v197
	s_waitcnt vmcnt(2)
	v_fma_f32 v114, v145, v180, -v114
	v_fmac_f32_e32 v199, v146, v180
	v_add_f32_e32 v183, v183, v198
	v_add_f32_e32 v113, v113, v114
	;; [unrolled: 1-line block ×3, first 2 shown]
	s_waitcnt vmcnt(1)
	v_sub_f32_e32 v113, v181, v113
	s_waitcnt vmcnt(0)
	v_sub_f32_e32 v114, v182, v183
	buffer_store_dword v113, off, s[0:3], 0 offset:296
	buffer_store_dword v114, off, s[0:3], 0 offset:300
	s_and_saveexec_b64 s[4:5], vcc
	s_cbranch_execz .LBB54_271
; %bb.270:
	buffer_load_dword v113, off, s[0:3], 0 offset:288
	buffer_load_dword v114, off, s[0:3], 0 offset:292
	s_waitcnt vmcnt(0)
	ds_write_b64 v111, v[113:114]
	buffer_store_dword v112, off, s[0:3], 0 offset:288
	buffer_store_dword v112, off, s[0:3], 0 offset:292
.LBB54_271:
	s_or_b64 exec, exec, s[4:5]
	s_waitcnt lgkmcnt(0)
	; wave barrier
	buffer_load_dword v149, off, s[0:3], 0 offset:300
	buffer_load_dword v150, off, s[0:3], 0 offset:308
	;; [unrolled: 1-line block ×38, first 2 shown]
	ds_read2_b64 v[113:116], v112 offset0:93 offset1:94
	ds_read2_b64 v[117:120], v112 offset0:95 offset1:96
	;; [unrolled: 1-line block ×9, first 2 shown]
	v_cmp_lt_u32_e32 vcc, 35, v0
	s_waitcnt vmcnt(37) lgkmcnt(8)
	v_mul_f32_e32 v112, v113, v149
	s_waitcnt vmcnt(36)
	v_mul_f32_e32 v187, v115, v150
	s_waitcnt vmcnt(35) lgkmcnt(7)
	v_mul_f32_e32 v188, v117, v151
	s_waitcnt vmcnt(34)
	v_mul_f32_e32 v189, v119, v152
	;; [unrolled: 4-line block ×8, first 2 shown]
	s_waitcnt vmcnt(21) lgkmcnt(0)
	v_mul_f32_e32 v202, v145, v165
	s_waitcnt vmcnt(20)
	v_fmac_f32_e32 v112, v114, v166
	v_mul_f32_e32 v114, v114, v149
	v_fma_f32 v113, v113, v166, -v114
	v_mul_f32_e32 v114, v116, v150
	v_add_f32_e32 v113, 0, v113
	s_waitcnt vmcnt(19)
	v_fma_f32 v114, v115, v167, -v114
	v_add_f32_e32 v113, v113, v114
	v_mul_f32_e32 v114, v118, v151
	s_waitcnt vmcnt(18)
	v_fma_f32 v114, v117, v168, -v114
	v_add_f32_e32 v113, v113, v114
	v_mul_f32_e32 v114, v120, v152
	;; [unrolled: 4-line block ×8, first 2 shown]
	s_waitcnt vmcnt(11)
	v_fma_f32 v114, v131, v175, -v114
	v_fmac_f32_e32 v187, v116, v167
	v_add_f32_e32 v112, 0, v112
	v_add_f32_e32 v113, v113, v114
	v_mul_f32_e32 v114, v134, v159
	v_fmac_f32_e32 v188, v118, v168
	v_add_f32_e32 v112, v112, v187
	s_waitcnt vmcnt(10)
	v_fma_f32 v114, v133, v176, -v114
	v_fmac_f32_e32 v189, v120, v169
	v_add_f32_e32 v112, v112, v188
	v_add_f32_e32 v113, v113, v114
	v_mul_f32_e32 v114, v136, v160
	v_fmac_f32_e32 v190, v122, v170
	v_add_f32_e32 v112, v112, v189
	;; [unrolled: 8-line block ×7, first 2 shown]
	s_waitcnt vmcnt(4)
	v_fma_f32 v114, v145, v182, -v114
	v_fmac_f32_e32 v201, v144, v181
	v_add_f32_e32 v112, v112, v200
	v_add_f32_e32 v113, v113, v114
	s_waitcnt vmcnt(3)
	v_mul_f32_e32 v114, v148, v183
	v_add_f32_e32 v112, v112, v201
	v_fmac_f32_e32 v202, v146, v182
	v_mul_f32_e32 v187, v147, v183
	s_waitcnt vmcnt(2)
	v_fma_f32 v114, v147, v184, -v114
	v_add_f32_e32 v112, v112, v202
	v_fmac_f32_e32 v187, v148, v184
	v_add_f32_e32 v113, v113, v114
	v_add_f32_e32 v112, v112, v187
	s_waitcnt vmcnt(1)
	v_sub_f32_e32 v113, v185, v113
	s_waitcnt vmcnt(0)
	v_sub_f32_e32 v112, v186, v112
	buffer_store_dword v113, off, s[0:3], 0 offset:288
	buffer_store_dword v112, off, s[0:3], 0 offset:292
	s_and_saveexec_b64 s[4:5], vcc
	s_cbranch_execz .LBB54_273
; %bb.272:
	buffer_load_dword v112, off, s[0:3], 0 offset:280
	buffer_load_dword v113, off, s[0:3], 0 offset:284
	v_mov_b32_e32 v114, 0
	buffer_store_dword v114, off, s[0:3], 0 offset:280
	buffer_store_dword v114, off, s[0:3], 0 offset:284
	s_waitcnt vmcnt(2)
	ds_write_b64 v111, v[112:113]
.LBB54_273:
	s_or_b64 exec, exec, s[4:5]
	s_waitcnt lgkmcnt(0)
	; wave barrier
	buffer_load_dword v151, off, s[0:3], 0 offset:292
	buffer_load_dword v152, off, s[0:3], 0 offset:300
	;; [unrolled: 1-line block ×40, first 2 shown]
	v_mov_b32_e32 v112, 0
	ds_read_b128 v[113:116], v112 offset:736
	ds_read_b128 v[117:120], v112 offset:752
	;; [unrolled: 1-line block ×9, first 2 shown]
	v_cmp_lt_u32_e32 vcc, 34, v0
	s_waitcnt vmcnt(39) lgkmcnt(8)
	v_mul_f32_e32 v149, v113, v151
	s_waitcnt vmcnt(38)
	v_mul_f32_e32 v150, v115, v152
	s_waitcnt vmcnt(37) lgkmcnt(7)
	v_mul_f32_e32 v191, v117, v153
	s_waitcnt vmcnt(36)
	v_mul_f32_e32 v192, v119, v154
	;; [unrolled: 4-line block ×7, first 2 shown]
	s_waitcnt vmcnt(25) lgkmcnt(1)
	v_mul_f32_e32 v203, v141, v165
	s_waitcnt vmcnt(24)
	v_fmac_f32_e32 v149, v114, v166
	v_mul_f32_e32 v114, v114, v151
	v_fma_f32 v113, v113, v166, -v114
	v_mul_f32_e32 v114, v116, v152
	v_add_f32_e32 v113, 0, v113
	s_waitcnt vmcnt(23)
	v_fma_f32 v114, v115, v167, -v114
	v_add_f32_e32 v113, v113, v114
	v_mul_f32_e32 v114, v118, v153
	s_waitcnt vmcnt(22)
	v_fma_f32 v114, v117, v168, -v114
	v_add_f32_e32 v113, v113, v114
	v_mul_f32_e32 v114, v120, v154
	;; [unrolled: 4-line block ×6, first 2 shown]
	s_waitcnt vmcnt(17)
	v_fma_f32 v114, v127, v173, -v114
	v_fmac_f32_e32 v150, v116, v167
	v_add_f32_e32 v149, 0, v149
	v_add_f32_e32 v113, v113, v114
	v_mul_f32_e32 v114, v130, v159
	v_fmac_f32_e32 v191, v118, v168
	v_add_f32_e32 v149, v149, v150
	s_waitcnt vmcnt(16)
	v_fma_f32 v114, v129, v174, -v114
	v_fmac_f32_e32 v192, v120, v169
	v_add_f32_e32 v149, v149, v191
	v_add_f32_e32 v113, v113, v114
	v_mul_f32_e32 v114, v132, v160
	v_fmac_f32_e32 v193, v122, v170
	v_add_f32_e32 v149, v149, v192
	;; [unrolled: 8-line block ×6, first 2 shown]
	s_waitcnt vmcnt(11)
	v_fma_f32 v114, v139, v179, -v114
	v_fmac_f32_e32 v202, v140, v179
	v_add_f32_e32 v149, v149, v201
	v_add_f32_e32 v113, v113, v114
	v_mul_f32_e32 v114, v142, v165
	s_waitcnt vmcnt(10)
	v_fmac_f32_e32 v203, v142, v180
	v_add_f32_e32 v149, v149, v202
	s_waitcnt vmcnt(9)
	v_mul_f32_e32 v150, v143, v181
	v_fma_f32 v114, v141, v180, -v114
	v_add_f32_e32 v149, v149, v203
	s_waitcnt vmcnt(8)
	v_fmac_f32_e32 v150, v144, v182
	v_add_f32_e32 v113, v113, v114
	v_mul_f32_e32 v114, v144, v181
	v_add_f32_e32 v191, v149, v150
	ds_read_b64 v[149:150], v112 offset:880
	v_fma_f32 v114, v143, v182, -v114
	v_add_f32_e32 v113, v113, v114
	s_waitcnt vmcnt(7) lgkmcnt(1)
	v_mul_f32_e32 v114, v146, v183
	v_mul_f32_e32 v192, v145, v183
	s_waitcnt vmcnt(6)
	v_fma_f32 v114, v145, v184, -v114
	v_fmac_f32_e32 v192, v146, v184
	v_add_f32_e32 v113, v113, v114
	s_waitcnt vmcnt(5)
	v_mul_f32_e32 v114, v148, v185
	v_add_f32_e32 v191, v191, v192
	v_mul_f32_e32 v192, v147, v185
	s_waitcnt vmcnt(4)
	v_fma_f32 v114, v147, v186, -v114
	v_fmac_f32_e32 v192, v148, v186
	v_add_f32_e32 v113, v113, v114
	s_waitcnt vmcnt(3) lgkmcnt(0)
	v_mul_f32_e32 v114, v150, v187
	v_add_f32_e32 v191, v191, v192
	v_mul_f32_e32 v192, v149, v187
	s_waitcnt vmcnt(2)
	v_fma_f32 v114, v149, v188, -v114
	v_fmac_f32_e32 v192, v150, v188
	v_add_f32_e32 v113, v113, v114
	v_add_f32_e32 v191, v191, v192
	s_waitcnt vmcnt(1)
	v_sub_f32_e32 v113, v189, v113
	s_waitcnt vmcnt(0)
	v_sub_f32_e32 v114, v190, v191
	buffer_store_dword v113, off, s[0:3], 0 offset:280
	buffer_store_dword v114, off, s[0:3], 0 offset:284
	s_and_saveexec_b64 s[4:5], vcc
	s_cbranch_execz .LBB54_275
; %bb.274:
	buffer_load_dword v113, off, s[0:3], 0 offset:272
	buffer_load_dword v114, off, s[0:3], 0 offset:276
	s_waitcnt vmcnt(0)
	ds_write_b64 v111, v[113:114]
	buffer_store_dword v112, off, s[0:3], 0 offset:272
	buffer_store_dword v112, off, s[0:3], 0 offset:276
.LBB54_275:
	s_or_b64 exec, exec, s[4:5]
	s_waitcnt lgkmcnt(0)
	; wave barrier
	buffer_load_dword v153, off, s[0:3], 0 offset:284
	buffer_load_dword v154, off, s[0:3], 0 offset:292
	;; [unrolled: 1-line block ×42, first 2 shown]
	ds_read2_b64 v[113:116], v112 offset0:91 offset1:92
	ds_read2_b64 v[117:120], v112 offset0:93 offset1:94
	;; [unrolled: 1-line block ×8, first 2 shown]
	v_cmp_lt_u32_e32 vcc, 33, v0
	s_waitcnt vmcnt(41) lgkmcnt(7)
	v_mul_f32_e32 v145, v113, v153
	s_waitcnt vmcnt(40)
	v_mul_f32_e32 v146, v115, v154
	s_waitcnt vmcnt(39) lgkmcnt(6)
	v_mul_f32_e32 v147, v117, v155
	s_waitcnt vmcnt(38)
	v_mul_f32_e32 v148, v119, v156
	;; [unrolled: 4-line block ×7, first 2 shown]
	s_waitcnt vmcnt(27) lgkmcnt(0)
	v_mul_f32_e32 v201, v141, v167
	s_waitcnt vmcnt(26)
	v_fmac_f32_e32 v145, v114, v168
	v_mul_f32_e32 v114, v114, v153
	v_fma_f32 v113, v113, v168, -v114
	v_mul_f32_e32 v114, v116, v154
	v_add_f32_e32 v113, 0, v113
	s_waitcnt vmcnt(25)
	v_fma_f32 v114, v115, v169, -v114
	v_add_f32_e32 v113, v113, v114
	v_mul_f32_e32 v114, v118, v155
	s_waitcnt vmcnt(24)
	v_fma_f32 v114, v117, v170, -v114
	v_add_f32_e32 v113, v113, v114
	v_mul_f32_e32 v114, v120, v156
	;; [unrolled: 4-line block ×5, first 2 shown]
	v_fmac_f32_e32 v146, v116, v169
	v_add_f32_e32 v145, 0, v145
	s_waitcnt vmcnt(20)
	v_fma_f32 v114, v125, v174, -v114
	v_fmac_f32_e32 v147, v118, v170
	v_add_f32_e32 v145, v145, v146
	v_add_f32_e32 v113, v113, v114
	v_mul_f32_e32 v114, v128, v160
	v_fmac_f32_e32 v148, v120, v171
	v_add_f32_e32 v145, v145, v147
	s_waitcnt vmcnt(19)
	v_fma_f32 v114, v127, v175, -v114
	v_fmac_f32_e32 v149, v122, v172
	v_add_f32_e32 v145, v145, v148
	v_add_f32_e32 v113, v113, v114
	v_mul_f32_e32 v114, v130, v161
	;; [unrolled: 8-line block ×5, first 2 shown]
	s_waitcnt vmcnt(15)
	v_fmac_f32_e32 v198, v136, v179
	v_add_f32_e32 v145, v145, v197
	v_fma_f32 v114, v135, v179, -v114
	s_waitcnt vmcnt(14)
	v_fmac_f32_e32 v199, v138, v180
	v_add_f32_e32 v145, v145, v198
	v_add_f32_e32 v113, v113, v114
	v_mul_f32_e32 v114, v138, v165
	s_waitcnt vmcnt(13)
	v_fmac_f32_e32 v200, v140, v181
	v_add_f32_e32 v145, v145, v199
	v_fma_f32 v114, v137, v180, -v114
	s_waitcnt vmcnt(12)
	v_fmac_f32_e32 v201, v142, v182
	v_add_f32_e32 v145, v145, v200
	v_add_f32_e32 v113, v113, v114
	v_mul_f32_e32 v114, v140, v166
	v_add_f32_e32 v149, v145, v201
	ds_read2_b64 v[145:148], v112 offset0:107 offset1:108
	v_fma_f32 v114, v139, v181, -v114
	v_add_f32_e32 v113, v113, v114
	v_mul_f32_e32 v114, v142, v167
	s_waitcnt vmcnt(11)
	v_mul_f32_e32 v150, v143, v183
	v_fma_f32 v114, v141, v182, -v114
	s_waitcnt vmcnt(10)
	v_fmac_f32_e32 v150, v144, v184
	v_add_f32_e32 v113, v113, v114
	v_mul_f32_e32 v114, v144, v183
	v_add_f32_e32 v195, v149, v150
	ds_read2_b64 v[149:152], v112 offset0:109 offset1:110
	v_fma_f32 v114, v143, v184, -v114
	v_add_f32_e32 v113, v113, v114
	s_waitcnt vmcnt(9) lgkmcnt(1)
	v_mul_f32_e32 v114, v146, v185
	v_mul_f32_e32 v112, v145, v185
	s_waitcnt vmcnt(8)
	v_fma_f32 v114, v145, v186, -v114
	v_fmac_f32_e32 v112, v146, v186
	v_add_f32_e32 v113, v113, v114
	s_waitcnt vmcnt(7)
	v_mul_f32_e32 v114, v148, v187
	v_add_f32_e32 v112, v195, v112
	v_mul_f32_e32 v195, v147, v187
	s_waitcnt vmcnt(6)
	v_fma_f32 v114, v147, v188, -v114
	v_fmac_f32_e32 v195, v148, v188
	v_add_f32_e32 v113, v113, v114
	s_waitcnt vmcnt(5) lgkmcnt(0)
	v_mul_f32_e32 v114, v150, v189
	v_add_f32_e32 v112, v112, v195
	v_mul_f32_e32 v195, v149, v189
	s_waitcnt vmcnt(4)
	v_fma_f32 v114, v149, v190, -v114
	v_fmac_f32_e32 v195, v150, v190
	v_add_f32_e32 v113, v113, v114
	s_waitcnt vmcnt(3)
	v_mul_f32_e32 v114, v152, v191
	v_add_f32_e32 v112, v112, v195
	v_mul_f32_e32 v195, v151, v191
	s_waitcnt vmcnt(2)
	v_fma_f32 v114, v151, v192, -v114
	v_fmac_f32_e32 v195, v152, v192
	v_add_f32_e32 v113, v113, v114
	v_add_f32_e32 v112, v112, v195
	s_waitcnt vmcnt(1)
	v_sub_f32_e32 v113, v193, v113
	s_waitcnt vmcnt(0)
	v_sub_f32_e32 v112, v194, v112
	buffer_store_dword v113, off, s[0:3], 0 offset:272
	buffer_store_dword v112, off, s[0:3], 0 offset:276
	s_and_saveexec_b64 s[4:5], vcc
	s_cbranch_execz .LBB54_277
; %bb.276:
	buffer_load_dword v112, off, s[0:3], 0 offset:264
	buffer_load_dword v113, off, s[0:3], 0 offset:268
	v_mov_b32_e32 v114, 0
	buffer_store_dword v114, off, s[0:3], 0 offset:264
	buffer_store_dword v114, off, s[0:3], 0 offset:268
	s_waitcnt vmcnt(2)
	ds_write_b64 v111, v[112:113]
.LBB54_277:
	s_or_b64 exec, exec, s[4:5]
	s_waitcnt lgkmcnt(0)
	; wave barrier
	buffer_load_dword v155, off, s[0:3], 0 offset:276
	buffer_load_dword v156, off, s[0:3], 0 offset:284
	;; [unrolled: 1-line block ×44, first 2 shown]
	v_mov_b32_e32 v112, 0
	ds_read_b128 v[113:116], v112 offset:720
	ds_read_b128 v[117:120], v112 offset:736
	;; [unrolled: 1-line block ×8, first 2 shown]
	v_cmp_lt_u32_e32 vcc, 32, v0
	s_waitcnt vmcnt(43) lgkmcnt(7)
	v_mul_f32_e32 v145, v113, v155
	s_waitcnt vmcnt(42)
	v_mul_f32_e32 v146, v115, v156
	s_waitcnt vmcnt(41) lgkmcnt(6)
	v_mul_f32_e32 v147, v117, v157
	s_waitcnt vmcnt(40)
	v_mul_f32_e32 v148, v119, v158
	;; [unrolled: 4-line block ×7, first 2 shown]
	s_waitcnt vmcnt(29)
	v_fmac_f32_e32 v145, v114, v169
	v_mul_f32_e32 v114, v114, v155
	v_fma_f32 v113, v113, v169, -v114
	v_mul_f32_e32 v114, v116, v156
	v_add_f32_e32 v113, 0, v113
	s_waitcnt vmcnt(28)
	v_fma_f32 v114, v115, v170, -v114
	v_add_f32_e32 v113, v113, v114
	v_mul_f32_e32 v114, v118, v157
	s_waitcnt vmcnt(27)
	v_fma_f32 v114, v117, v171, -v114
	v_add_f32_e32 v113, v113, v114
	v_mul_f32_e32 v114, v120, v158
	;; [unrolled: 4-line block ×4, first 2 shown]
	s_waitcnt vmcnt(24)
	v_fma_f32 v114, v123, v174, -v114
	v_fmac_f32_e32 v146, v116, v170
	v_add_f32_e32 v145, 0, v145
	v_add_f32_e32 v113, v113, v114
	v_mul_f32_e32 v114, v126, v161
	v_fmac_f32_e32 v147, v118, v171
	v_add_f32_e32 v145, v145, v146
	s_waitcnt vmcnt(23)
	v_fma_f32 v114, v125, v175, -v114
	v_fmac_f32_e32 v148, v120, v172
	v_add_f32_e32 v145, v145, v147
	v_add_f32_e32 v113, v113, v114
	v_mul_f32_e32 v114, v128, v162
	v_fmac_f32_e32 v149, v122, v173
	v_add_f32_e32 v145, v145, v148
	;; [unrolled: 8-line block ×4, first 2 shown]
	s_waitcnt vmcnt(20)
	v_fma_f32 v114, v131, v178, -v114
	v_fmac_f32_e32 v154, v132, v178
	v_add_f32_e32 v145, v145, v153
	v_add_f32_e32 v113, v113, v114
	v_mul_f32_e32 v114, v134, v165
	s_waitcnt vmcnt(19)
	v_fmac_f32_e32 v199, v134, v179
	v_add_f32_e32 v145, v145, v154
	v_fma_f32 v114, v133, v179, -v114
	s_waitcnt vmcnt(18)
	v_fmac_f32_e32 v200, v136, v180
	v_add_f32_e32 v145, v145, v199
	v_add_f32_e32 v113, v113, v114
	v_mul_f32_e32 v114, v136, v166
	s_waitcnt vmcnt(17)
	v_fmac_f32_e32 v201, v138, v181
	v_add_f32_e32 v145, v145, v200
	v_fma_f32 v114, v135, v180, -v114
	v_add_f32_e32 v145, v145, v201
	s_waitcnt vmcnt(16)
	v_fmac_f32_e32 v202, v140, v182
	s_waitcnt vmcnt(15) lgkmcnt(0)
	v_mul_f32_e32 v146, v141, v183
	v_add_f32_e32 v113, v113, v114
	v_mul_f32_e32 v114, v138, v167
	v_add_f32_e32 v145, v145, v202
	s_waitcnt vmcnt(14)
	v_fmac_f32_e32 v146, v142, v184
	v_fma_f32 v114, v137, v181, -v114
	v_add_f32_e32 v149, v145, v146
	ds_read_b128 v[145:148], v112 offset:848
	v_add_f32_e32 v113, v113, v114
	v_mul_f32_e32 v114, v140, v168
	v_fma_f32 v114, v139, v182, -v114
	v_add_f32_e32 v113, v113, v114
	v_mul_f32_e32 v114, v142, v183
	s_waitcnt vmcnt(13)
	v_mul_f32_e32 v150, v143, v185
	v_fma_f32 v114, v141, v184, -v114
	s_waitcnt vmcnt(12)
	v_fmac_f32_e32 v150, v144, v186
	v_add_f32_e32 v113, v113, v114
	v_mul_f32_e32 v114, v144, v185
	v_add_f32_e32 v153, v149, v150
	ds_read_b128 v[149:152], v112 offset:864
	s_waitcnt vmcnt(11) lgkmcnt(1)
	v_mul_f32_e32 v154, v145, v187
	v_fma_f32 v114, v143, v186, -v114
	s_waitcnt vmcnt(10)
	v_fmac_f32_e32 v154, v146, v188
	v_add_f32_e32 v113, v113, v114
	v_mul_f32_e32 v114, v146, v187
	v_add_f32_e32 v153, v153, v154
	s_waitcnt vmcnt(9)
	v_mul_f32_e32 v154, v147, v189
	v_fma_f32 v114, v145, v188, -v114
	s_waitcnt vmcnt(8)
	v_fmac_f32_e32 v154, v148, v190
	v_add_f32_e32 v113, v113, v114
	v_mul_f32_e32 v114, v148, v189
	v_add_f32_e32 v199, v153, v154
	ds_read_b64 v[153:154], v112 offset:880
	v_fma_f32 v114, v147, v190, -v114
	v_add_f32_e32 v113, v113, v114
	s_waitcnt vmcnt(7) lgkmcnt(1)
	v_mul_f32_e32 v114, v150, v191
	v_mul_f32_e32 v200, v149, v191
	s_waitcnt vmcnt(6)
	v_fma_f32 v114, v149, v192, -v114
	v_fmac_f32_e32 v200, v150, v192
	v_add_f32_e32 v113, v113, v114
	s_waitcnt vmcnt(5)
	v_mul_f32_e32 v114, v152, v193
	v_add_f32_e32 v199, v199, v200
	v_mul_f32_e32 v200, v151, v193
	s_waitcnt vmcnt(4)
	v_fma_f32 v114, v151, v194, -v114
	v_fmac_f32_e32 v200, v152, v194
	v_add_f32_e32 v113, v113, v114
	s_waitcnt vmcnt(3) lgkmcnt(0)
	v_mul_f32_e32 v114, v154, v195
	v_add_f32_e32 v199, v199, v200
	v_mul_f32_e32 v200, v153, v195
	s_waitcnt vmcnt(2)
	v_fma_f32 v114, v153, v196, -v114
	v_fmac_f32_e32 v200, v154, v196
	v_add_f32_e32 v113, v113, v114
	v_add_f32_e32 v199, v199, v200
	s_waitcnt vmcnt(1)
	v_sub_f32_e32 v113, v197, v113
	s_waitcnt vmcnt(0)
	v_sub_f32_e32 v114, v198, v199
	buffer_store_dword v113, off, s[0:3], 0 offset:264
	buffer_store_dword v114, off, s[0:3], 0 offset:268
	s_and_saveexec_b64 s[4:5], vcc
	s_cbranch_execz .LBB54_279
; %bb.278:
	buffer_load_dword v113, off, s[0:3], 0 offset:256
	buffer_load_dword v114, off, s[0:3], 0 offset:260
	s_waitcnt vmcnt(0)
	ds_write_b64 v111, v[113:114]
	buffer_store_dword v112, off, s[0:3], 0 offset:256
	buffer_store_dword v112, off, s[0:3], 0 offset:260
.LBB54_279:
	s_or_b64 exec, exec, s[4:5]
	s_waitcnt lgkmcnt(0)
	; wave barrier
	buffer_load_dword v157, off, s[0:3], 0 offset:268
	buffer_load_dword v158, off, s[0:3], 0 offset:276
	;; [unrolled: 1-line block ×46, first 2 shown]
	ds_read2_b64 v[113:116], v112 offset0:89 offset1:90
	ds_read2_b64 v[117:120], v112 offset0:91 offset1:92
	;; [unrolled: 1-line block ×8, first 2 shown]
	v_cmp_lt_u32_e32 vcc, 31, v0
	s_waitcnt vmcnt(45) lgkmcnt(7)
	v_mul_f32_e32 v145, v113, v157
	s_waitcnt vmcnt(44)
	v_mul_f32_e32 v146, v115, v158
	s_waitcnt vmcnt(43) lgkmcnt(6)
	v_mul_f32_e32 v147, v117, v159
	s_waitcnt vmcnt(42)
	v_mul_f32_e32 v148, v119, v160
	;; [unrolled: 4-line block ×6, first 2 shown]
	s_waitcnt vmcnt(33) lgkmcnt(1)
	v_mul_f32_e32 v203, v137, v169
	s_waitcnt vmcnt(32)
	v_fmac_f32_e32 v145, v114, v170
	v_mul_f32_e32 v114, v114, v157
	v_fma_f32 v113, v113, v170, -v114
	v_mul_f32_e32 v114, v116, v158
	v_add_f32_e32 v113, 0, v113
	s_waitcnt vmcnt(31)
	v_fma_f32 v114, v115, v171, -v114
	v_add_f32_e32 v113, v113, v114
	v_mul_f32_e32 v114, v118, v159
	s_waitcnt vmcnt(30)
	v_fma_f32 v114, v117, v172, -v114
	v_add_f32_e32 v113, v113, v114
	v_mul_f32_e32 v114, v120, v160
	;; [unrolled: 4-line block ×4, first 2 shown]
	v_fmac_f32_e32 v146, v116, v171
	v_add_f32_e32 v145, 0, v145
	s_waitcnt vmcnt(27)
	v_fma_f32 v114, v123, v175, -v114
	v_fmac_f32_e32 v147, v118, v172
	v_add_f32_e32 v145, v145, v146
	v_add_f32_e32 v113, v113, v114
	v_mul_f32_e32 v114, v126, v163
	v_fmac_f32_e32 v148, v120, v173
	v_add_f32_e32 v145, v145, v147
	s_waitcnt vmcnt(26)
	v_fma_f32 v114, v125, v176, -v114
	v_fmac_f32_e32 v149, v122, v174
	v_add_f32_e32 v145, v145, v148
	v_add_f32_e32 v113, v113, v114
	v_mul_f32_e32 v114, v128, v164
	;; [unrolled: 8-line block ×4, first 2 shown]
	s_waitcnt vmcnt(23)
	v_fmac_f32_e32 v154, v132, v179
	v_add_f32_e32 v145, v145, v153
	v_fma_f32 v114, v131, v179, -v114
	s_waitcnt vmcnt(22)
	v_fmac_f32_e32 v155, v134, v180
	v_add_f32_e32 v145, v145, v154
	v_add_f32_e32 v113, v113, v114
	v_mul_f32_e32 v114, v134, v167
	s_waitcnt vmcnt(21)
	v_fmac_f32_e32 v156, v136, v181
	v_add_f32_e32 v145, v145, v155
	v_fma_f32 v114, v133, v180, -v114
	s_waitcnt vmcnt(20)
	v_fmac_f32_e32 v203, v138, v182
	v_add_f32_e32 v145, v145, v156
	s_waitcnt vmcnt(19)
	v_mul_f32_e32 v146, v139, v183
	v_add_f32_e32 v113, v113, v114
	v_mul_f32_e32 v114, v136, v168
	v_add_f32_e32 v145, v145, v203
	s_waitcnt vmcnt(18)
	v_fmac_f32_e32 v146, v140, v184
	v_fma_f32 v114, v135, v181, -v114
	v_add_f32_e32 v145, v145, v146
	s_waitcnt vmcnt(17) lgkmcnt(0)
	v_mul_f32_e32 v146, v141, v185
	v_add_f32_e32 v113, v113, v114
	v_mul_f32_e32 v114, v138, v169
	s_waitcnt vmcnt(16)
	v_fmac_f32_e32 v146, v142, v186
	v_fma_f32 v114, v137, v182, -v114
	v_add_f32_e32 v149, v145, v146
	ds_read2_b64 v[145:148], v112 offset0:105 offset1:106
	v_add_f32_e32 v113, v113, v114
	v_mul_f32_e32 v114, v140, v183
	v_fma_f32 v114, v139, v184, -v114
	v_add_f32_e32 v113, v113, v114
	v_mul_f32_e32 v114, v142, v185
	s_waitcnt vmcnt(15)
	v_mul_f32_e32 v150, v143, v187
	v_fma_f32 v114, v141, v186, -v114
	s_waitcnt vmcnt(14)
	v_fmac_f32_e32 v150, v144, v188
	v_add_f32_e32 v113, v113, v114
	v_mul_f32_e32 v114, v144, v187
	v_add_f32_e32 v153, v149, v150
	ds_read2_b64 v[149:152], v112 offset0:107 offset1:108
	s_waitcnt vmcnt(13) lgkmcnt(1)
	v_mul_f32_e32 v154, v145, v189
	v_fma_f32 v114, v143, v188, -v114
	s_waitcnt vmcnt(12)
	v_fmac_f32_e32 v154, v146, v190
	v_add_f32_e32 v113, v113, v114
	v_mul_f32_e32 v114, v146, v189
	v_add_f32_e32 v153, v153, v154
	s_waitcnt vmcnt(11)
	v_mul_f32_e32 v154, v147, v191
	v_fma_f32 v114, v145, v190, -v114
	s_waitcnt vmcnt(10)
	v_fmac_f32_e32 v154, v148, v192
	v_add_f32_e32 v113, v113, v114
	v_mul_f32_e32 v114, v148, v191
	v_add_f32_e32 v203, v153, v154
	ds_read2_b64 v[153:156], v112 offset0:109 offset1:110
	v_fma_f32 v114, v147, v192, -v114
	v_add_f32_e32 v113, v113, v114
	s_waitcnt vmcnt(9) lgkmcnt(1)
	v_mul_f32_e32 v114, v150, v193
	v_mul_f32_e32 v204, v149, v193
	s_waitcnt vmcnt(8)
	v_fma_f32 v114, v149, v194, -v114
	v_fmac_f32_e32 v204, v150, v194
	v_add_f32_e32 v113, v113, v114
	s_waitcnt vmcnt(7)
	v_mul_f32_e32 v114, v152, v195
	v_add_f32_e32 v112, v203, v204
	v_mul_f32_e32 v203, v151, v195
	s_waitcnt vmcnt(6)
	v_fma_f32 v114, v151, v196, -v114
	v_fmac_f32_e32 v203, v152, v196
	v_add_f32_e32 v113, v113, v114
	s_waitcnt vmcnt(5) lgkmcnt(0)
	v_mul_f32_e32 v114, v154, v197
	v_add_f32_e32 v112, v112, v203
	v_mul_f32_e32 v203, v153, v197
	s_waitcnt vmcnt(4)
	v_fma_f32 v114, v153, v198, -v114
	v_fmac_f32_e32 v203, v154, v198
	v_add_f32_e32 v113, v113, v114
	s_waitcnt vmcnt(3)
	v_mul_f32_e32 v114, v156, v199
	v_add_f32_e32 v112, v112, v203
	v_mul_f32_e32 v203, v155, v199
	s_waitcnt vmcnt(2)
	v_fma_f32 v114, v155, v200, -v114
	v_fmac_f32_e32 v203, v156, v200
	v_add_f32_e32 v113, v113, v114
	v_add_f32_e32 v112, v112, v203
	s_waitcnt vmcnt(1)
	v_sub_f32_e32 v113, v201, v113
	s_waitcnt vmcnt(0)
	v_sub_f32_e32 v112, v202, v112
	buffer_store_dword v113, off, s[0:3], 0 offset:256
	buffer_store_dword v112, off, s[0:3], 0 offset:260
	s_and_saveexec_b64 s[4:5], vcc
	s_cbranch_execz .LBB54_281
; %bb.280:
	buffer_load_dword v112, off, s[0:3], 0 offset:248
	buffer_load_dword v113, off, s[0:3], 0 offset:252
	v_mov_b32_e32 v114, 0
	buffer_store_dword v114, off, s[0:3], 0 offset:248
	buffer_store_dword v114, off, s[0:3], 0 offset:252
	s_waitcnt vmcnt(2)
	ds_write_b64 v111, v[112:113]
.LBB54_281:
	s_or_b64 exec, exec, s[4:5]
	s_waitcnt lgkmcnt(0)
	; wave barrier
	buffer_load_dword v159, off, s[0:3], 0 offset:260
	buffer_load_dword v160, off, s[0:3], 0 offset:268
	;; [unrolled: 1-line block ×48, first 2 shown]
	v_mov_b32_e32 v112, 0
	ds_read_b128 v[113:116], v112 offset:704
	ds_read_b128 v[117:120], v112 offset:720
	;; [unrolled: 1-line block ×7, first 2 shown]
	v_cmp_lt_u32_e32 vcc, 30, v0
	s_waitcnt vmcnt(47) lgkmcnt(6)
	v_mul_f32_e32 v141, v113, v159
	s_waitcnt vmcnt(46)
	v_mul_f32_e32 v142, v115, v160
	s_waitcnt vmcnt(45) lgkmcnt(5)
	v_mul_f32_e32 v143, v117, v161
	s_waitcnt vmcnt(44)
	v_mul_f32_e32 v144, v119, v162
	;; [unrolled: 4-line block ×6, first 2 shown]
	s_waitcnt vmcnt(35)
	v_fmac_f32_e32 v141, v114, v171
	v_mul_f32_e32 v114, v114, v159
	v_fma_f32 v113, v113, v171, -v114
	v_mul_f32_e32 v114, v116, v160
	v_add_f32_e32 v113, 0, v113
	s_waitcnt vmcnt(34)
	v_fma_f32 v114, v115, v172, -v114
	v_add_f32_e32 v113, v113, v114
	v_mul_f32_e32 v114, v118, v161
	s_waitcnt vmcnt(33)
	v_fma_f32 v114, v117, v173, -v114
	v_fmac_f32_e32 v142, v116, v172
	v_add_f32_e32 v141, 0, v141
	v_add_f32_e32 v113, v113, v114
	v_mul_f32_e32 v114, v120, v162
	v_fmac_f32_e32 v143, v118, v173
	v_add_f32_e32 v141, v141, v142
	s_waitcnt vmcnt(32)
	v_fma_f32 v114, v119, v174, -v114
	v_fmac_f32_e32 v144, v120, v174
	v_add_f32_e32 v141, v141, v143
	v_add_f32_e32 v113, v113, v114
	v_mul_f32_e32 v114, v122, v163
	s_waitcnt vmcnt(31)
	v_fmac_f32_e32 v145, v122, v175
	v_add_f32_e32 v141, v141, v144
	v_fma_f32 v114, v121, v175, -v114
	s_waitcnt vmcnt(30)
	v_fmac_f32_e32 v146, v124, v176
	v_add_f32_e32 v141, v141, v145
	v_add_f32_e32 v113, v113, v114
	v_mul_f32_e32 v114, v124, v164
	s_waitcnt vmcnt(29)
	v_fmac_f32_e32 v147, v126, v177
	v_add_f32_e32 v141, v141, v146
	v_fma_f32 v114, v123, v176, -v114
	s_waitcnt vmcnt(28)
	;; [unrolled: 9-line block ×4, first 2 shown]
	v_fmac_f32_e32 v152, v136, v182
	v_add_f32_e32 v141, v141, v151
	v_add_f32_e32 v113, v113, v114
	v_mul_f32_e32 v114, v130, v167
	v_add_f32_e32 v145, v141, v152
	ds_read_b128 v[141:144], v112 offset:816
	v_fma_f32 v114, v129, v179, -v114
	s_waitcnt vmcnt(23) lgkmcnt(1)
	v_mul_f32_e32 v146, v137, v183
	v_add_f32_e32 v113, v113, v114
	v_mul_f32_e32 v114, v132, v168
	s_waitcnt vmcnt(22)
	v_fmac_f32_e32 v146, v138, v184
	v_fma_f32 v114, v131, v180, -v114
	v_add_f32_e32 v145, v145, v146
	s_waitcnt vmcnt(21)
	v_mul_f32_e32 v146, v139, v185
	v_add_f32_e32 v113, v113, v114
	v_mul_f32_e32 v114, v134, v169
	s_waitcnt vmcnt(20)
	v_fmac_f32_e32 v146, v140, v186
	v_fma_f32 v114, v133, v181, -v114
	v_add_f32_e32 v145, v145, v146
	s_waitcnt vmcnt(19) lgkmcnt(0)
	v_mul_f32_e32 v146, v141, v187
	v_add_f32_e32 v113, v113, v114
	v_mul_f32_e32 v114, v136, v170
	s_waitcnt vmcnt(18)
	v_fmac_f32_e32 v146, v142, v188
	v_fma_f32 v114, v135, v182, -v114
	v_add_f32_e32 v149, v145, v146
	ds_read_b128 v[145:148], v112 offset:832
	v_add_f32_e32 v113, v113, v114
	v_mul_f32_e32 v114, v138, v183
	v_fma_f32 v114, v137, v184, -v114
	s_waitcnt vmcnt(17)
	v_mul_f32_e32 v150, v143, v189
	v_add_f32_e32 v113, v113, v114
	v_mul_f32_e32 v114, v140, v185
	s_waitcnt vmcnt(16)
	v_fmac_f32_e32 v150, v144, v190
	v_fma_f32 v114, v139, v186, -v114
	v_add_f32_e32 v153, v149, v150
	ds_read_b128 v[149:152], v112 offset:848
	v_add_f32_e32 v113, v113, v114
	v_mul_f32_e32 v114, v142, v187
	s_waitcnt vmcnt(15) lgkmcnt(1)
	v_mul_f32_e32 v154, v145, v191
	v_fma_f32 v114, v141, v188, -v114
	s_waitcnt vmcnt(14)
	v_fmac_f32_e32 v154, v146, v192
	v_add_f32_e32 v113, v113, v114
	v_mul_f32_e32 v114, v144, v189
	v_add_f32_e32 v153, v153, v154
	s_waitcnt vmcnt(13)
	v_mul_f32_e32 v154, v147, v193
	v_fma_f32 v114, v143, v190, -v114
	s_waitcnt vmcnt(12)
	v_fmac_f32_e32 v154, v148, v194
	v_add_f32_e32 v113, v113, v114
	v_mul_f32_e32 v114, v146, v191
	v_add_f32_e32 v153, v153, v154
	s_waitcnt vmcnt(11) lgkmcnt(0)
	v_mul_f32_e32 v154, v149, v195
	v_fma_f32 v114, v145, v192, -v114
	s_waitcnt vmcnt(10)
	v_fmac_f32_e32 v154, v150, v196
	v_add_f32_e32 v113, v113, v114
	v_mul_f32_e32 v114, v148, v193
	v_add_f32_e32 v157, v153, v154
	ds_read_b128 v[153:156], v112 offset:864
	v_fma_f32 v114, v147, v194, -v114
	v_add_f32_e32 v113, v113, v114
	v_mul_f32_e32 v114, v150, v195
	s_waitcnt vmcnt(9)
	v_mul_f32_e32 v158, v151, v197
	v_fma_f32 v114, v149, v196, -v114
	s_waitcnt vmcnt(8)
	v_fmac_f32_e32 v158, v152, v198
	v_add_f32_e32 v113, v113, v114
	v_mul_f32_e32 v114, v152, v197
	v_add_f32_e32 v207, v157, v158
	ds_read_b64 v[157:158], v112 offset:880
	v_fma_f32 v114, v151, v198, -v114
	v_add_f32_e32 v113, v113, v114
	s_waitcnt vmcnt(6) lgkmcnt(1)
	v_mul_f32_e32 v114, v154, v200
	v_mul_f32_e32 v208, v153, v200
	v_fma_f32 v114, v153, v199, -v114
	v_fmac_f32_e32 v208, v154, v199
	v_add_f32_e32 v113, v113, v114
	s_waitcnt vmcnt(3)
	v_mul_f32_e32 v114, v156, v203
	v_add_f32_e32 v207, v207, v208
	v_mul_f32_e32 v208, v155, v203
	s_waitcnt vmcnt(2)
	v_fma_f32 v114, v155, v204, -v114
	v_fmac_f32_e32 v208, v156, v204
	v_add_f32_e32 v113, v113, v114
	s_waitcnt vmcnt(0) lgkmcnt(0)
	v_mul_f32_e32 v114, v158, v206
	v_add_f32_e32 v207, v207, v208
	v_mul_f32_e32 v208, v157, v206
	v_fma_f32 v114, v157, v205, -v114
	v_fmac_f32_e32 v208, v158, v205
	v_add_f32_e32 v113, v113, v114
	v_add_f32_e32 v207, v207, v208
	v_sub_f32_e32 v113, v201, v113
	v_sub_f32_e32 v114, v202, v207
	buffer_store_dword v113, off, s[0:3], 0 offset:248
	buffer_store_dword v114, off, s[0:3], 0 offset:252
	s_and_saveexec_b64 s[4:5], vcc
	s_cbranch_execz .LBB54_283
; %bb.282:
	buffer_load_dword v113, off, s[0:3], 0 offset:240
	buffer_load_dword v114, off, s[0:3], 0 offset:244
	s_waitcnt vmcnt(0)
	ds_write_b64 v111, v[113:114]
	buffer_store_dword v112, off, s[0:3], 0 offset:240
	buffer_store_dword v112, off, s[0:3], 0 offset:244
.LBB54_283:
	s_or_b64 exec, exec, s[4:5]
	s_waitcnt lgkmcnt(0)
	; wave barrier
	buffer_load_dword v161, off, s[0:3], 0 offset:252
	buffer_load_dword v162, off, s[0:3], 0 offset:260
	buffer_load_dword v163, off, s[0:3], 0 offset:268
	buffer_load_dword v164, off, s[0:3], 0 offset:276
	buffer_load_dword v165, off, s[0:3], 0 offset:284
	buffer_load_dword v166, off, s[0:3], 0 offset:292
	buffer_load_dword v167, off, s[0:3], 0 offset:300
	buffer_load_dword v168, off, s[0:3], 0 offset:308
	buffer_load_dword v169, off, s[0:3], 0 offset:316
	buffer_load_dword v170, off, s[0:3], 0 offset:324
	buffer_load_dword v171, off, s[0:3], 0 offset:332
	buffer_load_dword v172, off, s[0:3], 0 offset:340
	buffer_load_dword v173, off, s[0:3], 0 offset:248
	buffer_load_dword v174, off, s[0:3], 0 offset:256
	buffer_load_dword v175, off, s[0:3], 0 offset:264
	buffer_load_dword v176, off, s[0:3], 0 offset:272
	buffer_load_dword v177, off, s[0:3], 0 offset:280
	buffer_load_dword v178, off, s[0:3], 0 offset:288
	buffer_load_dword v179, off, s[0:3], 0 offset:296
	buffer_load_dword v180, off, s[0:3], 0 offset:304
	buffer_load_dword v181, off, s[0:3], 0 offset:312
	buffer_load_dword v182, off, s[0:3], 0 offset:320
	buffer_load_dword v183, off, s[0:3], 0 offset:328
	buffer_load_dword v184, off, s[0:3], 0 offset:336
	buffer_load_dword v185, off, s[0:3], 0 offset:348
	buffer_load_dword v186, off, s[0:3], 0 offset:344
	buffer_load_dword v187, off, s[0:3], 0 offset:356
	buffer_load_dword v188, off, s[0:3], 0 offset:352
	buffer_load_dword v189, off, s[0:3], 0 offset:364
	buffer_load_dword v190, off, s[0:3], 0 offset:360
	buffer_load_dword v191, off, s[0:3], 0 offset:372
	buffer_load_dword v192, off, s[0:3], 0 offset:368
	buffer_load_dword v193, off, s[0:3], 0 offset:380
	buffer_load_dword v194, off, s[0:3], 0 offset:376
	buffer_load_dword v195, off, s[0:3], 0 offset:388
	buffer_load_dword v196, off, s[0:3], 0 offset:384
	buffer_load_dword v197, off, s[0:3], 0 offset:396
	buffer_load_dword v198, off, s[0:3], 0 offset:392
	buffer_load_dword v199, off, s[0:3], 0 offset:404
	buffer_load_dword v200, off, s[0:3], 0 offset:400
	buffer_load_dword v201, off, s[0:3], 0 offset:240
	buffer_load_dword v202, off, s[0:3], 0 offset:244
	buffer_load_dword v203, off, s[0:3], 0 offset:412
	buffer_load_dword v204, off, s[0:3], 0 offset:408
	buffer_load_dword v205, off, s[0:3], 0 offset:416
	buffer_load_dword v206, off, s[0:3], 0 offset:420
	buffer_load_dword v207, off, s[0:3], 0 offset:424
	buffer_load_dword v208, off, s[0:3], 0 offset:428
	ds_read2_b64 v[113:116], v112 offset0:87 offset1:88
	ds_read2_b64 v[117:120], v112 offset0:89 offset1:90
	buffer_load_dword v209, off, s[0:3], 0 offset:432
	buffer_load_dword v210, off, s[0:3], 0 offset:436
	ds_read2_b64 v[121:124], v112 offset0:91 offset1:92
	ds_read2_b64 v[125:128], v112 offset0:93 offset1:94
	;; [unrolled: 1-line block ×5, first 2 shown]
	v_cmp_lt_u32_e32 vcc, 29, v0
	s_waitcnt vmcnt(49) lgkmcnt(6)
	v_mul_f32_e32 v141, v113, v161
	s_waitcnt vmcnt(48)
	v_mul_f32_e32 v142, v115, v162
	s_waitcnt vmcnt(47) lgkmcnt(5)
	v_mul_f32_e32 v143, v117, v163
	s_waitcnt vmcnt(46)
	v_mul_f32_e32 v144, v119, v164
	;; [unrolled: 4-line block ×6, first 2 shown]
	s_waitcnt vmcnt(37)
	v_fmac_f32_e32 v141, v114, v173
	v_mul_f32_e32 v114, v114, v161
	v_fma_f32 v113, v113, v173, -v114
	v_mul_f32_e32 v114, v116, v162
	v_add_f32_e32 v113, 0, v113
	s_waitcnt vmcnt(36)
	v_fma_f32 v114, v115, v174, -v114
	v_add_f32_e32 v113, v113, v114
	v_mul_f32_e32 v114, v118, v163
	s_waitcnt vmcnt(35)
	v_fma_f32 v114, v117, v175, -v114
	v_fmac_f32_e32 v142, v116, v174
	v_add_f32_e32 v141, 0, v141
	v_add_f32_e32 v113, v113, v114
	v_mul_f32_e32 v114, v120, v164
	v_fmac_f32_e32 v143, v118, v175
	v_add_f32_e32 v141, v141, v142
	s_waitcnt vmcnt(34)
	v_fma_f32 v114, v119, v176, -v114
	v_fmac_f32_e32 v144, v120, v176
	v_add_f32_e32 v141, v141, v143
	v_add_f32_e32 v113, v113, v114
	v_mul_f32_e32 v114, v122, v165
	s_waitcnt vmcnt(33)
	v_fmac_f32_e32 v145, v122, v177
	v_add_f32_e32 v141, v141, v144
	v_fma_f32 v114, v121, v177, -v114
	s_waitcnt vmcnt(32)
	v_fmac_f32_e32 v146, v124, v178
	v_add_f32_e32 v141, v141, v145
	v_add_f32_e32 v113, v113, v114
	v_mul_f32_e32 v114, v124, v166
	s_waitcnt vmcnt(31)
	v_fmac_f32_e32 v147, v126, v179
	v_add_f32_e32 v141, v141, v146
	v_fma_f32 v114, v123, v178, -v114
	s_waitcnt vmcnt(30)
	;; [unrolled: 9-line block ×3, first 2 shown]
	v_fmac_f32_e32 v150, v132, v182
	v_add_f32_e32 v141, v141, v149
	v_add_f32_e32 v113, v113, v114
	v_mul_f32_e32 v114, v128, v168
	s_waitcnt vmcnt(27)
	v_fmac_f32_e32 v151, v134, v183
	v_add_f32_e32 v141, v141, v150
	v_fma_f32 v114, v127, v180, -v114
	v_add_f32_e32 v141, v141, v151
	s_waitcnt vmcnt(26)
	v_fmac_f32_e32 v152, v136, v184
	v_add_f32_e32 v113, v113, v114
	v_mul_f32_e32 v114, v130, v169
	v_add_f32_e32 v145, v141, v152
	ds_read2_b64 v[141:144], v112 offset0:101 offset1:102
	v_fma_f32 v114, v129, v181, -v114
	s_waitcnt vmcnt(25) lgkmcnt(1)
	v_mul_f32_e32 v146, v137, v185
	v_add_f32_e32 v113, v113, v114
	v_mul_f32_e32 v114, v132, v170
	s_waitcnt vmcnt(24)
	v_fmac_f32_e32 v146, v138, v186
	v_fma_f32 v114, v131, v182, -v114
	v_add_f32_e32 v145, v145, v146
	s_waitcnt vmcnt(23)
	v_mul_f32_e32 v146, v139, v187
	v_add_f32_e32 v113, v113, v114
	v_mul_f32_e32 v114, v134, v171
	s_waitcnt vmcnt(22)
	v_fmac_f32_e32 v146, v140, v188
	v_fma_f32 v114, v133, v183, -v114
	v_add_f32_e32 v145, v145, v146
	s_waitcnt vmcnt(21) lgkmcnt(0)
	v_mul_f32_e32 v146, v141, v189
	v_add_f32_e32 v113, v113, v114
	v_mul_f32_e32 v114, v136, v172
	s_waitcnt vmcnt(20)
	v_fmac_f32_e32 v146, v142, v190
	v_fma_f32 v114, v135, v184, -v114
	v_add_f32_e32 v149, v145, v146
	ds_read2_b64 v[145:148], v112 offset0:103 offset1:104
	v_add_f32_e32 v113, v113, v114
	v_mul_f32_e32 v114, v138, v185
	v_fma_f32 v114, v137, v186, -v114
	s_waitcnt vmcnt(19)
	v_mul_f32_e32 v150, v143, v191
	v_add_f32_e32 v113, v113, v114
	v_mul_f32_e32 v114, v140, v187
	s_waitcnt vmcnt(18)
	v_fmac_f32_e32 v150, v144, v192
	v_fma_f32 v114, v139, v188, -v114
	v_add_f32_e32 v153, v149, v150
	ds_read2_b64 v[149:152], v112 offset0:105 offset1:106
	v_add_f32_e32 v113, v113, v114
	v_mul_f32_e32 v114, v142, v189
	s_waitcnt vmcnt(17) lgkmcnt(1)
	v_mul_f32_e32 v154, v145, v193
	v_fma_f32 v114, v141, v190, -v114
	s_waitcnt vmcnt(16)
	v_fmac_f32_e32 v154, v146, v194
	v_add_f32_e32 v113, v113, v114
	v_mul_f32_e32 v114, v144, v191
	v_add_f32_e32 v153, v153, v154
	s_waitcnt vmcnt(15)
	v_mul_f32_e32 v154, v147, v195
	v_fma_f32 v114, v143, v192, -v114
	s_waitcnt vmcnt(14)
	v_fmac_f32_e32 v154, v148, v196
	v_add_f32_e32 v113, v113, v114
	v_mul_f32_e32 v114, v146, v193
	v_add_f32_e32 v153, v153, v154
	s_waitcnt vmcnt(13) lgkmcnt(0)
	v_mul_f32_e32 v154, v149, v197
	v_fma_f32 v114, v145, v194, -v114
	s_waitcnt vmcnt(12)
	v_fmac_f32_e32 v154, v150, v198
	v_add_f32_e32 v113, v113, v114
	v_mul_f32_e32 v114, v148, v195
	v_add_f32_e32 v157, v153, v154
	ds_read2_b64 v[153:156], v112 offset0:107 offset1:108
	v_fma_f32 v114, v147, v196, -v114
	v_add_f32_e32 v113, v113, v114
	v_mul_f32_e32 v114, v150, v197
	s_waitcnt vmcnt(11)
	v_mul_f32_e32 v158, v151, v199
	v_fma_f32 v114, v149, v198, -v114
	s_waitcnt vmcnt(10)
	v_fmac_f32_e32 v158, v152, v200
	v_add_f32_e32 v113, v113, v114
	v_mul_f32_e32 v114, v152, v199
	v_add_f32_e32 v211, v157, v158
	ds_read2_b64 v[157:160], v112 offset0:109 offset1:110
	v_fma_f32 v114, v151, v200, -v114
	v_add_f32_e32 v113, v113, v114
	s_waitcnt vmcnt(7) lgkmcnt(1)
	v_mul_f32_e32 v114, v154, v203
	v_mul_f32_e32 v112, v153, v203
	s_waitcnt vmcnt(6)
	v_fma_f32 v114, v153, v204, -v114
	v_fmac_f32_e32 v112, v154, v204
	v_add_f32_e32 v113, v113, v114
	s_waitcnt vmcnt(4)
	v_mul_f32_e32 v114, v156, v206
	v_add_f32_e32 v112, v211, v112
	v_mul_f32_e32 v211, v155, v206
	v_fma_f32 v114, v155, v205, -v114
	v_fmac_f32_e32 v211, v156, v205
	v_add_f32_e32 v113, v113, v114
	s_waitcnt vmcnt(2) lgkmcnt(0)
	v_mul_f32_e32 v114, v158, v208
	v_add_f32_e32 v112, v112, v211
	v_mul_f32_e32 v211, v157, v208
	v_fma_f32 v114, v157, v207, -v114
	v_fmac_f32_e32 v211, v158, v207
	v_add_f32_e32 v113, v113, v114
	s_waitcnt vmcnt(0)
	v_mul_f32_e32 v114, v160, v210
	v_add_f32_e32 v112, v112, v211
	v_mul_f32_e32 v211, v159, v210
	v_fma_f32 v114, v159, v209, -v114
	v_fmac_f32_e32 v211, v160, v209
	v_add_f32_e32 v113, v113, v114
	v_add_f32_e32 v112, v112, v211
	v_sub_f32_e32 v113, v201, v113
	v_sub_f32_e32 v112, v202, v112
	buffer_store_dword v113, off, s[0:3], 0 offset:240
	buffer_store_dword v112, off, s[0:3], 0 offset:244
	s_and_saveexec_b64 s[4:5], vcc
	s_cbranch_execz .LBB54_285
; %bb.284:
	buffer_load_dword v112, off, s[0:3], 0 offset:232
	buffer_load_dword v113, off, s[0:3], 0 offset:236
	v_mov_b32_e32 v114, 0
	buffer_store_dword v114, off, s[0:3], 0 offset:232
	buffer_store_dword v114, off, s[0:3], 0 offset:236
	s_waitcnt vmcnt(2)
	ds_write_b64 v111, v[112:113]
.LBB54_285:
	s_or_b64 exec, exec, s[4:5]
	s_waitcnt lgkmcnt(0)
	; wave barrier
	buffer_load_dword v163, off, s[0:3], 0 offset:244
	buffer_load_dword v164, off, s[0:3], 0 offset:252
	;; [unrolled: 1-line block ×52, first 2 shown]
	v_mov_b32_e32 v112, 0
	ds_read_b128 v[113:116], v112 offset:688
	ds_read_b128 v[117:120], v112 offset:704
	;; [unrolled: 1-line block ×6, first 2 shown]
	v_cmp_lt_u32_e32 vcc, 28, v0
	s_waitcnt vmcnt(51) lgkmcnt(5)
	v_mul_f32_e32 v137, v113, v163
	s_waitcnt vmcnt(50)
	v_mul_f32_e32 v138, v115, v164
	s_waitcnt vmcnt(49) lgkmcnt(4)
	v_mul_f32_e32 v139, v117, v165
	s_waitcnt vmcnt(48)
	v_mul_f32_e32 v140, v119, v166
	;; [unrolled: 4-line block ×5, first 2 shown]
	s_waitcnt vmcnt(41) lgkmcnt(0)
	v_mul_f32_e32 v147, v133, v173
	s_waitcnt vmcnt(40)
	v_fmac_f32_e32 v137, v114, v174
	v_mul_f32_e32 v114, v114, v163
	s_waitcnt vmcnt(39)
	v_fmac_f32_e32 v138, v116, v175
	v_add_f32_e32 v137, 0, v137
	v_fma_f32 v113, v113, v174, -v114
	v_mul_f32_e32 v114, v116, v164
	s_waitcnt vmcnt(38)
	v_fmac_f32_e32 v139, v118, v176
	v_add_f32_e32 v137, v137, v138
	v_add_f32_e32 v113, 0, v113
	v_fma_f32 v114, v115, v175, -v114
	s_waitcnt vmcnt(37)
	v_fmac_f32_e32 v140, v120, v177
	v_add_f32_e32 v137, v137, v139
	v_add_f32_e32 v113, v113, v114
	v_mul_f32_e32 v114, v118, v165
	s_waitcnt vmcnt(36)
	v_fmac_f32_e32 v141, v122, v178
	v_add_f32_e32 v137, v137, v140
	v_fma_f32 v114, v117, v176, -v114
	s_waitcnt vmcnt(35)
	v_fmac_f32_e32 v142, v124, v179
	v_add_f32_e32 v137, v137, v141
	v_add_f32_e32 v113, v113, v114
	v_mul_f32_e32 v114, v120, v166
	s_waitcnt vmcnt(34)
	v_fmac_f32_e32 v143, v126, v180
	;; [unrolled: 9-line block ×3, first 2 shown]
	v_add_f32_e32 v137, v137, v144
	v_fma_f32 v114, v121, v178, -v114
	s_waitcnt vmcnt(31)
	v_fmac_f32_e32 v146, v132, v183
	v_add_f32_e32 v137, v137, v145
	v_add_f32_e32 v113, v113, v114
	v_mul_f32_e32 v114, v124, v168
	v_add_f32_e32 v137, v137, v146
	s_waitcnt vmcnt(30)
	v_fmac_f32_e32 v147, v134, v184
	v_fma_f32 v114, v123, v179, -v114
	v_add_f32_e32 v141, v137, v147
	ds_read_b128 v[137:140], v112 offset:784
	v_add_f32_e32 v113, v113, v114
	v_mul_f32_e32 v114, v126, v169
	v_fma_f32 v114, v125, v180, -v114
	s_waitcnt vmcnt(29)
	v_mul_f32_e32 v142, v135, v185
	v_add_f32_e32 v113, v113, v114
	v_mul_f32_e32 v114, v128, v170
	s_waitcnt vmcnt(28)
	v_fmac_f32_e32 v142, v136, v186
	v_fma_f32 v114, v127, v181, -v114
	v_add_f32_e32 v145, v141, v142
	ds_read_b128 v[141:144], v112 offset:800
	v_add_f32_e32 v113, v113, v114
	v_mul_f32_e32 v114, v130, v171
	s_waitcnt vmcnt(27) lgkmcnt(1)
	v_mul_f32_e32 v146, v137, v187
	v_fma_f32 v114, v129, v182, -v114
	s_waitcnt vmcnt(26)
	v_fmac_f32_e32 v146, v138, v188
	v_add_f32_e32 v113, v113, v114
	v_mul_f32_e32 v114, v132, v172
	v_add_f32_e32 v145, v145, v146
	s_waitcnt vmcnt(25)
	v_mul_f32_e32 v146, v139, v189
	v_fma_f32 v114, v131, v183, -v114
	s_waitcnt vmcnt(24)
	v_fmac_f32_e32 v146, v140, v190
	v_add_f32_e32 v113, v113, v114
	v_mul_f32_e32 v114, v134, v173
	v_add_f32_e32 v145, v145, v146
	s_waitcnt vmcnt(23) lgkmcnt(0)
	v_mul_f32_e32 v146, v141, v191
	v_fma_f32 v114, v133, v184, -v114
	s_waitcnt vmcnt(22)
	v_fmac_f32_e32 v146, v142, v192
	v_add_f32_e32 v113, v113, v114
	v_mul_f32_e32 v114, v136, v185
	v_add_f32_e32 v149, v145, v146
	ds_read_b128 v[145:148], v112 offset:816
	v_fma_f32 v114, v135, v186, -v114
	v_add_f32_e32 v113, v113, v114
	v_mul_f32_e32 v114, v138, v187
	s_waitcnt vmcnt(21)
	v_mul_f32_e32 v150, v143, v193
	v_fma_f32 v114, v137, v188, -v114
	s_waitcnt vmcnt(20)
	v_fmac_f32_e32 v150, v144, v194
	v_add_f32_e32 v113, v113, v114
	v_mul_f32_e32 v114, v140, v189
	v_add_f32_e32 v153, v149, v150
	ds_read_b128 v[149:152], v112 offset:832
	v_fma_f32 v114, v139, v190, -v114
	s_waitcnt vmcnt(19) lgkmcnt(1)
	v_mul_f32_e32 v154, v145, v195
	v_add_f32_e32 v113, v113, v114
	v_mul_f32_e32 v114, v142, v191
	s_waitcnt vmcnt(18)
	v_fmac_f32_e32 v154, v146, v196
	v_fma_f32 v114, v141, v192, -v114
	v_add_f32_e32 v153, v153, v154
	s_waitcnt vmcnt(17)
	v_mul_f32_e32 v154, v147, v197
	v_add_f32_e32 v113, v113, v114
	v_mul_f32_e32 v114, v144, v193
	s_waitcnt vmcnt(16)
	v_fmac_f32_e32 v154, v148, v198
	v_fma_f32 v114, v143, v194, -v114
	v_add_f32_e32 v153, v153, v154
	s_waitcnt vmcnt(14) lgkmcnt(0)
	v_mul_f32_e32 v154, v149, v200
	v_add_f32_e32 v113, v113, v114
	v_mul_f32_e32 v114, v146, v195
	v_fmac_f32_e32 v154, v150, v199
	v_fma_f32 v114, v145, v196, -v114
	v_add_f32_e32 v157, v153, v154
	ds_read_b128 v[153:156], v112 offset:848
	v_add_f32_e32 v113, v113, v114
	v_mul_f32_e32 v114, v148, v197
	v_fma_f32 v114, v147, v198, -v114
	v_add_f32_e32 v113, v113, v114
	v_mul_f32_e32 v114, v150, v200
	s_waitcnt vmcnt(11)
	v_mul_f32_e32 v158, v151, v203
	v_fma_f32 v114, v149, v199, -v114
	s_waitcnt vmcnt(10)
	v_fmac_f32_e32 v158, v152, v204
	v_add_f32_e32 v113, v113, v114
	v_mul_f32_e32 v114, v152, v203
	v_add_f32_e32 v161, v157, v158
	ds_read_b128 v[157:160], v112 offset:864
	s_waitcnt vmcnt(8) lgkmcnt(1)
	v_mul_f32_e32 v162, v153, v206
	v_fma_f32 v114, v151, v204, -v114
	v_fmac_f32_e32 v162, v154, v205
	v_add_f32_e32 v113, v113, v114
	v_mul_f32_e32 v114, v154, v206
	v_add_f32_e32 v161, v161, v162
	s_waitcnt vmcnt(6)
	v_mul_f32_e32 v162, v155, v208
	v_fma_f32 v114, v153, v205, -v114
	v_fmac_f32_e32 v162, v156, v207
	v_add_f32_e32 v113, v113, v114
	v_mul_f32_e32 v114, v156, v208
	v_add_f32_e32 v215, v161, v162
	ds_read_b64 v[161:162], v112 offset:880
	v_fma_f32 v114, v155, v207, -v114
	v_add_f32_e32 v113, v113, v114
	s_waitcnt vmcnt(4) lgkmcnt(1)
	v_mul_f32_e32 v114, v158, v210
	v_mul_f32_e32 v216, v157, v210
	v_fma_f32 v114, v157, v209, -v114
	v_fmac_f32_e32 v216, v158, v209
	v_add_f32_e32 v113, v113, v114
	s_waitcnt vmcnt(2)
	v_mul_f32_e32 v114, v160, v212
	v_add_f32_e32 v215, v215, v216
	v_mul_f32_e32 v216, v159, v212
	v_fma_f32 v114, v159, v211, -v114
	v_fmac_f32_e32 v216, v160, v211
	v_add_f32_e32 v113, v113, v114
	s_waitcnt vmcnt(0) lgkmcnt(0)
	v_mul_f32_e32 v114, v162, v214
	v_add_f32_e32 v215, v215, v216
	v_mul_f32_e32 v216, v161, v214
	v_fma_f32 v114, v161, v213, -v114
	v_fmac_f32_e32 v216, v162, v213
	v_add_f32_e32 v113, v113, v114
	v_add_f32_e32 v215, v215, v216
	v_sub_f32_e32 v113, v201, v113
	v_sub_f32_e32 v114, v202, v215
	buffer_store_dword v113, off, s[0:3], 0 offset:232
	buffer_store_dword v114, off, s[0:3], 0 offset:236
	s_and_saveexec_b64 s[4:5], vcc
	s_cbranch_execz .LBB54_287
; %bb.286:
	buffer_load_dword v113, off, s[0:3], 0 offset:224
	buffer_load_dword v114, off, s[0:3], 0 offset:228
	s_waitcnt vmcnt(0)
	ds_write_b64 v111, v[113:114]
	buffer_store_dword v112, off, s[0:3], 0 offset:224
	buffer_store_dword v112, off, s[0:3], 0 offset:228
.LBB54_287:
	s_or_b64 exec, exec, s[4:5]
	s_waitcnt lgkmcnt(0)
	; wave barrier
	buffer_load_dword v165, off, s[0:3], 0 offset:236
	buffer_load_dword v166, off, s[0:3], 0 offset:244
	;; [unrolled: 1-line block ×42, first 2 shown]
	ds_read2_b64 v[113:116], v112 offset0:85 offset1:86
	ds_read2_b64 v[117:120], v112 offset0:87 offset1:88
	;; [unrolled: 1-line block ×4, first 2 shown]
	buffer_load_dword v207, off, s[0:3], 0 offset:396
	buffer_load_dword v208, off, s[0:3], 0 offset:392
	;; [unrolled: 1-line block ×6, first 2 shown]
	ds_read2_b64 v[129:132], v112 offset0:93 offset1:94
	ds_read2_b64 v[133:136], v112 offset0:95 offset1:96
	buffer_load_dword v213, off, s[0:3], 0 offset:416
	buffer_load_dword v214, off, s[0:3], 0 offset:420
	;; [unrolled: 1-line block ×6, first 2 shown]
	v_cmp_lt_u32_e32 vcc, 27, v0
	s_waitcnt vmcnt(53) lgkmcnt(5)
	v_mul_f32_e32 v137, v113, v165
	s_waitcnt vmcnt(52)
	v_mul_f32_e32 v138, v115, v166
	s_waitcnt vmcnt(51) lgkmcnt(4)
	v_mul_f32_e32 v139, v117, v167
	s_waitcnt vmcnt(50)
	v_mul_f32_e32 v140, v119, v168
	;; [unrolled: 4-line block ×5, first 2 shown]
	s_waitcnt vmcnt(43)
	v_fmac_f32_e32 v137, v114, v175
	v_mul_f32_e32 v114, v114, v165
	s_waitcnt vmcnt(42)
	v_fmac_f32_e32 v138, v116, v176
	v_add_f32_e32 v137, 0, v137
	v_fma_f32 v113, v113, v175, -v114
	v_mul_f32_e32 v114, v116, v166
	s_waitcnt vmcnt(41)
	v_fmac_f32_e32 v139, v118, v177
	v_add_f32_e32 v137, v137, v138
	v_add_f32_e32 v113, 0, v113
	v_fma_f32 v114, v115, v176, -v114
	s_waitcnt vmcnt(40)
	v_fmac_f32_e32 v140, v120, v178
	v_add_f32_e32 v137, v137, v139
	v_add_f32_e32 v113, v113, v114
	v_mul_f32_e32 v114, v118, v167
	s_waitcnt vmcnt(39)
	v_fmac_f32_e32 v141, v122, v179
	v_add_f32_e32 v137, v137, v140
	v_fma_f32 v114, v117, v177, -v114
	s_waitcnt vmcnt(38)
	v_fmac_f32_e32 v142, v124, v180
	v_add_f32_e32 v137, v137, v141
	v_add_f32_e32 v113, v113, v114
	v_mul_f32_e32 v114, v120, v168
	s_waitcnt vmcnt(37)
	v_fmac_f32_e32 v143, v126, v181
	;; [unrolled: 9-line block ×3, first 2 shown]
	v_add_f32_e32 v137, v137, v144
	v_fma_f32 v114, v121, v179, -v114
	s_waitcnt vmcnt(34)
	v_fmac_f32_e32 v146, v132, v184
	v_add_f32_e32 v137, v137, v145
	s_waitcnt vmcnt(33) lgkmcnt(0)
	v_mul_f32_e32 v138, v133, v185
	v_add_f32_e32 v113, v113, v114
	v_mul_f32_e32 v114, v124, v170
	v_add_f32_e32 v137, v137, v146
	s_waitcnt vmcnt(32)
	v_fmac_f32_e32 v138, v134, v186
	v_fma_f32 v114, v123, v180, -v114
	v_add_f32_e32 v141, v137, v138
	ds_read2_b64 v[137:140], v112 offset0:97 offset1:98
	v_add_f32_e32 v113, v113, v114
	v_mul_f32_e32 v114, v126, v171
	v_fma_f32 v114, v125, v181, -v114
	s_waitcnt vmcnt(31)
	v_mul_f32_e32 v142, v135, v187
	v_add_f32_e32 v113, v113, v114
	v_mul_f32_e32 v114, v128, v172
	s_waitcnt vmcnt(30)
	v_fmac_f32_e32 v142, v136, v188
	v_fma_f32 v114, v127, v182, -v114
	v_add_f32_e32 v145, v141, v142
	ds_read2_b64 v[141:144], v112 offset0:99 offset1:100
	v_add_f32_e32 v113, v113, v114
	v_mul_f32_e32 v114, v130, v173
	s_waitcnt vmcnt(29) lgkmcnt(1)
	v_mul_f32_e32 v146, v137, v189
	v_fma_f32 v114, v129, v183, -v114
	s_waitcnt vmcnt(28)
	v_fmac_f32_e32 v146, v138, v190
	v_add_f32_e32 v113, v113, v114
	v_mul_f32_e32 v114, v132, v174
	v_add_f32_e32 v145, v145, v146
	s_waitcnt vmcnt(27)
	v_mul_f32_e32 v146, v139, v191
	v_fma_f32 v114, v131, v184, -v114
	s_waitcnt vmcnt(26)
	v_fmac_f32_e32 v146, v140, v192
	v_add_f32_e32 v113, v113, v114
	v_mul_f32_e32 v114, v134, v185
	v_add_f32_e32 v145, v145, v146
	s_waitcnt vmcnt(25) lgkmcnt(0)
	v_mul_f32_e32 v146, v141, v193
	v_fma_f32 v114, v133, v186, -v114
	s_waitcnt vmcnt(24)
	v_fmac_f32_e32 v146, v142, v194
	v_add_f32_e32 v113, v113, v114
	v_mul_f32_e32 v114, v136, v187
	v_add_f32_e32 v149, v145, v146
	ds_read2_b64 v[145:148], v112 offset0:101 offset1:102
	v_fma_f32 v114, v135, v188, -v114
	v_add_f32_e32 v113, v113, v114
	v_mul_f32_e32 v114, v138, v189
	s_waitcnt vmcnt(23)
	v_mul_f32_e32 v150, v143, v195
	v_fma_f32 v114, v137, v190, -v114
	s_waitcnt vmcnt(22)
	v_fmac_f32_e32 v150, v144, v196
	v_add_f32_e32 v113, v113, v114
	v_mul_f32_e32 v114, v140, v191
	v_add_f32_e32 v153, v149, v150
	ds_read2_b64 v[149:152], v112 offset0:103 offset1:104
	v_fma_f32 v114, v139, v192, -v114
	s_waitcnt vmcnt(21) lgkmcnt(1)
	v_mul_f32_e32 v154, v145, v197
	v_add_f32_e32 v113, v113, v114
	v_mul_f32_e32 v114, v142, v193
	s_waitcnt vmcnt(20)
	v_fmac_f32_e32 v154, v146, v198
	v_fma_f32 v114, v141, v194, -v114
	v_add_f32_e32 v153, v153, v154
	s_waitcnt vmcnt(18)
	v_mul_f32_e32 v154, v147, v200
	v_add_f32_e32 v113, v113, v114
	v_mul_f32_e32 v114, v144, v195
	v_fmac_f32_e32 v154, v148, v199
	v_fma_f32 v114, v143, v196, -v114
	v_add_f32_e32 v153, v153, v154
	s_waitcnt vmcnt(15) lgkmcnt(0)
	v_mul_f32_e32 v154, v149, v203
	v_add_f32_e32 v113, v113, v114
	v_mul_f32_e32 v114, v146, v197
	s_waitcnt vmcnt(14)
	v_fmac_f32_e32 v154, v150, v204
	v_fma_f32 v114, v145, v198, -v114
	v_add_f32_e32 v157, v153, v154
	ds_read2_b64 v[153:156], v112 offset0:105 offset1:106
	v_add_f32_e32 v113, v113, v114
	v_mul_f32_e32 v114, v148, v200
	v_fma_f32 v114, v147, v199, -v114
	v_add_f32_e32 v113, v113, v114
	v_mul_f32_e32 v114, v150, v203
	s_waitcnt vmcnt(12)
	v_mul_f32_e32 v158, v151, v206
	v_fma_f32 v114, v149, v204, -v114
	v_fmac_f32_e32 v158, v152, v205
	v_add_f32_e32 v113, v113, v114
	v_mul_f32_e32 v114, v152, v206
	v_add_f32_e32 v161, v157, v158
	ds_read2_b64 v[157:160], v112 offset0:107 offset1:108
	s_waitcnt vmcnt(11) lgkmcnt(1)
	v_mul_f32_e32 v162, v153, v207
	v_fma_f32 v114, v151, v205, -v114
	s_waitcnt vmcnt(10)
	v_fmac_f32_e32 v162, v154, v208
	v_add_f32_e32 v113, v113, v114
	v_mul_f32_e32 v114, v154, v207
	v_add_f32_e32 v161, v161, v162
	s_waitcnt vmcnt(8)
	v_mul_f32_e32 v162, v155, v210
	v_fma_f32 v114, v153, v208, -v114
	v_fmac_f32_e32 v162, v156, v209
	v_add_f32_e32 v113, v113, v114
	v_mul_f32_e32 v114, v156, v210
	v_add_f32_e32 v219, v161, v162
	ds_read2_b64 v[161:164], v112 offset0:109 offset1:110
	v_fma_f32 v114, v155, v209, -v114
	v_add_f32_e32 v113, v113, v114
	s_waitcnt vmcnt(6) lgkmcnt(1)
	v_mul_f32_e32 v114, v158, v212
	v_mul_f32_e32 v220, v157, v212
	v_fma_f32 v114, v157, v211, -v114
	v_fmac_f32_e32 v220, v158, v211
	v_add_f32_e32 v113, v113, v114
	s_waitcnt vmcnt(4)
	v_mul_f32_e32 v114, v160, v214
	v_add_f32_e32 v112, v219, v220
	v_mul_f32_e32 v219, v159, v214
	v_fma_f32 v114, v159, v213, -v114
	v_fmac_f32_e32 v219, v160, v213
	v_add_f32_e32 v113, v113, v114
	s_waitcnt vmcnt(2) lgkmcnt(0)
	v_mul_f32_e32 v114, v162, v216
	v_add_f32_e32 v112, v112, v219
	v_mul_f32_e32 v219, v161, v216
	v_fma_f32 v114, v161, v215, -v114
	v_fmac_f32_e32 v219, v162, v215
	v_add_f32_e32 v113, v113, v114
	s_waitcnt vmcnt(0)
	v_mul_f32_e32 v114, v164, v218
	v_add_f32_e32 v112, v112, v219
	v_mul_f32_e32 v219, v163, v218
	v_fma_f32 v114, v163, v217, -v114
	v_fmac_f32_e32 v219, v164, v217
	v_add_f32_e32 v113, v113, v114
	v_add_f32_e32 v112, v112, v219
	v_sub_f32_e32 v113, v201, v113
	v_sub_f32_e32 v112, v202, v112
	buffer_store_dword v113, off, s[0:3], 0 offset:224
	buffer_store_dword v112, off, s[0:3], 0 offset:228
	s_and_saveexec_b64 s[4:5], vcc
	s_cbranch_execz .LBB54_289
; %bb.288:
	buffer_load_dword v112, off, s[0:3], 0 offset:216
	buffer_load_dword v113, off, s[0:3], 0 offset:220
	v_mov_b32_e32 v114, 0
	buffer_store_dword v114, off, s[0:3], 0 offset:216
	buffer_store_dword v114, off, s[0:3], 0 offset:220
	s_waitcnt vmcnt(2)
	ds_write_b64 v111, v[112:113]
.LBB54_289:
	s_or_b64 exec, exec, s[4:5]
	s_waitcnt lgkmcnt(0)
	; wave barrier
	buffer_load_dword v167, off, s[0:3], 0 offset:228
	buffer_load_dword v168, off, s[0:3], 0 offset:236
	buffer_load_dword v169, off, s[0:3], 0 offset:244
	buffer_load_dword v170, off, s[0:3], 0 offset:252
	buffer_load_dword v171, off, s[0:3], 0 offset:260
	buffer_load_dword v172, off, s[0:3], 0 offset:268
	buffer_load_dword v173, off, s[0:3], 0 offset:276
	buffer_load_dword v174, off, s[0:3], 0 offset:284
	buffer_load_dword v175, off, s[0:3], 0 offset:292
	buffer_load_dword v176, off, s[0:3], 0 offset:224
	buffer_load_dword v177, off, s[0:3], 0 offset:232
	buffer_load_dword v178, off, s[0:3], 0 offset:240
	buffer_load_dword v179, off, s[0:3], 0 offset:248
	buffer_load_dword v180, off, s[0:3], 0 offset:256
	buffer_load_dword v181, off, s[0:3], 0 offset:264
	buffer_load_dword v182, off, s[0:3], 0 offset:272
	buffer_load_dword v183, off, s[0:3], 0 offset:280
	buffer_load_dword v184, off, s[0:3], 0 offset:288
	buffer_load_dword v185, off, s[0:3], 0 offset:300
	buffer_load_dword v186, off, s[0:3], 0 offset:296
	buffer_load_dword v187, off, s[0:3], 0 offset:308
	buffer_load_dword v188, off, s[0:3], 0 offset:304
	buffer_load_dword v189, off, s[0:3], 0 offset:316
	buffer_load_dword v190, off, s[0:3], 0 offset:312
	buffer_load_dword v191, off, s[0:3], 0 offset:324
	buffer_load_dword v192, off, s[0:3], 0 offset:320
	buffer_load_dword v193, off, s[0:3], 0 offset:332
	buffer_load_dword v194, off, s[0:3], 0 offset:328
	buffer_load_dword v195, off, s[0:3], 0 offset:340
	buffer_load_dword v196, off, s[0:3], 0 offset:336
	buffer_load_dword v197, off, s[0:3], 0 offset:344
	buffer_load_dword v198, off, s[0:3], 0 offset:348
	buffer_load_dword v199, off, s[0:3], 0 offset:216
	buffer_load_dword v200, off, s[0:3], 0 offset:220
	buffer_load_dword v201, off, s[0:3], 0 offset:356
	buffer_load_dword v202, off, s[0:3], 0 offset:352
	buffer_load_dword v203, off, s[0:3], 0 offset:360
	buffer_load_dword v204, off, s[0:3], 0 offset:364
	buffer_load_dword v205, off, s[0:3], 0 offset:368
	buffer_load_dword v206, off, s[0:3], 0 offset:372
	buffer_load_dword v207, off, s[0:3], 0 offset:376
	buffer_load_dword v208, off, s[0:3], 0 offset:380
	buffer_load_dword v209, off, s[0:3], 0 offset:384
	buffer_load_dword v210, off, s[0:3], 0 offset:388
	buffer_load_dword v211, off, s[0:3], 0 offset:392
	buffer_load_dword v212, off, s[0:3], 0 offset:396
	buffer_load_dword v213, off, s[0:3], 0 offset:400
	buffer_load_dword v214, off, s[0:3], 0 offset:404
	buffer_load_dword v215, off, s[0:3], 0 offset:408
	buffer_load_dword v216, off, s[0:3], 0 offset:412
	buffer_load_dword v217, off, s[0:3], 0 offset:416
	buffer_load_dword v218, off, s[0:3], 0 offset:420
	buffer_load_dword v219, off, s[0:3], 0 offset:424
	buffer_load_dword v220, off, s[0:3], 0 offset:428
	buffer_load_dword v221, off, s[0:3], 0 offset:432
	buffer_load_dword v222, off, s[0:3], 0 offset:436
	v_mov_b32_e32 v112, 0
	ds_read_b128 v[113:116], v112 offset:672
	ds_read_b128 v[117:120], v112 offset:688
	;; [unrolled: 1-line block ×6, first 2 shown]
	v_cmp_lt_u32_e32 vcc, 26, v0
	s_waitcnt vmcnt(55) lgkmcnt(5)
	v_mul_f32_e32 v137, v113, v167
	s_waitcnt vmcnt(54)
	v_mul_f32_e32 v138, v115, v168
	s_waitcnt vmcnt(53) lgkmcnt(4)
	v_mul_f32_e32 v139, v117, v169
	s_waitcnt vmcnt(52)
	v_mul_f32_e32 v140, v119, v170
	;; [unrolled: 4-line block ×4, first 2 shown]
	s_waitcnt vmcnt(47) lgkmcnt(1)
	v_mul_f32_e32 v145, v129, v175
	s_waitcnt vmcnt(46)
	v_fmac_f32_e32 v137, v114, v176
	s_waitcnt vmcnt(45)
	v_fmac_f32_e32 v138, v116, v177
	v_add_f32_e32 v137, 0, v137
	s_waitcnt vmcnt(44)
	v_fmac_f32_e32 v139, v118, v178
	v_add_f32_e32 v137, v137, v138
	;; [unrolled: 3-line block ×3, first 2 shown]
	v_mul_f32_e32 v114, v114, v167
	s_waitcnt vmcnt(42)
	v_fmac_f32_e32 v141, v122, v180
	v_add_f32_e32 v137, v137, v140
	v_fma_f32 v113, v113, v176, -v114
	v_mul_f32_e32 v114, v116, v168
	s_waitcnt vmcnt(41)
	v_fmac_f32_e32 v142, v124, v181
	v_add_f32_e32 v137, v137, v141
	v_add_f32_e32 v113, 0, v113
	v_fma_f32 v114, v115, v177, -v114
	s_waitcnt vmcnt(40)
	v_fmac_f32_e32 v143, v126, v182
	v_add_f32_e32 v137, v137, v142
	v_add_f32_e32 v113, v113, v114
	v_mul_f32_e32 v114, v118, v169
	s_waitcnt vmcnt(39)
	v_fmac_f32_e32 v144, v128, v183
	v_add_f32_e32 v137, v137, v143
	v_fma_f32 v114, v117, v178, -v114
	v_add_f32_e32 v137, v137, v144
	s_waitcnt vmcnt(38)
	v_fmac_f32_e32 v145, v130, v184
	s_waitcnt vmcnt(37)
	v_mul_f32_e32 v138, v131, v185
	v_add_f32_e32 v113, v113, v114
	v_mul_f32_e32 v114, v120, v170
	v_add_f32_e32 v137, v137, v145
	s_waitcnt vmcnt(36)
	v_fmac_f32_e32 v138, v132, v186
	v_fma_f32 v114, v119, v179, -v114
	v_add_f32_e32 v137, v137, v138
	s_waitcnt vmcnt(35) lgkmcnt(0)
	v_mul_f32_e32 v138, v133, v187
	v_add_f32_e32 v113, v113, v114
	v_mul_f32_e32 v114, v122, v171
	s_waitcnt vmcnt(34)
	v_fmac_f32_e32 v138, v134, v188
	v_fma_f32 v114, v121, v180, -v114
	v_add_f32_e32 v141, v137, v138
	ds_read_b128 v[137:140], v112 offset:768
	v_add_f32_e32 v113, v113, v114
	v_mul_f32_e32 v114, v124, v172
	v_fma_f32 v114, v123, v181, -v114
	s_waitcnt vmcnt(33)
	v_mul_f32_e32 v142, v135, v189
	v_add_f32_e32 v113, v113, v114
	v_mul_f32_e32 v114, v126, v173
	s_waitcnt vmcnt(32)
	v_fmac_f32_e32 v142, v136, v190
	v_fma_f32 v114, v125, v182, -v114
	v_add_f32_e32 v145, v141, v142
	ds_read_b128 v[141:144], v112 offset:784
	v_add_f32_e32 v113, v113, v114
	v_mul_f32_e32 v114, v128, v174
	s_waitcnt vmcnt(31) lgkmcnt(1)
	v_mul_f32_e32 v146, v137, v191
	v_fma_f32 v114, v127, v183, -v114
	s_waitcnt vmcnt(30)
	v_fmac_f32_e32 v146, v138, v192
	v_add_f32_e32 v113, v113, v114
	v_mul_f32_e32 v114, v130, v175
	v_add_f32_e32 v145, v145, v146
	s_waitcnt vmcnt(29)
	v_mul_f32_e32 v146, v139, v193
	v_fma_f32 v114, v129, v184, -v114
	s_waitcnt vmcnt(28)
	v_fmac_f32_e32 v146, v140, v194
	v_add_f32_e32 v113, v113, v114
	v_mul_f32_e32 v114, v132, v185
	v_add_f32_e32 v145, v145, v146
	s_waitcnt vmcnt(27) lgkmcnt(0)
	v_mul_f32_e32 v146, v141, v195
	v_fma_f32 v114, v131, v186, -v114
	s_waitcnt vmcnt(26)
	v_fmac_f32_e32 v146, v142, v196
	v_add_f32_e32 v113, v113, v114
	v_mul_f32_e32 v114, v134, v187
	v_add_f32_e32 v149, v145, v146
	ds_read_b128 v[145:148], v112 offset:800
	v_fma_f32 v114, v133, v188, -v114
	v_add_f32_e32 v113, v113, v114
	v_mul_f32_e32 v114, v136, v189
	s_waitcnt vmcnt(24)
	v_mul_f32_e32 v150, v143, v198
	v_fma_f32 v114, v135, v190, -v114
	v_fmac_f32_e32 v150, v144, v197
	v_add_f32_e32 v113, v113, v114
	v_mul_f32_e32 v114, v138, v191
	v_add_f32_e32 v153, v149, v150
	ds_read_b128 v[149:152], v112 offset:816
	v_fma_f32 v114, v137, v192, -v114
	s_waitcnt vmcnt(21) lgkmcnt(1)
	v_mul_f32_e32 v154, v145, v201
	v_add_f32_e32 v113, v113, v114
	v_mul_f32_e32 v114, v140, v193
	s_waitcnt vmcnt(20)
	v_fmac_f32_e32 v154, v146, v202
	v_fma_f32 v114, v139, v194, -v114
	v_add_f32_e32 v153, v153, v154
	s_waitcnt vmcnt(18)
	v_mul_f32_e32 v154, v147, v204
	v_add_f32_e32 v113, v113, v114
	v_mul_f32_e32 v114, v142, v195
	v_fmac_f32_e32 v154, v148, v203
	v_fma_f32 v114, v141, v196, -v114
	v_add_f32_e32 v153, v153, v154
	s_waitcnt vmcnt(16) lgkmcnt(0)
	v_mul_f32_e32 v154, v149, v206
	v_add_f32_e32 v113, v113, v114
	v_mul_f32_e32 v114, v144, v198
	v_fmac_f32_e32 v154, v150, v205
	v_fma_f32 v114, v143, v197, -v114
	v_add_f32_e32 v157, v153, v154
	ds_read_b128 v[153:156], v112 offset:832
	v_add_f32_e32 v113, v113, v114
	v_mul_f32_e32 v114, v146, v201
	v_fma_f32 v114, v145, v202, -v114
	s_waitcnt vmcnt(14)
	v_mul_f32_e32 v158, v151, v208
	v_add_f32_e32 v113, v113, v114
	v_mul_f32_e32 v114, v148, v204
	v_fmac_f32_e32 v158, v152, v207
	v_fma_f32 v114, v147, v203, -v114
	v_add_f32_e32 v161, v157, v158
	ds_read_b128 v[157:160], v112 offset:848
	v_add_f32_e32 v113, v113, v114
	v_mul_f32_e32 v114, v150, v206
	s_waitcnt vmcnt(12) lgkmcnt(1)
	v_mul_f32_e32 v162, v153, v210
	v_fma_f32 v114, v149, v205, -v114
	v_fmac_f32_e32 v162, v154, v209
	v_add_f32_e32 v113, v113, v114
	v_mul_f32_e32 v114, v152, v208
	v_add_f32_e32 v161, v161, v162
	s_waitcnt vmcnt(10)
	v_mul_f32_e32 v162, v155, v212
	v_fma_f32 v114, v151, v207, -v114
	v_fmac_f32_e32 v162, v156, v211
	v_add_f32_e32 v113, v113, v114
	v_mul_f32_e32 v114, v154, v210
	v_add_f32_e32 v161, v161, v162
	s_waitcnt vmcnt(8) lgkmcnt(0)
	v_mul_f32_e32 v162, v157, v214
	v_fma_f32 v114, v153, v209, -v114
	v_fmac_f32_e32 v162, v158, v213
	v_add_f32_e32 v113, v113, v114
	v_mul_f32_e32 v114, v156, v212
	v_add_f32_e32 v165, v161, v162
	ds_read_b128 v[161:164], v112 offset:864
	v_fma_f32 v114, v155, v211, -v114
	v_add_f32_e32 v113, v113, v114
	v_mul_f32_e32 v114, v158, v214
	s_waitcnt vmcnt(6)
	v_mul_f32_e32 v166, v159, v216
	v_fma_f32 v114, v157, v213, -v114
	v_fmac_f32_e32 v166, v160, v215
	v_add_f32_e32 v113, v113, v114
	v_mul_f32_e32 v114, v160, v216
	v_add_f32_e32 v223, v165, v166
	ds_read_b64 v[165:166], v112 offset:880
	v_fma_f32 v114, v159, v215, -v114
	v_add_f32_e32 v113, v113, v114
	s_waitcnt vmcnt(4) lgkmcnt(1)
	v_mul_f32_e32 v114, v162, v218
	v_mul_f32_e32 v224, v161, v218
	v_fma_f32 v114, v161, v217, -v114
	v_fmac_f32_e32 v224, v162, v217
	v_add_f32_e32 v113, v113, v114
	s_waitcnt vmcnt(2)
	v_mul_f32_e32 v114, v164, v220
	v_add_f32_e32 v223, v223, v224
	v_mul_f32_e32 v224, v163, v220
	v_fma_f32 v114, v163, v219, -v114
	v_fmac_f32_e32 v224, v164, v219
	v_add_f32_e32 v113, v113, v114
	s_waitcnt vmcnt(0) lgkmcnt(0)
	v_mul_f32_e32 v114, v166, v222
	v_add_f32_e32 v223, v223, v224
	v_mul_f32_e32 v224, v165, v222
	v_fma_f32 v114, v165, v221, -v114
	v_fmac_f32_e32 v224, v166, v221
	v_add_f32_e32 v113, v113, v114
	v_add_f32_e32 v223, v223, v224
	v_sub_f32_e32 v113, v199, v113
	v_sub_f32_e32 v114, v200, v223
	buffer_store_dword v113, off, s[0:3], 0 offset:216
	buffer_store_dword v114, off, s[0:3], 0 offset:220
	s_and_saveexec_b64 s[4:5], vcc
	s_cbranch_execz .LBB54_291
; %bb.290:
	buffer_load_dword v113, off, s[0:3], 0 offset:208
	buffer_load_dword v114, off, s[0:3], 0 offset:212
	s_waitcnt vmcnt(0)
	ds_write_b64 v111, v[113:114]
	buffer_store_dword v112, off, s[0:3], 0 offset:208
	buffer_store_dword v112, off, s[0:3], 0 offset:212
.LBB54_291:
	s_or_b64 exec, exec, s[4:5]
	s_waitcnt lgkmcnt(0)
	; wave barrier
	buffer_load_dword v169, off, s[0:3], 0 offset:220
	buffer_load_dword v170, off, s[0:3], 0 offset:228
	;; [unrolled: 1-line block ×34, first 2 shown]
	ds_read2_b64 v[113:116], v112 offset0:83 offset1:84
	ds_read2_b64 v[117:120], v112 offset0:85 offset1:86
	buffer_load_dword v203, off, s[0:3], 0 offset:348
	buffer_load_dword v204, off, s[0:3], 0 offset:344
	;; [unrolled: 1-line block ×6, first 2 shown]
	ds_read2_b64 v[121:124], v112 offset0:87 offset1:88
	ds_read2_b64 v[125:128], v112 offset0:89 offset1:90
	;; [unrolled: 1-line block ×4, first 2 shown]
	buffer_load_dword v209, off, s[0:3], 0 offset:372
	buffer_load_dword v210, off, s[0:3], 0 offset:368
	;; [unrolled: 1-line block ×18, first 2 shown]
	v_cmp_lt_u32_e32 vcc, 25, v0
	s_waitcnt vmcnt(57) lgkmcnt(5)
	v_mul_f32_e32 v137, v113, v169
	s_waitcnt vmcnt(56)
	v_mul_f32_e32 v138, v115, v170
	s_waitcnt vmcnt(55) lgkmcnt(4)
	v_mul_f32_e32 v139, v117, v171
	s_waitcnt vmcnt(54)
	v_mul_f32_e32 v140, v119, v172
	;; [unrolled: 4-line block ×4, first 2 shown]
	s_waitcnt vmcnt(49)
	v_fmac_f32_e32 v137, v114, v177
	s_waitcnt vmcnt(48)
	v_fmac_f32_e32 v138, v116, v178
	v_add_f32_e32 v137, 0, v137
	s_waitcnt vmcnt(47)
	v_fmac_f32_e32 v139, v118, v179
	v_add_f32_e32 v137, v137, v138
	;; [unrolled: 3-line block ×4, first 2 shown]
	v_mul_f32_e32 v114, v114, v169
	s_waitcnt vmcnt(44)
	v_fmac_f32_e32 v142, v124, v182
	v_add_f32_e32 v137, v137, v141
	v_fma_f32 v113, v113, v177, -v114
	v_mul_f32_e32 v114, v116, v170
	s_waitcnt vmcnt(43)
	v_fmac_f32_e32 v143, v126, v183
	v_add_f32_e32 v137, v137, v142
	v_add_f32_e32 v113, 0, v113
	v_fma_f32 v114, v115, v178, -v114
	s_waitcnt vmcnt(42)
	v_fmac_f32_e32 v144, v128, v184
	v_add_f32_e32 v137, v137, v143
	s_waitcnt vmcnt(41) lgkmcnt(1)
	v_mul_f32_e32 v138, v129, v185
	v_add_f32_e32 v113, v113, v114
	v_mul_f32_e32 v114, v118, v171
	v_add_f32_e32 v137, v137, v144
	s_waitcnt vmcnt(40)
	v_fmac_f32_e32 v138, v130, v186
	v_fma_f32 v114, v117, v179, -v114
	v_add_f32_e32 v137, v137, v138
	s_waitcnt vmcnt(39)
	v_mul_f32_e32 v138, v131, v187
	v_add_f32_e32 v113, v113, v114
	v_mul_f32_e32 v114, v120, v172
	s_waitcnt vmcnt(38)
	v_fmac_f32_e32 v138, v132, v188
	v_fma_f32 v114, v119, v180, -v114
	v_add_f32_e32 v137, v137, v138
	s_waitcnt vmcnt(37) lgkmcnt(0)
	v_mul_f32_e32 v138, v133, v189
	v_add_f32_e32 v113, v113, v114
	v_mul_f32_e32 v114, v122, v173
	s_waitcnt vmcnt(36)
	v_fmac_f32_e32 v138, v134, v190
	v_fma_f32 v114, v121, v181, -v114
	v_add_f32_e32 v141, v137, v138
	ds_read2_b64 v[137:140], v112 offset0:95 offset1:96
	v_add_f32_e32 v113, v113, v114
	v_mul_f32_e32 v114, v124, v174
	v_fma_f32 v114, v123, v182, -v114
	s_waitcnt vmcnt(35)
	v_mul_f32_e32 v142, v135, v191
	v_add_f32_e32 v113, v113, v114
	v_mul_f32_e32 v114, v126, v175
	s_waitcnt vmcnt(34)
	v_fmac_f32_e32 v142, v136, v192
	v_fma_f32 v114, v125, v183, -v114
	v_add_f32_e32 v145, v141, v142
	ds_read2_b64 v[141:144], v112 offset0:97 offset1:98
	v_add_f32_e32 v113, v113, v114
	v_mul_f32_e32 v114, v128, v176
	s_waitcnt vmcnt(33) lgkmcnt(1)
	v_mul_f32_e32 v146, v137, v193
	v_fma_f32 v114, v127, v184, -v114
	s_waitcnt vmcnt(32)
	v_fmac_f32_e32 v146, v138, v194
	v_add_f32_e32 v113, v113, v114
	v_mul_f32_e32 v114, v130, v185
	v_add_f32_e32 v145, v145, v146
	s_waitcnt vmcnt(31)
	v_mul_f32_e32 v146, v139, v195
	v_fma_f32 v114, v129, v186, -v114
	s_waitcnt vmcnt(30)
	v_fmac_f32_e32 v146, v140, v196
	v_add_f32_e32 v113, v113, v114
	v_mul_f32_e32 v114, v132, v187
	v_add_f32_e32 v145, v145, v146
	s_waitcnt vmcnt(29) lgkmcnt(0)
	v_mul_f32_e32 v146, v141, v197
	v_fma_f32 v114, v131, v188, -v114
	s_waitcnt vmcnt(28)
	v_fmac_f32_e32 v146, v142, v198
	v_add_f32_e32 v113, v113, v114
	v_mul_f32_e32 v114, v134, v189
	v_add_f32_e32 v149, v145, v146
	ds_read2_b64 v[145:148], v112 offset0:99 offset1:100
	v_fma_f32 v114, v133, v190, -v114
	v_add_f32_e32 v113, v113, v114
	v_mul_f32_e32 v114, v136, v191
	s_waitcnt vmcnt(25)
	v_mul_f32_e32 v150, v143, v201
	v_fma_f32 v114, v135, v192, -v114
	s_waitcnt vmcnt(24)
	v_fmac_f32_e32 v150, v144, v202
	v_add_f32_e32 v113, v113, v114
	v_mul_f32_e32 v114, v138, v193
	v_add_f32_e32 v153, v149, v150
	ds_read2_b64 v[149:152], v112 offset0:101 offset1:102
	v_fma_f32 v114, v137, v194, -v114
	s_waitcnt vmcnt(23) lgkmcnt(1)
	v_mul_f32_e32 v154, v145, v203
	v_add_f32_e32 v113, v113, v114
	v_mul_f32_e32 v114, v140, v195
	s_waitcnt vmcnt(22)
	v_fmac_f32_e32 v154, v146, v204
	v_fma_f32 v114, v139, v196, -v114
	v_add_f32_e32 v153, v153, v154
	s_waitcnt vmcnt(20)
	v_mul_f32_e32 v154, v147, v206
	v_add_f32_e32 v113, v113, v114
	v_mul_f32_e32 v114, v142, v197
	v_fmac_f32_e32 v154, v148, v205
	v_fma_f32 v114, v141, v198, -v114
	v_add_f32_e32 v153, v153, v154
	s_waitcnt vmcnt(18) lgkmcnt(0)
	v_mul_f32_e32 v154, v149, v208
	v_add_f32_e32 v113, v113, v114
	v_mul_f32_e32 v114, v144, v201
	v_fmac_f32_e32 v154, v150, v207
	v_fma_f32 v114, v143, v202, -v114
	v_add_f32_e32 v157, v153, v154
	ds_read2_b64 v[153:156], v112 offset0:103 offset1:104
	v_add_f32_e32 v113, v113, v114
	v_mul_f32_e32 v114, v146, v203
	v_fma_f32 v114, v145, v204, -v114
	s_waitcnt vmcnt(17)
	v_mul_f32_e32 v158, v151, v209
	v_add_f32_e32 v113, v113, v114
	v_mul_f32_e32 v114, v148, v206
	s_waitcnt vmcnt(16)
	v_fmac_f32_e32 v158, v152, v210
	v_fma_f32 v114, v147, v205, -v114
	v_add_f32_e32 v161, v157, v158
	ds_read2_b64 v[157:160], v112 offset0:105 offset1:106
	v_add_f32_e32 v113, v113, v114
	v_mul_f32_e32 v114, v150, v208
	s_waitcnt vmcnt(14) lgkmcnt(1)
	v_mul_f32_e32 v162, v153, v212
	v_fma_f32 v114, v149, v207, -v114
	v_fmac_f32_e32 v162, v154, v211
	v_add_f32_e32 v113, v113, v114
	v_mul_f32_e32 v114, v152, v209
	v_add_f32_e32 v161, v161, v162
	s_waitcnt vmcnt(12)
	v_mul_f32_e32 v162, v155, v214
	v_fma_f32 v114, v151, v210, -v114
	v_fmac_f32_e32 v162, v156, v213
	v_add_f32_e32 v113, v113, v114
	v_mul_f32_e32 v114, v154, v212
	v_add_f32_e32 v161, v161, v162
	s_waitcnt vmcnt(10) lgkmcnt(0)
	v_mul_f32_e32 v162, v157, v216
	v_fma_f32 v114, v153, v211, -v114
	v_fmac_f32_e32 v162, v158, v215
	v_add_f32_e32 v113, v113, v114
	v_mul_f32_e32 v114, v156, v214
	v_add_f32_e32 v165, v161, v162
	ds_read2_b64 v[161:164], v112 offset0:107 offset1:108
	v_fma_f32 v114, v155, v213, -v114
	v_add_f32_e32 v113, v113, v114
	v_mul_f32_e32 v114, v158, v216
	s_waitcnt vmcnt(8)
	v_mul_f32_e32 v166, v159, v218
	v_fma_f32 v114, v157, v215, -v114
	v_fmac_f32_e32 v166, v160, v217
	v_add_f32_e32 v113, v113, v114
	v_mul_f32_e32 v114, v160, v218
	v_add_f32_e32 v227, v165, v166
	ds_read2_b64 v[165:168], v112 offset0:109 offset1:110
	v_fma_f32 v114, v159, v217, -v114
	v_add_f32_e32 v113, v113, v114
	s_waitcnt vmcnt(6) lgkmcnt(1)
	v_mul_f32_e32 v114, v162, v220
	v_mul_f32_e32 v112, v161, v220
	v_fma_f32 v114, v161, v219, -v114
	v_fmac_f32_e32 v112, v162, v219
	v_add_f32_e32 v113, v113, v114
	s_waitcnt vmcnt(4)
	v_mul_f32_e32 v114, v164, v222
	v_add_f32_e32 v112, v227, v112
	v_mul_f32_e32 v227, v163, v222
	v_fma_f32 v114, v163, v221, -v114
	v_fmac_f32_e32 v227, v164, v221
	v_add_f32_e32 v113, v113, v114
	s_waitcnt vmcnt(2) lgkmcnt(0)
	v_mul_f32_e32 v114, v166, v224
	v_add_f32_e32 v112, v112, v227
	v_mul_f32_e32 v227, v165, v224
	v_fma_f32 v114, v165, v223, -v114
	v_fmac_f32_e32 v227, v166, v223
	v_add_f32_e32 v113, v113, v114
	s_waitcnt vmcnt(0)
	v_mul_f32_e32 v114, v168, v226
	v_add_f32_e32 v112, v112, v227
	v_mul_f32_e32 v227, v167, v226
	v_fma_f32 v114, v167, v225, -v114
	v_fmac_f32_e32 v227, v168, v225
	v_add_f32_e32 v113, v113, v114
	v_add_f32_e32 v112, v112, v227
	v_sub_f32_e32 v113, v199, v113
	v_sub_f32_e32 v112, v200, v112
	buffer_store_dword v113, off, s[0:3], 0 offset:208
	buffer_store_dword v112, off, s[0:3], 0 offset:212
	s_and_saveexec_b64 s[4:5], vcc
	s_cbranch_execz .LBB54_293
; %bb.292:
	buffer_load_dword v112, off, s[0:3], 0 offset:200
	buffer_load_dword v113, off, s[0:3], 0 offset:204
	v_mov_b32_e32 v114, 0
	buffer_store_dword v114, off, s[0:3], 0 offset:200
	buffer_store_dword v114, off, s[0:3], 0 offset:204
	s_waitcnt vmcnt(2)
	ds_write_b64 v111, v[112:113]
.LBB54_293:
	s_or_b64 exec, exec, s[4:5]
	s_waitcnt lgkmcnt(0)
	; wave barrier
	buffer_load_dword v171, off, s[0:3], 0 offset:212
	buffer_load_dword v172, off, s[0:3], 0 offset:220
	;; [unrolled: 1-line block ×60, first 2 shown]
	v_mov_b32_e32 v112, 0
	ds_read_b128 v[113:116], v112 offset:656
	ds_read_b128 v[117:120], v112 offset:672
	ds_read_b128 v[121:124], v112 offset:688
	ds_read_b128 v[125:128], v112 offset:704
	ds_read_b128 v[129:132], v112 offset:720
	v_cmp_lt_u32_e32 vcc, 24, v0
	s_waitcnt vmcnt(59) lgkmcnt(4)
	v_mul_f32_e32 v133, v113, v171
	s_waitcnt vmcnt(58)
	v_mul_f32_e32 v134, v115, v172
	s_waitcnt vmcnt(57) lgkmcnt(3)
	v_mul_f32_e32 v135, v117, v173
	s_waitcnt vmcnt(56)
	v_mul_f32_e32 v136, v119, v174
	;; [unrolled: 4-line block ×3, first 2 shown]
	s_waitcnt vmcnt(53) lgkmcnt(1)
	v_mul_f32_e32 v139, v125, v177
	s_waitcnt vmcnt(52)
	v_fmac_f32_e32 v133, v114, v178
	s_waitcnt vmcnt(51)
	v_fmac_f32_e32 v134, v116, v179
	v_add_f32_e32 v133, 0, v133
	s_waitcnt vmcnt(50)
	v_fmac_f32_e32 v135, v118, v180
	v_add_f32_e32 v133, v133, v134
	;; [unrolled: 3-line block ×6, first 2 shown]
	s_waitcnt vmcnt(45)
	v_mul_f32_e32 v134, v127, v185
	v_add_f32_e32 v133, v133, v139
	s_waitcnt vmcnt(44)
	v_fmac_f32_e32 v134, v128, v186
	v_mul_f32_e32 v114, v114, v171
	v_add_f32_e32 v137, v133, v134
	ds_read_b128 v[133:136], v112 offset:736
	v_fma_f32 v113, v113, v178, -v114
	v_mul_f32_e32 v114, v116, v172
	s_waitcnt vmcnt(43) lgkmcnt(1)
	v_mul_f32_e32 v138, v129, v187
	v_add_f32_e32 v113, 0, v113
	v_fma_f32 v114, v115, v179, -v114
	s_waitcnt vmcnt(42)
	v_fmac_f32_e32 v138, v130, v188
	v_add_f32_e32 v113, v113, v114
	v_mul_f32_e32 v114, v118, v173
	v_add_f32_e32 v137, v137, v138
	s_waitcnt vmcnt(41)
	v_mul_f32_e32 v138, v131, v189
	v_fma_f32 v114, v117, v180, -v114
	s_waitcnt vmcnt(40)
	v_fmac_f32_e32 v138, v132, v190
	v_add_f32_e32 v113, v113, v114
	v_mul_f32_e32 v114, v120, v174
	v_add_f32_e32 v137, v137, v138
	s_waitcnt vmcnt(39) lgkmcnt(0)
	v_mul_f32_e32 v138, v133, v191
	v_fma_f32 v114, v119, v181, -v114
	s_waitcnt vmcnt(38)
	v_fmac_f32_e32 v138, v134, v192
	v_add_f32_e32 v113, v113, v114
	v_mul_f32_e32 v114, v122, v175
	v_add_f32_e32 v141, v137, v138
	ds_read_b128 v[137:140], v112 offset:752
	v_fma_f32 v114, v121, v182, -v114
	v_add_f32_e32 v113, v113, v114
	v_mul_f32_e32 v114, v124, v176
	s_waitcnt vmcnt(37)
	v_mul_f32_e32 v142, v135, v193
	v_fma_f32 v114, v123, v183, -v114
	s_waitcnt vmcnt(36)
	v_fmac_f32_e32 v142, v136, v194
	v_add_f32_e32 v113, v113, v114
	v_mul_f32_e32 v114, v126, v177
	v_add_f32_e32 v145, v141, v142
	ds_read_b128 v[141:144], v112 offset:768
	v_fma_f32 v114, v125, v184, -v114
	s_waitcnt vmcnt(34) lgkmcnt(1)
	v_mul_f32_e32 v146, v137, v196
	v_add_f32_e32 v113, v113, v114
	v_mul_f32_e32 v114, v128, v185
	v_fmac_f32_e32 v146, v138, v195
	v_fma_f32 v114, v127, v186, -v114
	v_add_f32_e32 v145, v145, v146
	s_waitcnt vmcnt(31)
	v_mul_f32_e32 v146, v139, v199
	v_add_f32_e32 v113, v113, v114
	v_mul_f32_e32 v114, v130, v187
	s_waitcnt vmcnt(30)
	v_fmac_f32_e32 v146, v140, v200
	v_fma_f32 v114, v129, v188, -v114
	v_add_f32_e32 v145, v145, v146
	s_waitcnt vmcnt(28) lgkmcnt(0)
	v_mul_f32_e32 v146, v141, v202
	v_add_f32_e32 v113, v113, v114
	v_mul_f32_e32 v114, v132, v189
	v_fmac_f32_e32 v146, v142, v201
	v_fma_f32 v114, v131, v190, -v114
	v_add_f32_e32 v149, v145, v146
	ds_read_b128 v[145:148], v112 offset:784
	v_add_f32_e32 v113, v113, v114
	v_mul_f32_e32 v114, v134, v191
	v_fma_f32 v114, v133, v192, -v114
	s_waitcnt vmcnt(26)
	v_mul_f32_e32 v150, v143, v204
	v_add_f32_e32 v113, v113, v114
	v_mul_f32_e32 v114, v136, v193
	v_fmac_f32_e32 v150, v144, v203
	v_fma_f32 v114, v135, v194, -v114
	v_add_f32_e32 v153, v149, v150
	ds_read_b128 v[149:152], v112 offset:800
	v_add_f32_e32 v113, v113, v114
	v_mul_f32_e32 v114, v138, v196
	s_waitcnt vmcnt(24) lgkmcnt(1)
	v_mul_f32_e32 v154, v145, v206
	v_fma_f32 v114, v137, v195, -v114
	v_fmac_f32_e32 v154, v146, v205
	v_add_f32_e32 v113, v113, v114
	v_mul_f32_e32 v114, v140, v199
	v_add_f32_e32 v153, v153, v154
	s_waitcnt vmcnt(22)
	v_mul_f32_e32 v154, v147, v208
	v_fma_f32 v114, v139, v200, -v114
	v_fmac_f32_e32 v154, v148, v207
	v_add_f32_e32 v113, v113, v114
	v_mul_f32_e32 v114, v142, v202
	v_add_f32_e32 v153, v153, v154
	s_waitcnt vmcnt(20) lgkmcnt(0)
	v_mul_f32_e32 v154, v149, v210
	v_fma_f32 v114, v141, v201, -v114
	v_fmac_f32_e32 v154, v150, v209
	v_add_f32_e32 v113, v113, v114
	v_mul_f32_e32 v114, v144, v204
	v_add_f32_e32 v157, v153, v154
	ds_read_b128 v[153:156], v112 offset:816
	v_fma_f32 v114, v143, v203, -v114
	v_add_f32_e32 v113, v113, v114
	v_mul_f32_e32 v114, v146, v206
	s_waitcnt vmcnt(18)
	v_mul_f32_e32 v158, v151, v212
	v_fma_f32 v114, v145, v205, -v114
	v_fmac_f32_e32 v158, v152, v211
	v_add_f32_e32 v113, v113, v114
	v_mul_f32_e32 v114, v148, v208
	v_add_f32_e32 v161, v157, v158
	ds_read_b128 v[157:160], v112 offset:832
	v_fma_f32 v114, v147, v207, -v114
	s_waitcnt vmcnt(16) lgkmcnt(1)
	v_mul_f32_e32 v162, v153, v214
	v_add_f32_e32 v113, v113, v114
	v_mul_f32_e32 v114, v150, v210
	v_fmac_f32_e32 v162, v154, v213
	v_fma_f32 v114, v149, v209, -v114
	v_add_f32_e32 v161, v161, v162
	s_waitcnt vmcnt(14)
	v_mul_f32_e32 v162, v155, v216
	v_add_f32_e32 v113, v113, v114
	v_mul_f32_e32 v114, v152, v212
	v_fmac_f32_e32 v162, v156, v215
	v_fma_f32 v114, v151, v211, -v114
	v_add_f32_e32 v161, v161, v162
	s_waitcnt vmcnt(12) lgkmcnt(0)
	v_mul_f32_e32 v162, v157, v218
	v_add_f32_e32 v113, v113, v114
	v_mul_f32_e32 v114, v154, v214
	v_fmac_f32_e32 v162, v158, v217
	v_fma_f32 v114, v153, v213, -v114
	v_add_f32_e32 v165, v161, v162
	ds_read_b128 v[161:164], v112 offset:848
	v_add_f32_e32 v113, v113, v114
	v_mul_f32_e32 v114, v156, v216
	v_fma_f32 v114, v155, v215, -v114
	v_add_f32_e32 v113, v113, v114
	v_mul_f32_e32 v114, v158, v218
	s_waitcnt vmcnt(10)
	v_mul_f32_e32 v166, v159, v220
	v_fma_f32 v114, v157, v217, -v114
	v_fmac_f32_e32 v166, v160, v219
	v_add_f32_e32 v113, v113, v114
	v_mul_f32_e32 v114, v160, v220
	v_add_f32_e32 v169, v165, v166
	ds_read_b128 v[165:168], v112 offset:864
	s_waitcnt vmcnt(8) lgkmcnt(1)
	v_mul_f32_e32 v170, v161, v222
	v_fma_f32 v114, v159, v219, -v114
	v_fmac_f32_e32 v170, v162, v221
	v_add_f32_e32 v113, v113, v114
	v_mul_f32_e32 v114, v162, v222
	v_add_f32_e32 v169, v169, v170
	s_waitcnt vmcnt(6)
	v_mul_f32_e32 v170, v163, v224
	v_fma_f32 v114, v161, v221, -v114
	v_fmac_f32_e32 v170, v164, v223
	v_add_f32_e32 v113, v113, v114
	v_mul_f32_e32 v114, v164, v224
	v_add_f32_e32 v231, v169, v170
	ds_read_b64 v[169:170], v112 offset:880
	v_fma_f32 v114, v163, v223, -v114
	v_add_f32_e32 v113, v113, v114
	s_waitcnt vmcnt(4) lgkmcnt(1)
	v_mul_f32_e32 v114, v166, v226
	v_mul_f32_e32 v232, v165, v226
	v_fma_f32 v114, v165, v225, -v114
	v_fmac_f32_e32 v232, v166, v225
	v_add_f32_e32 v113, v113, v114
	s_waitcnt vmcnt(2)
	v_mul_f32_e32 v114, v168, v228
	v_add_f32_e32 v231, v231, v232
	v_mul_f32_e32 v232, v167, v228
	v_fma_f32 v114, v167, v227, -v114
	v_fmac_f32_e32 v232, v168, v227
	v_add_f32_e32 v113, v113, v114
	s_waitcnt vmcnt(0) lgkmcnt(0)
	v_mul_f32_e32 v114, v170, v230
	v_add_f32_e32 v231, v231, v232
	v_mul_f32_e32 v232, v169, v230
	v_fma_f32 v114, v169, v229, -v114
	v_fmac_f32_e32 v232, v170, v229
	v_add_f32_e32 v113, v113, v114
	v_add_f32_e32 v231, v231, v232
	v_sub_f32_e32 v113, v197, v113
	v_sub_f32_e32 v114, v198, v231
	buffer_store_dword v113, off, s[0:3], 0 offset:200
	buffer_store_dword v114, off, s[0:3], 0 offset:204
	s_and_saveexec_b64 s[4:5], vcc
	s_cbranch_execz .LBB54_295
; %bb.294:
	buffer_load_dword v113, off, s[0:3], 0 offset:192
	buffer_load_dword v114, off, s[0:3], 0 offset:196
	s_waitcnt vmcnt(0)
	ds_write_b64 v111, v[113:114]
	buffer_store_dword v112, off, s[0:3], 0 offset:192
	buffer_store_dword v112, off, s[0:3], 0 offset:196
.LBB54_295:
	s_or_b64 exec, exec, s[4:5]
	s_waitcnt lgkmcnt(0)
	; wave barrier
	buffer_load_dword v173, off, s[0:3], 0 offset:204
	buffer_load_dword v174, off, s[0:3], 0 offset:212
	;; [unrolled: 1-line block ×32, first 2 shown]
	ds_read2_b64 v[113:116], v112 offset0:81 offset1:82
	ds_read2_b64 v[117:120], v112 offset0:83 offset1:84
	;; [unrolled: 1-line block ×4, first 2 shown]
	buffer_load_dword v205, off, s[0:3], 0 offset:324
	buffer_load_dword v206, off, s[0:3], 0 offset:320
	;; [unrolled: 1-line block ×30, first 2 shown]
	v_cmp_lt_u32_e32 vcc, 23, v0
	s_waitcnt vmcnt(61) lgkmcnt(3)
	v_mul_f32_e32 v129, v113, v173
	s_waitcnt vmcnt(60)
	v_mul_f32_e32 v130, v115, v174
	s_waitcnt vmcnt(59) lgkmcnt(2)
	v_mul_f32_e32 v131, v117, v175
	s_waitcnt vmcnt(58)
	v_mul_f32_e32 v132, v119, v176
	;; [unrolled: 4-line block ×3, first 2 shown]
	s_waitcnt vmcnt(55) lgkmcnt(0)
	v_mul_f32_e32 v135, v125, v179
	s_waitcnt vmcnt(54)
	v_fmac_f32_e32 v129, v114, v180
	s_waitcnt vmcnt(53)
	v_fmac_f32_e32 v130, v116, v181
	v_add_f32_e32 v129, 0, v129
	s_waitcnt vmcnt(52)
	v_fmac_f32_e32 v131, v118, v182
	v_add_f32_e32 v129, v129, v130
	;; [unrolled: 3-line block ×6, first 2 shown]
	v_add_f32_e32 v133, v129, v135
	ds_read2_b64 v[129:132], v112 offset0:89 offset1:90
	s_waitcnt vmcnt(47)
	v_mul_f32_e32 v134, v127, v187
	s_waitcnt vmcnt(46)
	v_fmac_f32_e32 v134, v128, v188
	v_mul_f32_e32 v114, v114, v173
	v_add_f32_e32 v137, v133, v134
	ds_read2_b64 v[133:136], v112 offset0:91 offset1:92
	v_fma_f32 v113, v113, v180, -v114
	v_mul_f32_e32 v114, v116, v174
	s_waitcnt vmcnt(45) lgkmcnt(1)
	v_mul_f32_e32 v138, v129, v189
	v_add_f32_e32 v113, 0, v113
	v_fma_f32 v114, v115, v181, -v114
	s_waitcnt vmcnt(44)
	v_fmac_f32_e32 v138, v130, v190
	v_add_f32_e32 v113, v113, v114
	v_mul_f32_e32 v114, v118, v175
	v_add_f32_e32 v137, v137, v138
	s_waitcnt vmcnt(43)
	v_mul_f32_e32 v138, v131, v191
	v_fma_f32 v114, v117, v182, -v114
	s_waitcnt vmcnt(42)
	v_fmac_f32_e32 v138, v132, v192
	v_add_f32_e32 v113, v113, v114
	v_mul_f32_e32 v114, v120, v176
	v_add_f32_e32 v137, v137, v138
	s_waitcnt vmcnt(41) lgkmcnt(0)
	v_mul_f32_e32 v138, v133, v193
	v_fma_f32 v114, v119, v183, -v114
	s_waitcnt vmcnt(40)
	v_fmac_f32_e32 v138, v134, v194
	v_add_f32_e32 v113, v113, v114
	v_mul_f32_e32 v114, v122, v177
	v_add_f32_e32 v141, v137, v138
	ds_read2_b64 v[137:140], v112 offset0:93 offset1:94
	v_fma_f32 v114, v121, v184, -v114
	v_add_f32_e32 v113, v113, v114
	v_mul_f32_e32 v114, v124, v178
	s_waitcnt vmcnt(39)
	v_mul_f32_e32 v142, v135, v195
	v_fma_f32 v114, v123, v185, -v114
	s_waitcnt vmcnt(38)
	v_fmac_f32_e32 v142, v136, v196
	v_add_f32_e32 v113, v113, v114
	v_mul_f32_e32 v114, v126, v179
	v_add_f32_e32 v145, v141, v142
	ds_read2_b64 v[141:144], v112 offset0:95 offset1:96
	v_fma_f32 v114, v125, v186, -v114
	s_waitcnt vmcnt(35) lgkmcnt(1)
	v_mul_f32_e32 v146, v137, v199
	v_add_f32_e32 v113, v113, v114
	v_mul_f32_e32 v114, v128, v187
	s_waitcnt vmcnt(34)
	v_fmac_f32_e32 v146, v138, v200
	v_fma_f32 v114, v127, v188, -v114
	v_add_f32_e32 v145, v145, v146
	s_waitcnt vmcnt(32)
	v_mul_f32_e32 v146, v139, v202
	v_add_f32_e32 v113, v113, v114
	v_mul_f32_e32 v114, v130, v189
	v_fmac_f32_e32 v146, v140, v201
	v_fma_f32 v114, v129, v190, -v114
	v_add_f32_e32 v145, v145, v146
	s_waitcnt vmcnt(30) lgkmcnt(0)
	v_mul_f32_e32 v146, v141, v204
	v_add_f32_e32 v113, v113, v114
	v_mul_f32_e32 v114, v132, v191
	v_fmac_f32_e32 v146, v142, v203
	v_fma_f32 v114, v131, v192, -v114
	v_add_f32_e32 v149, v145, v146
	ds_read2_b64 v[145:148], v112 offset0:97 offset1:98
	v_add_f32_e32 v113, v113, v114
	v_mul_f32_e32 v114, v134, v193
	v_fma_f32 v114, v133, v194, -v114
	s_waitcnt vmcnt(29)
	v_mul_f32_e32 v150, v143, v205
	v_add_f32_e32 v113, v113, v114
	v_mul_f32_e32 v114, v136, v195
	s_waitcnt vmcnt(28)
	v_fmac_f32_e32 v150, v144, v206
	v_fma_f32 v114, v135, v196, -v114
	v_add_f32_e32 v153, v149, v150
	ds_read2_b64 v[149:152], v112 offset0:99 offset1:100
	v_add_f32_e32 v113, v113, v114
	v_mul_f32_e32 v114, v138, v199
	s_waitcnt vmcnt(26) lgkmcnt(1)
	v_mul_f32_e32 v154, v145, v208
	v_fma_f32 v114, v137, v200, -v114
	v_fmac_f32_e32 v154, v146, v207
	v_add_f32_e32 v113, v113, v114
	v_mul_f32_e32 v114, v140, v202
	v_add_f32_e32 v153, v153, v154
	s_waitcnt vmcnt(24)
	v_mul_f32_e32 v154, v147, v210
	v_fma_f32 v114, v139, v201, -v114
	v_fmac_f32_e32 v154, v148, v209
	v_add_f32_e32 v113, v113, v114
	v_mul_f32_e32 v114, v142, v204
	v_add_f32_e32 v153, v153, v154
	s_waitcnt vmcnt(22) lgkmcnt(0)
	v_mul_f32_e32 v154, v149, v212
	v_fma_f32 v114, v141, v203, -v114
	v_fmac_f32_e32 v154, v150, v211
	v_add_f32_e32 v113, v113, v114
	v_mul_f32_e32 v114, v144, v205
	v_add_f32_e32 v157, v153, v154
	ds_read2_b64 v[153:156], v112 offset0:101 offset1:102
	v_fma_f32 v114, v143, v206, -v114
	v_add_f32_e32 v113, v113, v114
	v_mul_f32_e32 v114, v146, v208
	s_waitcnt vmcnt(20)
	v_mul_f32_e32 v158, v151, v214
	v_fma_f32 v114, v145, v207, -v114
	v_fmac_f32_e32 v158, v152, v213
	v_add_f32_e32 v113, v113, v114
	v_mul_f32_e32 v114, v148, v210
	v_add_f32_e32 v161, v157, v158
	ds_read2_b64 v[157:160], v112 offset0:103 offset1:104
	v_fma_f32 v114, v147, v209, -v114
	s_waitcnt vmcnt(18) lgkmcnt(1)
	v_mul_f32_e32 v162, v153, v216
	v_add_f32_e32 v113, v113, v114
	v_mul_f32_e32 v114, v150, v212
	v_fmac_f32_e32 v162, v154, v215
	v_fma_f32 v114, v149, v211, -v114
	v_add_f32_e32 v161, v161, v162
	s_waitcnt vmcnt(16)
	v_mul_f32_e32 v162, v155, v218
	v_add_f32_e32 v113, v113, v114
	v_mul_f32_e32 v114, v152, v214
	v_fmac_f32_e32 v162, v156, v217
	v_fma_f32 v114, v151, v213, -v114
	v_add_f32_e32 v161, v161, v162
	s_waitcnt vmcnt(14) lgkmcnt(0)
	v_mul_f32_e32 v162, v157, v220
	v_add_f32_e32 v113, v113, v114
	v_mul_f32_e32 v114, v154, v216
	v_fmac_f32_e32 v162, v158, v219
	v_fma_f32 v114, v153, v215, -v114
	v_add_f32_e32 v165, v161, v162
	ds_read2_b64 v[161:164], v112 offset0:105 offset1:106
	v_add_f32_e32 v113, v113, v114
	v_mul_f32_e32 v114, v156, v218
	v_fma_f32 v114, v155, v217, -v114
	v_add_f32_e32 v113, v113, v114
	v_mul_f32_e32 v114, v158, v220
	s_waitcnt vmcnt(12)
	v_mul_f32_e32 v166, v159, v222
	v_fma_f32 v114, v157, v219, -v114
	v_fmac_f32_e32 v166, v160, v221
	v_add_f32_e32 v113, v113, v114
	v_mul_f32_e32 v114, v160, v222
	v_add_f32_e32 v169, v165, v166
	ds_read2_b64 v[165:168], v112 offset0:107 offset1:108
	s_waitcnt vmcnt(10) lgkmcnt(1)
	v_mul_f32_e32 v170, v161, v224
	v_fma_f32 v114, v159, v221, -v114
	v_fmac_f32_e32 v170, v162, v223
	v_add_f32_e32 v113, v113, v114
	v_mul_f32_e32 v114, v162, v224
	v_add_f32_e32 v169, v169, v170
	s_waitcnt vmcnt(8)
	v_mul_f32_e32 v170, v163, v226
	v_fma_f32 v114, v161, v223, -v114
	v_fmac_f32_e32 v170, v164, v225
	v_add_f32_e32 v113, v113, v114
	v_mul_f32_e32 v114, v164, v226
	v_add_f32_e32 v235, v169, v170
	ds_read2_b64 v[169:172], v112 offset0:109 offset1:110
	v_fma_f32 v114, v163, v225, -v114
	v_add_f32_e32 v113, v113, v114
	s_waitcnt vmcnt(6) lgkmcnt(1)
	v_mul_f32_e32 v114, v166, v228
	v_mul_f32_e32 v236, v165, v228
	v_fma_f32 v114, v165, v227, -v114
	v_fmac_f32_e32 v236, v166, v227
	v_add_f32_e32 v113, v113, v114
	s_waitcnt vmcnt(4)
	v_mul_f32_e32 v114, v168, v230
	v_add_f32_e32 v112, v235, v236
	v_mul_f32_e32 v235, v167, v230
	v_fma_f32 v114, v167, v229, -v114
	v_fmac_f32_e32 v235, v168, v229
	v_add_f32_e32 v113, v113, v114
	s_waitcnt vmcnt(2) lgkmcnt(0)
	v_mul_f32_e32 v114, v170, v232
	v_add_f32_e32 v112, v112, v235
	v_mul_f32_e32 v235, v169, v232
	v_fma_f32 v114, v169, v231, -v114
	v_fmac_f32_e32 v235, v170, v231
	v_add_f32_e32 v113, v113, v114
	s_waitcnt vmcnt(0)
	v_mul_f32_e32 v114, v172, v234
	v_add_f32_e32 v112, v112, v235
	v_mul_f32_e32 v235, v171, v234
	v_fma_f32 v114, v171, v233, -v114
	v_fmac_f32_e32 v235, v172, v233
	v_add_f32_e32 v113, v113, v114
	v_add_f32_e32 v112, v112, v235
	v_sub_f32_e32 v113, v197, v113
	v_sub_f32_e32 v112, v198, v112
	buffer_store_dword v113, off, s[0:3], 0 offset:192
	buffer_store_dword v112, off, s[0:3], 0 offset:196
	s_and_saveexec_b64 s[4:5], vcc
	s_cbranch_execz .LBB54_297
; %bb.296:
	buffer_load_dword v112, off, s[0:3], 0 offset:184
	buffer_load_dword v113, off, s[0:3], 0 offset:188
	v_mov_b32_e32 v114, 0
	buffer_store_dword v114, off, s[0:3], 0 offset:184
	buffer_store_dword v114, off, s[0:3], 0 offset:188
	s_waitcnt vmcnt(2)
	ds_write_b64 v111, v[112:113]
.LBB54_297:
	s_or_b64 exec, exec, s[4:5]
	s_waitcnt lgkmcnt(0)
	; wave barrier
	buffer_load_dword v175, off, s[0:3], 0 offset:196
	buffer_load_dword v176, off, s[0:3], 0 offset:204
	;; [unrolled: 1-line block ×56, first 2 shown]
	v_mov_b32_e32 v112, 0
	ds_read_b128 v[113:116], v112 offset:640
	buffer_load_dword v231, off, s[0:3], 0 offset:408
	buffer_load_dword v232, off, s[0:3], 0 offset:412
	;; [unrolled: 1-line block ×4, first 2 shown]
	ds_read_b128 v[117:120], v112 offset:656
	ds_read_b128 v[121:124], v112 offset:672
	;; [unrolled: 1-line block ×3, first 2 shown]
	v_cmp_lt_u32_e32 vcc, 22, v0
	s_waitcnt vmcnt(59) lgkmcnt(3)
	v_mul_f32_e32 v129, v113, v175
	s_waitcnt vmcnt(58)
	v_mul_f32_e32 v130, v115, v176
	s_waitcnt vmcnt(57) lgkmcnt(2)
	v_mul_f32_e32 v131, v117, v177
	s_waitcnt vmcnt(56)
	v_mul_f32_e32 v132, v119, v178
	;; [unrolled: 4-line block ×4, first 2 shown]
	s_waitcnt vmcnt(51)
	v_fmac_f32_e32 v129, v114, v183
	s_waitcnt vmcnt(50)
	v_fmac_f32_e32 v130, v116, v184
	v_add_f32_e32 v129, 0, v129
	s_waitcnt vmcnt(49)
	v_fmac_f32_e32 v131, v118, v185
	v_add_f32_e32 v129, v129, v130
	;; [unrolled: 3-line block ×6, first 2 shown]
	v_add_f32_e32 v133, v129, v135
	ds_read_b128 v[129:132], v112 offset:704
	buffer_load_dword v235, off, s[0:3], 0 offset:428
	buffer_load_dword v236, off, s[0:3], 0 offset:424
	;; [unrolled: 1-line block ×4, first 2 shown]
	s_waitcnt vmcnt(48)
	v_fmac_f32_e32 v136, v128, v190
	v_add_f32_e32 v137, v133, v136
	ds_read_b128 v[133:136], v112 offset:720
	s_waitcnt vmcnt(47) lgkmcnt(1)
	v_mul_f32_e32 v138, v129, v191
	v_mul_f32_e32 v114, v114, v175
	s_waitcnt vmcnt(46)
	v_fmac_f32_e32 v138, v130, v192
	v_fma_f32 v113, v113, v183, -v114
	v_mul_f32_e32 v114, v116, v176
	v_add_f32_e32 v137, v137, v138
	s_waitcnt vmcnt(45)
	v_mul_f32_e32 v138, v131, v193
	v_add_f32_e32 v113, 0, v113
	v_fma_f32 v114, v115, v184, -v114
	s_waitcnt vmcnt(44)
	v_fmac_f32_e32 v138, v132, v194
	v_add_f32_e32 v113, v113, v114
	v_mul_f32_e32 v114, v118, v177
	v_add_f32_e32 v137, v137, v138
	s_waitcnt vmcnt(42) lgkmcnt(0)
	v_mul_f32_e32 v138, v133, v196
	v_fma_f32 v114, v117, v185, -v114
	v_fmac_f32_e32 v138, v134, v195
	v_add_f32_e32 v113, v113, v114
	v_mul_f32_e32 v114, v120, v178
	v_add_f32_e32 v141, v137, v138
	ds_read_b128 v[137:140], v112 offset:736
	v_fma_f32 v114, v119, v186, -v114
	v_add_f32_e32 v113, v113, v114
	v_mul_f32_e32 v114, v122, v179
	s_waitcnt vmcnt(39)
	v_mul_f32_e32 v142, v135, v199
	v_fma_f32 v114, v121, v187, -v114
	s_waitcnt vmcnt(38)
	v_fmac_f32_e32 v142, v136, v200
	v_add_f32_e32 v113, v113, v114
	v_mul_f32_e32 v114, v124, v180
	v_add_f32_e32 v145, v141, v142
	ds_read_b128 v[141:144], v112 offset:752
	v_fma_f32 v114, v123, v188, -v114
	s_waitcnt vmcnt(36) lgkmcnt(1)
	v_mul_f32_e32 v146, v137, v202
	v_add_f32_e32 v113, v113, v114
	v_mul_f32_e32 v114, v126, v181
	v_fmac_f32_e32 v146, v138, v201
	v_fma_f32 v114, v125, v189, -v114
	v_add_f32_e32 v145, v145, v146
	s_waitcnt vmcnt(34)
	v_mul_f32_e32 v146, v139, v204
	v_add_f32_e32 v113, v113, v114
	v_mul_f32_e32 v114, v128, v182
	v_fmac_f32_e32 v146, v140, v203
	v_fma_f32 v114, v127, v190, -v114
	v_add_f32_e32 v145, v145, v146
	s_waitcnt vmcnt(32) lgkmcnt(0)
	v_mul_f32_e32 v146, v141, v206
	v_add_f32_e32 v113, v113, v114
	v_mul_f32_e32 v114, v130, v191
	v_fmac_f32_e32 v146, v142, v205
	v_fma_f32 v114, v129, v192, -v114
	v_add_f32_e32 v149, v145, v146
	ds_read_b128 v[145:148], v112 offset:768
	v_add_f32_e32 v113, v113, v114
	v_mul_f32_e32 v114, v132, v193
	v_fma_f32 v114, v131, v194, -v114
	s_waitcnt vmcnt(30)
	v_mul_f32_e32 v150, v143, v208
	v_add_f32_e32 v113, v113, v114
	v_mul_f32_e32 v114, v134, v196
	v_fmac_f32_e32 v150, v144, v207
	v_fma_f32 v114, v133, v195, -v114
	v_add_f32_e32 v153, v149, v150
	ds_read_b128 v[149:152], v112 offset:784
	v_add_f32_e32 v113, v113, v114
	v_mul_f32_e32 v114, v136, v199
	s_waitcnt vmcnt(28) lgkmcnt(1)
	v_mul_f32_e32 v154, v145, v210
	v_fma_f32 v114, v135, v200, -v114
	v_fmac_f32_e32 v154, v146, v209
	v_add_f32_e32 v113, v113, v114
	v_mul_f32_e32 v114, v138, v202
	v_add_f32_e32 v153, v153, v154
	s_waitcnt vmcnt(26)
	v_mul_f32_e32 v154, v147, v212
	v_fma_f32 v114, v137, v201, -v114
	v_fmac_f32_e32 v154, v148, v211
	v_add_f32_e32 v113, v113, v114
	v_mul_f32_e32 v114, v140, v204
	v_add_f32_e32 v153, v153, v154
	s_waitcnt vmcnt(24) lgkmcnt(0)
	v_mul_f32_e32 v154, v149, v214
	v_fma_f32 v114, v139, v203, -v114
	v_fmac_f32_e32 v154, v150, v213
	v_add_f32_e32 v113, v113, v114
	v_mul_f32_e32 v114, v142, v206
	v_add_f32_e32 v157, v153, v154
	ds_read_b128 v[153:156], v112 offset:800
	v_fma_f32 v114, v141, v205, -v114
	v_add_f32_e32 v113, v113, v114
	v_mul_f32_e32 v114, v144, v208
	s_waitcnt vmcnt(22)
	v_mul_f32_e32 v158, v151, v216
	v_fma_f32 v114, v143, v207, -v114
	v_fmac_f32_e32 v158, v152, v215
	v_add_f32_e32 v113, v113, v114
	v_mul_f32_e32 v114, v146, v210
	v_add_f32_e32 v161, v157, v158
	ds_read_b128 v[157:160], v112 offset:816
	v_fma_f32 v114, v145, v209, -v114
	s_waitcnt vmcnt(20) lgkmcnt(1)
	v_mul_f32_e32 v162, v153, v218
	v_add_f32_e32 v113, v113, v114
	v_mul_f32_e32 v114, v148, v212
	v_fmac_f32_e32 v162, v154, v217
	v_fma_f32 v114, v147, v211, -v114
	v_add_f32_e32 v161, v161, v162
	s_waitcnt vmcnt(18)
	v_mul_f32_e32 v162, v155, v220
	v_add_f32_e32 v113, v113, v114
	v_mul_f32_e32 v114, v150, v214
	v_fmac_f32_e32 v162, v156, v219
	v_fma_f32 v114, v149, v213, -v114
	v_add_f32_e32 v161, v161, v162
	s_waitcnt vmcnt(16) lgkmcnt(0)
	v_mul_f32_e32 v162, v157, v222
	v_add_f32_e32 v113, v113, v114
	v_mul_f32_e32 v114, v152, v216
	v_fmac_f32_e32 v162, v158, v221
	v_fma_f32 v114, v151, v215, -v114
	v_add_f32_e32 v165, v161, v162
	ds_read_b128 v[161:164], v112 offset:832
	v_add_f32_e32 v113, v113, v114
	v_mul_f32_e32 v114, v154, v218
	v_fma_f32 v114, v153, v217, -v114
	s_waitcnt vmcnt(14)
	v_mul_f32_e32 v166, v159, v224
	v_add_f32_e32 v113, v113, v114
	v_mul_f32_e32 v114, v156, v220
	v_fmac_f32_e32 v166, v160, v223
	v_fma_f32 v114, v155, v219, -v114
	v_add_f32_e32 v169, v165, v166
	ds_read_b128 v[165:168], v112 offset:848
	v_add_f32_e32 v113, v113, v114
	v_mul_f32_e32 v114, v158, v222
	s_waitcnt vmcnt(12) lgkmcnt(1)
	v_mul_f32_e32 v170, v161, v226
	v_fma_f32 v114, v157, v221, -v114
	v_fmac_f32_e32 v170, v162, v225
	v_add_f32_e32 v113, v113, v114
	v_mul_f32_e32 v114, v160, v224
	v_add_f32_e32 v169, v169, v170
	s_waitcnt vmcnt(10)
	v_mul_f32_e32 v170, v163, v228
	v_fma_f32 v114, v159, v223, -v114
	v_fmac_f32_e32 v170, v164, v227
	v_add_f32_e32 v113, v113, v114
	v_mul_f32_e32 v114, v162, v226
	v_add_f32_e32 v169, v169, v170
	s_waitcnt vmcnt(8) lgkmcnt(0)
	v_mul_f32_e32 v170, v165, v230
	v_fma_f32 v114, v161, v225, -v114
	v_fmac_f32_e32 v170, v166, v229
	v_add_f32_e32 v113, v113, v114
	v_mul_f32_e32 v114, v164, v228
	v_add_f32_e32 v173, v169, v170
	ds_read_b128 v[169:172], v112 offset:864
	v_fma_f32 v114, v163, v227, -v114
	v_add_f32_e32 v113, v113, v114
	v_mul_f32_e32 v114, v166, v230
	s_waitcnt vmcnt(6)
	v_mul_f32_e32 v174, v167, v232
	v_fma_f32 v114, v165, v229, -v114
	v_fmac_f32_e32 v174, v168, v231
	v_add_f32_e32 v113, v113, v114
	v_mul_f32_e32 v114, v168, v232
	v_add_f32_e32 v239, v173, v174
	ds_read_b64 v[173:174], v112 offset:880
	v_fma_f32 v114, v167, v231, -v114
	v_add_f32_e32 v113, v113, v114
	s_waitcnt vmcnt(4) lgkmcnt(1)
	v_mul_f32_e32 v114, v170, v234
	v_mul_f32_e32 v240, v169, v234
	v_fma_f32 v114, v169, v233, -v114
	v_fmac_f32_e32 v240, v170, v233
	v_add_f32_e32 v113, v113, v114
	s_waitcnt vmcnt(3)
	v_mul_f32_e32 v114, v172, v235
	v_add_f32_e32 v239, v239, v240
	v_mul_f32_e32 v240, v171, v235
	s_waitcnt vmcnt(2)
	v_fma_f32 v114, v171, v236, -v114
	v_fmac_f32_e32 v240, v172, v236
	v_add_f32_e32 v113, v113, v114
	s_waitcnt vmcnt(0) lgkmcnt(0)
	v_mul_f32_e32 v114, v174, v238
	v_add_f32_e32 v239, v239, v240
	v_mul_f32_e32 v240, v173, v238
	v_fma_f32 v114, v173, v237, -v114
	v_fmac_f32_e32 v240, v174, v237
	v_add_f32_e32 v113, v113, v114
	v_add_f32_e32 v239, v239, v240
	v_sub_f32_e32 v113, v197, v113
	v_sub_f32_e32 v114, v198, v239
	buffer_store_dword v113, off, s[0:3], 0 offset:184
	buffer_store_dword v114, off, s[0:3], 0 offset:188
	s_and_saveexec_b64 s[4:5], vcc
	s_cbranch_execz .LBB54_299
; %bb.298:
	buffer_load_dword v113, off, s[0:3], 0 offset:176
	buffer_load_dword v114, off, s[0:3], 0 offset:180
	s_waitcnt vmcnt(0)
	ds_write_b64 v111, v[113:114]
	buffer_store_dword v112, off, s[0:3], 0 offset:176
	buffer_store_dword v112, off, s[0:3], 0 offset:180
.LBB54_299:
	s_or_b64 exec, exec, s[4:5]
	s_waitcnt lgkmcnt(0)
	; wave barrier
	buffer_load_dword v177, off, s[0:3], 0 offset:188
	buffer_load_dword v178, off, s[0:3], 0 offset:196
	;; [unrolled: 1-line block ×26, first 2 shown]
	ds_read2_b64 v[113:116], v112 offset0:79 offset1:80
	ds_read2_b64 v[117:120], v112 offset0:81 offset1:82
	;; [unrolled: 1-line block ×4, first 2 shown]
	buffer_load_dword v203, off, s[0:3], 0 offset:284
	buffer_load_dword v204, off, s[0:3], 0 offset:280
	;; [unrolled: 1-line block ×34, first 2 shown]
	v_cmp_lt_u32_e32 vcc, 21, v0
	s_waitcnt vmcnt(59) lgkmcnt(3)
	v_mul_f32_e32 v129, v113, v177
	s_waitcnt vmcnt(58)
	v_mul_f32_e32 v130, v115, v178
	s_waitcnt vmcnt(57) lgkmcnt(2)
	v_mul_f32_e32 v131, v117, v179
	s_waitcnt vmcnt(56)
	v_mul_f32_e32 v132, v119, v180
	;; [unrolled: 4-line block ×4, first 2 shown]
	s_waitcnt vmcnt(51)
	v_fmac_f32_e32 v129, v114, v185
	s_waitcnt vmcnt(50)
	v_fmac_f32_e32 v130, v116, v186
	v_add_f32_e32 v129, 0, v129
	s_waitcnt vmcnt(49)
	v_fmac_f32_e32 v131, v118, v187
	v_add_f32_e32 v129, v129, v130
	;; [unrolled: 3-line block ×7, first 2 shown]
	v_add_f32_e32 v137, v129, v136
	ds_read2_b64 v[129:132], v112 offset0:87 offset1:88
	buffer_load_dword v237, off, s[0:3], 0 offset:420
	buffer_load_dword v238, off, s[0:3], 0 offset:416
	;; [unrolled: 1-line block ×4, first 2 shown]
	ds_read2_b64 v[133:136], v112 offset0:89 offset1:90
	buffer_load_dword v241, off, s[0:3], 0 offset:432
	buffer_load_dword v242, off, s[0:3], 0 offset:436
	v_mul_f32_e32 v114, v114, v177
	s_waitcnt vmcnt(49) lgkmcnt(1)
	v_mul_f32_e32 v138, v129, v193
	s_waitcnt vmcnt(48)
	v_fmac_f32_e32 v138, v130, v194
	v_fma_f32 v113, v113, v185, -v114
	v_mul_f32_e32 v114, v116, v178
	v_add_f32_e32 v137, v137, v138
	s_waitcnt vmcnt(46)
	v_mul_f32_e32 v138, v131, v196
	v_add_f32_e32 v113, 0, v113
	v_fma_f32 v114, v115, v186, -v114
	v_fmac_f32_e32 v138, v132, v195
	v_add_f32_e32 v113, v113, v114
	v_mul_f32_e32 v114, v118, v179
	v_add_f32_e32 v137, v137, v138
	s_waitcnt vmcnt(43) lgkmcnt(0)
	v_mul_f32_e32 v138, v133, v199
	v_fma_f32 v114, v117, v187, -v114
	s_waitcnt vmcnt(42)
	v_fmac_f32_e32 v138, v134, v200
	v_add_f32_e32 v113, v113, v114
	v_mul_f32_e32 v114, v120, v180
	v_add_f32_e32 v141, v137, v138
	ds_read2_b64 v[137:140], v112 offset0:91 offset1:92
	v_fma_f32 v114, v119, v188, -v114
	v_add_f32_e32 v113, v113, v114
	v_mul_f32_e32 v114, v122, v181
	s_waitcnt vmcnt(40)
	v_mul_f32_e32 v142, v135, v202
	v_fma_f32 v114, v121, v189, -v114
	v_fmac_f32_e32 v142, v136, v201
	v_add_f32_e32 v113, v113, v114
	v_mul_f32_e32 v114, v124, v182
	v_add_f32_e32 v145, v141, v142
	ds_read2_b64 v[141:144], v112 offset0:93 offset1:94
	v_fma_f32 v114, v123, v190, -v114
	s_waitcnt vmcnt(39) lgkmcnt(1)
	v_mul_f32_e32 v146, v137, v203
	v_add_f32_e32 v113, v113, v114
	v_mul_f32_e32 v114, v126, v183
	s_waitcnt vmcnt(38)
	v_fmac_f32_e32 v146, v138, v204
	v_fma_f32 v114, v125, v191, -v114
	v_add_f32_e32 v145, v145, v146
	s_waitcnt vmcnt(36)
	v_mul_f32_e32 v146, v139, v206
	v_add_f32_e32 v113, v113, v114
	v_mul_f32_e32 v114, v128, v184
	v_fmac_f32_e32 v146, v140, v205
	v_fma_f32 v114, v127, v192, -v114
	v_add_f32_e32 v145, v145, v146
	s_waitcnt vmcnt(34) lgkmcnt(0)
	v_mul_f32_e32 v146, v141, v208
	v_add_f32_e32 v113, v113, v114
	v_mul_f32_e32 v114, v130, v193
	v_fmac_f32_e32 v146, v142, v207
	v_fma_f32 v114, v129, v194, -v114
	v_add_f32_e32 v149, v145, v146
	ds_read2_b64 v[145:148], v112 offset0:95 offset1:96
	v_add_f32_e32 v113, v113, v114
	v_mul_f32_e32 v114, v132, v196
	v_fma_f32 v114, v131, v195, -v114
	s_waitcnt vmcnt(32)
	v_mul_f32_e32 v150, v143, v210
	v_add_f32_e32 v113, v113, v114
	v_mul_f32_e32 v114, v134, v199
	v_fmac_f32_e32 v150, v144, v209
	v_fma_f32 v114, v133, v200, -v114
	v_add_f32_e32 v153, v149, v150
	ds_read2_b64 v[149:152], v112 offset0:97 offset1:98
	v_add_f32_e32 v113, v113, v114
	v_mul_f32_e32 v114, v136, v202
	s_waitcnt vmcnt(30) lgkmcnt(1)
	v_mul_f32_e32 v154, v145, v212
	v_fma_f32 v114, v135, v201, -v114
	v_fmac_f32_e32 v154, v146, v211
	v_add_f32_e32 v113, v113, v114
	v_mul_f32_e32 v114, v138, v203
	v_add_f32_e32 v153, v153, v154
	s_waitcnt vmcnt(28)
	v_mul_f32_e32 v154, v147, v214
	v_fma_f32 v114, v137, v204, -v114
	v_fmac_f32_e32 v154, v148, v213
	v_add_f32_e32 v113, v113, v114
	v_mul_f32_e32 v114, v140, v206
	v_add_f32_e32 v153, v153, v154
	s_waitcnt vmcnt(26) lgkmcnt(0)
	v_mul_f32_e32 v154, v149, v216
	v_fma_f32 v114, v139, v205, -v114
	v_fmac_f32_e32 v154, v150, v215
	v_add_f32_e32 v113, v113, v114
	v_mul_f32_e32 v114, v142, v208
	v_add_f32_e32 v157, v153, v154
	ds_read2_b64 v[153:156], v112 offset0:99 offset1:100
	v_fma_f32 v114, v141, v207, -v114
	v_add_f32_e32 v113, v113, v114
	v_mul_f32_e32 v114, v144, v210
	s_waitcnt vmcnt(24)
	v_mul_f32_e32 v158, v151, v218
	v_fma_f32 v114, v143, v209, -v114
	v_fmac_f32_e32 v158, v152, v217
	v_add_f32_e32 v113, v113, v114
	v_mul_f32_e32 v114, v146, v212
	v_add_f32_e32 v161, v157, v158
	ds_read2_b64 v[157:160], v112 offset0:101 offset1:102
	v_fma_f32 v114, v145, v211, -v114
	s_waitcnt vmcnt(22) lgkmcnt(1)
	v_mul_f32_e32 v162, v153, v220
	v_add_f32_e32 v113, v113, v114
	v_mul_f32_e32 v114, v148, v214
	v_fmac_f32_e32 v162, v154, v219
	v_fma_f32 v114, v147, v213, -v114
	v_add_f32_e32 v161, v161, v162
	s_waitcnt vmcnt(20)
	v_mul_f32_e32 v162, v155, v222
	v_add_f32_e32 v113, v113, v114
	v_mul_f32_e32 v114, v150, v216
	v_fmac_f32_e32 v162, v156, v221
	v_fma_f32 v114, v149, v215, -v114
	v_add_f32_e32 v161, v161, v162
	s_waitcnt vmcnt(18) lgkmcnt(0)
	v_mul_f32_e32 v162, v157, v224
	v_add_f32_e32 v113, v113, v114
	v_mul_f32_e32 v114, v152, v218
	v_fmac_f32_e32 v162, v158, v223
	v_fma_f32 v114, v151, v217, -v114
	v_add_f32_e32 v165, v161, v162
	ds_read2_b64 v[161:164], v112 offset0:103 offset1:104
	v_add_f32_e32 v113, v113, v114
	v_mul_f32_e32 v114, v154, v220
	v_fma_f32 v114, v153, v219, -v114
	s_waitcnt vmcnt(16)
	v_mul_f32_e32 v166, v159, v226
	v_add_f32_e32 v113, v113, v114
	v_mul_f32_e32 v114, v156, v222
	v_fmac_f32_e32 v166, v160, v225
	v_fma_f32 v114, v155, v221, -v114
	v_add_f32_e32 v169, v165, v166
	ds_read2_b64 v[165:168], v112 offset0:105 offset1:106
	v_add_f32_e32 v113, v113, v114
	v_mul_f32_e32 v114, v158, v224
	s_waitcnt vmcnt(14) lgkmcnt(1)
	v_mul_f32_e32 v170, v161, v228
	v_fma_f32 v114, v157, v223, -v114
	v_fmac_f32_e32 v170, v162, v227
	v_add_f32_e32 v113, v113, v114
	v_mul_f32_e32 v114, v160, v226
	v_add_f32_e32 v169, v169, v170
	s_waitcnt vmcnt(12)
	v_mul_f32_e32 v170, v163, v230
	v_fma_f32 v114, v159, v225, -v114
	v_fmac_f32_e32 v170, v164, v229
	v_add_f32_e32 v113, v113, v114
	v_mul_f32_e32 v114, v162, v228
	v_add_f32_e32 v169, v169, v170
	s_waitcnt vmcnt(10) lgkmcnt(0)
	v_mul_f32_e32 v170, v165, v232
	v_fma_f32 v114, v161, v227, -v114
	v_fmac_f32_e32 v170, v166, v231
	v_add_f32_e32 v113, v113, v114
	v_mul_f32_e32 v114, v164, v230
	v_add_f32_e32 v173, v169, v170
	ds_read2_b64 v[169:172], v112 offset0:107 offset1:108
	v_fma_f32 v114, v163, v229, -v114
	v_add_f32_e32 v113, v113, v114
	v_mul_f32_e32 v114, v166, v232
	s_waitcnt vmcnt(8)
	v_mul_f32_e32 v174, v167, v234
	v_fma_f32 v114, v165, v231, -v114
	v_fmac_f32_e32 v174, v168, v233
	v_add_f32_e32 v113, v113, v114
	v_mul_f32_e32 v114, v168, v234
	v_add_f32_e32 v243, v173, v174
	ds_read2_b64 v[173:176], v112 offset0:109 offset1:110
	v_fma_f32 v114, v167, v233, -v114
	v_add_f32_e32 v113, v113, v114
	s_waitcnt vmcnt(6) lgkmcnt(1)
	v_mul_f32_e32 v114, v170, v236
	v_mul_f32_e32 v112, v169, v236
	v_fma_f32 v114, v169, v235, -v114
	v_fmac_f32_e32 v112, v170, v235
	v_add_f32_e32 v113, v113, v114
	s_waitcnt vmcnt(5)
	v_mul_f32_e32 v114, v172, v237
	v_add_f32_e32 v112, v243, v112
	v_mul_f32_e32 v243, v171, v237
	s_waitcnt vmcnt(4)
	v_fma_f32 v114, v171, v238, -v114
	v_fmac_f32_e32 v243, v172, v238
	v_add_f32_e32 v113, v113, v114
	s_waitcnt vmcnt(2) lgkmcnt(0)
	v_mul_f32_e32 v114, v174, v240
	v_add_f32_e32 v112, v112, v243
	v_mul_f32_e32 v243, v173, v240
	v_fma_f32 v114, v173, v239, -v114
	v_fmac_f32_e32 v243, v174, v239
	v_add_f32_e32 v113, v113, v114
	s_waitcnt vmcnt(0)
	v_mul_f32_e32 v114, v176, v242
	v_add_f32_e32 v112, v112, v243
	v_mul_f32_e32 v243, v175, v242
	v_fma_f32 v114, v175, v241, -v114
	v_fmac_f32_e32 v243, v176, v241
	v_add_f32_e32 v113, v113, v114
	v_add_f32_e32 v112, v112, v243
	v_sub_f32_e32 v113, v197, v113
	v_sub_f32_e32 v112, v198, v112
	buffer_store_dword v113, off, s[0:3], 0 offset:176
	buffer_store_dword v112, off, s[0:3], 0 offset:180
	s_and_saveexec_b64 s[4:5], vcc
	s_cbranch_execz .LBB54_301
; %bb.300:
	buffer_load_dword v112, off, s[0:3], 0 offset:168
	buffer_load_dword v113, off, s[0:3], 0 offset:172
	v_mov_b32_e32 v114, 0
	buffer_store_dword v114, off, s[0:3], 0 offset:168
	buffer_store_dword v114, off, s[0:3], 0 offset:172
	s_waitcnt vmcnt(2)
	ds_write_b64 v111, v[112:113]
.LBB54_301:
	s_or_b64 exec, exec, s[4:5]
	s_waitcnt lgkmcnt(0)
	; wave barrier
	buffer_load_dword v179, off, s[0:3], 0 offset:180
	buffer_load_dword v180, off, s[0:3], 0 offset:188
	;; [unrolled: 1-line block ×58, first 2 shown]
	v_mov_b32_e32 v112, 0
	ds_read_b128 v[113:116], v112 offset:624
	ds_read_b128 v[117:120], v112 offset:640
	ds_read_b128 v[121:124], v112 offset:656
	ds_read_b128 v[125:128], v112 offset:672
	ds_read_b128 v[129:132], v112 offset:688
	buffer_load_dword v237, off, s[0:3], 0 offset:400
	buffer_load_dword v238, off, s[0:3], 0 offset:404
	v_cmp_lt_u32_e32 vcc, 20, v0
	s_waitcnt vmcnt(59) lgkmcnt(4)
	v_mul_f32_e32 v133, v113, v179
	s_waitcnt vmcnt(58)
	v_mul_f32_e32 v134, v115, v180
	s_waitcnt vmcnt(57) lgkmcnt(3)
	v_mul_f32_e32 v135, v117, v181
	s_waitcnt vmcnt(56)
	v_mul_f32_e32 v136, v119, v182
	s_waitcnt vmcnt(55) lgkmcnt(2)
	v_mul_f32_e32 v137, v121, v183
	s_waitcnt vmcnt(54)
	v_mul_f32_e32 v138, v123, v184
	s_waitcnt vmcnt(53) lgkmcnt(1)
	v_mul_f32_e32 v139, v125, v185
	s_waitcnt vmcnt(52)
	v_mul_f32_e32 v140, v127, v186
	s_waitcnt vmcnt(51)
	v_fmac_f32_e32 v133, v114, v187
	s_waitcnt vmcnt(50)
	v_fmac_f32_e32 v134, v116, v188
	v_add_f32_e32 v133, 0, v133
	s_waitcnt vmcnt(49)
	v_fmac_f32_e32 v135, v118, v189
	v_add_f32_e32 v133, v133, v134
	;; [unrolled: 3-line block ×7, first 2 shown]
	v_add_f32_e32 v137, v133, v140
	ds_read_b128 v[133:136], v112 offset:704
	buffer_load_dword v239, off, s[0:3], 0 offset:412
	buffer_load_dword v240, off, s[0:3], 0 offset:408
	;; [unrolled: 1-line block ×8, first 2 shown]
	s_waitcnt vmcnt(51) lgkmcnt(1)
	v_mul_f32_e32 v138, v129, v195
	s_waitcnt vmcnt(50)
	v_fmac_f32_e32 v138, v130, v196
	v_mul_f32_e32 v114, v114, v179
	v_add_f32_e32 v137, v137, v138
	s_waitcnt vmcnt(49)
	v_mul_f32_e32 v138, v131, v197
	v_fma_f32 v113, v113, v187, -v114
	v_mul_f32_e32 v114, v116, v180
	s_waitcnt vmcnt(46)
	v_fmac_f32_e32 v138, v132, v200
	v_add_f32_e32 v113, 0, v113
	v_fma_f32 v114, v115, v188, -v114
	v_add_f32_e32 v137, v137, v138
	s_waitcnt vmcnt(44) lgkmcnt(0)
	v_mul_f32_e32 v138, v133, v202
	v_add_f32_e32 v113, v113, v114
	v_mul_f32_e32 v114, v118, v181
	v_fmac_f32_e32 v138, v134, v201
	v_fma_f32 v114, v117, v189, -v114
	v_add_f32_e32 v141, v137, v138
	ds_read_b128 v[137:140], v112 offset:720
	v_add_f32_e32 v113, v113, v114
	v_mul_f32_e32 v114, v120, v182
	v_fma_f32 v114, v119, v190, -v114
	s_waitcnt vmcnt(42)
	v_mul_f32_e32 v142, v135, v204
	v_add_f32_e32 v113, v113, v114
	v_mul_f32_e32 v114, v122, v183
	v_fmac_f32_e32 v142, v136, v203
	v_fma_f32 v114, v121, v191, -v114
	v_add_f32_e32 v145, v141, v142
	ds_read_b128 v[141:144], v112 offset:736
	v_add_f32_e32 v113, v113, v114
	v_mul_f32_e32 v114, v124, v184
	s_waitcnt vmcnt(40) lgkmcnt(1)
	v_mul_f32_e32 v146, v137, v206
	v_fma_f32 v114, v123, v192, -v114
	v_fmac_f32_e32 v146, v138, v205
	v_add_f32_e32 v113, v113, v114
	v_mul_f32_e32 v114, v126, v185
	v_add_f32_e32 v145, v145, v146
	s_waitcnt vmcnt(38)
	v_mul_f32_e32 v146, v139, v208
	v_fma_f32 v114, v125, v193, -v114
	v_fmac_f32_e32 v146, v140, v207
	v_add_f32_e32 v113, v113, v114
	v_mul_f32_e32 v114, v128, v186
	v_add_f32_e32 v145, v145, v146
	s_waitcnt vmcnt(36) lgkmcnt(0)
	v_mul_f32_e32 v146, v141, v210
	v_fma_f32 v114, v127, v194, -v114
	v_fmac_f32_e32 v146, v142, v209
	v_add_f32_e32 v113, v113, v114
	v_mul_f32_e32 v114, v130, v195
	v_add_f32_e32 v149, v145, v146
	ds_read_b128 v[145:148], v112 offset:752
	v_fma_f32 v114, v129, v196, -v114
	v_add_f32_e32 v113, v113, v114
	v_mul_f32_e32 v114, v132, v197
	s_waitcnt vmcnt(34)
	v_mul_f32_e32 v150, v143, v212
	v_fma_f32 v114, v131, v200, -v114
	v_fmac_f32_e32 v150, v144, v211
	v_add_f32_e32 v113, v113, v114
	v_mul_f32_e32 v114, v134, v202
	v_add_f32_e32 v153, v149, v150
	ds_read_b128 v[149:152], v112 offset:768
	v_fma_f32 v114, v133, v201, -v114
	s_waitcnt vmcnt(32) lgkmcnt(1)
	v_mul_f32_e32 v154, v145, v214
	v_add_f32_e32 v113, v113, v114
	v_mul_f32_e32 v114, v136, v204
	v_fmac_f32_e32 v154, v146, v213
	v_fma_f32 v114, v135, v203, -v114
	v_add_f32_e32 v153, v153, v154
	s_waitcnt vmcnt(30)
	v_mul_f32_e32 v154, v147, v216
	v_add_f32_e32 v113, v113, v114
	v_mul_f32_e32 v114, v138, v206
	v_fmac_f32_e32 v154, v148, v215
	v_fma_f32 v114, v137, v205, -v114
	v_add_f32_e32 v153, v153, v154
	s_waitcnt vmcnt(28) lgkmcnt(0)
	v_mul_f32_e32 v154, v149, v218
	v_add_f32_e32 v113, v113, v114
	v_mul_f32_e32 v114, v140, v208
	v_fmac_f32_e32 v154, v150, v217
	v_fma_f32 v114, v139, v207, -v114
	v_add_f32_e32 v157, v153, v154
	ds_read_b128 v[153:156], v112 offset:784
	v_add_f32_e32 v113, v113, v114
	v_mul_f32_e32 v114, v142, v210
	v_fma_f32 v114, v141, v209, -v114
	s_waitcnt vmcnt(26)
	v_mul_f32_e32 v158, v151, v220
	v_add_f32_e32 v113, v113, v114
	v_mul_f32_e32 v114, v144, v212
	v_fmac_f32_e32 v158, v152, v219
	v_fma_f32 v114, v143, v211, -v114
	v_add_f32_e32 v161, v157, v158
	ds_read_b128 v[157:160], v112 offset:800
	v_add_f32_e32 v113, v113, v114
	v_mul_f32_e32 v114, v146, v214
	s_waitcnt vmcnt(24) lgkmcnt(1)
	v_mul_f32_e32 v162, v153, v222
	v_fma_f32 v114, v145, v213, -v114
	v_fmac_f32_e32 v162, v154, v221
	v_add_f32_e32 v113, v113, v114
	v_mul_f32_e32 v114, v148, v216
	v_add_f32_e32 v161, v161, v162
	s_waitcnt vmcnt(22)
	v_mul_f32_e32 v162, v155, v224
	v_fma_f32 v114, v147, v215, -v114
	v_fmac_f32_e32 v162, v156, v223
	v_add_f32_e32 v113, v113, v114
	v_mul_f32_e32 v114, v150, v218
	v_add_f32_e32 v161, v161, v162
	s_waitcnt vmcnt(20) lgkmcnt(0)
	v_mul_f32_e32 v162, v157, v226
	v_fma_f32 v114, v149, v217, -v114
	v_fmac_f32_e32 v162, v158, v225
	v_add_f32_e32 v113, v113, v114
	v_mul_f32_e32 v114, v152, v220
	v_add_f32_e32 v165, v161, v162
	ds_read_b128 v[161:164], v112 offset:816
	v_fma_f32 v114, v151, v219, -v114
	v_add_f32_e32 v113, v113, v114
	v_mul_f32_e32 v114, v154, v222
	s_waitcnt vmcnt(18)
	v_mul_f32_e32 v166, v159, v228
	v_fma_f32 v114, v153, v221, -v114
	v_fmac_f32_e32 v166, v160, v227
	v_add_f32_e32 v113, v113, v114
	v_mul_f32_e32 v114, v156, v224
	v_add_f32_e32 v169, v165, v166
	ds_read_b128 v[165:168], v112 offset:832
	v_fma_f32 v114, v155, v223, -v114
	s_waitcnt vmcnt(16) lgkmcnt(1)
	v_mul_f32_e32 v170, v161, v230
	v_add_f32_e32 v113, v113, v114
	v_mul_f32_e32 v114, v158, v226
	v_fmac_f32_e32 v170, v162, v229
	v_fma_f32 v114, v157, v225, -v114
	v_add_f32_e32 v169, v169, v170
	s_waitcnt vmcnt(14)
	v_mul_f32_e32 v170, v163, v232
	v_add_f32_e32 v113, v113, v114
	v_mul_f32_e32 v114, v160, v228
	v_fmac_f32_e32 v170, v164, v231
	v_fma_f32 v114, v159, v227, -v114
	v_add_f32_e32 v169, v169, v170
	s_waitcnt vmcnt(12) lgkmcnt(0)
	v_mul_f32_e32 v170, v165, v234
	v_add_f32_e32 v113, v113, v114
	v_mul_f32_e32 v114, v162, v230
	v_fmac_f32_e32 v170, v166, v233
	v_fma_f32 v114, v161, v229, -v114
	v_add_f32_e32 v173, v169, v170
	ds_read_b128 v[169:172], v112 offset:848
	v_add_f32_e32 v113, v113, v114
	v_mul_f32_e32 v114, v164, v232
	v_fma_f32 v114, v163, v231, -v114
	v_add_f32_e32 v113, v113, v114
	v_mul_f32_e32 v114, v166, v234
	s_waitcnt vmcnt(10)
	v_mul_f32_e32 v174, v167, v236
	v_fma_f32 v114, v165, v233, -v114
	v_fmac_f32_e32 v174, v168, v235
	v_add_f32_e32 v113, v113, v114
	v_mul_f32_e32 v114, v168, v236
	v_add_f32_e32 v177, v173, v174
	ds_read_b128 v[173:176], v112 offset:864
	s_waitcnt vmcnt(8) lgkmcnt(1)
	v_mul_f32_e32 v178, v169, v238
	v_fma_f32 v114, v167, v235, -v114
	v_fmac_f32_e32 v178, v170, v237
	v_add_f32_e32 v113, v113, v114
	v_mul_f32_e32 v114, v170, v238
	v_add_f32_e32 v177, v177, v178
	s_waitcnt vmcnt(7)
	v_mul_f32_e32 v178, v171, v239
	v_fma_f32 v114, v169, v237, -v114
	s_waitcnt vmcnt(6)
	v_fmac_f32_e32 v178, v172, v240
	v_add_f32_e32 v113, v113, v114
	v_mul_f32_e32 v114, v172, v239
	v_add_f32_e32 v247, v177, v178
	ds_read_b64 v[177:178], v112 offset:880
	v_fma_f32 v114, v171, v240, -v114
	v_add_f32_e32 v113, v113, v114
	s_waitcnt vmcnt(4) lgkmcnt(1)
	v_mul_f32_e32 v114, v174, v242
	v_mul_f32_e32 v248, v173, v242
	v_fma_f32 v114, v173, v241, -v114
	v_fmac_f32_e32 v248, v174, v241
	v_add_f32_e32 v113, v113, v114
	s_waitcnt vmcnt(3)
	v_mul_f32_e32 v114, v176, v243
	v_add_f32_e32 v247, v247, v248
	v_mul_f32_e32 v248, v175, v243
	s_waitcnt vmcnt(2)
	v_fma_f32 v114, v175, v244, -v114
	v_fmac_f32_e32 v248, v176, v244
	v_add_f32_e32 v113, v113, v114
	s_waitcnt vmcnt(0) lgkmcnt(0)
	v_mul_f32_e32 v114, v178, v246
	v_add_f32_e32 v247, v247, v248
	v_mul_f32_e32 v248, v177, v246
	v_fma_f32 v114, v177, v245, -v114
	v_fmac_f32_e32 v248, v178, v245
	v_add_f32_e32 v113, v113, v114
	v_add_f32_e32 v247, v247, v248
	v_sub_f32_e32 v113, v198, v113
	v_sub_f32_e32 v114, v199, v247
	buffer_store_dword v113, off, s[0:3], 0 offset:168
	buffer_store_dword v114, off, s[0:3], 0 offset:172
	s_and_saveexec_b64 s[4:5], vcc
	s_cbranch_execz .LBB54_303
; %bb.302:
	buffer_load_dword v113, off, s[0:3], 0 offset:160
	buffer_load_dword v114, off, s[0:3], 0 offset:164
	s_waitcnt vmcnt(0)
	ds_write_b64 v111, v[113:114]
	buffer_store_dword v112, off, s[0:3], 0 offset:160
	buffer_store_dword v112, off, s[0:3], 0 offset:164
.LBB54_303:
	s_or_b64 exec, exec, s[4:5]
	s_waitcnt lgkmcnt(0)
	; wave barrier
	buffer_load_dword v181, off, s[0:3], 0 offset:172
	buffer_load_dword v182, off, s[0:3], 0 offset:180
	;; [unrolled: 1-line block ×24, first 2 shown]
	ds_read2_b64 v[113:116], v112 offset0:77 offset1:78
	ds_read2_b64 v[117:120], v112 offset0:79 offset1:80
	;; [unrolled: 1-line block ×6, first 2 shown]
	buffer_load_dword v205, off, s[0:3], 0 offset:260
	buffer_load_dword v206, off, s[0:3], 0 offset:256
	;; [unrolled: 1-line block ×46, first 2 shown]
	v_cmp_lt_u32_e32 vcc, 19, v0
	s_waitcnt vmcnt(62) lgkmcnt(5)
	v_mul_f32_e32 v137, v113, v181
	v_mul_f32_e32 v138, v115, v182
	s_waitcnt lgkmcnt(4)
	v_mul_f32_e32 v139, v117, v183
	v_mul_f32_e32 v140, v119, v184
	s_waitcnt lgkmcnt(3)
	;; [unrolled: 3-line block ×3, first 2 shown]
	v_mul_f32_e32 v143, v125, v187
	v_mul_f32_e32 v144, v127, v188
	s_waitcnt vmcnt(61)
	v_fmac_f32_e32 v137, v114, v189
	s_waitcnt vmcnt(60)
	v_fmac_f32_e32 v138, v116, v190
	v_add_f32_e32 v137, 0, v137
	s_waitcnt vmcnt(59)
	v_fmac_f32_e32 v139, v118, v191
	v_add_f32_e32 v137, v137, v138
	;; [unrolled: 3-line block ×7, first 2 shown]
	s_waitcnt vmcnt(53) lgkmcnt(1)
	v_mul_f32_e32 v138, v129, v197
	v_add_f32_e32 v137, v137, v144
	s_waitcnt vmcnt(52)
	v_fmac_f32_e32 v138, v130, v198
	v_mul_f32_e32 v114, v114, v181
	v_add_f32_e32 v137, v137, v138
	s_waitcnt vmcnt(51)
	v_mul_f32_e32 v138, v131, v199
	v_fma_f32 v113, v113, v189, -v114
	v_mul_f32_e32 v114, v116, v182
	s_waitcnt vmcnt(50)
	v_fmac_f32_e32 v138, v132, v200
	v_add_f32_e32 v113, 0, v113
	v_fma_f32 v114, v115, v190, -v114
	v_add_f32_e32 v137, v137, v138
	s_waitcnt vmcnt(47) lgkmcnt(0)
	v_mul_f32_e32 v138, v133, v203
	v_add_f32_e32 v113, v113, v114
	v_mul_f32_e32 v114, v118, v183
	s_waitcnt vmcnt(46)
	v_fmac_f32_e32 v138, v134, v204
	v_fma_f32 v114, v117, v191, -v114
	v_add_f32_e32 v141, v137, v138
	ds_read2_b64 v[137:140], v112 offset0:89 offset1:90
	v_add_f32_e32 v113, v113, v114
	v_mul_f32_e32 v114, v120, v184
	v_fma_f32 v114, v119, v192, -v114
	s_waitcnt vmcnt(45)
	v_mul_f32_e32 v142, v135, v205
	v_add_f32_e32 v113, v113, v114
	v_mul_f32_e32 v114, v122, v185
	s_waitcnt vmcnt(44)
	v_fmac_f32_e32 v142, v136, v206
	v_fma_f32 v114, v121, v193, -v114
	v_add_f32_e32 v145, v141, v142
	ds_read2_b64 v[141:144], v112 offset0:91 offset1:92
	v_add_f32_e32 v113, v113, v114
	v_mul_f32_e32 v114, v124, v186
	s_waitcnt vmcnt(42) lgkmcnt(1)
	v_mul_f32_e32 v146, v137, v208
	v_fma_f32 v114, v123, v194, -v114
	v_fmac_f32_e32 v146, v138, v207
	v_add_f32_e32 v113, v113, v114
	v_mul_f32_e32 v114, v126, v187
	v_add_f32_e32 v145, v145, v146
	s_waitcnt vmcnt(40)
	v_mul_f32_e32 v146, v139, v210
	v_fma_f32 v114, v125, v195, -v114
	v_fmac_f32_e32 v146, v140, v209
	v_add_f32_e32 v113, v113, v114
	v_mul_f32_e32 v114, v128, v188
	v_add_f32_e32 v145, v145, v146
	s_waitcnt vmcnt(38) lgkmcnt(0)
	v_mul_f32_e32 v146, v141, v212
	v_fma_f32 v114, v127, v196, -v114
	v_fmac_f32_e32 v146, v142, v211
	v_add_f32_e32 v113, v113, v114
	v_mul_f32_e32 v114, v130, v197
	v_add_f32_e32 v149, v145, v146
	ds_read2_b64 v[145:148], v112 offset0:93 offset1:94
	v_fma_f32 v114, v129, v198, -v114
	v_add_f32_e32 v113, v113, v114
	v_mul_f32_e32 v114, v132, v199
	s_waitcnt vmcnt(36)
	v_mul_f32_e32 v150, v143, v214
	v_fma_f32 v114, v131, v200, -v114
	v_fmac_f32_e32 v150, v144, v213
	v_add_f32_e32 v113, v113, v114
	v_mul_f32_e32 v114, v134, v203
	v_add_f32_e32 v153, v149, v150
	ds_read2_b64 v[149:152], v112 offset0:95 offset1:96
	v_fma_f32 v114, v133, v204, -v114
	s_waitcnt vmcnt(34) lgkmcnt(1)
	v_mul_f32_e32 v154, v145, v216
	v_add_f32_e32 v113, v113, v114
	v_mul_f32_e32 v114, v136, v205
	v_fmac_f32_e32 v154, v146, v215
	v_fma_f32 v114, v135, v206, -v114
	v_add_f32_e32 v153, v153, v154
	s_waitcnt vmcnt(32)
	v_mul_f32_e32 v154, v147, v218
	v_add_f32_e32 v113, v113, v114
	v_mul_f32_e32 v114, v138, v208
	v_fmac_f32_e32 v154, v148, v217
	v_fma_f32 v114, v137, v207, -v114
	v_add_f32_e32 v153, v153, v154
	s_waitcnt vmcnt(30) lgkmcnt(0)
	v_mul_f32_e32 v154, v149, v220
	v_add_f32_e32 v113, v113, v114
	v_mul_f32_e32 v114, v140, v210
	v_fmac_f32_e32 v154, v150, v219
	v_fma_f32 v114, v139, v209, -v114
	v_add_f32_e32 v157, v153, v154
	ds_read2_b64 v[153:156], v112 offset0:97 offset1:98
	v_add_f32_e32 v113, v113, v114
	v_mul_f32_e32 v114, v142, v212
	v_fma_f32 v114, v141, v211, -v114
	s_waitcnt vmcnt(28)
	v_mul_f32_e32 v158, v151, v222
	v_add_f32_e32 v113, v113, v114
	v_mul_f32_e32 v114, v144, v214
	v_fmac_f32_e32 v158, v152, v221
	v_fma_f32 v114, v143, v213, -v114
	v_add_f32_e32 v161, v157, v158
	ds_read2_b64 v[157:160], v112 offset0:99 offset1:100
	v_add_f32_e32 v113, v113, v114
	v_mul_f32_e32 v114, v146, v216
	s_waitcnt vmcnt(26) lgkmcnt(1)
	v_mul_f32_e32 v162, v153, v224
	v_fma_f32 v114, v145, v215, -v114
	v_fmac_f32_e32 v162, v154, v223
	v_add_f32_e32 v113, v113, v114
	v_mul_f32_e32 v114, v148, v218
	v_add_f32_e32 v161, v161, v162
	s_waitcnt vmcnt(24)
	v_mul_f32_e32 v162, v155, v226
	v_fma_f32 v114, v147, v217, -v114
	v_fmac_f32_e32 v162, v156, v225
	v_add_f32_e32 v113, v113, v114
	v_mul_f32_e32 v114, v150, v220
	v_add_f32_e32 v161, v161, v162
	s_waitcnt vmcnt(22) lgkmcnt(0)
	v_mul_f32_e32 v162, v157, v228
	v_fma_f32 v114, v149, v219, -v114
	v_fmac_f32_e32 v162, v158, v227
	v_add_f32_e32 v113, v113, v114
	v_mul_f32_e32 v114, v152, v222
	v_add_f32_e32 v165, v161, v162
	ds_read2_b64 v[161:164], v112 offset0:101 offset1:102
	v_fma_f32 v114, v151, v221, -v114
	v_add_f32_e32 v113, v113, v114
	v_mul_f32_e32 v114, v154, v224
	s_waitcnt vmcnt(20)
	v_mul_f32_e32 v166, v159, v230
	v_fma_f32 v114, v153, v223, -v114
	v_fmac_f32_e32 v166, v160, v229
	v_add_f32_e32 v113, v113, v114
	v_mul_f32_e32 v114, v156, v226
	v_add_f32_e32 v169, v165, v166
	ds_read2_b64 v[165:168], v112 offset0:103 offset1:104
	v_fma_f32 v114, v155, v225, -v114
	s_waitcnt vmcnt(18) lgkmcnt(1)
	v_mul_f32_e32 v170, v161, v232
	v_add_f32_e32 v113, v113, v114
	v_mul_f32_e32 v114, v158, v228
	v_fmac_f32_e32 v170, v162, v231
	v_fma_f32 v114, v157, v227, -v114
	v_add_f32_e32 v169, v169, v170
	s_waitcnt vmcnt(16)
	v_mul_f32_e32 v170, v163, v234
	v_add_f32_e32 v113, v113, v114
	v_mul_f32_e32 v114, v160, v230
	v_fmac_f32_e32 v170, v164, v233
	v_fma_f32 v114, v159, v229, -v114
	v_add_f32_e32 v169, v169, v170
	s_waitcnt vmcnt(14) lgkmcnt(0)
	v_mul_f32_e32 v170, v165, v236
	v_add_f32_e32 v113, v113, v114
	v_mul_f32_e32 v114, v162, v232
	v_fmac_f32_e32 v170, v166, v235
	v_fma_f32 v114, v161, v231, -v114
	v_add_f32_e32 v173, v169, v170
	ds_read2_b64 v[169:172], v112 offset0:105 offset1:106
	v_add_f32_e32 v113, v113, v114
	v_mul_f32_e32 v114, v164, v234
	v_fma_f32 v114, v163, v233, -v114
	v_add_f32_e32 v113, v113, v114
	v_mul_f32_e32 v114, v166, v236
	s_waitcnt vmcnt(12)
	v_mul_f32_e32 v174, v167, v238
	v_fma_f32 v114, v165, v235, -v114
	v_fmac_f32_e32 v174, v168, v237
	v_add_f32_e32 v113, v113, v114
	v_mul_f32_e32 v114, v168, v238
	v_add_f32_e32 v177, v173, v174
	ds_read2_b64 v[173:176], v112 offset0:107 offset1:108
	s_waitcnt vmcnt(10) lgkmcnt(1)
	v_mul_f32_e32 v178, v169, v240
	v_fma_f32 v114, v167, v237, -v114
	v_fmac_f32_e32 v178, v170, v239
	v_add_f32_e32 v113, v113, v114
	v_mul_f32_e32 v114, v170, v240
	v_add_f32_e32 v177, v177, v178
	s_waitcnt vmcnt(9)
	v_mul_f32_e32 v178, v171, v241
	v_fma_f32 v114, v169, v239, -v114
	s_waitcnt vmcnt(8)
	v_fmac_f32_e32 v178, v172, v242
	v_add_f32_e32 v113, v113, v114
	v_mul_f32_e32 v114, v172, v241
	v_add_f32_e32 v251, v177, v178
	ds_read2_b64 v[177:180], v112 offset0:109 offset1:110
	v_fma_f32 v114, v171, v242, -v114
	v_add_f32_e32 v113, v113, v114
	s_waitcnt vmcnt(6) lgkmcnt(1)
	v_mul_f32_e32 v114, v174, v244
	v_mul_f32_e32 v252, v173, v244
	v_fma_f32 v114, v173, v243, -v114
	v_fmac_f32_e32 v252, v174, v243
	v_add_f32_e32 v113, v113, v114
	s_waitcnt vmcnt(4)
	v_mul_f32_e32 v114, v176, v246
	v_add_f32_e32 v112, v251, v252
	v_mul_f32_e32 v251, v175, v246
	v_fma_f32 v114, v175, v245, -v114
	v_fmac_f32_e32 v251, v176, v245
	v_add_f32_e32 v113, v113, v114
	s_waitcnt vmcnt(3) lgkmcnt(0)
	v_mul_f32_e32 v114, v178, v247
	v_add_f32_e32 v112, v112, v251
	v_mul_f32_e32 v251, v177, v247
	s_waitcnt vmcnt(2)
	v_fma_f32 v114, v177, v248, -v114
	v_fmac_f32_e32 v251, v178, v248
	v_add_f32_e32 v113, v113, v114
	s_waitcnt vmcnt(0)
	v_mul_f32_e32 v114, v180, v250
	v_add_f32_e32 v112, v112, v251
	v_mul_f32_e32 v251, v179, v250
	v_fma_f32 v114, v179, v249, -v114
	v_fmac_f32_e32 v251, v180, v249
	v_add_f32_e32 v113, v113, v114
	v_add_f32_e32 v112, v112, v251
	v_sub_f32_e32 v113, v201, v113
	v_sub_f32_e32 v112, v202, v112
	buffer_store_dword v113, off, s[0:3], 0 offset:160
	buffer_store_dword v112, off, s[0:3], 0 offset:164
	s_and_saveexec_b64 s[4:5], vcc
	s_cbranch_execz .LBB54_305
; %bb.304:
	buffer_load_dword v112, off, s[0:3], 0 offset:152
	buffer_load_dword v113, off, s[0:3], 0 offset:156
	v_mov_b32_e32 v114, 0
	buffer_store_dword v114, off, s[0:3], 0 offset:152
	buffer_store_dword v114, off, s[0:3], 0 offset:156
	s_waitcnt vmcnt(2)
	ds_write_b64 v111, v[112:113]
.LBB54_305:
	s_or_b64 exec, exec, s[4:5]
	s_waitcnt lgkmcnt(0)
	; wave barrier
	buffer_load_dword v183, off, s[0:3], 0 offset:164
	buffer_load_dword v184, off, s[0:3], 0 offset:172
	;; [unrolled: 1-line block ×56, first 2 shown]
	v_mov_b32_e32 v112, 0
	ds_read_b128 v[113:116], v112 offset:608
	ds_read_b128 v[117:120], v112 offset:624
	;; [unrolled: 1-line block ×6, first 2 shown]
	buffer_load_dword v239, off, s[0:3], 0 offset:376
	buffer_load_dword v240, off, s[0:3], 0 offset:380
	;; [unrolled: 1-line block ×16, first 2 shown]
	v_cmp_lt_u32_e32 vcc, 18, v0
	s_waitcnt vmcnt(62) lgkmcnt(5)
	v_mul_f32_e32 v137, v113, v183
	v_mul_f32_e32 v138, v115, v184
	s_waitcnt lgkmcnt(4)
	v_mul_f32_e32 v139, v117, v185
	v_mul_f32_e32 v140, v119, v186
	s_waitcnt lgkmcnt(3)
	v_mul_f32_e32 v141, v121, v187
	v_mul_f32_e32 v142, v123, v188
	s_waitcnt lgkmcnt(2)
	v_mul_f32_e32 v143, v125, v189
	v_mul_f32_e32 v144, v127, v190
	s_waitcnt lgkmcnt(1)
	v_mul_f32_e32 v145, v129, v191
	v_fmac_f32_e32 v139, v118, v192
	s_waitcnt vmcnt(61)
	v_fmac_f32_e32 v138, v116, v193
	s_waitcnt vmcnt(60)
	v_fmac_f32_e32 v137, v114, v194
	v_add_f32_e32 v137, 0, v137
	v_add_f32_e32 v137, v137, v138
	;; [unrolled: 1-line block ×3, first 2 shown]
	s_waitcnt vmcnt(56)
	v_fmac_f32_e32 v140, v120, v198
	v_fmac_f32_e32 v141, v122, v197
	v_add_f32_e32 v137, v137, v140
	v_fmac_f32_e32 v142, v124, v196
	v_add_f32_e32 v137, v137, v141
	;; [unrolled: 2-line block ×3, first 2 shown]
	s_waitcnt vmcnt(52)
	v_fmac_f32_e32 v144, v128, v202
	v_add_f32_e32 v137, v137, v143
	v_add_f32_e32 v137, v137, v144
	v_fmac_f32_e32 v145, v130, v201
	s_waitcnt vmcnt(51)
	v_mul_f32_e32 v138, v131, v203
	v_add_f32_e32 v137, v137, v145
	v_fmac_f32_e32 v138, v132, v200
	v_add_f32_e32 v137, v137, v138
	s_waitcnt vmcnt(50) lgkmcnt(0)
	v_mul_f32_e32 v138, v133, v204
	v_fmac_f32_e32 v138, v134, v199
	v_add_f32_e32 v141, v137, v138
	ds_read_b128 v[137:140], v112 offset:704
	s_waitcnt vmcnt(46)
	v_mul_f32_e32 v142, v135, v208
	v_fmac_f32_e32 v142, v136, v207
	v_add_f32_e32 v145, v141, v142
	ds_read_b128 v[141:144], v112 offset:720
	s_waitcnt vmcnt(44) lgkmcnt(1)
	v_mul_f32_e32 v146, v137, v210
	v_fmac_f32_e32 v146, v138, v209
	v_add_f32_e32 v145, v145, v146
	s_waitcnt vmcnt(42)
	v_mul_f32_e32 v146, v139, v212
	v_fmac_f32_e32 v146, v140, v211
	v_add_f32_e32 v145, v145, v146
	s_waitcnt vmcnt(40) lgkmcnt(0)
	v_mul_f32_e32 v146, v141, v214
	v_fmac_f32_e32 v146, v142, v213
	v_add_f32_e32 v149, v145, v146
	ds_read_b128 v[145:148], v112 offset:736
	s_waitcnt vmcnt(38)
	v_mul_f32_e32 v150, v143, v216
	v_fmac_f32_e32 v150, v144, v215
	v_add_f32_e32 v153, v149, v150
	ds_read_b128 v[149:152], v112 offset:752
	s_waitcnt vmcnt(36) lgkmcnt(1)
	v_mul_f32_e32 v154, v145, v218
	v_fmac_f32_e32 v154, v146, v217
	v_add_f32_e32 v153, v153, v154
	s_waitcnt vmcnt(34)
	v_mul_f32_e32 v154, v147, v220
	;; [unrolled: 18-line block ×5, first 2 shown]
	s_waitcnt vmcnt(8)
	v_fmac_f32_e32 v178, v172, v246
	v_add_f32_e32 v177, v177, v178
	s_waitcnt lgkmcnt(0)
	v_mul_f32_e32 v178, v173, v245
	v_fmac_f32_e32 v178, v174, v244
	v_add_f32_e32 v181, v177, v178
	ds_read_b128 v[177:180], v112 offset:864
	s_waitcnt vmcnt(6)
	v_mul_f32_e32 v182, v175, v248
	v_fmac_f32_e32 v182, v176, v247
	v_add_f32_e32 v255, v181, v182
	ds_read_b64 v[181:182], v112 offset:880
	s_waitcnt vmcnt(4) lgkmcnt(1)
	v_mul_f32_e32 v1, v177, v250
	v_fmac_f32_e32 v1, v178, v249
	s_waitcnt vmcnt(3)
	v_mul_f32_e32 v2, v179, v251
	v_add_f32_e32 v1, v255, v1
	s_waitcnt vmcnt(0)
	v_fmac_f32_e32 v2, v180, v254
	v_add_f32_e32 v1, v1, v2
	s_waitcnt lgkmcnt(0)
	v_mul_f32_e32 v2, v181, v253
	v_fmac_f32_e32 v2, v182, v252
	v_add_f32_e32 v1, v1, v2
	v_mul_f32_e32 v2, v114, v183
	v_fma_f32 v2, v113, v194, -v2
	v_mul_f32_e32 v113, v116, v184
	v_add_f32_e32 v2, 0, v2
	v_fma_f32 v113, v115, v193, -v113
	v_add_f32_e32 v2, v2, v113
	v_mul_f32_e32 v113, v118, v185
	v_fma_f32 v113, v117, v192, -v113
	v_add_f32_e32 v2, v2, v113
	v_mul_f32_e32 v113, v120, v186
	;; [unrolled: 3-line block ×33, first 2 shown]
	v_fma_f32 v113, v181, v252, -v113
	v_add_f32_e32 v2, v2, v113
	v_sub_f32_e32 v2, v205, v2
	v_sub_f32_e32 v1, v206, v1
	buffer_store_dword v2, off, s[0:3], 0 offset:152
	buffer_store_dword v1, off, s[0:3], 0 offset:156
	s_and_saveexec_b64 s[4:5], vcc
	s_cbranch_execz .LBB54_307
; %bb.306:
	buffer_load_dword v113, off, s[0:3], 0 offset:144
	buffer_load_dword v114, off, s[0:3], 0 offset:148
	s_waitcnt vmcnt(0)
	ds_write_b64 v111, v[113:114]
	buffer_store_dword v112, off, s[0:3], 0 offset:144
	buffer_store_dword v112, off, s[0:3], 0 offset:148
.LBB54_307:
	s_or_b64 exec, exec, s[4:5]
	s_waitcnt lgkmcnt(0)
	; wave barrier
	buffer_load_dword v1, off, s[0:3], 0 offset:156
	buffer_load_dword v2, off, s[0:3], 0 offset:164
	;; [unrolled: 1-line block ×26, first 2 shown]
	ds_read2_b64 v[113:116], v112 offset0:75 offset1:76
	ds_read2_b64 v[117:120], v112 offset0:77 offset1:78
	;; [unrolled: 1-line block ×6, first 2 shown]
	buffer_load_dword v209, off, s[0:3], 0 offset:248
	buffer_load_dword v210, off, s[0:3], 0 offset:252
	;; [unrolled: 1-line block ×46, first 2 shown]
	v_cmp_lt_u32_e32 vcc, 17, v0
	s_waitcnt vmcnt(62) lgkmcnt(5)
	v_mul_f32_e32 v137, v113, v1
	v_mul_f32_e32 v138, v115, v2
	s_waitcnt lgkmcnt(4)
	v_mul_f32_e32 v139, v117, v185
	v_mul_f32_e32 v140, v119, v186
	s_waitcnt lgkmcnt(3)
	;; [unrolled: 3-line block ×4, first 2 shown]
	v_mul_f32_e32 v145, v129, v191
	v_fmac_f32_e32 v139, v118, v192
	s_waitcnt vmcnt(61)
	v_fmac_f32_e32 v138, v116, v193
	s_waitcnt vmcnt(60)
	v_fmac_f32_e32 v137, v114, v194
	v_add_f32_e32 v137, 0, v137
	v_add_f32_e32 v137, v137, v138
	;; [unrolled: 1-line block ×3, first 2 shown]
	s_waitcnt vmcnt(56)
	v_fmac_f32_e32 v140, v120, v198
	v_fmac_f32_e32 v141, v122, v197
	v_add_f32_e32 v137, v137, v140
	v_fmac_f32_e32 v142, v124, v196
	v_add_f32_e32 v137, v137, v141
	;; [unrolled: 2-line block ×3, first 2 shown]
	s_waitcnt vmcnt(52)
	v_fmac_f32_e32 v144, v128, v202
	v_add_f32_e32 v137, v137, v143
	v_fmac_f32_e32 v145, v130, v201
	v_add_f32_e32 v137, v137, v144
	s_waitcnt vmcnt(51)
	v_mul_f32_e32 v138, v131, v203
	v_add_f32_e32 v137, v137, v145
	v_fmac_f32_e32 v138, v132, v200
	v_add_f32_e32 v137, v137, v138
	s_waitcnt vmcnt(50) lgkmcnt(0)
	v_mul_f32_e32 v138, v133, v204
	v_fmac_f32_e32 v138, v134, v199
	s_waitcnt vmcnt(46)
	v_mul_f32_e32 v142, v135, v208
	v_add_f32_e32 v141, v137, v138
	v_fmac_f32_e32 v142, v136, v207
	ds_read2_b64 v[137:140], v112 offset0:87 offset1:88
	v_add_f32_e32 v145, v141, v142
	ds_read2_b64 v[141:144], v112 offset0:89 offset1:90
	buffer_load_dword v255, off, s[0:3], 0 offset:432
	buffer_load_dword v3, off, s[0:3], 0 offset:436
	v_mul_f32_e32 v1, v114, v1
	v_fma_f32 v1, v113, v194, -v1
	v_mul_f32_e32 v2, v116, v2
	v_add_f32_e32 v1, 0, v1
	v_fma_f32 v2, v115, v193, -v2
	v_add_f32_e32 v1, v1, v2
	v_mul_f32_e32 v2, v118, v185
	v_fma_f32 v2, v117, v192, -v2
	v_add_f32_e32 v1, v1, v2
	v_mul_f32_e32 v2, v120, v186
	;; [unrolled: 3-line block ×3, first 2 shown]
	s_waitcnt vmcnt(46) lgkmcnt(1)
	v_mul_f32_e32 v4, v137, v210
	v_fma_f32 v2, v121, v197, -v2
	v_fmac_f32_e32 v4, v138, v209
	v_add_f32_e32 v1, v1, v2
	v_mul_f32_e32 v2, v124, v188
	v_add_f32_e32 v4, v145, v4
	s_waitcnt vmcnt(44)
	v_mul_f32_e32 v145, v139, v212
	v_fma_f32 v2, v123, v196, -v2
	v_fmac_f32_e32 v145, v140, v211
	v_add_f32_e32 v1, v1, v2
	v_mul_f32_e32 v2, v126, v189
	v_add_f32_e32 v4, v4, v145
	s_waitcnt vmcnt(42) lgkmcnt(0)
	v_mul_f32_e32 v145, v141, v214
	v_fma_f32 v2, v125, v195, -v2
	v_fmac_f32_e32 v145, v142, v213
	v_add_f32_e32 v1, v1, v2
	v_mul_f32_e32 v2, v128, v190
	v_add_f32_e32 v4, v4, v145
	ds_read2_b64 v[145:148], v112 offset0:91 offset1:92
	v_fma_f32 v2, v127, v202, -v2
	v_add_f32_e32 v1, v1, v2
	v_mul_f32_e32 v2, v130, v191
	s_waitcnt vmcnt(40)
	v_mul_f32_e32 v149, v143, v216
	v_fma_f32 v2, v129, v201, -v2
	v_fmac_f32_e32 v149, v144, v215
	v_add_f32_e32 v1, v1, v2
	v_mul_f32_e32 v2, v132, v203
	v_add_f32_e32 v4, v4, v149
	ds_read2_b64 v[149:152], v112 offset0:93 offset1:94
	v_fma_f32 v2, v131, v200, -v2
	s_waitcnt vmcnt(38) lgkmcnt(1)
	v_mul_f32_e32 v153, v145, v218
	v_add_f32_e32 v1, v1, v2
	v_mul_f32_e32 v2, v134, v204
	v_fmac_f32_e32 v153, v146, v217
	v_fma_f32 v2, v133, v199, -v2
	v_add_f32_e32 v4, v4, v153
	s_waitcnt vmcnt(36)
	v_mul_f32_e32 v153, v147, v220
	v_add_f32_e32 v1, v1, v2
	v_mul_f32_e32 v2, v136, v208
	v_fmac_f32_e32 v153, v148, v219
	v_fma_f32 v2, v135, v207, -v2
	v_add_f32_e32 v4, v4, v153
	s_waitcnt vmcnt(34) lgkmcnt(0)
	v_mul_f32_e32 v153, v149, v222
	v_add_f32_e32 v1, v1, v2
	v_mul_f32_e32 v2, v138, v210
	v_fmac_f32_e32 v153, v150, v221
	v_fma_f32 v2, v137, v209, -v2
	v_add_f32_e32 v4, v4, v153
	ds_read2_b64 v[153:156], v112 offset0:95 offset1:96
	v_add_f32_e32 v1, v1, v2
	v_mul_f32_e32 v2, v140, v212
	v_fma_f32 v2, v139, v211, -v2
	s_waitcnt vmcnt(32)
	v_mul_f32_e32 v157, v151, v224
	v_add_f32_e32 v1, v1, v2
	v_mul_f32_e32 v2, v142, v214
	v_fmac_f32_e32 v157, v152, v223
	v_fma_f32 v2, v141, v213, -v2
	v_add_f32_e32 v4, v4, v157
	ds_read2_b64 v[157:160], v112 offset0:97 offset1:98
	v_add_f32_e32 v1, v1, v2
	v_mul_f32_e32 v2, v144, v216
	s_waitcnt vmcnt(30) lgkmcnt(1)
	v_mul_f32_e32 v161, v153, v226
	v_fma_f32 v2, v143, v215, -v2
	v_fmac_f32_e32 v161, v154, v225
	v_add_f32_e32 v1, v1, v2
	v_mul_f32_e32 v2, v146, v218
	v_add_f32_e32 v4, v4, v161
	s_waitcnt vmcnt(28)
	v_mul_f32_e32 v161, v155, v228
	v_fma_f32 v2, v145, v217, -v2
	v_fmac_f32_e32 v161, v156, v227
	v_add_f32_e32 v1, v1, v2
	v_mul_f32_e32 v2, v148, v220
	v_add_f32_e32 v4, v4, v161
	s_waitcnt vmcnt(26) lgkmcnt(0)
	v_mul_f32_e32 v161, v157, v230
	v_fma_f32 v2, v147, v219, -v2
	v_fmac_f32_e32 v161, v158, v229
	v_add_f32_e32 v1, v1, v2
	v_mul_f32_e32 v2, v150, v222
	v_add_f32_e32 v4, v4, v161
	ds_read2_b64 v[161:164], v112 offset0:99 offset1:100
	v_fma_f32 v2, v149, v221, -v2
	v_add_f32_e32 v1, v1, v2
	v_mul_f32_e32 v2, v152, v224
	s_waitcnt vmcnt(24)
	v_mul_f32_e32 v165, v159, v232
	v_fma_f32 v2, v151, v223, -v2
	v_fmac_f32_e32 v165, v160, v231
	v_add_f32_e32 v1, v1, v2
	v_mul_f32_e32 v2, v154, v226
	v_add_f32_e32 v4, v4, v165
	ds_read2_b64 v[165:168], v112 offset0:101 offset1:102
	v_fma_f32 v2, v153, v225, -v2
	s_waitcnt vmcnt(22) lgkmcnt(1)
	v_mul_f32_e32 v169, v161, v234
	v_add_f32_e32 v1, v1, v2
	v_mul_f32_e32 v2, v156, v228
	v_fmac_f32_e32 v169, v162, v233
	v_fma_f32 v2, v155, v227, -v2
	v_add_f32_e32 v4, v4, v169
	s_waitcnt vmcnt(20)
	v_mul_f32_e32 v169, v163, v236
	v_add_f32_e32 v1, v1, v2
	v_mul_f32_e32 v2, v158, v230
	v_fmac_f32_e32 v169, v164, v235
	v_fma_f32 v2, v157, v229, -v2
	v_add_f32_e32 v4, v4, v169
	s_waitcnt vmcnt(18) lgkmcnt(0)
	v_mul_f32_e32 v169, v165, v238
	v_add_f32_e32 v1, v1, v2
	v_mul_f32_e32 v2, v160, v232
	v_fmac_f32_e32 v169, v166, v237
	v_fma_f32 v2, v159, v231, -v2
	v_add_f32_e32 v4, v4, v169
	ds_read2_b64 v[169:172], v112 offset0:103 offset1:104
	v_add_f32_e32 v1, v1, v2
	v_mul_f32_e32 v2, v162, v234
	v_fma_f32 v2, v161, v233, -v2
	s_waitcnt vmcnt(16)
	v_mul_f32_e32 v173, v167, v240
	v_add_f32_e32 v1, v1, v2
	v_mul_f32_e32 v2, v164, v236
	v_fmac_f32_e32 v173, v168, v239
	v_fma_f32 v2, v163, v235, -v2
	v_add_f32_e32 v4, v4, v173
	ds_read2_b64 v[173:176], v112 offset0:105 offset1:106
	v_add_f32_e32 v1, v1, v2
	v_mul_f32_e32 v2, v166, v238
	s_waitcnt vmcnt(14) lgkmcnt(1)
	v_mul_f32_e32 v177, v169, v242
	v_fma_f32 v2, v165, v237, -v2
	v_fmac_f32_e32 v177, v170, v241
	v_add_f32_e32 v1, v1, v2
	v_mul_f32_e32 v2, v168, v240
	v_add_f32_e32 v4, v4, v177
	s_waitcnt vmcnt(13)
	v_mul_f32_e32 v177, v171, v243
	v_fma_f32 v2, v167, v239, -v2
	s_waitcnt vmcnt(10)
	v_fmac_f32_e32 v177, v172, v246
	v_add_f32_e32 v1, v1, v2
	v_mul_f32_e32 v2, v170, v242
	v_add_f32_e32 v4, v4, v177
	s_waitcnt lgkmcnt(0)
	v_mul_f32_e32 v177, v173, v245
	v_fma_f32 v2, v169, v241, -v2
	v_fmac_f32_e32 v177, v174, v244
	v_add_f32_e32 v1, v1, v2
	v_mul_f32_e32 v2, v172, v243
	v_add_f32_e32 v4, v4, v177
	ds_read2_b64 v[177:180], v112 offset0:107 offset1:108
	v_fma_f32 v2, v171, v246, -v2
	v_add_f32_e32 v1, v1, v2
	v_mul_f32_e32 v2, v174, v245
	s_waitcnt vmcnt(8)
	v_mul_f32_e32 v181, v175, v248
	v_fma_f32 v2, v173, v244, -v2
	v_fmac_f32_e32 v181, v176, v247
	v_add_f32_e32 v1, v1, v2
	v_mul_f32_e32 v2, v176, v248
	v_add_f32_e32 v4, v4, v181
	ds_read2_b64 v[181:184], v112 offset0:109 offset1:110
	v_fma_f32 v2, v175, v247, -v2
	v_add_f32_e32 v1, v1, v2
	s_waitcnt vmcnt(6) lgkmcnt(1)
	v_mul_f32_e32 v2, v178, v250
	v_mul_f32_e32 v112, v177, v250
	v_fma_f32 v2, v177, v249, -v2
	v_fmac_f32_e32 v112, v178, v249
	v_add_f32_e32 v1, v1, v2
	s_waitcnt vmcnt(5)
	v_mul_f32_e32 v2, v180, v251
	v_add_f32_e32 v4, v4, v112
	v_mul_f32_e32 v112, v179, v251
	s_waitcnt vmcnt(2)
	v_fma_f32 v2, v179, v254, -v2
	v_fmac_f32_e32 v112, v180, v254
	v_add_f32_e32 v1, v1, v2
	s_waitcnt lgkmcnt(0)
	v_mul_f32_e32 v2, v182, v253
	v_add_f32_e32 v4, v4, v112
	v_mul_f32_e32 v112, v181, v253
	v_fma_f32 v2, v181, v252, -v2
	v_fmac_f32_e32 v112, v182, v252
	v_add_f32_e32 v1, v1, v2
	s_waitcnt vmcnt(0)
	v_mul_f32_e32 v2, v184, v3
	v_add_f32_e32 v4, v4, v112
	v_mul_f32_e32 v112, v183, v3
	v_fma_f32 v2, v183, v255, -v2
	v_fmac_f32_e32 v112, v184, v255
	v_add_f32_e32 v1, v1, v2
	v_add_f32_e32 v4, v4, v112
	v_sub_f32_e32 v1, v205, v1
	v_sub_f32_e32 v2, v206, v4
	buffer_store_dword v1, off, s[0:3], 0 offset:144
	buffer_store_dword v2, off, s[0:3], 0 offset:148
	s_and_saveexec_b64 s[4:5], vcc
	s_cbranch_execz .LBB54_309
; %bb.308:
	buffer_load_dword v112, off, s[0:3], 0 offset:136
	buffer_load_dword v113, off, s[0:3], 0 offset:140
	v_mov_b32_e32 v1, 0
	buffer_store_dword v1, off, s[0:3], 0 offset:136
	buffer_store_dword v1, off, s[0:3], 0 offset:140
	s_waitcnt vmcnt(2)
	ds_write_b64 v111, v[112:113]
.LBB54_309:
	s_or_b64 exec, exec, s[4:5]
	s_waitcnt lgkmcnt(0)
	; wave barrier
	buffer_load_dword v1, off, s[0:3], 0 offset:148
	buffer_load_dword v2, off, s[0:3], 0 offset:156
	;; [unrolled: 1-line block ×50, first 2 shown]
	v_mov_b32_e32 v112, 0
	ds_read_b128 v[113:116], v112 offset:592
	ds_read_b128 v[117:120], v112 offset:608
	;; [unrolled: 1-line block ×6, first 2 shown]
	buffer_load_dword v233, off, s[0:3], 0 offset:336
	buffer_load_dword v234, off, s[0:3], 0 offset:340
	buffer_load_dword v235, off, s[0:3], 0 offset:348
	buffer_load_dword v236, off, s[0:3], 0 offset:352
	buffer_load_dword v237, off, s[0:3], 0 offset:356
	buffer_load_dword v238, off, s[0:3], 0 offset:344
	buffer_load_dword v239, off, s[0:3], 0 offset:360
	buffer_load_dword v240, off, s[0:3], 0 offset:364
	buffer_load_dword v241, off, s[0:3], 0 offset:368
	buffer_load_dword v242, off, s[0:3], 0 offset:372
	buffer_load_dword v243, off, s[0:3], 0 offset:380
	buffer_load_dword v244, off, s[0:3], 0 offset:384
	buffer_load_dword v245, off, s[0:3], 0 offset:388
	buffer_load_dword v246, off, s[0:3], 0 offset:376
	buffer_load_dword v247, off, s[0:3], 0 offset:392
	buffer_load_dword v248, off, s[0:3], 0 offset:396
	v_cmp_lt_u32_e32 vcc, 16, v0
	s_waitcnt vmcnt(62) lgkmcnt(5)
	v_mul_f32_e32 v137, v113, v1
	v_mul_f32_e32 v138, v115, v2
	s_waitcnt lgkmcnt(4)
	v_mul_f32_e32 v139, v117, v3
	v_mul_f32_e32 v140, v119, v4
	s_waitcnt vmcnt(61) lgkmcnt(3)
	v_mul_f32_e32 v141, v121, v187
	s_waitcnt vmcnt(60)
	v_mul_f32_e32 v142, v123, v188
	s_waitcnt vmcnt(59) lgkmcnt(2)
	v_mul_f32_e32 v143, v125, v189
	s_waitcnt vmcnt(58)
	v_mul_f32_e32 v144, v127, v190
	s_waitcnt vmcnt(57) lgkmcnt(1)
	v_mul_f32_e32 v145, v129, v191
	s_waitcnt vmcnt(56)
	v_fmac_f32_e32 v139, v118, v192
	s_waitcnt vmcnt(55)
	v_fmac_f32_e32 v138, v116, v193
	s_waitcnt vmcnt(54)
	v_fmac_f32_e32 v137, v114, v194
	v_add_f32_e32 v137, 0, v137
	v_add_f32_e32 v137, v137, v138
	;; [unrolled: 1-line block ×3, first 2 shown]
	s_waitcnt vmcnt(50)
	v_fmac_f32_e32 v140, v120, v198
	v_fmac_f32_e32 v141, v122, v197
	v_add_f32_e32 v137, v137, v140
	v_fmac_f32_e32 v142, v124, v196
	v_add_f32_e32 v137, v137, v141
	v_fmac_f32_e32 v143, v126, v195
	v_add_f32_e32 v137, v137, v142
	s_waitcnt vmcnt(46)
	v_fmac_f32_e32 v144, v128, v202
	v_add_f32_e32 v137, v137, v143
	v_fmac_f32_e32 v145, v130, v201
	v_add_f32_e32 v137, v137, v144
	s_waitcnt vmcnt(45)
	v_mul_f32_e32 v138, v131, v203
	v_add_f32_e32 v137, v137, v145
	v_fmac_f32_e32 v138, v132, v200
	v_add_f32_e32 v137, v137, v138
	s_waitcnt vmcnt(44) lgkmcnt(0)
	v_mul_f32_e32 v138, v133, v204
	v_fmac_f32_e32 v138, v134, v199
	v_add_f32_e32 v141, v137, v138
	ds_read_b128 v[137:140], v112 offset:688
	buffer_load_dword v249, off, s[0:3], 0 offset:400
	buffer_load_dword v250, off, s[0:3], 0 offset:404
	;; [unrolled: 1-line block ×6, first 2 shown]
	s_waitcnt vmcnt(49)
	v_mul_f32_e32 v142, v135, v205
	s_waitcnt vmcnt(42)
	v_fmac_f32_e32 v142, v136, v212
	v_add_f32_e32 v145, v141, v142
	ds_read_b128 v[141:144], v112 offset:704
	buffer_load_dword v255, off, s[0:3], 0 offset:428
	buffer_load_dword v5, off, s[0:3], 0 offset:432
	;; [unrolled: 1-line block ×4, first 2 shown]
	v_mul_f32_e32 v1, v114, v1
	v_fma_f32 v1, v113, v194, -v1
	v_mul_f32_e32 v2, v116, v2
	v_add_f32_e32 v1, 0, v1
	v_fma_f32 v2, v115, v193, -v2
	v_add_f32_e32 v1, v1, v2
	v_mul_f32_e32 v2, v118, v3
	v_fma_f32 v2, v117, v192, -v2
	v_add_f32_e32 v1, v1, v2
	v_mul_f32_e32 v2, v120, v4
	v_fma_f32 v2, v119, v198, -v2
	s_waitcnt lgkmcnt(1)
	v_mul_f32_e32 v146, v137, v207
	v_add_f32_e32 v1, v1, v2
	v_mul_f32_e32 v2, v122, v187
	v_fmac_f32_e32 v146, v138, v206
	v_fma_f32 v2, v121, v197, -v2
	v_add_f32_e32 v8, v145, v146
	v_mul_f32_e32 v145, v139, v209
	v_add_f32_e32 v1, v1, v2
	v_mul_f32_e32 v2, v124, v188
	v_fmac_f32_e32 v145, v140, v208
	v_fma_f32 v2, v123, v196, -v2
	v_add_f32_e32 v8, v8, v145
	s_waitcnt lgkmcnt(0)
	v_mul_f32_e32 v145, v141, v211
	v_add_f32_e32 v1, v1, v2
	v_mul_f32_e32 v2, v126, v189
	v_fmac_f32_e32 v145, v142, v210
	v_fma_f32 v2, v125, v195, -v2
	v_add_f32_e32 v8, v8, v145
	ds_read_b128 v[145:148], v112 offset:720
	v_add_f32_e32 v1, v1, v2
	v_mul_f32_e32 v2, v128, v190
	v_fma_f32 v2, v127, v202, -v2
	s_waitcnt vmcnt(42)
	v_mul_f32_e32 v149, v143, v216
	v_add_f32_e32 v1, v1, v2
	v_mul_f32_e32 v2, v130, v191
	v_fmac_f32_e32 v149, v144, v215
	v_fma_f32 v2, v129, v201, -v2
	v_add_f32_e32 v8, v8, v149
	ds_read_b128 v[149:152], v112 offset:736
	v_add_f32_e32 v1, v1, v2
	v_mul_f32_e32 v2, v132, v203
	s_waitcnt vmcnt(40) lgkmcnt(1)
	v_mul_f32_e32 v153, v145, v218
	v_fma_f32 v2, v131, v200, -v2
	v_fmac_f32_e32 v153, v146, v217
	v_add_f32_e32 v1, v1, v2
	v_mul_f32_e32 v2, v134, v204
	v_add_f32_e32 v8, v8, v153
	s_waitcnt vmcnt(38)
	v_mul_f32_e32 v153, v147, v220
	v_fma_f32 v2, v133, v199, -v2
	v_fmac_f32_e32 v153, v148, v219
	v_add_f32_e32 v1, v1, v2
	v_mul_f32_e32 v2, v136, v205
	v_add_f32_e32 v8, v8, v153
	s_waitcnt vmcnt(36) lgkmcnt(0)
	v_mul_f32_e32 v153, v149, v222
	v_fma_f32 v2, v135, v212, -v2
	v_fmac_f32_e32 v153, v150, v221
	v_add_f32_e32 v1, v1, v2
	v_mul_f32_e32 v2, v138, v207
	v_add_f32_e32 v8, v8, v153
	ds_read_b128 v[153:156], v112 offset:752
	v_fma_f32 v2, v137, v206, -v2
	v_add_f32_e32 v1, v1, v2
	v_mul_f32_e32 v2, v140, v209
	s_waitcnt vmcnt(34)
	v_mul_f32_e32 v157, v151, v224
	v_fma_f32 v2, v139, v208, -v2
	v_fmac_f32_e32 v157, v152, v223
	v_add_f32_e32 v1, v1, v2
	v_mul_f32_e32 v2, v142, v211
	v_add_f32_e32 v8, v8, v157
	ds_read_b128 v[157:160], v112 offset:768
	v_fma_f32 v2, v141, v210, -v2
	s_waitcnt vmcnt(32) lgkmcnt(1)
	v_mul_f32_e32 v161, v153, v226
	v_add_f32_e32 v1, v1, v2
	v_mul_f32_e32 v2, v144, v216
	v_fmac_f32_e32 v161, v154, v225
	v_fma_f32 v2, v143, v215, -v2
	v_add_f32_e32 v8, v8, v161
	s_waitcnt vmcnt(30)
	v_mul_f32_e32 v161, v155, v228
	v_add_f32_e32 v1, v1, v2
	v_mul_f32_e32 v2, v146, v218
	v_fmac_f32_e32 v161, v156, v227
	v_fma_f32 v2, v145, v217, -v2
	v_add_f32_e32 v8, v8, v161
	s_waitcnt vmcnt(28) lgkmcnt(0)
	v_mul_f32_e32 v161, v157, v230
	v_add_f32_e32 v1, v1, v2
	v_mul_f32_e32 v2, v148, v220
	v_fmac_f32_e32 v161, v158, v229
	v_fma_f32 v2, v147, v219, -v2
	v_add_f32_e32 v8, v8, v161
	ds_read_b128 v[161:164], v112 offset:784
	v_add_f32_e32 v1, v1, v2
	v_mul_f32_e32 v2, v150, v222
	v_fma_f32 v2, v149, v221, -v2
	s_waitcnt vmcnt(26)
	v_mul_f32_e32 v165, v159, v232
	v_add_f32_e32 v1, v1, v2
	v_mul_f32_e32 v2, v152, v224
	v_fmac_f32_e32 v165, v160, v231
	v_fma_f32 v2, v151, v223, -v2
	v_add_f32_e32 v8, v8, v165
	ds_read_b128 v[165:168], v112 offset:800
	v_add_f32_e32 v1, v1, v2
	v_mul_f32_e32 v2, v154, v226
	s_waitcnt vmcnt(24) lgkmcnt(1)
	v_mul_f32_e32 v169, v161, v234
	v_fma_f32 v2, v153, v225, -v2
	v_fmac_f32_e32 v169, v162, v233
	v_add_f32_e32 v1, v1, v2
	v_mul_f32_e32 v2, v156, v228
	v_add_f32_e32 v8, v8, v169
	s_waitcnt vmcnt(23)
	v_mul_f32_e32 v169, v163, v235
	v_fma_f32 v2, v155, v227, -v2
	s_waitcnt vmcnt(20)
	v_fmac_f32_e32 v169, v164, v238
	v_add_f32_e32 v1, v1, v2
	v_mul_f32_e32 v2, v158, v230
	v_add_f32_e32 v8, v8, v169
	s_waitcnt lgkmcnt(0)
	v_mul_f32_e32 v169, v165, v237
	v_fma_f32 v2, v157, v229, -v2
	v_fmac_f32_e32 v169, v166, v236
	v_add_f32_e32 v1, v1, v2
	v_mul_f32_e32 v2, v160, v232
	v_add_f32_e32 v8, v8, v169
	ds_read_b128 v[169:172], v112 offset:816
	v_fma_f32 v2, v159, v231, -v2
	v_add_f32_e32 v1, v1, v2
	v_mul_f32_e32 v2, v162, v234
	s_waitcnt vmcnt(18)
	v_mul_f32_e32 v173, v167, v240
	v_fma_f32 v2, v161, v233, -v2
	v_fmac_f32_e32 v173, v168, v239
	v_add_f32_e32 v1, v1, v2
	v_mul_f32_e32 v2, v164, v235
	v_add_f32_e32 v8, v8, v173
	ds_read_b128 v[173:176], v112 offset:832
	v_fma_f32 v2, v163, v238, -v2
	s_waitcnt vmcnt(16) lgkmcnt(1)
	v_mul_f32_e32 v177, v169, v242
	v_add_f32_e32 v1, v1, v2
	v_mul_f32_e32 v2, v166, v237
	v_fmac_f32_e32 v177, v170, v241
	v_fma_f32 v2, v165, v236, -v2
	v_add_f32_e32 v8, v8, v177
	s_waitcnt vmcnt(15)
	v_mul_f32_e32 v177, v171, v243
	v_add_f32_e32 v1, v1, v2
	v_mul_f32_e32 v2, v168, v240
	s_waitcnt vmcnt(12)
	v_fmac_f32_e32 v177, v172, v246
	v_fma_f32 v2, v167, v239, -v2
	v_add_f32_e32 v8, v8, v177
	s_waitcnt lgkmcnt(0)
	v_mul_f32_e32 v177, v173, v245
	v_add_f32_e32 v1, v1, v2
	v_mul_f32_e32 v2, v170, v242
	v_fmac_f32_e32 v177, v174, v244
	v_fma_f32 v2, v169, v241, -v2
	v_add_f32_e32 v8, v8, v177
	ds_read_b128 v[177:180], v112 offset:848
	v_add_f32_e32 v1, v1, v2
	v_mul_f32_e32 v2, v172, v243
	v_fma_f32 v2, v171, v246, -v2
	v_add_f32_e32 v1, v1, v2
	v_mul_f32_e32 v2, v174, v245
	s_waitcnt vmcnt(10)
	v_mul_f32_e32 v181, v175, v248
	v_fma_f32 v2, v173, v244, -v2
	v_fmac_f32_e32 v181, v176, v247
	v_add_f32_e32 v1, v1, v2
	v_mul_f32_e32 v2, v176, v248
	v_add_f32_e32 v8, v8, v181
	ds_read_b128 v[181:184], v112 offset:864
	s_waitcnt vmcnt(8) lgkmcnt(1)
	v_mul_f32_e32 v185, v177, v250
	v_fma_f32 v2, v175, v247, -v2
	v_fmac_f32_e32 v185, v178, v249
	v_add_f32_e32 v1, v1, v2
	v_mul_f32_e32 v2, v178, v250
	v_add_f32_e32 v8, v8, v185
	s_waitcnt vmcnt(7)
	v_mul_f32_e32 v185, v179, v251
	v_fma_f32 v2, v177, v249, -v2
	s_waitcnt vmcnt(4)
	v_fmac_f32_e32 v185, v180, v254
	v_add_f32_e32 v1, v1, v2
	v_mul_f32_e32 v2, v180, v251
	v_add_f32_e32 v8, v8, v185
	ds_read_b64 v[185:186], v112 offset:880
	v_fma_f32 v2, v179, v254, -v2
	v_add_f32_e32 v1, v1, v2
	s_waitcnt lgkmcnt(1)
	v_mul_f32_e32 v2, v182, v253
	v_mul_f32_e32 v9, v181, v253
	v_fma_f32 v2, v181, v252, -v2
	v_fmac_f32_e32 v9, v182, v252
	v_add_f32_e32 v1, v1, v2
	s_waitcnt vmcnt(3)
	v_mul_f32_e32 v2, v184, v255
	v_add_f32_e32 v8, v8, v9
	v_mul_f32_e32 v9, v183, v255
	s_waitcnt vmcnt(0)
	v_fma_f32 v2, v183, v7, -v2
	v_fmac_f32_e32 v9, v184, v7
	v_add_f32_e32 v1, v1, v2
	s_waitcnt lgkmcnt(0)
	v_mul_f32_e32 v2, v186, v6
	v_add_f32_e32 v8, v8, v9
	v_mul_f32_e32 v9, v185, v6
	v_fma_f32 v2, v185, v5, -v2
	v_fmac_f32_e32 v9, v186, v5
	v_add_f32_e32 v1, v1, v2
	v_add_f32_e32 v8, v8, v9
	v_sub_f32_e32 v1, v213, v1
	v_sub_f32_e32 v2, v214, v8
	buffer_store_dword v1, off, s[0:3], 0 offset:136
	buffer_store_dword v2, off, s[0:3], 0 offset:140
	s_and_saveexec_b64 s[4:5], vcc
	s_cbranch_execz .LBB54_311
; %bb.310:
	buffer_load_dword v113, off, s[0:3], 0 offset:128
	buffer_load_dword v114, off, s[0:3], 0 offset:132
	s_waitcnt vmcnt(0)
	ds_write_b64 v111, v[113:114]
	buffer_store_dword v112, off, s[0:3], 0 offset:128
	buffer_store_dword v112, off, s[0:3], 0 offset:132
.LBB54_311:
	s_or_b64 exec, exec, s[4:5]
	s_waitcnt lgkmcnt(0)
	; wave barrier
	buffer_load_dword v1, off, s[0:3], 0 offset:140
	buffer_load_dword v2, off, s[0:3], 0 offset:148
	;; [unrolled: 1-line block ×32, first 2 shown]
	ds_read2_b64 v[113:116], v112 offset0:73 offset1:74
	ds_read2_b64 v[117:120], v112 offset0:75 offset1:76
	;; [unrolled: 1-line block ×6, first 2 shown]
	buffer_load_dword v211, off, s[0:3], 0 offset:256
	buffer_load_dword v212, off, s[0:3], 0 offset:260
	;; [unrolled: 1-line block ×32, first 2 shown]
	v_cmp_lt_u32_e32 vcc, 15, v0
	s_waitcnt vmcnt(62) lgkmcnt(5)
	v_mul_f32_e32 v137, v113, v1
	v_mul_f32_e32 v138, v115, v2
	s_waitcnt vmcnt(61) lgkmcnt(4)
	v_mul_f32_e32 v139, v117, v3
	s_waitcnt vmcnt(60)
	v_mul_f32_e32 v140, v119, v4
	s_waitcnt vmcnt(59) lgkmcnt(3)
	v_mul_f32_e32 v141, v121, v5
	s_waitcnt vmcnt(58)
	;; [unrolled: 4-line block ×4, first 2 shown]
	v_mul_f32_e32 v146, v131, v10
	s_waitcnt vmcnt(53)
	v_fmac_f32_e32 v139, v118, v189
	s_waitcnt vmcnt(52)
	v_fmac_f32_e32 v138, v116, v190
	;; [unrolled: 2-line block ×3, first 2 shown]
	v_add_f32_e32 v137, 0, v137
	v_add_f32_e32 v137, v137, v138
	;; [unrolled: 1-line block ×3, first 2 shown]
	s_waitcnt vmcnt(47)
	v_fmac_f32_e32 v140, v120, v195
	v_fmac_f32_e32 v141, v122, v194
	v_add_f32_e32 v137, v137, v140
	v_fmac_f32_e32 v142, v124, v193
	v_add_f32_e32 v137, v137, v141
	;; [unrolled: 2-line block ×3, first 2 shown]
	s_waitcnt vmcnt(43)
	v_fmac_f32_e32 v144, v128, v199
	v_add_f32_e32 v137, v137, v143
	v_fmac_f32_e32 v145, v130, v198
	v_add_f32_e32 v137, v137, v144
	;; [unrolled: 2-line block ×3, first 2 shown]
	s_waitcnt vmcnt(42) lgkmcnt(0)
	v_mul_f32_e32 v138, v133, v200
	v_add_f32_e32 v137, v137, v146
	v_fmac_f32_e32 v138, v134, v196
	v_add_f32_e32 v141, v137, v138
	ds_read2_b64 v[137:140], v112 offset0:85 offset1:86
	buffer_load_dword v243, off, s[0:3], 0 offset:384
	buffer_load_dword v244, off, s[0:3], 0 offset:388
	s_waitcnt vmcnt(43)
	v_mul_f32_e32 v142, v135, v201
	s_waitcnt vmcnt(37)
	v_fmac_f32_e32 v142, v136, v207
	v_add_f32_e32 v145, v141, v142
	ds_read2_b64 v[141:144], v112 offset0:87 offset1:88
	buffer_load_dword v245, off, s[0:3], 0 offset:392
	buffer_load_dword v246, off, s[0:3], 0 offset:396
	buffer_load_dword v247, off, s[0:3], 0 offset:404
	buffer_load_dword v248, off, s[0:3], 0 offset:408
	buffer_load_dword v249, off, s[0:3], 0 offset:412
	buffer_load_dword v250, off, s[0:3], 0 offset:400
	buffer_load_dword v251, off, s[0:3], 0 offset:416
	buffer_load_dword v252, off, s[0:3], 0 offset:420
	buffer_load_dword v253, off, s[0:3], 0 offset:428
	buffer_load_dword v254, off, s[0:3], 0 offset:432
	buffer_load_dword v255, off, s[0:3], 0 offset:436
	buffer_load_dword v11, off, s[0:3], 0 offset:424
	v_mul_f32_e32 v1, v114, v1
	v_fma_f32 v1, v113, v191, -v1
	v_mul_f32_e32 v2, v116, v2
	v_add_f32_e32 v1, 0, v1
	v_fma_f32 v2, v115, v190, -v2
	v_add_f32_e32 v1, v1, v2
	v_mul_f32_e32 v2, v118, v3
	v_fma_f32 v2, v117, v189, -v2
	v_add_f32_e32 v1, v1, v2
	v_mul_f32_e32 v2, v120, v4
	v_fma_f32 v2, v119, v195, -v2
	s_waitcnt vmcnt(48) lgkmcnt(1)
	v_mul_f32_e32 v146, v137, v208
	v_add_f32_e32 v1, v1, v2
	v_mul_f32_e32 v2, v122, v5
	v_fmac_f32_e32 v146, v138, v206
	v_fma_f32 v2, v121, v194, -v2
	v_add_f32_e32 v145, v145, v146
	v_mul_f32_e32 v146, v139, v203
	v_add_f32_e32 v1, v1, v2
	v_mul_f32_e32 v2, v124, v6
	v_fmac_f32_e32 v146, v140, v202
	v_fma_f32 v2, v123, v193, -v2
	v_add_f32_e32 v12, v145, v146
	s_waitcnt lgkmcnt(0)
	v_mul_f32_e32 v145, v141, v205
	v_add_f32_e32 v1, v1, v2
	v_mul_f32_e32 v2, v126, v7
	v_fmac_f32_e32 v145, v142, v204
	v_fma_f32 v2, v125, v192, -v2
	v_add_f32_e32 v12, v12, v145
	ds_read2_b64 v[145:148], v112 offset0:89 offset1:90
	v_add_f32_e32 v1, v1, v2
	v_mul_f32_e32 v2, v128, v8
	v_fma_f32 v2, v127, v199, -v2
	s_waitcnt vmcnt(44)
	v_mul_f32_e32 v149, v143, v212
	v_add_f32_e32 v1, v1, v2
	v_mul_f32_e32 v2, v130, v9
	v_fmac_f32_e32 v149, v144, v211
	v_fma_f32 v2, v129, v198, -v2
	v_add_f32_e32 v12, v12, v149
	ds_read2_b64 v[149:152], v112 offset0:91 offset1:92
	v_add_f32_e32 v1, v1, v2
	v_mul_f32_e32 v2, v132, v10
	s_waitcnt vmcnt(42) lgkmcnt(1)
	v_mul_f32_e32 v153, v145, v214
	v_fma_f32 v2, v131, v197, -v2
	v_fmac_f32_e32 v153, v146, v213
	v_add_f32_e32 v1, v1, v2
	v_mul_f32_e32 v2, v134, v200
	v_add_f32_e32 v12, v12, v153
	s_waitcnt vmcnt(40)
	v_mul_f32_e32 v153, v147, v216
	v_fma_f32 v2, v133, v196, -v2
	v_fmac_f32_e32 v153, v148, v215
	v_add_f32_e32 v1, v1, v2
	v_mul_f32_e32 v2, v136, v201
	v_add_f32_e32 v12, v12, v153
	s_waitcnt vmcnt(38) lgkmcnt(0)
	v_mul_f32_e32 v153, v149, v218
	v_fma_f32 v2, v135, v207, -v2
	v_fmac_f32_e32 v153, v150, v217
	v_add_f32_e32 v1, v1, v2
	v_mul_f32_e32 v2, v138, v208
	v_add_f32_e32 v12, v12, v153
	ds_read2_b64 v[153:156], v112 offset0:93 offset1:94
	v_fma_f32 v2, v137, v206, -v2
	v_add_f32_e32 v1, v1, v2
	v_mul_f32_e32 v2, v140, v203
	s_waitcnt vmcnt(36)
	v_mul_f32_e32 v157, v151, v220
	v_fma_f32 v2, v139, v202, -v2
	v_fmac_f32_e32 v157, v152, v219
	v_add_f32_e32 v1, v1, v2
	v_mul_f32_e32 v2, v142, v205
	v_add_f32_e32 v12, v12, v157
	ds_read2_b64 v[157:160], v112 offset0:95 offset1:96
	v_fma_f32 v2, v141, v204, -v2
	s_waitcnt vmcnt(34) lgkmcnt(1)
	v_mul_f32_e32 v161, v153, v222
	v_add_f32_e32 v1, v1, v2
	v_mul_f32_e32 v2, v144, v212
	v_fmac_f32_e32 v161, v154, v221
	v_fma_f32 v2, v143, v211, -v2
	v_add_f32_e32 v12, v12, v161
	s_waitcnt vmcnt(32)
	v_mul_f32_e32 v161, v155, v224
	v_add_f32_e32 v1, v1, v2
	v_mul_f32_e32 v2, v146, v214
	v_fmac_f32_e32 v161, v156, v223
	v_fma_f32 v2, v145, v213, -v2
	v_add_f32_e32 v12, v12, v161
	s_waitcnt vmcnt(30) lgkmcnt(0)
	v_mul_f32_e32 v161, v157, v226
	v_add_f32_e32 v1, v1, v2
	v_mul_f32_e32 v2, v148, v216
	v_fmac_f32_e32 v161, v158, v225
	v_fma_f32 v2, v147, v215, -v2
	v_add_f32_e32 v12, v12, v161
	ds_read2_b64 v[161:164], v112 offset0:97 offset1:98
	v_add_f32_e32 v1, v1, v2
	v_mul_f32_e32 v2, v150, v218
	v_fma_f32 v2, v149, v217, -v2
	s_waitcnt vmcnt(28)
	v_mul_f32_e32 v165, v159, v228
	v_add_f32_e32 v1, v1, v2
	v_mul_f32_e32 v2, v152, v220
	v_fmac_f32_e32 v165, v160, v227
	v_fma_f32 v2, v151, v219, -v2
	v_add_f32_e32 v12, v12, v165
	ds_read2_b64 v[165:168], v112 offset0:99 offset1:100
	v_add_f32_e32 v1, v1, v2
	v_mul_f32_e32 v2, v154, v222
	s_waitcnt vmcnt(26) lgkmcnt(1)
	v_mul_f32_e32 v169, v161, v230
	v_fma_f32 v2, v153, v221, -v2
	v_fmac_f32_e32 v169, v162, v229
	v_add_f32_e32 v1, v1, v2
	v_mul_f32_e32 v2, v156, v224
	v_add_f32_e32 v12, v12, v169
	s_waitcnt vmcnt(25)
	v_mul_f32_e32 v169, v163, v231
	v_fma_f32 v2, v155, v223, -v2
	s_waitcnt vmcnt(22)
	v_fmac_f32_e32 v169, v164, v234
	v_add_f32_e32 v1, v1, v2
	v_mul_f32_e32 v2, v158, v226
	v_add_f32_e32 v12, v12, v169
	s_waitcnt lgkmcnt(0)
	v_mul_f32_e32 v169, v165, v233
	v_fma_f32 v2, v157, v225, -v2
	v_fmac_f32_e32 v169, v166, v232
	v_add_f32_e32 v1, v1, v2
	v_mul_f32_e32 v2, v160, v228
	v_add_f32_e32 v12, v12, v169
	ds_read2_b64 v[169:172], v112 offset0:101 offset1:102
	v_fma_f32 v2, v159, v227, -v2
	v_add_f32_e32 v1, v1, v2
	v_mul_f32_e32 v2, v162, v230
	s_waitcnt vmcnt(20)
	v_mul_f32_e32 v173, v167, v236
	v_fma_f32 v2, v161, v229, -v2
	v_fmac_f32_e32 v173, v168, v235
	v_add_f32_e32 v1, v1, v2
	v_mul_f32_e32 v2, v164, v231
	v_add_f32_e32 v12, v12, v173
	ds_read2_b64 v[173:176], v112 offset0:103 offset1:104
	v_fma_f32 v2, v163, v234, -v2
	s_waitcnt vmcnt(18) lgkmcnt(1)
	v_mul_f32_e32 v177, v169, v238
	v_add_f32_e32 v1, v1, v2
	v_mul_f32_e32 v2, v166, v233
	v_fmac_f32_e32 v177, v170, v237
	v_fma_f32 v2, v165, v232, -v2
	v_add_f32_e32 v12, v12, v177
	s_waitcnt vmcnt(17)
	v_mul_f32_e32 v177, v171, v239
	v_add_f32_e32 v1, v1, v2
	v_mul_f32_e32 v2, v168, v236
	s_waitcnt vmcnt(14)
	v_fmac_f32_e32 v177, v172, v242
	v_fma_f32 v2, v167, v235, -v2
	v_add_f32_e32 v12, v12, v177
	s_waitcnt lgkmcnt(0)
	v_mul_f32_e32 v177, v173, v241
	v_add_f32_e32 v1, v1, v2
	v_mul_f32_e32 v2, v170, v238
	v_fmac_f32_e32 v177, v174, v240
	v_fma_f32 v2, v169, v237, -v2
	v_add_f32_e32 v12, v12, v177
	ds_read2_b64 v[177:180], v112 offset0:105 offset1:106
	v_add_f32_e32 v1, v1, v2
	v_mul_f32_e32 v2, v172, v239
	v_fma_f32 v2, v171, v242, -v2
	v_add_f32_e32 v1, v1, v2
	v_mul_f32_e32 v2, v174, v241
	s_waitcnt vmcnt(12)
	v_mul_f32_e32 v181, v175, v244
	v_fma_f32 v2, v173, v240, -v2
	v_fmac_f32_e32 v181, v176, v243
	v_add_f32_e32 v1, v1, v2
	v_mul_f32_e32 v2, v176, v244
	v_add_f32_e32 v12, v12, v181
	ds_read2_b64 v[181:184], v112 offset0:107 offset1:108
	s_waitcnt vmcnt(10) lgkmcnt(1)
	v_mul_f32_e32 v185, v177, v246
	v_fma_f32 v2, v175, v243, -v2
	v_fmac_f32_e32 v185, v178, v245
	v_add_f32_e32 v1, v1, v2
	v_mul_f32_e32 v2, v178, v246
	v_add_f32_e32 v12, v12, v185
	s_waitcnt vmcnt(9)
	v_mul_f32_e32 v185, v179, v247
	v_fma_f32 v2, v177, v245, -v2
	s_waitcnt vmcnt(6)
	v_fmac_f32_e32 v185, v180, v250
	v_add_f32_e32 v1, v1, v2
	v_mul_f32_e32 v2, v180, v247
	v_add_f32_e32 v12, v12, v185
	ds_read2_b64 v[185:188], v112 offset0:109 offset1:110
	v_fma_f32 v2, v179, v250, -v2
	v_add_f32_e32 v1, v1, v2
	s_waitcnt lgkmcnt(1)
	v_mul_f32_e32 v2, v182, v249
	v_mul_f32_e32 v13, v181, v249
	v_fma_f32 v2, v181, v248, -v2
	v_fmac_f32_e32 v13, v182, v248
	v_add_f32_e32 v1, v1, v2
	s_waitcnt vmcnt(4)
	v_mul_f32_e32 v2, v184, v252
	v_add_f32_e32 v12, v12, v13
	v_mul_f32_e32 v13, v183, v252
	v_fma_f32 v2, v183, v251, -v2
	v_fmac_f32_e32 v13, v184, v251
	v_add_f32_e32 v1, v1, v2
	s_waitcnt vmcnt(3) lgkmcnt(0)
	v_mul_f32_e32 v2, v186, v253
	v_add_f32_e32 v12, v12, v13
	v_mul_f32_e32 v13, v185, v253
	s_waitcnt vmcnt(0)
	v_fma_f32 v2, v185, v11, -v2
	v_fmac_f32_e32 v13, v186, v11
	v_add_f32_e32 v1, v1, v2
	v_mul_f32_e32 v2, v188, v255
	v_add_f32_e32 v12, v12, v13
	v_mul_f32_e32 v13, v187, v255
	v_fma_f32 v2, v187, v254, -v2
	v_fmac_f32_e32 v13, v188, v254
	v_add_f32_e32 v1, v1, v2
	v_add_f32_e32 v12, v12, v13
	v_sub_f32_e32 v1, v209, v1
	v_sub_f32_e32 v2, v210, v12
	buffer_store_dword v1, off, s[0:3], 0 offset:128
	buffer_store_dword v2, off, s[0:3], 0 offset:132
	s_and_saveexec_b64 s[4:5], vcc
	s_cbranch_execz .LBB54_313
; %bb.312:
	buffer_load_dword v112, off, s[0:3], 0 offset:120
	buffer_load_dword v113, off, s[0:3], 0 offset:124
	v_mov_b32_e32 v1, 0
	buffer_store_dword v1, off, s[0:3], 0 offset:120
	buffer_store_dword v1, off, s[0:3], 0 offset:124
	s_waitcnt vmcnt(2)
	ds_write_b64 v111, v[112:113]
.LBB54_313:
	s_or_b64 exec, exec, s[4:5]
	s_waitcnt lgkmcnt(0)
	; wave barrier
	buffer_load_dword v1, off, s[0:3], 0 offset:132
	buffer_load_dword v2, off, s[0:3], 0 offset:140
	;; [unrolled: 1-line block ×50, first 2 shown]
	v_mov_b32_e32 v112, 0
	ds_read_b128 v[113:116], v112 offset:576
	ds_read_b128 v[117:120], v112 offset:592
	;; [unrolled: 1-line block ×6, first 2 shown]
	buffer_load_dword v227, off, s[0:3], 0 offset:320
	buffer_load_dword v228, off, s[0:3], 0 offset:324
	;; [unrolled: 1-line block ×8, first 2 shown]
	v_cmp_lt_u32_e32 vcc, 14, v0
	s_waitcnt vmcnt(57) lgkmcnt(5)
	v_mul_f32_e32 v137, v113, v1
	s_waitcnt vmcnt(56)
	v_mul_f32_e32 v138, v115, v2
	s_waitcnt vmcnt(55) lgkmcnt(4)
	v_mul_f32_e32 v139, v117, v3
	s_waitcnt vmcnt(54)
	v_mul_f32_e32 v140, v119, v4
	;; [unrolled: 4-line block ×5, first 2 shown]
	s_waitcnt vmcnt(47) lgkmcnt(0)
	v_mul_f32_e32 v147, v133, v11
	s_waitcnt vmcnt(46)
	v_fmac_f32_e32 v139, v118, v12
	s_waitcnt vmcnt(45)
	v_fmac_f32_e32 v138, v116, v13
	;; [unrolled: 2-line block ×3, first 2 shown]
	v_add_f32_e32 v137, 0, v137
	v_add_f32_e32 v137, v137, v138
	;; [unrolled: 1-line block ×3, first 2 shown]
	s_waitcnt vmcnt(40)
	v_fmac_f32_e32 v140, v120, v194
	v_fmac_f32_e32 v141, v122, v193
	v_add_f32_e32 v137, v137, v140
	v_fmac_f32_e32 v142, v124, v192
	v_add_f32_e32 v137, v137, v141
	;; [unrolled: 2-line block ×3, first 2 shown]
	s_waitcnt vmcnt(36)
	v_fmac_f32_e32 v144, v128, v198
	v_add_f32_e32 v137, v137, v143
	v_fmac_f32_e32 v145, v130, v197
	v_add_f32_e32 v137, v137, v144
	;; [unrolled: 2-line block ×3, first 2 shown]
	v_add_f32_e32 v137, v137, v146
	v_fmac_f32_e32 v147, v134, v195
	v_add_f32_e32 v141, v137, v147
	ds_read_b128 v[137:140], v112 offset:672
	buffer_load_dword v235, off, s[0:3], 0 offset:352
	buffer_load_dword v236, off, s[0:3], 0 offset:356
	;; [unrolled: 1-line block ×6, first 2 shown]
	s_waitcnt vmcnt(41)
	v_mul_f32_e32 v142, v135, v199
	s_waitcnt vmcnt(34)
	v_fmac_f32_e32 v142, v136, v206
	v_add_f32_e32 v145, v141, v142
	ds_read_b128 v[141:144], v112 offset:688
	buffer_load_dword v241, off, s[0:3], 0 offset:376
	buffer_load_dword v242, off, s[0:3], 0 offset:380
	;; [unrolled: 1-line block ×16, first 2 shown]
	v_mul_f32_e32 v1, v114, v1
	v_fma_f32 v1, v113, v14, -v1
	v_mul_f32_e32 v2, v116, v2
	v_add_f32_e32 v1, 0, v1
	v_fma_f32 v2, v115, v13, -v2
	v_add_f32_e32 v1, v1, v2
	v_mul_f32_e32 v2, v118, v3
	v_fma_f32 v2, v117, v12, -v2
	s_waitcnt lgkmcnt(1)
	v_mul_f32_e32 v146, v137, v201
	v_add_f32_e32 v1, v1, v2
	v_mul_f32_e32 v2, v120, v4
	v_fmac_f32_e32 v146, v138, v200
	v_fma_f32 v2, v119, v194, -v2
	v_add_f32_e32 v145, v145, v146
	v_mul_f32_e32 v146, v139, v203
	v_add_f32_e32 v1, v1, v2
	v_mul_f32_e32 v2, v122, v5
	v_fmac_f32_e32 v146, v140, v202
	v_fma_f32 v2, v121, v193, -v2
	v_add_f32_e32 v145, v145, v146
	s_waitcnt lgkmcnt(0)
	v_mul_f32_e32 v146, v141, v205
	v_add_f32_e32 v1, v1, v2
	v_mul_f32_e32 v2, v124, v6
	v_fmac_f32_e32 v146, v142, v204
	v_fma_f32 v2, v123, v192, -v2
	v_add_f32_e32 v149, v145, v146
	ds_read_b128 v[145:148], v112 offset:704
	v_add_f32_e32 v1, v1, v2
	v_mul_f32_e32 v2, v126, v7
	v_fma_f32 v2, v125, v191, -v2
	s_waitcnt vmcnt(46)
	v_mul_f32_e32 v16, v143, v210
	v_add_f32_e32 v1, v1, v2
	v_mul_f32_e32 v2, v128, v8
	v_fmac_f32_e32 v16, v144, v209
	v_fma_f32 v2, v127, v198, -v2
	v_add_f32_e32 v16, v149, v16
	ds_read_b128 v[149:152], v112 offset:720
	v_add_f32_e32 v1, v1, v2
	v_mul_f32_e32 v2, v130, v9
	s_waitcnt vmcnt(44) lgkmcnt(1)
	v_mul_f32_e32 v153, v145, v212
	v_fma_f32 v2, v129, v197, -v2
	v_fmac_f32_e32 v153, v146, v211
	v_add_f32_e32 v1, v1, v2
	v_mul_f32_e32 v2, v132, v10
	v_add_f32_e32 v16, v16, v153
	s_waitcnt vmcnt(42)
	v_mul_f32_e32 v153, v147, v214
	v_fma_f32 v2, v131, v196, -v2
	v_fmac_f32_e32 v153, v148, v213
	v_add_f32_e32 v1, v1, v2
	v_mul_f32_e32 v2, v134, v11
	v_add_f32_e32 v16, v16, v153
	s_waitcnt vmcnt(40) lgkmcnt(0)
	v_mul_f32_e32 v153, v149, v216
	v_fma_f32 v2, v133, v195, -v2
	v_fmac_f32_e32 v153, v150, v215
	v_add_f32_e32 v1, v1, v2
	v_mul_f32_e32 v2, v136, v199
	v_add_f32_e32 v16, v16, v153
	ds_read_b128 v[153:156], v112 offset:736
	v_fma_f32 v2, v135, v206, -v2
	v_add_f32_e32 v1, v1, v2
	v_mul_f32_e32 v2, v138, v201
	s_waitcnt vmcnt(38)
	v_mul_f32_e32 v157, v151, v218
	v_fma_f32 v2, v137, v200, -v2
	v_fmac_f32_e32 v157, v152, v217
	v_add_f32_e32 v1, v1, v2
	v_mul_f32_e32 v2, v140, v203
	v_add_f32_e32 v16, v16, v157
	ds_read_b128 v[157:160], v112 offset:752
	v_fma_f32 v2, v139, v202, -v2
	s_waitcnt vmcnt(36) lgkmcnt(1)
	v_mul_f32_e32 v161, v153, v220
	v_add_f32_e32 v1, v1, v2
	v_mul_f32_e32 v2, v142, v205
	v_fmac_f32_e32 v161, v154, v219
	v_fma_f32 v2, v141, v204, -v2
	v_add_f32_e32 v16, v16, v161
	s_waitcnt vmcnt(34)
	v_mul_f32_e32 v161, v155, v222
	v_add_f32_e32 v1, v1, v2
	v_mul_f32_e32 v2, v144, v210
	v_fmac_f32_e32 v161, v156, v221
	v_fma_f32 v2, v143, v209, -v2
	v_add_f32_e32 v16, v16, v161
	s_waitcnt vmcnt(32) lgkmcnt(0)
	v_mul_f32_e32 v161, v157, v224
	v_add_f32_e32 v1, v1, v2
	v_mul_f32_e32 v2, v146, v212
	v_fmac_f32_e32 v161, v158, v223
	v_fma_f32 v2, v145, v211, -v2
	v_add_f32_e32 v16, v16, v161
	ds_read_b128 v[161:164], v112 offset:768
	v_add_f32_e32 v1, v1, v2
	v_mul_f32_e32 v2, v148, v214
	v_fma_f32 v2, v147, v213, -v2
	s_waitcnt vmcnt(30)
	v_mul_f32_e32 v165, v159, v226
	v_add_f32_e32 v1, v1, v2
	v_mul_f32_e32 v2, v150, v216
	v_fmac_f32_e32 v165, v160, v225
	v_fma_f32 v2, v149, v215, -v2
	v_add_f32_e32 v16, v16, v165
	ds_read_b128 v[165:168], v112 offset:784
	v_add_f32_e32 v1, v1, v2
	v_mul_f32_e32 v2, v152, v218
	s_waitcnt vmcnt(28) lgkmcnt(1)
	v_mul_f32_e32 v169, v161, v228
	v_fma_f32 v2, v151, v217, -v2
	v_fmac_f32_e32 v169, v162, v227
	v_add_f32_e32 v1, v1, v2
	v_mul_f32_e32 v2, v154, v220
	v_add_f32_e32 v16, v16, v169
	s_waitcnt vmcnt(27)
	v_mul_f32_e32 v169, v163, v229
	v_fma_f32 v2, v153, v219, -v2
	s_waitcnt vmcnt(24)
	v_fmac_f32_e32 v169, v164, v232
	v_add_f32_e32 v1, v1, v2
	v_mul_f32_e32 v2, v156, v222
	v_add_f32_e32 v16, v16, v169
	s_waitcnt lgkmcnt(0)
	v_mul_f32_e32 v169, v165, v231
	v_fma_f32 v2, v155, v221, -v2
	v_fmac_f32_e32 v169, v166, v230
	v_add_f32_e32 v1, v1, v2
	v_mul_f32_e32 v2, v158, v224
	v_add_f32_e32 v16, v16, v169
	ds_read_b128 v[169:172], v112 offset:800
	v_fma_f32 v2, v157, v223, -v2
	v_add_f32_e32 v1, v1, v2
	v_mul_f32_e32 v2, v160, v226
	s_waitcnt vmcnt(22)
	v_mul_f32_e32 v173, v167, v234
	v_fma_f32 v2, v159, v225, -v2
	v_fmac_f32_e32 v173, v168, v233
	v_add_f32_e32 v1, v1, v2
	v_mul_f32_e32 v2, v162, v228
	v_add_f32_e32 v16, v16, v173
	ds_read_b128 v[173:176], v112 offset:816
	v_fma_f32 v2, v161, v227, -v2
	s_waitcnt vmcnt(20) lgkmcnt(1)
	v_mul_f32_e32 v177, v169, v236
	v_add_f32_e32 v1, v1, v2
	v_mul_f32_e32 v2, v164, v229
	v_fmac_f32_e32 v177, v170, v235
	v_fma_f32 v2, v163, v232, -v2
	v_add_f32_e32 v16, v16, v177
	s_waitcnt vmcnt(19)
	v_mul_f32_e32 v177, v171, v237
	v_add_f32_e32 v1, v1, v2
	v_mul_f32_e32 v2, v166, v231
	s_waitcnt vmcnt(16)
	v_fmac_f32_e32 v177, v172, v240
	v_fma_f32 v2, v165, v230, -v2
	v_add_f32_e32 v16, v16, v177
	s_waitcnt lgkmcnt(0)
	v_mul_f32_e32 v177, v173, v239
	v_add_f32_e32 v1, v1, v2
	v_mul_f32_e32 v2, v168, v234
	v_fmac_f32_e32 v177, v174, v238
	v_fma_f32 v2, v167, v233, -v2
	v_add_f32_e32 v16, v16, v177
	ds_read_b128 v[177:180], v112 offset:832
	v_add_f32_e32 v1, v1, v2
	v_mul_f32_e32 v2, v170, v236
	v_fma_f32 v2, v169, v235, -v2
	s_waitcnt vmcnt(14)
	v_mul_f32_e32 v181, v175, v242
	v_add_f32_e32 v1, v1, v2
	v_mul_f32_e32 v2, v172, v237
	v_fmac_f32_e32 v181, v176, v241
	v_fma_f32 v2, v171, v240, -v2
	v_add_f32_e32 v16, v16, v181
	ds_read_b128 v[181:184], v112 offset:848
	v_add_f32_e32 v1, v1, v2
	v_mul_f32_e32 v2, v174, v239
	s_waitcnt vmcnt(12) lgkmcnt(1)
	v_mul_f32_e32 v185, v177, v244
	v_fma_f32 v2, v173, v238, -v2
	v_fmac_f32_e32 v185, v178, v243
	v_add_f32_e32 v1, v1, v2
	v_mul_f32_e32 v2, v176, v242
	v_add_f32_e32 v16, v16, v185
	s_waitcnt vmcnt(11)
	v_mul_f32_e32 v185, v179, v245
	v_fma_f32 v2, v175, v241, -v2
	s_waitcnt vmcnt(8)
	v_fmac_f32_e32 v185, v180, v248
	v_add_f32_e32 v1, v1, v2
	v_mul_f32_e32 v2, v178, v244
	v_add_f32_e32 v16, v16, v185
	s_waitcnt lgkmcnt(0)
	v_mul_f32_e32 v185, v181, v247
	v_fma_f32 v2, v177, v243, -v2
	v_fmac_f32_e32 v185, v182, v246
	v_add_f32_e32 v1, v1, v2
	v_mul_f32_e32 v2, v180, v245
	v_add_f32_e32 v16, v16, v185
	ds_read_b128 v[185:188], v112 offset:864
	v_fma_f32 v2, v179, v248, -v2
	v_add_f32_e32 v1, v1, v2
	v_mul_f32_e32 v2, v182, v247
	s_waitcnt vmcnt(6)
	v_mul_f32_e32 v189, v183, v250
	v_fma_f32 v2, v181, v246, -v2
	v_fmac_f32_e32 v189, v184, v249
	v_add_f32_e32 v1, v1, v2
	v_mul_f32_e32 v2, v184, v250
	v_add_f32_e32 v16, v16, v189
	ds_read_b64 v[189:190], v112 offset:880
	v_fma_f32 v2, v183, v249, -v2
	v_add_f32_e32 v1, v1, v2
	s_waitcnt vmcnt(4) lgkmcnt(1)
	v_mul_f32_e32 v2, v186, v252
	v_mul_f32_e32 v17, v185, v252
	v_fma_f32 v2, v185, v251, -v2
	v_fmac_f32_e32 v17, v186, v251
	v_add_f32_e32 v1, v1, v2
	s_waitcnt vmcnt(3)
	v_mul_f32_e32 v2, v188, v253
	v_add_f32_e32 v16, v16, v17
	v_mul_f32_e32 v17, v187, v253
	s_waitcnt vmcnt(0)
	v_fma_f32 v2, v187, v15, -v2
	v_fmac_f32_e32 v17, v188, v15
	v_add_f32_e32 v1, v1, v2
	s_waitcnt lgkmcnt(0)
	v_mul_f32_e32 v2, v190, v255
	v_add_f32_e32 v16, v16, v17
	v_mul_f32_e32 v17, v189, v255
	v_fma_f32 v2, v189, v254, -v2
	v_fmac_f32_e32 v17, v190, v254
	v_add_f32_e32 v1, v1, v2
	v_add_f32_e32 v16, v16, v17
	v_sub_f32_e32 v1, v207, v1
	v_sub_f32_e32 v2, v208, v16
	buffer_store_dword v1, off, s[0:3], 0 offset:120
	buffer_store_dword v2, off, s[0:3], 0 offset:124
	s_and_saveexec_b64 s[4:5], vcc
	s_cbranch_execz .LBB54_315
; %bb.314:
	buffer_load_dword v113, off, s[0:3], 0 offset:112
	buffer_load_dword v114, off, s[0:3], 0 offset:116
	s_waitcnt vmcnt(0)
	ds_write_b64 v111, v[113:114]
	buffer_store_dword v112, off, s[0:3], 0 offset:112
	buffer_store_dword v112, off, s[0:3], 0 offset:116
.LBB54_315:
	s_or_b64 exec, exec, s[4:5]
	s_waitcnt lgkmcnt(0)
	; wave barrier
	buffer_load_dword v1, off, s[0:3], 0 offset:124
	buffer_load_dword v2, off, s[0:3], 0 offset:132
	;; [unrolled: 1-line block ×32, first 2 shown]
	ds_read2_b64 v[113:116], v112 offset0:71 offset1:72
	ds_read2_b64 v[117:120], v112 offset0:73 offset1:74
	;; [unrolled: 1-line block ×6, first 2 shown]
	buffer_load_dword v207, off, s[0:3], 0 offset:240
	buffer_load_dword v208, off, s[0:3], 0 offset:244
	;; [unrolled: 1-line block ×26, first 2 shown]
	v_cmp_lt_u32_e32 vcc, 13, v0
	s_waitcnt vmcnt(57) lgkmcnt(5)
	v_mul_f32_e32 v137, v113, v1
	s_waitcnt vmcnt(56)
	v_mul_f32_e32 v138, v115, v2
	s_waitcnt vmcnt(55) lgkmcnt(4)
	v_mul_f32_e32 v139, v117, v3
	s_waitcnt vmcnt(54)
	v_mul_f32_e32 v140, v119, v4
	;; [unrolled: 4-line block ×5, first 2 shown]
	s_waitcnt vmcnt(47) lgkmcnt(0)
	v_mul_f32_e32 v147, v133, v11
	s_waitcnt vmcnt(46)
	v_fmac_f32_e32 v139, v118, v12
	s_waitcnt vmcnt(45)
	v_fmac_f32_e32 v138, v116, v13
	;; [unrolled: 2-line block ×3, first 2 shown]
	v_add_f32_e32 v137, 0, v137
	v_add_f32_e32 v137, v137, v138
	v_add_f32_e32 v137, v137, v139
	s_waitcnt vmcnt(40)
	v_fmac_f32_e32 v140, v120, v18
	v_fmac_f32_e32 v141, v122, v17
	v_add_f32_e32 v137, v137, v140
	v_fmac_f32_e32 v142, v124, v16
	v_add_f32_e32 v137, v137, v141
	;; [unrolled: 2-line block ×3, first 2 shown]
	s_waitcnt vmcnt(36)
	v_fmac_f32_e32 v144, v128, v196
	v_add_f32_e32 v137, v137, v143
	v_fmac_f32_e32 v145, v130, v195
	v_add_f32_e32 v137, v137, v144
	;; [unrolled: 2-line block ×4, first 2 shown]
	v_add_f32_e32 v141, v137, v147
	ds_read2_b64 v[137:140], v112 offset0:83 offset1:84
	buffer_load_dword v233, off, s[0:3], 0 offset:344
	buffer_load_dword v234, off, s[0:3], 0 offset:348
	;; [unrolled: 1-line block ×6, first 2 shown]
	s_waitcnt vmcnt(41)
	v_mul_f32_e32 v142, v135, v197
	s_waitcnt vmcnt(35)
	v_fmac_f32_e32 v142, v136, v203
	v_add_f32_e32 v145, v141, v142
	ds_read2_b64 v[141:144], v112 offset0:85 offset1:86
	buffer_load_dword v239, off, s[0:3], 0 offset:368
	buffer_load_dword v240, off, s[0:3], 0 offset:372
	;; [unrolled: 1-line block ×10, first 2 shown]
	s_waitcnt vmcnt(44) lgkmcnt(1)
	v_mul_f32_e32 v146, v137, v204
	v_fmac_f32_e32 v146, v138, v202
	v_add_f32_e32 v145, v145, v146
	v_mul_f32_e32 v146, v139, v199
	v_fmac_f32_e32 v146, v140, v198
	v_add_f32_e32 v145, v145, v146
	s_waitcnt lgkmcnt(0)
	v_mul_f32_e32 v146, v141, v201
	buffer_load_dword v249, off, s[0:3], 0 offset:408
	buffer_load_dword v250, off, s[0:3], 0 offset:412
	;; [unrolled: 1-line block ×6, first 2 shown]
	v_fmac_f32_e32 v146, v142, v200
	s_waitcnt vmcnt(46)
	v_mul_f32_e32 v150, v143, v208
	v_add_f32_e32 v149, v145, v146
	v_fmac_f32_e32 v150, v144, v207
	ds_read2_b64 v[145:148], v112 offset0:87 offset1:88
	v_add_f32_e32 v153, v149, v150
	ds_read2_b64 v[149:152], v112 offset0:89 offset1:90
	buffer_load_dword v255, off, s[0:3], 0 offset:432
	buffer_load_dword v19, off, s[0:3], 0 offset:436
	v_mul_f32_e32 v1, v114, v1
	v_fma_f32 v1, v113, v14, -v1
	v_mul_f32_e32 v2, v116, v2
	v_add_f32_e32 v1, 0, v1
	v_fma_f32 v2, v115, v13, -v2
	v_add_f32_e32 v1, v1, v2
	v_mul_f32_e32 v2, v118, v3
	v_fma_f32 v2, v117, v12, -v2
	v_add_f32_e32 v1, v1, v2
	v_mul_f32_e32 v2, v120, v4
	;; [unrolled: 3-line block ×7, first 2 shown]
	s_waitcnt vmcnt(46) lgkmcnt(1)
	v_mul_f32_e32 v20, v145, v210
	v_fma_f32 v2, v129, v195, -v2
	v_fmac_f32_e32 v20, v146, v209
	v_add_f32_e32 v1, v1, v2
	v_mul_f32_e32 v2, v132, v10
	v_add_f32_e32 v20, v153, v20
	s_waitcnt vmcnt(44)
	v_mul_f32_e32 v153, v147, v212
	v_fma_f32 v2, v131, v194, -v2
	v_fmac_f32_e32 v153, v148, v211
	v_add_f32_e32 v1, v1, v2
	v_mul_f32_e32 v2, v134, v11
	v_add_f32_e32 v20, v20, v153
	s_waitcnt vmcnt(42) lgkmcnt(0)
	v_mul_f32_e32 v153, v149, v214
	v_fma_f32 v2, v133, v193, -v2
	v_fmac_f32_e32 v153, v150, v213
	v_add_f32_e32 v1, v1, v2
	v_mul_f32_e32 v2, v136, v197
	v_add_f32_e32 v20, v20, v153
	ds_read2_b64 v[153:156], v112 offset0:91 offset1:92
	v_fma_f32 v2, v135, v203, -v2
	v_add_f32_e32 v1, v1, v2
	v_mul_f32_e32 v2, v138, v204
	s_waitcnt vmcnt(40)
	v_mul_f32_e32 v157, v151, v216
	v_fma_f32 v2, v137, v202, -v2
	v_fmac_f32_e32 v157, v152, v215
	v_add_f32_e32 v1, v1, v2
	v_mul_f32_e32 v2, v140, v199
	v_add_f32_e32 v20, v20, v157
	ds_read2_b64 v[157:160], v112 offset0:93 offset1:94
	v_fma_f32 v2, v139, v198, -v2
	s_waitcnt vmcnt(38) lgkmcnt(1)
	v_mul_f32_e32 v161, v153, v218
	v_add_f32_e32 v1, v1, v2
	v_mul_f32_e32 v2, v142, v201
	v_fmac_f32_e32 v161, v154, v217
	v_fma_f32 v2, v141, v200, -v2
	v_add_f32_e32 v20, v20, v161
	s_waitcnt vmcnt(36)
	v_mul_f32_e32 v161, v155, v220
	v_add_f32_e32 v1, v1, v2
	v_mul_f32_e32 v2, v144, v208
	v_fmac_f32_e32 v161, v156, v219
	v_fma_f32 v2, v143, v207, -v2
	v_add_f32_e32 v20, v20, v161
	s_waitcnt vmcnt(34) lgkmcnt(0)
	v_mul_f32_e32 v161, v157, v222
	v_add_f32_e32 v1, v1, v2
	v_mul_f32_e32 v2, v146, v210
	v_fmac_f32_e32 v161, v158, v221
	v_fma_f32 v2, v145, v209, -v2
	v_add_f32_e32 v20, v20, v161
	ds_read2_b64 v[161:164], v112 offset0:95 offset1:96
	v_add_f32_e32 v1, v1, v2
	v_mul_f32_e32 v2, v148, v212
	v_fma_f32 v2, v147, v211, -v2
	s_waitcnt vmcnt(32)
	v_mul_f32_e32 v165, v159, v224
	v_add_f32_e32 v1, v1, v2
	v_mul_f32_e32 v2, v150, v214
	v_fmac_f32_e32 v165, v160, v223
	v_fma_f32 v2, v149, v213, -v2
	v_add_f32_e32 v20, v20, v165
	ds_read2_b64 v[165:168], v112 offset0:97 offset1:98
	v_add_f32_e32 v1, v1, v2
	v_mul_f32_e32 v2, v152, v216
	s_waitcnt vmcnt(30) lgkmcnt(1)
	v_mul_f32_e32 v169, v161, v226
	v_fma_f32 v2, v151, v215, -v2
	v_fmac_f32_e32 v169, v162, v225
	v_add_f32_e32 v1, v1, v2
	v_mul_f32_e32 v2, v154, v218
	v_add_f32_e32 v20, v20, v169
	s_waitcnt vmcnt(29)
	v_mul_f32_e32 v169, v163, v227
	v_fma_f32 v2, v153, v217, -v2
	s_waitcnt vmcnt(26)
	v_fmac_f32_e32 v169, v164, v230
	v_add_f32_e32 v1, v1, v2
	v_mul_f32_e32 v2, v156, v220
	v_add_f32_e32 v20, v20, v169
	s_waitcnt lgkmcnt(0)
	v_mul_f32_e32 v169, v165, v229
	v_fma_f32 v2, v155, v219, -v2
	v_fmac_f32_e32 v169, v166, v228
	v_add_f32_e32 v1, v1, v2
	v_mul_f32_e32 v2, v158, v222
	v_add_f32_e32 v20, v20, v169
	ds_read2_b64 v[169:172], v112 offset0:99 offset1:100
	v_fma_f32 v2, v157, v221, -v2
	v_add_f32_e32 v1, v1, v2
	v_mul_f32_e32 v2, v160, v224
	s_waitcnt vmcnt(24)
	v_mul_f32_e32 v173, v167, v232
	v_fma_f32 v2, v159, v223, -v2
	v_fmac_f32_e32 v173, v168, v231
	v_add_f32_e32 v1, v1, v2
	v_mul_f32_e32 v2, v162, v226
	v_add_f32_e32 v20, v20, v173
	ds_read2_b64 v[173:176], v112 offset0:101 offset1:102
	v_fma_f32 v2, v161, v225, -v2
	s_waitcnt vmcnt(22) lgkmcnt(1)
	v_mul_f32_e32 v177, v169, v234
	v_add_f32_e32 v1, v1, v2
	v_mul_f32_e32 v2, v164, v227
	v_fmac_f32_e32 v177, v170, v233
	v_fma_f32 v2, v163, v230, -v2
	v_add_f32_e32 v20, v20, v177
	s_waitcnt vmcnt(21)
	v_mul_f32_e32 v177, v171, v235
	v_add_f32_e32 v1, v1, v2
	v_mul_f32_e32 v2, v166, v229
	s_waitcnt vmcnt(18)
	v_fmac_f32_e32 v177, v172, v238
	v_fma_f32 v2, v165, v228, -v2
	v_add_f32_e32 v20, v20, v177
	s_waitcnt lgkmcnt(0)
	v_mul_f32_e32 v177, v173, v237
	v_add_f32_e32 v1, v1, v2
	v_mul_f32_e32 v2, v168, v232
	v_fmac_f32_e32 v177, v174, v236
	v_fma_f32 v2, v167, v231, -v2
	v_add_f32_e32 v20, v20, v177
	ds_read2_b64 v[177:180], v112 offset0:103 offset1:104
	v_add_f32_e32 v1, v1, v2
	v_mul_f32_e32 v2, v170, v234
	v_fma_f32 v2, v169, v233, -v2
	s_waitcnt vmcnt(16)
	v_mul_f32_e32 v181, v175, v240
	v_add_f32_e32 v1, v1, v2
	v_mul_f32_e32 v2, v172, v235
	v_fmac_f32_e32 v181, v176, v239
	v_fma_f32 v2, v171, v238, -v2
	v_add_f32_e32 v20, v20, v181
	ds_read2_b64 v[181:184], v112 offset0:105 offset1:106
	v_add_f32_e32 v1, v1, v2
	v_mul_f32_e32 v2, v174, v237
	s_waitcnt vmcnt(14) lgkmcnt(1)
	v_mul_f32_e32 v185, v177, v242
	v_fma_f32 v2, v173, v236, -v2
	v_fmac_f32_e32 v185, v178, v241
	v_add_f32_e32 v1, v1, v2
	v_mul_f32_e32 v2, v176, v240
	v_add_f32_e32 v20, v20, v185
	s_waitcnt vmcnt(13)
	v_mul_f32_e32 v185, v179, v243
	v_fma_f32 v2, v175, v239, -v2
	s_waitcnt vmcnt(10)
	v_fmac_f32_e32 v185, v180, v246
	v_add_f32_e32 v1, v1, v2
	v_mul_f32_e32 v2, v178, v242
	v_add_f32_e32 v20, v20, v185
	s_waitcnt lgkmcnt(0)
	v_mul_f32_e32 v185, v181, v245
	v_fma_f32 v2, v177, v241, -v2
	v_fmac_f32_e32 v185, v182, v244
	v_add_f32_e32 v1, v1, v2
	v_mul_f32_e32 v2, v180, v243
	v_add_f32_e32 v20, v20, v185
	ds_read2_b64 v[185:188], v112 offset0:107 offset1:108
	v_fma_f32 v2, v179, v246, -v2
	v_add_f32_e32 v1, v1, v2
	v_mul_f32_e32 v2, v182, v245
	s_waitcnt vmcnt(8)
	v_mul_f32_e32 v189, v183, v248
	v_fma_f32 v2, v181, v244, -v2
	v_fmac_f32_e32 v189, v184, v247
	v_add_f32_e32 v1, v1, v2
	v_mul_f32_e32 v2, v184, v248
	v_add_f32_e32 v20, v20, v189
	ds_read2_b64 v[189:192], v112 offset0:109 offset1:110
	v_fma_f32 v2, v183, v247, -v2
	v_add_f32_e32 v1, v1, v2
	s_waitcnt vmcnt(6) lgkmcnt(1)
	v_mul_f32_e32 v2, v186, v250
	v_mul_f32_e32 v112, v185, v250
	v_fma_f32 v2, v185, v249, -v2
	v_fmac_f32_e32 v112, v186, v249
	v_add_f32_e32 v1, v1, v2
	s_waitcnt vmcnt(5)
	v_mul_f32_e32 v2, v188, v251
	v_add_f32_e32 v20, v20, v112
	v_mul_f32_e32 v112, v187, v251
	s_waitcnt vmcnt(2)
	v_fma_f32 v2, v187, v254, -v2
	v_fmac_f32_e32 v112, v188, v254
	v_add_f32_e32 v1, v1, v2
	s_waitcnt lgkmcnt(0)
	v_mul_f32_e32 v2, v190, v253
	v_add_f32_e32 v20, v20, v112
	v_mul_f32_e32 v112, v189, v253
	v_fma_f32 v2, v189, v252, -v2
	v_fmac_f32_e32 v112, v190, v252
	v_add_f32_e32 v1, v1, v2
	s_waitcnt vmcnt(0)
	v_mul_f32_e32 v2, v192, v19
	v_add_f32_e32 v20, v20, v112
	v_mul_f32_e32 v112, v191, v19
	v_fma_f32 v2, v191, v255, -v2
	v_fmac_f32_e32 v112, v192, v255
	v_add_f32_e32 v1, v1, v2
	v_add_f32_e32 v20, v20, v112
	v_sub_f32_e32 v1, v205, v1
	v_sub_f32_e32 v2, v206, v20
	buffer_store_dword v1, off, s[0:3], 0 offset:112
	buffer_store_dword v2, off, s[0:3], 0 offset:116
	s_and_saveexec_b64 s[4:5], vcc
	s_cbranch_execz .LBB54_317
; %bb.316:
	buffer_load_dword v112, off, s[0:3], 0 offset:104
	buffer_load_dword v113, off, s[0:3], 0 offset:108
	v_mov_b32_e32 v1, 0
	buffer_store_dword v1, off, s[0:3], 0 offset:104
	buffer_store_dword v1, off, s[0:3], 0 offset:108
	s_waitcnt vmcnt(2)
	ds_write_b64 v111, v[112:113]
.LBB54_317:
	s_or_b64 exec, exec, s[4:5]
	s_waitcnt lgkmcnt(0)
	; wave barrier
	buffer_load_dword v121, off, s[0:3], 0 offset:116
	buffer_load_dword v120, off, s[0:3], 0 offset:124
	;; [unrolled: 1-line block ×50, first 2 shown]
	v_mov_b32_e32 v112, 0
	ds_read_b128 v[122:125], v112 offset:560
	ds_read_b128 v[126:129], v112 offset:576
	;; [unrolled: 1-line block ×6, first 2 shown]
	buffer_load_dword v225, off, s[0:3], 0 offset:304
	buffer_load_dword v226, off, s[0:3], 0 offset:308
	;; [unrolled: 1-line block ×6, first 2 shown]
	v_cmp_lt_u32_e32 vcc, 12, v0
	s_waitcnt vmcnt(55) lgkmcnt(5)
	v_mul_f32_e32 v146, v122, v121
	s_waitcnt vmcnt(54)
	v_mul_f32_e32 v147, v124, v120
	s_waitcnt vmcnt(53) lgkmcnt(4)
	v_mul_f32_e32 v148, v126, v119
	s_waitcnt vmcnt(52)
	v_mul_f32_e32 v149, v128, v118
	s_waitcnt vmcnt(51) lgkmcnt(3)
	v_mul_f32_e32 v150, v130, v117
	s_waitcnt vmcnt(50)
	v_mul_f32_e32 v151, v132, v116
	s_waitcnt vmcnt(49) lgkmcnt(2)
	v_mul_f32_e32 v152, v134, v115
	s_waitcnt vmcnt(48)
	v_mul_f32_e32 v153, v136, v1
	s_waitcnt vmcnt(47) lgkmcnt(1)
	v_mul_f32_e32 v154, v138, v2
	s_waitcnt vmcnt(46)
	v_mul_f32_e32 v155, v140, v3
	s_waitcnt vmcnt(45) lgkmcnt(0)
	v_mul_f32_e32 v156, v142, v4
	s_waitcnt vmcnt(44)
	v_fmac_f32_e32 v148, v127, v5
	s_waitcnt vmcnt(43)
	v_fmac_f32_e32 v147, v125, v6
	;; [unrolled: 2-line block ×3, first 2 shown]
	v_add_f32_e32 v146, 0, v146
	v_add_f32_e32 v146, v146, v147
	v_add_f32_e32 v146, v146, v148
	s_waitcnt vmcnt(38)
	v_fmac_f32_e32 v149, v129, v11
	v_fmac_f32_e32 v150, v131, v10
	v_add_f32_e32 v146, v146, v149
	v_fmac_f32_e32 v151, v133, v9
	v_add_f32_e32 v146, v146, v150
	;; [unrolled: 2-line block ×3, first 2 shown]
	s_waitcnt vmcnt(34)
	v_fmac_f32_e32 v153, v137, v15
	v_add_f32_e32 v146, v146, v152
	v_fmac_f32_e32 v154, v139, v14
	v_add_f32_e32 v146, v146, v153
	;; [unrolled: 2-line block ×4, first 2 shown]
	v_add_f32_e32 v150, v146, v156
	ds_read_b128 v[146:149], v112 offset:656
	buffer_load_dword v231, off, s[0:3], 0 offset:328
	buffer_load_dword v232, off, s[0:3], 0 offset:332
	s_waitcnt vmcnt(35)
	v_mul_f32_e32 v151, v144, v16
	s_waitcnt vmcnt(29)
	v_fmac_f32_e32 v151, v145, v205
	v_add_f32_e32 v154, v150, v151
	ds_read_b128 v[150:153], v112 offset:672
	buffer_load_dword v233, off, s[0:3], 0 offset:336
	buffer_load_dword v234, off, s[0:3], 0 offset:340
	;; [unrolled: 1-line block ×14, first 2 shown]
	s_waitcnt vmcnt(42) lgkmcnt(1)
	v_mul_f32_e32 v155, v146, v206
	v_fmac_f32_e32 v155, v147, v204
	buffer_load_dword v247, off, s[0:3], 0 offset:392
	buffer_load_dword v248, off, s[0:3], 0 offset:396
	v_add_f32_e32 v154, v154, v155
	v_mul_f32_e32 v155, v148, v18
	v_fmac_f32_e32 v155, v149, v17
	v_add_f32_e32 v154, v154, v155
	s_waitcnt lgkmcnt(0)
	v_mul_f32_e32 v155, v150, v20
	v_fmac_f32_e32 v155, v151, v19
	v_add_f32_e32 v158, v154, v155
	ds_read_b128 v[154:157], v112 offset:688
	buffer_load_dword v249, off, s[0:3], 0 offset:400
	buffer_load_dword v250, off, s[0:3], 0 offset:404
	;; [unrolled: 1-line block ×6, first 2 shown]
	s_waitcnt vmcnt(46)
	v_mul_f32_e32 v159, v152, v208
	v_fmac_f32_e32 v159, v153, v207
	v_add_f32_e32 v162, v158, v159
	ds_read_b128 v[158:161], v112 offset:704
	buffer_load_dword v255, off, s[0:3], 0 offset:428
	buffer_load_dword v21, off, s[0:3], 0 offset:432
	;; [unrolled: 1-line block ×4, first 2 shown]
	s_waitcnt vmcnt(48) lgkmcnt(1)
	v_mul_f32_e32 v163, v154, v210
	v_fmac_f32_e32 v163, v155, v209
	v_add_f32_e32 v24, v162, v163
	s_waitcnt vmcnt(46)
	v_mul_f32_e32 v162, v156, v212
	v_fmac_f32_e32 v162, v157, v211
	v_add_f32_e32 v24, v24, v162
	s_waitcnt vmcnt(44) lgkmcnt(0)
	v_mul_f32_e32 v162, v158, v214
	v_fmac_f32_e32 v162, v159, v213
	v_add_f32_e32 v24, v24, v162
	ds_read_b128 v[162:165], v112 offset:720
	s_waitcnt vmcnt(42)
	v_mul_f32_e32 v166, v160, v216
	v_fmac_f32_e32 v166, v161, v215
	v_add_f32_e32 v24, v24, v166
	ds_read_b128 v[166:169], v112 offset:736
	s_waitcnt vmcnt(40) lgkmcnt(1)
	v_mul_f32_e32 v170, v162, v218
	v_fmac_f32_e32 v170, v163, v217
	v_add_f32_e32 v24, v24, v170
	s_waitcnt vmcnt(38)
	v_mul_f32_e32 v170, v164, v220
	v_fmac_f32_e32 v170, v165, v219
	v_add_f32_e32 v24, v24, v170
	s_waitcnt vmcnt(36) lgkmcnt(0)
	v_mul_f32_e32 v170, v166, v222
	v_fmac_f32_e32 v170, v167, v221
	v_add_f32_e32 v24, v24, v170
	ds_read_b128 v[170:173], v112 offset:752
	s_waitcnt vmcnt(34)
	v_mul_f32_e32 v174, v168, v224
	v_fmac_f32_e32 v174, v169, v223
	v_add_f32_e32 v24, v24, v174
	ds_read_b128 v[174:177], v112 offset:768
	s_waitcnt vmcnt(32) lgkmcnt(1)
	v_mul_f32_e32 v178, v170, v226
	v_fmac_f32_e32 v178, v171, v225
	v_add_f32_e32 v24, v24, v178
	s_waitcnt vmcnt(31)
	v_mul_f32_e32 v178, v172, v227
	s_waitcnt vmcnt(28)
	v_fmac_f32_e32 v178, v173, v230
	v_add_f32_e32 v24, v24, v178
	s_waitcnt lgkmcnt(0)
	v_mul_f32_e32 v178, v174, v229
	v_fmac_f32_e32 v178, v175, v228
	v_add_f32_e32 v24, v24, v178
	ds_read_b128 v[178:181], v112 offset:784
	v_mul_f32_e32 v1, v137, v1
	v_fma_f32 v1, v136, v15, -v1
	v_mul_f32_e32 v2, v139, v2
	v_fma_f32 v2, v138, v14, -v2
	s_waitcnt vmcnt(26)
	v_mul_f32_e32 v182, v176, v232
	v_fmac_f32_e32 v182, v177, v231
	v_add_f32_e32 v24, v24, v182
	ds_read_b128 v[182:185], v112 offset:800
	s_waitcnt vmcnt(24) lgkmcnt(1)
	v_mul_f32_e32 v186, v178, v234
	v_fmac_f32_e32 v186, v179, v233
	v_add_f32_e32 v24, v24, v186
	s_waitcnt vmcnt(23)
	v_mul_f32_e32 v186, v180, v235
	s_waitcnt vmcnt(20)
	v_fmac_f32_e32 v186, v181, v238
	v_add_f32_e32 v24, v24, v186
	s_waitcnt lgkmcnt(0)
	v_mul_f32_e32 v186, v182, v237
	v_fmac_f32_e32 v186, v183, v236
	v_add_f32_e32 v24, v24, v186
	ds_read_b128 v[186:189], v112 offset:816
	s_waitcnt vmcnt(18)
	v_mul_f32_e32 v190, v184, v240
	v_fmac_f32_e32 v190, v185, v239
	v_add_f32_e32 v24, v24, v190
	ds_read_b128 v[190:193], v112 offset:832
	s_waitcnt vmcnt(16) lgkmcnt(1)
	v_mul_f32_e32 v194, v186, v242
	v_fmac_f32_e32 v194, v187, v241
	v_add_f32_e32 v24, v24, v194
	s_waitcnt vmcnt(15)
	v_mul_f32_e32 v194, v188, v243
	s_waitcnt vmcnt(12)
	v_fmac_f32_e32 v194, v189, v246
	v_add_f32_e32 v24, v24, v194
	s_waitcnt lgkmcnt(0)
	v_mul_f32_e32 v194, v190, v245
	v_fmac_f32_e32 v194, v191, v244
	v_add_f32_e32 v24, v24, v194
	ds_read_b128 v[194:197], v112 offset:848
	s_waitcnt vmcnt(10)
	v_mul_f32_e32 v198, v192, v248
	v_fmac_f32_e32 v198, v193, v247
	v_add_f32_e32 v24, v24, v198
	ds_read_b128 v[198:201], v112 offset:864
	s_waitcnt vmcnt(8) lgkmcnt(1)
	v_mul_f32_e32 v202, v194, v250
	v_fmac_f32_e32 v202, v195, v249
	v_add_f32_e32 v24, v24, v202
	s_waitcnt vmcnt(7)
	v_mul_f32_e32 v202, v196, v251
	s_waitcnt vmcnt(4)
	v_fmac_f32_e32 v202, v197, v254
	v_add_f32_e32 v24, v24, v202
	ds_read_b64 v[202:203], v112 offset:880
	s_waitcnt lgkmcnt(1)
	v_mul_f32_e32 v25, v198, v253
	v_fmac_f32_e32 v25, v199, v252
	v_add_f32_e32 v24, v24, v25
	s_waitcnt vmcnt(3)
	v_mul_f32_e32 v25, v200, v255
	s_waitcnt vmcnt(0)
	v_fmac_f32_e32 v25, v201, v23
	v_add_f32_e32 v24, v24, v25
	s_waitcnt lgkmcnt(0)
	v_mul_f32_e32 v25, v202, v22
	v_fmac_f32_e32 v25, v203, v21
	v_add_f32_e32 v24, v24, v25
	v_mul_f32_e32 v25, v123, v121
	v_fma_f32 v7, v122, v7, -v25
	v_mul_f32_e32 v25, v125, v120
	v_add_f32_e32 v7, 0, v7
	v_fma_f32 v6, v124, v6, -v25
	v_add_f32_e32 v6, v7, v6
	v_mul_f32_e32 v7, v127, v119
	v_fma_f32 v5, v126, v5, -v7
	v_add_f32_e32 v5, v6, v5
	v_mul_f32_e32 v6, v129, v118
	;; [unrolled: 3-line block ×5, first 2 shown]
	v_fma_f32 v6, v134, v8, -v6
	v_add_f32_e32 v5, v5, v6
	v_add_f32_e32 v1, v5, v1
	;; [unrolled: 1-line block ×3, first 2 shown]
	v_mul_f32_e32 v2, v141, v3
	v_fma_f32 v2, v140, v13, -v2
	v_add_f32_e32 v1, v1, v2
	v_mul_f32_e32 v2, v143, v4
	v_fma_f32 v2, v142, v12, -v2
	v_add_f32_e32 v1, v1, v2
	;; [unrolled: 3-line block ×32, first 2 shown]
	v_sub_f32_e32 v1, v113, v1
	v_sub_f32_e32 v2, v114, v24
	buffer_store_dword v1, off, s[0:3], 0 offset:104
	buffer_store_dword v2, off, s[0:3], 0 offset:108
	s_and_saveexec_b64 s[4:5], vcc
	s_cbranch_execz .LBB54_319
; %bb.318:
	buffer_load_dword v113, off, s[0:3], 0 offset:96
	buffer_load_dword v114, off, s[0:3], 0 offset:100
	s_waitcnt vmcnt(0)
	ds_write_b64 v111, v[113:114]
	buffer_store_dword v112, off, s[0:3], 0 offset:96
	buffer_store_dword v112, off, s[0:3], 0 offset:100
.LBB54_319:
	s_or_b64 exec, exec, s[4:5]
	s_waitcnt lgkmcnt(0)
	; wave barrier
	buffer_load_dword v1, off, s[0:3], 0 offset:108
	buffer_load_dword v2, off, s[0:3], 0 offset:116
	;; [unrolled: 1-line block ×32, first 2 shown]
	ds_read2_b64 v[113:116], v112 offset0:69 offset1:70
	ds_read2_b64 v[117:120], v112 offset0:71 offset1:72
	;; [unrolled: 1-line block ×6, first 2 shown]
	buffer_load_dword v203, off, s[0:3], 0 offset:224
	buffer_load_dword v204, off, s[0:3], 0 offset:228
	buffer_load_dword v205, off, s[0:3], 0 offset:232
	buffer_load_dword v206, off, s[0:3], 0 offset:236
	buffer_load_dword v207, off, s[0:3], 0 offset:240
	buffer_load_dword v208, off, s[0:3], 0 offset:244
	buffer_load_dword v209, off, s[0:3], 0 offset:248
	buffer_load_dword v210, off, s[0:3], 0 offset:252
	buffer_load_dword v211, off, s[0:3], 0 offset:256
	buffer_load_dword v212, off, s[0:3], 0 offset:260
	buffer_load_dword v213, off, s[0:3], 0 offset:264
	buffer_load_dword v214, off, s[0:3], 0 offset:268
	buffer_load_dword v215, off, s[0:3], 0 offset:272
	buffer_load_dword v216, off, s[0:3], 0 offset:276
	buffer_load_dword v217, off, s[0:3], 0 offset:280
	buffer_load_dword v218, off, s[0:3], 0 offset:284
	buffer_load_dword v219, off, s[0:3], 0 offset:288
	buffer_load_dword v220, off, s[0:3], 0 offset:292
	v_cmp_lt_u32_e32 vcc, 11, v0
	s_waitcnt vmcnt(49) lgkmcnt(5)
	v_mul_f32_e32 v137, v113, v1
	s_waitcnt vmcnt(48)
	v_mul_f32_e32 v138, v115, v2
	s_waitcnt vmcnt(47) lgkmcnt(4)
	v_mul_f32_e32 v139, v117, v3
	s_waitcnt vmcnt(46)
	v_mul_f32_e32 v140, v119, v4
	;; [unrolled: 4-line block ×6, first 2 shown]
	s_waitcnt vmcnt(37)
	v_fmac_f32_e32 v139, v118, v13
	s_waitcnt vmcnt(36)
	v_fmac_f32_e32 v138, v116, v14
	;; [unrolled: 2-line block ×3, first 2 shown]
	v_add_f32_e32 v137, 0, v137
	v_add_f32_e32 v137, v137, v138
	;; [unrolled: 1-line block ×3, first 2 shown]
	s_waitcnt vmcnt(31)
	v_fmac_f32_e32 v140, v120, v19
	v_fmac_f32_e32 v141, v122, v18
	v_add_f32_e32 v137, v137, v140
	v_fmac_f32_e32 v142, v124, v17
	v_add_f32_e32 v137, v137, v141
	;; [unrolled: 2-line block ×3, first 2 shown]
	s_waitcnt vmcnt(27)
	v_fmac_f32_e32 v144, v128, v23
	v_add_f32_e32 v137, v137, v143
	v_fmac_f32_e32 v145, v130, v22
	v_add_f32_e32 v137, v137, v144
	;; [unrolled: 2-line block ×3, first 2 shown]
	v_add_f32_e32 v141, v137, v146
	ds_read2_b64 v[137:140], v112 offset0:81 offset1:82
	buffer_load_dword v221, off, s[0:3], 0 offset:296
	buffer_load_dword v222, off, s[0:3], 0 offset:300
	;; [unrolled: 1-line block ×6, first 2 shown]
	v_fmac_f32_e32 v147, v134, v20
	s_waitcnt vmcnt(27)
	v_fmac_f32_e32 v148, v136, v199
	v_add_f32_e32 v141, v141, v147
	v_add_f32_e32 v145, v141, v148
	ds_read2_b64 v[141:144], v112 offset0:83 offset1:84
	buffer_load_dword v227, off, s[0:3], 0 offset:320
	buffer_load_dword v228, off, s[0:3], 0 offset:324
	;; [unrolled: 1-line block ×10, first 2 shown]
	s_waitcnt vmcnt(36) lgkmcnt(1)
	v_mul_f32_e32 v146, v137, v200
	buffer_load_dword v237, off, s[0:3], 0 offset:360
	buffer_load_dword v238, off, s[0:3], 0 offset:364
	;; [unrolled: 1-line block ×6, first 2 shown]
	v_fmac_f32_e32 v146, v138, v198
	v_add_f32_e32 v145, v145, v146
	v_mul_f32_e32 v146, v139, v25
	v_fmac_f32_e32 v146, v140, v24
	v_add_f32_e32 v145, v145, v146
	s_waitcnt lgkmcnt(0)
	v_mul_f32_e32 v146, v141, v197
	v_fmac_f32_e32 v146, v142, v26
	v_add_f32_e32 v149, v145, v146
	ds_read2_b64 v[145:148], v112 offset0:85 offset1:86
	buffer_load_dword v243, off, s[0:3], 0 offset:384
	buffer_load_dword v244, off, s[0:3], 0 offset:388
	s_waitcnt vmcnt(40)
	v_mul_f32_e32 v150, v143, v204
	v_fmac_f32_e32 v150, v144, v203
	v_add_f32_e32 v153, v149, v150
	ds_read2_b64 v[149:152], v112 offset0:87 offset1:88
	buffer_load_dword v245, off, s[0:3], 0 offset:392
	buffer_load_dword v246, off, s[0:3], 0 offset:396
	;; [unrolled: 1-line block ×12, first 2 shown]
	v_mul_f32_e32 v1, v114, v1
	v_fma_f32 v1, v113, v15, -v1
	v_mul_f32_e32 v2, v116, v2
	v_add_f32_e32 v1, 0, v1
	v_fma_f32 v2, v115, v14, -v2
	v_add_f32_e32 v1, v1, v2
	v_mul_f32_e32 v2, v118, v3
	v_fma_f32 v2, v117, v13, -v2
	v_add_f32_e32 v1, v1, v2
	v_mul_f32_e32 v2, v120, v4
	;; [unrolled: 3-line block ×6, first 2 shown]
	v_fma_f32 v2, v127, v23, -v2
	s_waitcnt vmcnt(50) lgkmcnt(1)
	v_mul_f32_e32 v154, v145, v206
	v_add_f32_e32 v1, v1, v2
	v_mul_f32_e32 v2, v130, v9
	v_fmac_f32_e32 v154, v146, v205
	v_fma_f32 v2, v129, v22, -v2
	v_add_f32_e32 v153, v153, v154
	s_waitcnt vmcnt(48)
	v_mul_f32_e32 v154, v147, v208
	v_add_f32_e32 v1, v1, v2
	v_mul_f32_e32 v2, v132, v10
	v_fmac_f32_e32 v154, v148, v207
	v_fma_f32 v2, v131, v21, -v2
	v_add_f32_e32 v28, v153, v154
	s_waitcnt vmcnt(46) lgkmcnt(0)
	v_mul_f32_e32 v153, v149, v210
	v_add_f32_e32 v1, v1, v2
	v_mul_f32_e32 v2, v134, v11
	v_fmac_f32_e32 v153, v150, v209
	v_fma_f32 v2, v133, v20, -v2
	v_add_f32_e32 v28, v28, v153
	ds_read2_b64 v[153:156], v112 offset0:89 offset1:90
	v_add_f32_e32 v1, v1, v2
	v_mul_f32_e32 v2, v136, v12
	v_fma_f32 v2, v135, v199, -v2
	s_waitcnt vmcnt(44)
	v_mul_f32_e32 v157, v151, v212
	v_add_f32_e32 v1, v1, v2
	v_mul_f32_e32 v2, v138, v200
	v_fmac_f32_e32 v157, v152, v211
	v_fma_f32 v2, v137, v198, -v2
	v_add_f32_e32 v28, v28, v157
	ds_read2_b64 v[157:160], v112 offset0:91 offset1:92
	v_add_f32_e32 v1, v1, v2
	v_mul_f32_e32 v2, v140, v25
	s_waitcnt vmcnt(42) lgkmcnt(1)
	v_mul_f32_e32 v161, v153, v214
	v_fma_f32 v2, v139, v24, -v2
	v_fmac_f32_e32 v161, v154, v213
	v_add_f32_e32 v1, v1, v2
	v_mul_f32_e32 v2, v142, v197
	v_add_f32_e32 v28, v28, v161
	s_waitcnt vmcnt(40)
	v_mul_f32_e32 v161, v155, v216
	v_fma_f32 v2, v141, v26, -v2
	v_fmac_f32_e32 v161, v156, v215
	v_add_f32_e32 v1, v1, v2
	v_mul_f32_e32 v2, v144, v204
	v_add_f32_e32 v28, v28, v161
	s_waitcnt vmcnt(38) lgkmcnt(0)
	v_mul_f32_e32 v161, v157, v218
	v_fma_f32 v2, v143, v203, -v2
	v_fmac_f32_e32 v161, v158, v217
	v_add_f32_e32 v1, v1, v2
	v_mul_f32_e32 v2, v146, v206
	v_add_f32_e32 v28, v28, v161
	ds_read2_b64 v[161:164], v112 offset0:93 offset1:94
	v_fma_f32 v2, v145, v205, -v2
	v_add_f32_e32 v1, v1, v2
	v_mul_f32_e32 v2, v148, v208
	s_waitcnt vmcnt(36)
	v_mul_f32_e32 v165, v159, v220
	v_fma_f32 v2, v147, v207, -v2
	v_fmac_f32_e32 v165, v160, v219
	v_add_f32_e32 v1, v1, v2
	v_mul_f32_e32 v2, v150, v210
	v_add_f32_e32 v28, v28, v165
	ds_read2_b64 v[165:168], v112 offset0:95 offset1:96
	v_fma_f32 v2, v149, v209, -v2
	s_waitcnt vmcnt(34) lgkmcnt(1)
	v_mul_f32_e32 v169, v161, v222
	v_add_f32_e32 v1, v1, v2
	v_mul_f32_e32 v2, v152, v212
	v_fmac_f32_e32 v169, v162, v221
	v_fma_f32 v2, v151, v211, -v2
	v_add_f32_e32 v28, v28, v169
	s_waitcnt vmcnt(33)
	v_mul_f32_e32 v169, v163, v223
	v_add_f32_e32 v1, v1, v2
	v_mul_f32_e32 v2, v154, v214
	s_waitcnt vmcnt(30)
	v_fmac_f32_e32 v169, v164, v226
	v_fma_f32 v2, v153, v213, -v2
	v_add_f32_e32 v28, v28, v169
	s_waitcnt lgkmcnt(0)
	v_mul_f32_e32 v169, v165, v225
	v_add_f32_e32 v1, v1, v2
	v_mul_f32_e32 v2, v156, v216
	v_fmac_f32_e32 v169, v166, v224
	v_fma_f32 v2, v155, v215, -v2
	v_add_f32_e32 v28, v28, v169
	ds_read2_b64 v[169:172], v112 offset0:97 offset1:98
	v_add_f32_e32 v1, v1, v2
	v_mul_f32_e32 v2, v158, v218
	v_fma_f32 v2, v157, v217, -v2
	s_waitcnt vmcnt(28)
	v_mul_f32_e32 v173, v167, v228
	v_add_f32_e32 v1, v1, v2
	v_mul_f32_e32 v2, v160, v220
	v_fmac_f32_e32 v173, v168, v227
	v_fma_f32 v2, v159, v219, -v2
	v_add_f32_e32 v28, v28, v173
	ds_read2_b64 v[173:176], v112 offset0:99 offset1:100
	v_add_f32_e32 v1, v1, v2
	v_mul_f32_e32 v2, v162, v222
	s_waitcnt vmcnt(26) lgkmcnt(1)
	v_mul_f32_e32 v177, v169, v230
	v_fma_f32 v2, v161, v221, -v2
	v_fmac_f32_e32 v177, v170, v229
	v_add_f32_e32 v1, v1, v2
	v_mul_f32_e32 v2, v164, v223
	v_add_f32_e32 v28, v28, v177
	s_waitcnt vmcnt(25)
	v_mul_f32_e32 v177, v171, v231
	v_fma_f32 v2, v163, v226, -v2
	s_waitcnt vmcnt(22)
	v_fmac_f32_e32 v177, v172, v234
	v_add_f32_e32 v1, v1, v2
	v_mul_f32_e32 v2, v166, v225
	v_add_f32_e32 v28, v28, v177
	s_waitcnt lgkmcnt(0)
	v_mul_f32_e32 v177, v173, v233
	v_fma_f32 v2, v165, v224, -v2
	v_fmac_f32_e32 v177, v174, v232
	v_add_f32_e32 v1, v1, v2
	v_mul_f32_e32 v2, v168, v228
	v_add_f32_e32 v28, v28, v177
	ds_read2_b64 v[177:180], v112 offset0:101 offset1:102
	v_fma_f32 v2, v167, v227, -v2
	v_add_f32_e32 v1, v1, v2
	v_mul_f32_e32 v2, v170, v230
	s_waitcnt vmcnt(20)
	v_mul_f32_e32 v181, v175, v236
	v_fma_f32 v2, v169, v229, -v2
	v_fmac_f32_e32 v181, v176, v235
	v_add_f32_e32 v1, v1, v2
	v_mul_f32_e32 v2, v172, v231
	v_add_f32_e32 v28, v28, v181
	ds_read2_b64 v[181:184], v112 offset0:103 offset1:104
	v_fma_f32 v2, v171, v234, -v2
	s_waitcnt vmcnt(18) lgkmcnt(1)
	v_mul_f32_e32 v185, v177, v238
	v_add_f32_e32 v1, v1, v2
	v_mul_f32_e32 v2, v174, v233
	v_fmac_f32_e32 v185, v178, v237
	v_fma_f32 v2, v173, v232, -v2
	v_add_f32_e32 v28, v28, v185
	s_waitcnt vmcnt(17)
	v_mul_f32_e32 v185, v179, v239
	v_add_f32_e32 v1, v1, v2
	v_mul_f32_e32 v2, v176, v236
	s_waitcnt vmcnt(14)
	v_fmac_f32_e32 v185, v180, v242
	v_fma_f32 v2, v175, v235, -v2
	v_add_f32_e32 v28, v28, v185
	s_waitcnt lgkmcnt(0)
	v_mul_f32_e32 v185, v181, v241
	v_add_f32_e32 v1, v1, v2
	v_mul_f32_e32 v2, v178, v238
	v_fmac_f32_e32 v185, v182, v240
	v_fma_f32 v2, v177, v237, -v2
	v_add_f32_e32 v28, v28, v185
	ds_read2_b64 v[185:188], v112 offset0:105 offset1:106
	v_add_f32_e32 v1, v1, v2
	v_mul_f32_e32 v2, v180, v239
	v_fma_f32 v2, v179, v242, -v2
	v_add_f32_e32 v1, v1, v2
	v_mul_f32_e32 v2, v182, v241
	s_waitcnt vmcnt(12)
	v_mul_f32_e32 v189, v183, v244
	v_fma_f32 v2, v181, v240, -v2
	v_fmac_f32_e32 v189, v184, v243
	v_add_f32_e32 v1, v1, v2
	v_mul_f32_e32 v2, v184, v244
	v_add_f32_e32 v28, v28, v189
	ds_read2_b64 v[189:192], v112 offset0:107 offset1:108
	s_waitcnt vmcnt(10) lgkmcnt(1)
	v_mul_f32_e32 v193, v185, v246
	v_fma_f32 v2, v183, v243, -v2
	v_fmac_f32_e32 v193, v186, v245
	v_add_f32_e32 v1, v1, v2
	v_mul_f32_e32 v2, v186, v246
	v_add_f32_e32 v28, v28, v193
	s_waitcnt vmcnt(9)
	v_mul_f32_e32 v193, v187, v247
	v_fma_f32 v2, v185, v245, -v2
	s_waitcnt vmcnt(6)
	v_fmac_f32_e32 v193, v188, v250
	v_add_f32_e32 v1, v1, v2
	v_mul_f32_e32 v2, v188, v247
	v_add_f32_e32 v28, v28, v193
	ds_read2_b64 v[193:196], v112 offset0:109 offset1:110
	v_fma_f32 v2, v187, v250, -v2
	v_add_f32_e32 v1, v1, v2
	s_waitcnt lgkmcnt(1)
	v_mul_f32_e32 v2, v190, v249
	v_mul_f32_e32 v29, v189, v249
	v_fma_f32 v2, v189, v248, -v2
	v_fmac_f32_e32 v29, v190, v248
	v_add_f32_e32 v1, v1, v2
	s_waitcnt vmcnt(4)
	v_mul_f32_e32 v2, v192, v252
	v_add_f32_e32 v28, v28, v29
	v_mul_f32_e32 v29, v191, v252
	v_fma_f32 v2, v191, v251, -v2
	v_fmac_f32_e32 v29, v192, v251
	v_add_f32_e32 v1, v1, v2
	s_waitcnt vmcnt(3) lgkmcnt(0)
	v_mul_f32_e32 v2, v194, v253
	v_add_f32_e32 v28, v28, v29
	v_mul_f32_e32 v29, v193, v253
	s_waitcnt vmcnt(0)
	v_fma_f32 v2, v193, v27, -v2
	v_fmac_f32_e32 v29, v194, v27
	v_add_f32_e32 v1, v1, v2
	v_mul_f32_e32 v2, v196, v255
	v_add_f32_e32 v28, v28, v29
	v_mul_f32_e32 v29, v195, v255
	v_fma_f32 v2, v195, v254, -v2
	v_fmac_f32_e32 v29, v196, v254
	v_add_f32_e32 v1, v1, v2
	v_add_f32_e32 v28, v28, v29
	v_sub_f32_e32 v1, v201, v1
	v_sub_f32_e32 v2, v202, v28
	buffer_store_dword v1, off, s[0:3], 0 offset:96
	buffer_store_dword v2, off, s[0:3], 0 offset:100
	s_and_saveexec_b64 s[4:5], vcc
	s_cbranch_execz .LBB54_321
; %bb.320:
	buffer_load_dword v112, off, s[0:3], 0 offset:88
	buffer_load_dword v113, off, s[0:3], 0 offset:92
	v_mov_b32_e32 v1, 0
	buffer_store_dword v1, off, s[0:3], 0 offset:88
	buffer_store_dword v1, off, s[0:3], 0 offset:92
	s_waitcnt vmcnt(2)
	ds_write_b64 v111, v[112:113]
.LBB54_321:
	s_or_b64 exec, exec, s[4:5]
	s_waitcnt lgkmcnt(0)
	; wave barrier
	buffer_load_dword v121, off, s[0:3], 0 offset:100
	buffer_load_dword v120, off, s[0:3], 0 offset:108
	;; [unrolled: 1-line block ×48, first 2 shown]
	v_mov_b32_e32 v112, 0
	ds_read_b128 v[127:130], v112 offset:544
	ds_read_b128 v[131:134], v112 offset:560
	;; [unrolled: 1-line block ×6, first 2 shown]
	buffer_load_dword v217, off, s[0:3], 0 offset:280
	buffer_load_dword v218, off, s[0:3], 0 offset:284
	v_cmp_lt_u32_e32 vcc, 10, v0
	s_waitcnt vmcnt(49) lgkmcnt(5)
	v_mul_f32_e32 v151, v127, v121
	s_waitcnt vmcnt(48)
	v_mul_f32_e32 v152, v129, v120
	s_waitcnt vmcnt(47) lgkmcnt(4)
	v_mul_f32_e32 v153, v131, v119
	s_waitcnt vmcnt(46)
	v_mul_f32_e32 v154, v133, v118
	;; [unrolled: 4-line block ×6, first 2 shown]
	s_waitcnt vmcnt(37)
	v_fmac_f32_e32 v153, v132, v1
	s_waitcnt vmcnt(36)
	v_fmac_f32_e32 v152, v130, v2
	;; [unrolled: 2-line block ×3, first 2 shown]
	v_add_f32_e32 v151, 0, v151
	v_add_f32_e32 v151, v151, v152
	;; [unrolled: 1-line block ×3, first 2 shown]
	s_waitcnt vmcnt(31)
	v_fmac_f32_e32 v154, v134, v7
	v_fmac_f32_e32 v155, v136, v6
	v_add_f32_e32 v151, v151, v154
	v_fmac_f32_e32 v156, v138, v5
	v_add_f32_e32 v151, v151, v155
	;; [unrolled: 2-line block ×3, first 2 shown]
	s_waitcnt vmcnt(27)
	v_fmac_f32_e32 v158, v142, v11
	v_add_f32_e32 v151, v151, v157
	v_fmac_f32_e32 v159, v144, v10
	v_add_f32_e32 v151, v151, v158
	;; [unrolled: 2-line block ×4, first 2 shown]
	v_add_f32_e32 v155, v151, v161
	ds_read_b128 v[151:154], v112 offset:640
	buffer_load_dword v219, off, s[0:3], 0 offset:288
	buffer_load_dword v220, off, s[0:3], 0 offset:292
	;; [unrolled: 1-line block ×6, first 2 shown]
	s_waitcnt vmcnt(28)
	v_fmac_f32_e32 v162, v150, v16
	v_add_f32_e32 v159, v155, v162
	ds_read_b128 v[155:158], v112 offset:656
	buffer_load_dword v225, off, s[0:3], 0 offset:312
	buffer_load_dword v226, off, s[0:3], 0 offset:316
	buffer_load_dword v227, off, s[0:3], 0 offset:320
	buffer_load_dword v228, off, s[0:3], 0 offset:324
	buffer_load_dword v229, off, s[0:3], 0 offset:332
	buffer_load_dword v230, off, s[0:3], 0 offset:336
	buffer_load_dword v231, off, s[0:3], 0 offset:340
	buffer_load_dword v232, off, s[0:3], 0 offset:328
	s_waitcnt vmcnt(35) lgkmcnt(1)
	v_mul_f32_e32 v160, v151, v17
	buffer_load_dword v233, off, s[0:3], 0 offset:344
	buffer_load_dword v234, off, s[0:3], 0 offset:348
	v_fmac_f32_e32 v160, v152, v15
	v_add_f32_e32 v159, v159, v160
	s_waitcnt vmcnt(36)
	v_mul_f32_e32 v160, v153, v18
	v_fmac_f32_e32 v160, v154, v14
	v_add_f32_e32 v159, v159, v160
	s_waitcnt lgkmcnt(0)
	v_mul_f32_e32 v160, v155, v13
	v_fmac_f32_e32 v160, v156, v12
	v_add_f32_e32 v163, v159, v160
	ds_read_b128 v[159:162], v112 offset:672
	buffer_load_dword v235, off, s[0:3], 0 offset:352
	buffer_load_dword v236, off, s[0:3], 0 offset:356
	;; [unrolled: 1-line block ×6, first 2 shown]
	s_waitcnt vmcnt(38)
	v_mul_f32_e32 v164, v157, v20
	v_fmac_f32_e32 v164, v158, v19
	v_add_f32_e32 v167, v163, v164
	ds_read_b128 v[163:166], v112 offset:688
	buffer_load_dword v241, off, s[0:3], 0 offset:376
	buffer_load_dword v242, off, s[0:3], 0 offset:380
	buffer_load_dword v243, off, s[0:3], 0 offset:384
	buffer_load_dword v244, off, s[0:3], 0 offset:388
	buffer_load_dword v245, off, s[0:3], 0 offset:396
	buffer_load_dword v246, off, s[0:3], 0 offset:400
	buffer_load_dword v247, off, s[0:3], 0 offset:404
	buffer_load_dword v248, off, s[0:3], 0 offset:392
	buffer_load_dword v249, off, s[0:3], 0 offset:408
	buffer_load_dword v250, off, s[0:3], 0 offset:412
	buffer_load_dword v251, off, s[0:3], 0 offset:416
	buffer_load_dword v252, off, s[0:3], 0 offset:420
	buffer_load_dword v253, off, s[0:3], 0 offset:428
	buffer_load_dword v254, off, s[0:3], 0 offset:432
	buffer_load_dword v255, off, s[0:3], 0 offset:436
	buffer_load_dword v31, off, s[0:3], 0 offset:424
	s_waitcnt vmcnt(52) lgkmcnt(1)
	v_mul_f32_e32 v168, v159, v22
	v_fmac_f32_e32 v168, v160, v21
	v_add_f32_e32 v167, v167, v168
	s_waitcnt vmcnt(50)
	v_mul_f32_e32 v168, v161, v24
	v_fmac_f32_e32 v168, v162, v23
	v_add_f32_e32 v167, v167, v168
	s_waitcnt vmcnt(48) lgkmcnt(0)
	v_mul_f32_e32 v168, v163, v26
	v_fmac_f32_e32 v168, v164, v25
	v_add_f32_e32 v171, v167, v168
	ds_read_b128 v[167:170], v112 offset:704
	s_waitcnt vmcnt(46)
	v_mul_f32_e32 v32, v165, v28
	v_fmac_f32_e32 v32, v166, v27
	v_add_f32_e32 v32, v171, v32
	ds_read_b128 v[171:174], v112 offset:720
	s_waitcnt vmcnt(44) lgkmcnt(1)
	v_mul_f32_e32 v175, v167, v30
	v_fmac_f32_e32 v175, v168, v29
	v_add_f32_e32 v32, v32, v175
	s_waitcnt vmcnt(42)
	v_mul_f32_e32 v175, v169, v214
	v_fmac_f32_e32 v175, v170, v213
	v_add_f32_e32 v32, v32, v175
	s_waitcnt vmcnt(40) lgkmcnt(0)
	v_mul_f32_e32 v175, v171, v216
	v_fmac_f32_e32 v175, v172, v215
	v_add_f32_e32 v32, v32, v175
	ds_read_b128 v[175:178], v112 offset:736
	s_waitcnt vmcnt(38)
	v_mul_f32_e32 v179, v173, v218
	v_fmac_f32_e32 v179, v174, v217
	v_add_f32_e32 v32, v32, v179
	ds_read_b128 v[179:182], v112 offset:752
	s_waitcnt vmcnt(36) lgkmcnt(1)
	v_mul_f32_e32 v183, v175, v220
	v_fmac_f32_e32 v183, v176, v219
	v_add_f32_e32 v32, v32, v183
	s_waitcnt vmcnt(35)
	v_mul_f32_e32 v183, v177, v221
	s_waitcnt vmcnt(32)
	v_fmac_f32_e32 v183, v178, v224
	v_add_f32_e32 v32, v32, v183
	s_waitcnt lgkmcnt(0)
	v_mul_f32_e32 v183, v179, v223
	v_fmac_f32_e32 v183, v180, v222
	v_add_f32_e32 v32, v32, v183
	ds_read_b128 v[183:186], v112 offset:768
	s_waitcnt vmcnt(30)
	v_mul_f32_e32 v187, v181, v226
	v_fmac_f32_e32 v187, v182, v225
	v_add_f32_e32 v32, v32, v187
	ds_read_b128 v[187:190], v112 offset:784
	s_waitcnt vmcnt(28) lgkmcnt(1)
	v_mul_f32_e32 v191, v183, v228
	v_fmac_f32_e32 v191, v184, v227
	v_add_f32_e32 v32, v32, v191
	s_waitcnt vmcnt(27)
	v_mul_f32_e32 v191, v185, v229
	s_waitcnt vmcnt(24)
	v_fmac_f32_e32 v191, v186, v232
	v_add_f32_e32 v32, v32, v191
	s_waitcnt lgkmcnt(0)
	;; [unrolled: 19-line block ×4, first 2 shown]
	v_mul_f32_e32 v207, v203, v247
	v_fmac_f32_e32 v207, v204, v246
	v_add_f32_e32 v32, v32, v207
	ds_read_b128 v[207:210], v112 offset:864
	s_waitcnt vmcnt(6)
	v_mul_f32_e32 v211, v205, v250
	v_fmac_f32_e32 v211, v206, v249
	v_add_f32_e32 v32, v32, v211
	ds_read_b64 v[211:212], v112 offset:880
	s_waitcnt vmcnt(4) lgkmcnt(1)
	v_mul_f32_e32 v33, v207, v252
	v_fmac_f32_e32 v33, v208, v251
	v_add_f32_e32 v32, v32, v33
	s_waitcnt vmcnt(3)
	v_mul_f32_e32 v33, v209, v253
	s_waitcnt vmcnt(0)
	v_fmac_f32_e32 v33, v210, v31
	v_add_f32_e32 v32, v32, v33
	s_waitcnt lgkmcnt(0)
	v_mul_f32_e32 v33, v211, v255
	v_fmac_f32_e32 v33, v212, v254
	v_add_f32_e32 v32, v32, v33
	v_mul_f32_e32 v33, v128, v121
	v_fma_f32 v3, v127, v3, -v33
	v_mul_f32_e32 v33, v130, v120
	v_add_f32_e32 v3, 0, v3
	v_fma_f32 v2, v129, v2, -v33
	v_add_f32_e32 v2, v3, v2
	v_mul_f32_e32 v3, v132, v119
	v_fma_f32 v1, v131, v1, -v3
	v_add_f32_e32 v1, v2, v1
	v_mul_f32_e32 v2, v134, v118
	;; [unrolled: 3-line block ×41, first 2 shown]
	v_fma_f32 v2, v211, v254, -v2
	v_add_f32_e32 v1, v1, v2
	v_sub_f32_e32 v1, v113, v1
	v_sub_f32_e32 v2, v114, v32
	buffer_store_dword v1, off, s[0:3], 0 offset:88
	buffer_store_dword v2, off, s[0:3], 0 offset:92
	s_and_saveexec_b64 s[4:5], vcc
	s_cbranch_execz .LBB54_323
; %bb.322:
	buffer_load_dword v113, off, s[0:3], 0 offset:80
	buffer_load_dword v114, off, s[0:3], 0 offset:84
	s_waitcnt vmcnt(0)
	ds_write_b64 v111, v[113:114]
	buffer_store_dword v112, off, s[0:3], 0 offset:80
	buffer_store_dword v112, off, s[0:3], 0 offset:84
.LBB54_323:
	s_or_b64 exec, exec, s[4:5]
	s_waitcnt lgkmcnt(0)
	; wave barrier
	buffer_load_dword v121, off, s[0:3], 0 offset:92
	buffer_load_dword v120, off, s[0:3], 0 offset:100
	;; [unrolled: 1-line block ×32, first 2 shown]
	ds_read2_b64 v[127:130], v112 offset0:67 offset1:68
	ds_read2_b64 v[131:134], v112 offset0:69 offset1:70
	;; [unrolled: 1-line block ×4, first 2 shown]
	buffer_load_dword v19, off, s[0:3], 0 offset:208
	buffer_load_dword v20, off, s[0:3], 0 offset:212
	ds_read2_b64 v[143:146], v112 offset0:75 offset1:76
	ds_read2_b64 v[147:150], v112 offset0:77 offset1:78
	ds_read2_b64 v[151:154], v112 offset0:79 offset1:80
	buffer_load_dword v21, off, s[0:3], 0 offset:216
	buffer_load_dword v22, off, s[0:3], 0 offset:220
	;; [unrolled: 1-line block ×16, first 2 shown]
	v_cmp_lt_u32_e32 vcc, 9, v0
	s_waitcnt vmcnt(49) lgkmcnt(6)
	v_mul_f32_e32 v155, v127, v121
	s_waitcnt vmcnt(48)
	v_mul_f32_e32 v156, v129, v120
	s_waitcnt vmcnt(47) lgkmcnt(5)
	v_mul_f32_e32 v157, v131, v119
	s_waitcnt vmcnt(46)
	v_mul_f32_e32 v158, v133, v118
	;; [unrolled: 4-line block ×6, first 2 shown]
	s_waitcnt vmcnt(37)
	v_fmac_f32_e32 v157, v132, v1
	s_waitcnt vmcnt(36)
	v_fmac_f32_e32 v156, v130, v2
	;; [unrolled: 2-line block ×3, first 2 shown]
	v_add_f32_e32 v155, 0, v155
	v_add_f32_e32 v155, v155, v156
	;; [unrolled: 1-line block ×3, first 2 shown]
	s_waitcnt vmcnt(31)
	v_fmac_f32_e32 v158, v134, v7
	v_fmac_f32_e32 v159, v136, v6
	v_add_f32_e32 v155, v155, v158
	v_fmac_f32_e32 v160, v138, v5
	v_add_f32_e32 v155, v155, v159
	;; [unrolled: 2-line block ×3, first 2 shown]
	s_waitcnt vmcnt(27)
	v_fmac_f32_e32 v162, v142, v11
	v_add_f32_e32 v155, v155, v161
	v_fmac_f32_e32 v163, v144, v10
	v_add_f32_e32 v155, v155, v162
	;; [unrolled: 2-line block ×4, first 2 shown]
	s_waitcnt vmcnt(23)
	v_fmac_f32_e32 v166, v150, v15
	v_add_f32_e32 v155, v155, v165
	v_add_f32_e32 v159, v155, v166
	ds_read2_b64 v[155:158], v112 offset0:81 offset1:82
	buffer_load_dword v217, off, s[0:3], 0 offset:280
	buffer_load_dword v218, off, s[0:3], 0 offset:284
	;; [unrolled: 1-line block ×14, first 2 shown]
	s_waitcnt vmcnt(36) lgkmcnt(1)
	v_mul_f32_e32 v160, v151, v16
	buffer_load_dword v231, off, s[0:3], 0 offset:336
	buffer_load_dword v232, off, s[0:3], 0 offset:340
	v_fmac_f32_e32 v160, v152, v14
	v_add_f32_e32 v159, v159, v160
	s_waitcnt vmcnt(37)
	v_mul_f32_e32 v160, v153, v17
	v_fmac_f32_e32 v160, v154, v13
	v_add_f32_e32 v159, v159, v160
	s_waitcnt vmcnt(36) lgkmcnt(0)
	v_mul_f32_e32 v160, v155, v18
	v_fmac_f32_e32 v160, v156, v12
	v_add_f32_e32 v163, v159, v160
	ds_read2_b64 v[159:162], v112 offset0:83 offset1:84
	buffer_load_dword v233, off, s[0:3], 0 offset:344
	buffer_load_dword v234, off, s[0:3], 0 offset:348
	;; [unrolled: 1-line block ×6, first 2 shown]
	s_waitcnt vmcnt(38)
	v_mul_f32_e32 v164, v157, v20
	v_fmac_f32_e32 v164, v158, v19
	v_add_f32_e32 v167, v163, v164
	ds_read2_b64 v[163:166], v112 offset0:85 offset1:86
	buffer_load_dword v239, off, s[0:3], 0 offset:368
	buffer_load_dword v240, off, s[0:3], 0 offset:372
	;; [unrolled: 1-line block ×10, first 2 shown]
	s_waitcnt vmcnt(46) lgkmcnt(1)
	v_mul_f32_e32 v168, v159, v22
	v_fmac_f32_e32 v168, v160, v21
	v_add_f32_e32 v167, v167, v168
	s_waitcnt vmcnt(44)
	v_mul_f32_e32 v168, v161, v24
	v_fmac_f32_e32 v168, v162, v23
	v_add_f32_e32 v167, v167, v168
	s_waitcnt vmcnt(42) lgkmcnt(0)
	v_mul_f32_e32 v168, v163, v26
	buffer_load_dword v249, off, s[0:3], 0 offset:408
	buffer_load_dword v250, off, s[0:3], 0 offset:412
	;; [unrolled: 1-line block ×6, first 2 shown]
	v_fmac_f32_e32 v168, v164, v25
	s_waitcnt vmcnt(46)
	v_mul_f32_e32 v172, v165, v28
	v_add_f32_e32 v171, v167, v168
	v_fmac_f32_e32 v172, v166, v27
	ds_read2_b64 v[167:170], v112 offset0:87 offset1:88
	v_add_f32_e32 v175, v171, v172
	ds_read2_b64 v[171:174], v112 offset0:89 offset1:90
	buffer_load_dword v255, off, s[0:3], 0 offset:432
	buffer_load_dword v35, off, s[0:3], 0 offset:436
	s_waitcnt vmcnt(46) lgkmcnt(1)
	v_mul_f32_e32 v36, v167, v30
	v_fmac_f32_e32 v36, v168, v29
	v_add_f32_e32 v36, v175, v36
	s_waitcnt vmcnt(44)
	v_mul_f32_e32 v175, v169, v32
	v_fmac_f32_e32 v175, v170, v31
	v_add_f32_e32 v36, v36, v175
	s_waitcnt vmcnt(42) lgkmcnt(0)
	v_mul_f32_e32 v175, v171, v34
	v_fmac_f32_e32 v175, v172, v33
	v_add_f32_e32 v36, v36, v175
	ds_read2_b64 v[175:178], v112 offset0:91 offset1:92
	s_waitcnt vmcnt(40)
	v_mul_f32_e32 v179, v173, v216
	v_fmac_f32_e32 v179, v174, v215
	v_add_f32_e32 v36, v36, v179
	ds_read2_b64 v[179:182], v112 offset0:93 offset1:94
	s_waitcnt vmcnt(38) lgkmcnt(1)
	v_mul_f32_e32 v183, v175, v218
	v_fmac_f32_e32 v183, v176, v217
	v_add_f32_e32 v36, v36, v183
	s_waitcnt vmcnt(37)
	v_mul_f32_e32 v183, v177, v219
	s_waitcnt vmcnt(34)
	v_fmac_f32_e32 v183, v178, v222
	v_add_f32_e32 v36, v36, v183
	s_waitcnt lgkmcnt(0)
	v_mul_f32_e32 v183, v179, v221
	v_fmac_f32_e32 v183, v180, v220
	v_add_f32_e32 v36, v36, v183
	ds_read2_b64 v[183:186], v112 offset0:95 offset1:96
	s_waitcnt vmcnt(32)
	v_mul_f32_e32 v187, v181, v224
	v_fmac_f32_e32 v187, v182, v223
	v_add_f32_e32 v36, v36, v187
	ds_read2_b64 v[187:190], v112 offset0:97 offset1:98
	s_waitcnt vmcnt(30) lgkmcnt(1)
	v_mul_f32_e32 v191, v183, v226
	v_fmac_f32_e32 v191, v184, v225
	v_add_f32_e32 v36, v36, v191
	s_waitcnt vmcnt(29)
	v_mul_f32_e32 v191, v185, v227
	s_waitcnt vmcnt(26)
	v_fmac_f32_e32 v191, v186, v230
	v_add_f32_e32 v36, v36, v191
	s_waitcnt lgkmcnt(0)
	;; [unrolled: 19-line block ×5, first 2 shown]
	v_mul_f32_e32 v112, v211, v253
	v_fmac_f32_e32 v112, v212, v252
	v_add_f32_e32 v36, v36, v112
	s_waitcnt vmcnt(0)
	v_mul_f32_e32 v112, v213, v35
	v_fmac_f32_e32 v112, v214, v255
	v_add_f32_e32 v36, v36, v112
	v_mul_f32_e32 v112, v128, v121
	v_fma_f32 v3, v127, v3, -v112
	v_mul_f32_e32 v112, v130, v120
	v_add_f32_e32 v3, 0, v3
	v_fma_f32 v2, v129, v2, -v112
	v_add_f32_e32 v2, v3, v2
	v_mul_f32_e32 v3, v132, v119
	v_fma_f32 v1, v131, v1, -v3
	v_add_f32_e32 v1, v2, v1
	v_mul_f32_e32 v2, v134, v118
	;; [unrolled: 3-line block ×42, first 2 shown]
	v_fma_f32 v2, v213, v255, -v2
	v_add_f32_e32 v1, v1, v2
	v_sub_f32_e32 v1, v113, v1
	v_sub_f32_e32 v2, v114, v36
	buffer_store_dword v1, off, s[0:3], 0 offset:80
	buffer_store_dword v2, off, s[0:3], 0 offset:84
	s_and_saveexec_b64 s[4:5], vcc
	s_cbranch_execz .LBB54_325
; %bb.324:
	buffer_load_dword v112, off, s[0:3], 0 offset:72
	buffer_load_dword v113, off, s[0:3], 0 offset:76
	v_mov_b32_e32 v1, 0
	buffer_store_dword v1, off, s[0:3], 0 offset:72
	buffer_store_dword v1, off, s[0:3], 0 offset:76
	s_waitcnt vmcnt(2)
	ds_write_b64 v111, v[112:113]
.LBB54_325:
	s_or_b64 exec, exec, s[4:5]
	s_waitcnt lgkmcnt(0)
	; wave barrier
	buffer_load_dword v1, off, s[0:3], 0 offset:84
	buffer_load_dword v2, off, s[0:3], 0 offset:92
	;; [unrolled: 1-line block ×48, first 2 shown]
	v_mov_b32_e32 v112, 0
	ds_read_b128 v[115:118], v112 offset:528
	ds_read_b128 v[119:122], v112 offset:544
	;; [unrolled: 1-line block ×7, first 2 shown]
	v_cmp_lt_u32_e32 vcc, 8, v0
	s_waitcnt vmcnt(47) lgkmcnt(6)
	v_mul_f32_e32 v143, v115, v1
	s_waitcnt vmcnt(46)
	v_mul_f32_e32 v144, v117, v2
	s_waitcnt vmcnt(45) lgkmcnt(5)
	v_mul_f32_e32 v145, v119, v3
	s_waitcnt vmcnt(44)
	v_mul_f32_e32 v146, v121, v4
	;; [unrolled: 4-line block ×6, first 2 shown]
	s_waitcnt vmcnt(35)
	v_fmac_f32_e32 v145, v120, v13
	s_waitcnt vmcnt(34)
	v_fmac_f32_e32 v144, v118, v14
	;; [unrolled: 2-line block ×3, first 2 shown]
	v_add_f32_e32 v143, 0, v143
	v_add_f32_e32 v143, v143, v144
	;; [unrolled: 1-line block ×3, first 2 shown]
	s_waitcnt vmcnt(29)
	v_fmac_f32_e32 v146, v122, v19
	v_fmac_f32_e32 v147, v124, v18
	v_add_f32_e32 v143, v143, v146
	v_fmac_f32_e32 v148, v126, v17
	v_add_f32_e32 v143, v143, v147
	;; [unrolled: 2-line block ×3, first 2 shown]
	s_waitcnt vmcnt(25)
	v_fmac_f32_e32 v150, v130, v23
	v_add_f32_e32 v143, v143, v149
	v_fmac_f32_e32 v151, v132, v22
	v_add_f32_e32 v143, v143, v150
	;; [unrolled: 2-line block ×4, first 2 shown]
	s_waitcnt vmcnt(21)
	v_fmac_f32_e32 v154, v138, v27
	v_add_f32_e32 v143, v143, v153
	v_add_f32_e32 v147, v143, v154
	ds_read_b128 v[143:146], v112 offset:640
	buffer_load_dword v215, off, s[0:3], 0 offset:264
	buffer_load_dword v216, off, s[0:3], 0 offset:268
	;; [unrolled: 1-line block ×10, first 2 shown]
	s_waitcnt vmcnt(30) lgkmcnt(1)
	v_mul_f32_e32 v148, v139, v28
	v_fmac_f32_e32 v148, v140, v26
	buffer_load_dword v225, off, s[0:3], 0 offset:304
	buffer_load_dword v226, off, s[0:3], 0 offset:308
	;; [unrolled: 1-line block ×6, first 2 shown]
	v_add_f32_e32 v147, v147, v148
	s_waitcnt vmcnt(35)
	v_mul_f32_e32 v148, v141, v29
	v_fmac_f32_e32 v148, v142, v25
	v_add_f32_e32 v147, v147, v148
	s_waitcnt vmcnt(34) lgkmcnt(0)
	v_mul_f32_e32 v148, v143, v30
	v_fmac_f32_e32 v148, v144, v24
	v_add_f32_e32 v151, v147, v148
	ds_read_b128 v[147:150], v112 offset:656
	buffer_load_dword v231, off, s[0:3], 0 offset:328
	buffer_load_dword v232, off, s[0:3], 0 offset:332
	s_waitcnt vmcnt(32)
	v_mul_f32_e32 v152, v145, v32
	v_fmac_f32_e32 v152, v146, v31
	v_add_f32_e32 v155, v151, v152
	ds_read_b128 v[151:154], v112 offset:672
	buffer_load_dword v233, off, s[0:3], 0 offset:336
	buffer_load_dword v234, off, s[0:3], 0 offset:340
	;; [unrolled: 1-line block ×14, first 2 shown]
	s_waitcnt vmcnt(44) lgkmcnt(1)
	v_mul_f32_e32 v156, v147, v34
	v_fmac_f32_e32 v156, v148, v33
	buffer_load_dword v247, off, s[0:3], 0 offset:392
	buffer_load_dword v248, off, s[0:3], 0 offset:396
	v_add_f32_e32 v155, v155, v156
	s_waitcnt vmcnt(44)
	v_mul_f32_e32 v156, v149, v36
	v_fmac_f32_e32 v156, v150, v35
	v_add_f32_e32 v155, v155, v156
	s_waitcnt vmcnt(42) lgkmcnt(0)
	v_mul_f32_e32 v156, v151, v206
	v_fmac_f32_e32 v156, v152, v205
	v_mul_f32_e32 v1, v116, v1
	v_add_f32_e32 v159, v155, v156
	ds_read_b128 v[155:158], v112 offset:688
	buffer_load_dword v249, off, s[0:3], 0 offset:400
	buffer_load_dword v250, off, s[0:3], 0 offset:404
	;; [unrolled: 1-line block ×6, first 2 shown]
	v_fma_f32 v1, v115, v15, -v1
	v_mul_f32_e32 v2, v118, v2
	v_add_f32_e32 v1, 0, v1
	v_fma_f32 v2, v117, v14, -v2
	v_add_f32_e32 v1, v1, v2
	v_mul_f32_e32 v2, v120, v3
	s_waitcnt vmcnt(46)
	v_mul_f32_e32 v160, v153, v208
	v_fma_f32 v2, v119, v13, -v2
	v_fmac_f32_e32 v160, v154, v207
	v_add_f32_e32 v1, v1, v2
	v_mul_f32_e32 v2, v122, v4
	v_add_f32_e32 v163, v159, v160
	ds_read_b128 v[159:162], v112 offset:704
	buffer_load_dword v255, off, s[0:3], 0 offset:428
	buffer_load_dword v37, off, s[0:3], 0 offset:432
	;; [unrolled: 1-line block ×4, first 2 shown]
	v_fma_f32 v2, v121, v19, -v2
	v_add_f32_e32 v1, v1, v2
	v_mul_f32_e32 v2, v124, v5
	v_fma_f32 v2, v123, v18, -v2
	v_add_f32_e32 v1, v1, v2
	v_mul_f32_e32 v2, v126, v6
	;; [unrolled: 3-line block ×8, first 2 shown]
	v_fma_f32 v2, v137, v27, -v2
	s_waitcnt vmcnt(48) lgkmcnt(1)
	v_mul_f32_e32 v164, v155, v210
	v_add_f32_e32 v1, v1, v2
	v_mul_f32_e32 v2, v140, v28
	v_fmac_f32_e32 v164, v156, v209
	v_fma_f32 v2, v139, v26, -v2
	v_add_f32_e32 v40, v163, v164
	s_waitcnt vmcnt(46)
	v_mul_f32_e32 v163, v157, v212
	v_add_f32_e32 v1, v1, v2
	v_mul_f32_e32 v2, v142, v29
	v_fmac_f32_e32 v163, v158, v211
	v_fma_f32 v2, v141, v25, -v2
	v_add_f32_e32 v40, v40, v163
	s_waitcnt vmcnt(44) lgkmcnt(0)
	v_mul_f32_e32 v163, v159, v214
	v_add_f32_e32 v1, v1, v2
	v_mul_f32_e32 v2, v144, v30
	v_fmac_f32_e32 v163, v160, v213
	v_fma_f32 v2, v143, v24, -v2
	v_add_f32_e32 v40, v40, v163
	ds_read_b128 v[163:166], v112 offset:720
	v_add_f32_e32 v1, v1, v2
	v_mul_f32_e32 v2, v146, v32
	v_fma_f32 v2, v145, v31, -v2
	s_waitcnt vmcnt(42)
	v_mul_f32_e32 v167, v161, v216
	v_add_f32_e32 v1, v1, v2
	v_mul_f32_e32 v2, v148, v34
	v_fmac_f32_e32 v167, v162, v215
	v_fma_f32 v2, v147, v33, -v2
	v_add_f32_e32 v40, v40, v167
	ds_read_b128 v[167:170], v112 offset:736
	v_add_f32_e32 v1, v1, v2
	v_mul_f32_e32 v2, v150, v36
	s_waitcnt vmcnt(40) lgkmcnt(1)
	v_mul_f32_e32 v171, v163, v218
	v_fma_f32 v2, v149, v35, -v2
	v_fmac_f32_e32 v171, v164, v217
	v_add_f32_e32 v1, v1, v2
	v_mul_f32_e32 v2, v152, v206
	v_add_f32_e32 v40, v40, v171
	s_waitcnt vmcnt(39)
	v_mul_f32_e32 v171, v165, v219
	v_fma_f32 v2, v151, v205, -v2
	s_waitcnt vmcnt(36)
	v_fmac_f32_e32 v171, v166, v222
	v_add_f32_e32 v1, v1, v2
	v_mul_f32_e32 v2, v154, v208
	v_add_f32_e32 v40, v40, v171
	s_waitcnt lgkmcnt(0)
	v_mul_f32_e32 v171, v167, v221
	v_fma_f32 v2, v153, v207, -v2
	v_fmac_f32_e32 v171, v168, v220
	v_add_f32_e32 v1, v1, v2
	v_mul_f32_e32 v2, v156, v210
	v_add_f32_e32 v40, v40, v171
	ds_read_b128 v[171:174], v112 offset:752
	v_fma_f32 v2, v155, v209, -v2
	v_add_f32_e32 v1, v1, v2
	v_mul_f32_e32 v2, v158, v212
	s_waitcnt vmcnt(34)
	v_mul_f32_e32 v175, v169, v224
	v_fma_f32 v2, v157, v211, -v2
	v_fmac_f32_e32 v175, v170, v223
	v_add_f32_e32 v1, v1, v2
	v_mul_f32_e32 v2, v160, v214
	v_add_f32_e32 v40, v40, v175
	ds_read_b128 v[175:178], v112 offset:768
	v_fma_f32 v2, v159, v213, -v2
	s_waitcnt vmcnt(32) lgkmcnt(1)
	v_mul_f32_e32 v179, v171, v226
	v_add_f32_e32 v1, v1, v2
	v_mul_f32_e32 v2, v162, v216
	v_fmac_f32_e32 v179, v172, v225
	v_fma_f32 v2, v161, v215, -v2
	v_add_f32_e32 v40, v40, v179
	s_waitcnt vmcnt(31)
	v_mul_f32_e32 v179, v173, v227
	v_add_f32_e32 v1, v1, v2
	v_mul_f32_e32 v2, v164, v218
	s_waitcnt vmcnt(28)
	v_fmac_f32_e32 v179, v174, v230
	v_fma_f32 v2, v163, v217, -v2
	v_add_f32_e32 v40, v40, v179
	s_waitcnt lgkmcnt(0)
	v_mul_f32_e32 v179, v175, v229
	v_add_f32_e32 v1, v1, v2
	v_mul_f32_e32 v2, v166, v219
	v_fmac_f32_e32 v179, v176, v228
	v_fma_f32 v2, v165, v222, -v2
	v_add_f32_e32 v40, v40, v179
	ds_read_b128 v[179:182], v112 offset:784
	v_add_f32_e32 v1, v1, v2
	v_mul_f32_e32 v2, v168, v221
	v_fma_f32 v2, v167, v220, -v2
	s_waitcnt vmcnt(26)
	v_mul_f32_e32 v183, v177, v232
	v_add_f32_e32 v1, v1, v2
	v_mul_f32_e32 v2, v170, v224
	v_fmac_f32_e32 v183, v178, v231
	v_fma_f32 v2, v169, v223, -v2
	v_add_f32_e32 v40, v40, v183
	ds_read_b128 v[183:186], v112 offset:800
	v_add_f32_e32 v1, v1, v2
	v_mul_f32_e32 v2, v172, v226
	s_waitcnt vmcnt(24) lgkmcnt(1)
	v_mul_f32_e32 v187, v179, v234
	v_fma_f32 v2, v171, v225, -v2
	v_fmac_f32_e32 v187, v180, v233
	v_add_f32_e32 v1, v1, v2
	v_mul_f32_e32 v2, v174, v227
	v_add_f32_e32 v40, v40, v187
	s_waitcnt vmcnt(23)
	v_mul_f32_e32 v187, v181, v235
	v_fma_f32 v2, v173, v230, -v2
	s_waitcnt vmcnt(20)
	v_fmac_f32_e32 v187, v182, v238
	v_add_f32_e32 v1, v1, v2
	v_mul_f32_e32 v2, v176, v229
	v_add_f32_e32 v40, v40, v187
	s_waitcnt lgkmcnt(0)
	v_mul_f32_e32 v187, v183, v237
	v_fma_f32 v2, v175, v228, -v2
	v_fmac_f32_e32 v187, v184, v236
	v_add_f32_e32 v1, v1, v2
	v_mul_f32_e32 v2, v178, v232
	v_add_f32_e32 v40, v40, v187
	ds_read_b128 v[187:190], v112 offset:816
	v_fma_f32 v2, v177, v231, -v2
	v_add_f32_e32 v1, v1, v2
	v_mul_f32_e32 v2, v180, v234
	s_waitcnt vmcnt(18)
	v_mul_f32_e32 v191, v185, v240
	v_fma_f32 v2, v179, v233, -v2
	v_fmac_f32_e32 v191, v186, v239
	v_add_f32_e32 v1, v1, v2
	v_mul_f32_e32 v2, v182, v235
	v_add_f32_e32 v40, v40, v191
	ds_read_b128 v[191:194], v112 offset:832
	v_fma_f32 v2, v181, v238, -v2
	s_waitcnt vmcnt(16) lgkmcnt(1)
	v_mul_f32_e32 v195, v187, v242
	v_add_f32_e32 v1, v1, v2
	v_mul_f32_e32 v2, v184, v237
	v_fmac_f32_e32 v195, v188, v241
	v_fma_f32 v2, v183, v236, -v2
	v_add_f32_e32 v40, v40, v195
	s_waitcnt vmcnt(15)
	v_mul_f32_e32 v195, v189, v243
	v_add_f32_e32 v1, v1, v2
	v_mul_f32_e32 v2, v186, v240
	s_waitcnt vmcnt(12)
	v_fmac_f32_e32 v195, v190, v246
	v_fma_f32 v2, v185, v239, -v2
	v_add_f32_e32 v40, v40, v195
	s_waitcnt lgkmcnt(0)
	v_mul_f32_e32 v195, v191, v245
	v_add_f32_e32 v1, v1, v2
	v_mul_f32_e32 v2, v188, v242
	v_fmac_f32_e32 v195, v192, v244
	v_fma_f32 v2, v187, v241, -v2
	v_add_f32_e32 v40, v40, v195
	ds_read_b128 v[195:198], v112 offset:848
	v_add_f32_e32 v1, v1, v2
	v_mul_f32_e32 v2, v190, v243
	v_fma_f32 v2, v189, v246, -v2
	v_add_f32_e32 v1, v1, v2
	v_mul_f32_e32 v2, v192, v245
	s_waitcnt vmcnt(10)
	v_mul_f32_e32 v199, v193, v248
	v_fma_f32 v2, v191, v244, -v2
	v_fmac_f32_e32 v199, v194, v247
	v_add_f32_e32 v1, v1, v2
	v_mul_f32_e32 v2, v194, v248
	v_add_f32_e32 v40, v40, v199
	ds_read_b128 v[199:202], v112 offset:864
	s_waitcnt vmcnt(8) lgkmcnt(1)
	v_mul_f32_e32 v203, v195, v250
	v_fma_f32 v2, v193, v247, -v2
	v_fmac_f32_e32 v203, v196, v249
	v_add_f32_e32 v1, v1, v2
	v_mul_f32_e32 v2, v196, v250
	v_add_f32_e32 v40, v40, v203
	s_waitcnt vmcnt(7)
	v_mul_f32_e32 v203, v197, v251
	v_fma_f32 v2, v195, v249, -v2
	s_waitcnt vmcnt(4)
	v_fmac_f32_e32 v203, v198, v254
	v_add_f32_e32 v1, v1, v2
	v_mul_f32_e32 v2, v198, v251
	v_add_f32_e32 v40, v40, v203
	ds_read_b64 v[203:204], v112 offset:880
	v_fma_f32 v2, v197, v254, -v2
	v_add_f32_e32 v1, v1, v2
	s_waitcnt lgkmcnt(1)
	v_mul_f32_e32 v2, v200, v253
	v_mul_f32_e32 v41, v199, v253
	v_fma_f32 v2, v199, v252, -v2
	v_fmac_f32_e32 v41, v200, v252
	v_add_f32_e32 v1, v1, v2
	s_waitcnt vmcnt(3)
	v_mul_f32_e32 v2, v202, v255
	v_add_f32_e32 v40, v40, v41
	v_mul_f32_e32 v41, v201, v255
	s_waitcnt vmcnt(0)
	v_fma_f32 v2, v201, v39, -v2
	v_fmac_f32_e32 v41, v202, v39
	v_add_f32_e32 v1, v1, v2
	s_waitcnt lgkmcnt(0)
	v_mul_f32_e32 v2, v204, v38
	v_add_f32_e32 v40, v40, v41
	v_mul_f32_e32 v41, v203, v38
	v_fma_f32 v2, v203, v37, -v2
	v_fmac_f32_e32 v41, v204, v37
	v_add_f32_e32 v1, v1, v2
	v_add_f32_e32 v40, v40, v41
	v_sub_f32_e32 v1, v113, v1
	v_sub_f32_e32 v2, v114, v40
	buffer_store_dword v1, off, s[0:3], 0 offset:72
	buffer_store_dword v2, off, s[0:3], 0 offset:76
	s_and_saveexec_b64 s[4:5], vcc
	s_cbranch_execz .LBB54_327
; %bb.326:
	buffer_load_dword v113, off, s[0:3], 0 offset:64
	buffer_load_dword v114, off, s[0:3], 0 offset:68
	s_waitcnt vmcnt(0)
	ds_write_b64 v111, v[113:114]
	buffer_store_dword v112, off, s[0:3], 0 offset:64
	buffer_store_dword v112, off, s[0:3], 0 offset:68
.LBB54_327:
	s_or_b64 exec, exec, s[4:5]
	s_waitcnt lgkmcnt(0)
	; wave barrier
	buffer_load_dword v121, off, s[0:3], 0 offset:76
	buffer_load_dword v120, off, s[0:3], 0 offset:84
	;; [unrolled: 1-line block ×33, first 2 shown]
	ds_read2_b64 v[122:125], v112 offset0:65 offset1:66
	ds_read2_b64 v[126:129], v112 offset0:67 offset1:68
	;; [unrolled: 1-line block ×6, first 2 shown]
	buffer_load_dword v25, off, s[0:3], 0 offset:192
	buffer_load_dword v26, off, s[0:3], 0 offset:204
	;; [unrolled: 1-line block ×7, first 2 shown]
	ds_read2_b64 v[146:149], v112 offset0:77 offset1:78
	ds_read2_b64 v[150:153], v112 offset0:79 offset1:80
	buffer_load_dword v32, off, s[0:3], 0 offset:224
	buffer_load_dword v33, off, s[0:3], 0 offset:228
	;; [unrolled: 1-line block ×8, first 2 shown]
	v_cmp_lt_u32_e32 vcc, 7, v0
	s_waitcnt vmcnt(47) lgkmcnt(7)
	v_mul_f32_e32 v40, v122, v121
	s_waitcnt vmcnt(46)
	v_mul_f32_e32 v41, v124, v120
	s_waitcnt vmcnt(45) lgkmcnt(6)
	v_mul_f32_e32 v42, v126, v119
	s_waitcnt vmcnt(44)
	v_mul_f32_e32 v154, v128, v118
	;; [unrolled: 4-line block ×6, first 2 shown]
	s_waitcnt vmcnt(35)
	v_fmac_f32_e32 v42, v127, v6
	s_waitcnt vmcnt(34)
	v_fmac_f32_e32 v41, v125, v7
	s_waitcnt vmcnt(33)
	v_fmac_f32_e32 v40, v123, v8
	v_add_f32_e32 v40, 0, v40
	v_add_f32_e32 v40, v40, v41
	;; [unrolled: 1-line block ×3, first 2 shown]
	s_waitcnt vmcnt(29)
	v_fmac_f32_e32 v154, v129, v12
	v_fmac_f32_e32 v155, v131, v11
	v_add_f32_e32 v40, v40, v154
	v_fmac_f32_e32 v156, v133, v10
	v_add_f32_e32 v40, v40, v155
	;; [unrolled: 2-line block ×3, first 2 shown]
	s_waitcnt vmcnt(25)
	v_fmac_f32_e32 v158, v137, v16
	v_add_f32_e32 v40, v40, v157
	v_fmac_f32_e32 v159, v139, v15
	v_add_f32_e32 v40, v40, v158
	;; [unrolled: 2-line block ×4, first 2 shown]
	s_waitcnt vmcnt(21)
	v_fmac_f32_e32 v162, v145, v20
	v_add_f32_e32 v40, v40, v161
	s_waitcnt vmcnt(20) lgkmcnt(1)
	v_mul_f32_e32 v41, v146, v21
	v_add_f32_e32 v40, v40, v162
	v_fmac_f32_e32 v41, v147, v19
	v_add_f32_e32 v40, v40, v41
	buffer_load_dword v41, off, s[0:3], 0 offset:256
	buffer_load_dword v42, off, s[0:3], 0 offset:260
	;; [unrolled: 1-line block ×10, first 2 shown]
	s_waitcnt vmcnt(29)
	v_mul_f32_e32 v154, v148, v22
	v_fmac_f32_e32 v154, v149, v18
	v_add_f32_e32 v40, v40, v154
	s_waitcnt vmcnt(28) lgkmcnt(0)
	v_mul_f32_e32 v154, v150, v23
	v_fmac_f32_e32 v154, v151, v17
	v_add_f32_e32 v40, v40, v154
	ds_read2_b64 v[154:157], v112 offset0:81 offset1:82
	buffer_load_dword v222, off, s[0:3], 0 offset:296
	buffer_load_dword v223, off, s[0:3], 0 offset:300
	;; [unrolled: 1-line block ×6, first 2 shown]
	s_waitcnt vmcnt(33)
	v_mul_f32_e32 v158, v152, v24
	s_waitcnt vmcnt(30)
	v_fmac_f32_e32 v158, v153, v25
	v_add_f32_e32 v40, v40, v158
	ds_read2_b64 v[158:161], v112 offset0:83 offset1:84
	buffer_load_dword v228, off, s[0:3], 0 offset:320
	buffer_load_dword v229, off, s[0:3], 0 offset:324
	;; [unrolled: 1-line block ×10, first 2 shown]
	s_waitcnt vmcnt(39) lgkmcnt(1)
	v_mul_f32_e32 v162, v154, v26
	buffer_load_dword v238, off, s[0:3], 0 offset:360
	buffer_load_dword v239, off, s[0:3], 0 offset:364
	;; [unrolled: 1-line block ×6, first 2 shown]
	s_waitcnt vmcnt(40)
	v_fmac_f32_e32 v162, v155, v31
	v_add_f32_e32 v40, v40, v162
	v_mul_f32_e32 v162, v156, v28
	v_fmac_f32_e32 v162, v157, v27
	v_add_f32_e32 v40, v40, v162
	s_waitcnt lgkmcnt(0)
	v_mul_f32_e32 v162, v158, v30
	v_fmac_f32_e32 v162, v159, v29
	v_add_f32_e32 v40, v40, v162
	ds_read2_b64 v[162:165], v112 offset0:85 offset1:86
	buffer_load_dword v244, off, s[0:3], 0 offset:384
	buffer_load_dword v245, off, s[0:3], 0 offset:388
	s_waitcnt vmcnt(40)
	v_mul_f32_e32 v166, v160, v33
	v_fmac_f32_e32 v166, v161, v32
	v_add_f32_e32 v40, v40, v166
	ds_read2_b64 v[166:169], v112 offset0:87 offset1:88
	buffer_load_dword v246, off, s[0:3], 0 offset:392
	buffer_load_dword v247, off, s[0:3], 0 offset:396
	;; [unrolled: 1-line block ×12, first 2 shown]
	s_waitcnt vmcnt(50) lgkmcnt(1)
	v_mul_f32_e32 v170, v162, v35
	v_fmac_f32_e32 v170, v163, v34
	v_add_f32_e32 v40, v40, v170
	s_waitcnt vmcnt(48)
	v_mul_f32_e32 v170, v164, v37
	v_fmac_f32_e32 v170, v165, v36
	v_add_f32_e32 v40, v40, v170
	s_waitcnt vmcnt(46) lgkmcnt(0)
	v_mul_f32_e32 v170, v166, v39
	v_fmac_f32_e32 v170, v167, v38
	v_add_f32_e32 v40, v40, v170
	ds_read2_b64 v[170:173], v112 offset0:89 offset1:90
	v_mul_f32_e32 v1, v137, v1
	v_fma_f32 v1, v136, v16, -v1
	v_mul_f32_e32 v2, v139, v2
	v_fma_f32 v2, v138, v15, -v2
	s_waitcnt vmcnt(44)
	v_mul_f32_e32 v174, v168, v42
	v_fmac_f32_e32 v174, v169, v41
	v_add_f32_e32 v40, v40, v174
	ds_read2_b64 v[174:177], v112 offset0:91 offset1:92
	s_waitcnt vmcnt(42) lgkmcnt(1)
	v_mul_f32_e32 v178, v170, v215
	v_fmac_f32_e32 v178, v171, v214
	v_add_f32_e32 v40, v40, v178
	s_waitcnt vmcnt(41)
	v_mul_f32_e32 v178, v172, v216
	s_waitcnt vmcnt(38)
	v_fmac_f32_e32 v178, v173, v219
	v_add_f32_e32 v40, v40, v178
	s_waitcnt lgkmcnt(0)
	v_mul_f32_e32 v178, v174, v218
	v_fmac_f32_e32 v178, v175, v217
	v_add_f32_e32 v40, v40, v178
	ds_read2_b64 v[178:181], v112 offset0:93 offset1:94
	s_waitcnt vmcnt(36)
	v_mul_f32_e32 v182, v176, v221
	v_fmac_f32_e32 v182, v177, v220
	v_add_f32_e32 v40, v40, v182
	ds_read2_b64 v[182:185], v112 offset0:95 offset1:96
	s_waitcnt vmcnt(34) lgkmcnt(1)
	v_mul_f32_e32 v186, v178, v223
	v_fmac_f32_e32 v186, v179, v222
	v_add_f32_e32 v40, v40, v186
	s_waitcnt vmcnt(33)
	v_mul_f32_e32 v186, v180, v224
	s_waitcnt vmcnt(30)
	v_fmac_f32_e32 v186, v181, v227
	v_add_f32_e32 v40, v40, v186
	s_waitcnt lgkmcnt(0)
	v_mul_f32_e32 v186, v182, v226
	v_fmac_f32_e32 v186, v183, v225
	v_add_f32_e32 v40, v40, v186
	ds_read2_b64 v[186:189], v112 offset0:97 offset1:98
	;; [unrolled: 19-line block ×4, first 2 shown]
	s_waitcnt vmcnt(12)
	v_mul_f32_e32 v206, v200, v245
	v_fmac_f32_e32 v206, v201, v244
	v_add_f32_e32 v40, v40, v206
	ds_read2_b64 v[206:209], v112 offset0:107 offset1:108
	s_waitcnt vmcnt(10) lgkmcnt(1)
	v_mul_f32_e32 v210, v202, v247
	v_fmac_f32_e32 v210, v203, v246
	v_add_f32_e32 v40, v40, v210
	s_waitcnt vmcnt(9)
	v_mul_f32_e32 v210, v204, v248
	s_waitcnt vmcnt(6)
	v_fmac_f32_e32 v210, v205, v251
	v_add_f32_e32 v40, v40, v210
	ds_read2_b64 v[210:213], v112 offset0:109 offset1:110
	s_waitcnt lgkmcnt(1)
	v_mul_f32_e32 v45, v206, v250
	v_fmac_f32_e32 v45, v207, v249
	v_add_f32_e32 v40, v40, v45
	s_waitcnt vmcnt(4)
	v_mul_f32_e32 v45, v208, v253
	v_fmac_f32_e32 v45, v209, v252
	v_add_f32_e32 v40, v40, v45
	s_waitcnt vmcnt(3) lgkmcnt(0)
	v_mul_f32_e32 v45, v210, v254
	s_waitcnt vmcnt(0)
	v_fmac_f32_e32 v45, v211, v44
	v_add_f32_e32 v40, v40, v45
	v_mul_f32_e32 v45, v212, v43
	v_fmac_f32_e32 v45, v213, v255
	v_add_f32_e32 v40, v40, v45
	v_mul_f32_e32 v45, v123, v121
	v_fma_f32 v8, v122, v8, -v45
	v_mul_f32_e32 v45, v125, v120
	v_add_f32_e32 v8, 0, v8
	v_fma_f32 v7, v124, v7, -v45
	v_add_f32_e32 v7, v8, v7
	v_mul_f32_e32 v8, v127, v119
	v_fma_f32 v6, v126, v6, -v8
	v_add_f32_e32 v6, v7, v6
	v_mul_f32_e32 v7, v129, v118
	;; [unrolled: 3-line block ×5, first 2 shown]
	v_fma_f32 v7, v134, v9, -v7
	v_add_f32_e32 v6, v6, v7
	v_add_f32_e32 v1, v6, v1
	;; [unrolled: 1-line block ×3, first 2 shown]
	v_mul_f32_e32 v2, v141, v3
	v_fma_f32 v2, v140, v14, -v2
	v_add_f32_e32 v1, v1, v2
	v_mul_f32_e32 v2, v143, v4
	v_fma_f32 v2, v142, v13, -v2
	v_add_f32_e32 v1, v1, v2
	;; [unrolled: 3-line block ×37, first 2 shown]
	v_sub_f32_e32 v1, v113, v1
	v_sub_f32_e32 v2, v114, v40
	buffer_store_dword v1, off, s[0:3], 0 offset:64
	buffer_store_dword v2, off, s[0:3], 0 offset:68
	s_and_saveexec_b64 s[4:5], vcc
	s_cbranch_execz .LBB54_329
; %bb.328:
	buffer_load_dword v112, off, s[0:3], 0 offset:56
	buffer_load_dword v113, off, s[0:3], 0 offset:60
	v_mov_b32_e32 v1, 0
	buffer_store_dword v1, off, s[0:3], 0 offset:56
	buffer_store_dword v1, off, s[0:3], 0 offset:60
	s_waitcnt vmcnt(2)
	ds_write_b64 v111, v[112:113]
.LBB54_329:
	s_or_b64 exec, exec, s[4:5]
	s_waitcnt lgkmcnt(0)
	; wave barrier
	buffer_load_dword v119, off, s[0:3], 0 offset:68
	buffer_load_dword v118, off, s[0:3], 0 offset:76
	buffer_load_dword v117, off, s[0:3], 0 offset:84
	buffer_load_dword v116, off, s[0:3], 0 offset:92
	buffer_load_dword v115, off, s[0:3], 0 offset:100
	buffer_load_dword v114, off, s[0:3], 0 offset:108
	buffer_load_dword v113, off, s[0:3], 0 offset:116
	buffer_load_dword v1, off, s[0:3], 0 offset:124
	buffer_load_dword v2, off, s[0:3], 0 offset:132
	buffer_load_dword v3, off, s[0:3], 0 offset:140
	buffer_load_dword v4, off, s[0:3], 0 offset:148
	buffer_load_dword v5, off, s[0:3], 0 offset:156
	buffer_load_dword v6, off, s[0:3], 0 offset:80
	buffer_load_dword v7, off, s[0:3], 0 offset:72
	buffer_load_dword v8, off, s[0:3], 0 offset:64
	buffer_load_dword v9, off, s[0:3], 0 offset:112
	buffer_load_dword v10, off, s[0:3], 0 offset:104
	buffer_load_dword v11, off, s[0:3], 0 offset:96
	buffer_load_dword v12, off, s[0:3], 0 offset:88
	buffer_load_dword v13, off, s[0:3], 0 offset:144
	buffer_load_dword v14, off, s[0:3], 0 offset:136
	buffer_load_dword v15, off, s[0:3], 0 offset:128
	buffer_load_dword v16, off, s[0:3], 0 offset:120
	buffer_load_dword v17, off, s[0:3], 0 offset:176
	buffer_load_dword v18, off, s[0:3], 0 offset:168
	buffer_load_dword v19, off, s[0:3], 0 offset:160
	buffer_load_dword v20, off, s[0:3], 0 offset:152
	buffer_load_dword v21, off, s[0:3], 0 offset:164
	buffer_load_dword v22, off, s[0:3], 0 offset:172
	buffer_load_dword v23, off, s[0:3], 0 offset:180
	buffer_load_dword v24, off, s[0:3], 0 offset:188
	buffer_load_dword v25, off, s[0:3], 0 offset:192
	buffer_load_dword v26, off, s[0:3], 0 offset:196
	buffer_load_dword v27, off, s[0:3], 0 offset:200
	buffer_load_dword v28, off, s[0:3], 0 offset:204
	buffer_load_dword v29, off, s[0:3], 0 offset:208
	buffer_load_dword v30, off, s[0:3], 0 offset:212
	buffer_load_dword v31, off, s[0:3], 0 offset:184
	buffer_load_dword v120, off, s[0:3], 0 offset:56
	buffer_load_dword v121, off, s[0:3], 0 offset:60
	buffer_load_dword v32, off, s[0:3], 0 offset:216
	buffer_load_dword v33, off, s[0:3], 0 offset:220
	buffer_load_dword v34, off, s[0:3], 0 offset:224
	buffer_load_dword v35, off, s[0:3], 0 offset:228
	buffer_load_dword v36, off, s[0:3], 0 offset:232
	buffer_load_dword v37, off, s[0:3], 0 offset:236
	buffer_load_dword v38, off, s[0:3], 0 offset:240
	buffer_load_dword v39, off, s[0:3], 0 offset:244
	v_mov_b32_e32 v112, 0
	ds_read_b128 v[122:125], v112 offset:512
	ds_read_b128 v[126:129], v112 offset:528
	;; [unrolled: 1-line block ×7, first 2 shown]
	v_cmp_lt_u32_e32 vcc, 6, v0
	s_waitcnt vmcnt(47) lgkmcnt(6)
	v_mul_f32_e32 v40, v122, v119
	s_waitcnt vmcnt(46)
	v_mul_f32_e32 v41, v124, v118
	s_waitcnt vmcnt(45) lgkmcnt(5)
	v_mul_f32_e32 v42, v126, v117
	s_waitcnt vmcnt(44)
	v_mul_f32_e32 v43, v128, v116
	;; [unrolled: 4-line block ×6, first 2 shown]
	s_waitcnt vmcnt(35)
	v_fmac_f32_e32 v42, v127, v6
	s_waitcnt vmcnt(34)
	v_fmac_f32_e32 v41, v125, v7
	;; [unrolled: 2-line block ×3, first 2 shown]
	v_add_f32_e32 v40, 0, v40
	v_add_f32_e32 v40, v40, v41
	;; [unrolled: 1-line block ×3, first 2 shown]
	s_waitcnt vmcnt(29)
	v_fmac_f32_e32 v43, v129, v12
	v_fmac_f32_e32 v44, v131, v11
	v_add_f32_e32 v40, v40, v43
	v_fmac_f32_e32 v45, v133, v10
	v_add_f32_e32 v40, v40, v44
	;; [unrolled: 2-line block ×3, first 2 shown]
	s_waitcnt vmcnt(25)
	v_fmac_f32_e32 v150, v137, v16
	v_add_f32_e32 v40, v40, v46
	v_fmac_f32_e32 v151, v139, v15
	v_add_f32_e32 v40, v40, v150
	;; [unrolled: 2-line block ×4, first 2 shown]
	v_add_f32_e32 v40, v40, v153
	ds_read_b128 v[150:153], v112 offset:624
	buffer_load_dword v41, off, s[0:3], 0 offset:248
	buffer_load_dword v42, off, s[0:3], 0 offset:252
	;; [unrolled: 1-line block ×8, first 2 shown]
	s_waitcnt vmcnt(29)
	v_fmac_f32_e32 v154, v145, v20
	s_waitcnt vmcnt(28) lgkmcnt(1)
	v_mul_f32_e32 v43, v146, v21
	v_add_f32_e32 v40, v40, v154
	v_fmac_f32_e32 v43, v147, v19
	v_add_f32_e32 v40, v40, v43
	s_waitcnt vmcnt(27)
	v_mul_f32_e32 v43, v148, v22
	buffer_load_dword v219, off, s[0:3], 0 offset:280
	buffer_load_dword v220, off, s[0:3], 0 offset:284
	v_fmac_f32_e32 v43, v149, v18
	v_add_f32_e32 v40, v40, v43
	s_waitcnt vmcnt(28) lgkmcnt(0)
	v_mul_f32_e32 v43, v150, v23
	v_fmac_f32_e32 v43, v151, v17
	v_add_f32_e32 v40, v40, v43
	s_waitcnt vmcnt(27)
	v_mul_f32_e32 v43, v152, v24
	s_waitcnt vmcnt(20)
	v_fmac_f32_e32 v43, v153, v31
	ds_read_b128 v[154:157], v112 offset:640
	v_add_f32_e32 v40, v40, v43
	buffer_load_dword v43, off, s[0:3], 0 offset:288
	buffer_load_dword v221, off, s[0:3], 0 offset:292
	;; [unrolled: 1-line block ×6, first 2 shown]
	ds_read_b128 v[158:161], v112 offset:656
	buffer_load_dword v226, off, s[0:3], 0 offset:312
	buffer_load_dword v227, off, s[0:3], 0 offset:316
	;; [unrolled: 1-line block ×8, first 2 shown]
	s_waitcnt lgkmcnt(1)
	v_mul_f32_e32 v162, v154, v26
	buffer_load_dword v234, off, s[0:3], 0 offset:344
	buffer_load_dword v235, off, s[0:3], 0 offset:348
	v_fmac_f32_e32 v162, v155, v25
	v_add_f32_e32 v40, v40, v162
	v_mul_f32_e32 v162, v156, v28
	v_fmac_f32_e32 v162, v157, v27
	v_add_f32_e32 v40, v40, v162
	s_waitcnt lgkmcnt(0)
	v_mul_f32_e32 v162, v158, v30
	v_fmac_f32_e32 v162, v159, v29
	v_add_f32_e32 v40, v40, v162
	ds_read_b128 v[162:165], v112 offset:672
	buffer_load_dword v236, off, s[0:3], 0 offset:352
	buffer_load_dword v237, off, s[0:3], 0 offset:356
	;; [unrolled: 1-line block ×6, first 2 shown]
	s_waitcnt vmcnt(38)
	v_mul_f32_e32 v166, v160, v33
	v_fmac_f32_e32 v166, v161, v32
	v_add_f32_e32 v40, v40, v166
	ds_read_b128 v[166:169], v112 offset:688
	buffer_load_dword v242, off, s[0:3], 0 offset:376
	buffer_load_dword v243, off, s[0:3], 0 offset:380
	;; [unrolled: 1-line block ×16, first 2 shown]
	s_waitcnt vmcnt(52) lgkmcnt(1)
	v_mul_f32_e32 v170, v162, v35
	v_fmac_f32_e32 v170, v163, v34
	v_add_f32_e32 v40, v40, v170
	s_waitcnt vmcnt(50)
	v_mul_f32_e32 v170, v164, v37
	v_fmac_f32_e32 v170, v165, v36
	v_add_f32_e32 v40, v40, v170
	s_waitcnt vmcnt(48) lgkmcnt(0)
	v_mul_f32_e32 v170, v166, v39
	v_fmac_f32_e32 v170, v167, v38
	v_add_f32_e32 v40, v40, v170
	ds_read_b128 v[170:173], v112 offset:704
	v_mul_f32_e32 v1, v137, v1
	v_fma_f32 v1, v136, v16, -v1
	v_mul_f32_e32 v2, v139, v2
	v_fma_f32 v2, v138, v15, -v2
	s_waitcnt vmcnt(46)
	v_mul_f32_e32 v174, v168, v42
	v_fmac_f32_e32 v174, v169, v41
	v_add_f32_e32 v40, v40, v174
	ds_read_b128 v[174:177], v112 offset:720
	s_waitcnt vmcnt(44) lgkmcnt(1)
	v_mul_f32_e32 v178, v170, v45
	v_fmac_f32_e32 v178, v171, v44
	v_add_f32_e32 v40, v40, v178
	s_waitcnt vmcnt(43)
	v_mul_f32_e32 v178, v172, v46
	s_waitcnt vmcnt(40)
	v_fmac_f32_e32 v178, v173, v218
	v_add_f32_e32 v40, v40, v178
	s_waitcnt lgkmcnt(0)
	v_mul_f32_e32 v178, v174, v217
	v_fmac_f32_e32 v178, v175, v216
	v_add_f32_e32 v40, v40, v178
	ds_read_b128 v[178:181], v112 offset:736
	s_waitcnt vmcnt(38)
	v_mul_f32_e32 v182, v176, v220
	v_fmac_f32_e32 v182, v177, v219
	v_add_f32_e32 v40, v40, v182
	ds_read_b128 v[182:185], v112 offset:752
	s_waitcnt vmcnt(36) lgkmcnt(1)
	v_mul_f32_e32 v186, v178, v221
	v_fmac_f32_e32 v186, v179, v43
	v_add_f32_e32 v40, v40, v186
	s_waitcnt vmcnt(35)
	v_mul_f32_e32 v186, v180, v222
	s_waitcnt vmcnt(32)
	v_fmac_f32_e32 v186, v181, v225
	v_add_f32_e32 v40, v40, v186
	s_waitcnt lgkmcnt(0)
	v_mul_f32_e32 v186, v182, v224
	v_fmac_f32_e32 v186, v183, v223
	v_add_f32_e32 v40, v40, v186
	ds_read_b128 v[186:189], v112 offset:768
	;; [unrolled: 19-line block ×5, first 2 shown]
	s_waitcnt vmcnt(6)
	v_mul_f32_e32 v214, v208, v251
	v_fmac_f32_e32 v214, v209, v250
	v_add_f32_e32 v40, v40, v214
	ds_read_b64 v[214:215], v112 offset:880
	s_waitcnt vmcnt(4) lgkmcnt(1)
	v_mul_f32_e32 v49, v210, v253
	v_fmac_f32_e32 v49, v211, v252
	v_add_f32_e32 v40, v40, v49
	s_waitcnt vmcnt(3)
	v_mul_f32_e32 v49, v212, v254
	s_waitcnt vmcnt(0)
	v_fmac_f32_e32 v49, v213, v48
	v_add_f32_e32 v40, v40, v49
	s_waitcnt lgkmcnt(0)
	v_mul_f32_e32 v49, v214, v47
	v_fmac_f32_e32 v49, v215, v255
	v_add_f32_e32 v40, v40, v49
	v_mul_f32_e32 v49, v123, v119
	v_fma_f32 v8, v122, v8, -v49
	v_mul_f32_e32 v49, v125, v118
	v_add_f32_e32 v8, 0, v8
	v_fma_f32 v7, v124, v7, -v49
	v_add_f32_e32 v7, v8, v7
	v_mul_f32_e32 v8, v127, v117
	v_fma_f32 v6, v126, v6, -v8
	v_add_f32_e32 v6, v7, v6
	v_mul_f32_e32 v7, v129, v116
	;; [unrolled: 3-line block ×5, first 2 shown]
	v_fma_f32 v7, v134, v9, -v7
	v_add_f32_e32 v6, v6, v7
	v_add_f32_e32 v1, v6, v1
	;; [unrolled: 1-line block ×3, first 2 shown]
	v_mul_f32_e32 v2, v141, v3
	v_fma_f32 v2, v140, v14, -v2
	v_add_f32_e32 v1, v1, v2
	v_mul_f32_e32 v2, v143, v4
	v_fma_f32 v2, v142, v13, -v2
	v_add_f32_e32 v1, v1, v2
	;; [unrolled: 3-line block ×38, first 2 shown]
	v_sub_f32_e32 v1, v120, v1
	v_sub_f32_e32 v2, v121, v40
	buffer_store_dword v1, off, s[0:3], 0 offset:56
	buffer_store_dword v2, off, s[0:3], 0 offset:60
	s_and_saveexec_b64 s[4:5], vcc
	s_cbranch_execz .LBB54_331
; %bb.330:
	buffer_load_dword v113, off, s[0:3], 0 offset:48
	buffer_load_dword v114, off, s[0:3], 0 offset:52
	s_waitcnt vmcnt(0)
	ds_write_b64 v111, v[113:114]
	buffer_store_dword v112, off, s[0:3], 0 offset:48
	buffer_store_dword v112, off, s[0:3], 0 offset:52
.LBB54_331:
	s_or_b64 exec, exec, s[4:5]
	s_waitcnt lgkmcnt(0)
	; wave barrier
	buffer_load_dword v119, off, s[0:3], 0 offset:60
	buffer_load_dword v118, off, s[0:3], 0 offset:68
	;; [unrolled: 1-line block ×40, first 2 shown]
	ds_read2_b64 v[150:153], v112 offset0:63 offset1:64
	ds_read2_b64 v[154:157], v112 offset0:65 offset1:66
	;; [unrolled: 1-line block ×7, first 2 shown]
	buffer_load_dword v4, off, s[0:3], 0 offset:208
	buffer_load_dword v5, off, s[0:3], 0 offset:212
	;; [unrolled: 1-line block ×8, first 2 shown]
	v_cmp_lt_u32_e32 vcc, 5, v0
	s_waitcnt vmcnt(47) lgkmcnt(6)
	v_mul_f32_e32 v12, v150, v119
	s_waitcnt vmcnt(46)
	v_mul_f32_e32 v13, v152, v118
	s_waitcnt vmcnt(45) lgkmcnt(5)
	v_mul_f32_e32 v14, v154, v117
	s_waitcnt vmcnt(44)
	v_mul_f32_e32 v15, v156, v116
	;; [unrolled: 4-line block ×6, first 2 shown]
	s_waitcnt vmcnt(35)
	v_fmac_f32_e32 v14, v155, v132
	s_waitcnt vmcnt(34)
	v_fmac_f32_e32 v13, v153, v135
	;; [unrolled: 2-line block ×3, first 2 shown]
	v_add_f32_e32 v12, 0, v12
	v_add_f32_e32 v12, v12, v13
	;; [unrolled: 1-line block ×3, first 2 shown]
	buffer_load_dword v13, off, s[0:3], 0 offset:240
	buffer_load_dword v14, off, s[0:3], 0 offset:244
	s_waitcnt vmcnt(31)
	v_fmac_f32_e32 v15, v157, v137
	v_fmac_f32_e32 v16, v159, v134
	v_add_f32_e32 v12, v12, v15
	v_fmac_f32_e32 v17, v161, v131
	v_add_f32_e32 v12, v12, v16
	;; [unrolled: 2-line block ×3, first 2 shown]
	s_waitcnt vmcnt(27)
	v_fmac_f32_e32 v19, v165, v133
	v_add_f32_e32 v12, v12, v18
	v_fmac_f32_e32 v20, v167, v130
	v_add_f32_e32 v12, v12, v19
	;; [unrolled: 2-line block ×4, first 2 shown]
	ds_read2_b64 v[178:181], v112 offset0:77 offset1:78
	s_waitcnt vmcnt(23)
	v_fmac_f32_e32 v23, v173, v145
	v_add_f32_e32 v12, v12, v22
	s_waitcnt vmcnt(22) lgkmcnt(1)
	v_mul_f32_e32 v15, v174, v144
	v_add_f32_e32 v12, v12, v23
	v_fmac_f32_e32 v15, v175, v141
	v_add_f32_e32 v12, v12, v15
	s_waitcnt vmcnt(21)
	v_mul_f32_e32 v15, v176, v142
	v_fmac_f32_e32 v15, v177, v139
	v_add_f32_e32 v12, v12, v15
	s_waitcnt vmcnt(20) lgkmcnt(0)
	v_mul_f32_e32 v15, v178, v140
	v_fmac_f32_e32 v15, v179, v136
	v_add_f32_e32 v12, v12, v15
	buffer_load_dword v15, off, s[0:3], 0 offset:248
	buffer_load_dword v16, off, s[0:3], 0 offset:252
	buffer_load_dword v17, off, s[0:3], 0 offset:260
	buffer_load_dword v18, off, s[0:3], 0 offset:264
	buffer_load_dword v19, off, s[0:3], 0 offset:268
	buffer_load_dword v20, off, s[0:3], 0 offset:256
	s_waitcnt vmcnt(25)
	v_mul_f32_e32 v21, v180, v143
	s_waitcnt vmcnt(18)
	v_fmac_f32_e32 v21, v181, v3
	ds_read2_b64 v[182:185], v112 offset0:79 offset1:80
	v_add_f32_e32 v12, v12, v21
	buffer_load_dword v21, off, s[0:3], 0 offset:272
	buffer_load_dword v22, off, s[0:3], 0 offset:276
	ds_read2_b64 v[186:189], v112 offset0:81 offset1:82
	buffer_load_dword v24, off, s[0:3], 0 offset:280
	buffer_load_dword v25, off, s[0:3], 0 offset:284
	;; [unrolled: 1-line block ×14, first 2 shown]
	s_waitcnt lgkmcnt(1)
	v_mul_f32_e32 v23, v182, v147
	v_fmac_f32_e32 v23, v183, v146
	v_add_f32_e32 v12, v12, v23
	v_mul_f32_e32 v23, v184, v149
	buffer_load_dword v38, off, s[0:3], 0 offset:336
	buffer_load_dword v39, off, s[0:3], 0 offset:340
	v_fmac_f32_e32 v23, v185, v148
	v_add_f32_e32 v12, v12, v23
	s_waitcnt lgkmcnt(0)
	v_mul_f32_e32 v23, v186, v2
	v_fmac_f32_e32 v23, v187, v1
	v_add_f32_e32 v12, v12, v23
	s_waitcnt vmcnt(32)
	v_mul_f32_e32 v23, v188, v5
	ds_read2_b64 v[190:193], v112 offset0:83 offset1:84
	v_fmac_f32_e32 v23, v189, v4
	v_add_f32_e32 v12, v12, v23
	buffer_load_dword v23, off, s[0:3], 0 offset:344
	buffer_load_dword v40, off, s[0:3], 0 offset:348
	;; [unrolled: 1-line block ×6, first 2 shown]
	ds_read2_b64 v[194:197], v112 offset0:85 offset1:86
	s_waitcnt vmcnt(36) lgkmcnt(1)
	v_mul_f32_e32 v45, v190, v7
	v_fmac_f32_e32 v45, v191, v6
	v_add_f32_e32 v12, v12, v45
	buffer_load_dword v45, off, s[0:3], 0 offset:368
	buffer_load_dword v46, off, s[0:3], 0 offset:372
	;; [unrolled: 1-line block ×8, first 2 shown]
	s_waitcnt vmcnt(42)
	v_mul_f32_e32 v47, v192, v9
	v_fmac_f32_e32 v47, v193, v8
	v_add_f32_e32 v12, v12, v47
	s_waitcnt vmcnt(40) lgkmcnt(0)
	v_mul_f32_e32 v47, v194, v11
	v_fmac_f32_e32 v47, v195, v10
	v_add_f32_e32 v12, v12, v47
	buffer_load_dword v47, off, s[0:3], 0 offset:400
	buffer_load_dword v249, off, s[0:3], 0 offset:404
	;; [unrolled: 1-line block ×8, first 2 shown]
	ds_read2_b64 v[198:201], v112 offset0:87 offset1:88
	v_mul_f32_e32 v118, v153, v118
	v_fma_f32 v118, v152, v135, -v118
	v_mul_f32_e32 v117, v155, v117
	v_fma_f32 v117, v154, v132, -v117
	;; [unrolled: 2-line block ×5, first 2 shown]
	v_mul_f32_e32 v113, v163, v113
	s_waitcnt vmcnt(46)
	v_mul_f32_e32 v202, v196, v14
	v_fmac_f32_e32 v202, v197, v13
	v_add_f32_e32 v12, v12, v202
	ds_read2_b64 v[202:205], v112 offset0:89 offset1:90
	buffer_load_dword v51, off, s[0:3], 0 offset:432
	buffer_load_dword v52, off, s[0:3], 0 offset:436
	v_fma_f32 v113, v162, v129, -v113
	v_mul_f32_e32 v2, v187, v2
	v_fma_f32 v1, v186, v1, -v2
	v_mul_f32_e32 v2, v189, v5
	v_fma_f32 v2, v188, v4, -v2
	s_waitcnt vmcnt(46) lgkmcnt(1)
	v_mul_f32_e32 v206, v198, v16
	v_fmac_f32_e32 v206, v199, v15
	v_add_f32_e32 v12, v12, v206
	s_waitcnt vmcnt(45)
	v_mul_f32_e32 v206, v200, v17
	s_waitcnt vmcnt(42)
	v_fmac_f32_e32 v206, v201, v20
	v_add_f32_e32 v12, v12, v206
	s_waitcnt lgkmcnt(0)
	v_mul_f32_e32 v206, v202, v19
	v_fmac_f32_e32 v206, v203, v18
	v_add_f32_e32 v12, v12, v206
	ds_read2_b64 v[206:209], v112 offset0:91 offset1:92
	s_waitcnt vmcnt(40)
	v_mul_f32_e32 v210, v204, v22
	v_fmac_f32_e32 v210, v205, v21
	v_add_f32_e32 v12, v12, v210
	ds_read2_b64 v[210:213], v112 offset0:93 offset1:94
	s_waitcnt vmcnt(38) lgkmcnt(1)
	v_mul_f32_e32 v214, v206, v25
	v_fmac_f32_e32 v214, v207, v24
	v_add_f32_e32 v12, v12, v214
	s_waitcnt vmcnt(37)
	v_mul_f32_e32 v214, v208, v26
	s_waitcnt vmcnt(34)
	v_fmac_f32_e32 v214, v209, v29
	v_add_f32_e32 v12, v12, v214
	s_waitcnt lgkmcnt(0)
	v_mul_f32_e32 v214, v210, v28
	v_fmac_f32_e32 v214, v211, v27
	v_add_f32_e32 v12, v12, v214
	ds_read2_b64 v[214:217], v112 offset0:95 offset1:96
	s_waitcnt vmcnt(32)
	v_mul_f32_e32 v218, v212, v31
	v_fmac_f32_e32 v218, v213, v30
	v_add_f32_e32 v12, v12, v218
	ds_read2_b64 v[218:221], v112 offset0:97 offset1:98
	;; [unrolled: 19-line block ×5, first 2 shown]
	s_waitcnt vmcnt(6) lgkmcnt(1)
	v_mul_f32_e32 v112, v238, v251
	v_fmac_f32_e32 v112, v239, v250
	v_add_f32_e32 v12, v12, v112
	s_waitcnt vmcnt(5)
	v_mul_f32_e32 v112, v240, v252
	s_waitcnt vmcnt(2)
	v_fmac_f32_e32 v112, v241, v255
	v_add_f32_e32 v12, v12, v112
	s_waitcnt lgkmcnt(0)
	v_mul_f32_e32 v112, v242, v254
	v_fmac_f32_e32 v112, v243, v253
	v_add_f32_e32 v12, v12, v112
	s_waitcnt vmcnt(0)
	v_mul_f32_e32 v112, v244, v52
	v_fmac_f32_e32 v112, v245, v51
	v_add_f32_e32 v12, v12, v112
	v_mul_f32_e32 v112, v151, v119
	v_fma_f32 v112, v150, v138, -v112
	v_add_f32_e32 v112, 0, v112
	v_add_f32_e32 v112, v112, v118
	;; [unrolled: 1-line block ×7, first 2 shown]
	v_mul_f32_e32 v113, v165, v122
	v_fma_f32 v113, v164, v133, -v113
	v_add_f32_e32 v112, v112, v113
	v_mul_f32_e32 v113, v167, v123
	v_fma_f32 v113, v166, v130, -v113
	v_add_f32_e32 v112, v112, v113
	;; [unrolled: 3-line block ×11, first 2 shown]
	v_add_f32_e32 v1, v3, v1
	v_add_f32_e32 v1, v1, v2
	v_mul_f32_e32 v2, v191, v7
	v_fma_f32 v2, v190, v6, -v2
	v_add_f32_e32 v1, v1, v2
	v_mul_f32_e32 v2, v193, v9
	v_fma_f32 v2, v192, v8, -v2
	;; [unrolled: 3-line block ×28, first 2 shown]
	v_add_f32_e32 v1, v1, v2
	v_sub_f32_e32 v1, v120, v1
	v_sub_f32_e32 v2, v121, v12
	buffer_store_dword v1, off, s[0:3], 0 offset:48
	buffer_store_dword v2, off, s[0:3], 0 offset:52
	s_and_saveexec_b64 s[4:5], vcc
	s_cbranch_execz .LBB54_333
; %bb.332:
	buffer_load_dword v112, off, s[0:3], 0 offset:40
	buffer_load_dword v113, off, s[0:3], 0 offset:44
	v_mov_b32_e32 v1, 0
	buffer_store_dword v1, off, s[0:3], 0 offset:40
	buffer_store_dword v1, off, s[0:3], 0 offset:44
	s_waitcnt vmcnt(2)
	ds_write_b64 v111, v[112:113]
.LBB54_333:
	s_or_b64 exec, exec, s[4:5]
	s_waitcnt lgkmcnt(0)
	; wave barrier
	buffer_load_dword v119, off, s[0:3], 0 offset:52
	buffer_load_dword v118, off, s[0:3], 0 offset:60
	;; [unrolled: 1-line block ×50, first 2 shown]
	v_mov_b32_e32 v112, 0
	ds_read_b128 v[126:129], v112 offset:496
	ds_read_b128 v[130:133], v112 offset:512
	;; [unrolled: 1-line block ×8, first 2 shown]
	v_cmp_lt_u32_e32 vcc, 4, v0
	s_waitcnt vmcnt(49) lgkmcnt(7)
	v_mul_f32_e32 v38, v126, v119
	s_waitcnt vmcnt(48)
	v_mul_f32_e32 v39, v128, v118
	s_waitcnt vmcnt(47) lgkmcnt(6)
	v_mul_f32_e32 v40, v130, v117
	s_waitcnt vmcnt(46)
	v_mul_f32_e32 v41, v132, v116
	;; [unrolled: 4-line block ×5, first 2 shown]
	s_waitcnt vmcnt(39) lgkmcnt(2)
	v_mul_f32_e32 v48, v146, v125
	s_waitcnt vmcnt(38)
	v_fmac_f32_e32 v40, v131, v1
	s_waitcnt vmcnt(37)
	v_fmac_f32_e32 v39, v129, v2
	;; [unrolled: 2-line block ×3, first 2 shown]
	v_add_f32_e32 v38, 0, v38
	v_add_f32_e32 v38, v38, v39
	;; [unrolled: 1-line block ×3, first 2 shown]
	s_waitcnt vmcnt(32)
	v_fmac_f32_e32 v41, v133, v7
	v_fmac_f32_e32 v42, v135, v6
	v_add_f32_e32 v38, v38, v41
	v_fmac_f32_e32 v43, v137, v5
	v_add_f32_e32 v38, v38, v42
	;; [unrolled: 2-line block ×3, first 2 shown]
	s_waitcnt vmcnt(28)
	v_fmac_f32_e32 v45, v141, v11
	v_add_f32_e32 v38, v38, v44
	v_fmac_f32_e32 v46, v143, v10
	v_add_f32_e32 v38, v38, v45
	;; [unrolled: 2-line block ×4, first 2 shown]
	s_waitcnt vmcnt(27)
	v_mul_f32_e32 v39, v148, v12
	v_add_f32_e32 v38, v38, v48
	s_waitcnt vmcnt(23)
	v_fmac_f32_e32 v39, v149, v16
	v_add_f32_e32 v38, v38, v39
	s_waitcnt vmcnt(22) lgkmcnt(1)
	v_mul_f32_e32 v39, v150, v17
	v_fmac_f32_e32 v39, v151, v15
	v_add_f32_e32 v38, v38, v39
	buffer_load_dword v39, off, s[0:3], 0 offset:240
	buffer_load_dword v40, off, s[0:3], 0 offset:244
	ds_read_b128 v[158:161], v112 offset:624
	buffer_load_dword v42, off, s[0:3], 0 offset:252
	buffer_load_dword v43, off, s[0:3], 0 offset:256
	;; [unrolled: 1-line block ×4, first 2 shown]
	s_waitcnt vmcnt(27)
	v_mul_f32_e32 v41, v152, v18
	v_fmac_f32_e32 v41, v153, v14
	v_add_f32_e32 v38, v38, v41
	s_waitcnt vmcnt(26) lgkmcnt(1)
	v_mul_f32_e32 v41, v154, v19
	ds_read_b128 v[162:165], v112 offset:640
	buffer_load_dword v46, off, s[0:3], 0 offset:264
	buffer_load_dword v47, off, s[0:3], 0 offset:268
	v_fmac_f32_e32 v41, v155, v13
	v_add_f32_e32 v38, v38, v41
	s_waitcnt vmcnt(27)
	v_mul_f32_e32 v41, v156, v20
	s_waitcnt vmcnt(21)
	v_fmac_f32_e32 v41, v157, v26
	v_add_f32_e32 v38, v38, v41
	s_waitcnt vmcnt(20) lgkmcnt(1)
	v_mul_f32_e32 v41, v158, v27
	v_fmac_f32_e32 v41, v159, v25
	v_add_f32_e32 v38, v38, v41
	buffer_load_dword v41, off, s[0:3], 0 offset:272
	buffer_load_dword v48, off, s[0:3], 0 offset:276
	;; [unrolled: 1-line block ×14, first 2 shown]
	v_mul_f32_e32 v166, v160, v22
	v_fmac_f32_e32 v166, v161, v21
	v_add_f32_e32 v38, v38, v166
	s_waitcnt lgkmcnt(0)
	v_mul_f32_e32 v166, v162, v24
	v_fmac_f32_e32 v166, v163, v23
	v_add_f32_e32 v38, v38, v166
	ds_read_b128 v[166:169], v112 offset:656
	buffer_load_dword v232, off, s[0:3], 0 offset:328
	buffer_load_dword v233, off, s[0:3], 0 offset:332
	s_waitcnt vmcnt(32)
	v_mul_f32_e32 v170, v164, v29
	v_fmac_f32_e32 v170, v165, v28
	v_add_f32_e32 v38, v38, v170
	ds_read_b128 v[170:173], v112 offset:672
	buffer_load_dword v234, off, s[0:3], 0 offset:336
	buffer_load_dword v235, off, s[0:3], 0 offset:340
	;; [unrolled: 1-line block ×14, first 2 shown]
	s_waitcnt vmcnt(44) lgkmcnt(1)
	v_mul_f32_e32 v174, v166, v31
	v_fmac_f32_e32 v174, v167, v30
	buffer_load_dword v248, off, s[0:3], 0 offset:392
	buffer_load_dword v249, off, s[0:3], 0 offset:396
	v_add_f32_e32 v38, v38, v174
	s_waitcnt vmcnt(44)
	v_mul_f32_e32 v174, v168, v33
	v_fmac_f32_e32 v174, v169, v32
	v_add_f32_e32 v38, v38, v174
	s_waitcnt vmcnt(42) lgkmcnt(0)
	v_mul_f32_e32 v174, v170, v35
	v_fmac_f32_e32 v174, v171, v34
	v_add_f32_e32 v38, v38, v174
	ds_read_b128 v[174:177], v112 offset:688
	buffer_load_dword v250, off, s[0:3], 0 offset:400
	buffer_load_dword v251, off, s[0:3], 0 offset:404
	;; [unrolled: 1-line block ×6, first 2 shown]
	s_waitcnt vmcnt(46)
	v_mul_f32_e32 v178, v172, v37
	v_fmac_f32_e32 v178, v173, v36
	v_add_f32_e32 v38, v38, v178
	ds_read_b128 v[178:181], v112 offset:704
	buffer_load_dword v53, off, s[0:3], 0 offset:428
	buffer_load_dword v54, off, s[0:3], 0 offset:432
	buffer_load_dword v55, off, s[0:3], 0 offset:436
	buffer_load_dword v56, off, s[0:3], 0 offset:424
	s_waitcnt vmcnt(48) lgkmcnt(1)
	v_mul_f32_e32 v182, v174, v40
	v_fmac_f32_e32 v182, v175, v39
	v_add_f32_e32 v38, v38, v182
	s_waitcnt vmcnt(47)
	v_mul_f32_e32 v182, v176, v42
	s_waitcnt vmcnt(44)
	v_fmac_f32_e32 v182, v177, v45
	v_add_f32_e32 v38, v38, v182
	s_waitcnt lgkmcnt(0)
	v_mul_f32_e32 v182, v178, v44
	v_fmac_f32_e32 v182, v179, v43
	v_add_f32_e32 v38, v38, v182
	ds_read_b128 v[182:185], v112 offset:720
	s_waitcnt vmcnt(42)
	v_mul_f32_e32 v186, v180, v47
	v_fmac_f32_e32 v186, v181, v46
	v_add_f32_e32 v38, v38, v186
	ds_read_b128 v[186:189], v112 offset:736
	s_waitcnt vmcnt(40) lgkmcnt(1)
	v_mul_f32_e32 v190, v182, v48
	v_fmac_f32_e32 v190, v183, v41
	v_add_f32_e32 v38, v38, v190
	s_waitcnt vmcnt(39)
	v_mul_f32_e32 v190, v184, v49
	s_waitcnt vmcnt(36)
	v_fmac_f32_e32 v190, v185, v52
	v_add_f32_e32 v38, v38, v190
	s_waitcnt lgkmcnt(0)
	v_mul_f32_e32 v190, v186, v51
	v_fmac_f32_e32 v190, v187, v50
	v_add_f32_e32 v38, v38, v190
	ds_read_b128 v[190:193], v112 offset:752
	s_waitcnt vmcnt(34)
	v_mul_f32_e32 v194, v188, v225
	v_fmac_f32_e32 v194, v189, v224
	v_add_f32_e32 v38, v38, v194
	ds_read_b128 v[194:197], v112 offset:768
	;; [unrolled: 19-line block ×5, first 2 shown]
	s_waitcnt vmcnt(8) lgkmcnt(1)
	v_mul_f32_e32 v222, v214, v251
	v_fmac_f32_e32 v222, v215, v250
	v_add_f32_e32 v38, v38, v222
	s_waitcnt vmcnt(7)
	v_mul_f32_e32 v222, v216, v252
	s_waitcnt vmcnt(4)
	v_fmac_f32_e32 v222, v217, v255
	v_add_f32_e32 v38, v38, v222
	ds_read_b64 v[222:223], v112 offset:880
	s_waitcnt lgkmcnt(1)
	v_mul_f32_e32 v57, v218, v254
	v_fmac_f32_e32 v57, v219, v253
	v_add_f32_e32 v38, v38, v57
	s_waitcnt vmcnt(3)
	v_mul_f32_e32 v57, v220, v53
	s_waitcnt vmcnt(0)
	v_fmac_f32_e32 v57, v221, v56
	v_add_f32_e32 v38, v38, v57
	s_waitcnt lgkmcnt(0)
	v_mul_f32_e32 v57, v222, v55
	v_fmac_f32_e32 v57, v223, v54
	v_add_f32_e32 v38, v38, v57
	v_mul_f32_e32 v57, v127, v119
	v_fma_f32 v3, v126, v3, -v57
	v_mul_f32_e32 v57, v129, v118
	v_add_f32_e32 v3, 0, v3
	v_fma_f32 v2, v128, v2, -v57
	v_add_f32_e32 v2, v3, v2
	v_mul_f32_e32 v3, v131, v117
	v_fma_f32 v1, v130, v1, -v3
	v_add_f32_e32 v1, v2, v1
	v_mul_f32_e32 v2, v133, v116
	;; [unrolled: 3-line block ×47, first 2 shown]
	v_fma_f32 v2, v222, v54, -v2
	v_add_f32_e32 v1, v1, v2
	v_sub_f32_e32 v1, v120, v1
	v_sub_f32_e32 v2, v121, v38
	buffer_store_dword v1, off, s[0:3], 0 offset:40
	buffer_store_dword v2, off, s[0:3], 0 offset:44
	s_and_saveexec_b64 s[4:5], vcc
	s_cbranch_execz .LBB54_335
; %bb.334:
	buffer_load_dword v113, off, s[0:3], 0 offset:32
	buffer_load_dword v114, off, s[0:3], 0 offset:36
	s_waitcnt vmcnt(0)
	ds_write_b64 v111, v[113:114]
	buffer_store_dword v112, off, s[0:3], 0 offset:32
	buffer_store_dword v112, off, s[0:3], 0 offset:36
.LBB54_335:
	s_or_b64 exec, exec, s[4:5]
	s_waitcnt lgkmcnt(0)
	; wave barrier
	buffer_load_dword v119, off, s[0:3], 0 offset:44
	buffer_load_dword v118, off, s[0:3], 0 offset:52
	;; [unrolled: 1-line block ×40, first 2 shown]
	ds_read2_b64 v[127:130], v112 offset0:61 offset1:62
	ds_read2_b64 v[131:134], v112 offset0:63 offset1:64
	;; [unrolled: 1-line block ×7, first 2 shown]
	buffer_load_dword v27, off, s[0:3], 0 offset:192
	buffer_load_dword v28, off, s[0:3], 0 offset:196
	;; [unrolled: 1-line block ×10, first 2 shown]
	ds_read2_b64 v[155:158], v112 offset0:75 offset1:76
	v_cmp_lt_u32_e32 vcc, 3, v0
	s_waitcnt vmcnt(49) lgkmcnt(7)
	v_mul_f32_e32 v37, v127, v119
	s_waitcnt vmcnt(48)
	v_mul_f32_e32 v38, v129, v118
	s_waitcnt vmcnt(47) lgkmcnt(6)
	v_mul_f32_e32 v39, v131, v117
	s_waitcnt vmcnt(46)
	v_mul_f32_e32 v40, v133, v116
	;; [unrolled: 4-line block ×6, first 2 shown]
	s_waitcnt vmcnt(37)
	v_fmac_f32_e32 v39, v132, v1
	s_waitcnt vmcnt(36)
	v_fmac_f32_e32 v38, v130, v2
	;; [unrolled: 2-line block ×3, first 2 shown]
	v_add_f32_e32 v37, 0, v37
	v_add_f32_e32 v37, v37, v38
	;; [unrolled: 1-line block ×3, first 2 shown]
	s_waitcnt vmcnt(31)
	v_fmac_f32_e32 v40, v134, v7
	v_fmac_f32_e32 v41, v136, v6
	v_add_f32_e32 v37, v37, v40
	v_fmac_f32_e32 v42, v138, v5
	v_add_f32_e32 v37, v37, v41
	;; [unrolled: 2-line block ×3, first 2 shown]
	s_waitcnt vmcnt(27)
	v_fmac_f32_e32 v44, v142, v11
	v_add_f32_e32 v37, v37, v43
	v_fmac_f32_e32 v45, v144, v10
	v_add_f32_e32 v37, v37, v44
	;; [unrolled: 2-line block ×4, first 2 shown]
	v_add_f32_e32 v37, v37, v47
	s_waitcnt vmcnt(23)
	v_fmac_f32_e32 v48, v150, v15
	s_waitcnt vmcnt(22) lgkmcnt(1)
	v_mul_f32_e32 v38, v151, v16
	v_add_f32_e32 v37, v37, v48
	v_fmac_f32_e32 v38, v152, v14
	buffer_load_dword v39, off, s[0:3], 0 offset:236
	v_add_f32_e32 v37, v37, v38
	s_waitcnt vmcnt(22)
	v_mul_f32_e32 v38, v153, v17
	v_fmac_f32_e32 v38, v154, v13
	buffer_load_dword v40, off, s[0:3], 0 offset:232
	buffer_load_dword v41, off, s[0:3], 0 offset:240
	;; [unrolled: 1-line block ×3, first 2 shown]
	ds_read2_b64 v[159:162], v112 offset0:77 offset1:78
	v_add_f32_e32 v37, v37, v38
	s_waitcnt vmcnt(24) lgkmcnt(1)
	v_mul_f32_e32 v38, v155, v18
	v_fmac_f32_e32 v38, v156, v12
	v_add_f32_e32 v37, v37, v38
	s_waitcnt vmcnt(23)
	v_mul_f32_e32 v38, v157, v19
	buffer_load_dword v43, off, s[0:3], 0 offset:248
	buffer_load_dword v44, off, s[0:3], 0 offset:252
	s_waitcnt vmcnt(19)
	v_fmac_f32_e32 v38, v158, v25
	v_add_f32_e32 v37, v37, v38
	s_waitcnt vmcnt(18) lgkmcnt(0)
	v_mul_f32_e32 v38, v159, v26
	v_fmac_f32_e32 v38, v160, v24
	ds_read2_b64 v[163:166], v112 offset0:79 offset1:80
	v_add_f32_e32 v37, v37, v38
	buffer_load_dword v38, off, s[0:3], 0 offset:256
	buffer_load_dword v45, off, s[0:3], 0 offset:260
	;; [unrolled: 1-line block ×8, first 2 shown]
	v_mul_f32_e32 v46, v161, v21
	v_fmac_f32_e32 v46, v162, v20
	v_add_f32_e32 v37, v37, v46
	s_waitcnt lgkmcnt(0)
	v_mul_f32_e32 v46, v163, v23
	v_fmac_f32_e32 v46, v164, v22
	v_add_f32_e32 v37, v37, v46
	buffer_load_dword v46, off, s[0:3], 0 offset:288
	buffer_load_dword v53, off, s[0:3], 0 offset:292
	ds_read2_b64 v[167:170], v112 offset0:81 offset1:82
	buffer_load_dword v55, off, s[0:3], 0 offset:296
	buffer_load_dword v56, off, s[0:3], 0 offset:300
	;; [unrolled: 1-line block ×6, first 2 shown]
	ds_read2_b64 v[171:174], v112 offset0:83 offset1:84
	buffer_load_dword v229, off, s[0:3], 0 offset:320
	buffer_load_dword v230, off, s[0:3], 0 offset:324
	s_waitcnt vmcnt(32)
	v_mul_f32_e32 v54, v165, v28
	v_fmac_f32_e32 v54, v166, v27
	v_add_f32_e32 v37, v37, v54
	s_waitcnt vmcnt(30) lgkmcnt(1)
	v_mul_f32_e32 v54, v167, v30
	v_fmac_f32_e32 v54, v168, v29
	v_add_f32_e32 v37, v37, v54
	buffer_load_dword v54, off, s[0:3], 0 offset:328
	buffer_load_dword v231, off, s[0:3], 0 offset:332
	;; [unrolled: 1-line block ×14, first 2 shown]
	s_waitcnt vmcnt(42)
	v_mul_f32_e32 v175, v169, v32
	v_fmac_f32_e32 v175, v170, v31
	v_add_f32_e32 v37, v37, v175
	s_waitcnt vmcnt(40) lgkmcnt(0)
	v_mul_f32_e32 v175, v171, v34
	v_fmac_f32_e32 v175, v172, v33
	v_add_f32_e32 v37, v37, v175
	ds_read2_b64 v[175:178], v112 offset0:85 offset1:86
	buffer_load_dword v244, off, s[0:3], 0 offset:384
	buffer_load_dword v245, off, s[0:3], 0 offset:388
	s_waitcnt vmcnt(40)
	v_mul_f32_e32 v179, v173, v36
	v_fmac_f32_e32 v179, v174, v35
	v_add_f32_e32 v37, v37, v179
	ds_read2_b64 v[179:182], v112 offset0:87 offset1:88
	buffer_load_dword v246, off, s[0:3], 0 offset:392
	buffer_load_dword v247, off, s[0:3], 0 offset:396
	;; [unrolled: 1-line block ×12, first 2 shown]
	s_waitcnt vmcnt(51) lgkmcnt(1)
	v_mul_f32_e32 v183, v175, v39
	s_waitcnt vmcnt(50)
	v_fmac_f32_e32 v183, v176, v40
	v_add_f32_e32 v37, v37, v183
	s_waitcnt vmcnt(48)
	v_mul_f32_e32 v183, v177, v42
	v_fmac_f32_e32 v183, v178, v41
	v_add_f32_e32 v37, v37, v183
	s_waitcnt vmcnt(46) lgkmcnt(0)
	v_mul_f32_e32 v183, v179, v44
	v_fmac_f32_e32 v183, v180, v43
	v_add_f32_e32 v37, v37, v183
	ds_read2_b64 v[183:186], v112 offset0:89 offset1:90
	s_waitcnt vmcnt(44)
	v_mul_f32_e32 v187, v181, v45
	v_fmac_f32_e32 v187, v182, v38
	v_add_f32_e32 v37, v37, v187
	ds_read2_b64 v[187:190], v112 offset0:91 offset1:92
	s_waitcnt vmcnt(42) lgkmcnt(1)
	v_mul_f32_e32 v191, v183, v48
	v_fmac_f32_e32 v191, v184, v47
	v_add_f32_e32 v37, v37, v191
	s_waitcnt vmcnt(41)
	v_mul_f32_e32 v191, v185, v49
	s_waitcnt vmcnt(38)
	v_fmac_f32_e32 v191, v186, v52
	v_add_f32_e32 v37, v37, v191
	s_waitcnt lgkmcnt(0)
	v_mul_f32_e32 v191, v187, v51
	v_fmac_f32_e32 v191, v188, v50
	v_add_f32_e32 v37, v37, v191
	ds_read2_b64 v[191:194], v112 offset0:93 offset1:94
	s_waitcnt vmcnt(36)
	v_mul_f32_e32 v195, v189, v53
	v_fmac_f32_e32 v195, v190, v46
	v_add_f32_e32 v37, v37, v195
	ds_read2_b64 v[195:198], v112 offset0:95 offset1:96
	s_waitcnt vmcnt(34) lgkmcnt(1)
	v_mul_f32_e32 v199, v191, v56
	v_fmac_f32_e32 v199, v192, v55
	v_add_f32_e32 v37, v37, v199
	s_waitcnt vmcnt(33)
	v_mul_f32_e32 v199, v193, v57
	s_waitcnt vmcnt(30)
	v_fmac_f32_e32 v199, v194, v228
	v_add_f32_e32 v37, v37, v199
	s_waitcnt lgkmcnt(0)
	;; [unrolled: 19-line block ×4, first 2 shown]
	v_mul_f32_e32 v215, v211, v242
	v_fmac_f32_e32 v215, v212, v241
	v_add_f32_e32 v37, v37, v215
	ds_read2_b64 v[215:218], v112 offset0:105 offset1:106
	s_waitcnt vmcnt(12)
	v_mul_f32_e32 v219, v213, v245
	v_fmac_f32_e32 v219, v214, v244
	v_add_f32_e32 v37, v37, v219
	ds_read2_b64 v[219:222], v112 offset0:107 offset1:108
	s_waitcnt vmcnt(10) lgkmcnt(1)
	v_mul_f32_e32 v223, v215, v247
	v_fmac_f32_e32 v223, v216, v246
	v_add_f32_e32 v37, v37, v223
	s_waitcnt vmcnt(9)
	v_mul_f32_e32 v223, v217, v248
	s_waitcnt vmcnt(6)
	v_fmac_f32_e32 v223, v218, v251
	v_add_f32_e32 v37, v37, v223
	ds_read2_b64 v[223:226], v112 offset0:109 offset1:110
	s_waitcnt lgkmcnt(1)
	v_mul_f32_e32 v61, v219, v250
	v_fmac_f32_e32 v61, v220, v249
	v_add_f32_e32 v37, v37, v61
	s_waitcnt vmcnt(4)
	v_mul_f32_e32 v61, v221, v253
	v_fmac_f32_e32 v61, v222, v252
	v_add_f32_e32 v37, v37, v61
	s_waitcnt vmcnt(3) lgkmcnt(0)
	v_mul_f32_e32 v61, v223, v254
	s_waitcnt vmcnt(0)
	v_fmac_f32_e32 v61, v224, v60
	v_add_f32_e32 v37, v37, v61
	v_mul_f32_e32 v61, v225, v59
	v_fmac_f32_e32 v61, v226, v255
	v_add_f32_e32 v37, v37, v61
	v_mul_f32_e32 v61, v128, v119
	v_fma_f32 v3, v127, v3, -v61
	v_mul_f32_e32 v61, v130, v118
	v_add_f32_e32 v3, 0, v3
	v_fma_f32 v2, v129, v2, -v61
	v_add_f32_e32 v2, v3, v2
	v_mul_f32_e32 v3, v132, v117
	v_fma_f32 v1, v131, v1, -v3
	v_add_f32_e32 v1, v2, v1
	v_mul_f32_e32 v2, v134, v116
	;; [unrolled: 3-line block ×48, first 2 shown]
	v_fma_f32 v2, v225, v255, -v2
	v_add_f32_e32 v1, v1, v2
	v_sub_f32_e32 v1, v120, v1
	v_sub_f32_e32 v2, v121, v37
	buffer_store_dword v1, off, s[0:3], 0 offset:32
	buffer_store_dword v2, off, s[0:3], 0 offset:36
	s_and_saveexec_b64 s[4:5], vcc
	s_cbranch_execz .LBB54_337
; %bb.336:
	buffer_load_dword v112, off, s[0:3], 0 offset:24
	buffer_load_dword v113, off, s[0:3], 0 offset:28
	v_mov_b32_e32 v1, 0
	buffer_store_dword v1, off, s[0:3], 0 offset:24
	buffer_store_dword v1, off, s[0:3], 0 offset:28
	s_waitcnt vmcnt(2)
	ds_write_b64 v111, v[112:113]
.LBB54_337:
	s_or_b64 exec, exec, s[4:5]
	s_waitcnt lgkmcnt(0)
	; wave barrier
	buffer_load_dword v121, off, s[0:3], 0 offset:36
	buffer_load_dword v120, off, s[0:3], 0 offset:44
	;; [unrolled: 1-line block ×50, first 2 shown]
	v_mov_b32_e32 v112, 0
	ds_read_b128 v[128:131], v112 offset:480
	ds_read_b128 v[132:135], v112 offset:496
	;; [unrolled: 1-line block ×7, first 2 shown]
	v_cmp_lt_u32_e32 vcc, 2, v0
	s_waitcnt vmcnt(49) lgkmcnt(6)
	v_mul_f32_e32 v36, v128, v121
	s_waitcnt vmcnt(48)
	v_mul_f32_e32 v37, v130, v120
	s_waitcnt vmcnt(47) lgkmcnt(5)
	v_mul_f32_e32 v38, v132, v117
	s_waitcnt vmcnt(46)
	v_mul_f32_e32 v39, v134, v116
	;; [unrolled: 4-line block ×6, first 2 shown]
	s_waitcnt vmcnt(37)
	v_fmac_f32_e32 v38, v133, v1
	s_waitcnt vmcnt(36)
	v_fmac_f32_e32 v37, v131, v2
	s_waitcnt vmcnt(35)
	v_fmac_f32_e32 v36, v129, v3
	v_add_f32_e32 v36, 0, v36
	v_add_f32_e32 v36, v36, v37
	;; [unrolled: 1-line block ×3, first 2 shown]
	s_waitcnt vmcnt(31)
	v_fmac_f32_e32 v39, v135, v7
	v_fmac_f32_e32 v40, v137, v6
	v_add_f32_e32 v36, v36, v39
	v_fmac_f32_e32 v41, v139, v5
	v_add_f32_e32 v36, v36, v40
	;; [unrolled: 2-line block ×3, first 2 shown]
	s_waitcnt vmcnt(27)
	v_fmac_f32_e32 v43, v143, v10
	v_add_f32_e32 v36, v36, v42
	v_fmac_f32_e32 v44, v145, v9
	v_add_f32_e32 v36, v36, v43
	;; [unrolled: 2-line block ×4, first 2 shown]
	buffer_load_dword v37, off, s[0:3], 0 offset:224
	buffer_load_dword v38, off, s[0:3], 0 offset:228
	ds_read_b128 v[156:159], v112 offset:592
	v_add_f32_e32 v36, v36, v46
	s_waitcnt vmcnt(25)
	v_fmac_f32_e32 v47, v151, v14
	s_waitcnt vmcnt(24) lgkmcnt(1)
	v_mul_f32_e32 v39, v152, v15
	v_add_f32_e32 v36, v36, v47
	v_fmac_f32_e32 v39, v153, v13
	v_add_f32_e32 v36, v36, v39
	s_waitcnt vmcnt(23)
	v_mul_f32_e32 v39, v154, v16
	v_fmac_f32_e32 v39, v155, v12
	v_add_f32_e32 v36, v36, v39
	s_waitcnt vmcnt(22) lgkmcnt(0)
	v_mul_f32_e32 v39, v156, v17
	v_fmac_f32_e32 v39, v157, v11
	v_add_f32_e32 v36, v36, v39
	buffer_load_dword v39, off, s[0:3], 0 offset:236
	buffer_load_dword v40, off, s[0:3], 0 offset:232
	;; [unrolled: 1-line block ×4, first 2 shown]
	s_waitcnt vmcnt(25)
	v_mul_f32_e32 v43, v158, v18
	s_waitcnt vmcnt(18)
	v_fmac_f32_e32 v43, v159, v25
	ds_read_b128 v[160:163], v112 offset:608
	ds_read_b128 v[164:167], v112 offset:624
	v_add_f32_e32 v36, v36, v43
	buffer_load_dword v43, off, s[0:3], 0 offset:248
	buffer_load_dword v44, off, s[0:3], 0 offset:252
	;; [unrolled: 1-line block ×8, first 2 shown]
	s_waitcnt lgkmcnt(1)
	v_mul_f32_e32 v45, v160, v20
	v_fmac_f32_e32 v45, v161, v19
	v_add_f32_e32 v36, v36, v45
	v_mul_f32_e32 v45, v162, v22
	buffer_load_dword v52, off, s[0:3], 0 offset:280
	buffer_load_dword v53, off, s[0:3], 0 offset:284
	v_fmac_f32_e32 v45, v163, v21
	v_add_f32_e32 v36, v36, v45
	s_waitcnt lgkmcnt(0)
	v_mul_f32_e32 v45, v164, v24
	v_fmac_f32_e32 v45, v165, v23
	v_add_f32_e32 v36, v36, v45
	s_waitcnt vmcnt(24)
	v_mul_f32_e32 v45, v166, v27
	ds_read_b128 v[168:171], v112 offset:640
	v_fmac_f32_e32 v45, v167, v26
	v_add_f32_e32 v36, v36, v45
	buffer_load_dword v45, off, s[0:3], 0 offset:288
	buffer_load_dword v54, off, s[0:3], 0 offset:292
	;; [unrolled: 1-line block ×6, first 2 shown]
	ds_read_b128 v[172:175], v112 offset:656
	s_waitcnt vmcnt(28) lgkmcnt(1)
	v_mul_f32_e32 v59, v168, v29
	v_fmac_f32_e32 v59, v169, v28
	v_add_f32_e32 v36, v36, v59
	buffer_load_dword v59, off, s[0:3], 0 offset:312
	buffer_load_dword v60, off, s[0:3], 0 offset:316
	;; [unrolled: 1-line block ×8, first 2 shown]
	s_waitcnt vmcnt(34)
	v_mul_f32_e32 v61, v170, v31
	v_fmac_f32_e32 v61, v171, v30
	v_add_f32_e32 v36, v36, v61
	s_waitcnt vmcnt(32) lgkmcnt(0)
	v_mul_f32_e32 v61, v172, v33
	v_fmac_f32_e32 v61, v173, v32
	v_add_f32_e32 v36, v36, v61
	buffer_load_dword v61, off, s[0:3], 0 offset:344
	buffer_load_dword v235, off, s[0:3], 0 offset:348
	ds_read_b128 v[176:179], v112 offset:672
	buffer_load_dword v236, off, s[0:3], 0 offset:352
	buffer_load_dword v237, off, s[0:3], 0 offset:356
	;; [unrolled: 1-line block ×6, first 2 shown]
	s_waitcnt vmcnt(38)
	v_mul_f32_e32 v180, v174, v35
	v_fmac_f32_e32 v180, v175, v34
	v_add_f32_e32 v36, v36, v180
	ds_read_b128 v[180:183], v112 offset:688
	buffer_load_dword v242, off, s[0:3], 0 offset:376
	buffer_load_dword v243, off, s[0:3], 0 offset:380
	;; [unrolled: 1-line block ×16, first 2 shown]
	s_waitcnt vmcnt(52) lgkmcnt(1)
	v_mul_f32_e32 v184, v176, v38
	v_fmac_f32_e32 v184, v177, v37
	v_add_f32_e32 v36, v36, v184
	s_waitcnt vmcnt(51)
	v_mul_f32_e32 v184, v178, v39
	s_waitcnt vmcnt(50)
	v_fmac_f32_e32 v184, v179, v40
	v_add_f32_e32 v36, v36, v184
	s_waitcnt vmcnt(48) lgkmcnt(0)
	v_mul_f32_e32 v184, v180, v42
	v_fmac_f32_e32 v184, v181, v41
	v_add_f32_e32 v36, v36, v184
	ds_read_b128 v[184:187], v112 offset:704
	s_waitcnt vmcnt(46)
	v_mul_f32_e32 v188, v182, v44
	v_fmac_f32_e32 v188, v183, v43
	v_add_f32_e32 v36, v36, v188
	ds_read_b128 v[188:191], v112 offset:720
	s_waitcnt vmcnt(44) lgkmcnt(1)
	v_mul_f32_e32 v192, v184, v47
	v_fmac_f32_e32 v192, v185, v46
	v_add_f32_e32 v36, v36, v192
	s_waitcnt vmcnt(43)
	v_mul_f32_e32 v192, v186, v48
	s_waitcnt vmcnt(40)
	v_fmac_f32_e32 v192, v187, v51
	v_add_f32_e32 v36, v36, v192
	s_waitcnt lgkmcnt(0)
	v_mul_f32_e32 v192, v188, v50
	v_fmac_f32_e32 v192, v189, v49
	v_add_f32_e32 v36, v36, v192
	ds_read_b128 v[192:195], v112 offset:736
	s_waitcnt vmcnt(38)
	v_mul_f32_e32 v196, v190, v53
	v_fmac_f32_e32 v196, v191, v52
	v_add_f32_e32 v36, v36, v196
	ds_read_b128 v[196:199], v112 offset:752
	s_waitcnt vmcnt(36) lgkmcnt(1)
	v_mul_f32_e32 v200, v192, v54
	v_fmac_f32_e32 v200, v193, v45
	v_add_f32_e32 v36, v36, v200
	s_waitcnt vmcnt(35)
	v_mul_f32_e32 v200, v194, v55
	s_waitcnt vmcnt(32)
	v_fmac_f32_e32 v200, v195, v58
	v_add_f32_e32 v36, v36, v200
	s_waitcnt lgkmcnt(0)
	;; [unrolled: 19-line block ×5, first 2 shown]
	v_mul_f32_e32 v224, v220, v248
	v_fmac_f32_e32 v224, v221, v247
	v_add_f32_e32 v36, v36, v224
	ds_read_b128 v[224:227], v112 offset:864
	s_waitcnt vmcnt(6)
	v_mul_f32_e32 v228, v222, v251
	v_fmac_f32_e32 v228, v223, v250
	v_add_f32_e32 v36, v36, v228
	ds_read_b64 v[228:229], v112 offset:880
	s_waitcnt vmcnt(4) lgkmcnt(1)
	v_mul_f32_e32 v65, v224, v253
	v_fmac_f32_e32 v65, v225, v252
	v_add_f32_e32 v36, v36, v65
	s_waitcnt vmcnt(3)
	v_mul_f32_e32 v65, v226, v254
	s_waitcnt vmcnt(0)
	v_fmac_f32_e32 v65, v227, v64
	v_add_f32_e32 v36, v36, v65
	s_waitcnt lgkmcnt(0)
	v_mul_f32_e32 v65, v228, v63
	v_fmac_f32_e32 v65, v229, v255
	v_add_f32_e32 v36, v36, v65
	v_mul_f32_e32 v65, v129, v121
	v_fma_f32 v3, v128, v3, -v65
	v_mul_f32_e32 v65, v131, v120
	v_add_f32_e32 v3, 0, v3
	v_fma_f32 v2, v130, v2, -v65
	v_add_f32_e32 v2, v3, v2
	v_mul_f32_e32 v3, v133, v117
	v_fma_f32 v1, v132, v1, -v3
	v_add_f32_e32 v1, v2, v1
	v_mul_f32_e32 v2, v135, v116
	;; [unrolled: 3-line block ×49, first 2 shown]
	v_fma_f32 v2, v228, v255, -v2
	v_add_f32_e32 v1, v1, v2
	v_sub_f32_e32 v1, v118, v1
	v_sub_f32_e32 v2, v119, v36
	buffer_store_dword v1, off, s[0:3], 0 offset:24
	buffer_store_dword v2, off, s[0:3], 0 offset:28
	s_and_saveexec_b64 s[4:5], vcc
	s_cbranch_execz .LBB54_339
; %bb.338:
	buffer_load_dword v113, off, s[0:3], 0 offset:16
	buffer_load_dword v114, off, s[0:3], 0 offset:20
	s_waitcnt vmcnt(0)
	ds_write_b64 v111, v[113:114]
	buffer_store_dword v112, off, s[0:3], 0 offset:16
	buffer_store_dword v112, off, s[0:3], 0 offset:20
.LBB54_339:
	s_or_b64 exec, exec, s[4:5]
	s_waitcnt lgkmcnt(0)
	; wave barrier
	buffer_load_dword v121, off, s[0:3], 0 offset:28
	buffer_load_dword v118, off, s[0:3], 0 offset:36
	;; [unrolled: 1-line block ×40, first 2 shown]
	ds_read2_b64 v[136:139], v112 offset0:59 offset1:60
	ds_read2_b64 v[140:143], v112 offset0:61 offset1:62
	ds_read2_b64 v[144:147], v112 offset0:63 offset1:64
	ds_read2_b64 v[148:151], v112 offset0:65 offset1:66
	ds_read2_b64 v[152:155], v112 offset0:67 offset1:68
	ds_read2_b64 v[156:159], v112 offset0:69 offset1:70
	buffer_load_dword v18, off, s[0:3], 0 offset:176
	buffer_load_dword v19, off, s[0:3], 0 offset:180
	;; [unrolled: 1-line block ×12, first 2 shown]
	ds_read2_b64 v[160:163], v112 offset0:71 offset1:72
	ds_read2_b64 v[164:167], v112 offset0:73 offset1:74
	v_cmp_lt_u32_e32 vcc, 1, v0
	s_waitcnt vmcnt(51) lgkmcnt(7)
	v_mul_f32_e32 v30, v136, v121
	s_waitcnt vmcnt(50)
	v_mul_f32_e32 v31, v138, v118
	s_waitcnt vmcnt(49) lgkmcnt(6)
	v_mul_f32_e32 v32, v140, v117
	s_waitcnt vmcnt(48)
	v_mul_f32_e32 v33, v142, v116
	;; [unrolled: 4-line block ×5, first 2 shown]
	s_waitcnt vmcnt(41) lgkmcnt(2)
	v_mul_f32_e32 v40, v156, v125
	s_waitcnt vmcnt(40)
	v_fmac_f32_e32 v32, v141, v132
	s_waitcnt vmcnt(39)
	v_fmac_f32_e32 v31, v139, v135
	;; [unrolled: 2-line block ×3, first 2 shown]
	v_add_f32_e32 v30, 0, v30
	v_add_f32_e32 v30, v30, v31
	;; [unrolled: 1-line block ×3, first 2 shown]
	s_waitcnt vmcnt(34)
	v_fmac_f32_e32 v33, v143, v2
	v_fmac_f32_e32 v34, v145, v134
	v_add_f32_e32 v30, v30, v33
	v_fmac_f32_e32 v35, v147, v131
	v_add_f32_e32 v30, v30, v34
	buffer_load_dword v32, off, s[0:3], 0 offset:224
	buffer_load_dword v33, off, s[0:3], 0 offset:228
	v_fmac_f32_e32 v36, v149, v128
	v_add_f32_e32 v30, v30, v35
	s_waitcnt vmcnt(32)
	v_fmac_f32_e32 v37, v151, v133
	v_add_f32_e32 v30, v30, v36
	buffer_load_dword v34, off, s[0:3], 0 offset:232
	buffer_load_dword v35, off, s[0:3], 0 offset:236
	v_add_f32_e32 v30, v30, v37
	ds_read2_b64 v[168:171], v112 offset0:75 offset1:76
	buffer_load_dword v36, off, s[0:3], 0 offset:240
	buffer_load_dword v37, off, s[0:3], 0 offset:244
	v_fmac_f32_e32 v38, v153, v130
	v_fmac_f32_e32 v39, v155, v127
	v_add_f32_e32 v30, v30, v38
	v_fmac_f32_e32 v40, v157, v126
	v_add_f32_e32 v30, v30, v39
	s_waitcnt vmcnt(35)
	v_mul_f32_e32 v31, v158, v129
	v_add_f32_e32 v30, v30, v40
	s_waitcnt vmcnt(31)
	v_fmac_f32_e32 v31, v159, v6
	v_add_f32_e32 v30, v30, v31
	s_waitcnt vmcnt(30) lgkmcnt(2)
	v_mul_f32_e32 v31, v160, v7
	v_fmac_f32_e32 v31, v161, v5
	v_add_f32_e32 v30, v30, v31
	s_waitcnt vmcnt(29)
	v_mul_f32_e32 v31, v162, v8
	v_fmac_f32_e32 v31, v163, v4
	v_add_f32_e32 v30, v30, v31
	s_waitcnt vmcnt(28) lgkmcnt(1)
	v_mul_f32_e32 v31, v164, v9
	v_fmac_f32_e32 v31, v165, v3
	v_add_f32_e32 v30, v30, v31
	s_waitcnt vmcnt(27)
	v_mul_f32_e32 v31, v166, v10
	s_waitcnt vmcnt(21)
	v_fmac_f32_e32 v31, v167, v16
	ds_read2_b64 v[172:175], v112 offset0:77 offset1:78
	v_add_f32_e32 v30, v30, v31
	s_waitcnt vmcnt(20) lgkmcnt(1)
	v_mul_f32_e32 v31, v168, v17
	v_fmac_f32_e32 v31, v169, v15
	v_add_f32_e32 v30, v30, v31
	v_mul_f32_e32 v31, v170, v12
	v_fmac_f32_e32 v31, v171, v11
	v_add_f32_e32 v30, v30, v31
	s_waitcnt lgkmcnt(0)
	v_mul_f32_e32 v31, v172, v14
	v_fmac_f32_e32 v31, v173, v13
	v_add_f32_e32 v30, v30, v31
	buffer_load_dword v31, off, s[0:3], 0 offset:248
	buffer_load_dword v38, off, s[0:3], 0 offset:252
	;; [unrolled: 1-line block ×6, first 2 shown]
	s_waitcnt vmcnt(22)
	v_mul_f32_e32 v43, v174, v19
	v_fmac_f32_e32 v43, v175, v18
	ds_read2_b64 v[176:179], v112 offset0:79 offset1:80
	v_add_f32_e32 v30, v30, v43
	buffer_load_dword v43, off, s[0:3], 0 offset:272
	buffer_load_dword v44, off, s[0:3], 0 offset:276
	ds_read2_b64 v[180:183], v112 offset0:81 offset1:82
	buffer_load_dword v46, off, s[0:3], 0 offset:280
	buffer_load_dword v47, off, s[0:3], 0 offset:284
	;; [unrolled: 1-line block ×14, first 2 shown]
	s_waitcnt vmcnt(36) lgkmcnt(1)
	v_mul_f32_e32 v45, v176, v21
	v_fmac_f32_e32 v45, v177, v20
	v_add_f32_e32 v30, v30, v45
	s_waitcnt vmcnt(34)
	v_mul_f32_e32 v45, v178, v23
	buffer_load_dword v60, off, s[0:3], 0 offset:336
	buffer_load_dword v61, off, s[0:3], 0 offset:340
	v_fmac_f32_e32 v45, v179, v22
	v_add_f32_e32 v30, v30, v45
	s_waitcnt vmcnt(34) lgkmcnt(0)
	v_mul_f32_e32 v45, v180, v25
	v_fmac_f32_e32 v45, v181, v24
	v_add_f32_e32 v30, v30, v45
	s_waitcnt vmcnt(32)
	v_mul_f32_e32 v45, v182, v27
	v_fmac_f32_e32 v45, v183, v26
	ds_read2_b64 v[184:187], v112 offset0:83 offset1:84
	v_add_f32_e32 v30, v30, v45
	buffer_load_dword v45, off, s[0:3], 0 offset:344
	buffer_load_dword v62, off, s[0:3], 0 offset:348
	;; [unrolled: 1-line block ×6, first 2 shown]
	ds_read2_b64 v[188:191], v112 offset0:85 offset1:86
	buffer_load_dword v240, off, s[0:3], 0 offset:368
	buffer_load_dword v241, off, s[0:3], 0 offset:372
	;; [unrolled: 1-line block ×10, first 2 shown]
	s_waitcnt vmcnt(46) lgkmcnt(1)
	v_mul_f32_e32 v192, v184, v29
	v_fmac_f32_e32 v192, v185, v28
	v_add_f32_e32 v30, v30, v192
	buffer_load_dword v250, off, s[0:3], 0 offset:408
	buffer_load_dword v251, off, s[0:3], 0 offset:412
	buffer_load_dword v252, off, s[0:3], 0 offset:420
	buffer_load_dword v253, off, s[0:3], 0 offset:424
	buffer_load_dword v254, off, s[0:3], 0 offset:428
	buffer_load_dword v255, off, s[0:3], 0 offset:416
	s_waitcnt vmcnt(50)
	v_mul_f32_e32 v192, v186, v33
	v_fmac_f32_e32 v192, v187, v32
	v_add_f32_e32 v30, v30, v192
	s_waitcnt vmcnt(48) lgkmcnt(0)
	v_mul_f32_e32 v192, v188, v35
	v_fmac_f32_e32 v192, v189, v34
	v_add_f32_e32 v30, v30, v192
	s_waitcnt vmcnt(46)
	v_mul_f32_e32 v196, v190, v37
	v_fmac_f32_e32 v196, v191, v36
	ds_read2_b64 v[192:195], v112 offset0:87 offset1:88
	v_add_f32_e32 v30, v30, v196
	ds_read2_b64 v[196:199], v112 offset0:89 offset1:90
	buffer_load_dword v67, off, s[0:3], 0 offset:432
	buffer_load_dword v68, off, s[0:3], 0 offset:436
	s_waitcnt vmcnt(46) lgkmcnt(1)
	v_mul_f32_e32 v200, v192, v38
	v_fmac_f32_e32 v200, v193, v31
	v_add_f32_e32 v30, v30, v200
	s_waitcnt vmcnt(45)
	v_mul_f32_e32 v200, v194, v39
	s_waitcnt vmcnt(42)
	v_fmac_f32_e32 v200, v195, v42
	v_add_f32_e32 v30, v30, v200
	s_waitcnt lgkmcnt(0)
	v_mul_f32_e32 v200, v196, v41
	v_fmac_f32_e32 v200, v197, v40
	v_add_f32_e32 v30, v30, v200
	ds_read2_b64 v[200:203], v112 offset0:91 offset1:92
	s_waitcnt vmcnt(40)
	v_mul_f32_e32 v204, v198, v44
	v_fmac_f32_e32 v204, v199, v43
	v_add_f32_e32 v30, v30, v204
	ds_read2_b64 v[204:207], v112 offset0:93 offset1:94
	s_waitcnt vmcnt(38) lgkmcnt(1)
	v_mul_f32_e32 v208, v200, v47
	v_fmac_f32_e32 v208, v201, v46
	v_add_f32_e32 v30, v30, v208
	s_waitcnt vmcnt(37)
	v_mul_f32_e32 v208, v202, v48
	s_waitcnt vmcnt(34)
	v_fmac_f32_e32 v208, v203, v51
	v_add_f32_e32 v30, v30, v208
	s_waitcnt lgkmcnt(0)
	v_mul_f32_e32 v208, v204, v50
	v_fmac_f32_e32 v208, v205, v49
	v_add_f32_e32 v30, v30, v208
	ds_read2_b64 v[208:211], v112 offset0:95 offset1:96
	s_waitcnt vmcnt(32)
	v_mul_f32_e32 v212, v206, v53
	v_fmac_f32_e32 v212, v207, v52
	v_add_f32_e32 v30, v30, v212
	ds_read2_b64 v[212:215], v112 offset0:97 offset1:98
	s_waitcnt vmcnt(30) lgkmcnt(1)
	v_mul_f32_e32 v216, v208, v55
	v_fmac_f32_e32 v216, v209, v54
	v_add_f32_e32 v30, v30, v216
	s_waitcnt vmcnt(29)
	v_mul_f32_e32 v216, v210, v56
	s_waitcnt vmcnt(26)
	v_fmac_f32_e32 v216, v211, v59
	v_add_f32_e32 v30, v30, v216
	s_waitcnt lgkmcnt(0)
	v_mul_f32_e32 v216, v212, v58
	v_fmac_f32_e32 v216, v213, v57
	v_add_f32_e32 v30, v30, v216
	ds_read2_b64 v[216:219], v112 offset0:99 offset1:100
	s_waitcnt vmcnt(24)
	v_mul_f32_e32 v220, v214, v61
	v_fmac_f32_e32 v220, v215, v60
	v_add_f32_e32 v30, v30, v220
	ds_read2_b64 v[220:223], v112 offset0:101 offset1:102
	s_waitcnt vmcnt(22) lgkmcnt(1)
	v_mul_f32_e32 v224, v216, v62
	v_fmac_f32_e32 v224, v217, v45
	v_add_f32_e32 v30, v30, v224
	s_waitcnt vmcnt(21)
	v_mul_f32_e32 v224, v218, v63
	s_waitcnt vmcnt(18)
	v_fmac_f32_e32 v224, v219, v66
	v_add_f32_e32 v30, v30, v224
	s_waitcnt lgkmcnt(0)
	v_mul_f32_e32 v224, v220, v65
	v_fmac_f32_e32 v224, v221, v64
	v_add_f32_e32 v30, v30, v224
	ds_read2_b64 v[224:227], v112 offset0:103 offset1:104
	s_waitcnt vmcnt(16)
	v_mul_f32_e32 v228, v222, v241
	v_fmac_f32_e32 v228, v223, v240
	v_add_f32_e32 v30, v30, v228
	ds_read2_b64 v[228:231], v112 offset0:105 offset1:106
	s_waitcnt vmcnt(14) lgkmcnt(1)
	v_mul_f32_e32 v232, v224, v243
	v_fmac_f32_e32 v232, v225, v242
	v_add_f32_e32 v30, v30, v232
	s_waitcnt vmcnt(13)
	v_mul_f32_e32 v232, v226, v244
	s_waitcnt vmcnt(10)
	v_fmac_f32_e32 v232, v227, v247
	v_add_f32_e32 v30, v30, v232
	s_waitcnt lgkmcnt(0)
	v_mul_f32_e32 v232, v228, v246
	v_fmac_f32_e32 v232, v229, v245
	v_add_f32_e32 v30, v30, v232
	ds_read2_b64 v[232:235], v112 offset0:107 offset1:108
	s_waitcnt vmcnt(8)
	v_mul_f32_e32 v236, v230, v249
	v_fmac_f32_e32 v236, v231, v248
	v_add_f32_e32 v30, v30, v236
	ds_read2_b64 v[236:239], v112 offset0:109 offset1:110
	s_waitcnt vmcnt(6) lgkmcnt(1)
	v_mul_f32_e32 v112, v232, v251
	v_fmac_f32_e32 v112, v233, v250
	v_add_f32_e32 v30, v30, v112
	s_waitcnt vmcnt(5)
	v_mul_f32_e32 v112, v234, v252
	s_waitcnt vmcnt(2)
	v_fmac_f32_e32 v112, v235, v255
	v_add_f32_e32 v30, v30, v112
	s_waitcnt lgkmcnt(0)
	v_mul_f32_e32 v112, v236, v254
	v_fmac_f32_e32 v112, v237, v253
	v_add_f32_e32 v30, v30, v112
	s_waitcnt vmcnt(0)
	v_mul_f32_e32 v112, v238, v68
	v_fmac_f32_e32 v112, v239, v67
	v_add_f32_e32 v30, v30, v112
	v_mul_f32_e32 v112, v137, v121
	v_fma_f32 v1, v136, v1, -v112
	v_mul_f32_e32 v112, v139, v118
	v_add_f32_e32 v1, 0, v1
	v_fma_f32 v112, v138, v135, -v112
	v_add_f32_e32 v1, v1, v112
	v_mul_f32_e32 v112, v141, v117
	v_fma_f32 v112, v140, v132, -v112
	v_add_f32_e32 v1, v1, v112
	v_mul_f32_e32 v112, v143, v116
	;; [unrolled: 3-line block ×50, first 2 shown]
	v_fma_f32 v2, v238, v67, -v2
	v_add_f32_e32 v1, v1, v2
	v_sub_f32_e32 v1, v119, v1
	v_sub_f32_e32 v2, v120, v30
	buffer_store_dword v1, off, s[0:3], 0 offset:16
	buffer_store_dword v2, off, s[0:3], 0 offset:20
	s_and_saveexec_b64 s[4:5], vcc
	s_cbranch_execz .LBB54_341
; %bb.340:
	buffer_load_dword v112, off, s[0:3], 0 offset:8
	buffer_load_dword v113, off, s[0:3], 0 offset:12
	v_mov_b32_e32 v1, 0
	buffer_store_dword v1, off, s[0:3], 0 offset:8
	buffer_store_dword v1, off, s[0:3], 0 offset:12
	s_waitcnt vmcnt(2)
	ds_write_b64 v111, v[112:113]
.LBB54_341:
	s_or_b64 exec, exec, s[4:5]
	s_waitcnt lgkmcnt(0)
	; wave barrier
	buffer_load_dword v121, off, s[0:3], 0 offset:20
	buffer_load_dword v120, off, s[0:3], 0 offset:28
	;; [unrolled: 1-line block ×51, first 2 shown]
	v_mov_b32_e32 v112, 0
	ds_read_b128 v[149:152], v112 offset:464
	ds_read_b128 v[153:156], v112 offset:480
	;; [unrolled: 1-line block ×8, first 2 shown]
	v_cmp_ne_u32_e32 vcc, 0, v0
	s_waitcnt vmcnt(50) lgkmcnt(7)
	v_mul_f32_e32 v16, v149, v121
	s_waitcnt vmcnt(49)
	v_mul_f32_e32 v17, v151, v120
	s_waitcnt vmcnt(48) lgkmcnt(6)
	v_mul_f32_e32 v18, v153, v119
	s_waitcnt vmcnt(47)
	v_mul_f32_e32 v19, v155, v118
	;; [unrolled: 4-line block ×5, first 2 shown]
	s_waitcnt vmcnt(40) lgkmcnt(2)
	v_mul_f32_e32 v26, v169, v125
	s_waitcnt vmcnt(39)
	v_fmac_f32_e32 v18, v154, v132
	s_waitcnt vmcnt(38)
	v_fmac_f32_e32 v17, v152, v135
	;; [unrolled: 2-line block ×3, first 2 shown]
	v_add_f32_e32 v16, 0, v16
	v_add_f32_e32 v16, v16, v17
	;; [unrolled: 1-line block ×3, first 2 shown]
	s_waitcnt vmcnt(33)
	v_fmac_f32_e32 v19, v156, v136
	v_fmac_f32_e32 v20, v158, v134
	v_add_f32_e32 v16, v16, v19
	v_fmac_f32_e32 v21, v160, v131
	v_add_f32_e32 v16, v16, v20
	;; [unrolled: 2-line block ×3, first 2 shown]
	s_waitcnt vmcnt(29)
	v_fmac_f32_e32 v23, v164, v133
	v_add_f32_e32 v16, v16, v22
	v_fmac_f32_e32 v24, v166, v130
	v_add_f32_e32 v16, v16, v23
	;; [unrolled: 2-line block ×4, first 2 shown]
	s_waitcnt vmcnt(28)
	v_mul_f32_e32 v17, v171, v129
	v_add_f32_e32 v16, v16, v26
	s_waitcnt vmcnt(24)
	v_fmac_f32_e32 v17, v172, v144
	s_waitcnt vmcnt(23) lgkmcnt(1)
	v_mul_f32_e32 v20, v173, v143
	v_add_f32_e32 v16, v16, v17
	buffer_load_dword v17, off, s[0:3], 0 offset:208
	buffer_load_dword v18, off, s[0:3], 0 offset:216
	;; [unrolled: 1-line block ×3, first 2 shown]
	v_fmac_f32_e32 v20, v174, v141
	s_waitcnt vmcnt(25)
	v_mul_f32_e32 v22, v175, v142
	v_add_f32_e32 v16, v16, v20
	v_fmac_f32_e32 v22, v176, v139
	buffer_load_dword v20, off, s[0:3], 0 offset:224
	buffer_load_dword v21, off, s[0:3], 0 offset:228
	v_add_f32_e32 v16, v16, v22
	s_waitcnt vmcnt(26) lgkmcnt(0)
	v_mul_f32_e32 v22, v177, v140
	v_fmac_f32_e32 v22, v178, v138
	v_add_f32_e32 v16, v16, v22
	ds_read_b128 v[181:184], v112 offset:592
	buffer_load_dword v22, off, s[0:3], 0 offset:232
	buffer_load_dword v23, off, s[0:3], 0 offset:236
	s_waitcnt vmcnt(27)
	v_mul_f32_e32 v24, v179, v145
	s_waitcnt vmcnt(20)
	v_fmac_f32_e32 v24, v180, v4
	v_add_f32_e32 v16, v16, v24
	s_waitcnt lgkmcnt(0)
	v_mul_f32_e32 v24, v181, v147
	v_fmac_f32_e32 v24, v182, v146
	ds_read_b128 v[185:188], v112 offset:608
	v_add_f32_e32 v16, v16, v24
	buffer_load_dword v24, off, s[0:3], 0 offset:240
	buffer_load_dword v25, off, s[0:3], 0 offset:244
	ds_read_b128 v[189:192], v112 offset:624
	buffer_load_dword v27, off, s[0:3], 0 offset:252
	buffer_load_dword v28, off, s[0:3], 0 offset:256
	;; [unrolled: 1-line block ×4, first 2 shown]
	v_mul_f32_e32 v26, v183, v1
	v_fmac_f32_e32 v26, v184, v148
	v_add_f32_e32 v16, v16, v26
	s_waitcnt lgkmcnt(1)
	v_mul_f32_e32 v26, v185, v3
	ds_read_b128 v[193:196], v112 offset:640
	buffer_load_dword v31, off, s[0:3], 0 offset:264
	buffer_load_dword v32, off, s[0:3], 0 offset:268
	v_fmac_f32_e32 v26, v186, v2
	v_add_f32_e32 v16, v16, v26
	s_waitcnt vmcnt(24)
	v_mul_f32_e32 v26, v187, v6
	v_fmac_f32_e32 v26, v188, v5
	v_add_f32_e32 v16, v16, v26
	s_waitcnt vmcnt(22) lgkmcnt(1)
	v_mul_f32_e32 v26, v189, v8
	v_fmac_f32_e32 v26, v190, v7
	v_add_f32_e32 v16, v16, v26
	buffer_load_dword v26, off, s[0:3], 0 offset:272
	buffer_load_dword v33, off, s[0:3], 0 offset:276
	;; [unrolled: 1-line block ×8, first 2 shown]
	s_waitcnt vmcnt(28)
	v_mul_f32_e32 v38, v191, v10
	v_fmac_f32_e32 v38, v192, v9
	v_add_f32_e32 v16, v16, v38
	s_waitcnt vmcnt(26) lgkmcnt(0)
	v_mul_f32_e32 v38, v193, v12
	v_fmac_f32_e32 v38, v194, v11
	v_add_f32_e32 v16, v16, v38
	buffer_load_dword v38, off, s[0:3], 0 offset:304
	buffer_load_dword v41, off, s[0:3], 0 offset:308
	buffer_load_dword v42, off, s[0:3], 0 offset:316
	buffer_load_dword v43, off, s[0:3], 0 offset:320
	buffer_load_dword v44, off, s[0:3], 0 offset:324
	buffer_load_dword v45, off, s[0:3], 0 offset:312
	s_waitcnt vmcnt(30)
	v_mul_f32_e32 v46, v195, v14
	v_fmac_f32_e32 v46, v196, v13
	ds_read_b128 v[197:200], v112 offset:656
	v_add_f32_e32 v16, v16, v46
	buffer_load_dword v46, off, s[0:3], 0 offset:328
	buffer_load_dword v47, off, s[0:3], 0 offset:332
	ds_read_b128 v[201:204], v112 offset:672
	buffer_load_dword v49, off, s[0:3], 0 offset:336
	buffer_load_dword v50, off, s[0:3], 0 offset:340
	;; [unrolled: 1-line block ×14, first 2 shown]
	s_waitcnt vmcnt(45) lgkmcnt(1)
	v_mul_f32_e32 v48, v197, v15
	buffer_load_dword v63, off, s[0:3], 0 offset:392
	buffer_load_dword v64, off, s[0:3], 0 offset:396
	ds_read_b128 v[205:208], v112 offset:688
	v_mul_f32_e32 v74, v152, v120
	v_fma_f32 v74, v151, v135, -v74
	v_mul_f32_e32 v1, v184, v1
	v_fma_f32 v1, v183, v148, -v1
	;; [unrolled: 2-line block ×3, first 2 shown]
	s_waitcnt vmcnt(46)
	v_fmac_f32_e32 v48, v198, v17
	v_add_f32_e32 v16, v16, v48
	s_waitcnt vmcnt(44)
	v_mul_f32_e32 v48, v199, v19
	v_fmac_f32_e32 v48, v200, v18
	v_add_f32_e32 v16, v16, v48
	s_waitcnt vmcnt(42) lgkmcnt(1)
	v_mul_f32_e32 v48, v201, v21
	v_fmac_f32_e32 v48, v202, v20
	v_add_f32_e32 v16, v16, v48
	s_waitcnt vmcnt(40)
	v_mul_f32_e32 v48, v203, v23
	v_fmac_f32_e32 v48, v204, v22
	v_add_f32_e32 v16, v16, v48
	buffer_load_dword v48, off, s[0:3], 0 offset:400
	buffer_load_dword v65, off, s[0:3], 0 offset:404
	;; [unrolled: 1-line block ×6, first 2 shown]
	ds_read_b128 v[209:212], v112 offset:704
	buffer_load_dword v69, off, s[0:3], 0 offset:428
	buffer_load_dword v70, off, s[0:3], 0 offset:432
	buffer_load_dword v71, off, s[0:3], 0 offset:436
	buffer_load_dword v72, off, s[0:3], 0 offset:424
	s_waitcnt vmcnt(48) lgkmcnt(1)
	v_mul_f32_e32 v213, v205, v25
	v_fmac_f32_e32 v213, v206, v24
	v_add_f32_e32 v16, v16, v213
	s_waitcnt vmcnt(47)
	v_mul_f32_e32 v213, v207, v27
	s_waitcnt vmcnt(44)
	v_fmac_f32_e32 v213, v208, v30
	v_add_f32_e32 v16, v16, v213
	s_waitcnt lgkmcnt(0)
	v_mul_f32_e32 v213, v209, v29
	v_fmac_f32_e32 v213, v210, v28
	v_add_f32_e32 v16, v16, v213
	ds_read_b128 v[213:216], v112 offset:720
	s_waitcnt vmcnt(42)
	v_mul_f32_e32 v217, v211, v32
	v_fmac_f32_e32 v217, v212, v31
	v_add_f32_e32 v16, v16, v217
	ds_read_b128 v[217:220], v112 offset:736
	s_waitcnt vmcnt(40) lgkmcnt(1)
	v_mul_f32_e32 v221, v213, v33
	v_fmac_f32_e32 v221, v214, v26
	v_add_f32_e32 v16, v16, v221
	s_waitcnt vmcnt(39)
	v_mul_f32_e32 v221, v215, v34
	s_waitcnt vmcnt(36)
	v_fmac_f32_e32 v221, v216, v37
	v_add_f32_e32 v16, v16, v221
	s_waitcnt lgkmcnt(0)
	v_mul_f32_e32 v221, v217, v36
	v_fmac_f32_e32 v221, v218, v35
	v_add_f32_e32 v16, v16, v221
	ds_read_b128 v[221:224], v112 offset:752
	s_waitcnt vmcnt(34)
	v_mul_f32_e32 v225, v219, v40
	v_fmac_f32_e32 v225, v220, v39
	v_add_f32_e32 v16, v16, v225
	ds_read_b128 v[225:228], v112 offset:768
	;; [unrolled: 19-line block ×5, first 2 shown]
	s_waitcnt vmcnt(8) lgkmcnt(1)
	v_mul_f32_e32 v253, v245, v65
	v_fmac_f32_e32 v253, v246, v48
	v_add_f32_e32 v16, v16, v253
	s_waitcnt vmcnt(7)
	v_mul_f32_e32 v253, v247, v66
	s_waitcnt vmcnt(4)
	v_fmac_f32_e32 v253, v248, v255
	v_add_f32_e32 v16, v16, v253
	ds_read_b64 v[253:254], v112 offset:880
	s_waitcnt lgkmcnt(1)
	v_mul_f32_e32 v73, v249, v68
	v_fmac_f32_e32 v73, v250, v67
	v_add_f32_e32 v16, v16, v73
	s_waitcnt vmcnt(3)
	v_mul_f32_e32 v73, v251, v69
	s_waitcnt vmcnt(0)
	v_fmac_f32_e32 v73, v252, v72
	v_add_f32_e32 v16, v16, v73
	s_waitcnt lgkmcnt(0)
	v_mul_f32_e32 v73, v253, v71
	v_fmac_f32_e32 v73, v254, v70
	v_add_f32_e32 v16, v16, v73
	v_mul_f32_e32 v73, v150, v121
	v_fma_f32 v73, v149, v137, -v73
	v_add_f32_e32 v73, 0, v73
	v_add_f32_e32 v73, v73, v74
	v_mul_f32_e32 v74, v154, v119
	v_fma_f32 v74, v153, v132, -v74
	v_add_f32_e32 v73, v73, v74
	v_mul_f32_e32 v74, v156, v118
	v_fma_f32 v74, v155, v136, -v74
	;; [unrolled: 3-line block ×15, first 2 shown]
	v_add_f32_e32 v4, v4, v73
	v_add_f32_e32 v1, v4, v1
	;; [unrolled: 1-line block ×3, first 2 shown]
	v_mul_f32_e32 v2, v188, v6
	v_fma_f32 v2, v187, v5, -v2
	v_add_f32_e32 v1, v1, v2
	v_mul_f32_e32 v2, v190, v8
	v_fma_f32 v2, v189, v7, -v2
	v_add_f32_e32 v1, v1, v2
	;; [unrolled: 3-line block ×34, first 2 shown]
	v_sub_f32_e32 v1, v113, v1
	v_sub_f32_e32 v2, v114, v16
	buffer_store_dword v1, off, s[0:3], 0 offset:8
	buffer_store_dword v2, off, s[0:3], 0 offset:12
	s_and_saveexec_b64 s[4:5], vcc
	s_cbranch_execz .LBB54_343
; %bb.342:
	buffer_load_dword v113, off, s[0:3], 0
	buffer_load_dword v114, off, s[0:3], 0 offset:4
	s_waitcnt vmcnt(0)
	ds_write_b64 v111, v[113:114]
	buffer_store_dword v112, off, s[0:3], 0
	buffer_store_dword v112, off, s[0:3], 0 offset:4
.LBB54_343:
	s_or_b64 exec, exec, s[4:5]
	s_waitcnt lgkmcnt(0)
	; wave barrier
	buffer_load_dword v119, off, s[0:3], 0 offset:12
	buffer_load_dword v118, off, s[0:3], 0 offset:20
	;; [unrolled: 1-line block ×38, first 2 shown]
	buffer_load_dword v113, off, s[0:3], 0
	buffer_load_dword v114, off, s[0:3], 0 offset:4
	ds_read2_b64 v[144:147], v112 offset0:57 offset1:58
	ds_read2_b64 v[148:151], v112 offset0:59 offset1:60
	;; [unrolled: 1-line block ×6, first 2 shown]
	buffer_load_dword v8, off, s[0:3], 0 offset:160
	buffer_load_dword v9, off, s[0:3], 0 offset:164
	;; [unrolled: 1-line block ×12, first 2 shown]
	ds_read2_b64 v[168:171], v112 offset0:69 offset1:70
	ds_read2_b64 v[172:175], v112 offset0:71 offset1:72
	s_and_b64 vcc, exec, s[22:23]
	s_waitcnt vmcnt(51) lgkmcnt(7)
	v_mul_f32_e32 v20, v144, v119
	s_waitcnt vmcnt(50)
	v_mul_f32_e32 v21, v146, v118
	s_waitcnt vmcnt(49) lgkmcnt(6)
	v_mul_f32_e32 v22, v148, v117
	s_waitcnt vmcnt(48)
	v_mul_f32_e32 v23, v150, v116
	;; [unrolled: 4-line block ×5, first 2 shown]
	s_waitcnt vmcnt(41) lgkmcnt(2)
	v_mul_f32_e32 v30, v164, v123
	s_waitcnt vmcnt(40)
	v_fmac_f32_e32 v22, v149, v130
	s_waitcnt vmcnt(39)
	v_fmac_f32_e32 v21, v147, v133
	;; [unrolled: 2-line block ×3, first 2 shown]
	v_add_f32_e32 v20, 0, v20
	v_add_f32_e32 v20, v20, v21
	;; [unrolled: 1-line block ×3, first 2 shown]
	s_waitcnt vmcnt(34)
	v_fmac_f32_e32 v23, v151, v134
	v_fmac_f32_e32 v24, v153, v132
	v_add_f32_e32 v20, v20, v23
	v_fmac_f32_e32 v25, v155, v129
	v_add_f32_e32 v20, v20, v24
	;; [unrolled: 2-line block ×3, first 2 shown]
	s_waitcnt vmcnt(30)
	v_fmac_f32_e32 v27, v159, v131
	v_add_f32_e32 v20, v20, v26
	v_fmac_f32_e32 v28, v161, v128
	v_add_f32_e32 v20, v20, v27
	;; [unrolled: 2-line block ×4, first 2 shown]
	s_waitcnt vmcnt(29)
	v_mul_f32_e32 v21, v166, v127
	v_add_f32_e32 v20, v20, v30
	s_waitcnt vmcnt(25)
	v_fmac_f32_e32 v21, v167, v142
	v_add_f32_e32 v20, v20, v21
	s_waitcnt vmcnt(24) lgkmcnt(1)
	v_mul_f32_e32 v21, v168, v141
	buffer_load_dword v22, off, s[0:3], 0 offset:212
	buffer_load_dword v23, off, s[0:3], 0 offset:208
	;; [unrolled: 1-line block ×4, first 2 shown]
	v_fmac_f32_e32 v21, v169, v139
	v_add_f32_e32 v20, v20, v21
	s_waitcnt vmcnt(27)
	v_mul_f32_e32 v21, v170, v140
	v_fmac_f32_e32 v21, v171, v137
	v_add_f32_e32 v20, v20, v21
	buffer_load_dword v21, off, s[0:3], 0 offset:224
	buffer_load_dword v26, off, s[0:3], 0 offset:228
	ds_read2_b64 v[176:179], v112 offset0:73 offset1:74
	ds_read2_b64 v[180:183], v112 offset0:75 offset1:76
	s_waitcnt vmcnt(28) lgkmcnt(2)
	v_mul_f32_e32 v27, v172, v138
	v_fmac_f32_e32 v27, v173, v136
	v_add_f32_e32 v20, v20, v27
	s_waitcnt vmcnt(27)
	v_mul_f32_e32 v27, v174, v143
	s_waitcnt vmcnt(21)
	v_fmac_f32_e32 v27, v175, v6
	v_add_f32_e32 v20, v20, v27
	s_waitcnt vmcnt(20) lgkmcnt(1)
	v_mul_f32_e32 v27, v176, v7
	v_fmac_f32_e32 v27, v177, v5
	v_add_f32_e32 v20, v20, v27
	v_mul_f32_e32 v27, v178, v2
	buffer_load_dword v28, off, s[0:3], 0 offset:236
	v_fmac_f32_e32 v27, v179, v1
	buffer_load_dword v29, off, s[0:3], 0 offset:232
	buffer_load_dword v30, off, s[0:3], 0 offset:240
	;; [unrolled: 1-line block ×3, first 2 shown]
	ds_read2_b64 v[184:187], v112 offset0:77 offset1:78
	v_add_f32_e32 v20, v20, v27
	s_waitcnt lgkmcnt(1)
	v_mul_f32_e32 v27, v180, v4
	v_fmac_f32_e32 v27, v181, v3
	v_add_f32_e32 v20, v20, v27
	s_waitcnt vmcnt(20)
	v_mul_f32_e32 v27, v182, v9
	v_fmac_f32_e32 v27, v183, v8
	buffer_load_dword v32, off, s[0:3], 0 offset:248
	buffer_load_dword v33, off, s[0:3], 0 offset:252
	v_add_f32_e32 v20, v20, v27
	s_waitcnt vmcnt(20) lgkmcnt(0)
	v_mul_f32_e32 v27, v184, v11
	v_fmac_f32_e32 v27, v185, v10
	ds_read2_b64 v[188:191], v112 offset0:79 offset1:80
	v_add_f32_e32 v20, v20, v27
	buffer_load_dword v27, off, s[0:3], 0 offset:256
	buffer_load_dword v34, off, s[0:3], 0 offset:260
	s_waitcnt vmcnt(20)
	v_mul_f32_e32 v35, v186, v13
	v_fmac_f32_e32 v35, v187, v12
	buffer_load_dword v36, off, s[0:3], 0 offset:264
	buffer_load_dword v37, off, s[0:3], 0 offset:268
	;; [unrolled: 1-line block ×6, first 2 shown]
	v_add_f32_e32 v20, v20, v35
	s_waitcnt vmcnt(24) lgkmcnt(0)
	v_mul_f32_e32 v35, v188, v15
	v_fmac_f32_e32 v35, v189, v14
	v_add_f32_e32 v20, v20, v35
	buffer_load_dword v35, off, s[0:3], 0 offset:288
	buffer_load_dword v42, off, s[0:3], 0 offset:292
	ds_read2_b64 v[192:195], v112 offset0:81 offset1:82
	buffer_load_dword v44, off, s[0:3], 0 offset:296
	buffer_load_dword v45, off, s[0:3], 0 offset:300
	;; [unrolled: 1-line block ×6, first 2 shown]
	ds_read2_b64 v[196:199], v112 offset0:83 offset1:84
	buffer_load_dword v50, off, s[0:3], 0 offset:320
	buffer_load_dword v51, off, s[0:3], 0 offset:324
	s_waitcnt vmcnt(32)
	v_mul_f32_e32 v43, v190, v17
	v_fmac_f32_e32 v43, v191, v16
	v_add_f32_e32 v20, v20, v43
	s_waitcnt vmcnt(30) lgkmcnt(1)
	v_mul_f32_e32 v43, v192, v19
	v_fmac_f32_e32 v43, v193, v18
	v_add_f32_e32 v20, v20, v43
	buffer_load_dword v43, off, s[0:3], 0 offset:328
	buffer_load_dword v52, off, s[0:3], 0 offset:332
	;; [unrolled: 1-line block ×8, first 2 shown]
	v_mul_f32_e32 v76, v147, v118
	v_fma_f32 v76, v146, v133, -v76
	v_mul_f32_e32 v0, v157, v0
	v_fma_f32 v0, v156, v126, -v0
	;; [unrolled: 2-line block ×3, first 2 shown]
	s_waitcnt vmcnt(37)
	v_mul_f32_e32 v57, v194, v22
	s_waitcnt vmcnt(36)
	v_fmac_f32_e32 v57, v195, v23
	v_add_f32_e32 v20, v20, v57
	s_waitcnt vmcnt(34) lgkmcnt(0)
	v_mul_f32_e32 v57, v196, v25
	v_fmac_f32_e32 v57, v197, v24
	v_add_f32_e32 v20, v20, v57
	buffer_load_dword v57, off, s[0:3], 0 offset:360
	buffer_load_dword v60, off, s[0:3], 0 offset:364
	;; [unrolled: 1-line block ×6, first 2 shown]
	ds_read2_b64 v[200:203], v112 offset0:85 offset1:86
	s_waitcnt vmcnt(38)
	v_mul_f32_e32 v65, v198, v26
	v_fmac_f32_e32 v65, v199, v21
	v_add_f32_e32 v20, v20, v65
	buffer_load_dword v65, off, s[0:3], 0 offset:384
	buffer_load_dword v66, off, s[0:3], 0 offset:388
	ds_read2_b64 v[204:207], v112 offset0:87 offset1:88
	buffer_load_dword v68, off, s[0:3], 0 offset:392
	buffer_load_dword v69, off, s[0:3], 0 offset:396
	;; [unrolled: 1-line block ×12, first 2 shown]
	ds_read2_b64 v[208:211], v112 offset0:89 offset1:90
	ds_read2_b64 v[212:215], v112 offset0:91 offset1:92
	;; [unrolled: 1-line block ×6, first 2 shown]
	s_waitcnt vmcnt(51) lgkmcnt(7)
	v_mul_f32_e32 v67, v200, v28
	s_waitcnt vmcnt(50)
	v_fmac_f32_e32 v67, v201, v29
	v_add_f32_e32 v20, v20, v67
	s_waitcnt vmcnt(48)
	v_mul_f32_e32 v67, v202, v31
	v_fmac_f32_e32 v67, v203, v30
	v_add_f32_e32 v20, v20, v67
	ds_read2_b64 v[232:235], v112 offset0:101 offset1:102
	ds_read2_b64 v[236:239], v112 offset0:103 offset1:104
	;; [unrolled: 1-line block ×4, first 2 shown]
	s_waitcnt vmcnt(46) lgkmcnt(10)
	v_mul_f32_e32 v67, v204, v33
	v_fmac_f32_e32 v67, v205, v32
	v_add_f32_e32 v20, v20, v67
	ds_read2_b64 v[248:251], v112 offset0:109 offset1:110
	s_waitcnt vmcnt(44)
	v_mul_f32_e32 v67, v206, v34
	v_fmac_f32_e32 v67, v207, v27
	v_add_f32_e32 v20, v20, v67
	s_waitcnt vmcnt(42) lgkmcnt(10)
	v_mul_f32_e32 v67, v208, v37
	v_fmac_f32_e32 v67, v209, v36
	v_add_f32_e32 v20, v20, v67
	s_waitcnt vmcnt(41)
	v_mul_f32_e32 v67, v210, v38
	s_waitcnt vmcnt(38)
	v_fmac_f32_e32 v67, v211, v41
	v_add_f32_e32 v20, v20, v67
	s_waitcnt lgkmcnt(9)
	v_mul_f32_e32 v67, v212, v40
	v_fmac_f32_e32 v67, v213, v39
	v_add_f32_e32 v20, v20, v67
	s_waitcnt vmcnt(36)
	v_mul_f32_e32 v67, v214, v42
	v_fmac_f32_e32 v67, v215, v35
	v_add_f32_e32 v20, v20, v67
	s_waitcnt vmcnt(34) lgkmcnt(8)
	v_mul_f32_e32 v67, v216, v45
	v_fmac_f32_e32 v67, v217, v44
	v_add_f32_e32 v20, v20, v67
	s_waitcnt vmcnt(33)
	v_mul_f32_e32 v67, v218, v46
	s_waitcnt vmcnt(30)
	v_fmac_f32_e32 v67, v219, v49
	v_add_f32_e32 v20, v20, v67
	s_waitcnt lgkmcnt(7)
	v_mul_f32_e32 v67, v220, v48
	v_fmac_f32_e32 v67, v221, v47
	v_add_f32_e32 v20, v20, v67
	s_waitcnt vmcnt(28)
	v_mul_f32_e32 v67, v222, v51
	v_fmac_f32_e32 v67, v223, v50
	v_add_f32_e32 v20, v20, v67
	s_waitcnt vmcnt(26) lgkmcnt(6)
	v_mul_f32_e32 v67, v224, v52
	v_fmac_f32_e32 v67, v225, v43
	v_add_f32_e32 v20, v20, v67
	s_waitcnt vmcnt(25)
	v_mul_f32_e32 v67, v226, v53
	s_waitcnt vmcnt(22)
	v_fmac_f32_e32 v67, v227, v56
	v_add_f32_e32 v20, v20, v67
	s_waitcnt lgkmcnt(5)
	v_mul_f32_e32 v67, v228, v55
	v_fmac_f32_e32 v67, v229, v54
	v_add_f32_e32 v20, v20, v67
	s_waitcnt vmcnt(20)
	v_mul_f32_e32 v67, v230, v59
	v_fmac_f32_e32 v67, v231, v58
	v_add_f32_e32 v20, v20, v67
	s_waitcnt vmcnt(18) lgkmcnt(4)
	v_mul_f32_e32 v67, v232, v60
	v_fmac_f32_e32 v67, v233, v57
	v_add_f32_e32 v20, v20, v67
	s_waitcnt vmcnt(17)
	v_mul_f32_e32 v67, v234, v61
	s_waitcnt vmcnt(14)
	v_fmac_f32_e32 v67, v235, v64
	v_add_f32_e32 v20, v20, v67
	s_waitcnt lgkmcnt(3)
	v_mul_f32_e32 v67, v236, v63
	v_fmac_f32_e32 v67, v237, v62
	v_add_f32_e32 v20, v20, v67
	s_waitcnt vmcnt(12)
	v_mul_f32_e32 v67, v238, v66
	v_fmac_f32_e32 v67, v239, v65
	v_add_f32_e32 v20, v20, v67
	s_waitcnt vmcnt(10) lgkmcnt(2)
	v_mul_f32_e32 v67, v240, v69
	v_fmac_f32_e32 v67, v241, v68
	v_add_f32_e32 v20, v20, v67
	s_waitcnt vmcnt(9)
	v_mul_f32_e32 v67, v242, v70
	s_waitcnt vmcnt(6)
	v_fmac_f32_e32 v67, v243, v73
	v_add_f32_e32 v20, v20, v67
	s_waitcnt lgkmcnt(1)
	v_mul_f32_e32 v67, v244, v72
	v_fmac_f32_e32 v67, v245, v71
	v_add_f32_e32 v20, v20, v67
	s_waitcnt vmcnt(4)
	v_mul_f32_e32 v67, v246, v252
	v_fmac_f32_e32 v67, v247, v74
	v_add_f32_e32 v20, v20, v67
	s_waitcnt vmcnt(3) lgkmcnt(0)
	v_mul_f32_e32 v67, v248, v253
	s_waitcnt vmcnt(0)
	v_fmac_f32_e32 v67, v249, v75
	v_add_f32_e32 v20, v20, v67
	v_mul_f32_e32 v67, v250, v255
	v_fmac_f32_e32 v67, v251, v254
	v_add_f32_e32 v20, v20, v67
	v_mul_f32_e32 v67, v145, v119
	v_fma_f32 v67, v144, v135, -v67
	v_add_f32_e32 v67, 0, v67
	v_add_f32_e32 v67, v67, v76
	v_mul_f32_e32 v76, v149, v117
	v_fma_f32 v76, v148, v130, -v76
	v_add_f32_e32 v67, v67, v76
	v_mul_f32_e32 v76, v151, v116
	v_fma_f32 v76, v150, v134, -v76
	;; [unrolled: 3-line block ×4, first 2 shown]
	v_add_f32_e32 v67, v67, v76
	v_add_f32_e32 v0, v67, v0
	v_mul_f32_e32 v67, v159, v120
	v_fma_f32 v67, v158, v131, -v67
	v_add_f32_e32 v0, v0, v67
	v_mul_f32_e32 v67, v161, v121
	v_fma_f32 v67, v160, v128, -v67
	;; [unrolled: 3-line block ×10, first 2 shown]
	v_add_f32_e32 v0, v0, v5
	v_add_f32_e32 v0, v0, v1
	v_mul_f32_e32 v1, v181, v4
	v_fma_f32 v1, v180, v3, -v1
	v_add_f32_e32 v0, v0, v1
	v_mul_f32_e32 v1, v183, v9
	v_fma_f32 v1, v182, v8, -v1
	;; [unrolled: 3-line block ×36, first 2 shown]
	v_add_f32_e32 v0, v0, v1
	v_sub_f32_e32 v0, v113, v0
	v_sub_f32_e32 v1, v114, v20
	buffer_store_dword v0, off, s[0:3], 0
	buffer_store_dword v1, off, s[0:3], 0 offset:4
	s_cbranch_vccz .LBB54_452
; %bb.344:
	v_mov_b32_e32 v0, 0
	global_load_dword v111, v0, s[20:21] offset:212
	s_waitcnt vmcnt(0)
	v_add_u32_e32 v111, -1, v111
	v_cmp_ne_u32_e32 vcc, 53, v111
	s_cbranch_vccz .LBB54_346
; %bb.345:
	v_lshlrev_b32_e32 v1, 3, v111
	buffer_load_dword v2, v1, s[0:3], 0 offen
	buffer_load_dword v3, v1, s[0:3], 0 offen offset:4
	buffer_load_dword v4, off, s[0:3], 0 offset:424
	buffer_load_dword v5, off, s[0:3], 0 offset:428
	s_waitcnt vmcnt(3)
	buffer_store_dword v2, off, s[0:3], 0 offset:424
	s_waitcnt vmcnt(3)
	buffer_store_dword v3, off, s[0:3], 0 offset:428
	s_waitcnt vmcnt(3)
	buffer_store_dword v4, v1, s[0:3], 0 offen
	s_waitcnt vmcnt(3)
	buffer_store_dword v5, v1, s[0:3], 0 offen offset:4
.LBB54_346:
	global_load_dword v0, v0, s[20:21] offset:208
	s_waitcnt vmcnt(0)
	v_add_u32_e32 v0, -1, v0
	v_cmp_eq_u32_e32 vcc, 52, v0
	s_cbranch_vccnz .LBB54_348
; %bb.347:
	v_lshlrev_b32_e32 v0, 3, v0
	buffer_load_dword v1, v0, s[0:3], 0 offen
	buffer_load_dword v2, v0, s[0:3], 0 offen offset:4
	buffer_load_dword v3, off, s[0:3], 0 offset:420
	buffer_load_dword v4, off, s[0:3], 0 offset:416
	s_waitcnt vmcnt(3)
	buffer_store_dword v1, off, s[0:3], 0 offset:416
	s_waitcnt vmcnt(3)
	buffer_store_dword v2, off, s[0:3], 0 offset:420
	s_waitcnt vmcnt(3)
	buffer_store_dword v3, v0, s[0:3], 0 offen offset:4
	s_waitcnt vmcnt(3)
	buffer_store_dword v4, v0, s[0:3], 0 offen
.LBB54_348:
	v_mov_b32_e32 v0, 0
	global_load_dword v1, v0, s[20:21] offset:204
	s_waitcnt vmcnt(0)
	v_add_u32_e32 v111, -1, v1
	v_cmp_eq_u32_e32 vcc, 51, v111
	s_cbranch_vccnz .LBB54_350
; %bb.349:
	v_lshlrev_b32_e32 v1, 3, v111
	buffer_load_dword v2, v1, s[0:3], 0 offen
	buffer_load_dword v3, v1, s[0:3], 0 offen offset:4
	buffer_load_dword v4, off, s[0:3], 0 offset:408
	buffer_load_dword v5, off, s[0:3], 0 offset:412
	s_waitcnt vmcnt(3)
	buffer_store_dword v2, off, s[0:3], 0 offset:408
	s_waitcnt vmcnt(3)
	buffer_store_dword v3, off, s[0:3], 0 offset:412
	s_waitcnt vmcnt(3)
	buffer_store_dword v4, v1, s[0:3], 0 offen
	s_waitcnt vmcnt(3)
	buffer_store_dword v5, v1, s[0:3], 0 offen offset:4
.LBB54_350:
	global_load_dword v0, v0, s[20:21] offset:200
	s_waitcnt vmcnt(0)
	v_add_u32_e32 v0, -1, v0
	v_cmp_eq_u32_e32 vcc, 50, v0
	s_cbranch_vccnz .LBB54_352
; %bb.351:
	v_lshlrev_b32_e32 v0, 3, v0
	buffer_load_dword v1, v0, s[0:3], 0 offen
	buffer_load_dword v2, v0, s[0:3], 0 offen offset:4
	buffer_load_dword v3, off, s[0:3], 0 offset:404
	buffer_load_dword v4, off, s[0:3], 0 offset:400
	s_waitcnt vmcnt(3)
	buffer_store_dword v1, off, s[0:3], 0 offset:400
	s_waitcnt vmcnt(3)
	buffer_store_dword v2, off, s[0:3], 0 offset:404
	s_waitcnt vmcnt(3)
	buffer_store_dword v3, v0, s[0:3], 0 offen offset:4
	s_waitcnt vmcnt(3)
	buffer_store_dword v4, v0, s[0:3], 0 offen
.LBB54_352:
	v_mov_b32_e32 v0, 0
	global_load_dword v1, v0, s[20:21] offset:196
	s_waitcnt vmcnt(0)
	v_add_u32_e32 v111, -1, v1
	v_cmp_eq_u32_e32 vcc, 49, v111
	s_cbranch_vccnz .LBB54_354
; %bb.353:
	v_lshlrev_b32_e32 v1, 3, v111
	buffer_load_dword v2, v1, s[0:3], 0 offen
	buffer_load_dword v3, v1, s[0:3], 0 offen offset:4
	buffer_load_dword v4, off, s[0:3], 0 offset:392
	buffer_load_dword v5, off, s[0:3], 0 offset:396
	s_waitcnt vmcnt(3)
	buffer_store_dword v2, off, s[0:3], 0 offset:392
	s_waitcnt vmcnt(3)
	buffer_store_dword v3, off, s[0:3], 0 offset:396
	s_waitcnt vmcnt(3)
	buffer_store_dword v4, v1, s[0:3], 0 offen
	s_waitcnt vmcnt(3)
	buffer_store_dword v5, v1, s[0:3], 0 offen offset:4
.LBB54_354:
	;; [unrolled: 41-line block ×26, first 2 shown]
	global_load_dword v0, v0, s[20:21]
	s_waitcnt vmcnt(0)
	v_add_u32_e32 v0, -1, v0
	v_cmp_eq_u32_e32 vcc, 0, v0
	s_cbranch_vccnz .LBB54_452
; %bb.451:
	v_lshlrev_b32_e32 v0, 3, v0
	buffer_load_dword v1, v0, s[0:3], 0 offen
	buffer_load_dword v2, v0, s[0:3], 0 offen offset:4
	buffer_load_dword v3, off, s[0:3], 0 offset:4
	buffer_load_dword v4, off, s[0:3], 0
	s_waitcnt vmcnt(3)
	buffer_store_dword v1, off, s[0:3], 0
	s_waitcnt vmcnt(3)
	buffer_store_dword v2, off, s[0:3], 0 offset:4
	s_waitcnt vmcnt(3)
	buffer_store_dword v3, v0, s[0:3], 0 offen offset:4
	s_waitcnt vmcnt(3)
	buffer_store_dword v4, v0, s[0:3], 0 offen
.LBB54_452:
	buffer_load_dword v111, off, s[0:3], 0
	buffer_load_dword v112, off, s[0:3], 0 offset:4
	buffer_load_dword v113, off, s[0:3], 0 offset:8
	;; [unrolled: 1-line block ×109, first 2 shown]
	s_waitcnt vmcnt(62)
	global_store_dwordx2 v[99:100], v[111:112], off
	global_store_dwordx2 v[103:104], v[113:114], off
	buffer_load_dword v0, off, s[0:3], 0 offset:440 ; 4-byte Folded Reload
	buffer_load_dword v1, off, s[0:3], 0 offset:444 ; 4-byte Folded Reload
	s_waitcnt vmcnt(0)
	global_store_dwordx2 v[0:1], v[115:116], off
	buffer_load_dword v0, off, s[0:3], 0 offset:448 ; 4-byte Folded Reload
	s_nop 0
	buffer_load_dword v1, off, s[0:3], 0 offset:452 ; 4-byte Folded Reload
	s_waitcnt vmcnt(0)
	global_store_dwordx2 v[0:1], v[117:118], off
	buffer_load_dword v0, off, s[0:3], 0 offset:456 ; 4-byte Folded Reload
	s_nop 0
	;; [unrolled: 5-line block ×37, first 2 shown]
	buffer_load_dword v1, off, s[0:3], 0 offset:740 ; 4-byte Folded Reload
	s_waitcnt vmcnt(0)
	global_store_dwordx2 v[0:1], v[189:190], off
	global_store_dwordx2 v[77:78], v[191:192], off
	global_store_dwordx2 v[79:80], v[193:194], off
	global_store_dwordx2 v[81:82], v[195:196], off
	global_store_dwordx2 v[83:84], v[197:198], off
	global_store_dwordx2 v[85:86], v[199:200], off
	global_store_dwordx2 v[87:88], v[201:202], off
	global_store_dwordx2 v[89:90], v[203:204], off
	global_store_dwordx2 v[91:92], v[205:206], off
	global_store_dwordx2 v[93:94], v[207:208], off
	global_store_dwordx2 v[95:96], v[209:210], off
	global_store_dwordx2 v[97:98], v[211:212], off
	global_store_dwordx2 v[101:102], v[213:214], off
	global_store_dwordx2 v[105:106], v[215:216], off
	global_store_dwordx2 v[107:108], v[217:218], off
	global_store_dwordx2 v[109:110], v[219:220], off
	s_endpgm
	.section	.rodata,"a",@progbits
	.p2align	6, 0x0
	.amdhsa_kernel _ZN9rocsolver6v33100L18getri_kernel_smallILi55E19rocblas_complex_numIfEPS3_EEvT1_iilPiilS6_bb
		.amdhsa_group_segment_fixed_size 888
		.amdhsa_private_segment_fixed_size 752
		.amdhsa_kernarg_size 60
		.amdhsa_user_sgpr_count 6
		.amdhsa_user_sgpr_private_segment_buffer 1
		.amdhsa_user_sgpr_dispatch_ptr 0
		.amdhsa_user_sgpr_queue_ptr 0
		.amdhsa_user_sgpr_kernarg_segment_ptr 1
		.amdhsa_user_sgpr_dispatch_id 0
		.amdhsa_user_sgpr_flat_scratch_init 0
		.amdhsa_user_sgpr_private_segment_size 0
		.amdhsa_uses_dynamic_stack 0
		.amdhsa_system_sgpr_private_segment_wavefront_offset 1
		.amdhsa_system_sgpr_workgroup_id_x 1
		.amdhsa_system_sgpr_workgroup_id_y 0
		.amdhsa_system_sgpr_workgroup_id_z 0
		.amdhsa_system_sgpr_workgroup_info 0
		.amdhsa_system_vgpr_workitem_id 0
		.amdhsa_next_free_vgpr 256
		.amdhsa_next_free_sgpr 24
		.amdhsa_reserve_vcc 1
		.amdhsa_reserve_flat_scratch 0
		.amdhsa_float_round_mode_32 0
		.amdhsa_float_round_mode_16_64 0
		.amdhsa_float_denorm_mode_32 3
		.amdhsa_float_denorm_mode_16_64 3
		.amdhsa_dx10_clamp 1
		.amdhsa_ieee_mode 1
		.amdhsa_fp16_overflow 0
		.amdhsa_exception_fp_ieee_invalid_op 0
		.amdhsa_exception_fp_denorm_src 0
		.amdhsa_exception_fp_ieee_div_zero 0
		.amdhsa_exception_fp_ieee_overflow 0
		.amdhsa_exception_fp_ieee_underflow 0
		.amdhsa_exception_fp_ieee_inexact 0
		.amdhsa_exception_int_div_zero 0
	.end_amdhsa_kernel
	.section	.text._ZN9rocsolver6v33100L18getri_kernel_smallILi55E19rocblas_complex_numIfEPS3_EEvT1_iilPiilS6_bb,"axG",@progbits,_ZN9rocsolver6v33100L18getri_kernel_smallILi55E19rocblas_complex_numIfEPS3_EEvT1_iilPiilS6_bb,comdat
.Lfunc_end54:
	.size	_ZN9rocsolver6v33100L18getri_kernel_smallILi55E19rocblas_complex_numIfEPS3_EEvT1_iilPiilS6_bb, .Lfunc_end54-_ZN9rocsolver6v33100L18getri_kernel_smallILi55E19rocblas_complex_numIfEPS3_EEvT1_iilPiilS6_bb
                                        ; -- End function
	.set _ZN9rocsolver6v33100L18getri_kernel_smallILi55E19rocblas_complex_numIfEPS3_EEvT1_iilPiilS6_bb.num_vgpr, 256
	.set _ZN9rocsolver6v33100L18getri_kernel_smallILi55E19rocblas_complex_numIfEPS3_EEvT1_iilPiilS6_bb.num_agpr, 0
	.set _ZN9rocsolver6v33100L18getri_kernel_smallILi55E19rocblas_complex_numIfEPS3_EEvT1_iilPiilS6_bb.numbered_sgpr, 24
	.set _ZN9rocsolver6v33100L18getri_kernel_smallILi55E19rocblas_complex_numIfEPS3_EEvT1_iilPiilS6_bb.num_named_barrier, 0
	.set _ZN9rocsolver6v33100L18getri_kernel_smallILi55E19rocblas_complex_numIfEPS3_EEvT1_iilPiilS6_bb.private_seg_size, 752
	.set _ZN9rocsolver6v33100L18getri_kernel_smallILi55E19rocblas_complex_numIfEPS3_EEvT1_iilPiilS6_bb.uses_vcc, 1
	.set _ZN9rocsolver6v33100L18getri_kernel_smallILi55E19rocblas_complex_numIfEPS3_EEvT1_iilPiilS6_bb.uses_flat_scratch, 0
	.set _ZN9rocsolver6v33100L18getri_kernel_smallILi55E19rocblas_complex_numIfEPS3_EEvT1_iilPiilS6_bb.has_dyn_sized_stack, 0
	.set _ZN9rocsolver6v33100L18getri_kernel_smallILi55E19rocblas_complex_numIfEPS3_EEvT1_iilPiilS6_bb.has_recursion, 0
	.set _ZN9rocsolver6v33100L18getri_kernel_smallILi55E19rocblas_complex_numIfEPS3_EEvT1_iilPiilS6_bb.has_indirect_call, 0
	.section	.AMDGPU.csdata,"",@progbits
; Kernel info:
; codeLenInByte = 110580
; TotalNumSgprs: 28
; NumVgprs: 256
; ScratchSize: 752
; MemoryBound: 0
; FloatMode: 240
; IeeeMode: 1
; LDSByteSize: 888 bytes/workgroup (compile time only)
; SGPRBlocks: 3
; VGPRBlocks: 63
; NumSGPRsForWavesPerEU: 28
; NumVGPRsForWavesPerEU: 256
; Occupancy: 1
; WaveLimiterHint : 1
; COMPUTE_PGM_RSRC2:SCRATCH_EN: 1
; COMPUTE_PGM_RSRC2:USER_SGPR: 6
; COMPUTE_PGM_RSRC2:TRAP_HANDLER: 0
; COMPUTE_PGM_RSRC2:TGID_X_EN: 1
; COMPUTE_PGM_RSRC2:TGID_Y_EN: 0
; COMPUTE_PGM_RSRC2:TGID_Z_EN: 0
; COMPUTE_PGM_RSRC2:TIDIG_COMP_CNT: 0
	.section	.text._ZN9rocsolver6v33100L18getri_kernel_smallILi56E19rocblas_complex_numIfEPS3_EEvT1_iilPiilS6_bb,"axG",@progbits,_ZN9rocsolver6v33100L18getri_kernel_smallILi56E19rocblas_complex_numIfEPS3_EEvT1_iilPiilS6_bb,comdat
	.globl	_ZN9rocsolver6v33100L18getri_kernel_smallILi56E19rocblas_complex_numIfEPS3_EEvT1_iilPiilS6_bb ; -- Begin function _ZN9rocsolver6v33100L18getri_kernel_smallILi56E19rocblas_complex_numIfEPS3_EEvT1_iilPiilS6_bb
	.p2align	8
	.type	_ZN9rocsolver6v33100L18getri_kernel_smallILi56E19rocblas_complex_numIfEPS3_EEvT1_iilPiilS6_bb,@function
_ZN9rocsolver6v33100L18getri_kernel_smallILi56E19rocblas_complex_numIfEPS3_EEvT1_iilPiilS6_bb: ; @_ZN9rocsolver6v33100L18getri_kernel_smallILi56E19rocblas_complex_numIfEPS3_EEvT1_iilPiilS6_bb
; %bb.0:
	s_add_u32 s0, s0, s7
	s_addc_u32 s1, s1, 0
	v_cmp_gt_u32_e32 vcc, 56, v0
	s_and_saveexec_b64 s[8:9], vcc
	s_cbranch_execz .LBB55_238
; %bb.1:
	s_load_dword s12, s[4:5], 0x38
	s_load_dwordx4 s[16:19], s[4:5], 0x10
	s_load_dwordx4 s[8:11], s[4:5], 0x28
                                        ; implicit-def: $sgpr20_sgpr21
	s_waitcnt lgkmcnt(0)
	s_bitcmp1_b32 s12, 8
	s_cselect_b64 s[22:23], -1, 0
	s_ashr_i32 s7, s6, 31
	s_bfe_u32 s12, s12, 0x10008
	s_cmp_eq_u32 s12, 0
	s_cbranch_scc1 .LBB55_3
; %bb.2:
	s_load_dword s12, s[4:5], 0x20
	s_mul_i32 s13, s8, s7
	s_mul_hi_u32 s14, s8, s6
	s_mul_i32 s9, s9, s6
	s_add_i32 s14, s14, s13
	s_add_i32 s9, s14, s9
	s_mul_i32 s8, s8, s6
	s_waitcnt lgkmcnt(0)
	s_ashr_i32 s13, s12, 31
	s_lshl_b64 s[8:9], s[8:9], 2
	s_add_u32 s14, s18, s8
	s_addc_u32 s15, s19, s9
	s_lshl_b64 s[8:9], s[12:13], 2
	s_add_u32 s20, s14, s8
	s_addc_u32 s21, s15, s9
.LBB55_3:
	s_load_dwordx4 s[12:15], s[4:5], 0x0
	s_load_dword s8, s[4:5], 0x38
	s_mul_i32 s9, s16, s7
	s_mul_hi_u32 s18, s16, s6
	s_add_i32 s9, s18, s9
	s_waitcnt lgkmcnt(0)
	s_ashr_i32 s5, s14, 31
	s_mov_b32 s4, s14
	s_mul_i32 s14, s17, s6
	s_add_i32 s17, s9, s14
	s_mul_i32 s16, s16, s6
	s_lshl_b64 s[16:17], s[16:17], 3
	s_add_u32 s9, s12, s16
	s_addc_u32 s12, s13, s17
	s_lshl_b64 s[4:5], s[4:5], 3
	s_add_u32 s4, s9, s4
	s_addc_u32 s5, s12, s5
	s_add_i32 s9, s15, s15
	v_add_u32_e32 v1, s9, v0
	v_ashrrev_i32_e32 v2, 31, v1
	v_lshlrev_b64 v[2:3], 3, v[1:2]
	v_add_u32_e32 v1, s15, v1
	v_mov_b32_e32 v4, s5
	v_add_co_u32_e32 v6, vcc, s4, v2
	v_ashrrev_i32_e32 v2, 31, v1
	v_addc_co_u32_e32 v7, vcc, v4, v3, vcc
	v_lshlrev_b64 v[2:3], 3, v[1:2]
	v_add_u32_e32 v1, s15, v1
	v_add_co_u32_e32 v8, vcc, s4, v2
	v_ashrrev_i32_e32 v2, 31, v1
	v_addc_co_u32_e32 v9, vcc, v4, v3, vcc
	v_lshlrev_b64 v[2:3], 3, v[1:2]
	v_add_u32_e32 v1, s15, v1
	v_add_co_u32_e32 v10, vcc, s4, v2
	v_ashrrev_i32_e32 v2, 31, v1
	v_addc_co_u32_e32 v11, vcc, v4, v3, vcc
	v_lshlrev_b64 v[2:3], 3, v[1:2]
	v_add_u32_e32 v1, s15, v1
	v_add_co_u32_e32 v12, vcc, s4, v2
	v_ashrrev_i32_e32 v2, 31, v1
	v_addc_co_u32_e32 v13, vcc, v4, v3, vcc
	v_lshlrev_b64 v[2:3], 3, v[1:2]
	v_add_u32_e32 v1, s15, v1
	v_add_co_u32_e32 v14, vcc, s4, v2
	v_ashrrev_i32_e32 v2, 31, v1
	v_addc_co_u32_e32 v15, vcc, v4, v3, vcc
	v_lshlrev_b64 v[2:3], 3, v[1:2]
	v_add_u32_e32 v1, s15, v1
	v_add_co_u32_e32 v16, vcc, s4, v2
	v_ashrrev_i32_e32 v2, 31, v1
	v_addc_co_u32_e32 v17, vcc, v4, v3, vcc
	v_lshlrev_b64 v[2:3], 3, v[1:2]
	v_add_u32_e32 v1, s15, v1
	v_add_co_u32_e32 v18, vcc, s4, v2
	v_ashrrev_i32_e32 v2, 31, v1
	v_addc_co_u32_e32 v19, vcc, v4, v3, vcc
	v_lshlrev_b64 v[2:3], 3, v[1:2]
	v_add_u32_e32 v1, s15, v1
	v_add_co_u32_e32 v20, vcc, s4, v2
	v_ashrrev_i32_e32 v2, 31, v1
	v_addc_co_u32_e32 v21, vcc, v4, v3, vcc
	v_lshlrev_b64 v[2:3], 3, v[1:2]
	v_add_u32_e32 v1, s15, v1
	v_add_co_u32_e32 v22, vcc, s4, v2
	v_ashrrev_i32_e32 v2, 31, v1
	v_addc_co_u32_e32 v23, vcc, v4, v3, vcc
	v_lshlrev_b64 v[2:3], 3, v[1:2]
	v_add_u32_e32 v1, s15, v1
	v_add_co_u32_e32 v24, vcc, s4, v2
	v_ashrrev_i32_e32 v2, 31, v1
	v_addc_co_u32_e32 v25, vcc, v4, v3, vcc
	v_lshlrev_b64 v[2:3], 3, v[1:2]
	v_add_u32_e32 v1, s15, v1
	v_add_co_u32_e32 v26, vcc, s4, v2
	v_ashrrev_i32_e32 v2, 31, v1
	v_addc_co_u32_e32 v27, vcc, v4, v3, vcc
	v_lshlrev_b64 v[2:3], 3, v[1:2]
	v_add_u32_e32 v1, s15, v1
	v_add_co_u32_e32 v28, vcc, s4, v2
	v_ashrrev_i32_e32 v2, 31, v1
	v_addc_co_u32_e32 v29, vcc, v4, v3, vcc
	v_lshlrev_b64 v[2:3], 3, v[1:2]
	v_add_u32_e32 v1, s15, v1
	v_add_co_u32_e32 v30, vcc, s4, v2
	v_ashrrev_i32_e32 v2, 31, v1
	v_addc_co_u32_e32 v31, vcc, v4, v3, vcc
	v_lshlrev_b64 v[2:3], 3, v[1:2]
	v_add_u32_e32 v1, s15, v1
	v_add_co_u32_e32 v32, vcc, s4, v2
	v_ashrrev_i32_e32 v2, 31, v1
	v_addc_co_u32_e32 v33, vcc, v4, v3, vcc
	v_lshlrev_b64 v[2:3], 3, v[1:2]
	v_add_u32_e32 v1, s15, v1
	v_add_co_u32_e32 v34, vcc, s4, v2
	v_ashrrev_i32_e32 v2, 31, v1
	v_addc_co_u32_e32 v35, vcc, v4, v3, vcc
	v_lshlrev_b64 v[2:3], 3, v[1:2]
	v_add_u32_e32 v1, s15, v1
	v_add_co_u32_e32 v36, vcc, s4, v2
	v_ashrrev_i32_e32 v2, 31, v1
	v_addc_co_u32_e32 v37, vcc, v4, v3, vcc
	v_lshlrev_b64 v[2:3], 3, v[1:2]
	v_add_u32_e32 v1, s15, v1
	v_add_co_u32_e32 v38, vcc, s4, v2
	v_ashrrev_i32_e32 v2, 31, v1
	v_addc_co_u32_e32 v39, vcc, v4, v3, vcc
	v_lshlrev_b64 v[2:3], 3, v[1:2]
	v_add_u32_e32 v1, s15, v1
	v_add_co_u32_e32 v40, vcc, s4, v2
	v_ashrrev_i32_e32 v2, 31, v1
	v_addc_co_u32_e32 v41, vcc, v4, v3, vcc
	v_lshlrev_b64 v[2:3], 3, v[1:2]
	v_add_u32_e32 v1, s15, v1
	v_add_co_u32_e32 v42, vcc, s4, v2
	v_ashrrev_i32_e32 v2, 31, v1
	v_addc_co_u32_e32 v43, vcc, v4, v3, vcc
	v_lshlrev_b64 v[2:3], 3, v[1:2]
	v_add_u32_e32 v1, s15, v1
	v_add_co_u32_e32 v44, vcc, s4, v2
	v_ashrrev_i32_e32 v2, 31, v1
	v_addc_co_u32_e32 v45, vcc, v4, v3, vcc
	v_lshlrev_b64 v[2:3], 3, v[1:2]
	v_add_u32_e32 v1, s15, v1
	v_add_co_u32_e32 v46, vcc, s4, v2
	v_ashrrev_i32_e32 v2, 31, v1
	v_addc_co_u32_e32 v47, vcc, v4, v3, vcc
	v_lshlrev_b64 v[2:3], 3, v[1:2]
	v_add_u32_e32 v1, s15, v1
	v_add_co_u32_e32 v48, vcc, s4, v2
	v_ashrrev_i32_e32 v2, 31, v1
	v_addc_co_u32_e32 v49, vcc, v4, v3, vcc
	v_lshlrev_b64 v[2:3], 3, v[1:2]
	v_add_u32_e32 v1, s15, v1
	v_add_co_u32_e32 v50, vcc, s4, v2
	v_ashrrev_i32_e32 v2, 31, v1
	v_addc_co_u32_e32 v51, vcc, v4, v3, vcc
	v_lshlrev_b64 v[2:3], 3, v[1:2]
	v_add_u32_e32 v1, s15, v1
	v_add_co_u32_e32 v52, vcc, s4, v2
	v_ashrrev_i32_e32 v2, 31, v1
	v_addc_co_u32_e32 v53, vcc, v4, v3, vcc
	v_lshlrev_b64 v[2:3], 3, v[1:2]
	v_add_u32_e32 v1, s15, v1
	v_add_co_u32_e32 v54, vcc, s4, v2
	v_ashrrev_i32_e32 v2, 31, v1
	v_addc_co_u32_e32 v55, vcc, v4, v3, vcc
	v_lshlrev_b64 v[2:3], 3, v[1:2]
	v_add_u32_e32 v1, s15, v1
	v_add_co_u32_e32 v56, vcc, s4, v2
	v_ashrrev_i32_e32 v2, 31, v1
	v_addc_co_u32_e32 v57, vcc, v4, v3, vcc
	v_lshlrev_b64 v[2:3], 3, v[1:2]
	v_add_u32_e32 v1, s15, v1
	v_add_co_u32_e32 v58, vcc, s4, v2
	v_ashrrev_i32_e32 v2, 31, v1
	v_addc_co_u32_e32 v59, vcc, v4, v3, vcc
	v_lshlrev_b64 v[2:3], 3, v[1:2]
	v_add_u32_e32 v1, s15, v1
	v_add_co_u32_e32 v60, vcc, s4, v2
	v_ashrrev_i32_e32 v2, 31, v1
	v_addc_co_u32_e32 v61, vcc, v4, v3, vcc
	v_lshlrev_b64 v[2:3], 3, v[1:2]
	v_add_u32_e32 v1, s15, v1
	v_add_co_u32_e32 v62, vcc, s4, v2
	v_ashrrev_i32_e32 v2, 31, v1
	v_addc_co_u32_e32 v63, vcc, v4, v3, vcc
	v_lshlrev_b64 v[2:3], 3, v[1:2]
	v_add_u32_e32 v1, s15, v1
	v_add_co_u32_e32 v64, vcc, s4, v2
	v_ashrrev_i32_e32 v2, 31, v1
	v_addc_co_u32_e32 v65, vcc, v4, v3, vcc
	v_lshlrev_b64 v[2:3], 3, v[1:2]
	v_add_u32_e32 v1, s15, v1
	v_add_co_u32_e32 v66, vcc, s4, v2
	v_ashrrev_i32_e32 v2, 31, v1
	v_addc_co_u32_e32 v67, vcc, v4, v3, vcc
	v_lshlrev_b64 v[2:3], 3, v[1:2]
	v_add_u32_e32 v1, s15, v1
	v_add_co_u32_e32 v68, vcc, s4, v2
	v_ashrrev_i32_e32 v2, 31, v1
	v_addc_co_u32_e32 v69, vcc, v4, v3, vcc
	v_lshlrev_b64 v[2:3], 3, v[1:2]
	v_add_u32_e32 v1, s15, v1
	v_add_co_u32_e32 v70, vcc, s4, v2
	v_ashrrev_i32_e32 v2, 31, v1
	v_addc_co_u32_e32 v71, vcc, v4, v3, vcc
	v_lshlrev_b64 v[2:3], 3, v[1:2]
	v_add_u32_e32 v1, s15, v1
	v_add_co_u32_e32 v72, vcc, s4, v2
	v_ashrrev_i32_e32 v2, 31, v1
	v_addc_co_u32_e32 v73, vcc, v4, v3, vcc
	v_lshlrev_b64 v[2:3], 3, v[1:2]
	v_add_u32_e32 v1, s15, v1
	v_add_co_u32_e32 v74, vcc, s4, v2
	v_ashrrev_i32_e32 v2, 31, v1
	v_addc_co_u32_e32 v75, vcc, v4, v3, vcc
	v_lshlrev_b64 v[2:3], 3, v[1:2]
	v_add_u32_e32 v1, s15, v1
	v_add_co_u32_e32 v76, vcc, s4, v2
	v_ashrrev_i32_e32 v2, 31, v1
	v_addc_co_u32_e32 v77, vcc, v4, v3, vcc
	v_lshlrev_b64 v[2:3], 3, v[1:2]
	v_add_u32_e32 v1, s15, v1
	v_add_co_u32_e32 v78, vcc, s4, v2
	v_ashrrev_i32_e32 v2, 31, v1
	v_addc_co_u32_e32 v79, vcc, v4, v3, vcc
	v_lshlrev_b64 v[2:3], 3, v[1:2]
	v_add_u32_e32 v1, s15, v1
	v_add_co_u32_e32 v80, vcc, s4, v2
	v_ashrrev_i32_e32 v2, 31, v1
	v_addc_co_u32_e32 v81, vcc, v4, v3, vcc
	v_lshlrev_b64 v[2:3], 3, v[1:2]
	v_add_u32_e32 v1, s15, v1
	v_add_co_u32_e32 v176, vcc, s4, v2
	v_ashrrev_i32_e32 v2, 31, v1
	v_addc_co_u32_e32 v177, vcc, v4, v3, vcc
	v_lshlrev_b64 v[2:3], 3, v[1:2]
	v_add_u32_e32 v1, s15, v1
	v_add_co_u32_e32 v178, vcc, s4, v2
	v_ashrrev_i32_e32 v2, 31, v1
	v_addc_co_u32_e32 v179, vcc, v4, v3, vcc
	v_lshlrev_b64 v[2:3], 3, v[1:2]
	v_add_u32_e32 v1, s15, v1
	v_add_co_u32_e32 v180, vcc, s4, v2
	v_ashrrev_i32_e32 v2, 31, v1
	v_addc_co_u32_e32 v181, vcc, v4, v3, vcc
	v_lshlrev_b64 v[2:3], 3, v[1:2]
	v_add_u32_e32 v1, s15, v1
	v_add_co_u32_e32 v83, vcc, s4, v2
	v_ashrrev_i32_e32 v2, 31, v1
	v_addc_co_u32_e32 v84, vcc, v4, v3, vcc
	v_lshlrev_b64 v[2:3], 3, v[1:2]
	v_add_u32_e32 v1, s15, v1
	v_add_co_u32_e32 v85, vcc, s4, v2
	v_ashrrev_i32_e32 v2, 31, v1
	v_addc_co_u32_e32 v86, vcc, v4, v3, vcc
	v_lshlrev_b64 v[2:3], 3, v[1:2]
	v_add_u32_e32 v1, s15, v1
	v_add_co_u32_e32 v87, vcc, s4, v2
	v_ashrrev_i32_e32 v2, 31, v1
	v_addc_co_u32_e32 v88, vcc, v4, v3, vcc
	v_lshlrev_b64 v[2:3], 3, v[1:2]
	v_add_u32_e32 v1, s15, v1
	v_add_co_u32_e32 v89, vcc, s4, v2
	v_ashrrev_i32_e32 v2, 31, v1
	v_addc_co_u32_e32 v90, vcc, v4, v3, vcc
	v_lshlrev_b64 v[2:3], 3, v[1:2]
	v_add_u32_e32 v1, s15, v1
	v_add_co_u32_e32 v91, vcc, s4, v2
	v_ashrrev_i32_e32 v2, 31, v1
	v_addc_co_u32_e32 v92, vcc, v4, v3, vcc
	v_lshlrev_b64 v[2:3], 3, v[1:2]
	v_lshlrev_b32_e32 v115, 3, v0
	v_add_co_u32_e32 v93, vcc, s4, v2
	v_addc_co_u32_e32 v94, vcc, v4, v3, vcc
	v_mov_b32_e32 v5, s5
	v_add_co_u32_e32 v101, vcc, s4, v115
	s_ashr_i32 s13, s15, 31
	s_mov_b32 s12, s15
	v_addc_co_u32_e32 v102, vcc, 0, v5, vcc
	s_lshl_b64 s[12:13], s[12:13], 3
	v_mov_b32_e32 v5, s13
	v_add_co_u32_e32 v105, vcc, s12, v101
	v_addc_co_u32_e32 v106, vcc, v102, v5, vcc
	global_load_dwordx2 v[113:114], v115, s[4:5]
	global_load_dwordx2 v[116:117], v[105:106], off
	s_nop 0
	buffer_store_dword v6, off, s[0:3], 0 offset:448 ; 4-byte Folded Spill
	s_nop 0
	buffer_store_dword v7, off, s[0:3], 0 offset:452 ; 4-byte Folded Spill
	v_add_u32_e32 v1, s15, v1
	v_ashrrev_i32_e32 v2, 31, v1
	v_lshlrev_b64 v[2:3], 3, v[1:2]
	v_add_u32_e32 v1, s15, v1
	v_add_co_u32_e32 v95, vcc, s4, v2
	v_addc_co_u32_e32 v96, vcc, v4, v3, vcc
	v_ashrrev_i32_e32 v2, 31, v1
	v_lshlrev_b64 v[97:98], 3, v[1:2]
	v_add_u32_e32 v1, s15, v1
	v_ashrrev_i32_e32 v2, 31, v1
	v_mov_b32_e32 v5, s5
	v_add_co_u32_e32 v97, vcc, s4, v97
	v_lshlrev_b64 v[99:100], 3, v[1:2]
	v_add_u32_e32 v1, s15, v1
	v_addc_co_u32_e32 v98, vcc, v5, v98, vcc
	v_ashrrev_i32_e32 v2, 31, v1
	v_add_co_u32_e32 v99, vcc, s4, v99
	v_lshlrev_b64 v[103:104], 3, v[1:2]
	v_add_u32_e32 v1, s15, v1
	v_addc_co_u32_e32 v100, vcc, v5, v100, vcc
	v_ashrrev_i32_e32 v2, 31, v1
	;; [unrolled: 5-line block ×4, first 2 shown]
	v_add_co_u32_e32 v109, vcc, s4, v109
	v_lshlrev_b64 v[1:2], 3, v[1:2]
	v_addc_co_u32_e32 v110, vcc, v5, v110, vcc
	v_add_co_u32_e32 v111, vcc, s4, v1
	v_addc_co_u32_e32 v112, vcc, v5, v2, vcc
	s_bitcmp0_b32 s8, 0
	s_mov_b64 s[8:9], -1
	global_load_dwordx2 v[118:119], v[6:7], off
	s_nop 0
	buffer_store_dword v8, off, s[0:3], 0 offset:456 ; 4-byte Folded Spill
	s_nop 0
	buffer_store_dword v9, off, s[0:3], 0 offset:460 ; 4-byte Folded Spill
	global_load_dwordx2 v[3:4], v[8:9], off
	s_nop 0
	buffer_store_dword v10, off, s[0:3], 0 offset:464 ; 4-byte Folded Spill
	s_nop 0
	buffer_store_dword v11, off, s[0:3], 0 offset:468 ; 4-byte Folded Spill
	;; [unrolled: 5-line block ×22, first 2 shown]
	global_load_dwordx2 v[1:2], v[50:51], off
	s_waitcnt vmcnt(62)
	buffer_store_dword v114, off, s[0:3], 0 offset:4
	buffer_store_dword v52, off, s[0:3], 0 offset:632 ; 4-byte Folded Spill
	s_nop 0
	buffer_store_dword v53, off, s[0:3], 0 offset:636 ; 4-byte Folded Spill
	global_load_dwordx2 v[160:161], v[52:53], off
	s_nop 0
	buffer_store_dword v113, off, s[0:3], 0
	buffer_store_dword v54, off, s[0:3], 0 offset:640 ; 4-byte Folded Spill
	s_nop 0
	buffer_store_dword v55, off, s[0:3], 0 offset:644 ; 4-byte Folded Spill
	global_load_dwordx2 v[113:114], v[54:55], off
	s_nop 0
	buffer_store_dword v117, off, s[0:3], 0 offset:12
	buffer_store_dword v56, off, s[0:3], 0 offset:648 ; 4-byte Folded Spill
	s_nop 0
	buffer_store_dword v57, off, s[0:3], 0 offset:652 ; 4-byte Folded Spill
	global_load_dwordx2 v[162:163], v[56:57], off
	s_nop 0
	buffer_store_dword v116, off, s[0:3], 0 offset:8
	;; [unrolled: 6-line block ×6, first 2 shown]
	buffer_store_dword v66, off, s[0:3], 0 offset:688 ; 4-byte Folded Spill
	s_nop 0
	buffer_store_dword v67, off, s[0:3], 0 offset:692 ; 4-byte Folded Spill
	global_load_dwordx2 v[3:4], v[66:67], off
	s_waitcnt vmcnt(62)
	buffer_store_dword v121, off, s[0:3], 0 offset:36
	buffer_store_dword v68, off, s[0:3], 0 offset:696 ; 4-byte Folded Spill
	s_nop 0
	buffer_store_dword v69, off, s[0:3], 0 offset:700 ; 4-byte Folded Spill
	global_load_dwordx2 v[168:169], v[68:69], off
	s_nop 0
	buffer_store_dword v120, off, s[0:3], 0 offset:32
	buffer_store_dword v70, off, s[0:3], 0 offset:704 ; 4-byte Folded Spill
	s_nop 0
	buffer_store_dword v71, off, s[0:3], 0 offset:708 ; 4-byte Folded Spill
	global_load_dwordx2 v[120:121], v[70:71], off
	s_nop 0
	;; [unrolled: 6-line block ×9, first 2 shown]
	buffer_store_dword v128, off, s[0:3], 0 offset:64
	buffer_store_dword v180, off, s[0:3], 0 offset:768 ; 4-byte Folded Spill
	s_nop 0
	buffer_store_dword v181, off, s[0:3], 0 offset:772 ; 4-byte Folded Spill
	global_load_dwordx2 v[178:179], v[83:84], off
	global_load_dwordx2 v[190:191], v[111:112], off
	;; [unrolled: 1-line block ×7, first 2 shown]
	s_nop 0
	buffer_store_dword v130, off, s[0:3], 0 offset:72
	buffer_store_dword v131, off, s[0:3], 0 offset:76
	global_load_dwordx2 v[130:131], v[85:86], off
	s_nop 0
	global_load_dwordx2 v[180:181], v[87:88], off
	s_nop 0
	buffer_store_dword v132, off, s[0:3], 0 offset:80
	buffer_store_dword v133, off, s[0:3], 0 offset:84
	global_load_dwordx2 v[132:133], v[89:90], off
	s_nop 0
	buffer_store_dword v134, off, s[0:3], 0 offset:88
	buffer_store_dword v135, off, s[0:3], 0 offset:92
	;; [unrolled: 4-line block ×5, first 2 shown]
	global_load_dwordx2 v[140:141], v[109:110], off
	s_waitcnt vmcnt(62)
	buffer_store_dword v142, off, s[0:3], 0 offset:120
	buffer_store_dword v143, off, s[0:3], 0 offset:124
	buffer_store_dword v144, off, s[0:3], 0 offset:128
	buffer_store_dword v145, off, s[0:3], 0 offset:132
	buffer_store_dword v146, off, s[0:3], 0 offset:136
	buffer_store_dword v147, off, s[0:3], 0 offset:140
	buffer_store_dword v148, off, s[0:3], 0 offset:144
	buffer_store_dword v149, off, s[0:3], 0 offset:148
	buffer_store_dword v151, off, s[0:3], 0 offset:156
	buffer_store_dword v150, off, s[0:3], 0 offset:152
	buffer_store_dword v153, off, s[0:3], 0 offset:164
	buffer_store_dword v152, off, s[0:3], 0 offset:160
	buffer_store_dword v154, off, s[0:3], 0 offset:168
	buffer_store_dword v155, off, s[0:3], 0 offset:172
	buffer_store_dword v156, off, s[0:3], 0 offset:176
	buffer_store_dword v157, off, s[0:3], 0 offset:180
	buffer_store_dword v158, off, s[0:3], 0 offset:184
	buffer_store_dword v159, off, s[0:3], 0 offset:188
	buffer_store_dword v1, off, s[0:3], 0 offset:192
	buffer_store_dword v2, off, s[0:3], 0 offset:196
	buffer_store_dword v161, off, s[0:3], 0 offset:204
	buffer_store_dword v160, off, s[0:3], 0 offset:200
	buffer_store_dword v114, off, s[0:3], 0 offset:212
	buffer_store_dword v113, off, s[0:3], 0 offset:208
	buffer_store_dword v162, off, s[0:3], 0 offset:216
	buffer_store_dword v163, off, s[0:3], 0 offset:220
	buffer_store_dword v116, off, s[0:3], 0 offset:224
	buffer_store_dword v117, off, s[0:3], 0 offset:228
	buffer_store_dword v164, off, s[0:3], 0 offset:232
	buffer_store_dword v165, off, s[0:3], 0 offset:236
	buffer_store_dword v118, off, s[0:3], 0 offset:240
	buffer_store_dword v119, off, s[0:3], 0 offset:244
	buffer_store_dword v167, off, s[0:3], 0 offset:252
	buffer_store_dword v166, off, s[0:3], 0 offset:248
	buffer_store_dword v4, off, s[0:3], 0 offset:260
	buffer_store_dword v3, off, s[0:3], 0 offset:256
	s_waitcnt vmcnt(62)
	buffer_store_dword v168, off, s[0:3], 0 offset:264
	buffer_store_dword v169, off, s[0:3], 0 offset:268
	;; [unrolled: 1-line block ×18, first 2 shown]
	s_waitcnt vmcnt(62)
	buffer_store_dword v128, off, s[0:3], 0 offset:336
	buffer_store_dword v129, off, s[0:3], 0 offset:340
	;; [unrolled: 1-line block ×16, first 2 shown]
	s_waitcnt vmcnt(62)
	buffer_store_dword v137, off, s[0:3], 0 offset:404
	buffer_store_dword v136, off, s[0:3], 0 offset:400
	;; [unrolled: 1-line block ×12, first 2 shown]
	s_cbranch_scc1 .LBB55_236
; %bb.4:
	v_cmp_eq_u32_e64 s[4:5], 0, v0
	s_and_saveexec_b64 s[8:9], s[4:5]
; %bb.5:
	v_mov_b32_e32 v1, 0
	ds_write_b32 v1, v1 offset:896
; %bb.6:
	s_or_b64 exec, exec, s[8:9]
	v_mov_b32_e32 v1, 0
	v_lshl_add_u32 v117, v0, 3, v1
	s_waitcnt lgkmcnt(0)
	; wave barrier
	buffer_load_dword v1, v117, s[0:3], 0 offen
	buffer_load_dword v2, v117, s[0:3], 0 offen offset:4
	s_waitcnt vmcnt(1)
	v_cmp_eq_f32_e32 vcc, 0, v1
	s_waitcnt vmcnt(0)
	v_cmp_eq_f32_e64 s[8:9], 0, v2
	s_and_b64 s[8:9], vcc, s[8:9]
	s_and_saveexec_b64 s[12:13], s[8:9]
	s_cbranch_execz .LBB55_10
; %bb.7:
	v_mov_b32_e32 v113, 0
	ds_read_b32 v1, v113 offset:896
	v_add_u32_e32 v114, 1, v0
	s_waitcnt lgkmcnt(0)
	v_readfirstlane_b32 s8, v1
	s_cmp_eq_u32 s8, 0
	s_cselect_b64 s[14:15], -1, 0
	v_cmp_gt_i32_e32 vcc, s8, v114
	s_or_b64 s[14:15], s[14:15], vcc
	s_and_b64 exec, exec, s[14:15]
	s_cbranch_execz .LBB55_10
; %bb.8:
	s_mov_b64 s[14:15], 0
	v_mov_b32_e32 v116, s8
.LBB55_9:                               ; =>This Inner Loop Header: Depth=1
	ds_cmpst_rtn_b32 v116, v113, v116, v114 offset:896
	s_waitcnt lgkmcnt(0)
	v_cmp_ne_u32_e32 vcc, 0, v116
	v_cmp_le_i32_e64 s[8:9], v116, v114
	s_and_b64 s[8:9], vcc, s[8:9]
	s_and_b64 s[8:9], exec, s[8:9]
	s_or_b64 s[14:15], s[8:9], s[14:15]
	s_andn2_b64 exec, exec, s[14:15]
	s_cbranch_execnz .LBB55_9
.LBB55_10:
	s_or_b64 exec, exec, s[12:13]
	v_mov_b32_e32 v114, 0
	; wave barrier
	ds_read_b32 v113, v114 offset:896
	s_and_saveexec_b64 s[8:9], s[4:5]
	s_cbranch_execz .LBB55_12
; %bb.11:
	s_lshl_b64 s[12:13], s[6:7], 2
	s_add_u32 s12, s10, s12
	s_addc_u32 s13, s11, s13
	s_waitcnt lgkmcnt(0)
	global_store_dword v114, v113, s[12:13]
.LBB55_12:
	s_or_b64 exec, exec, s[8:9]
	s_waitcnt lgkmcnt(0)
	v_cmp_ne_u32_e32 vcc, 0, v113
	s_mov_b64 s[8:9], 0
	s_cbranch_vccnz .LBB55_236
; %bb.13:
	buffer_load_dword v114, v117, s[0:3], 0 offen
	buffer_load_dword v116, v117, s[0:3], 0 offen offset:4
                                        ; implicit-def: $vgpr119
                                        ; implicit-def: $vgpr118
                                        ; implicit-def: $vgpr113
	s_waitcnt vmcnt(0)
	v_cmp_ngt_f32_e64 s[8:9], |v114|, |v116|
	s_and_saveexec_b64 s[12:13], s[8:9]
	s_xor_b64 s[8:9], exec, s[12:13]
	s_cbranch_execz .LBB55_15
; %bb.14:
	v_div_scale_f32 v1, s[12:13], v116, v116, v114
	v_div_scale_f32 v2, vcc, v114, v116, v114
	v_rcp_f32_e32 v3, v1
	v_fma_f32 v4, -v1, v3, 1.0
	v_fmac_f32_e32 v3, v4, v3
	v_mul_f32_e32 v4, v2, v3
	v_fma_f32 v5, -v1, v4, v2
	v_fmac_f32_e32 v4, v5, v3
	v_fma_f32 v1, -v1, v4, v2
	v_div_fmas_f32 v1, v1, v3, v4
	v_div_fixup_f32 v1, v1, v116, v114
	v_fmac_f32_e32 v116, v114, v1
	v_div_scale_f32 v2, s[12:13], v116, v116, 1.0
	v_div_scale_f32 v3, vcc, 1.0, v116, 1.0
                                        ; implicit-def: $vgpr114
	v_rcp_f32_e32 v4, v2
	v_fma_f32 v5, -v2, v4, 1.0
	v_fmac_f32_e32 v4, v5, v4
	v_mul_f32_e32 v5, v3, v4
	v_fma_f32 v6, -v2, v5, v3
	v_fmac_f32_e32 v5, v6, v4
	v_fma_f32 v2, -v2, v5, v3
	v_div_fmas_f32 v2, v2, v4, v5
	v_div_fixup_f32 v2, v2, v116, 1.0
	v_mul_f32_e32 v119, v1, v2
	v_xor_b32_e32 v118, 0x80000000, v2
	v_xor_b32_e32 v113, 0x80000000, v119
                                        ; implicit-def: $vgpr116
.LBB55_15:
	s_andn2_saveexec_b64 s[8:9], s[8:9]
	s_cbranch_execz .LBB55_17
; %bb.16:
	v_div_scale_f32 v1, s[12:13], v114, v114, v116
	v_div_scale_f32 v2, vcc, v116, v114, v116
	v_rcp_f32_e32 v3, v1
	v_fma_f32 v4, -v1, v3, 1.0
	v_fmac_f32_e32 v3, v4, v3
	v_mul_f32_e32 v4, v2, v3
	v_fma_f32 v5, -v1, v4, v2
	v_fmac_f32_e32 v4, v5, v3
	v_fma_f32 v1, -v1, v4, v2
	v_div_fmas_f32 v1, v1, v3, v4
	v_div_fixup_f32 v1, v1, v114, v116
	v_fmac_f32_e32 v114, v116, v1
	v_div_scale_f32 v2, s[12:13], v114, v114, 1.0
	v_div_scale_f32 v3, vcc, 1.0, v114, 1.0
	v_rcp_f32_e32 v4, v2
	v_fma_f32 v5, -v2, v4, 1.0
	v_fmac_f32_e32 v4, v5, v4
	v_mul_f32_e32 v5, v3, v4
	v_fma_f32 v6, -v2, v5, v3
	v_fmac_f32_e32 v5, v6, v4
	v_fma_f32 v2, -v2, v5, v3
	v_div_fmas_f32 v2, v2, v4, v5
	v_div_fixup_f32 v119, v2, v114, 1.0
	v_xor_b32_e32 v113, 0x80000000, v119
	v_mul_f32_e64 v118, v1, -v119
.LBB55_17:
	s_or_b64 exec, exec, s[8:9]
	buffer_store_dword v119, v117, s[0:3], 0 offen
	buffer_store_dword v118, v117, s[0:3], 0 offen offset:4
	buffer_load_dword v2, off, s[0:3], 0 offset:12
	buffer_load_dword v1, off, s[0:3], 0 offset:8
	v_xor_b32_e32 v114, 0x80000000, v118
	v_add_u32_e32 v116, 0x1c0, v115
	s_waitcnt vmcnt(0)
	ds_write2_b64 v115, v[113:114], v[1:2] offset1:56
	s_waitcnt lgkmcnt(0)
	; wave barrier
	s_and_saveexec_b64 s[8:9], s[4:5]
	s_cbranch_execz .LBB55_19
; %bb.18:
	buffer_load_dword v5, v117, s[0:3], 0 offen offset:4
	buffer_load_dword v6, v117, s[0:3], 0 offen
	ds_read_b64 v[1:2], v116
	v_mov_b32_e32 v3, 0
	ds_read_b64 v[3:4], v3 offset:8
	s_waitcnt vmcnt(1) lgkmcnt(1)
	v_mul_f32_e32 v113, v2, v5
	v_mul_f32_e32 v5, v1, v5
	s_waitcnt vmcnt(0)
	v_fmac_f32_e32 v5, v2, v6
	v_fma_f32 v1, v1, v6, -v113
	v_add_f32_e32 v2, 0, v5
	v_add_f32_e32 v1, 0, v1
	s_waitcnt lgkmcnt(0)
	v_mul_f32_e32 v5, v2, v4
	v_mul_f32_e32 v4, v1, v4
	v_fma_f32 v1, v1, v3, -v5
	v_fmac_f32_e32 v4, v2, v3
	buffer_store_dword v1, off, s[0:3], 0 offset:8
	buffer_store_dword v4, off, s[0:3], 0 offset:12
.LBB55_19:
	s_or_b64 exec, exec, s[8:9]
	; wave barrier
	buffer_load_dword v1, off, s[0:3], 0 offset:16
	buffer_load_dword v2, off, s[0:3], 0 offset:20
	v_cmp_gt_u32_e32 vcc, 2, v0
	s_waitcnt vmcnt(0)
	ds_write_b64 v116, v[1:2]
	s_waitcnt lgkmcnt(0)
	; wave barrier
	s_and_saveexec_b64 s[8:9], vcc
	s_cbranch_execz .LBB55_23
; %bb.20:
	buffer_load_dword v3, v117, s[0:3], 0 offen offset:4
	buffer_load_dword v4, v117, s[0:3], 0 offen
	ds_read_b64 v[1:2], v116
	s_waitcnt vmcnt(1) lgkmcnt(0)
	v_mul_f32_e32 v5, v2, v3
	v_mul_f32_e32 v3, v1, v3
	s_waitcnt vmcnt(0)
	v_fma_f32 v1, v1, v4, -v5
	v_fmac_f32_e32 v3, v2, v4
	v_add_f32_e32 v114, 0, v1
	v_add_f32_e32 v113, 0, v3
	s_and_saveexec_b64 s[12:13], s[4:5]
	s_cbranch_execz .LBB55_22
; %bb.21:
	buffer_load_dword v3, off, s[0:3], 0 offset:12
	buffer_load_dword v4, off, s[0:3], 0 offset:8
	v_mov_b32_e32 v1, 0
	ds_read_b64 v[1:2], v1 offset:456
	s_waitcnt vmcnt(1) lgkmcnt(0)
	v_mul_f32_e32 v5, v1, v3
	v_mul_f32_e32 v3, v2, v3
	s_waitcnt vmcnt(0)
	v_fmac_f32_e32 v5, v2, v4
	v_fma_f32 v1, v1, v4, -v3
	v_add_f32_e32 v113, v113, v5
	v_add_f32_e32 v114, v114, v1
.LBB55_22:
	s_or_b64 exec, exec, s[12:13]
	v_mov_b32_e32 v1, 0
	ds_read_b64 v[1:2], v1 offset:16
	s_waitcnt lgkmcnt(0)
	v_mul_f32_e32 v3, v113, v2
	v_mul_f32_e32 v2, v114, v2
	v_fma_f32 v3, v114, v1, -v3
	v_fmac_f32_e32 v2, v113, v1
	buffer_store_dword v3, off, s[0:3], 0 offset:16
	buffer_store_dword v2, off, s[0:3], 0 offset:20
.LBB55_23:
	s_or_b64 exec, exec, s[8:9]
	; wave barrier
	buffer_load_dword v1, off, s[0:3], 0 offset:24
	buffer_load_dword v2, off, s[0:3], 0 offset:28
	v_cmp_gt_u32_e32 vcc, 3, v0
	v_add_u32_e32 v113, -1, v0
	s_waitcnt vmcnt(0)
	ds_write_b64 v116, v[1:2]
	s_waitcnt lgkmcnt(0)
	; wave barrier
	s_and_saveexec_b64 s[4:5], vcc
	s_cbranch_execz .LBB55_27
; %bb.24:
	v_add_u32_e32 v117, -1, v0
	v_add_u32_e32 v118, 0x1c0, v115
	v_mov_b32_e32 v119, v115
	v_mov_b32_e32 v114, 0
	s_mov_b64 s[8:9], 0
	v_mov_b32_e32 v120, 0
.LBB55_25:                              ; =>This Inner Loop Header: Depth=1
	buffer_load_dword v3, v119, s[0:3], 0 offen offset:4
	buffer_load_dword v4, v119, s[0:3], 0 offen
	ds_read_b64 v[1:2], v118
	v_add_u32_e32 v117, 1, v117
	v_cmp_lt_u32_e32 vcc, 1, v117
	v_add_u32_e32 v118, 8, v118
	v_add_u32_e32 v119, 8, v119
	s_or_b64 s[8:9], vcc, s[8:9]
	s_waitcnt vmcnt(1) lgkmcnt(0)
	v_mul_f32_e32 v5, v2, v3
	v_mul_f32_e32 v3, v1, v3
	s_waitcnt vmcnt(0)
	v_fma_f32 v1, v1, v4, -v5
	v_fmac_f32_e32 v3, v2, v4
	v_add_f32_e32 v120, v120, v1
	v_add_f32_e32 v114, v114, v3
	s_andn2_b64 exec, exec, s[8:9]
	s_cbranch_execnz .LBB55_25
; %bb.26:
	s_or_b64 exec, exec, s[8:9]
	v_mov_b32_e32 v1, 0
	ds_read_b64 v[1:2], v1 offset:24
	s_waitcnt lgkmcnt(0)
	v_mul_f32_e32 v3, v114, v2
	v_mul_f32_e32 v2, v120, v2
	v_fma_f32 v3, v120, v1, -v3
	v_fmac_f32_e32 v2, v114, v1
	buffer_store_dword v3, off, s[0:3], 0 offset:24
	buffer_store_dword v2, off, s[0:3], 0 offset:28
.LBB55_27:
	s_or_b64 exec, exec, s[4:5]
	; wave barrier
	buffer_load_dword v1, off, s[0:3], 0 offset:32
	buffer_load_dword v2, off, s[0:3], 0 offset:36
	v_cmp_gt_u32_e32 vcc, 4, v0
	s_waitcnt vmcnt(0)
	ds_write_b64 v116, v[1:2]
	s_waitcnt lgkmcnt(0)
	; wave barrier
	s_and_saveexec_b64 s[4:5], vcc
	s_cbranch_execz .LBB55_31
; %bb.28:
	v_add_u32_e32 v117, -1, v0
	v_add_u32_e32 v118, 0x1c0, v115
	v_mov_b32_e32 v119, v115
	v_mov_b32_e32 v114, 0
	s_mov_b64 s[8:9], 0
	v_mov_b32_e32 v120, 0
.LBB55_29:                              ; =>This Inner Loop Header: Depth=1
	buffer_load_dword v3, v119, s[0:3], 0 offen offset:4
	buffer_load_dword v4, v119, s[0:3], 0 offen
	ds_read_b64 v[1:2], v118
	v_add_u32_e32 v117, 1, v117
	v_cmp_lt_u32_e32 vcc, 2, v117
	v_add_u32_e32 v118, 8, v118
	v_add_u32_e32 v119, 8, v119
	s_or_b64 s[8:9], vcc, s[8:9]
	s_waitcnt vmcnt(1) lgkmcnt(0)
	v_mul_f32_e32 v5, v2, v3
	v_mul_f32_e32 v3, v1, v3
	s_waitcnt vmcnt(0)
	v_fma_f32 v1, v1, v4, -v5
	v_fmac_f32_e32 v3, v2, v4
	v_add_f32_e32 v120, v120, v1
	v_add_f32_e32 v114, v114, v3
	s_andn2_b64 exec, exec, s[8:9]
	s_cbranch_execnz .LBB55_29
; %bb.30:
	s_or_b64 exec, exec, s[8:9]
	v_mov_b32_e32 v1, 0
	ds_read_b64 v[1:2], v1 offset:32
	s_waitcnt lgkmcnt(0)
	v_mul_f32_e32 v3, v114, v2
	v_mul_f32_e32 v2, v120, v2
	v_fma_f32 v3, v120, v1, -v3
	v_fmac_f32_e32 v2, v114, v1
	buffer_store_dword v3, off, s[0:3], 0 offset:32
	buffer_store_dword v2, off, s[0:3], 0 offset:36
.LBB55_31:
	s_or_b64 exec, exec, s[4:5]
	; wave barrier
	buffer_load_dword v1, off, s[0:3], 0 offset:40
	buffer_load_dword v2, off, s[0:3], 0 offset:44
	v_cmp_gt_u32_e32 vcc, 5, v0
	s_waitcnt vmcnt(0)
	ds_write_b64 v116, v[1:2]
	s_waitcnt lgkmcnt(0)
	; wave barrier
	s_and_saveexec_b64 s[4:5], vcc
	s_cbranch_execz .LBB55_35
; %bb.32:
	v_add_u32_e32 v117, -1, v0
	v_add_u32_e32 v118, 0x1c0, v115
	v_mov_b32_e32 v119, v115
	v_mov_b32_e32 v114, 0
	s_mov_b64 s[8:9], 0
	v_mov_b32_e32 v120, 0
.LBB55_33:                              ; =>This Inner Loop Header: Depth=1
	buffer_load_dword v3, v119, s[0:3], 0 offen offset:4
	buffer_load_dword v4, v119, s[0:3], 0 offen
	ds_read_b64 v[1:2], v118
	v_add_u32_e32 v117, 1, v117
	v_cmp_lt_u32_e32 vcc, 3, v117
	v_add_u32_e32 v118, 8, v118
	v_add_u32_e32 v119, 8, v119
	s_or_b64 s[8:9], vcc, s[8:9]
	s_waitcnt vmcnt(1) lgkmcnt(0)
	v_mul_f32_e32 v5, v2, v3
	v_mul_f32_e32 v3, v1, v3
	s_waitcnt vmcnt(0)
	v_fma_f32 v1, v1, v4, -v5
	v_fmac_f32_e32 v3, v2, v4
	v_add_f32_e32 v120, v120, v1
	v_add_f32_e32 v114, v114, v3
	s_andn2_b64 exec, exec, s[8:9]
	s_cbranch_execnz .LBB55_33
; %bb.34:
	s_or_b64 exec, exec, s[8:9]
	v_mov_b32_e32 v1, 0
	ds_read_b64 v[1:2], v1 offset:40
	s_waitcnt lgkmcnt(0)
	v_mul_f32_e32 v3, v114, v2
	v_mul_f32_e32 v2, v120, v2
	v_fma_f32 v3, v120, v1, -v3
	v_fmac_f32_e32 v2, v114, v1
	buffer_store_dword v3, off, s[0:3], 0 offset:40
	buffer_store_dword v2, off, s[0:3], 0 offset:44
.LBB55_35:
	s_or_b64 exec, exec, s[4:5]
	; wave barrier
	buffer_load_dword v1, off, s[0:3], 0 offset:48
	buffer_load_dword v2, off, s[0:3], 0 offset:52
	v_cmp_gt_u32_e32 vcc, 6, v0
	s_waitcnt vmcnt(0)
	ds_write_b64 v116, v[1:2]
	s_waitcnt lgkmcnt(0)
	; wave barrier
	s_and_saveexec_b64 s[4:5], vcc
	s_cbranch_execz .LBB55_39
; %bb.36:
	v_add_u32_e32 v117, -1, v0
	v_add_u32_e32 v118, 0x1c0, v115
	v_mov_b32_e32 v119, v115
	v_mov_b32_e32 v114, 0
	s_mov_b64 s[8:9], 0
	v_mov_b32_e32 v120, 0
.LBB55_37:                              ; =>This Inner Loop Header: Depth=1
	buffer_load_dword v3, v119, s[0:3], 0 offen offset:4
	buffer_load_dword v4, v119, s[0:3], 0 offen
	ds_read_b64 v[1:2], v118
	v_add_u32_e32 v117, 1, v117
	v_cmp_lt_u32_e32 vcc, 4, v117
	v_add_u32_e32 v118, 8, v118
	v_add_u32_e32 v119, 8, v119
	s_or_b64 s[8:9], vcc, s[8:9]
	s_waitcnt vmcnt(1) lgkmcnt(0)
	v_mul_f32_e32 v5, v2, v3
	v_mul_f32_e32 v3, v1, v3
	s_waitcnt vmcnt(0)
	v_fma_f32 v1, v1, v4, -v5
	v_fmac_f32_e32 v3, v2, v4
	v_add_f32_e32 v120, v120, v1
	v_add_f32_e32 v114, v114, v3
	s_andn2_b64 exec, exec, s[8:9]
	s_cbranch_execnz .LBB55_37
; %bb.38:
	s_or_b64 exec, exec, s[8:9]
	v_mov_b32_e32 v1, 0
	ds_read_b64 v[1:2], v1 offset:48
	s_waitcnt lgkmcnt(0)
	v_mul_f32_e32 v3, v114, v2
	v_mul_f32_e32 v2, v120, v2
	v_fma_f32 v3, v120, v1, -v3
	v_fmac_f32_e32 v2, v114, v1
	buffer_store_dword v3, off, s[0:3], 0 offset:48
	buffer_store_dword v2, off, s[0:3], 0 offset:52
.LBB55_39:
	s_or_b64 exec, exec, s[4:5]
	; wave barrier
	buffer_load_dword v1, off, s[0:3], 0 offset:56
	buffer_load_dword v2, off, s[0:3], 0 offset:60
	v_cmp_gt_u32_e32 vcc, 7, v0
	s_waitcnt vmcnt(0)
	ds_write_b64 v116, v[1:2]
	s_waitcnt lgkmcnt(0)
	; wave barrier
	s_and_saveexec_b64 s[4:5], vcc
	s_cbranch_execz .LBB55_43
; %bb.40:
	v_add_u32_e32 v117, -1, v0
	v_add_u32_e32 v118, 0x1c0, v115
	v_mov_b32_e32 v119, v115
	v_mov_b32_e32 v114, 0
	s_mov_b64 s[8:9], 0
	v_mov_b32_e32 v120, 0
.LBB55_41:                              ; =>This Inner Loop Header: Depth=1
	buffer_load_dword v3, v119, s[0:3], 0 offen offset:4
	buffer_load_dword v4, v119, s[0:3], 0 offen
	ds_read_b64 v[1:2], v118
	v_add_u32_e32 v117, 1, v117
	v_cmp_lt_u32_e32 vcc, 5, v117
	v_add_u32_e32 v118, 8, v118
	v_add_u32_e32 v119, 8, v119
	s_or_b64 s[8:9], vcc, s[8:9]
	s_waitcnt vmcnt(1) lgkmcnt(0)
	v_mul_f32_e32 v5, v2, v3
	v_mul_f32_e32 v3, v1, v3
	s_waitcnt vmcnt(0)
	v_fma_f32 v1, v1, v4, -v5
	v_fmac_f32_e32 v3, v2, v4
	v_add_f32_e32 v120, v120, v1
	v_add_f32_e32 v114, v114, v3
	s_andn2_b64 exec, exec, s[8:9]
	s_cbranch_execnz .LBB55_41
; %bb.42:
	s_or_b64 exec, exec, s[8:9]
	v_mov_b32_e32 v1, 0
	ds_read_b64 v[1:2], v1 offset:56
	s_waitcnt lgkmcnt(0)
	v_mul_f32_e32 v3, v114, v2
	v_mul_f32_e32 v2, v120, v2
	v_fma_f32 v3, v120, v1, -v3
	v_fmac_f32_e32 v2, v114, v1
	buffer_store_dword v3, off, s[0:3], 0 offset:56
	buffer_store_dword v2, off, s[0:3], 0 offset:60
.LBB55_43:
	s_or_b64 exec, exec, s[4:5]
	; wave barrier
	buffer_load_dword v1, off, s[0:3], 0 offset:64
	buffer_load_dword v2, off, s[0:3], 0 offset:68
	v_cmp_gt_u32_e32 vcc, 8, v0
	s_waitcnt vmcnt(0)
	ds_write_b64 v116, v[1:2]
	s_waitcnt lgkmcnt(0)
	; wave barrier
	s_and_saveexec_b64 s[4:5], vcc
	s_cbranch_execz .LBB55_47
; %bb.44:
	v_add_u32_e32 v117, -1, v0
	v_add_u32_e32 v118, 0x1c0, v115
	v_mov_b32_e32 v119, v115
	v_mov_b32_e32 v114, 0
	s_mov_b64 s[8:9], 0
	v_mov_b32_e32 v120, 0
.LBB55_45:                              ; =>This Inner Loop Header: Depth=1
	buffer_load_dword v3, v119, s[0:3], 0 offen offset:4
	buffer_load_dword v4, v119, s[0:3], 0 offen
	ds_read_b64 v[1:2], v118
	v_add_u32_e32 v117, 1, v117
	v_cmp_lt_u32_e32 vcc, 6, v117
	v_add_u32_e32 v118, 8, v118
	v_add_u32_e32 v119, 8, v119
	s_or_b64 s[8:9], vcc, s[8:9]
	s_waitcnt vmcnt(1) lgkmcnt(0)
	v_mul_f32_e32 v5, v2, v3
	v_mul_f32_e32 v3, v1, v3
	s_waitcnt vmcnt(0)
	v_fma_f32 v1, v1, v4, -v5
	v_fmac_f32_e32 v3, v2, v4
	v_add_f32_e32 v120, v120, v1
	v_add_f32_e32 v114, v114, v3
	s_andn2_b64 exec, exec, s[8:9]
	s_cbranch_execnz .LBB55_45
; %bb.46:
	s_or_b64 exec, exec, s[8:9]
	v_mov_b32_e32 v1, 0
	ds_read_b64 v[1:2], v1 offset:64
	s_waitcnt lgkmcnt(0)
	v_mul_f32_e32 v3, v114, v2
	v_mul_f32_e32 v2, v120, v2
	v_fma_f32 v3, v120, v1, -v3
	v_fmac_f32_e32 v2, v114, v1
	buffer_store_dword v3, off, s[0:3], 0 offset:64
	buffer_store_dword v2, off, s[0:3], 0 offset:68
.LBB55_47:
	s_or_b64 exec, exec, s[4:5]
	; wave barrier
	buffer_load_dword v1, off, s[0:3], 0 offset:72
	buffer_load_dword v2, off, s[0:3], 0 offset:76
	v_cmp_gt_u32_e32 vcc, 9, v0
	s_waitcnt vmcnt(0)
	ds_write_b64 v116, v[1:2]
	s_waitcnt lgkmcnt(0)
	; wave barrier
	s_and_saveexec_b64 s[4:5], vcc
	s_cbranch_execz .LBB55_51
; %bb.48:
	v_add_u32_e32 v117, -1, v0
	v_add_u32_e32 v118, 0x1c0, v115
	v_mov_b32_e32 v119, v115
	v_mov_b32_e32 v114, 0
	s_mov_b64 s[8:9], 0
	v_mov_b32_e32 v120, 0
.LBB55_49:                              ; =>This Inner Loop Header: Depth=1
	buffer_load_dword v3, v119, s[0:3], 0 offen offset:4
	buffer_load_dword v4, v119, s[0:3], 0 offen
	ds_read_b64 v[1:2], v118
	v_add_u32_e32 v117, 1, v117
	v_cmp_lt_u32_e32 vcc, 7, v117
	v_add_u32_e32 v118, 8, v118
	v_add_u32_e32 v119, 8, v119
	s_or_b64 s[8:9], vcc, s[8:9]
	s_waitcnt vmcnt(1) lgkmcnt(0)
	v_mul_f32_e32 v5, v2, v3
	v_mul_f32_e32 v3, v1, v3
	s_waitcnt vmcnt(0)
	v_fma_f32 v1, v1, v4, -v5
	v_fmac_f32_e32 v3, v2, v4
	v_add_f32_e32 v120, v120, v1
	v_add_f32_e32 v114, v114, v3
	s_andn2_b64 exec, exec, s[8:9]
	s_cbranch_execnz .LBB55_49
; %bb.50:
	s_or_b64 exec, exec, s[8:9]
	v_mov_b32_e32 v1, 0
	ds_read_b64 v[1:2], v1 offset:72
	s_waitcnt lgkmcnt(0)
	v_mul_f32_e32 v3, v114, v2
	v_mul_f32_e32 v2, v120, v2
	v_fma_f32 v3, v120, v1, -v3
	v_fmac_f32_e32 v2, v114, v1
	buffer_store_dword v3, off, s[0:3], 0 offset:72
	buffer_store_dword v2, off, s[0:3], 0 offset:76
.LBB55_51:
	s_or_b64 exec, exec, s[4:5]
	; wave barrier
	buffer_load_dword v1, off, s[0:3], 0 offset:80
	buffer_load_dword v2, off, s[0:3], 0 offset:84
	v_cmp_gt_u32_e32 vcc, 10, v0
	s_waitcnt vmcnt(0)
	ds_write_b64 v116, v[1:2]
	s_waitcnt lgkmcnt(0)
	; wave barrier
	s_and_saveexec_b64 s[4:5], vcc
	s_cbranch_execz .LBB55_55
; %bb.52:
	v_add_u32_e32 v117, -1, v0
	v_add_u32_e32 v118, 0x1c0, v115
	v_mov_b32_e32 v119, v115
	v_mov_b32_e32 v114, 0
	s_mov_b64 s[8:9], 0
	v_mov_b32_e32 v120, 0
.LBB55_53:                              ; =>This Inner Loop Header: Depth=1
	buffer_load_dword v3, v119, s[0:3], 0 offen offset:4
	buffer_load_dword v4, v119, s[0:3], 0 offen
	ds_read_b64 v[1:2], v118
	v_add_u32_e32 v117, 1, v117
	v_cmp_lt_u32_e32 vcc, 8, v117
	v_add_u32_e32 v118, 8, v118
	v_add_u32_e32 v119, 8, v119
	s_or_b64 s[8:9], vcc, s[8:9]
	s_waitcnt vmcnt(1) lgkmcnt(0)
	v_mul_f32_e32 v5, v2, v3
	v_mul_f32_e32 v3, v1, v3
	s_waitcnt vmcnt(0)
	v_fma_f32 v1, v1, v4, -v5
	v_fmac_f32_e32 v3, v2, v4
	v_add_f32_e32 v120, v120, v1
	v_add_f32_e32 v114, v114, v3
	s_andn2_b64 exec, exec, s[8:9]
	s_cbranch_execnz .LBB55_53
; %bb.54:
	s_or_b64 exec, exec, s[8:9]
	v_mov_b32_e32 v1, 0
	ds_read_b64 v[1:2], v1 offset:80
	s_waitcnt lgkmcnt(0)
	v_mul_f32_e32 v3, v114, v2
	v_mul_f32_e32 v2, v120, v2
	v_fma_f32 v3, v120, v1, -v3
	v_fmac_f32_e32 v2, v114, v1
	buffer_store_dword v3, off, s[0:3], 0 offset:80
	buffer_store_dword v2, off, s[0:3], 0 offset:84
.LBB55_55:
	s_or_b64 exec, exec, s[4:5]
	; wave barrier
	buffer_load_dword v1, off, s[0:3], 0 offset:88
	buffer_load_dword v2, off, s[0:3], 0 offset:92
	v_cmp_gt_u32_e32 vcc, 11, v0
	s_waitcnt vmcnt(0)
	ds_write_b64 v116, v[1:2]
	s_waitcnt lgkmcnt(0)
	; wave barrier
	s_and_saveexec_b64 s[4:5], vcc
	s_cbranch_execz .LBB55_59
; %bb.56:
	v_add_u32_e32 v117, -1, v0
	v_add_u32_e32 v118, 0x1c0, v115
	v_mov_b32_e32 v119, v115
	v_mov_b32_e32 v114, 0
	s_mov_b64 s[8:9], 0
	v_mov_b32_e32 v120, 0
.LBB55_57:                              ; =>This Inner Loop Header: Depth=1
	buffer_load_dword v3, v119, s[0:3], 0 offen offset:4
	buffer_load_dword v4, v119, s[0:3], 0 offen
	ds_read_b64 v[1:2], v118
	v_add_u32_e32 v117, 1, v117
	v_cmp_lt_u32_e32 vcc, 9, v117
	v_add_u32_e32 v118, 8, v118
	v_add_u32_e32 v119, 8, v119
	s_or_b64 s[8:9], vcc, s[8:9]
	s_waitcnt vmcnt(1) lgkmcnt(0)
	v_mul_f32_e32 v5, v2, v3
	v_mul_f32_e32 v3, v1, v3
	s_waitcnt vmcnt(0)
	v_fma_f32 v1, v1, v4, -v5
	v_fmac_f32_e32 v3, v2, v4
	v_add_f32_e32 v120, v120, v1
	v_add_f32_e32 v114, v114, v3
	s_andn2_b64 exec, exec, s[8:9]
	s_cbranch_execnz .LBB55_57
; %bb.58:
	s_or_b64 exec, exec, s[8:9]
	v_mov_b32_e32 v1, 0
	ds_read_b64 v[1:2], v1 offset:88
	s_waitcnt lgkmcnt(0)
	v_mul_f32_e32 v3, v114, v2
	v_mul_f32_e32 v2, v120, v2
	v_fma_f32 v3, v120, v1, -v3
	v_fmac_f32_e32 v2, v114, v1
	buffer_store_dword v3, off, s[0:3], 0 offset:88
	buffer_store_dword v2, off, s[0:3], 0 offset:92
.LBB55_59:
	s_or_b64 exec, exec, s[4:5]
	; wave barrier
	buffer_load_dword v1, off, s[0:3], 0 offset:96
	buffer_load_dword v2, off, s[0:3], 0 offset:100
	v_cmp_gt_u32_e32 vcc, 12, v0
	s_waitcnt vmcnt(0)
	ds_write_b64 v116, v[1:2]
	s_waitcnt lgkmcnt(0)
	; wave barrier
	s_and_saveexec_b64 s[4:5], vcc
	s_cbranch_execz .LBB55_63
; %bb.60:
	v_add_u32_e32 v117, -1, v0
	v_add_u32_e32 v118, 0x1c0, v115
	v_mov_b32_e32 v119, v115
	v_mov_b32_e32 v114, 0
	s_mov_b64 s[8:9], 0
	v_mov_b32_e32 v120, 0
.LBB55_61:                              ; =>This Inner Loop Header: Depth=1
	buffer_load_dword v3, v119, s[0:3], 0 offen offset:4
	buffer_load_dword v4, v119, s[0:3], 0 offen
	ds_read_b64 v[1:2], v118
	v_add_u32_e32 v117, 1, v117
	v_cmp_lt_u32_e32 vcc, 10, v117
	v_add_u32_e32 v118, 8, v118
	v_add_u32_e32 v119, 8, v119
	s_or_b64 s[8:9], vcc, s[8:9]
	s_waitcnt vmcnt(1) lgkmcnt(0)
	v_mul_f32_e32 v5, v2, v3
	v_mul_f32_e32 v3, v1, v3
	s_waitcnt vmcnt(0)
	v_fma_f32 v1, v1, v4, -v5
	v_fmac_f32_e32 v3, v2, v4
	v_add_f32_e32 v120, v120, v1
	v_add_f32_e32 v114, v114, v3
	s_andn2_b64 exec, exec, s[8:9]
	s_cbranch_execnz .LBB55_61
; %bb.62:
	s_or_b64 exec, exec, s[8:9]
	v_mov_b32_e32 v1, 0
	ds_read_b64 v[1:2], v1 offset:96
	s_waitcnt lgkmcnt(0)
	v_mul_f32_e32 v3, v114, v2
	v_mul_f32_e32 v2, v120, v2
	v_fma_f32 v3, v120, v1, -v3
	v_fmac_f32_e32 v2, v114, v1
	buffer_store_dword v3, off, s[0:3], 0 offset:96
	buffer_store_dword v2, off, s[0:3], 0 offset:100
.LBB55_63:
	s_or_b64 exec, exec, s[4:5]
	; wave barrier
	buffer_load_dword v1, off, s[0:3], 0 offset:104
	buffer_load_dword v2, off, s[0:3], 0 offset:108
	v_cmp_gt_u32_e32 vcc, 13, v0
	s_waitcnt vmcnt(0)
	ds_write_b64 v116, v[1:2]
	s_waitcnt lgkmcnt(0)
	; wave barrier
	s_and_saveexec_b64 s[4:5], vcc
	s_cbranch_execz .LBB55_67
; %bb.64:
	v_add_u32_e32 v117, -1, v0
	v_add_u32_e32 v118, 0x1c0, v115
	v_mov_b32_e32 v119, v115
	v_mov_b32_e32 v114, 0
	s_mov_b64 s[8:9], 0
	v_mov_b32_e32 v120, 0
.LBB55_65:                              ; =>This Inner Loop Header: Depth=1
	buffer_load_dword v3, v119, s[0:3], 0 offen offset:4
	buffer_load_dword v4, v119, s[0:3], 0 offen
	ds_read_b64 v[1:2], v118
	v_add_u32_e32 v117, 1, v117
	v_cmp_lt_u32_e32 vcc, 11, v117
	v_add_u32_e32 v118, 8, v118
	v_add_u32_e32 v119, 8, v119
	s_or_b64 s[8:9], vcc, s[8:9]
	s_waitcnt vmcnt(1) lgkmcnt(0)
	v_mul_f32_e32 v5, v2, v3
	v_mul_f32_e32 v3, v1, v3
	s_waitcnt vmcnt(0)
	v_fma_f32 v1, v1, v4, -v5
	v_fmac_f32_e32 v3, v2, v4
	v_add_f32_e32 v120, v120, v1
	v_add_f32_e32 v114, v114, v3
	s_andn2_b64 exec, exec, s[8:9]
	s_cbranch_execnz .LBB55_65
; %bb.66:
	s_or_b64 exec, exec, s[8:9]
	v_mov_b32_e32 v1, 0
	ds_read_b64 v[1:2], v1 offset:104
	s_waitcnt lgkmcnt(0)
	v_mul_f32_e32 v3, v114, v2
	v_mul_f32_e32 v2, v120, v2
	v_fma_f32 v3, v120, v1, -v3
	v_fmac_f32_e32 v2, v114, v1
	buffer_store_dword v3, off, s[0:3], 0 offset:104
	buffer_store_dword v2, off, s[0:3], 0 offset:108
.LBB55_67:
	s_or_b64 exec, exec, s[4:5]
	; wave barrier
	buffer_load_dword v1, off, s[0:3], 0 offset:112
	buffer_load_dword v2, off, s[0:3], 0 offset:116
	v_cmp_gt_u32_e32 vcc, 14, v0
	s_waitcnt vmcnt(0)
	ds_write_b64 v116, v[1:2]
	s_waitcnt lgkmcnt(0)
	; wave barrier
	s_and_saveexec_b64 s[4:5], vcc
	s_cbranch_execz .LBB55_71
; %bb.68:
	v_add_u32_e32 v117, -1, v0
	v_add_u32_e32 v118, 0x1c0, v115
	v_mov_b32_e32 v119, v115
	v_mov_b32_e32 v114, 0
	s_mov_b64 s[8:9], 0
	v_mov_b32_e32 v120, 0
.LBB55_69:                              ; =>This Inner Loop Header: Depth=1
	buffer_load_dword v3, v119, s[0:3], 0 offen offset:4
	buffer_load_dword v4, v119, s[0:3], 0 offen
	ds_read_b64 v[1:2], v118
	v_add_u32_e32 v117, 1, v117
	v_cmp_lt_u32_e32 vcc, 12, v117
	v_add_u32_e32 v118, 8, v118
	v_add_u32_e32 v119, 8, v119
	s_or_b64 s[8:9], vcc, s[8:9]
	s_waitcnt vmcnt(1) lgkmcnt(0)
	v_mul_f32_e32 v5, v2, v3
	v_mul_f32_e32 v3, v1, v3
	s_waitcnt vmcnt(0)
	v_fma_f32 v1, v1, v4, -v5
	v_fmac_f32_e32 v3, v2, v4
	v_add_f32_e32 v120, v120, v1
	v_add_f32_e32 v114, v114, v3
	s_andn2_b64 exec, exec, s[8:9]
	s_cbranch_execnz .LBB55_69
; %bb.70:
	s_or_b64 exec, exec, s[8:9]
	v_mov_b32_e32 v1, 0
	ds_read_b64 v[1:2], v1 offset:112
	s_waitcnt lgkmcnt(0)
	v_mul_f32_e32 v3, v114, v2
	v_mul_f32_e32 v2, v120, v2
	v_fma_f32 v3, v120, v1, -v3
	v_fmac_f32_e32 v2, v114, v1
	buffer_store_dword v3, off, s[0:3], 0 offset:112
	buffer_store_dword v2, off, s[0:3], 0 offset:116
.LBB55_71:
	s_or_b64 exec, exec, s[4:5]
	; wave barrier
	buffer_load_dword v1, off, s[0:3], 0 offset:120
	buffer_load_dword v2, off, s[0:3], 0 offset:124
	v_cmp_gt_u32_e32 vcc, 15, v0
	s_waitcnt vmcnt(0)
	ds_write_b64 v116, v[1:2]
	s_waitcnt lgkmcnt(0)
	; wave barrier
	s_and_saveexec_b64 s[4:5], vcc
	s_cbranch_execz .LBB55_75
; %bb.72:
	v_add_u32_e32 v117, -1, v0
	v_add_u32_e32 v118, 0x1c0, v115
	v_mov_b32_e32 v119, v115
	v_mov_b32_e32 v114, 0
	s_mov_b64 s[8:9], 0
	v_mov_b32_e32 v120, 0
.LBB55_73:                              ; =>This Inner Loop Header: Depth=1
	buffer_load_dword v3, v119, s[0:3], 0 offen offset:4
	buffer_load_dword v4, v119, s[0:3], 0 offen
	ds_read_b64 v[1:2], v118
	v_add_u32_e32 v117, 1, v117
	v_cmp_lt_u32_e32 vcc, 13, v117
	v_add_u32_e32 v118, 8, v118
	v_add_u32_e32 v119, 8, v119
	s_or_b64 s[8:9], vcc, s[8:9]
	s_waitcnt vmcnt(1) lgkmcnt(0)
	v_mul_f32_e32 v5, v2, v3
	v_mul_f32_e32 v3, v1, v3
	s_waitcnt vmcnt(0)
	v_fma_f32 v1, v1, v4, -v5
	v_fmac_f32_e32 v3, v2, v4
	v_add_f32_e32 v120, v120, v1
	v_add_f32_e32 v114, v114, v3
	s_andn2_b64 exec, exec, s[8:9]
	s_cbranch_execnz .LBB55_73
; %bb.74:
	s_or_b64 exec, exec, s[8:9]
	v_mov_b32_e32 v1, 0
	ds_read_b64 v[1:2], v1 offset:120
	s_waitcnt lgkmcnt(0)
	v_mul_f32_e32 v3, v114, v2
	v_mul_f32_e32 v2, v120, v2
	v_fma_f32 v3, v120, v1, -v3
	v_fmac_f32_e32 v2, v114, v1
	buffer_store_dword v3, off, s[0:3], 0 offset:120
	buffer_store_dword v2, off, s[0:3], 0 offset:124
.LBB55_75:
	s_or_b64 exec, exec, s[4:5]
	; wave barrier
	buffer_load_dword v1, off, s[0:3], 0 offset:128
	buffer_load_dword v2, off, s[0:3], 0 offset:132
	v_cmp_gt_u32_e32 vcc, 16, v0
	s_waitcnt vmcnt(0)
	ds_write_b64 v116, v[1:2]
	s_waitcnt lgkmcnt(0)
	; wave barrier
	s_and_saveexec_b64 s[4:5], vcc
	s_cbranch_execz .LBB55_79
; %bb.76:
	v_add_u32_e32 v117, -1, v0
	v_add_u32_e32 v118, 0x1c0, v115
	v_mov_b32_e32 v119, v115
	v_mov_b32_e32 v114, 0
	s_mov_b64 s[8:9], 0
	v_mov_b32_e32 v120, 0
.LBB55_77:                              ; =>This Inner Loop Header: Depth=1
	buffer_load_dword v3, v119, s[0:3], 0 offen offset:4
	buffer_load_dword v4, v119, s[0:3], 0 offen
	ds_read_b64 v[1:2], v118
	v_add_u32_e32 v117, 1, v117
	v_cmp_lt_u32_e32 vcc, 14, v117
	v_add_u32_e32 v118, 8, v118
	v_add_u32_e32 v119, 8, v119
	s_or_b64 s[8:9], vcc, s[8:9]
	s_waitcnt vmcnt(1) lgkmcnt(0)
	v_mul_f32_e32 v5, v2, v3
	v_mul_f32_e32 v3, v1, v3
	s_waitcnt vmcnt(0)
	v_fma_f32 v1, v1, v4, -v5
	v_fmac_f32_e32 v3, v2, v4
	v_add_f32_e32 v120, v120, v1
	v_add_f32_e32 v114, v114, v3
	s_andn2_b64 exec, exec, s[8:9]
	s_cbranch_execnz .LBB55_77
; %bb.78:
	s_or_b64 exec, exec, s[8:9]
	v_mov_b32_e32 v1, 0
	ds_read_b64 v[1:2], v1 offset:128
	s_waitcnt lgkmcnt(0)
	v_mul_f32_e32 v3, v114, v2
	v_mul_f32_e32 v2, v120, v2
	v_fma_f32 v3, v120, v1, -v3
	v_fmac_f32_e32 v2, v114, v1
	buffer_store_dword v3, off, s[0:3], 0 offset:128
	buffer_store_dword v2, off, s[0:3], 0 offset:132
.LBB55_79:
	s_or_b64 exec, exec, s[4:5]
	; wave barrier
	buffer_load_dword v1, off, s[0:3], 0 offset:136
	buffer_load_dword v2, off, s[0:3], 0 offset:140
	v_cmp_gt_u32_e32 vcc, 17, v0
	s_waitcnt vmcnt(0)
	ds_write_b64 v116, v[1:2]
	s_waitcnt lgkmcnt(0)
	; wave barrier
	s_and_saveexec_b64 s[4:5], vcc
	s_cbranch_execz .LBB55_83
; %bb.80:
	v_add_u32_e32 v117, -1, v0
	v_add_u32_e32 v118, 0x1c0, v115
	v_mov_b32_e32 v119, v115
	v_mov_b32_e32 v114, 0
	s_mov_b64 s[8:9], 0
	v_mov_b32_e32 v120, 0
.LBB55_81:                              ; =>This Inner Loop Header: Depth=1
	buffer_load_dword v3, v119, s[0:3], 0 offen offset:4
	buffer_load_dword v4, v119, s[0:3], 0 offen
	ds_read_b64 v[1:2], v118
	v_add_u32_e32 v117, 1, v117
	v_cmp_lt_u32_e32 vcc, 15, v117
	v_add_u32_e32 v118, 8, v118
	v_add_u32_e32 v119, 8, v119
	s_or_b64 s[8:9], vcc, s[8:9]
	s_waitcnt vmcnt(1) lgkmcnt(0)
	v_mul_f32_e32 v5, v2, v3
	v_mul_f32_e32 v3, v1, v3
	s_waitcnt vmcnt(0)
	v_fma_f32 v1, v1, v4, -v5
	v_fmac_f32_e32 v3, v2, v4
	v_add_f32_e32 v120, v120, v1
	v_add_f32_e32 v114, v114, v3
	s_andn2_b64 exec, exec, s[8:9]
	s_cbranch_execnz .LBB55_81
; %bb.82:
	s_or_b64 exec, exec, s[8:9]
	v_mov_b32_e32 v1, 0
	ds_read_b64 v[1:2], v1 offset:136
	s_waitcnt lgkmcnt(0)
	v_mul_f32_e32 v3, v114, v2
	v_mul_f32_e32 v2, v120, v2
	v_fma_f32 v3, v120, v1, -v3
	v_fmac_f32_e32 v2, v114, v1
	buffer_store_dword v3, off, s[0:3], 0 offset:136
	buffer_store_dword v2, off, s[0:3], 0 offset:140
.LBB55_83:
	s_or_b64 exec, exec, s[4:5]
	; wave barrier
	buffer_load_dword v1, off, s[0:3], 0 offset:144
	buffer_load_dword v2, off, s[0:3], 0 offset:148
	v_cmp_gt_u32_e32 vcc, 18, v0
	s_waitcnt vmcnt(0)
	ds_write_b64 v116, v[1:2]
	s_waitcnt lgkmcnt(0)
	; wave barrier
	s_and_saveexec_b64 s[4:5], vcc
	s_cbranch_execz .LBB55_87
; %bb.84:
	v_add_u32_e32 v117, -1, v0
	v_add_u32_e32 v118, 0x1c0, v115
	v_mov_b32_e32 v119, v115
	v_mov_b32_e32 v114, 0
	s_mov_b64 s[8:9], 0
	v_mov_b32_e32 v120, 0
.LBB55_85:                              ; =>This Inner Loop Header: Depth=1
	buffer_load_dword v3, v119, s[0:3], 0 offen offset:4
	buffer_load_dword v4, v119, s[0:3], 0 offen
	ds_read_b64 v[1:2], v118
	v_add_u32_e32 v117, 1, v117
	v_cmp_lt_u32_e32 vcc, 16, v117
	v_add_u32_e32 v118, 8, v118
	v_add_u32_e32 v119, 8, v119
	s_or_b64 s[8:9], vcc, s[8:9]
	s_waitcnt vmcnt(1) lgkmcnt(0)
	v_mul_f32_e32 v5, v2, v3
	v_mul_f32_e32 v3, v1, v3
	s_waitcnt vmcnt(0)
	v_fma_f32 v1, v1, v4, -v5
	v_fmac_f32_e32 v3, v2, v4
	v_add_f32_e32 v120, v120, v1
	v_add_f32_e32 v114, v114, v3
	s_andn2_b64 exec, exec, s[8:9]
	s_cbranch_execnz .LBB55_85
; %bb.86:
	s_or_b64 exec, exec, s[8:9]
	v_mov_b32_e32 v1, 0
	ds_read_b64 v[1:2], v1 offset:144
	s_waitcnt lgkmcnt(0)
	v_mul_f32_e32 v3, v114, v2
	v_mul_f32_e32 v2, v120, v2
	v_fma_f32 v3, v120, v1, -v3
	v_fmac_f32_e32 v2, v114, v1
	buffer_store_dword v3, off, s[0:3], 0 offset:144
	buffer_store_dword v2, off, s[0:3], 0 offset:148
.LBB55_87:
	s_or_b64 exec, exec, s[4:5]
	; wave barrier
	buffer_load_dword v1, off, s[0:3], 0 offset:152
	buffer_load_dword v2, off, s[0:3], 0 offset:156
	v_cmp_gt_u32_e32 vcc, 19, v0
	s_waitcnt vmcnt(0)
	ds_write_b64 v116, v[1:2]
	s_waitcnt lgkmcnt(0)
	; wave barrier
	s_and_saveexec_b64 s[4:5], vcc
	s_cbranch_execz .LBB55_91
; %bb.88:
	v_add_u32_e32 v117, -1, v0
	v_add_u32_e32 v118, 0x1c0, v115
	v_mov_b32_e32 v119, v115
	v_mov_b32_e32 v114, 0
	s_mov_b64 s[8:9], 0
	v_mov_b32_e32 v120, 0
.LBB55_89:                              ; =>This Inner Loop Header: Depth=1
	buffer_load_dword v3, v119, s[0:3], 0 offen offset:4
	buffer_load_dword v4, v119, s[0:3], 0 offen
	ds_read_b64 v[1:2], v118
	v_add_u32_e32 v117, 1, v117
	v_cmp_lt_u32_e32 vcc, 17, v117
	v_add_u32_e32 v118, 8, v118
	v_add_u32_e32 v119, 8, v119
	s_or_b64 s[8:9], vcc, s[8:9]
	s_waitcnt vmcnt(1) lgkmcnt(0)
	v_mul_f32_e32 v5, v2, v3
	v_mul_f32_e32 v3, v1, v3
	s_waitcnt vmcnt(0)
	v_fma_f32 v1, v1, v4, -v5
	v_fmac_f32_e32 v3, v2, v4
	v_add_f32_e32 v120, v120, v1
	v_add_f32_e32 v114, v114, v3
	s_andn2_b64 exec, exec, s[8:9]
	s_cbranch_execnz .LBB55_89
; %bb.90:
	s_or_b64 exec, exec, s[8:9]
	v_mov_b32_e32 v1, 0
	ds_read_b64 v[1:2], v1 offset:152
	s_waitcnt lgkmcnt(0)
	v_mul_f32_e32 v3, v114, v2
	v_mul_f32_e32 v2, v120, v2
	v_fma_f32 v3, v120, v1, -v3
	v_fmac_f32_e32 v2, v114, v1
	buffer_store_dword v3, off, s[0:3], 0 offset:152
	buffer_store_dword v2, off, s[0:3], 0 offset:156
.LBB55_91:
	s_or_b64 exec, exec, s[4:5]
	; wave barrier
	buffer_load_dword v1, off, s[0:3], 0 offset:160
	buffer_load_dword v2, off, s[0:3], 0 offset:164
	v_cmp_gt_u32_e32 vcc, 20, v0
	s_waitcnt vmcnt(0)
	ds_write_b64 v116, v[1:2]
	s_waitcnt lgkmcnt(0)
	; wave barrier
	s_and_saveexec_b64 s[4:5], vcc
	s_cbranch_execz .LBB55_95
; %bb.92:
	v_add_u32_e32 v117, -1, v0
	v_add_u32_e32 v118, 0x1c0, v115
	v_mov_b32_e32 v119, v115
	v_mov_b32_e32 v114, 0
	s_mov_b64 s[8:9], 0
	v_mov_b32_e32 v120, 0
.LBB55_93:                              ; =>This Inner Loop Header: Depth=1
	buffer_load_dword v3, v119, s[0:3], 0 offen offset:4
	buffer_load_dword v4, v119, s[0:3], 0 offen
	ds_read_b64 v[1:2], v118
	v_add_u32_e32 v117, 1, v117
	v_cmp_lt_u32_e32 vcc, 18, v117
	v_add_u32_e32 v118, 8, v118
	v_add_u32_e32 v119, 8, v119
	s_or_b64 s[8:9], vcc, s[8:9]
	s_waitcnt vmcnt(1) lgkmcnt(0)
	v_mul_f32_e32 v5, v2, v3
	v_mul_f32_e32 v3, v1, v3
	s_waitcnt vmcnt(0)
	v_fma_f32 v1, v1, v4, -v5
	v_fmac_f32_e32 v3, v2, v4
	v_add_f32_e32 v120, v120, v1
	v_add_f32_e32 v114, v114, v3
	s_andn2_b64 exec, exec, s[8:9]
	s_cbranch_execnz .LBB55_93
; %bb.94:
	s_or_b64 exec, exec, s[8:9]
	v_mov_b32_e32 v1, 0
	ds_read_b64 v[1:2], v1 offset:160
	s_waitcnt lgkmcnt(0)
	v_mul_f32_e32 v3, v114, v2
	v_mul_f32_e32 v2, v120, v2
	v_fma_f32 v3, v120, v1, -v3
	v_fmac_f32_e32 v2, v114, v1
	buffer_store_dword v3, off, s[0:3], 0 offset:160
	buffer_store_dword v2, off, s[0:3], 0 offset:164
.LBB55_95:
	s_or_b64 exec, exec, s[4:5]
	; wave barrier
	buffer_load_dword v1, off, s[0:3], 0 offset:168
	buffer_load_dword v2, off, s[0:3], 0 offset:172
	v_cmp_gt_u32_e32 vcc, 21, v0
	s_waitcnt vmcnt(0)
	ds_write_b64 v116, v[1:2]
	s_waitcnt lgkmcnt(0)
	; wave barrier
	s_and_saveexec_b64 s[4:5], vcc
	s_cbranch_execz .LBB55_99
; %bb.96:
	v_add_u32_e32 v117, -1, v0
	v_add_u32_e32 v118, 0x1c0, v115
	v_mov_b32_e32 v119, v115
	v_mov_b32_e32 v114, 0
	s_mov_b64 s[8:9], 0
	v_mov_b32_e32 v120, 0
.LBB55_97:                              ; =>This Inner Loop Header: Depth=1
	buffer_load_dword v3, v119, s[0:3], 0 offen offset:4
	buffer_load_dword v4, v119, s[0:3], 0 offen
	ds_read_b64 v[1:2], v118
	v_add_u32_e32 v117, 1, v117
	v_cmp_lt_u32_e32 vcc, 19, v117
	v_add_u32_e32 v118, 8, v118
	v_add_u32_e32 v119, 8, v119
	s_or_b64 s[8:9], vcc, s[8:9]
	s_waitcnt vmcnt(1) lgkmcnt(0)
	v_mul_f32_e32 v5, v2, v3
	v_mul_f32_e32 v3, v1, v3
	s_waitcnt vmcnt(0)
	v_fma_f32 v1, v1, v4, -v5
	v_fmac_f32_e32 v3, v2, v4
	v_add_f32_e32 v120, v120, v1
	v_add_f32_e32 v114, v114, v3
	s_andn2_b64 exec, exec, s[8:9]
	s_cbranch_execnz .LBB55_97
; %bb.98:
	s_or_b64 exec, exec, s[8:9]
	v_mov_b32_e32 v1, 0
	ds_read_b64 v[1:2], v1 offset:168
	s_waitcnt lgkmcnt(0)
	v_mul_f32_e32 v3, v114, v2
	v_mul_f32_e32 v2, v120, v2
	v_fma_f32 v3, v120, v1, -v3
	v_fmac_f32_e32 v2, v114, v1
	buffer_store_dword v3, off, s[0:3], 0 offset:168
	buffer_store_dword v2, off, s[0:3], 0 offset:172
.LBB55_99:
	s_or_b64 exec, exec, s[4:5]
	; wave barrier
	buffer_load_dword v1, off, s[0:3], 0 offset:176
	buffer_load_dword v2, off, s[0:3], 0 offset:180
	v_cmp_gt_u32_e32 vcc, 22, v0
	s_waitcnt vmcnt(0)
	ds_write_b64 v116, v[1:2]
	s_waitcnt lgkmcnt(0)
	; wave barrier
	s_and_saveexec_b64 s[4:5], vcc
	s_cbranch_execz .LBB55_103
; %bb.100:
	v_add_u32_e32 v117, -1, v0
	v_add_u32_e32 v118, 0x1c0, v115
	v_mov_b32_e32 v119, v115
	v_mov_b32_e32 v114, 0
	s_mov_b64 s[8:9], 0
	v_mov_b32_e32 v120, 0
.LBB55_101:                             ; =>This Inner Loop Header: Depth=1
	buffer_load_dword v3, v119, s[0:3], 0 offen offset:4
	buffer_load_dword v4, v119, s[0:3], 0 offen
	ds_read_b64 v[1:2], v118
	v_add_u32_e32 v117, 1, v117
	v_cmp_lt_u32_e32 vcc, 20, v117
	v_add_u32_e32 v118, 8, v118
	v_add_u32_e32 v119, 8, v119
	s_or_b64 s[8:9], vcc, s[8:9]
	s_waitcnt vmcnt(1) lgkmcnt(0)
	v_mul_f32_e32 v5, v2, v3
	v_mul_f32_e32 v3, v1, v3
	s_waitcnt vmcnt(0)
	v_fma_f32 v1, v1, v4, -v5
	v_fmac_f32_e32 v3, v2, v4
	v_add_f32_e32 v120, v120, v1
	v_add_f32_e32 v114, v114, v3
	s_andn2_b64 exec, exec, s[8:9]
	s_cbranch_execnz .LBB55_101
; %bb.102:
	s_or_b64 exec, exec, s[8:9]
	v_mov_b32_e32 v1, 0
	ds_read_b64 v[1:2], v1 offset:176
	s_waitcnt lgkmcnt(0)
	v_mul_f32_e32 v3, v114, v2
	v_mul_f32_e32 v2, v120, v2
	v_fma_f32 v3, v120, v1, -v3
	v_fmac_f32_e32 v2, v114, v1
	buffer_store_dword v3, off, s[0:3], 0 offset:176
	buffer_store_dword v2, off, s[0:3], 0 offset:180
.LBB55_103:
	s_or_b64 exec, exec, s[4:5]
	; wave barrier
	buffer_load_dword v1, off, s[0:3], 0 offset:184
	buffer_load_dword v2, off, s[0:3], 0 offset:188
	v_cmp_gt_u32_e32 vcc, 23, v0
	s_waitcnt vmcnt(0)
	ds_write_b64 v116, v[1:2]
	s_waitcnt lgkmcnt(0)
	; wave barrier
	s_and_saveexec_b64 s[4:5], vcc
	s_cbranch_execz .LBB55_107
; %bb.104:
	v_add_u32_e32 v117, -1, v0
	v_add_u32_e32 v118, 0x1c0, v115
	v_mov_b32_e32 v119, v115
	v_mov_b32_e32 v114, 0
	s_mov_b64 s[8:9], 0
	v_mov_b32_e32 v120, 0
.LBB55_105:                             ; =>This Inner Loop Header: Depth=1
	buffer_load_dword v3, v119, s[0:3], 0 offen offset:4
	buffer_load_dword v4, v119, s[0:3], 0 offen
	ds_read_b64 v[1:2], v118
	v_add_u32_e32 v117, 1, v117
	v_cmp_lt_u32_e32 vcc, 21, v117
	v_add_u32_e32 v118, 8, v118
	v_add_u32_e32 v119, 8, v119
	s_or_b64 s[8:9], vcc, s[8:9]
	s_waitcnt vmcnt(1) lgkmcnt(0)
	v_mul_f32_e32 v5, v2, v3
	v_mul_f32_e32 v3, v1, v3
	s_waitcnt vmcnt(0)
	v_fma_f32 v1, v1, v4, -v5
	v_fmac_f32_e32 v3, v2, v4
	v_add_f32_e32 v120, v120, v1
	v_add_f32_e32 v114, v114, v3
	s_andn2_b64 exec, exec, s[8:9]
	s_cbranch_execnz .LBB55_105
; %bb.106:
	s_or_b64 exec, exec, s[8:9]
	v_mov_b32_e32 v1, 0
	ds_read_b64 v[1:2], v1 offset:184
	s_waitcnt lgkmcnt(0)
	v_mul_f32_e32 v3, v114, v2
	v_mul_f32_e32 v2, v120, v2
	v_fma_f32 v3, v120, v1, -v3
	v_fmac_f32_e32 v2, v114, v1
	buffer_store_dword v3, off, s[0:3], 0 offset:184
	buffer_store_dword v2, off, s[0:3], 0 offset:188
.LBB55_107:
	s_or_b64 exec, exec, s[4:5]
	; wave barrier
	buffer_load_dword v1, off, s[0:3], 0 offset:192
	buffer_load_dword v2, off, s[0:3], 0 offset:196
	v_cmp_gt_u32_e32 vcc, 24, v0
	;; [unrolled: 49-line block ×32, first 2 shown]
	s_waitcnt vmcnt(0)
	ds_write_b64 v116, v[1:2]
	s_waitcnt lgkmcnt(0)
	; wave barrier
	s_and_saveexec_b64 s[4:5], vcc
	s_cbranch_execz .LBB55_231
; %bb.228:
	v_add_u32_e32 v117, -1, v0
	v_add_u32_e32 v118, 0x1c0, v115
	v_mov_b32_e32 v119, v115
	v_mov_b32_e32 v114, 0
	s_mov_b64 s[8:9], 0
	v_mov_b32_e32 v120, 0
.LBB55_229:                             ; =>This Inner Loop Header: Depth=1
	buffer_load_dword v3, v119, s[0:3], 0 offen offset:4
	buffer_load_dword v4, v119, s[0:3], 0 offen
	ds_read_b64 v[1:2], v118
	v_add_u32_e32 v117, 1, v117
	v_cmp_lt_u32_e32 vcc, 52, v117
	v_add_u32_e32 v118, 8, v118
	v_add_u32_e32 v119, 8, v119
	s_or_b64 s[8:9], vcc, s[8:9]
	s_waitcnt vmcnt(1) lgkmcnt(0)
	v_mul_f32_e32 v5, v2, v3
	v_mul_f32_e32 v3, v1, v3
	s_waitcnt vmcnt(0)
	v_fma_f32 v1, v1, v4, -v5
	v_fmac_f32_e32 v3, v2, v4
	v_add_f32_e32 v120, v120, v1
	v_add_f32_e32 v114, v114, v3
	s_andn2_b64 exec, exec, s[8:9]
	s_cbranch_execnz .LBB55_229
; %bb.230:
	s_or_b64 exec, exec, s[8:9]
	v_mov_b32_e32 v1, 0
	ds_read_b64 v[1:2], v1 offset:432
	s_waitcnt lgkmcnt(0)
	v_mul_f32_e32 v3, v114, v2
	v_mul_f32_e32 v2, v120, v2
	v_fma_f32 v3, v120, v1, -v3
	v_fmac_f32_e32 v2, v114, v1
	buffer_store_dword v3, off, s[0:3], 0 offset:432
	buffer_store_dword v2, off, s[0:3], 0 offset:436
.LBB55_231:
	s_or_b64 exec, exec, s[4:5]
	; wave barrier
	buffer_load_dword v1, off, s[0:3], 0 offset:440
	buffer_load_dword v2, off, s[0:3], 0 offset:444
	v_cmp_ne_u32_e32 vcc, 55, v0
	s_waitcnt vmcnt(0)
	ds_write_b64 v116, v[1:2]
	s_waitcnt lgkmcnt(0)
	; wave barrier
	s_and_saveexec_b64 s[4:5], vcc
	s_cbranch_execz .LBB55_235
; %bb.232:
	v_add_u32_e32 v116, 0x1c0, v115
	v_mov_b32_e32 v114, 0
	s_mov_b64 s[8:9], 0
	v_mov_b32_e32 v117, 0
.LBB55_233:                             ; =>This Inner Loop Header: Depth=1
	buffer_load_dword v3, v115, s[0:3], 0 offen offset:4
	buffer_load_dword v4, v115, s[0:3], 0 offen
	ds_read_b64 v[1:2], v116
	v_add_u32_e32 v113, 1, v113
	v_cmp_lt_u32_e32 vcc, 53, v113
	v_add_u32_e32 v116, 8, v116
	v_add_u32_e32 v115, 8, v115
	s_or_b64 s[8:9], vcc, s[8:9]
	s_waitcnt vmcnt(1) lgkmcnt(0)
	v_mul_f32_e32 v5, v2, v3
	v_mul_f32_e32 v3, v1, v3
	s_waitcnt vmcnt(0)
	v_fma_f32 v1, v1, v4, -v5
	v_fmac_f32_e32 v3, v2, v4
	v_add_f32_e32 v117, v117, v1
	v_add_f32_e32 v114, v114, v3
	s_andn2_b64 exec, exec, s[8:9]
	s_cbranch_execnz .LBB55_233
; %bb.234:
	s_or_b64 exec, exec, s[8:9]
	v_mov_b32_e32 v1, 0
	ds_read_b64 v[1:2], v1 offset:440
	s_waitcnt lgkmcnt(0)
	v_mul_f32_e32 v3, v114, v2
	v_mul_f32_e32 v2, v117, v2
	v_fma_f32 v3, v117, v1, -v3
	v_fmac_f32_e32 v2, v114, v1
	buffer_store_dword v3, off, s[0:3], 0 offset:440
	buffer_store_dword v2, off, s[0:3], 0 offset:444
.LBB55_235:
	s_or_b64 exec, exec, s[4:5]
	s_mov_b64 s[8:9], -1
	; wave barrier
.LBB55_236:
	s_and_b64 vcc, exec, s[8:9]
	s_cbranch_vccz .LBB55_238
; %bb.237:
	s_lshl_b64 s[4:5], s[6:7], 2
	s_add_u32 s4, s10, s4
	s_addc_u32 s5, s11, s5
	v_mov_b32_e32 v1, 0
	global_load_dword v1, v1, s[4:5]
	s_waitcnt vmcnt(0)
	v_cmp_ne_u32_e32 vcc, 0, v1
	s_cbranch_vccz .LBB55_239
.LBB55_238:
	s_endpgm
.LBB55_239:
	v_mov_b32_e32 v1, 0x1c0
	v_lshl_add_u32 v113, v0, 3, v1
	v_cmp_eq_u32_e32 vcc, 55, v0
	s_and_saveexec_b64 s[4:5], vcc
	s_cbranch_execz .LBB55_241
; %bb.240:
	buffer_load_dword v1, off, s[0:3], 0 offset:432
	buffer_load_dword v2, off, s[0:3], 0 offset:436
	v_mov_b32_e32 v3, 0
	buffer_store_dword v3, off, s[0:3], 0 offset:432
	buffer_store_dword v3, off, s[0:3], 0 offset:436
	s_waitcnt vmcnt(2)
	ds_write_b64 v113, v[1:2]
.LBB55_241:
	s_or_b64 exec, exec, s[4:5]
	s_waitcnt lgkmcnt(0)
	; wave barrier
	buffer_load_dword v3, off, s[0:3], 0 offset:444
	buffer_load_dword v4, off, s[0:3], 0 offset:440
	;; [unrolled: 1-line block ×4, first 2 shown]
	v_mov_b32_e32 v114, 0
	ds_read_b64 v[1:2], v114 offset:888
	v_cmp_lt_u32_e32 vcc, 53, v0
	s_waitcnt vmcnt(3) lgkmcnt(0)
	v_mul_f32_e32 v115, v1, v3
	v_mul_f32_e32 v3, v2, v3
	s_waitcnt vmcnt(2)
	v_fma_f32 v1, v1, v4, -v3
	v_fmac_f32_e32 v115, v2, v4
	v_add_f32_e32 v1, 0, v1
	v_add_f32_e32 v2, 0, v115
	s_waitcnt vmcnt(1)
	v_sub_f32_e32 v1, v5, v1
	s_waitcnt vmcnt(0)
	v_sub_f32_e32 v2, v6, v2
	buffer_store_dword v1, off, s[0:3], 0 offset:432
	buffer_store_dword v2, off, s[0:3], 0 offset:436
	s_and_saveexec_b64 s[4:5], vcc
	s_cbranch_execz .LBB55_243
; %bb.242:
	buffer_load_dword v1, off, s[0:3], 0 offset:424
	buffer_load_dword v2, off, s[0:3], 0 offset:428
	s_waitcnt vmcnt(0)
	ds_write_b64 v113, v[1:2]
	buffer_store_dword v114, off, s[0:3], 0 offset:424
	buffer_store_dword v114, off, s[0:3], 0 offset:428
.LBB55_243:
	s_or_b64 exec, exec, s[4:5]
	s_waitcnt lgkmcnt(0)
	; wave barrier
	buffer_load_dword v1, off, s[0:3], 0 offset:436
	buffer_load_dword v2, off, s[0:3], 0 offset:444
	buffer_load_dword v3, off, s[0:3], 0 offset:432
	buffer_load_dword v4, off, s[0:3], 0 offset:440
	buffer_load_dword v5, off, s[0:3], 0 offset:424
	buffer_load_dword v6, off, s[0:3], 0 offset:428
	ds_read_b128 v[114:117], v114 offset:880
	v_cmp_lt_u32_e32 vcc, 52, v0
	s_waitcnt vmcnt(5) lgkmcnt(0)
	v_mul_f32_e32 v118, v114, v1
	v_mul_f32_e32 v1, v115, v1
	s_waitcnt vmcnt(4)
	v_mul_f32_e32 v119, v116, v2
	v_mul_f32_e32 v2, v117, v2
	s_waitcnt vmcnt(3)
	v_fma_f32 v1, v114, v3, -v1
	v_fmac_f32_e32 v118, v115, v3
	s_waitcnt vmcnt(2)
	v_fma_f32 v2, v116, v4, -v2
	v_add_f32_e32 v1, 0, v1
	v_fmac_f32_e32 v119, v117, v4
	v_add_f32_e32 v3, 0, v118
	v_add_f32_e32 v1, v1, v2
	;; [unrolled: 1-line block ×3, first 2 shown]
	s_waitcnt vmcnt(1)
	v_sub_f32_e32 v1, v5, v1
	s_waitcnt vmcnt(0)
	v_sub_f32_e32 v2, v6, v3
	buffer_store_dword v1, off, s[0:3], 0 offset:424
	buffer_store_dword v2, off, s[0:3], 0 offset:428
	s_and_saveexec_b64 s[4:5], vcc
	s_cbranch_execz .LBB55_245
; %bb.244:
	buffer_load_dword v1, off, s[0:3], 0 offset:416
	buffer_load_dword v2, off, s[0:3], 0 offset:420
	v_mov_b32_e32 v3, 0
	buffer_store_dword v3, off, s[0:3], 0 offset:416
	buffer_store_dword v3, off, s[0:3], 0 offset:420
	s_waitcnt vmcnt(2)
	ds_write_b64 v113, v[1:2]
.LBB55_245:
	s_or_b64 exec, exec, s[4:5]
	s_waitcnt lgkmcnt(0)
	; wave barrier
	buffer_load_dword v3, off, s[0:3], 0 offset:428
	buffer_load_dword v4, off, s[0:3], 0 offset:436
	;; [unrolled: 1-line block ×8, first 2 shown]
	v_mov_b32_e32 v114, 0
	ds_read2_b64 v[115:118], v114 offset0:109 offset1:110
	ds_read_b64 v[1:2], v114 offset:888
	v_cmp_lt_u32_e32 vcc, 51, v0
	s_waitcnt vmcnt(7) lgkmcnt(1)
	v_mul_f32_e32 v123, v115, v3
	v_mul_f32_e32 v3, v116, v3
	s_waitcnt vmcnt(5) lgkmcnt(0)
	v_mul_f32_e32 v125, v1, v5
	v_mul_f32_e32 v124, v117, v4
	;; [unrolled: 1-line block ×4, first 2 shown]
	s_waitcnt vmcnt(2)
	v_fmac_f32_e32 v125, v2, v120
	v_fma_f32 v2, v115, v6, -v3
	v_fmac_f32_e32 v123, v116, v6
	v_fma_f32 v3, v117, v119, -v4
	v_add_f32_e32 v2, 0, v2
	v_fmac_f32_e32 v124, v118, v119
	v_fma_f32 v1, v1, v120, -v5
	v_add_f32_e32 v4, 0, v123
	v_add_f32_e32 v2, v2, v3
	;; [unrolled: 1-line block ×5, first 2 shown]
	s_waitcnt vmcnt(1)
	v_sub_f32_e32 v1, v121, v1
	s_waitcnt vmcnt(0)
	v_sub_f32_e32 v2, v122, v3
	buffer_store_dword v1, off, s[0:3], 0 offset:416
	buffer_store_dword v2, off, s[0:3], 0 offset:420
	s_and_saveexec_b64 s[4:5], vcc
	s_cbranch_execz .LBB55_247
; %bb.246:
	buffer_load_dword v1, off, s[0:3], 0 offset:408
	buffer_load_dword v2, off, s[0:3], 0 offset:412
	s_waitcnt vmcnt(0)
	ds_write_b64 v113, v[1:2]
	buffer_store_dword v114, off, s[0:3], 0 offset:408
	buffer_store_dword v114, off, s[0:3], 0 offset:412
.LBB55_247:
	s_or_b64 exec, exec, s[4:5]
	s_waitcnt lgkmcnt(0)
	; wave barrier
	buffer_load_dword v1, off, s[0:3], 0 offset:420
	buffer_load_dword v2, off, s[0:3], 0 offset:428
	;; [unrolled: 1-line block ×10, first 2 shown]
	ds_read_b128 v[115:118], v114 offset:864
	ds_read_b128 v[119:122], v114 offset:880
	v_cmp_lt_u32_e32 vcc, 50, v0
	s_waitcnt vmcnt(9) lgkmcnt(1)
	v_mul_f32_e32 v114, v115, v1
	v_mul_f32_e32 v1, v116, v1
	s_waitcnt vmcnt(8)
	v_mul_f32_e32 v127, v117, v2
	v_mul_f32_e32 v2, v118, v2
	s_waitcnt vmcnt(5)
	v_fma_f32 v1, v115, v5, -v1
	s_waitcnt lgkmcnt(0)
	v_mul_f32_e32 v128, v119, v3
	v_mul_f32_e32 v3, v120, v3
	v_fmac_f32_e32 v114, v116, v5
	s_waitcnt vmcnt(4)
	v_fma_f32 v2, v117, v6, -v2
	v_add_f32_e32 v1, 0, v1
	v_mul_f32_e32 v129, v121, v4
	v_mul_f32_e32 v4, v122, v4
	v_fmac_f32_e32 v127, v118, v6
	s_waitcnt vmcnt(3)
	v_fma_f32 v3, v119, v123, -v3
	v_add_f32_e32 v5, 0, v114
	v_add_f32_e32 v1, v1, v2
	v_fmac_f32_e32 v128, v120, v123
	s_waitcnt vmcnt(2)
	v_fma_f32 v4, v121, v124, -v4
	v_add_f32_e32 v5, v5, v127
	v_add_f32_e32 v1, v1, v3
	v_fmac_f32_e32 v129, v122, v124
	v_add_f32_e32 v2, v5, v128
	v_add_f32_e32 v1, v1, v4
	;; [unrolled: 1-line block ×3, first 2 shown]
	s_waitcnt vmcnt(1)
	v_sub_f32_e32 v1, v125, v1
	s_waitcnt vmcnt(0)
	v_sub_f32_e32 v2, v126, v2
	buffer_store_dword v1, off, s[0:3], 0 offset:408
	buffer_store_dword v2, off, s[0:3], 0 offset:412
	s_and_saveexec_b64 s[4:5], vcc
	s_cbranch_execz .LBB55_249
; %bb.248:
	buffer_load_dword v1, off, s[0:3], 0 offset:400
	buffer_load_dword v2, off, s[0:3], 0 offset:404
	v_mov_b32_e32 v3, 0
	buffer_store_dword v3, off, s[0:3], 0 offset:400
	buffer_store_dword v3, off, s[0:3], 0 offset:404
	s_waitcnt vmcnt(2)
	ds_write_b64 v113, v[1:2]
.LBB55_249:
	s_or_b64 exec, exec, s[4:5]
	s_waitcnt lgkmcnt(0)
	; wave barrier
	buffer_load_dword v3, off, s[0:3], 0 offset:412
	buffer_load_dword v4, off, s[0:3], 0 offset:420
	;; [unrolled: 1-line block ×12, first 2 shown]
	v_mov_b32_e32 v114, 0
	ds_read2_b64 v[115:118], v114 offset0:107 offset1:108
	ds_read2_b64 v[119:122], v114 offset0:109 offset1:110
	ds_read_b64 v[1:2], v114 offset:888
	v_cmp_lt_u32_e32 vcc, 49, v0
	s_waitcnt vmcnt(11) lgkmcnt(2)
	v_mul_f32_e32 v131, v115, v3
	v_mul_f32_e32 v3, v116, v3
	s_waitcnt vmcnt(10)
	v_mul_f32_e32 v132, v117, v4
	v_mul_f32_e32 v4, v118, v4
	s_waitcnt vmcnt(7) lgkmcnt(0)
	v_mul_f32_e32 v135, v1, v123
	v_mul_f32_e32 v123, v2, v123
	;; [unrolled: 1-line block ×5, first 2 shown]
	s_waitcnt vmcnt(2)
	v_fmac_f32_e32 v135, v2, v128
	v_fma_f32 v2, v115, v124, -v3
	v_mul_f32_e32 v6, v122, v6
	v_fmac_f32_e32 v131, v116, v124
	v_fma_f32 v3, v117, v125, -v4
	v_add_f32_e32 v2, 0, v2
	v_fmac_f32_e32 v132, v118, v125
	v_fma_f32 v4, v119, v126, -v5
	v_fma_f32 v5, v121, v127, -v6
	v_add_f32_e32 v6, 0, v131
	v_add_f32_e32 v2, v2, v3
	v_fmac_f32_e32 v133, v120, v126
	v_add_f32_e32 v6, v6, v132
	v_add_f32_e32 v2, v2, v4
	v_fmac_f32_e32 v134, v122, v127
	v_fma_f32 v1, v1, v128, -v123
	v_add_f32_e32 v3, v6, v133
	v_add_f32_e32 v2, v2, v5
	;; [unrolled: 1-line block ×5, first 2 shown]
	s_waitcnt vmcnt(1)
	v_sub_f32_e32 v1, v129, v1
	s_waitcnt vmcnt(0)
	v_sub_f32_e32 v2, v130, v3
	buffer_store_dword v1, off, s[0:3], 0 offset:400
	buffer_store_dword v2, off, s[0:3], 0 offset:404
	s_and_saveexec_b64 s[4:5], vcc
	s_cbranch_execz .LBB55_251
; %bb.250:
	buffer_load_dword v1, off, s[0:3], 0 offset:392
	buffer_load_dword v2, off, s[0:3], 0 offset:396
	s_waitcnt vmcnt(0)
	ds_write_b64 v113, v[1:2]
	buffer_store_dword v114, off, s[0:3], 0 offset:392
	buffer_store_dword v114, off, s[0:3], 0 offset:396
.LBB55_251:
	s_or_b64 exec, exec, s[4:5]
	s_waitcnt lgkmcnt(0)
	; wave barrier
	buffer_load_dword v1, off, s[0:3], 0 offset:404
	buffer_load_dword v2, off, s[0:3], 0 offset:412
	;; [unrolled: 1-line block ×14, first 2 shown]
	ds_read_b128 v[115:118], v114 offset:848
	ds_read_b128 v[119:122], v114 offset:864
	;; [unrolled: 1-line block ×3, first 2 shown]
	v_cmp_lt_u32_e32 vcc, 48, v0
	s_waitcnt vmcnt(13) lgkmcnt(2)
	v_mul_f32_e32 v114, v115, v1
	v_mul_f32_e32 v1, v116, v1
	s_waitcnt vmcnt(12)
	v_mul_f32_e32 v135, v117, v2
	v_mul_f32_e32 v2, v118, v2
	s_waitcnt vmcnt(11) lgkmcnt(1)
	v_mul_f32_e32 v136, v119, v3
	v_mul_f32_e32 v3, v120, v3
	s_waitcnt vmcnt(7)
	v_fma_f32 v1, v115, v127, -v1
	v_fmac_f32_e32 v114, v116, v127
	s_waitcnt vmcnt(6)
	v_fma_f32 v2, v117, v128, -v2
	v_add_f32_e32 v1, 0, v1
	v_mul_f32_e32 v137, v121, v4
	v_mul_f32_e32 v4, v122, v4
	v_fmac_f32_e32 v135, v118, v128
	s_waitcnt vmcnt(5)
	v_fma_f32 v3, v119, v129, -v3
	v_add_f32_e32 v114, 0, v114
	v_add_f32_e32 v1, v1, v2
	s_waitcnt lgkmcnt(0)
	v_mul_f32_e32 v138, v123, v5
	v_mul_f32_e32 v5, v124, v5
	v_fmac_f32_e32 v136, v120, v129
	s_waitcnt vmcnt(4)
	v_fma_f32 v4, v121, v130, -v4
	v_add_f32_e32 v114, v114, v135
	v_add_f32_e32 v1, v1, v3
	v_mul_f32_e32 v139, v125, v6
	v_mul_f32_e32 v6, v126, v6
	v_fmac_f32_e32 v137, v122, v130
	s_waitcnt vmcnt(3)
	v_fma_f32 v5, v123, v131, -v5
	v_add_f32_e32 v2, v114, v136
	v_add_f32_e32 v1, v1, v4
	v_fmac_f32_e32 v138, v124, v131
	s_waitcnt vmcnt(2)
	v_fma_f32 v6, v125, v132, -v6
	v_add_f32_e32 v2, v2, v137
	v_add_f32_e32 v1, v1, v5
	v_fmac_f32_e32 v139, v126, v132
	v_add_f32_e32 v2, v2, v138
	v_add_f32_e32 v1, v1, v6
	;; [unrolled: 1-line block ×3, first 2 shown]
	s_waitcnt vmcnt(1)
	v_sub_f32_e32 v1, v133, v1
	s_waitcnt vmcnt(0)
	v_sub_f32_e32 v2, v134, v2
	buffer_store_dword v1, off, s[0:3], 0 offset:392
	buffer_store_dword v2, off, s[0:3], 0 offset:396
	s_and_saveexec_b64 s[4:5], vcc
	s_cbranch_execz .LBB55_253
; %bb.252:
	buffer_load_dword v1, off, s[0:3], 0 offset:384
	buffer_load_dword v2, off, s[0:3], 0 offset:388
	v_mov_b32_e32 v3, 0
	buffer_store_dword v3, off, s[0:3], 0 offset:384
	buffer_store_dword v3, off, s[0:3], 0 offset:388
	s_waitcnt vmcnt(2)
	ds_write_b64 v113, v[1:2]
.LBB55_253:
	s_or_b64 exec, exec, s[4:5]
	s_waitcnt lgkmcnt(0)
	; wave barrier
	buffer_load_dword v3, off, s[0:3], 0 offset:396
	buffer_load_dword v4, off, s[0:3], 0 offset:404
	;; [unrolled: 1-line block ×16, first 2 shown]
	v_mov_b32_e32 v114, 0
	ds_read2_b64 v[115:118], v114 offset0:105 offset1:106
	ds_read2_b64 v[119:122], v114 offset0:107 offset1:108
	;; [unrolled: 1-line block ×3, first 2 shown]
	ds_read_b64 v[1:2], v114 offset:888
	v_cmp_lt_u32_e32 vcc, 47, v0
	s_waitcnt vmcnt(15) lgkmcnt(3)
	v_mul_f32_e32 v139, v115, v3
	v_mul_f32_e32 v3, v116, v3
	s_waitcnt vmcnt(14)
	v_mul_f32_e32 v140, v117, v4
	v_mul_f32_e32 v4, v118, v4
	s_waitcnt vmcnt(13) lgkmcnt(2)
	v_mul_f32_e32 v141, v119, v5
	v_mul_f32_e32 v5, v120, v5
	s_waitcnt vmcnt(9) lgkmcnt(0)
	v_mul_f32_e32 v145, v1, v129
	v_mul_f32_e32 v129, v2, v129
	s_waitcnt vmcnt(8)
	v_fmac_f32_e32 v139, v116, v130
	v_mul_f32_e32 v142, v121, v6
	v_mul_f32_e32 v6, v122, v6
	s_waitcnt vmcnt(7)
	v_fmac_f32_e32 v140, v118, v131
	v_add_f32_e32 v116, 0, v139
	s_waitcnt vmcnt(2)
	v_fmac_f32_e32 v145, v2, v136
	v_fma_f32 v2, v115, v130, -v3
	v_fma_f32 v3, v117, v131, -v4
	v_add_f32_e32 v2, 0, v2
	v_fma_f32 v4, v119, v132, -v5
	v_add_f32_e32 v2, v2, v3
	v_mul_f32_e32 v143, v123, v127
	v_mul_f32_e32 v127, v124, v127
	v_fmac_f32_e32 v141, v120, v132
	v_fma_f32 v5, v121, v133, -v6
	v_add_f32_e32 v116, v116, v140
	v_add_f32_e32 v2, v2, v4
	v_mul_f32_e32 v144, v125, v128
	v_mul_f32_e32 v128, v126, v128
	v_fmac_f32_e32 v142, v122, v133
	v_fma_f32 v6, v123, v134, -v127
	v_add_f32_e32 v3, v116, v141
	v_add_f32_e32 v2, v2, v5
	v_fmac_f32_e32 v143, v124, v134
	v_fma_f32 v115, v125, v135, -v128
	v_add_f32_e32 v3, v3, v142
	v_add_f32_e32 v2, v2, v6
	;; [unrolled: 4-line block ×3, first 2 shown]
	v_add_f32_e32 v3, v3, v144
	v_add_f32_e32 v1, v2, v1
	;; [unrolled: 1-line block ×3, first 2 shown]
	s_waitcnt vmcnt(1)
	v_sub_f32_e32 v1, v137, v1
	s_waitcnt vmcnt(0)
	v_sub_f32_e32 v2, v138, v3
	buffer_store_dword v1, off, s[0:3], 0 offset:384
	buffer_store_dword v2, off, s[0:3], 0 offset:388
	s_and_saveexec_b64 s[4:5], vcc
	s_cbranch_execz .LBB55_255
; %bb.254:
	buffer_load_dword v1, off, s[0:3], 0 offset:376
	buffer_load_dword v2, off, s[0:3], 0 offset:380
	s_waitcnt vmcnt(0)
	ds_write_b64 v113, v[1:2]
	buffer_store_dword v114, off, s[0:3], 0 offset:376
	buffer_store_dword v114, off, s[0:3], 0 offset:380
.LBB55_255:
	s_or_b64 exec, exec, s[4:5]
	s_waitcnt lgkmcnt(0)
	; wave barrier
	buffer_load_dword v1, off, s[0:3], 0 offset:388
	buffer_load_dword v2, off, s[0:3], 0 offset:396
	;; [unrolled: 1-line block ×18, first 2 shown]
	ds_read_b128 v[115:118], v114 offset:832
	ds_read_b128 v[119:122], v114 offset:848
	;; [unrolled: 1-line block ×4, first 2 shown]
	v_cmp_lt_u32_e32 vcc, 46, v0
	s_waitcnt vmcnt(17) lgkmcnt(3)
	v_mul_f32_e32 v114, v115, v1
	v_mul_f32_e32 v1, v116, v1
	s_waitcnt vmcnt(16)
	v_mul_f32_e32 v143, v117, v2
	v_mul_f32_e32 v2, v118, v2
	s_waitcnt vmcnt(15) lgkmcnt(2)
	v_mul_f32_e32 v144, v119, v3
	v_mul_f32_e32 v3, v120, v3
	s_waitcnt vmcnt(14)
	v_mul_f32_e32 v145, v121, v4
	v_mul_f32_e32 v4, v122, v4
	s_waitcnt vmcnt(9)
	v_fma_f32 v1, v115, v133, -v1
	v_fmac_f32_e32 v114, v116, v133
	s_waitcnt vmcnt(8)
	v_fma_f32 v2, v117, v134, -v2
	v_add_f32_e32 v1, 0, v1
	v_fmac_f32_e32 v143, v118, v134
	s_waitcnt vmcnt(7)
	v_fma_f32 v3, v119, v135, -v3
	v_add_f32_e32 v114, 0, v114
	v_add_f32_e32 v1, v1, v2
	s_waitcnt lgkmcnt(1)
	v_mul_f32_e32 v146, v123, v5
	v_mul_f32_e32 v5, v124, v5
	v_fmac_f32_e32 v144, v120, v135
	s_waitcnt vmcnt(6)
	v_fma_f32 v4, v121, v136, -v4
	v_add_f32_e32 v114, v114, v143
	v_add_f32_e32 v1, v1, v3
	v_mul_f32_e32 v147, v125, v6
	v_mul_f32_e32 v6, v126, v6
	v_fmac_f32_e32 v145, v122, v136
	s_waitcnt vmcnt(5)
	v_fma_f32 v5, v123, v137, -v5
	v_add_f32_e32 v2, v114, v144
	v_add_f32_e32 v1, v1, v4
	s_waitcnt lgkmcnt(0)
	v_mul_f32_e32 v148, v127, v131
	v_mul_f32_e32 v131, v128, v131
	v_fmac_f32_e32 v146, v124, v137
	s_waitcnt vmcnt(4)
	v_fma_f32 v6, v125, v138, -v6
	v_add_f32_e32 v2, v2, v145
	v_add_f32_e32 v1, v1, v5
	v_mul_f32_e32 v149, v129, v132
	v_mul_f32_e32 v132, v130, v132
	v_fmac_f32_e32 v147, v126, v138
	s_waitcnt vmcnt(3)
	v_fma_f32 v115, v127, v139, -v131
	v_add_f32_e32 v2, v2, v146
	v_add_f32_e32 v1, v1, v6
	v_fmac_f32_e32 v148, v128, v139
	s_waitcnt vmcnt(2)
	v_fma_f32 v116, v129, v140, -v132
	v_add_f32_e32 v2, v2, v147
	v_add_f32_e32 v1, v1, v115
	v_fmac_f32_e32 v149, v130, v140
	v_add_f32_e32 v2, v2, v148
	v_add_f32_e32 v1, v1, v116
	;; [unrolled: 1-line block ×3, first 2 shown]
	s_waitcnt vmcnt(1)
	v_sub_f32_e32 v1, v141, v1
	s_waitcnt vmcnt(0)
	v_sub_f32_e32 v2, v142, v2
	buffer_store_dword v1, off, s[0:3], 0 offset:376
	buffer_store_dword v2, off, s[0:3], 0 offset:380
	s_and_saveexec_b64 s[4:5], vcc
	s_cbranch_execz .LBB55_257
; %bb.256:
	buffer_load_dword v1, off, s[0:3], 0 offset:368
	buffer_load_dword v2, off, s[0:3], 0 offset:372
	v_mov_b32_e32 v3, 0
	buffer_store_dword v3, off, s[0:3], 0 offset:368
	buffer_store_dword v3, off, s[0:3], 0 offset:372
	s_waitcnt vmcnt(2)
	ds_write_b64 v113, v[1:2]
.LBB55_257:
	s_or_b64 exec, exec, s[4:5]
	s_waitcnt lgkmcnt(0)
	; wave barrier
	buffer_load_dword v3, off, s[0:3], 0 offset:380
	buffer_load_dword v4, off, s[0:3], 0 offset:388
	;; [unrolled: 1-line block ×20, first 2 shown]
	v_mov_b32_e32 v114, 0
	ds_read2_b64 v[115:118], v114 offset0:103 offset1:104
	ds_read2_b64 v[119:122], v114 offset0:105 offset1:106
	;; [unrolled: 1-line block ×4, first 2 shown]
	ds_read_b64 v[1:2], v114 offset:888
	v_cmp_lt_u32_e32 vcc, 45, v0
	s_waitcnt vmcnt(19) lgkmcnt(4)
	v_mul_f32_e32 v147, v115, v3
	v_mul_f32_e32 v3, v116, v3
	s_waitcnt vmcnt(18)
	v_mul_f32_e32 v148, v117, v4
	v_mul_f32_e32 v4, v118, v4
	s_waitcnt vmcnt(17) lgkmcnt(3)
	v_mul_f32_e32 v149, v119, v5
	v_mul_f32_e32 v5, v120, v5
	s_waitcnt vmcnt(16)
	v_mul_f32_e32 v150, v121, v6
	v_mul_f32_e32 v6, v122, v6
	s_waitcnt vmcnt(11) lgkmcnt(0)
	v_mul_f32_e32 v155, v1, v135
	v_mul_f32_e32 v135, v2, v135
	s_waitcnt vmcnt(10)
	v_fmac_f32_e32 v147, v116, v136
	s_waitcnt vmcnt(9)
	v_fmac_f32_e32 v148, v118, v137
	v_add_f32_e32 v118, 0, v147
	v_mul_f32_e32 v151, v123, v131
	v_mul_f32_e32 v131, v124, v131
	s_waitcnt vmcnt(8)
	v_fmac_f32_e32 v149, v120, v138
	v_add_f32_e32 v118, v118, v148
	s_waitcnt vmcnt(2)
	v_fmac_f32_e32 v155, v2, v144
	v_fma_f32 v2, v115, v136, -v3
	v_fma_f32 v3, v117, v137, -v4
	v_add_f32_e32 v2, 0, v2
	v_fma_f32 v4, v119, v138, -v5
	v_add_f32_e32 v2, v2, v3
	v_fma_f32 v5, v121, v139, -v6
	v_add_f32_e32 v2, v2, v4
	v_mul_f32_e32 v152, v125, v132
	v_mul_f32_e32 v132, v126, v132
	v_fmac_f32_e32 v150, v122, v139
	v_fma_f32 v6, v123, v140, -v131
	v_add_f32_e32 v3, v118, v149
	v_add_f32_e32 v2, v2, v5
	v_mul_f32_e32 v153, v127, v133
	v_mul_f32_e32 v133, v128, v133
	v_fmac_f32_e32 v151, v124, v140
	v_fma_f32 v115, v125, v141, -v132
	v_add_f32_e32 v3, v3, v150
	v_add_f32_e32 v2, v2, v6
	;; [unrolled: 6-line block ×3, first 2 shown]
	v_fmac_f32_e32 v153, v128, v142
	v_fma_f32 v117, v129, v143, -v134
	v_add_f32_e32 v3, v3, v152
	v_add_f32_e32 v2, v2, v116
	v_fmac_f32_e32 v154, v130, v143
	v_fma_f32 v1, v1, v144, -v135
	v_add_f32_e32 v3, v3, v153
	v_add_f32_e32 v2, v2, v117
	;; [unrolled: 1-line block ×5, first 2 shown]
	s_waitcnt vmcnt(1)
	v_sub_f32_e32 v1, v145, v1
	s_waitcnt vmcnt(0)
	v_sub_f32_e32 v2, v146, v3
	buffer_store_dword v1, off, s[0:3], 0 offset:368
	buffer_store_dword v2, off, s[0:3], 0 offset:372
	s_and_saveexec_b64 s[4:5], vcc
	s_cbranch_execz .LBB55_259
; %bb.258:
	buffer_load_dword v1, off, s[0:3], 0 offset:360
	buffer_load_dword v2, off, s[0:3], 0 offset:364
	s_waitcnt vmcnt(0)
	ds_write_b64 v113, v[1:2]
	buffer_store_dword v114, off, s[0:3], 0 offset:360
	buffer_store_dword v114, off, s[0:3], 0 offset:364
.LBB55_259:
	s_or_b64 exec, exec, s[4:5]
	s_waitcnt lgkmcnt(0)
	; wave barrier
	buffer_load_dword v1, off, s[0:3], 0 offset:372
	buffer_load_dword v2, off, s[0:3], 0 offset:380
	;; [unrolled: 1-line block ×22, first 2 shown]
	ds_read_b128 v[115:118], v114 offset:816
	ds_read_b128 v[119:122], v114 offset:832
	;; [unrolled: 1-line block ×5, first 2 shown]
	v_cmp_lt_u32_e32 vcc, 44, v0
	s_waitcnt vmcnt(21) lgkmcnt(4)
	v_mul_f32_e32 v114, v115, v1
	v_mul_f32_e32 v1, v116, v1
	s_waitcnt vmcnt(20)
	v_mul_f32_e32 v151, v117, v2
	v_mul_f32_e32 v2, v118, v2
	s_waitcnt vmcnt(19) lgkmcnt(3)
	v_mul_f32_e32 v152, v119, v3
	v_mul_f32_e32 v3, v120, v3
	s_waitcnt vmcnt(18)
	v_mul_f32_e32 v153, v121, v4
	v_mul_f32_e32 v4, v122, v4
	s_waitcnt vmcnt(17) lgkmcnt(2)
	v_mul_f32_e32 v154, v123, v5
	v_mul_f32_e32 v5, v124, v5
	s_waitcnt vmcnt(11)
	v_fma_f32 v1, v115, v139, -v1
	v_fmac_f32_e32 v114, v116, v139
	s_waitcnt vmcnt(10)
	v_fma_f32 v2, v117, v140, -v2
	v_add_f32_e32 v1, 0, v1
	v_fmac_f32_e32 v151, v118, v140
	s_waitcnt vmcnt(9)
	v_fma_f32 v3, v119, v141, -v3
	v_add_f32_e32 v114, 0, v114
	v_add_f32_e32 v1, v1, v2
	v_fmac_f32_e32 v152, v120, v141
	s_waitcnt vmcnt(8)
	v_fma_f32 v4, v121, v142, -v4
	v_add_f32_e32 v114, v114, v151
	v_add_f32_e32 v1, v1, v3
	v_mul_f32_e32 v155, v125, v6
	v_mul_f32_e32 v6, v126, v6
	v_fmac_f32_e32 v153, v122, v142
	s_waitcnt vmcnt(7)
	v_fma_f32 v5, v123, v143, -v5
	v_add_f32_e32 v2, v114, v152
	v_add_f32_e32 v1, v1, v4
	s_waitcnt lgkmcnt(1)
	v_mul_f32_e32 v156, v127, v135
	v_mul_f32_e32 v135, v128, v135
	v_fmac_f32_e32 v154, v124, v143
	s_waitcnt vmcnt(6)
	v_fma_f32 v6, v125, v144, -v6
	v_add_f32_e32 v2, v2, v153
	v_add_f32_e32 v1, v1, v5
	v_mul_f32_e32 v157, v129, v136
	v_mul_f32_e32 v136, v130, v136
	v_fmac_f32_e32 v155, v126, v144
	s_waitcnt vmcnt(5)
	v_fma_f32 v115, v127, v145, -v135
	v_add_f32_e32 v2, v2, v154
	v_add_f32_e32 v1, v1, v6
	s_waitcnt lgkmcnt(0)
	v_mul_f32_e32 v158, v131, v137
	v_mul_f32_e32 v137, v132, v137
	v_fmac_f32_e32 v156, v128, v145
	s_waitcnt vmcnt(4)
	v_fma_f32 v116, v129, v146, -v136
	v_add_f32_e32 v2, v2, v155
	v_add_f32_e32 v1, v1, v115
	v_mul_f32_e32 v159, v133, v138
	v_mul_f32_e32 v138, v134, v138
	v_fmac_f32_e32 v157, v130, v146
	s_waitcnt vmcnt(3)
	v_fma_f32 v117, v131, v147, -v137
	v_add_f32_e32 v2, v2, v156
	v_add_f32_e32 v1, v1, v116
	v_fmac_f32_e32 v158, v132, v147
	s_waitcnt vmcnt(2)
	v_fma_f32 v118, v133, v148, -v138
	v_add_f32_e32 v2, v2, v157
	v_add_f32_e32 v1, v1, v117
	v_fmac_f32_e32 v159, v134, v148
	v_add_f32_e32 v2, v2, v158
	v_add_f32_e32 v1, v1, v118
	;; [unrolled: 1-line block ×3, first 2 shown]
	s_waitcnt vmcnt(1)
	v_sub_f32_e32 v1, v149, v1
	s_waitcnt vmcnt(0)
	v_sub_f32_e32 v2, v150, v2
	buffer_store_dword v1, off, s[0:3], 0 offset:360
	buffer_store_dword v2, off, s[0:3], 0 offset:364
	s_and_saveexec_b64 s[4:5], vcc
	s_cbranch_execz .LBB55_261
; %bb.260:
	buffer_load_dword v1, off, s[0:3], 0 offset:352
	buffer_load_dword v2, off, s[0:3], 0 offset:356
	v_mov_b32_e32 v3, 0
	buffer_store_dword v3, off, s[0:3], 0 offset:352
	buffer_store_dword v3, off, s[0:3], 0 offset:356
	s_waitcnt vmcnt(2)
	ds_write_b64 v113, v[1:2]
.LBB55_261:
	s_or_b64 exec, exec, s[4:5]
	s_waitcnt lgkmcnt(0)
	; wave barrier
	buffer_load_dword v3, off, s[0:3], 0 offset:364
	buffer_load_dword v4, off, s[0:3], 0 offset:372
	buffer_load_dword v5, off, s[0:3], 0 offset:380
	buffer_load_dword v6, off, s[0:3], 0 offset:388
	buffer_load_dword v135, off, s[0:3], 0 offset:396
	buffer_load_dword v136, off, s[0:3], 0 offset:404
	buffer_load_dword v137, off, s[0:3], 0 offset:412
	buffer_load_dword v138, off, s[0:3], 0 offset:420
	buffer_load_dword v139, off, s[0:3], 0 offset:428
	buffer_load_dword v140, off, s[0:3], 0 offset:436
	buffer_load_dword v141, off, s[0:3], 0 offset:444
	buffer_load_dword v142, off, s[0:3], 0 offset:360
	buffer_load_dword v143, off, s[0:3], 0 offset:368
	buffer_load_dword v144, off, s[0:3], 0 offset:376
	buffer_load_dword v145, off, s[0:3], 0 offset:384
	buffer_load_dword v146, off, s[0:3], 0 offset:392
	buffer_load_dword v147, off, s[0:3], 0 offset:400
	buffer_load_dword v148, off, s[0:3], 0 offset:408
	buffer_load_dword v149, off, s[0:3], 0 offset:416
	buffer_load_dword v150, off, s[0:3], 0 offset:424
	buffer_load_dword v151, off, s[0:3], 0 offset:432
	buffer_load_dword v152, off, s[0:3], 0 offset:440
	buffer_load_dword v153, off, s[0:3], 0 offset:352
	buffer_load_dword v154, off, s[0:3], 0 offset:356
	v_mov_b32_e32 v114, 0
	ds_read2_b64 v[115:118], v114 offset0:101 offset1:102
	ds_read2_b64 v[119:122], v114 offset0:103 offset1:104
	;; [unrolled: 1-line block ×5, first 2 shown]
	ds_read_b64 v[1:2], v114 offset:888
	v_cmp_lt_u32_e32 vcc, 43, v0
	s_waitcnt vmcnt(23) lgkmcnt(5)
	v_mul_f32_e32 v155, v115, v3
	v_mul_f32_e32 v3, v116, v3
	s_waitcnt vmcnt(22)
	v_mul_f32_e32 v156, v117, v4
	v_mul_f32_e32 v4, v118, v4
	s_waitcnt vmcnt(21) lgkmcnt(4)
	v_mul_f32_e32 v157, v119, v5
	v_mul_f32_e32 v5, v120, v5
	s_waitcnt vmcnt(20)
	v_mul_f32_e32 v158, v121, v6
	v_mul_f32_e32 v6, v122, v6
	s_waitcnt vmcnt(19) lgkmcnt(3)
	v_mul_f32_e32 v159, v123, v135
	v_mul_f32_e32 v135, v124, v135
	s_waitcnt vmcnt(18)
	v_mul_f32_e32 v160, v125, v136
	s_waitcnt vmcnt(12)
	v_fma_f32 v3, v115, v142, -v3
	v_fmac_f32_e32 v155, v116, v142
	s_waitcnt vmcnt(11)
	v_fma_f32 v4, v117, v143, -v4
	v_add_f32_e32 v3, 0, v3
	v_fmac_f32_e32 v156, v118, v143
	s_waitcnt vmcnt(10)
	v_fmac_f32_e32 v157, v120, v144
	v_fma_f32 v5, v119, v144, -v5
	v_add_f32_e32 v120, 0, v155
	v_add_f32_e32 v3, v3, v4
	s_waitcnt vmcnt(9)
	v_fma_f32 v6, v121, v145, -v6
	v_add_f32_e32 v120, v120, v156
	v_add_f32_e32 v3, v3, v5
	v_mul_f32_e32 v136, v126, v136
	v_fmac_f32_e32 v158, v122, v145
	s_waitcnt vmcnt(8)
	v_fma_f32 v115, v123, v146, -v135
	v_add_f32_e32 v4, v120, v157
	v_add_f32_e32 v3, v3, v6
	s_waitcnt lgkmcnt(2)
	v_mul_f32_e32 v161, v127, v137
	v_mul_f32_e32 v137, v128, v137
	v_fmac_f32_e32 v159, v124, v146
	s_waitcnt vmcnt(7)
	v_fma_f32 v116, v125, v147, -v136
	v_add_f32_e32 v4, v4, v158
	v_add_f32_e32 v3, v3, v115
	v_mul_f32_e32 v162, v129, v138
	v_mul_f32_e32 v138, v130, v138
	v_fmac_f32_e32 v160, v126, v147
	s_waitcnt vmcnt(6)
	v_fma_f32 v117, v127, v148, -v137
	v_add_f32_e32 v4, v4, v159
	v_add_f32_e32 v3, v3, v116
	s_waitcnt lgkmcnt(1)
	v_mul_f32_e32 v163, v131, v139
	v_mul_f32_e32 v139, v132, v139
	v_fmac_f32_e32 v161, v128, v148
	s_waitcnt vmcnt(5)
	v_fma_f32 v118, v129, v149, -v138
	v_add_f32_e32 v4, v4, v160
	v_add_f32_e32 v3, v3, v117
	s_waitcnt lgkmcnt(0)
	v_mul_f32_e32 v165, v1, v141
	v_fmac_f32_e32 v162, v130, v149
	s_waitcnt vmcnt(4)
	v_fma_f32 v119, v131, v150, -v139
	v_add_f32_e32 v4, v4, v161
	v_add_f32_e32 v3, v3, v118
	v_mul_f32_e32 v5, v134, v140
	v_mul_f32_e32 v164, v133, v140
	v_fmac_f32_e32 v163, v132, v150
	s_waitcnt vmcnt(2)
	v_fmac_f32_e32 v165, v2, v152
	v_add_f32_e32 v4, v4, v162
	v_add_f32_e32 v3, v3, v119
	v_fma_f32 v5, v133, v151, -v5
	v_mul_f32_e32 v2, v2, v141
	v_fmac_f32_e32 v164, v134, v151
	v_add_f32_e32 v4, v4, v163
	v_add_f32_e32 v3, v3, v5
	v_fma_f32 v1, v1, v152, -v2
	v_add_f32_e32 v4, v4, v164
	v_add_f32_e32 v1, v3, v1
	;; [unrolled: 1-line block ×3, first 2 shown]
	s_waitcnt vmcnt(1)
	v_sub_f32_e32 v1, v153, v1
	s_waitcnt vmcnt(0)
	v_sub_f32_e32 v2, v154, v4
	buffer_store_dword v1, off, s[0:3], 0 offset:352
	buffer_store_dword v2, off, s[0:3], 0 offset:356
	s_and_saveexec_b64 s[4:5], vcc
	s_cbranch_execz .LBB55_263
; %bb.262:
	buffer_load_dword v1, off, s[0:3], 0 offset:344
	buffer_load_dword v2, off, s[0:3], 0 offset:348
	s_waitcnt vmcnt(0)
	ds_write_b64 v113, v[1:2]
	buffer_store_dword v114, off, s[0:3], 0 offset:344
	buffer_store_dword v114, off, s[0:3], 0 offset:348
.LBB55_263:
	s_or_b64 exec, exec, s[4:5]
	s_waitcnt lgkmcnt(0)
	; wave barrier
	buffer_load_dword v1, off, s[0:3], 0 offset:356
	buffer_load_dword v2, off, s[0:3], 0 offset:364
	;; [unrolled: 1-line block ×26, first 2 shown]
	ds_read_b128 v[115:118], v114 offset:800
	ds_read_b128 v[119:122], v114 offset:816
	;; [unrolled: 1-line block ×6, first 2 shown]
	v_cmp_lt_u32_e32 vcc, 42, v0
	s_waitcnt vmcnt(25) lgkmcnt(5)
	v_mul_f32_e32 v114, v115, v1
	v_mul_f32_e32 v1, v116, v1
	s_waitcnt vmcnt(24)
	v_mul_f32_e32 v159, v117, v2
	v_mul_f32_e32 v2, v118, v2
	s_waitcnt vmcnt(23) lgkmcnt(4)
	v_mul_f32_e32 v160, v119, v3
	v_mul_f32_e32 v3, v120, v3
	s_waitcnt vmcnt(22)
	v_mul_f32_e32 v161, v121, v4
	v_mul_f32_e32 v4, v122, v4
	s_waitcnt vmcnt(21) lgkmcnt(3)
	v_mul_f32_e32 v162, v123, v5
	v_mul_f32_e32 v5, v124, v5
	s_waitcnt vmcnt(20)
	v_mul_f32_e32 v163, v125, v6
	v_mul_f32_e32 v6, v126, v6
	s_waitcnt vmcnt(13)
	v_fma_f32 v1, v115, v145, -v1
	s_waitcnt vmcnt(12)
	v_fma_f32 v2, v117, v146, -v2
	v_add_f32_e32 v1, 0, v1
	s_waitcnt vmcnt(11)
	v_fma_f32 v3, v119, v147, -v3
	v_add_f32_e32 v1, v1, v2
	;; [unrolled: 3-line block ×3, first 2 shown]
	v_fmac_f32_e32 v114, v116, v145
	s_waitcnt vmcnt(9)
	v_fma_f32 v5, v123, v149, -v5
	v_add_f32_e32 v1, v1, v4
	s_waitcnt lgkmcnt(2)
	v_mul_f32_e32 v164, v127, v139
	v_mul_f32_e32 v139, v128, v139
	v_fmac_f32_e32 v159, v118, v146
	s_waitcnt vmcnt(8)
	v_fma_f32 v6, v125, v150, -v6
	v_add_f32_e32 v114, 0, v114
	v_add_f32_e32 v1, v1, v5
	v_mul_f32_e32 v165, v129, v140
	v_mul_f32_e32 v140, v130, v140
	v_fmac_f32_e32 v160, v120, v147
	s_waitcnt vmcnt(7)
	v_fma_f32 v115, v127, v151, -v139
	v_add_f32_e32 v114, v114, v159
	v_add_f32_e32 v1, v1, v6
	v_fmac_f32_e32 v161, v122, v148
	s_waitcnt vmcnt(6)
	v_fma_f32 v116, v129, v152, -v140
	v_add_f32_e32 v2, v114, v160
	v_add_f32_e32 v1, v1, v115
	s_waitcnt lgkmcnt(1)
	v_mul_f32_e32 v3, v132, v141
	v_fmac_f32_e32 v162, v124, v149
	v_add_f32_e32 v2, v2, v161
	v_add_f32_e32 v1, v1, v116
	s_waitcnt vmcnt(5)
	v_fma_f32 v3, v131, v153, -v3
	v_fmac_f32_e32 v163, v126, v150
	v_add_f32_e32 v2, v2, v162
	v_add_f32_e32 v1, v1, v3
	v_mul_f32_e32 v3, v134, v142
	v_fmac_f32_e32 v164, v128, v151
	v_add_f32_e32 v2, v2, v163
	s_waitcnt vmcnt(4)
	v_fma_f32 v3, v133, v154, -v3
	v_mul_f32_e32 v166, v131, v141
	v_fmac_f32_e32 v165, v130, v152
	v_add_f32_e32 v2, v2, v164
	v_add_f32_e32 v1, v1, v3
	s_waitcnt lgkmcnt(0)
	v_mul_f32_e32 v3, v136, v143
	v_mul_f32_e32 v167, v133, v142
	v_fmac_f32_e32 v166, v132, v153
	v_add_f32_e32 v2, v2, v165
	s_waitcnt vmcnt(3)
	v_fma_f32 v3, v135, v155, -v3
	v_mul_f32_e32 v168, v135, v143
	v_fmac_f32_e32 v167, v134, v154
	v_add_f32_e32 v2, v2, v166
	v_add_f32_e32 v1, v1, v3
	v_mul_f32_e32 v3, v138, v144
	v_mul_f32_e32 v169, v137, v144
	v_fmac_f32_e32 v168, v136, v155
	v_add_f32_e32 v2, v2, v167
	s_waitcnt vmcnt(2)
	v_fma_f32 v3, v137, v156, -v3
	v_fmac_f32_e32 v169, v138, v156
	v_add_f32_e32 v2, v2, v168
	v_add_f32_e32 v1, v1, v3
	;; [unrolled: 1-line block ×3, first 2 shown]
	s_waitcnt vmcnt(1)
	v_sub_f32_e32 v1, v157, v1
	s_waitcnt vmcnt(0)
	v_sub_f32_e32 v2, v158, v2
	buffer_store_dword v1, off, s[0:3], 0 offset:344
	buffer_store_dword v2, off, s[0:3], 0 offset:348
	s_and_saveexec_b64 s[4:5], vcc
	s_cbranch_execz .LBB55_265
; %bb.264:
	buffer_load_dword v1, off, s[0:3], 0 offset:336
	buffer_load_dword v2, off, s[0:3], 0 offset:340
	v_mov_b32_e32 v3, 0
	buffer_store_dword v3, off, s[0:3], 0 offset:336
	buffer_store_dword v3, off, s[0:3], 0 offset:340
	s_waitcnt vmcnt(2)
	ds_write_b64 v113, v[1:2]
.LBB55_265:
	s_or_b64 exec, exec, s[4:5]
	s_waitcnt lgkmcnt(0)
	; wave barrier
	buffer_load_dword v3, off, s[0:3], 0 offset:348
	buffer_load_dword v4, off, s[0:3], 0 offset:356
	;; [unrolled: 1-line block ×28, first 2 shown]
	v_mov_b32_e32 v114, 0
	ds_read2_b64 v[115:118], v114 offset0:99 offset1:100
	ds_read2_b64 v[119:122], v114 offset0:101 offset1:102
	;; [unrolled: 1-line block ×6, first 2 shown]
	ds_read_b64 v[1:2], v114 offset:888
	v_cmp_lt_u32_e32 vcc, 41, v0
	s_waitcnt vmcnt(27) lgkmcnt(6)
	v_mul_f32_e32 v163, v115, v3
	v_mul_f32_e32 v3, v116, v3
	s_waitcnt vmcnt(26)
	v_mul_f32_e32 v164, v117, v4
	v_mul_f32_e32 v4, v118, v4
	s_waitcnt vmcnt(25) lgkmcnt(5)
	v_mul_f32_e32 v165, v119, v5
	v_mul_f32_e32 v5, v120, v5
	s_waitcnt vmcnt(24)
	v_mul_f32_e32 v166, v121, v6
	v_mul_f32_e32 v6, v122, v6
	;; [unrolled: 6-line block ×3, first 2 shown]
	s_waitcnt vmcnt(21) lgkmcnt(3)
	v_mul_f32_e32 v169, v127, v141
	s_waitcnt vmcnt(14)
	v_fma_f32 v3, v115, v148, -v3
	s_waitcnt vmcnt(13)
	v_fma_f32 v4, v117, v149, -v4
	v_add_f32_e32 v3, 0, v3
	s_waitcnt vmcnt(12)
	v_fma_f32 v5, v119, v150, -v5
	v_add_f32_e32 v3, v3, v4
	;; [unrolled: 3-line block ×4, first 2 shown]
	v_fmac_f32_e32 v163, v116, v148
	s_waitcnt vmcnt(9)
	v_fma_f32 v116, v125, v153, -v140
	v_add_f32_e32 v3, v3, v115
	v_mul_f32_e32 v5, v128, v141
	v_add_f32_e32 v3, v3, v116
	s_waitcnt vmcnt(8)
	v_fma_f32 v5, v127, v154, -v5
	v_fmac_f32_e32 v164, v118, v149
	v_add_f32_e32 v117, 0, v163
	v_add_f32_e32 v3, v3, v5
	v_mul_f32_e32 v5, v130, v142
	v_fmac_f32_e32 v165, v120, v150
	v_add_f32_e32 v117, v117, v164
	s_waitcnt vmcnt(7)
	v_fma_f32 v5, v129, v155, -v5
	v_fmac_f32_e32 v166, v122, v151
	v_add_f32_e32 v4, v117, v165
	v_add_f32_e32 v3, v3, v5
	s_waitcnt lgkmcnt(2)
	v_mul_f32_e32 v5, v132, v143
	v_fmac_f32_e32 v167, v124, v152
	v_add_f32_e32 v4, v4, v166
	s_waitcnt vmcnt(6)
	v_fma_f32 v5, v131, v156, -v5
	v_fmac_f32_e32 v168, v126, v153
	v_add_f32_e32 v4, v4, v167
	v_add_f32_e32 v3, v3, v5
	v_mul_f32_e32 v5, v134, v144
	v_mul_f32_e32 v170, v129, v142
	v_fmac_f32_e32 v169, v128, v154
	v_add_f32_e32 v4, v4, v168
	s_waitcnt vmcnt(5)
	v_fma_f32 v5, v133, v157, -v5
	v_mul_f32_e32 v171, v131, v143
	v_fmac_f32_e32 v170, v130, v155
	v_add_f32_e32 v4, v4, v169
	v_add_f32_e32 v3, v3, v5
	s_waitcnt lgkmcnt(1)
	v_mul_f32_e32 v5, v136, v145
	v_mul_f32_e32 v172, v133, v144
	v_fmac_f32_e32 v171, v132, v156
	v_add_f32_e32 v4, v4, v170
	s_waitcnt vmcnt(4)
	v_fma_f32 v5, v135, v158, -v5
	v_mul_f32_e32 v173, v135, v145
	s_waitcnt lgkmcnt(0)
	v_mul_f32_e32 v175, v1, v147
	v_fmac_f32_e32 v172, v134, v157
	v_add_f32_e32 v4, v4, v171
	v_add_f32_e32 v3, v3, v5
	v_mul_f32_e32 v5, v138, v146
	v_mul_f32_e32 v174, v137, v146
	v_fmac_f32_e32 v173, v136, v158
	s_waitcnt vmcnt(2)
	v_fmac_f32_e32 v175, v2, v160
	v_add_f32_e32 v4, v4, v172
	v_fma_f32 v5, v137, v159, -v5
	v_mul_f32_e32 v2, v2, v147
	v_fmac_f32_e32 v174, v138, v159
	v_add_f32_e32 v4, v4, v173
	v_add_f32_e32 v3, v3, v5
	v_fma_f32 v1, v1, v160, -v2
	v_add_f32_e32 v4, v4, v174
	v_add_f32_e32 v1, v3, v1
	;; [unrolled: 1-line block ×3, first 2 shown]
	s_waitcnt vmcnt(1)
	v_sub_f32_e32 v1, v161, v1
	s_waitcnt vmcnt(0)
	v_sub_f32_e32 v2, v162, v4
	buffer_store_dword v1, off, s[0:3], 0 offset:336
	buffer_store_dword v2, off, s[0:3], 0 offset:340
	s_and_saveexec_b64 s[4:5], vcc
	s_cbranch_execz .LBB55_267
; %bb.266:
	buffer_load_dword v1, off, s[0:3], 0 offset:328
	buffer_load_dword v2, off, s[0:3], 0 offset:332
	s_waitcnt vmcnt(0)
	ds_write_b64 v113, v[1:2]
	buffer_store_dword v114, off, s[0:3], 0 offset:328
	buffer_store_dword v114, off, s[0:3], 0 offset:332
.LBB55_267:
	s_or_b64 exec, exec, s[4:5]
	s_waitcnt lgkmcnt(0)
	; wave barrier
	buffer_load_dword v1, off, s[0:3], 0 offset:340
	buffer_load_dword v2, off, s[0:3], 0 offset:348
	;; [unrolled: 1-line block ×30, first 2 shown]
	ds_read_b128 v[115:118], v114 offset:784
	ds_read_b128 v[119:122], v114 offset:800
	;; [unrolled: 1-line block ×7, first 2 shown]
	v_cmp_lt_u32_e32 vcc, 40, v0
	s_waitcnt vmcnt(29) lgkmcnt(6)
	v_mul_f32_e32 v114, v115, v1
	v_mul_f32_e32 v1, v116, v1
	s_waitcnt vmcnt(28)
	v_mul_f32_e32 v167, v117, v2
	v_mul_f32_e32 v2, v118, v2
	s_waitcnt vmcnt(27) lgkmcnt(5)
	v_mul_f32_e32 v168, v119, v3
	v_mul_f32_e32 v3, v120, v3
	s_waitcnt vmcnt(26)
	v_mul_f32_e32 v169, v121, v4
	v_mul_f32_e32 v4, v122, v4
	s_waitcnt vmcnt(25) lgkmcnt(4)
	v_mul_f32_e32 v170, v123, v5
	v_mul_f32_e32 v5, v124, v5
	s_waitcnt vmcnt(24)
	v_mul_f32_e32 v171, v125, v6
	s_waitcnt vmcnt(23) lgkmcnt(3)
	v_mul_f32_e32 v172, v127, v143
	s_waitcnt vmcnt(22)
	v_mul_f32_e32 v173, v129, v144
	s_waitcnt vmcnt(21) lgkmcnt(2)
	v_mul_f32_e32 v174, v131, v145
	s_waitcnt vmcnt(15)
	v_fma_f32 v1, v115, v151, -v1
	s_waitcnt vmcnt(14)
	v_fma_f32 v2, v117, v152, -v2
	v_add_f32_e32 v1, 0, v1
	s_waitcnt vmcnt(13)
	v_fma_f32 v3, v119, v153, -v3
	v_add_f32_e32 v1, v1, v2
	;; [unrolled: 3-line block ×4, first 2 shown]
	v_mul_f32_e32 v3, v126, v6
	v_add_f32_e32 v1, v1, v5
	s_waitcnt vmcnt(10)
	v_fma_f32 v3, v125, v156, -v3
	v_add_f32_e32 v1, v1, v3
	v_mul_f32_e32 v3, v128, v143
	s_waitcnt vmcnt(9)
	v_fma_f32 v3, v127, v157, -v3
	v_add_f32_e32 v1, v1, v3
	v_mul_f32_e32 v3, v130, v144
	v_fmac_f32_e32 v114, v116, v151
	s_waitcnt vmcnt(8)
	v_fma_f32 v3, v129, v158, -v3
	v_fmac_f32_e32 v167, v118, v152
	v_add_f32_e32 v114, 0, v114
	v_add_f32_e32 v1, v1, v3
	v_mul_f32_e32 v3, v132, v145
	v_fmac_f32_e32 v168, v120, v153
	v_add_f32_e32 v114, v114, v167
	s_waitcnt vmcnt(7)
	v_fma_f32 v3, v131, v159, -v3
	v_fmac_f32_e32 v169, v122, v154
	v_add_f32_e32 v2, v114, v168
	v_add_f32_e32 v1, v1, v3
	v_mul_f32_e32 v3, v134, v146
	v_fmac_f32_e32 v170, v124, v155
	v_add_f32_e32 v2, v2, v169
	s_waitcnt vmcnt(6)
	v_fma_f32 v3, v133, v160, -v3
	v_fmac_f32_e32 v171, v126, v156
	v_add_f32_e32 v2, v2, v170
	v_add_f32_e32 v1, v1, v3
	s_waitcnt lgkmcnt(1)
	v_mul_f32_e32 v3, v136, v147
	v_fmac_f32_e32 v172, v128, v157
	v_add_f32_e32 v2, v2, v171
	s_waitcnt vmcnt(5)
	v_fma_f32 v3, v135, v161, -v3
	v_fmac_f32_e32 v173, v130, v158
	v_add_f32_e32 v2, v2, v172
	v_add_f32_e32 v1, v1, v3
	v_mul_f32_e32 v3, v138, v148
	v_mul_f32_e32 v175, v133, v146
	v_fmac_f32_e32 v174, v132, v159
	v_add_f32_e32 v2, v2, v173
	s_waitcnt vmcnt(4)
	v_fma_f32 v3, v137, v162, -v3
	v_mul_f32_e32 v176, v135, v147
	v_fmac_f32_e32 v175, v134, v160
	v_add_f32_e32 v2, v2, v174
	v_add_f32_e32 v1, v1, v3
	s_waitcnt lgkmcnt(0)
	v_mul_f32_e32 v3, v140, v149
	v_mul_f32_e32 v177, v137, v148
	v_fmac_f32_e32 v176, v136, v161
	v_add_f32_e32 v2, v2, v175
	s_waitcnt vmcnt(3)
	v_fma_f32 v3, v139, v163, -v3
	v_mul_f32_e32 v178, v139, v149
	v_fmac_f32_e32 v177, v138, v162
	v_add_f32_e32 v2, v2, v176
	v_add_f32_e32 v1, v1, v3
	v_mul_f32_e32 v3, v142, v150
	v_mul_f32_e32 v179, v141, v150
	v_fmac_f32_e32 v178, v140, v163
	v_add_f32_e32 v2, v2, v177
	s_waitcnt vmcnt(2)
	v_fma_f32 v3, v141, v164, -v3
	v_fmac_f32_e32 v179, v142, v164
	v_add_f32_e32 v2, v2, v178
	v_add_f32_e32 v1, v1, v3
	;; [unrolled: 1-line block ×3, first 2 shown]
	s_waitcnt vmcnt(1)
	v_sub_f32_e32 v1, v165, v1
	s_waitcnt vmcnt(0)
	v_sub_f32_e32 v2, v166, v2
	buffer_store_dword v1, off, s[0:3], 0 offset:328
	buffer_store_dword v2, off, s[0:3], 0 offset:332
	s_and_saveexec_b64 s[4:5], vcc
	s_cbranch_execz .LBB55_269
; %bb.268:
	buffer_load_dword v1, off, s[0:3], 0 offset:320
	buffer_load_dword v2, off, s[0:3], 0 offset:324
	v_mov_b32_e32 v3, 0
	buffer_store_dword v3, off, s[0:3], 0 offset:320
	buffer_store_dword v3, off, s[0:3], 0 offset:324
	s_waitcnt vmcnt(2)
	ds_write_b64 v113, v[1:2]
.LBB55_269:
	s_or_b64 exec, exec, s[4:5]
	s_waitcnt lgkmcnt(0)
	; wave barrier
	buffer_load_dword v3, off, s[0:3], 0 offset:332
	buffer_load_dword v4, off, s[0:3], 0 offset:340
	;; [unrolled: 1-line block ×32, first 2 shown]
	v_mov_b32_e32 v114, 0
	ds_read2_b64 v[115:118], v114 offset0:97 offset1:98
	ds_read2_b64 v[119:122], v114 offset0:99 offset1:100
	;; [unrolled: 1-line block ×7, first 2 shown]
	ds_read_b64 v[1:2], v114 offset:888
	v_cmp_lt_u32_e32 vcc, 39, v0
	s_waitcnt vmcnt(31) lgkmcnt(7)
	v_mul_f32_e32 v171, v115, v3
	v_mul_f32_e32 v3, v116, v3
	s_waitcnt vmcnt(30)
	v_mul_f32_e32 v172, v117, v4
	v_mul_f32_e32 v4, v118, v4
	s_waitcnt vmcnt(29) lgkmcnt(6)
	v_mul_f32_e32 v173, v119, v5
	v_mul_f32_e32 v5, v120, v5
	s_waitcnt vmcnt(28)
	v_mul_f32_e32 v174, v121, v6
	s_waitcnt vmcnt(27) lgkmcnt(5)
	v_mul_f32_e32 v175, v123, v143
	s_waitcnt vmcnt(26)
	v_mul_f32_e32 v176, v125, v144
	s_waitcnt vmcnt(25) lgkmcnt(4)
	;; [unrolled: 4-line block ×4, first 2 shown]
	v_mul_f32_e32 v181, v135, v149
	s_waitcnt vmcnt(20)
	v_mul_f32_e32 v182, v137, v150
	s_waitcnt vmcnt(16)
	v_fma_f32 v3, v115, v154, -v3
	s_waitcnt vmcnt(15)
	v_fma_f32 v4, v117, v155, -v4
	v_add_f32_e32 v3, 0, v3
	s_waitcnt vmcnt(14)
	v_fma_f32 v5, v119, v156, -v5
	v_add_f32_e32 v3, v3, v4
	v_add_f32_e32 v3, v3, v5
	v_mul_f32_e32 v5, v122, v6
	s_waitcnt vmcnt(13)
	v_fma_f32 v5, v121, v157, -v5
	v_add_f32_e32 v3, v3, v5
	v_mul_f32_e32 v5, v124, v143
	s_waitcnt vmcnt(12)
	v_fma_f32 v5, v123, v158, -v5
	;; [unrolled: 4-line block ×4, first 2 shown]
	v_add_f32_e32 v3, v3, v5
	v_mul_f32_e32 v5, v130, v146
	v_fmac_f32_e32 v171, v116, v154
	s_waitcnt vmcnt(9)
	v_fma_f32 v5, v129, v161, -v5
	v_fmac_f32_e32 v172, v118, v155
	v_add_f32_e32 v115, 0, v171
	v_add_f32_e32 v3, v3, v5
	v_mul_f32_e32 v5, v132, v147
	v_fmac_f32_e32 v173, v120, v156
	v_add_f32_e32 v115, v115, v172
	s_waitcnt vmcnt(8)
	v_fma_f32 v5, v131, v162, -v5
	v_fmac_f32_e32 v174, v122, v157
	v_add_f32_e32 v4, v115, v173
	v_add_f32_e32 v3, v3, v5
	v_mul_f32_e32 v5, v134, v148
	v_fmac_f32_e32 v175, v124, v158
	v_add_f32_e32 v4, v4, v174
	;; [unrolled: 8-line block ×4, first 2 shown]
	s_waitcnt vmcnt(5)
	v_fma_f32 v5, v137, v165, -v5
	v_fmac_f32_e32 v180, v134, v163
	v_add_f32_e32 v4, v4, v179
	v_add_f32_e32 v3, v3, v5
	s_waitcnt lgkmcnt(1)
	v_mul_f32_e32 v5, v140, v151
	v_fmac_f32_e32 v181, v136, v164
	v_add_f32_e32 v4, v4, v180
	s_waitcnt vmcnt(4)
	v_fma_f32 v5, v139, v166, -v5
	v_mul_f32_e32 v183, v139, v151
	s_waitcnt lgkmcnt(0)
	v_mul_f32_e32 v185, v1, v153
	v_fmac_f32_e32 v182, v138, v165
	v_add_f32_e32 v4, v4, v181
	v_add_f32_e32 v3, v3, v5
	v_mul_f32_e32 v5, v142, v152
	v_mul_f32_e32 v184, v141, v152
	v_fmac_f32_e32 v183, v140, v166
	s_waitcnt vmcnt(2)
	v_fmac_f32_e32 v185, v2, v168
	v_add_f32_e32 v4, v4, v182
	v_fma_f32 v5, v141, v167, -v5
	v_mul_f32_e32 v2, v2, v153
	v_fmac_f32_e32 v184, v142, v167
	v_add_f32_e32 v4, v4, v183
	v_add_f32_e32 v3, v3, v5
	v_fma_f32 v1, v1, v168, -v2
	v_add_f32_e32 v4, v4, v184
	v_add_f32_e32 v1, v3, v1
	;; [unrolled: 1-line block ×3, first 2 shown]
	s_waitcnt vmcnt(1)
	v_sub_f32_e32 v1, v169, v1
	s_waitcnt vmcnt(0)
	v_sub_f32_e32 v2, v170, v4
	buffer_store_dword v1, off, s[0:3], 0 offset:320
	buffer_store_dword v2, off, s[0:3], 0 offset:324
	s_and_saveexec_b64 s[4:5], vcc
	s_cbranch_execz .LBB55_271
; %bb.270:
	buffer_load_dword v1, off, s[0:3], 0 offset:312
	buffer_load_dword v2, off, s[0:3], 0 offset:316
	s_waitcnt vmcnt(0)
	ds_write_b64 v113, v[1:2]
	buffer_store_dword v114, off, s[0:3], 0 offset:312
	buffer_store_dword v114, off, s[0:3], 0 offset:316
.LBB55_271:
	s_or_b64 exec, exec, s[4:5]
	s_waitcnt lgkmcnt(0)
	; wave barrier
	buffer_load_dword v1, off, s[0:3], 0 offset:324
	buffer_load_dword v2, off, s[0:3], 0 offset:332
	;; [unrolled: 1-line block ×34, first 2 shown]
	ds_read_b128 v[115:118], v114 offset:768
	ds_read_b128 v[119:122], v114 offset:784
	;; [unrolled: 1-line block ×8, first 2 shown]
	v_cmp_lt_u32_e32 vcc, 38, v0
	s_waitcnt vmcnt(33) lgkmcnt(7)
	v_mul_f32_e32 v114, v115, v1
	v_mul_f32_e32 v1, v116, v1
	s_waitcnt vmcnt(32)
	v_mul_f32_e32 v175, v117, v2
	v_mul_f32_e32 v2, v118, v2
	s_waitcnt vmcnt(31) lgkmcnt(6)
	v_mul_f32_e32 v176, v119, v3
	v_mul_f32_e32 v3, v120, v3
	s_waitcnt vmcnt(30)
	v_mul_f32_e32 v177, v121, v4
	s_waitcnt vmcnt(29) lgkmcnt(5)
	v_mul_f32_e32 v178, v123, v5
	s_waitcnt vmcnt(28)
	v_mul_f32_e32 v179, v125, v6
	s_waitcnt vmcnt(27) lgkmcnt(4)
	v_mul_f32_e32 v180, v127, v147
	s_waitcnt vmcnt(26)
	v_mul_f32_e32 v181, v129, v148
	s_waitcnt vmcnt(25) lgkmcnt(3)
	v_mul_f32_e32 v182, v131, v149
	s_waitcnt vmcnt(24)
	v_mul_f32_e32 v183, v133, v150
	s_waitcnt vmcnt(23) lgkmcnt(2)
	v_mul_f32_e32 v184, v135, v151
	s_waitcnt vmcnt(22)
	v_mul_f32_e32 v185, v137, v152
	s_waitcnt vmcnt(21) lgkmcnt(1)
	v_mul_f32_e32 v186, v139, v153
	s_waitcnt vmcnt(17)
	v_fma_f32 v1, v115, v157, -v1
	s_waitcnt vmcnt(16)
	v_fma_f32 v2, v117, v158, -v2
	v_add_f32_e32 v1, 0, v1
	v_add_f32_e32 v1, v1, v2
	s_waitcnt vmcnt(15)
	v_fma_f32 v3, v119, v159, -v3
	v_add_f32_e32 v1, v1, v3
	v_mul_f32_e32 v3, v122, v4
	s_waitcnt vmcnt(14)
	v_fma_f32 v3, v121, v160, -v3
	v_add_f32_e32 v1, v1, v3
	v_mul_f32_e32 v3, v124, v5
	;; [unrolled: 4-line block ×6, first 2 shown]
	v_fmac_f32_e32 v114, v116, v157
	s_waitcnt vmcnt(9)
	v_fma_f32 v3, v131, v165, -v3
	v_fmac_f32_e32 v175, v118, v158
	v_add_f32_e32 v114, 0, v114
	v_add_f32_e32 v1, v1, v3
	v_mul_f32_e32 v3, v134, v150
	v_fmac_f32_e32 v176, v120, v159
	v_add_f32_e32 v114, v114, v175
	s_waitcnt vmcnt(8)
	v_fma_f32 v3, v133, v166, -v3
	v_fmac_f32_e32 v177, v122, v160
	v_add_f32_e32 v2, v114, v176
	v_add_f32_e32 v1, v1, v3
	v_mul_f32_e32 v3, v136, v151
	v_fmac_f32_e32 v178, v124, v161
	v_add_f32_e32 v2, v2, v177
	;; [unrolled: 8-line block ×5, first 2 shown]
	s_waitcnt vmcnt(4)
	v_fma_f32 v3, v141, v170, -v3
	v_fmac_f32_e32 v185, v138, v168
	v_add_f32_e32 v2, v2, v184
	v_add_f32_e32 v1, v1, v3
	s_waitcnt lgkmcnt(0)
	v_mul_f32_e32 v3, v144, v155
	v_mul_f32_e32 v187, v141, v154
	v_fmac_f32_e32 v186, v140, v169
	v_add_f32_e32 v2, v2, v185
	s_waitcnt vmcnt(3)
	v_fma_f32 v3, v143, v171, -v3
	v_mul_f32_e32 v188, v143, v155
	v_fmac_f32_e32 v187, v142, v170
	v_add_f32_e32 v2, v2, v186
	v_add_f32_e32 v1, v1, v3
	v_mul_f32_e32 v3, v146, v156
	v_mul_f32_e32 v189, v145, v156
	v_fmac_f32_e32 v188, v144, v171
	v_add_f32_e32 v2, v2, v187
	s_waitcnt vmcnt(2)
	v_fma_f32 v3, v145, v172, -v3
	v_fmac_f32_e32 v189, v146, v172
	v_add_f32_e32 v2, v2, v188
	v_add_f32_e32 v1, v1, v3
	;; [unrolled: 1-line block ×3, first 2 shown]
	s_waitcnt vmcnt(1)
	v_sub_f32_e32 v1, v173, v1
	s_waitcnt vmcnt(0)
	v_sub_f32_e32 v2, v174, v2
	buffer_store_dword v1, off, s[0:3], 0 offset:312
	buffer_store_dword v2, off, s[0:3], 0 offset:316
	s_and_saveexec_b64 s[4:5], vcc
	s_cbranch_execz .LBB55_273
; %bb.272:
	buffer_load_dword v1, off, s[0:3], 0 offset:304
	buffer_load_dword v2, off, s[0:3], 0 offset:308
	v_mov_b32_e32 v3, 0
	buffer_store_dword v3, off, s[0:3], 0 offset:304
	buffer_store_dword v3, off, s[0:3], 0 offset:308
	s_waitcnt vmcnt(2)
	ds_write_b64 v113, v[1:2]
.LBB55_273:
	s_or_b64 exec, exec, s[4:5]
	s_waitcnt lgkmcnt(0)
	; wave barrier
	buffer_load_dword v3, off, s[0:3], 0 offset:316
	buffer_load_dword v4, off, s[0:3], 0 offset:324
	;; [unrolled: 1-line block ×36, first 2 shown]
	v_mov_b32_e32 v114, 0
	ds_read2_b64 v[115:118], v114 offset0:95 offset1:96
	ds_read2_b64 v[119:122], v114 offset0:97 offset1:98
	;; [unrolled: 1-line block ×8, first 2 shown]
	ds_read_b64 v[1:2], v114 offset:888
	v_cmp_lt_u32_e32 vcc, 37, v0
	s_waitcnt vmcnt(35) lgkmcnt(8)
	v_mul_f32_e32 v179, v115, v3
	v_mul_f32_e32 v3, v116, v3
	s_waitcnt vmcnt(34)
	v_mul_f32_e32 v180, v117, v4
	v_mul_f32_e32 v4, v118, v4
	s_waitcnt vmcnt(33) lgkmcnt(7)
	v_mul_f32_e32 v181, v119, v5
	s_waitcnt vmcnt(32)
	v_mul_f32_e32 v182, v121, v6
	s_waitcnt vmcnt(31) lgkmcnt(6)
	v_mul_f32_e32 v183, v123, v147
	s_waitcnt vmcnt(30)
	;; [unrolled: 4-line block ×7, first 2 shown]
	v_fma_f32 v3, v115, v160, -v3
	v_add_f32_e32 v3, 0, v3
	s_waitcnt vmcnt(17)
	v_fma_f32 v4, v117, v161, -v4
	v_add_f32_e32 v3, v3, v4
	v_mul_f32_e32 v4, v120, v5
	s_waitcnt vmcnt(16)
	v_fma_f32 v4, v119, v162, -v4
	v_add_f32_e32 v3, v3, v4
	v_mul_f32_e32 v4, v122, v6
	;; [unrolled: 4-line block ×7, first 2 shown]
	v_fmac_f32_e32 v179, v116, v160
	s_waitcnt vmcnt(10)
	v_fma_f32 v4, v131, v168, -v4
	v_fmac_f32_e32 v180, v118, v161
	v_add_f32_e32 v179, 0, v179
	v_add_f32_e32 v3, v3, v4
	v_mul_f32_e32 v4, v134, v152
	v_fmac_f32_e32 v181, v120, v162
	v_add_f32_e32 v179, v179, v180
	s_waitcnt vmcnt(9)
	v_fma_f32 v4, v133, v169, -v4
	v_fmac_f32_e32 v182, v122, v163
	v_add_f32_e32 v179, v179, v181
	v_add_f32_e32 v3, v3, v4
	v_mul_f32_e32 v4, v136, v153
	v_fmac_f32_e32 v183, v124, v164
	v_add_f32_e32 v179, v179, v182
	;; [unrolled: 8-line block ×6, first 2 shown]
	s_waitcnt vmcnt(4)
	v_fma_f32 v4, v143, v174, -v4
	s_waitcnt lgkmcnt(0)
	v_mul_f32_e32 v195, v1, v159
	v_fmac_f32_e32 v192, v142, v173
	v_add_f32_e32 v179, v179, v191
	v_add_f32_e32 v3, v3, v4
	v_mul_f32_e32 v4, v146, v158
	v_mul_f32_e32 v194, v145, v158
	v_fmac_f32_e32 v193, v144, v174
	s_waitcnt vmcnt(2)
	v_fmac_f32_e32 v195, v2, v176
	v_add_f32_e32 v179, v179, v192
	v_fma_f32 v4, v145, v175, -v4
	v_mul_f32_e32 v2, v2, v159
	v_fmac_f32_e32 v194, v146, v175
	v_add_f32_e32 v179, v179, v193
	v_add_f32_e32 v3, v3, v4
	v_fma_f32 v1, v1, v176, -v2
	v_add_f32_e32 v179, v179, v194
	v_add_f32_e32 v1, v3, v1
	;; [unrolled: 1-line block ×3, first 2 shown]
	s_waitcnt vmcnt(1)
	v_sub_f32_e32 v1, v177, v1
	s_waitcnt vmcnt(0)
	v_sub_f32_e32 v2, v178, v179
	buffer_store_dword v1, off, s[0:3], 0 offset:304
	buffer_store_dword v2, off, s[0:3], 0 offset:308
	s_and_saveexec_b64 s[4:5], vcc
	s_cbranch_execz .LBB55_275
; %bb.274:
	buffer_load_dword v1, off, s[0:3], 0 offset:296
	buffer_load_dword v2, off, s[0:3], 0 offset:300
	s_waitcnt vmcnt(0)
	ds_write_b64 v113, v[1:2]
	buffer_store_dword v114, off, s[0:3], 0 offset:296
	buffer_store_dword v114, off, s[0:3], 0 offset:300
.LBB55_275:
	s_or_b64 exec, exec, s[4:5]
	s_waitcnt lgkmcnt(0)
	; wave barrier
	buffer_load_dword v1, off, s[0:3], 0 offset:308
	buffer_load_dword v2, off, s[0:3], 0 offset:316
	;; [unrolled: 1-line block ×38, first 2 shown]
	ds_read_b128 v[115:118], v114 offset:752
	ds_read_b128 v[119:122], v114 offset:768
	;; [unrolled: 1-line block ×9, first 2 shown]
	v_cmp_lt_u32_e32 vcc, 36, v0
	s_waitcnt vmcnt(37) lgkmcnt(8)
	v_mul_f32_e32 v114, v115, v1
	v_mul_f32_e32 v1, v116, v1
	s_waitcnt vmcnt(36)
	v_mul_f32_e32 v183, v117, v2
	v_mul_f32_e32 v2, v118, v2
	s_waitcnt vmcnt(35) lgkmcnt(7)
	v_mul_f32_e32 v184, v119, v3
	s_waitcnt vmcnt(34)
	v_mul_f32_e32 v185, v121, v4
	s_waitcnt vmcnt(33) lgkmcnt(6)
	v_mul_f32_e32 v186, v123, v5
	s_waitcnt vmcnt(32)
	;; [unrolled: 4-line block ×7, first 2 shown]
	v_fma_f32 v1, v115, v162, -v1
	v_add_f32_e32 v1, 0, v1
	s_waitcnt vmcnt(19)
	v_fma_f32 v2, v117, v163, -v2
	v_add_f32_e32 v1, v1, v2
	v_mul_f32_e32 v2, v120, v3
	s_waitcnt vmcnt(18)
	v_fma_f32 v2, v119, v164, -v2
	v_add_f32_e32 v1, v1, v2
	v_mul_f32_e32 v2, v122, v4
	;; [unrolled: 4-line block ×8, first 2 shown]
	v_fmac_f32_e32 v114, v116, v162
	s_waitcnt vmcnt(11)
	v_fma_f32 v2, v133, v171, -v2
	v_fmac_f32_e32 v183, v118, v163
	v_add_f32_e32 v114, 0, v114
	v_add_f32_e32 v1, v1, v2
	v_mul_f32_e32 v2, v136, v155
	v_fmac_f32_e32 v184, v120, v164
	v_add_f32_e32 v114, v114, v183
	s_waitcnt vmcnt(10)
	v_fma_f32 v2, v135, v172, -v2
	v_fmac_f32_e32 v185, v122, v165
	v_add_f32_e32 v114, v114, v184
	v_add_f32_e32 v1, v1, v2
	v_mul_f32_e32 v2, v138, v156
	v_fmac_f32_e32 v186, v124, v166
	v_add_f32_e32 v114, v114, v185
	;; [unrolled: 8-line block ×6, first 2 shown]
	s_waitcnt vmcnt(5)
	v_fma_f32 v2, v145, v177, -v2
	v_fmac_f32_e32 v195, v142, v175
	v_add_f32_e32 v114, v114, v194
	v_add_f32_e32 v1, v1, v2
	s_waitcnt lgkmcnt(0)
	v_mul_f32_e32 v2, v148, v161
	v_mul_f32_e32 v197, v145, v160
	v_fmac_f32_e32 v196, v144, v176
	v_add_f32_e32 v114, v114, v195
	s_waitcnt vmcnt(4)
	v_fma_f32 v2, v147, v178, -v2
	v_mul_f32_e32 v198, v147, v161
	v_fmac_f32_e32 v197, v146, v177
	v_add_f32_e32 v114, v114, v196
	v_add_f32_e32 v1, v1, v2
	s_waitcnt vmcnt(3)
	v_mul_f32_e32 v2, v150, v179
	v_add_f32_e32 v114, v114, v197
	v_fmac_f32_e32 v198, v148, v178
	v_mul_f32_e32 v183, v149, v179
	s_waitcnt vmcnt(2)
	v_fma_f32 v2, v149, v180, -v2
	v_add_f32_e32 v114, v114, v198
	v_fmac_f32_e32 v183, v150, v180
	v_add_f32_e32 v1, v1, v2
	v_add_f32_e32 v114, v114, v183
	s_waitcnt vmcnt(1)
	v_sub_f32_e32 v1, v181, v1
	s_waitcnt vmcnt(0)
	v_sub_f32_e32 v2, v182, v114
	buffer_store_dword v1, off, s[0:3], 0 offset:296
	buffer_store_dword v2, off, s[0:3], 0 offset:300
	s_and_saveexec_b64 s[4:5], vcc
	s_cbranch_execz .LBB55_277
; %bb.276:
	buffer_load_dword v1, off, s[0:3], 0 offset:288
	buffer_load_dword v2, off, s[0:3], 0 offset:292
	v_mov_b32_e32 v3, 0
	buffer_store_dword v3, off, s[0:3], 0 offset:288
	buffer_store_dword v3, off, s[0:3], 0 offset:292
	s_waitcnt vmcnt(2)
	ds_write_b64 v113, v[1:2]
.LBB55_277:
	s_or_b64 exec, exec, s[4:5]
	s_waitcnt lgkmcnt(0)
	; wave barrier
	buffer_load_dword v3, off, s[0:3], 0 offset:300
	buffer_load_dword v4, off, s[0:3], 0 offset:308
	;; [unrolled: 1-line block ×40, first 2 shown]
	v_mov_b32_e32 v114, 0
	ds_read2_b64 v[115:118], v114 offset0:93 offset1:94
	ds_read2_b64 v[119:122], v114 offset0:95 offset1:96
	;; [unrolled: 1-line block ×9, first 2 shown]
	v_cmp_lt_u32_e32 vcc, 35, v0
	s_waitcnt vmcnt(39) lgkmcnt(8)
	v_mul_f32_e32 v1, v115, v3
	v_mul_f32_e32 v3, v116, v3
	s_waitcnt vmcnt(38)
	v_mul_f32_e32 v2, v117, v4
	v_mul_f32_e32 v4, v118, v4
	s_waitcnt vmcnt(37) lgkmcnt(7)
	v_mul_f32_e32 v187, v119, v5
	s_waitcnt vmcnt(36)
	v_mul_f32_e32 v188, v121, v6
	s_waitcnt vmcnt(35) lgkmcnt(6)
	v_mul_f32_e32 v189, v123, v151
	s_waitcnt vmcnt(34)
	;; [unrolled: 4-line block ×6, first 2 shown]
	v_fma_f32 v3, v115, v162, -v3
	v_add_f32_e32 v3, 0, v3
	s_waitcnt vmcnt(23)
	v_fma_f32 v4, v117, v163, -v4
	v_add_f32_e32 v3, v3, v4
	v_mul_f32_e32 v4, v120, v5
	s_waitcnt vmcnt(22)
	v_fma_f32 v4, v119, v164, -v4
	v_add_f32_e32 v3, v3, v4
	v_mul_f32_e32 v4, v122, v6
	s_waitcnt vmcnt(21)
	v_fma_f32 v4, v121, v165, -v4
	v_add_f32_e32 v3, v3, v4
	v_mul_f32_e32 v4, v124, v151
	s_waitcnt vmcnt(20)
	v_fma_f32 v4, v123, v166, -v4
	v_add_f32_e32 v3, v3, v4
	v_mul_f32_e32 v4, v126, v152
	s_waitcnt vmcnt(19)
	v_fma_f32 v4, v125, v167, -v4
	v_add_f32_e32 v3, v3, v4
	v_mul_f32_e32 v4, v128, v153
	v_fmac_f32_e32 v1, v116, v162
	s_waitcnt vmcnt(18)
	v_fma_f32 v4, v127, v168, -v4
	v_fmac_f32_e32 v2, v118, v163
	v_add_f32_e32 v1, 0, v1
	v_add_f32_e32 v3, v3, v4
	v_mul_f32_e32 v4, v130, v154
	v_fmac_f32_e32 v187, v120, v164
	v_add_f32_e32 v1, v1, v2
	s_waitcnt vmcnt(17)
	v_fma_f32 v4, v129, v169, -v4
	v_fmac_f32_e32 v188, v122, v165
	v_add_f32_e32 v1, v1, v187
	v_add_f32_e32 v3, v3, v4
	v_mul_f32_e32 v4, v132, v155
	v_fmac_f32_e32 v189, v124, v166
	v_add_f32_e32 v1, v1, v188
	;; [unrolled: 8-line block ×5, first 2 shown]
	s_waitcnt vmcnt(13)
	v_fma_f32 v4, v137, v173, -v4
	v_fmac_f32_e32 v196, v138, v173
	v_add_f32_e32 v1, v1, v195
	v_add_f32_e32 v3, v3, v4
	v_mul_f32_e32 v4, v140, v159
	v_mul_f32_e32 v198, v141, v160
	s_waitcnt vmcnt(12)
	v_fmac_f32_e32 v197, v140, v174
	v_add_f32_e32 v1, v1, v196
	v_fma_f32 v4, v139, v174, -v4
	s_waitcnt lgkmcnt(1)
	v_mul_f32_e32 v199, v143, v161
	s_waitcnt vmcnt(11)
	v_fmac_f32_e32 v198, v142, v175
	v_add_f32_e32 v1, v1, v197
	v_add_f32_e32 v3, v3, v4
	v_mul_f32_e32 v4, v142, v160
	s_waitcnt vmcnt(10)
	v_fmac_f32_e32 v199, v144, v176
	v_add_f32_e32 v1, v1, v198
	s_waitcnt vmcnt(9)
	v_mul_f32_e32 v2, v145, v177
	v_fma_f32 v4, v141, v175, -v4
	v_add_f32_e32 v1, v1, v199
	s_waitcnt vmcnt(8)
	v_fmac_f32_e32 v2, v146, v178
	v_add_f32_e32 v3, v3, v4
	v_mul_f32_e32 v4, v144, v161
	v_add_f32_e32 v187, v1, v2
	ds_read_b64 v[1:2], v114 offset:888
	v_fma_f32 v4, v143, v176, -v4
	s_waitcnt vmcnt(7) lgkmcnt(1)
	v_mul_f32_e32 v188, v147, v179
	v_add_f32_e32 v3, v3, v4
	v_mul_f32_e32 v4, v146, v177
	s_waitcnt vmcnt(6)
	v_fmac_f32_e32 v188, v148, v180
	v_fma_f32 v4, v145, v178, -v4
	v_add_f32_e32 v187, v187, v188
	s_waitcnt vmcnt(5)
	v_mul_f32_e32 v188, v149, v181
	v_add_f32_e32 v3, v3, v4
	v_mul_f32_e32 v4, v148, v179
	s_waitcnt vmcnt(4)
	v_fmac_f32_e32 v188, v150, v182
	v_fma_f32 v4, v147, v180, -v4
	v_add_f32_e32 v187, v187, v188
	s_waitcnt vmcnt(3) lgkmcnt(0)
	v_mul_f32_e32 v188, v1, v183
	v_add_f32_e32 v3, v3, v4
	v_mul_f32_e32 v4, v150, v181
	s_waitcnt vmcnt(2)
	v_fmac_f32_e32 v188, v2, v184
	v_fma_f32 v4, v149, v182, -v4
	v_mul_f32_e32 v2, v2, v183
	v_add_f32_e32 v3, v3, v4
	v_fma_f32 v1, v1, v184, -v2
	v_add_f32_e32 v1, v3, v1
	v_add_f32_e32 v187, v187, v188
	s_waitcnt vmcnt(1)
	v_sub_f32_e32 v1, v185, v1
	s_waitcnt vmcnt(0)
	v_sub_f32_e32 v2, v186, v187
	buffer_store_dword v1, off, s[0:3], 0 offset:288
	buffer_store_dword v2, off, s[0:3], 0 offset:292
	s_and_saveexec_b64 s[4:5], vcc
	s_cbranch_execz .LBB55_279
; %bb.278:
	buffer_load_dword v1, off, s[0:3], 0 offset:280
	buffer_load_dword v2, off, s[0:3], 0 offset:284
	s_waitcnt vmcnt(0)
	ds_write_b64 v113, v[1:2]
	buffer_store_dword v114, off, s[0:3], 0 offset:280
	buffer_store_dword v114, off, s[0:3], 0 offset:284
.LBB55_279:
	s_or_b64 exec, exec, s[4:5]
	s_waitcnt lgkmcnt(0)
	; wave barrier
	buffer_load_dword v1, off, s[0:3], 0 offset:292
	buffer_load_dword v2, off, s[0:3], 0 offset:300
	;; [unrolled: 1-line block ×42, first 2 shown]
	ds_read_b128 v[115:118], v114 offset:736
	ds_read_b128 v[119:122], v114 offset:752
	;; [unrolled: 1-line block ×8, first 2 shown]
	v_cmp_lt_u32_e32 vcc, 34, v0
	s_waitcnt vmcnt(41) lgkmcnt(7)
	v_mul_f32_e32 v147, v115, v1
	v_mul_f32_e32 v1, v116, v1
	s_waitcnt vmcnt(40)
	v_mul_f32_e32 v148, v117, v2
	v_mul_f32_e32 v2, v118, v2
	s_waitcnt vmcnt(39) lgkmcnt(6)
	v_mul_f32_e32 v149, v119, v3
	s_waitcnt vmcnt(38)
	v_mul_f32_e32 v150, v121, v4
	s_waitcnt vmcnt(37) lgkmcnt(5)
	v_mul_f32_e32 v151, v123, v5
	s_waitcnt vmcnt(36)
	;; [unrolled: 4-line block ×6, first 2 shown]
	v_fma_f32 v1, v115, v164, -v1
	v_add_f32_e32 v1, 0, v1
	s_waitcnt vmcnt(25)
	v_fma_f32 v2, v117, v165, -v2
	v_add_f32_e32 v1, v1, v2
	v_mul_f32_e32 v2, v120, v3
	s_waitcnt vmcnt(24)
	v_fma_f32 v2, v119, v166, -v2
	v_add_f32_e32 v1, v1, v2
	v_mul_f32_e32 v2, v122, v4
	;; [unrolled: 4-line block ×4, first 2 shown]
	s_waitcnt vmcnt(21)
	v_fma_f32 v2, v125, v169, -v2
	v_fmac_f32_e32 v147, v116, v164
	v_add_f32_e32 v1, v1, v2
	v_mul_f32_e32 v2, v128, v155
	v_fmac_f32_e32 v148, v118, v165
	v_add_f32_e32 v147, 0, v147
	s_waitcnt vmcnt(20)
	v_fma_f32 v2, v127, v170, -v2
	v_fmac_f32_e32 v149, v120, v166
	v_add_f32_e32 v147, v147, v148
	v_add_f32_e32 v1, v1, v2
	v_mul_f32_e32 v2, v130, v156
	v_fmac_f32_e32 v150, v122, v167
	v_add_f32_e32 v147, v147, v149
	s_waitcnt vmcnt(19)
	v_fma_f32 v2, v129, v171, -v2
	v_fmac_f32_e32 v151, v124, v168
	v_add_f32_e32 v147, v147, v150
	;; [unrolled: 8-line block ×5, first 2 shown]
	v_add_f32_e32 v1, v1, v2
	v_mul_f32_e32 v2, v138, v160
	s_waitcnt vmcnt(15)
	v_fmac_f32_e32 v194, v138, v175
	v_add_f32_e32 v147, v147, v193
	v_fma_f32 v2, v137, v175, -v2
	v_mul_f32_e32 v196, v141, v162
	s_waitcnt vmcnt(14)
	v_fmac_f32_e32 v195, v140, v176
	v_add_f32_e32 v147, v147, v194
	v_add_f32_e32 v1, v1, v2
	v_mul_f32_e32 v2, v140, v161
	s_waitcnt lgkmcnt(0)
	v_mul_f32_e32 v197, v143, v163
	s_waitcnt vmcnt(13)
	v_fmac_f32_e32 v196, v142, v177
	v_add_f32_e32 v147, v147, v195
	v_fma_f32 v2, v139, v176, -v2
	s_waitcnt vmcnt(12)
	v_fmac_f32_e32 v197, v144, v178
	v_add_f32_e32 v147, v147, v196
	v_add_f32_e32 v1, v1, v2
	v_mul_f32_e32 v2, v142, v162
	v_add_f32_e32 v151, v147, v197
	ds_read_b128 v[147:150], v114 offset:864
	v_fma_f32 v2, v141, v177, -v2
	v_add_f32_e32 v1, v1, v2
	v_mul_f32_e32 v2, v144, v163
	s_waitcnt vmcnt(11)
	v_mul_f32_e32 v152, v145, v179
	v_fma_f32 v2, v143, v178, -v2
	s_waitcnt vmcnt(10)
	v_fmac_f32_e32 v152, v146, v180
	v_add_f32_e32 v1, v1, v2
	v_mul_f32_e32 v2, v146, v179
	v_add_f32_e32 v191, v151, v152
	ds_read_b128 v[151:154], v114 offset:880
	v_fma_f32 v2, v145, v180, -v2
	v_add_f32_e32 v1, v1, v2
	s_waitcnt vmcnt(9) lgkmcnt(1)
	v_mul_f32_e32 v2, v148, v181
	v_mul_f32_e32 v114, v147, v181
	s_waitcnt vmcnt(8)
	v_fma_f32 v2, v147, v182, -v2
	v_fmac_f32_e32 v114, v148, v182
	v_add_f32_e32 v1, v1, v2
	s_waitcnt vmcnt(7)
	v_mul_f32_e32 v2, v150, v183
	v_add_f32_e32 v114, v191, v114
	v_mul_f32_e32 v191, v149, v183
	s_waitcnt vmcnt(6)
	v_fma_f32 v2, v149, v184, -v2
	v_fmac_f32_e32 v191, v150, v184
	v_add_f32_e32 v1, v1, v2
	s_waitcnt vmcnt(5) lgkmcnt(0)
	v_mul_f32_e32 v2, v152, v185
	v_add_f32_e32 v114, v114, v191
	v_mul_f32_e32 v191, v151, v185
	s_waitcnt vmcnt(4)
	v_fma_f32 v2, v151, v186, -v2
	v_fmac_f32_e32 v191, v152, v186
	v_add_f32_e32 v1, v1, v2
	s_waitcnt vmcnt(3)
	v_mul_f32_e32 v2, v154, v187
	v_add_f32_e32 v114, v114, v191
	v_mul_f32_e32 v191, v153, v187
	s_waitcnt vmcnt(2)
	v_fma_f32 v2, v153, v188, -v2
	v_fmac_f32_e32 v191, v154, v188
	v_add_f32_e32 v1, v1, v2
	v_add_f32_e32 v114, v114, v191
	s_waitcnt vmcnt(1)
	v_sub_f32_e32 v1, v189, v1
	s_waitcnt vmcnt(0)
	v_sub_f32_e32 v2, v190, v114
	buffer_store_dword v1, off, s[0:3], 0 offset:280
	buffer_store_dword v2, off, s[0:3], 0 offset:284
	s_and_saveexec_b64 s[4:5], vcc
	s_cbranch_execz .LBB55_281
; %bb.280:
	buffer_load_dword v1, off, s[0:3], 0 offset:272
	buffer_load_dword v2, off, s[0:3], 0 offset:276
	v_mov_b32_e32 v3, 0
	buffer_store_dword v3, off, s[0:3], 0 offset:272
	buffer_store_dword v3, off, s[0:3], 0 offset:276
	s_waitcnt vmcnt(2)
	ds_write_b64 v113, v[1:2]
.LBB55_281:
	s_or_b64 exec, exec, s[4:5]
	s_waitcnt lgkmcnt(0)
	; wave barrier
	buffer_load_dword v3, off, s[0:3], 0 offset:284
	buffer_load_dword v4, off, s[0:3], 0 offset:292
	buffer_load_dword v5, off, s[0:3], 0 offset:300
	buffer_load_dword v6, off, s[0:3], 0 offset:308
	buffer_load_dword v155, off, s[0:3], 0 offset:316
	buffer_load_dword v156, off, s[0:3], 0 offset:324
	buffer_load_dword v157, off, s[0:3], 0 offset:332
	buffer_load_dword v158, off, s[0:3], 0 offset:340
	buffer_load_dword v159, off, s[0:3], 0 offset:348
	buffer_load_dword v160, off, s[0:3], 0 offset:356
	buffer_load_dword v161, off, s[0:3], 0 offset:364
	buffer_load_dword v162, off, s[0:3], 0 offset:372
	buffer_load_dword v163, off, s[0:3], 0 offset:380
	buffer_load_dword v164, off, s[0:3], 0 offset:388
	buffer_load_dword v165, off, s[0:3], 0 offset:280
	buffer_load_dword v166, off, s[0:3], 0 offset:288
	buffer_load_dword v167, off, s[0:3], 0 offset:296
	buffer_load_dword v168, off, s[0:3], 0 offset:304
	buffer_load_dword v169, off, s[0:3], 0 offset:312
	buffer_load_dword v170, off, s[0:3], 0 offset:320
	buffer_load_dword v171, off, s[0:3], 0 offset:328
	buffer_load_dword v172, off, s[0:3], 0 offset:336
	buffer_load_dword v173, off, s[0:3], 0 offset:344
	buffer_load_dword v174, off, s[0:3], 0 offset:352
	buffer_load_dword v175, off, s[0:3], 0 offset:360
	buffer_load_dword v176, off, s[0:3], 0 offset:368
	buffer_load_dword v177, off, s[0:3], 0 offset:376
	buffer_load_dword v178, off, s[0:3], 0 offset:384
	buffer_load_dword v179, off, s[0:3], 0 offset:396
	buffer_load_dword v180, off, s[0:3], 0 offset:392
	buffer_load_dword v181, off, s[0:3], 0 offset:404
	buffer_load_dword v182, off, s[0:3], 0 offset:400
	buffer_load_dword v183, off, s[0:3], 0 offset:412
	buffer_load_dword v184, off, s[0:3], 0 offset:408
	buffer_load_dword v185, off, s[0:3], 0 offset:420
	buffer_load_dword v186, off, s[0:3], 0 offset:416
	buffer_load_dword v187, off, s[0:3], 0 offset:428
	buffer_load_dword v188, off, s[0:3], 0 offset:424
	buffer_load_dword v189, off, s[0:3], 0 offset:436
	buffer_load_dword v190, off, s[0:3], 0 offset:432
	buffer_load_dword v191, off, s[0:3], 0 offset:444
	buffer_load_dword v192, off, s[0:3], 0 offset:440
	buffer_load_dword v193, off, s[0:3], 0 offset:272
	buffer_load_dword v194, off, s[0:3], 0 offset:276
	v_mov_b32_e32 v114, 0
	ds_read2_b64 v[115:118], v114 offset0:91 offset1:92
	ds_read2_b64 v[119:122], v114 offset0:93 offset1:94
	;; [unrolled: 1-line block ×8, first 2 shown]
	v_cmp_lt_u32_e32 vcc, 33, v0
	s_waitcnt vmcnt(43) lgkmcnt(7)
	v_mul_f32_e32 v1, v115, v3
	v_mul_f32_e32 v3, v116, v3
	s_waitcnt vmcnt(42)
	v_mul_f32_e32 v2, v117, v4
	v_mul_f32_e32 v4, v118, v4
	s_waitcnt vmcnt(41) lgkmcnt(6)
	v_mul_f32_e32 v147, v119, v5
	s_waitcnt vmcnt(40)
	v_mul_f32_e32 v148, v121, v6
	s_waitcnt vmcnt(39) lgkmcnt(5)
	v_mul_f32_e32 v149, v123, v155
	s_waitcnt vmcnt(38)
	;; [unrolled: 4-line block ×5, first 2 shown]
	v_mul_f32_e32 v196, v137, v162
	s_waitcnt vmcnt(29)
	v_fma_f32 v3, v115, v165, -v3
	v_add_f32_e32 v3, 0, v3
	s_waitcnt vmcnt(28)
	v_fma_f32 v4, v117, v166, -v4
	v_add_f32_e32 v3, v3, v4
	v_mul_f32_e32 v4, v120, v5
	s_waitcnt vmcnt(27)
	v_fma_f32 v4, v119, v167, -v4
	v_add_f32_e32 v3, v3, v4
	v_mul_f32_e32 v4, v122, v6
	;; [unrolled: 4-line block ×4, first 2 shown]
	s_waitcnt vmcnt(24)
	v_fma_f32 v4, v125, v170, -v4
	v_fmac_f32_e32 v1, v116, v165
	v_add_f32_e32 v3, v3, v4
	v_mul_f32_e32 v4, v128, v157
	v_fmac_f32_e32 v2, v118, v166
	v_add_f32_e32 v1, 0, v1
	s_waitcnt vmcnt(23)
	v_fma_f32 v4, v127, v171, -v4
	v_fmac_f32_e32 v147, v120, v167
	v_add_f32_e32 v1, v1, v2
	v_add_f32_e32 v3, v3, v4
	v_mul_f32_e32 v4, v130, v158
	v_fmac_f32_e32 v148, v122, v168
	v_add_f32_e32 v1, v1, v147
	s_waitcnt vmcnt(22)
	v_fma_f32 v4, v129, v172, -v4
	v_fmac_f32_e32 v149, v124, v169
	v_add_f32_e32 v1, v1, v148
	;; [unrolled: 8-line block ×5, first 2 shown]
	v_add_f32_e32 v3, v3, v4
	v_mul_f32_e32 v4, v138, v162
	s_waitcnt lgkmcnt(1)
	v_mul_f32_e32 v197, v139, v163
	s_waitcnt vmcnt(18)
	v_fmac_f32_e32 v196, v138, v176
	v_add_f32_e32 v1, v1, v195
	v_fma_f32 v4, v137, v176, -v4
	v_mul_f32_e32 v198, v141, v164
	s_waitcnt vmcnt(17)
	v_fmac_f32_e32 v197, v140, v177
	v_add_f32_e32 v1, v1, v196
	ds_read2_b64 v[147:150], v114 offset0:107 offset1:108
	ds_read2_b64 v[151:154], v114 offset0:109 offset1:110
	v_add_f32_e32 v3, v3, v4
	v_mul_f32_e32 v4, v140, v163
	v_add_f32_e32 v1, v1, v197
	s_waitcnt vmcnt(16)
	v_fmac_f32_e32 v198, v142, v178
	s_waitcnt vmcnt(15) lgkmcnt(2)
	v_mul_f32_e32 v2, v143, v179
	v_fma_f32 v4, v139, v177, -v4
	v_add_f32_e32 v1, v1, v198
	s_waitcnt vmcnt(14)
	v_fmac_f32_e32 v2, v144, v180
	v_add_f32_e32 v3, v3, v4
	v_mul_f32_e32 v4, v142, v164
	v_add_f32_e32 v1, v1, v2
	s_waitcnt vmcnt(13)
	v_mul_f32_e32 v2, v145, v181
	v_fma_f32 v4, v141, v178, -v4
	s_waitcnt vmcnt(12)
	v_fmac_f32_e32 v2, v146, v182
	v_add_f32_e32 v3, v3, v4
	v_mul_f32_e32 v4, v144, v179
	v_add_f32_e32 v1, v1, v2
	s_waitcnt vmcnt(11) lgkmcnt(1)
	v_mul_f32_e32 v2, v147, v183
	v_fma_f32 v4, v143, v180, -v4
	s_waitcnt vmcnt(10)
	v_fmac_f32_e32 v2, v148, v184
	v_add_f32_e32 v3, v3, v4
	v_mul_f32_e32 v4, v146, v181
	v_add_f32_e32 v1, v1, v2
	s_waitcnt vmcnt(9)
	v_mul_f32_e32 v2, v149, v185
	v_fma_f32 v4, v145, v182, -v4
	s_waitcnt vmcnt(8)
	v_fmac_f32_e32 v2, v150, v186
	v_add_f32_e32 v3, v3, v4
	v_mul_f32_e32 v4, v148, v183
	v_add_f32_e32 v195, v1, v2
	ds_read_b64 v[1:2], v114 offset:888
	v_fma_f32 v4, v147, v184, -v4
	s_waitcnt vmcnt(7) lgkmcnt(1)
	v_mul_f32_e32 v196, v151, v187
	v_add_f32_e32 v3, v3, v4
	v_mul_f32_e32 v4, v150, v185
	s_waitcnt vmcnt(6)
	v_fmac_f32_e32 v196, v152, v188
	v_fma_f32 v4, v149, v186, -v4
	v_add_f32_e32 v195, v195, v196
	s_waitcnt vmcnt(5)
	v_mul_f32_e32 v196, v153, v189
	v_add_f32_e32 v3, v3, v4
	v_mul_f32_e32 v4, v152, v187
	s_waitcnt vmcnt(4)
	v_fmac_f32_e32 v196, v154, v190
	v_fma_f32 v4, v151, v188, -v4
	v_add_f32_e32 v195, v195, v196
	s_waitcnt vmcnt(3) lgkmcnt(0)
	v_mul_f32_e32 v196, v1, v191
	v_add_f32_e32 v3, v3, v4
	v_mul_f32_e32 v4, v154, v189
	s_waitcnt vmcnt(2)
	v_fmac_f32_e32 v196, v2, v192
	v_fma_f32 v4, v153, v190, -v4
	v_mul_f32_e32 v2, v2, v191
	v_add_f32_e32 v3, v3, v4
	v_fma_f32 v1, v1, v192, -v2
	v_add_f32_e32 v1, v3, v1
	v_add_f32_e32 v195, v195, v196
	s_waitcnt vmcnt(1)
	v_sub_f32_e32 v1, v193, v1
	s_waitcnt vmcnt(0)
	v_sub_f32_e32 v2, v194, v195
	buffer_store_dword v1, off, s[0:3], 0 offset:272
	buffer_store_dword v2, off, s[0:3], 0 offset:276
	s_and_saveexec_b64 s[4:5], vcc
	s_cbranch_execz .LBB55_283
; %bb.282:
	buffer_load_dword v1, off, s[0:3], 0 offset:264
	buffer_load_dword v2, off, s[0:3], 0 offset:268
	s_waitcnt vmcnt(0)
	ds_write_b64 v113, v[1:2]
	buffer_store_dword v114, off, s[0:3], 0 offset:264
	buffer_store_dword v114, off, s[0:3], 0 offset:268
.LBB55_283:
	s_or_b64 exec, exec, s[4:5]
	s_waitcnt lgkmcnt(0)
	; wave barrier
	buffer_load_dword v1, off, s[0:3], 0 offset:276
	buffer_load_dword v2, off, s[0:3], 0 offset:284
	;; [unrolled: 1-line block ×46, first 2 shown]
	ds_read_b128 v[115:118], v114 offset:720
	ds_read_b128 v[119:122], v114 offset:736
	;; [unrolled: 1-line block ×8, first 2 shown]
	v_cmp_lt_u32_e32 vcc, 32, v0
	s_waitcnt vmcnt(45) lgkmcnt(7)
	v_mul_f32_e32 v147, v115, v1
	v_mul_f32_e32 v1, v116, v1
	s_waitcnt vmcnt(44)
	v_mul_f32_e32 v148, v117, v2
	v_mul_f32_e32 v2, v118, v2
	s_waitcnt vmcnt(43) lgkmcnt(6)
	v_mul_f32_e32 v149, v119, v3
	s_waitcnt vmcnt(42)
	v_mul_f32_e32 v150, v121, v4
	s_waitcnt vmcnt(41) lgkmcnt(5)
	v_mul_f32_e32 v151, v123, v5
	s_waitcnt vmcnt(40)
	;; [unrolled: 4-line block ×5, first 2 shown]
	v_fma_f32 v1, v115, v166, -v1
	v_add_f32_e32 v1, 0, v1
	s_waitcnt vmcnt(31)
	v_fma_f32 v2, v117, v167, -v2
	v_add_f32_e32 v1, v1, v2
	v_mul_f32_e32 v2, v120, v3
	s_waitcnt vmcnt(30)
	v_fma_f32 v2, v119, v168, -v2
	v_add_f32_e32 v1, v1, v2
	v_mul_f32_e32 v2, v122, v4
	;; [unrolled: 4-line block ×3, first 2 shown]
	s_waitcnt vmcnt(28)
	v_fma_f32 v2, v123, v170, -v2
	v_fmac_f32_e32 v147, v116, v166
	v_add_f32_e32 v1, v1, v2
	v_mul_f32_e32 v2, v126, v6
	v_fmac_f32_e32 v148, v118, v167
	v_add_f32_e32 v147, 0, v147
	s_waitcnt vmcnt(27)
	v_fma_f32 v2, v125, v171, -v2
	v_fmac_f32_e32 v149, v120, v168
	v_add_f32_e32 v147, v147, v148
	v_add_f32_e32 v1, v1, v2
	v_mul_f32_e32 v2, v128, v159
	v_fmac_f32_e32 v150, v122, v169
	v_add_f32_e32 v147, v147, v149
	s_waitcnt vmcnt(26)
	v_fma_f32 v2, v127, v172, -v2
	v_fmac_f32_e32 v151, v124, v170
	v_add_f32_e32 v147, v147, v150
	;; [unrolled: 8-line block ×4, first 2 shown]
	v_add_f32_e32 v1, v1, v2
	v_mul_f32_e32 v2, v134, v162
	s_waitcnt vmcnt(23)
	v_fmac_f32_e32 v156, v134, v175
	v_add_f32_e32 v147, v147, v155
	v_fma_f32 v2, v133, v175, -v2
	v_mul_f32_e32 v158, v137, v164
	s_waitcnt vmcnt(22)
	v_fmac_f32_e32 v157, v136, v176
	v_add_f32_e32 v147, v147, v156
	v_add_f32_e32 v1, v1, v2
	v_mul_f32_e32 v2, v136, v163
	s_waitcnt lgkmcnt(1)
	v_mul_f32_e32 v199, v139, v165
	s_waitcnt vmcnt(21)
	v_fmac_f32_e32 v158, v138, v177
	v_add_f32_e32 v147, v147, v157
	v_fma_f32 v2, v135, v176, -v2
	s_waitcnt vmcnt(20)
	v_fmac_f32_e32 v199, v140, v178
	v_add_f32_e32 v147, v147, v158
	s_waitcnt vmcnt(19)
	v_mul_f32_e32 v148, v141, v179
	v_add_f32_e32 v1, v1, v2
	v_mul_f32_e32 v2, v138, v164
	v_add_f32_e32 v147, v147, v199
	s_waitcnt vmcnt(18)
	v_fmac_f32_e32 v148, v142, v180
	v_fma_f32 v2, v137, v177, -v2
	v_add_f32_e32 v147, v147, v148
	s_waitcnt vmcnt(17) lgkmcnt(0)
	v_mul_f32_e32 v148, v143, v181
	v_add_f32_e32 v1, v1, v2
	v_mul_f32_e32 v2, v140, v165
	s_waitcnt vmcnt(16)
	v_fmac_f32_e32 v148, v144, v182
	v_fma_f32 v2, v139, v178, -v2
	v_add_f32_e32 v151, v147, v148
	ds_read_b128 v[147:150], v114 offset:848
	v_add_f32_e32 v1, v1, v2
	v_mul_f32_e32 v2, v142, v179
	v_fma_f32 v2, v141, v180, -v2
	v_add_f32_e32 v1, v1, v2
	v_mul_f32_e32 v2, v144, v181
	s_waitcnt vmcnt(15)
	v_mul_f32_e32 v152, v145, v183
	v_fma_f32 v2, v143, v182, -v2
	s_waitcnt vmcnt(14)
	v_fmac_f32_e32 v152, v146, v184
	v_add_f32_e32 v1, v1, v2
	v_mul_f32_e32 v2, v146, v183
	v_add_f32_e32 v155, v151, v152
	ds_read_b128 v[151:154], v114 offset:864
	s_waitcnt vmcnt(13) lgkmcnt(1)
	v_mul_f32_e32 v156, v147, v185
	v_fma_f32 v2, v145, v184, -v2
	s_waitcnt vmcnt(12)
	v_fmac_f32_e32 v156, v148, v186
	v_add_f32_e32 v1, v1, v2
	v_mul_f32_e32 v2, v148, v185
	v_add_f32_e32 v155, v155, v156
	s_waitcnt vmcnt(11)
	v_mul_f32_e32 v156, v149, v187
	v_fma_f32 v2, v147, v186, -v2
	s_waitcnt vmcnt(10)
	v_fmac_f32_e32 v156, v150, v188
	v_add_f32_e32 v1, v1, v2
	v_mul_f32_e32 v2, v150, v187
	v_add_f32_e32 v199, v155, v156
	ds_read_b128 v[155:158], v114 offset:880
	v_fma_f32 v2, v149, v188, -v2
	v_add_f32_e32 v1, v1, v2
	s_waitcnt vmcnt(9) lgkmcnt(1)
	v_mul_f32_e32 v2, v152, v189
	v_mul_f32_e32 v200, v151, v189
	s_waitcnt vmcnt(8)
	v_fma_f32 v2, v151, v190, -v2
	v_fmac_f32_e32 v200, v152, v190
	v_add_f32_e32 v1, v1, v2
	s_waitcnt vmcnt(7)
	v_mul_f32_e32 v2, v154, v191
	v_add_f32_e32 v114, v199, v200
	v_mul_f32_e32 v199, v153, v191
	s_waitcnt vmcnt(6)
	v_fma_f32 v2, v153, v192, -v2
	v_fmac_f32_e32 v199, v154, v192
	v_add_f32_e32 v1, v1, v2
	s_waitcnt vmcnt(5) lgkmcnt(0)
	v_mul_f32_e32 v2, v156, v193
	v_add_f32_e32 v114, v114, v199
	v_mul_f32_e32 v199, v155, v193
	s_waitcnt vmcnt(4)
	v_fma_f32 v2, v155, v194, -v2
	v_fmac_f32_e32 v199, v156, v194
	v_add_f32_e32 v1, v1, v2
	s_waitcnt vmcnt(3)
	v_mul_f32_e32 v2, v158, v195
	v_add_f32_e32 v114, v114, v199
	v_mul_f32_e32 v199, v157, v195
	s_waitcnt vmcnt(2)
	v_fma_f32 v2, v157, v196, -v2
	v_fmac_f32_e32 v199, v158, v196
	v_add_f32_e32 v1, v1, v2
	v_add_f32_e32 v114, v114, v199
	s_waitcnt vmcnt(1)
	v_sub_f32_e32 v1, v197, v1
	s_waitcnt vmcnt(0)
	v_sub_f32_e32 v2, v198, v114
	buffer_store_dword v1, off, s[0:3], 0 offset:264
	buffer_store_dword v2, off, s[0:3], 0 offset:268
	s_and_saveexec_b64 s[4:5], vcc
	s_cbranch_execz .LBB55_285
; %bb.284:
	buffer_load_dword v1, off, s[0:3], 0 offset:256
	buffer_load_dword v2, off, s[0:3], 0 offset:260
	v_mov_b32_e32 v3, 0
	buffer_store_dword v3, off, s[0:3], 0 offset:256
	buffer_store_dword v3, off, s[0:3], 0 offset:260
	s_waitcnt vmcnt(2)
	ds_write_b64 v113, v[1:2]
.LBB55_285:
	s_or_b64 exec, exec, s[4:5]
	s_waitcnt lgkmcnt(0)
	; wave barrier
	buffer_load_dword v3, off, s[0:3], 0 offset:268
	buffer_load_dword v4, off, s[0:3], 0 offset:276
	;; [unrolled: 1-line block ×48, first 2 shown]
	v_mov_b32_e32 v114, 0
	ds_read2_b64 v[115:118], v114 offset0:89 offset1:90
	ds_read2_b64 v[119:122], v114 offset0:91 offset1:92
	;; [unrolled: 1-line block ×7, first 2 shown]
	v_cmp_lt_u32_e32 vcc, 31, v0
	ds_read2_b64 v[155:158], v114 offset0:109 offset1:110
	s_waitcnt vmcnt(47) lgkmcnt(7)
	v_mul_f32_e32 v1, v115, v3
	v_mul_f32_e32 v3, v116, v3
	s_waitcnt vmcnt(46)
	v_mul_f32_e32 v2, v117, v4
	v_mul_f32_e32 v4, v118, v4
	s_waitcnt vmcnt(45) lgkmcnt(6)
	v_mul_f32_e32 v143, v119, v5
	s_waitcnt vmcnt(44)
	v_mul_f32_e32 v144, v121, v6
	s_waitcnt vmcnt(43) lgkmcnt(5)
	v_mul_f32_e32 v145, v123, v159
	s_waitcnt vmcnt(42)
	v_mul_f32_e32 v146, v125, v160
	s_waitcnt vmcnt(41) lgkmcnt(4)
	v_mul_f32_e32 v147, v127, v161
	s_waitcnt vmcnt(40)
	v_mul_f32_e32 v148, v129, v162
	s_waitcnt vmcnt(39) lgkmcnt(3)
	v_mul_f32_e32 v149, v131, v163
	s_waitcnt vmcnt(38)
	v_mul_f32_e32 v150, v133, v164
	s_waitcnt vmcnt(35)
	v_fma_f32 v3, v115, v167, -v3
	v_add_f32_e32 v3, 0, v3
	s_waitcnt vmcnt(34)
	v_fma_f32 v4, v117, v168, -v4
	v_add_f32_e32 v3, v3, v4
	v_mul_f32_e32 v4, v120, v5
	s_waitcnt vmcnt(33)
	v_fma_f32 v4, v119, v169, -v4
	v_add_f32_e32 v3, v3, v4
	v_mul_f32_e32 v4, v122, v6
	;; [unrolled: 4-line block ×3, first 2 shown]
	s_waitcnt vmcnt(31)
	v_fma_f32 v4, v123, v171, -v4
	v_fmac_f32_e32 v1, v116, v167
	v_add_f32_e32 v3, v3, v4
	v_mul_f32_e32 v4, v126, v160
	v_fmac_f32_e32 v2, v118, v168
	v_add_f32_e32 v1, 0, v1
	s_waitcnt vmcnt(30)
	v_fma_f32 v4, v125, v172, -v4
	v_fmac_f32_e32 v143, v120, v169
	v_add_f32_e32 v1, v1, v2
	v_add_f32_e32 v3, v3, v4
	v_mul_f32_e32 v4, v128, v161
	v_fmac_f32_e32 v144, v122, v170
	v_add_f32_e32 v1, v1, v143
	s_waitcnt vmcnt(29)
	v_fma_f32 v4, v127, v173, -v4
	v_fmac_f32_e32 v145, v124, v171
	v_add_f32_e32 v1, v1, v144
	v_add_f32_e32 v3, v3, v4
	v_mul_f32_e32 v4, v130, v162
	v_fmac_f32_e32 v146, v126, v172
	v_add_f32_e32 v1, v1, v145
	s_waitcnt vmcnt(28)
	v_fma_f32 v4, v129, v174, -v4
	v_fmac_f32_e32 v147, v128, v173
	v_add_f32_e32 v1, v1, v146
	v_add_f32_e32 v3, v3, v4
	v_mul_f32_e32 v4, v132, v163
	v_fmac_f32_e32 v148, v130, v174
	v_add_f32_e32 v1, v1, v147
	s_waitcnt vmcnt(27)
	v_fma_f32 v4, v131, v175, -v4
	v_fmac_f32_e32 v149, v132, v175
	v_add_f32_e32 v1, v1, v148
	v_add_f32_e32 v3, v3, v4
	v_mul_f32_e32 v4, v134, v164
	s_waitcnt lgkmcnt(2)
	v_mul_f32_e32 v151, v135, v165
	s_waitcnt vmcnt(26)
	v_fmac_f32_e32 v150, v134, v176
	v_add_f32_e32 v1, v1, v149
	v_fma_f32 v4, v133, v176, -v4
	v_mul_f32_e32 v152, v137, v166
	s_waitcnt vmcnt(25)
	v_fmac_f32_e32 v151, v136, v177
	v_add_f32_e32 v1, v1, v150
	ds_read2_b64 v[143:146], v114 offset0:103 offset1:104
	ds_read2_b64 v[147:150], v114 offset0:105 offset1:106
	v_add_f32_e32 v3, v3, v4
	v_mul_f32_e32 v4, v136, v165
	s_waitcnt vmcnt(24)
	v_fmac_f32_e32 v152, v138, v178
	v_add_f32_e32 v1, v1, v151
	s_waitcnt vmcnt(23) lgkmcnt(3)
	v_mul_f32_e32 v2, v139, v179
	v_fma_f32 v4, v135, v177, -v4
	v_add_f32_e32 v1, v1, v152
	s_waitcnt vmcnt(22)
	v_fmac_f32_e32 v2, v140, v180
	v_add_f32_e32 v3, v3, v4
	v_mul_f32_e32 v4, v138, v166
	v_add_f32_e32 v1, v1, v2
	s_waitcnt vmcnt(21)
	v_mul_f32_e32 v2, v141, v181
	v_fma_f32 v4, v137, v178, -v4
	s_waitcnt vmcnt(20)
	v_fmac_f32_e32 v2, v142, v182
	v_add_f32_e32 v3, v3, v4
	v_mul_f32_e32 v4, v140, v179
	v_add_f32_e32 v1, v1, v2
	s_waitcnt vmcnt(19) lgkmcnt(1)
	v_mul_f32_e32 v2, v143, v183
	v_fma_f32 v4, v139, v180, -v4
	s_waitcnt vmcnt(18)
	v_fmac_f32_e32 v2, v144, v184
	v_add_f32_e32 v3, v3, v4
	v_mul_f32_e32 v4, v142, v181
	v_add_f32_e32 v1, v1, v2
	s_waitcnt vmcnt(17)
	v_mul_f32_e32 v2, v145, v185
	v_fma_f32 v4, v141, v182, -v4
	s_waitcnt vmcnt(16)
	v_fmac_f32_e32 v2, v146, v186
	ds_read2_b64 v[151:154], v114 offset0:107 offset1:108
	v_add_f32_e32 v3, v3, v4
	v_mul_f32_e32 v4, v144, v183
	v_add_f32_e32 v1, v1, v2
	s_waitcnt vmcnt(15) lgkmcnt(1)
	v_mul_f32_e32 v2, v147, v187
	v_fma_f32 v4, v143, v184, -v4
	s_waitcnt vmcnt(14)
	v_fmac_f32_e32 v2, v148, v188
	v_add_f32_e32 v3, v3, v4
	v_mul_f32_e32 v4, v146, v185
	v_add_f32_e32 v1, v1, v2
	s_waitcnt vmcnt(13)
	v_mul_f32_e32 v2, v149, v189
	v_fma_f32 v4, v145, v186, -v4
	s_waitcnt vmcnt(12)
	v_fmac_f32_e32 v2, v150, v190
	v_add_f32_e32 v3, v3, v4
	v_mul_f32_e32 v4, v148, v187
	v_add_f32_e32 v1, v1, v2
	s_waitcnt vmcnt(11) lgkmcnt(0)
	v_mul_f32_e32 v2, v151, v191
	v_fma_f32 v4, v147, v188, -v4
	s_waitcnt vmcnt(10)
	v_fmac_f32_e32 v2, v152, v192
	v_add_f32_e32 v3, v3, v4
	v_mul_f32_e32 v4, v150, v189
	v_add_f32_e32 v1, v1, v2
	s_waitcnt vmcnt(9)
	v_mul_f32_e32 v2, v153, v193
	v_fma_f32 v4, v149, v190, -v4
	s_waitcnt vmcnt(8)
	v_fmac_f32_e32 v2, v154, v194
	v_add_f32_e32 v3, v3, v4
	v_mul_f32_e32 v4, v152, v191
	v_add_f32_e32 v203, v1, v2
	ds_read_b64 v[1:2], v114 offset:888
	v_fma_f32 v4, v151, v192, -v4
	s_waitcnt vmcnt(6)
	v_mul_f32_e32 v204, v155, v196
	v_add_f32_e32 v3, v3, v4
	v_mul_f32_e32 v4, v154, v193
	v_fmac_f32_e32 v204, v156, v195
	v_fma_f32 v4, v153, v194, -v4
	v_add_f32_e32 v203, v203, v204
	s_waitcnt vmcnt(3)
	v_mul_f32_e32 v204, v157, v199
	v_add_f32_e32 v3, v3, v4
	v_mul_f32_e32 v4, v156, v196
	s_waitcnt vmcnt(2)
	v_fmac_f32_e32 v204, v158, v200
	v_fma_f32 v4, v155, v195, -v4
	v_add_f32_e32 v203, v203, v204
	s_waitcnt vmcnt(0) lgkmcnt(0)
	v_mul_f32_e32 v204, v1, v202
	v_add_f32_e32 v3, v3, v4
	v_mul_f32_e32 v4, v158, v199
	v_fmac_f32_e32 v204, v2, v201
	v_fma_f32 v4, v157, v200, -v4
	v_mul_f32_e32 v2, v2, v202
	v_add_f32_e32 v3, v3, v4
	v_fma_f32 v1, v1, v201, -v2
	v_add_f32_e32 v1, v3, v1
	v_add_f32_e32 v203, v203, v204
	v_sub_f32_e32 v1, v197, v1
	v_sub_f32_e32 v2, v198, v203
	buffer_store_dword v1, off, s[0:3], 0 offset:256
	buffer_store_dword v2, off, s[0:3], 0 offset:260
	s_and_saveexec_b64 s[4:5], vcc
	s_cbranch_execz .LBB55_287
; %bb.286:
	buffer_load_dword v1, off, s[0:3], 0 offset:248
	buffer_load_dword v2, off, s[0:3], 0 offset:252
	s_waitcnt vmcnt(0)
	ds_write_b64 v113, v[1:2]
	buffer_store_dword v114, off, s[0:3], 0 offset:248
	buffer_store_dword v114, off, s[0:3], 0 offset:252
.LBB55_287:
	s_or_b64 exec, exec, s[4:5]
	s_waitcnt lgkmcnt(0)
	; wave barrier
	buffer_load_dword v1, off, s[0:3], 0 offset:260
	buffer_load_dword v2, off, s[0:3], 0 offset:268
	;; [unrolled: 1-line block ×48, first 2 shown]
	ds_read_b128 v[115:118], v114 offset:704
	ds_read_b128 v[119:122], v114 offset:720
	buffer_load_dword v205, off, s[0:3], 0 offset:440
	buffer_load_dword v206, off, s[0:3], 0 offset:444
	ds_read_b128 v[123:126], v114 offset:736
	ds_read_b128 v[127:130], v114 offset:752
	;; [unrolled: 1-line block ×5, first 2 shown]
	v_cmp_lt_u32_e32 vcc, 30, v0
	s_waitcnt vmcnt(49) lgkmcnt(6)
	v_mul_f32_e32 v143, v115, v1
	v_mul_f32_e32 v1, v116, v1
	s_waitcnt vmcnt(48)
	v_mul_f32_e32 v144, v117, v2
	v_mul_f32_e32 v2, v118, v2
	s_waitcnt vmcnt(47) lgkmcnt(5)
	v_mul_f32_e32 v145, v119, v3
	s_waitcnt vmcnt(46)
	v_mul_f32_e32 v146, v121, v4
	s_waitcnt vmcnt(45) lgkmcnt(4)
	v_mul_f32_e32 v147, v123, v5
	s_waitcnt vmcnt(44)
	;; [unrolled: 4-line block ×4, first 2 shown]
	v_mul_f32_e32 v152, v133, v166
	s_waitcnt vmcnt(37)
	v_fma_f32 v1, v115, v169, -v1
	v_add_f32_e32 v1, 0, v1
	s_waitcnt vmcnt(36)
	v_fma_f32 v2, v117, v170, -v2
	v_add_f32_e32 v1, v1, v2
	v_mul_f32_e32 v2, v120, v3
	v_fmac_f32_e32 v143, v116, v169
	s_waitcnt vmcnt(35)
	v_fma_f32 v2, v119, v171, -v2
	v_fmac_f32_e32 v144, v118, v170
	v_add_f32_e32 v143, 0, v143
	v_add_f32_e32 v1, v1, v2
	v_mul_f32_e32 v2, v122, v4
	v_fmac_f32_e32 v145, v120, v171
	v_add_f32_e32 v143, v143, v144
	s_waitcnt vmcnt(34)
	v_fma_f32 v2, v121, v172, -v2
	v_fmac_f32_e32 v146, v122, v172
	v_add_f32_e32 v143, v143, v145
	v_add_f32_e32 v1, v1, v2
	v_mul_f32_e32 v2, v124, v5
	s_waitcnt vmcnt(33)
	v_fmac_f32_e32 v147, v124, v173
	v_add_f32_e32 v143, v143, v146
	v_fma_f32 v2, v123, v173, -v2
	s_waitcnt vmcnt(32)
	v_fmac_f32_e32 v148, v126, v174
	v_add_f32_e32 v143, v143, v147
	v_add_f32_e32 v1, v1, v2
	v_mul_f32_e32 v2, v126, v6
	s_waitcnt vmcnt(31)
	v_fmac_f32_e32 v149, v128, v175
	v_add_f32_e32 v143, v143, v148
	v_fma_f32 v2, v125, v174, -v2
	s_waitcnt vmcnt(30)
	v_fmac_f32_e32 v150, v130, v176
	v_add_f32_e32 v143, v143, v149
	v_add_f32_e32 v1, v1, v2
	v_mul_f32_e32 v2, v128, v163
	s_waitcnt vmcnt(29)
	v_fmac_f32_e32 v151, v132, v177
	v_add_f32_e32 v143, v143, v150
	v_fma_f32 v2, v127, v175, -v2
	s_waitcnt lgkmcnt(1)
	v_mul_f32_e32 v153, v135, v167
	s_waitcnt vmcnt(28)
	v_fmac_f32_e32 v152, v134, v178
	v_add_f32_e32 v143, v143, v151
	v_add_f32_e32 v1, v1, v2
	v_mul_f32_e32 v2, v130, v164
	v_mul_f32_e32 v154, v137, v168
	s_waitcnt vmcnt(27)
	v_fmac_f32_e32 v153, v136, v179
	v_add_f32_e32 v143, v143, v152
	v_fma_f32 v2, v129, v176, -v2
	v_add_f32_e32 v143, v143, v153
	s_waitcnt vmcnt(26)
	v_fmac_f32_e32 v154, v138, v180
	v_add_f32_e32 v1, v1, v2
	v_mul_f32_e32 v2, v132, v165
	v_add_f32_e32 v147, v143, v154
	ds_read_b128 v[143:146], v114 offset:816
	v_fma_f32 v2, v131, v177, -v2
	s_waitcnt vmcnt(25) lgkmcnt(1)
	v_mul_f32_e32 v148, v139, v181
	v_add_f32_e32 v1, v1, v2
	v_mul_f32_e32 v2, v134, v166
	s_waitcnt vmcnt(24)
	v_fmac_f32_e32 v148, v140, v182
	v_fma_f32 v2, v133, v178, -v2
	v_add_f32_e32 v147, v147, v148
	s_waitcnt vmcnt(23)
	v_mul_f32_e32 v148, v141, v183
	v_add_f32_e32 v1, v1, v2
	v_mul_f32_e32 v2, v136, v167
	s_waitcnt vmcnt(22)
	v_fmac_f32_e32 v148, v142, v184
	v_fma_f32 v2, v135, v179, -v2
	v_add_f32_e32 v147, v147, v148
	s_waitcnt vmcnt(21) lgkmcnt(0)
	v_mul_f32_e32 v148, v143, v185
	v_add_f32_e32 v1, v1, v2
	v_mul_f32_e32 v2, v138, v168
	s_waitcnt vmcnt(20)
	v_fmac_f32_e32 v148, v144, v186
	v_fma_f32 v2, v137, v180, -v2
	v_add_f32_e32 v151, v147, v148
	ds_read_b128 v[147:150], v114 offset:832
	v_add_f32_e32 v1, v1, v2
	v_mul_f32_e32 v2, v140, v181
	v_fma_f32 v2, v139, v182, -v2
	s_waitcnt vmcnt(19)
	v_mul_f32_e32 v152, v145, v187
	v_add_f32_e32 v1, v1, v2
	v_mul_f32_e32 v2, v142, v183
	s_waitcnt vmcnt(18)
	v_fmac_f32_e32 v152, v146, v188
	v_fma_f32 v2, v141, v184, -v2
	v_add_f32_e32 v155, v151, v152
	ds_read_b128 v[151:154], v114 offset:848
	v_add_f32_e32 v1, v1, v2
	v_mul_f32_e32 v2, v144, v185
	s_waitcnt vmcnt(17) lgkmcnt(1)
	v_mul_f32_e32 v156, v147, v189
	v_fma_f32 v2, v143, v186, -v2
	s_waitcnt vmcnt(16)
	v_fmac_f32_e32 v156, v148, v190
	v_add_f32_e32 v1, v1, v2
	v_mul_f32_e32 v2, v146, v187
	v_add_f32_e32 v155, v155, v156
	s_waitcnt vmcnt(15)
	v_mul_f32_e32 v156, v149, v191
	v_fma_f32 v2, v145, v188, -v2
	s_waitcnt vmcnt(14)
	v_fmac_f32_e32 v156, v150, v192
	v_add_f32_e32 v1, v1, v2
	v_mul_f32_e32 v2, v148, v189
	v_add_f32_e32 v155, v155, v156
	s_waitcnt vmcnt(13) lgkmcnt(0)
	v_mul_f32_e32 v156, v151, v193
	v_fma_f32 v2, v147, v190, -v2
	s_waitcnt vmcnt(12)
	v_fmac_f32_e32 v156, v152, v194
	v_add_f32_e32 v1, v1, v2
	v_mul_f32_e32 v2, v150, v191
	v_add_f32_e32 v159, v155, v156
	ds_read_b128 v[155:158], v114 offset:864
	v_fma_f32 v2, v149, v192, -v2
	v_add_f32_e32 v1, v1, v2
	v_mul_f32_e32 v2, v152, v193
	s_waitcnt vmcnt(11)
	v_mul_f32_e32 v160, v153, v195
	v_fma_f32 v2, v151, v194, -v2
	s_waitcnt vmcnt(10)
	v_fmac_f32_e32 v160, v154, v196
	v_add_f32_e32 v1, v1, v2
	v_mul_f32_e32 v2, v154, v195
	v_add_f32_e32 v207, v159, v160
	ds_read_b128 v[159:162], v114 offset:880
	v_fma_f32 v2, v153, v196, -v2
	v_add_f32_e32 v1, v1, v2
	s_waitcnt vmcnt(7) lgkmcnt(1)
	v_mul_f32_e32 v2, v156, v199
	v_mul_f32_e32 v114, v155, v199
	s_waitcnt vmcnt(6)
	v_fma_f32 v2, v155, v200, -v2
	v_fmac_f32_e32 v114, v156, v200
	v_add_f32_e32 v1, v1, v2
	s_waitcnt vmcnt(4)
	v_mul_f32_e32 v2, v158, v202
	v_add_f32_e32 v114, v207, v114
	v_mul_f32_e32 v207, v157, v202
	v_fma_f32 v2, v157, v201, -v2
	v_fmac_f32_e32 v207, v158, v201
	v_add_f32_e32 v1, v1, v2
	s_waitcnt vmcnt(2) lgkmcnt(0)
	v_mul_f32_e32 v2, v160, v204
	v_add_f32_e32 v114, v114, v207
	v_mul_f32_e32 v207, v159, v204
	v_fma_f32 v2, v159, v203, -v2
	v_fmac_f32_e32 v207, v160, v203
	v_add_f32_e32 v1, v1, v2
	s_waitcnt vmcnt(0)
	v_mul_f32_e32 v2, v162, v206
	v_add_f32_e32 v114, v114, v207
	v_mul_f32_e32 v207, v161, v206
	v_fma_f32 v2, v161, v205, -v2
	v_fmac_f32_e32 v207, v162, v205
	v_add_f32_e32 v1, v1, v2
	v_add_f32_e32 v114, v114, v207
	v_sub_f32_e32 v1, v197, v1
	v_sub_f32_e32 v2, v198, v114
	buffer_store_dword v1, off, s[0:3], 0 offset:248
	buffer_store_dword v2, off, s[0:3], 0 offset:252
	s_and_saveexec_b64 s[4:5], vcc
	s_cbranch_execz .LBB55_289
; %bb.288:
	buffer_load_dword v1, off, s[0:3], 0 offset:240
	buffer_load_dword v2, off, s[0:3], 0 offset:244
	v_mov_b32_e32 v3, 0
	buffer_store_dword v3, off, s[0:3], 0 offset:240
	buffer_store_dword v3, off, s[0:3], 0 offset:244
	s_waitcnt vmcnt(2)
	ds_write_b64 v113, v[1:2]
.LBB55_289:
	s_or_b64 exec, exec, s[4:5]
	s_waitcnt lgkmcnt(0)
	; wave barrier
	buffer_load_dword v3, off, s[0:3], 0 offset:252
	buffer_load_dword v4, off, s[0:3], 0 offset:260
	;; [unrolled: 1-line block ×52, first 2 shown]
	v_mov_b32_e32 v114, 0
	ds_read2_b64 v[115:118], v114 offset0:87 offset1:88
	ds_read2_b64 v[119:122], v114 offset0:89 offset1:90
	;; [unrolled: 1-line block ×8, first 2 shown]
	v_cmp_lt_u32_e32 vcc, 29, v0
	ds_read2_b64 v[151:154], v114 offset0:105 offset1:106
	s_waitcnt vmcnt(51) lgkmcnt(8)
	v_mul_f32_e32 v1, v115, v3
	v_mul_f32_e32 v3, v116, v3
	s_waitcnt vmcnt(50)
	v_mul_f32_e32 v2, v117, v4
	v_mul_f32_e32 v4, v118, v4
	s_waitcnt vmcnt(49) lgkmcnt(7)
	v_mul_f32_e32 v139, v119, v5
	s_waitcnt vmcnt(48)
	v_mul_f32_e32 v140, v121, v6
	s_waitcnt vmcnt(47) lgkmcnt(6)
	v_mul_f32_e32 v141, v123, v163
	s_waitcnt vmcnt(46)
	;; [unrolled: 4-line block ×4, first 2 shown]
	v_fma_f32 v3, v115, v170, -v3
	v_add_f32_e32 v3, 0, v3
	s_waitcnt vmcnt(39)
	v_fma_f32 v4, v117, v171, -v4
	v_add_f32_e32 v3, v3, v4
	v_mul_f32_e32 v4, v120, v5
	s_waitcnt vmcnt(38)
	v_fma_f32 v4, v119, v172, -v4
	v_add_f32_e32 v3, v3, v4
	v_mul_f32_e32 v4, v122, v6
	;; [unrolled: 4-line block ×3, first 2 shown]
	v_fmac_f32_e32 v1, v116, v170
	s_waitcnt vmcnt(36)
	v_fma_f32 v4, v123, v174, -v4
	v_fmac_f32_e32 v2, v118, v171
	v_add_f32_e32 v1, 0, v1
	v_add_f32_e32 v3, v3, v4
	v_mul_f32_e32 v4, v126, v164
	v_fmac_f32_e32 v139, v120, v172
	v_add_f32_e32 v1, v1, v2
	s_waitcnt vmcnt(35)
	v_fma_f32 v4, v125, v175, -v4
	v_fmac_f32_e32 v140, v122, v173
	v_add_f32_e32 v1, v1, v139
	v_add_f32_e32 v3, v3, v4
	v_mul_f32_e32 v4, v128, v165
	v_fmac_f32_e32 v141, v124, v174
	v_add_f32_e32 v1, v1, v140
	;; [unrolled: 8-line block ×3, first 2 shown]
	s_waitcnt vmcnt(33)
	v_fma_f32 v4, v129, v177, -v4
	v_fmac_f32_e32 v144, v130, v177
	v_add_f32_e32 v1, v1, v143
	ds_read2_b64 v[139:142], v114 offset0:99 offset1:100
	v_add_f32_e32 v3, v3, v4
	v_mul_f32_e32 v4, v132, v167
	v_mul_f32_e32 v146, v133, v168
	s_waitcnt vmcnt(32)
	v_fmac_f32_e32 v145, v132, v178
	v_add_f32_e32 v1, v1, v144
	v_fma_f32 v4, v131, v178, -v4
	s_waitcnt lgkmcnt(4)
	v_mul_f32_e32 v147, v135, v169
	s_waitcnt vmcnt(31)
	v_fmac_f32_e32 v146, v134, v179
	v_add_f32_e32 v1, v1, v145
	v_add_f32_e32 v3, v3, v4
	v_mul_f32_e32 v4, v134, v168
	v_add_f32_e32 v1, v1, v146
	s_waitcnt vmcnt(30)
	v_fmac_f32_e32 v147, v136, v180
	s_waitcnt vmcnt(29)
	v_mul_f32_e32 v2, v137, v181
	v_fma_f32 v4, v133, v179, -v4
	v_add_f32_e32 v1, v1, v147
	s_waitcnt vmcnt(28)
	v_fmac_f32_e32 v2, v138, v182
	ds_read2_b64 v[143:146], v114 offset0:101 offset1:102
	v_add_f32_e32 v3, v3, v4
	v_mul_f32_e32 v4, v136, v169
	v_add_f32_e32 v1, v1, v2
	s_waitcnt vmcnt(27) lgkmcnt(1)
	v_mul_f32_e32 v2, v139, v183
	v_fma_f32 v4, v135, v180, -v4
	s_waitcnt vmcnt(26)
	v_fmac_f32_e32 v2, v140, v184
	v_add_f32_e32 v3, v3, v4
	v_mul_f32_e32 v4, v138, v181
	v_add_f32_e32 v1, v1, v2
	s_waitcnt vmcnt(25)
	v_mul_f32_e32 v2, v141, v185
	v_fma_f32 v4, v137, v182, -v4
	s_waitcnt vmcnt(24)
	v_fmac_f32_e32 v2, v142, v186
	ds_read2_b64 v[147:150], v114 offset0:103 offset1:104
	v_add_f32_e32 v3, v3, v4
	v_mul_f32_e32 v4, v140, v183
	v_add_f32_e32 v1, v1, v2
	s_waitcnt vmcnt(23) lgkmcnt(1)
	v_mul_f32_e32 v2, v143, v187
	v_fma_f32 v4, v139, v184, -v4
	s_waitcnt vmcnt(22)
	v_fmac_f32_e32 v2, v144, v188
	v_add_f32_e32 v3, v3, v4
	v_mul_f32_e32 v4, v142, v185
	v_add_f32_e32 v1, v1, v2
	s_waitcnt vmcnt(21)
	v_mul_f32_e32 v2, v145, v189
	v_fma_f32 v4, v141, v186, -v4
	s_waitcnt vmcnt(20)
	v_fmac_f32_e32 v2, v146, v190
	v_add_f32_e32 v3, v3, v4
	v_mul_f32_e32 v4, v144, v187
	v_add_f32_e32 v1, v1, v2
	s_waitcnt vmcnt(19) lgkmcnt(0)
	v_mul_f32_e32 v2, v147, v191
	v_fma_f32 v4, v143, v188, -v4
	s_waitcnt vmcnt(18)
	v_fmac_f32_e32 v2, v148, v192
	v_add_f32_e32 v3, v3, v4
	v_mul_f32_e32 v4, v146, v189
	v_add_f32_e32 v1, v1, v2
	s_waitcnt vmcnt(17)
	v_mul_f32_e32 v2, v149, v193
	v_fma_f32 v4, v145, v190, -v4
	s_waitcnt vmcnt(16)
	v_fmac_f32_e32 v2, v150, v194
	v_add_f32_e32 v3, v3, v4
	v_mul_f32_e32 v4, v148, v191
	v_add_f32_e32 v1, v1, v2
	s_waitcnt vmcnt(14)
	v_mul_f32_e32 v2, v151, v196
	v_fma_f32 v4, v147, v192, -v4
	v_fmac_f32_e32 v2, v152, v195
	v_add_f32_e32 v3, v3, v4
	v_mul_f32_e32 v4, v150, v193
	v_add_f32_e32 v1, v1, v2
	s_waitcnt vmcnt(11)
	v_mul_f32_e32 v2, v153, v199
	v_fma_f32 v4, v149, v194, -v4
	s_waitcnt vmcnt(10)
	v_fmac_f32_e32 v2, v154, v200
	v_add_f32_e32 v3, v3, v4
	v_mul_f32_e32 v4, v152, v196
	v_add_f32_e32 v1, v1, v2
	s_waitcnt vmcnt(8)
	v_mul_f32_e32 v2, v155, v202
	v_fma_f32 v4, v151, v195, -v4
	v_fmac_f32_e32 v2, v156, v201
	v_add_f32_e32 v3, v3, v4
	v_mul_f32_e32 v4, v154, v199
	v_add_f32_e32 v1, v1, v2
	s_waitcnt vmcnt(6)
	v_mul_f32_e32 v2, v157, v204
	v_fma_f32 v4, v153, v200, -v4
	v_fmac_f32_e32 v2, v158, v203
	v_add_f32_e32 v3, v3, v4
	v_mul_f32_e32 v4, v156, v202
	v_add_f32_e32 v211, v1, v2
	ds_read_b64 v[1:2], v114 offset:888
	v_fma_f32 v4, v155, v201, -v4
	s_waitcnt vmcnt(4)
	v_mul_f32_e32 v212, v159, v206
	v_add_f32_e32 v3, v3, v4
	v_mul_f32_e32 v4, v158, v204
	v_fmac_f32_e32 v212, v160, v205
	v_fma_f32 v4, v157, v203, -v4
	v_add_f32_e32 v211, v211, v212
	s_waitcnt vmcnt(2)
	v_mul_f32_e32 v212, v161, v208
	v_add_f32_e32 v3, v3, v4
	v_mul_f32_e32 v4, v160, v206
	v_fmac_f32_e32 v212, v162, v207
	v_fma_f32 v4, v159, v205, -v4
	v_add_f32_e32 v211, v211, v212
	s_waitcnt vmcnt(0) lgkmcnt(0)
	v_mul_f32_e32 v212, v1, v210
	v_add_f32_e32 v3, v3, v4
	v_mul_f32_e32 v4, v162, v208
	v_fmac_f32_e32 v212, v2, v209
	v_fma_f32 v4, v161, v207, -v4
	v_mul_f32_e32 v2, v2, v210
	v_add_f32_e32 v3, v3, v4
	v_fma_f32 v1, v1, v209, -v2
	v_add_f32_e32 v1, v3, v1
	v_add_f32_e32 v211, v211, v212
	v_sub_f32_e32 v1, v197, v1
	v_sub_f32_e32 v2, v198, v211
	buffer_store_dword v1, off, s[0:3], 0 offset:240
	buffer_store_dword v2, off, s[0:3], 0 offset:244
	s_and_saveexec_b64 s[4:5], vcc
	s_cbranch_execz .LBB55_291
; %bb.290:
	buffer_load_dword v1, off, s[0:3], 0 offset:232
	buffer_load_dword v2, off, s[0:3], 0 offset:236
	s_waitcnt vmcnt(0)
	ds_write_b64 v113, v[1:2]
	buffer_store_dword v114, off, s[0:3], 0 offset:232
	buffer_store_dword v114, off, s[0:3], 0 offset:236
.LBB55_291:
	s_or_b64 exec, exec, s[4:5]
	s_waitcnt lgkmcnt(0)
	; wave barrier
	buffer_load_dword v1, off, s[0:3], 0 offset:244
	buffer_load_dword v2, off, s[0:3], 0 offset:252
	;; [unrolled: 1-line block ×42, first 2 shown]
	ds_read_b128 v[115:118], v114 offset:688
	ds_read_b128 v[119:122], v114 offset:704
	ds_read_b128 v[123:126], v114 offset:720
	ds_read_b128 v[127:130], v114 offset:736
	buffer_load_dword v203, off, s[0:3], 0 offset:404
	buffer_load_dword v204, off, s[0:3], 0 offset:400
	;; [unrolled: 1-line block ×6, first 2 shown]
	ds_read_b128 v[131:134], v114 offset:752
	ds_read_b128 v[135:138], v114 offset:768
	buffer_load_dword v209, off, s[0:3], 0 offset:424
	buffer_load_dword v210, off, s[0:3], 0 offset:428
	;; [unrolled: 1-line block ×6, first 2 shown]
	v_cmp_lt_u32_e32 vcc, 28, v0
	s_waitcnt vmcnt(53) lgkmcnt(5)
	v_mul_f32_e32 v139, v115, v1
	s_waitcnt vmcnt(52)
	v_mul_f32_e32 v140, v117, v2
	v_mul_f32_e32 v1, v116, v1
	s_waitcnt vmcnt(51) lgkmcnt(4)
	v_mul_f32_e32 v141, v119, v3
	v_mul_f32_e32 v2, v118, v2
	s_waitcnt vmcnt(50)
	v_mul_f32_e32 v142, v121, v4
	s_waitcnt vmcnt(49) lgkmcnt(3)
	v_mul_f32_e32 v143, v123, v5
	s_waitcnt vmcnt(48)
	v_mul_f32_e32 v144, v125, v6
	s_waitcnt vmcnt(47) lgkmcnt(2)
	v_mul_f32_e32 v145, v127, v167
	s_waitcnt vmcnt(46)
	v_mul_f32_e32 v146, v129, v168
	s_waitcnt vmcnt(43)
	v_fmac_f32_e32 v139, v116, v171
	s_waitcnt vmcnt(42)
	v_fmac_f32_e32 v140, v118, v172
	v_add_f32_e32 v139, 0, v139
	v_fma_f32 v1, v115, v171, -v1
	s_waitcnt vmcnt(41)
	v_fmac_f32_e32 v141, v120, v173
	v_add_f32_e32 v139, v139, v140
	v_add_f32_e32 v1, 0, v1
	v_fma_f32 v2, v117, v172, -v2
	s_waitcnt vmcnt(40)
	v_fmac_f32_e32 v142, v122, v174
	v_add_f32_e32 v139, v139, v141
	v_add_f32_e32 v1, v1, v2
	v_mul_f32_e32 v2, v120, v3
	s_waitcnt vmcnt(39)
	v_fmac_f32_e32 v143, v124, v175
	v_add_f32_e32 v139, v139, v142
	v_fma_f32 v2, v119, v173, -v2
	s_waitcnt vmcnt(38)
	v_fmac_f32_e32 v144, v126, v176
	v_add_f32_e32 v139, v139, v143
	v_add_f32_e32 v1, v1, v2
	v_mul_f32_e32 v2, v122, v4
	s_waitcnt vmcnt(37)
	v_fmac_f32_e32 v145, v128, v177
	v_add_f32_e32 v139, v139, v144
	v_fma_f32 v2, v121, v174, -v2
	s_waitcnt lgkmcnt(1)
	v_mul_f32_e32 v147, v131, v169
	s_waitcnt vmcnt(36)
	v_fmac_f32_e32 v146, v130, v178
	v_add_f32_e32 v139, v139, v145
	v_add_f32_e32 v1, v1, v2
	v_mul_f32_e32 v2, v124, v5
	v_mul_f32_e32 v148, v133, v170
	s_waitcnt vmcnt(35)
	v_fmac_f32_e32 v147, v132, v179
	v_add_f32_e32 v139, v139, v146
	v_fma_f32 v2, v123, v175, -v2
	s_waitcnt vmcnt(34)
	v_fmac_f32_e32 v148, v134, v180
	v_add_f32_e32 v139, v139, v147
	s_waitcnt vmcnt(33) lgkmcnt(0)
	v_mul_f32_e32 v140, v135, v181
	v_add_f32_e32 v1, v1, v2
	v_mul_f32_e32 v2, v126, v6
	v_add_f32_e32 v139, v139, v148
	s_waitcnt vmcnt(32)
	v_fmac_f32_e32 v140, v136, v182
	v_fma_f32 v2, v125, v176, -v2
	v_add_f32_e32 v143, v139, v140
	ds_read_b128 v[139:142], v114 offset:784
	v_add_f32_e32 v1, v1, v2
	v_mul_f32_e32 v2, v128, v167
	v_fma_f32 v2, v127, v177, -v2
	s_waitcnt vmcnt(31)
	v_mul_f32_e32 v144, v137, v183
	v_add_f32_e32 v1, v1, v2
	v_mul_f32_e32 v2, v130, v168
	s_waitcnt vmcnt(30)
	v_fmac_f32_e32 v144, v138, v184
	v_fma_f32 v2, v129, v178, -v2
	v_add_f32_e32 v147, v143, v144
	ds_read_b128 v[143:146], v114 offset:800
	v_add_f32_e32 v1, v1, v2
	v_mul_f32_e32 v2, v132, v169
	s_waitcnt vmcnt(29) lgkmcnt(1)
	v_mul_f32_e32 v148, v139, v185
	v_fma_f32 v2, v131, v179, -v2
	s_waitcnt vmcnt(28)
	v_fmac_f32_e32 v148, v140, v186
	v_add_f32_e32 v1, v1, v2
	v_mul_f32_e32 v2, v134, v170
	v_add_f32_e32 v147, v147, v148
	s_waitcnt vmcnt(27)
	v_mul_f32_e32 v148, v141, v187
	v_fma_f32 v2, v133, v180, -v2
	s_waitcnt vmcnt(26)
	v_fmac_f32_e32 v148, v142, v188
	v_add_f32_e32 v1, v1, v2
	v_mul_f32_e32 v2, v136, v181
	v_add_f32_e32 v147, v147, v148
	s_waitcnt vmcnt(25) lgkmcnt(0)
	v_mul_f32_e32 v148, v143, v189
	v_fma_f32 v2, v135, v182, -v2
	s_waitcnt vmcnt(24)
	v_fmac_f32_e32 v148, v144, v190
	v_add_f32_e32 v1, v1, v2
	v_mul_f32_e32 v2, v138, v183
	v_add_f32_e32 v151, v147, v148
	ds_read_b128 v[147:150], v114 offset:816
	v_fma_f32 v2, v137, v184, -v2
	v_add_f32_e32 v1, v1, v2
	v_mul_f32_e32 v2, v140, v185
	s_waitcnt vmcnt(23)
	v_mul_f32_e32 v152, v145, v191
	v_fma_f32 v2, v139, v186, -v2
	s_waitcnt vmcnt(22)
	v_fmac_f32_e32 v152, v146, v192
	v_add_f32_e32 v1, v1, v2
	v_mul_f32_e32 v2, v142, v187
	v_add_f32_e32 v155, v151, v152
	ds_read_b128 v[151:154], v114 offset:832
	v_fma_f32 v2, v141, v188, -v2
	s_waitcnt vmcnt(21) lgkmcnt(1)
	v_mul_f32_e32 v156, v147, v193
	v_add_f32_e32 v1, v1, v2
	v_mul_f32_e32 v2, v144, v189
	s_waitcnt vmcnt(20)
	v_fmac_f32_e32 v156, v148, v194
	v_fma_f32 v2, v143, v190, -v2
	v_add_f32_e32 v155, v155, v156
	s_waitcnt vmcnt(18)
	v_mul_f32_e32 v156, v149, v196
	v_add_f32_e32 v1, v1, v2
	v_mul_f32_e32 v2, v146, v191
	v_fmac_f32_e32 v156, v150, v195
	v_fma_f32 v2, v145, v192, -v2
	v_add_f32_e32 v155, v155, v156
	s_waitcnt vmcnt(15) lgkmcnt(0)
	v_mul_f32_e32 v156, v151, v199
	v_add_f32_e32 v1, v1, v2
	v_mul_f32_e32 v2, v148, v193
	s_waitcnt vmcnt(14)
	v_fmac_f32_e32 v156, v152, v200
	v_fma_f32 v2, v147, v194, -v2
	v_add_f32_e32 v159, v155, v156
	ds_read_b128 v[155:158], v114 offset:848
	v_add_f32_e32 v1, v1, v2
	v_mul_f32_e32 v2, v150, v196
	v_fma_f32 v2, v149, v195, -v2
	v_add_f32_e32 v1, v1, v2
	v_mul_f32_e32 v2, v152, v199
	s_waitcnt vmcnt(12)
	v_mul_f32_e32 v160, v153, v202
	v_fma_f32 v2, v151, v200, -v2
	v_fmac_f32_e32 v160, v154, v201
	v_add_f32_e32 v1, v1, v2
	v_mul_f32_e32 v2, v154, v202
	v_add_f32_e32 v163, v159, v160
	ds_read_b128 v[159:162], v114 offset:864
	s_waitcnt vmcnt(11) lgkmcnt(1)
	v_mul_f32_e32 v164, v155, v203
	v_fma_f32 v2, v153, v201, -v2
	s_waitcnt vmcnt(10)
	v_fmac_f32_e32 v164, v156, v204
	v_add_f32_e32 v1, v1, v2
	v_mul_f32_e32 v2, v156, v203
	v_add_f32_e32 v163, v163, v164
	s_waitcnt vmcnt(8)
	v_mul_f32_e32 v164, v157, v206
	v_fma_f32 v2, v155, v204, -v2
	v_fmac_f32_e32 v164, v158, v205
	v_add_f32_e32 v1, v1, v2
	v_mul_f32_e32 v2, v158, v206
	v_add_f32_e32 v215, v163, v164
	ds_read_b128 v[163:166], v114 offset:880
	v_fma_f32 v2, v157, v205, -v2
	v_add_f32_e32 v1, v1, v2
	s_waitcnt vmcnt(6) lgkmcnt(1)
	v_mul_f32_e32 v2, v160, v208
	v_mul_f32_e32 v216, v159, v208
	v_fma_f32 v2, v159, v207, -v2
	v_fmac_f32_e32 v216, v160, v207
	v_add_f32_e32 v1, v1, v2
	s_waitcnt vmcnt(4)
	v_mul_f32_e32 v2, v162, v210
	v_add_f32_e32 v114, v215, v216
	v_mul_f32_e32 v215, v161, v210
	v_fma_f32 v2, v161, v209, -v2
	v_fmac_f32_e32 v215, v162, v209
	v_add_f32_e32 v1, v1, v2
	s_waitcnt vmcnt(2) lgkmcnt(0)
	v_mul_f32_e32 v2, v164, v212
	v_add_f32_e32 v114, v114, v215
	v_mul_f32_e32 v215, v163, v212
	v_fma_f32 v2, v163, v211, -v2
	v_fmac_f32_e32 v215, v164, v211
	v_add_f32_e32 v1, v1, v2
	s_waitcnt vmcnt(0)
	v_mul_f32_e32 v2, v166, v214
	v_add_f32_e32 v114, v114, v215
	v_mul_f32_e32 v215, v165, v214
	v_fma_f32 v2, v165, v213, -v2
	v_fmac_f32_e32 v215, v166, v213
	v_add_f32_e32 v1, v1, v2
	v_add_f32_e32 v114, v114, v215
	v_sub_f32_e32 v1, v197, v1
	v_sub_f32_e32 v2, v198, v114
	buffer_store_dword v1, off, s[0:3], 0 offset:232
	buffer_store_dword v2, off, s[0:3], 0 offset:236
	s_and_saveexec_b64 s[4:5], vcc
	s_cbranch_execz .LBB55_293
; %bb.292:
	buffer_load_dword v1, off, s[0:3], 0 offset:224
	buffer_load_dword v2, off, s[0:3], 0 offset:228
	v_mov_b32_e32 v3, 0
	buffer_store_dword v3, off, s[0:3], 0 offset:224
	buffer_store_dword v3, off, s[0:3], 0 offset:228
	s_waitcnt vmcnt(2)
	ds_write_b64 v113, v[1:2]
.LBB55_293:
	s_or_b64 exec, exec, s[4:5]
	s_waitcnt lgkmcnt(0)
	; wave barrier
	buffer_load_dword v3, off, s[0:3], 0 offset:236
	buffer_load_dword v4, off, s[0:3], 0 offset:244
	;; [unrolled: 1-line block ×56, first 2 shown]
	v_mov_b32_e32 v114, 0
	ds_read2_b64 v[115:118], v114 offset0:85 offset1:86
	ds_read2_b64 v[119:122], v114 offset0:87 offset1:88
	;; [unrolled: 1-line block ×11, first 2 shown]
	v_cmp_lt_u32_e32 vcc, 27, v0
	s_waitcnt vmcnt(55) lgkmcnt(10)
	v_mul_f32_e32 v1, v115, v3
	v_mul_f32_e32 v3, v116, v3
	s_waitcnt vmcnt(54)
	v_mul_f32_e32 v2, v117, v4
	v_mul_f32_e32 v4, v118, v4
	s_waitcnt vmcnt(53) lgkmcnt(9)
	v_mul_f32_e32 v139, v119, v5
	s_waitcnt vmcnt(52)
	v_mul_f32_e32 v140, v121, v6
	s_waitcnt vmcnt(51) lgkmcnt(8)
	v_mul_f32_e32 v141, v123, v167
	s_waitcnt vmcnt(50)
	v_mul_f32_e32 v142, v125, v168
	s_waitcnt vmcnt(49) lgkmcnt(7)
	v_mul_f32_e32 v143, v127, v169
	s_waitcnt vmcnt(46)
	v_fma_f32 v3, v115, v172, -v3
	v_add_f32_e32 v3, 0, v3
	s_waitcnt vmcnt(45)
	v_fma_f32 v4, v117, v173, -v4
	v_add_f32_e32 v3, v3, v4
	v_mul_f32_e32 v4, v120, v5
	s_waitcnt vmcnt(44)
	v_fma_f32 v4, v119, v174, -v4
	v_add_f32_e32 v3, v3, v4
	v_mul_f32_e32 v4, v122, v6
	v_fmac_f32_e32 v1, v116, v172
	s_waitcnt vmcnt(43)
	v_fma_f32 v4, v121, v175, -v4
	v_fmac_f32_e32 v2, v118, v173
	v_add_f32_e32 v1, 0, v1
	v_add_f32_e32 v3, v3, v4
	v_mul_f32_e32 v4, v124, v167
	v_fmac_f32_e32 v139, v120, v174
	v_add_f32_e32 v1, v1, v2
	s_waitcnt vmcnt(42)
	v_fma_f32 v4, v123, v176, -v4
	v_fmac_f32_e32 v140, v122, v175
	v_add_f32_e32 v1, v1, v139
	v_add_f32_e32 v3, v3, v4
	v_mul_f32_e32 v4, v126, v168
	v_fmac_f32_e32 v141, v124, v176
	v_add_f32_e32 v1, v1, v140
	s_waitcnt vmcnt(41)
	v_fma_f32 v4, v125, v177, -v4
	v_fmac_f32_e32 v142, v126, v177
	v_add_f32_e32 v1, v1, v141
	v_add_f32_e32 v3, v3, v4
	v_mul_f32_e32 v4, v128, v169
	v_mul_f32_e32 v144, v129, v170
	s_waitcnt vmcnt(40)
	v_fmac_f32_e32 v143, v128, v178
	v_add_f32_e32 v1, v1, v142
	v_fma_f32 v4, v127, v178, -v4
	s_waitcnt lgkmcnt(6)
	v_mul_f32_e32 v145, v131, v171
	s_waitcnt vmcnt(39)
	v_fmac_f32_e32 v144, v130, v179
	v_add_f32_e32 v1, v1, v143
	v_add_f32_e32 v3, v3, v4
	v_mul_f32_e32 v4, v130, v170
	v_add_f32_e32 v1, v1, v144
	s_waitcnt vmcnt(38)
	v_fmac_f32_e32 v145, v132, v180
	s_waitcnt vmcnt(37)
	v_mul_f32_e32 v2, v133, v181
	v_fma_f32 v4, v129, v179, -v4
	v_add_f32_e32 v1, v1, v145
	s_waitcnt vmcnt(36)
	v_fmac_f32_e32 v2, v134, v182
	ds_read2_b64 v[139:142], v114 offset0:97 offset1:98
	ds_read2_b64 v[143:146], v114 offset0:99 offset1:100
	v_add_f32_e32 v3, v3, v4
	v_mul_f32_e32 v4, v132, v171
	v_add_f32_e32 v1, v1, v2
	s_waitcnt vmcnt(35) lgkmcnt(7)
	v_mul_f32_e32 v2, v135, v183
	v_fma_f32 v4, v131, v180, -v4
	s_waitcnt vmcnt(34)
	v_fmac_f32_e32 v2, v136, v184
	v_add_f32_e32 v3, v3, v4
	v_mul_f32_e32 v4, v134, v181
	v_add_f32_e32 v1, v1, v2
	s_waitcnt vmcnt(33)
	v_mul_f32_e32 v2, v137, v185
	v_fma_f32 v4, v133, v182, -v4
	s_waitcnt vmcnt(32)
	v_fmac_f32_e32 v2, v138, v186
	v_add_f32_e32 v3, v3, v4
	v_mul_f32_e32 v4, v136, v183
	v_add_f32_e32 v1, v1, v2
	s_waitcnt vmcnt(31) lgkmcnt(1)
	v_mul_f32_e32 v2, v139, v187
	v_fma_f32 v4, v135, v184, -v4
	s_waitcnt vmcnt(30)
	v_fmac_f32_e32 v2, v140, v188
	v_add_f32_e32 v3, v3, v4
	v_mul_f32_e32 v4, v138, v185
	v_add_f32_e32 v1, v1, v2
	s_waitcnt vmcnt(29)
	v_mul_f32_e32 v2, v141, v189
	v_fma_f32 v4, v137, v186, -v4
	s_waitcnt vmcnt(28)
	v_fmac_f32_e32 v2, v142, v190
	v_add_f32_e32 v3, v3, v4
	v_mul_f32_e32 v4, v140, v187
	v_add_f32_e32 v1, v1, v2
	s_waitcnt vmcnt(27) lgkmcnt(0)
	v_mul_f32_e32 v2, v143, v191
	v_fma_f32 v4, v139, v188, -v4
	s_waitcnt vmcnt(26)
	v_fmac_f32_e32 v2, v144, v192
	v_add_f32_e32 v3, v3, v4
	v_mul_f32_e32 v4, v142, v189
	v_add_f32_e32 v1, v1, v2
	s_waitcnt vmcnt(24)
	v_mul_f32_e32 v2, v145, v194
	v_fma_f32 v4, v141, v190, -v4
	v_fmac_f32_e32 v2, v146, v193
	v_add_f32_e32 v3, v3, v4
	v_mul_f32_e32 v4, v144, v191
	v_add_f32_e32 v1, v1, v2
	s_waitcnt vmcnt(21)
	v_mul_f32_e32 v2, v147, v197
	v_fma_f32 v4, v143, v192, -v4
	s_waitcnt vmcnt(20)
	v_fmac_f32_e32 v2, v148, v198
	v_add_f32_e32 v3, v3, v4
	v_mul_f32_e32 v4, v146, v194
	v_add_f32_e32 v1, v1, v2
	s_waitcnt vmcnt(18)
	v_mul_f32_e32 v2, v149, v200
	v_fma_f32 v4, v145, v193, -v4
	v_fmac_f32_e32 v2, v150, v199
	v_add_f32_e32 v3, v3, v4
	v_mul_f32_e32 v4, v148, v197
	v_add_f32_e32 v1, v1, v2
	s_waitcnt vmcnt(16)
	v_mul_f32_e32 v2, v151, v202
	v_fma_f32 v4, v147, v198, -v4
	;; [unrolled: 7-line block ×7, first 2 shown]
	v_fmac_f32_e32 v2, v162, v211
	v_add_f32_e32 v3, v3, v4
	v_mul_f32_e32 v4, v160, v210
	v_add_f32_e32 v219, v1, v2
	ds_read_b64 v[1:2], v114 offset:888
	v_fma_f32 v4, v159, v209, -v4
	s_waitcnt vmcnt(4)
	v_mul_f32_e32 v220, v163, v214
	v_add_f32_e32 v3, v3, v4
	v_mul_f32_e32 v4, v162, v212
	v_fmac_f32_e32 v220, v164, v213
	v_fma_f32 v4, v161, v211, -v4
	v_add_f32_e32 v219, v219, v220
	s_waitcnt vmcnt(2)
	v_mul_f32_e32 v220, v165, v216
	v_add_f32_e32 v3, v3, v4
	v_mul_f32_e32 v4, v164, v214
	v_fmac_f32_e32 v220, v166, v215
	v_fma_f32 v4, v163, v213, -v4
	v_add_f32_e32 v219, v219, v220
	s_waitcnt vmcnt(0) lgkmcnt(0)
	v_mul_f32_e32 v220, v1, v218
	v_add_f32_e32 v3, v3, v4
	v_mul_f32_e32 v4, v166, v216
	v_fmac_f32_e32 v220, v2, v217
	v_fma_f32 v4, v165, v215, -v4
	v_mul_f32_e32 v2, v2, v218
	v_add_f32_e32 v3, v3, v4
	v_fma_f32 v1, v1, v217, -v2
	v_add_f32_e32 v1, v3, v1
	v_add_f32_e32 v219, v219, v220
	v_sub_f32_e32 v1, v195, v1
	v_sub_f32_e32 v2, v196, v219
	buffer_store_dword v1, off, s[0:3], 0 offset:224
	buffer_store_dword v2, off, s[0:3], 0 offset:228
	s_and_saveexec_b64 s[4:5], vcc
	s_cbranch_execz .LBB55_295
; %bb.294:
	buffer_load_dword v1, off, s[0:3], 0 offset:216
	buffer_load_dword v2, off, s[0:3], 0 offset:220
	s_waitcnt vmcnt(0)
	ds_write_b64 v113, v[1:2]
	buffer_store_dword v114, off, s[0:3], 0 offset:216
	buffer_store_dword v114, off, s[0:3], 0 offset:220
.LBB55_295:
	s_or_b64 exec, exec, s[4:5]
	s_waitcnt lgkmcnt(0)
	; wave barrier
	buffer_load_dword v1, off, s[0:3], 0 offset:228
	buffer_load_dword v2, off, s[0:3], 0 offset:236
	;; [unrolled: 1-line block ×34, first 2 shown]
	ds_read_b128 v[115:118], v114 offset:672
	ds_read_b128 v[119:122], v114 offset:688
	buffer_load_dword v199, off, s[0:3], 0 offset:356
	buffer_load_dword v200, off, s[0:3], 0 offset:352
	;; [unrolled: 1-line block ×6, first 2 shown]
	ds_read_b128 v[123:126], v114 offset:704
	ds_read_b128 v[127:130], v114 offset:720
	;; [unrolled: 1-line block ×4, first 2 shown]
	buffer_load_dword v205, off, s[0:3], 0 offset:380
	buffer_load_dword v206, off, s[0:3], 0 offset:376
	;; [unrolled: 1-line block ×18, first 2 shown]
	v_cmp_lt_u32_e32 vcc, 26, v0
	s_waitcnt vmcnt(57) lgkmcnt(5)
	v_mul_f32_e32 v139, v115, v1
	s_waitcnt vmcnt(56)
	v_mul_f32_e32 v140, v117, v2
	s_waitcnt vmcnt(55) lgkmcnt(4)
	v_mul_f32_e32 v141, v119, v3
	s_waitcnt vmcnt(54)
	v_mul_f32_e32 v142, v121, v4
	;; [unrolled: 4-line block ×3, first 2 shown]
	v_mul_f32_e32 v1, v116, v1
	s_waitcnt vmcnt(51) lgkmcnt(2)
	v_mul_f32_e32 v145, v127, v171
	s_waitcnt vmcnt(49)
	v_fmac_f32_e32 v139, v116, v173
	s_waitcnt vmcnt(48)
	v_fmac_f32_e32 v140, v118, v174
	v_add_f32_e32 v139, 0, v139
	s_waitcnt vmcnt(47)
	v_fmac_f32_e32 v141, v120, v175
	v_add_f32_e32 v139, v139, v140
	;; [unrolled: 3-line block ×5, first 2 shown]
	v_fma_f32 v1, v115, v173, -v1
	v_mul_f32_e32 v2, v118, v2
	v_mul_f32_e32 v146, v129, v172
	s_waitcnt vmcnt(43)
	v_fmac_f32_e32 v145, v128, v179
	v_add_f32_e32 v139, v139, v144
	v_add_f32_e32 v1, 0, v1
	v_fma_f32 v2, v117, v174, -v2
	s_waitcnt vmcnt(42)
	v_fmac_f32_e32 v146, v130, v180
	v_add_f32_e32 v139, v139, v145
	s_waitcnt vmcnt(41) lgkmcnt(1)
	v_mul_f32_e32 v140, v131, v181
	v_add_f32_e32 v1, v1, v2
	v_mul_f32_e32 v2, v120, v3
	v_add_f32_e32 v139, v139, v146
	s_waitcnt vmcnt(40)
	v_fmac_f32_e32 v140, v132, v182
	v_fma_f32 v2, v119, v175, -v2
	v_add_f32_e32 v139, v139, v140
	s_waitcnt vmcnt(39)
	v_mul_f32_e32 v140, v133, v183
	v_add_f32_e32 v1, v1, v2
	v_mul_f32_e32 v2, v122, v4
	s_waitcnt vmcnt(38)
	v_fmac_f32_e32 v140, v134, v184
	v_fma_f32 v2, v121, v176, -v2
	v_add_f32_e32 v139, v139, v140
	s_waitcnt vmcnt(37) lgkmcnt(0)
	v_mul_f32_e32 v140, v135, v185
	v_add_f32_e32 v1, v1, v2
	v_mul_f32_e32 v2, v124, v5
	s_waitcnt vmcnt(36)
	v_fmac_f32_e32 v140, v136, v186
	v_fma_f32 v2, v123, v177, -v2
	v_add_f32_e32 v143, v139, v140
	ds_read_b128 v[139:142], v114 offset:768
	v_add_f32_e32 v1, v1, v2
	v_mul_f32_e32 v2, v126, v6
	v_fma_f32 v2, v125, v178, -v2
	s_waitcnt vmcnt(35)
	v_mul_f32_e32 v144, v137, v187
	v_add_f32_e32 v1, v1, v2
	v_mul_f32_e32 v2, v128, v171
	s_waitcnt vmcnt(34)
	v_fmac_f32_e32 v144, v138, v188
	v_fma_f32 v2, v127, v179, -v2
	v_add_f32_e32 v147, v143, v144
	ds_read_b128 v[143:146], v114 offset:784
	v_add_f32_e32 v1, v1, v2
	v_mul_f32_e32 v2, v130, v172
	s_waitcnt vmcnt(33) lgkmcnt(1)
	v_mul_f32_e32 v148, v139, v189
	v_fma_f32 v2, v129, v180, -v2
	s_waitcnt vmcnt(32)
	v_fmac_f32_e32 v148, v140, v190
	v_add_f32_e32 v1, v1, v2
	v_mul_f32_e32 v2, v132, v181
	v_add_f32_e32 v147, v147, v148
	s_waitcnt vmcnt(31)
	v_mul_f32_e32 v148, v141, v191
	v_fma_f32 v2, v131, v182, -v2
	s_waitcnt vmcnt(30)
	v_fmac_f32_e32 v148, v142, v192
	v_add_f32_e32 v1, v1, v2
	v_mul_f32_e32 v2, v134, v183
	v_add_f32_e32 v147, v147, v148
	s_waitcnt vmcnt(29) lgkmcnt(0)
	v_mul_f32_e32 v148, v143, v193
	v_fma_f32 v2, v133, v184, -v2
	s_waitcnt vmcnt(28)
	v_fmac_f32_e32 v148, v144, v194
	v_add_f32_e32 v1, v1, v2
	v_mul_f32_e32 v2, v136, v185
	v_add_f32_e32 v151, v147, v148
	ds_read_b128 v[147:150], v114 offset:800
	v_fma_f32 v2, v135, v186, -v2
	v_add_f32_e32 v1, v1, v2
	v_mul_f32_e32 v2, v138, v187
	s_waitcnt vmcnt(25)
	v_mul_f32_e32 v152, v145, v197
	v_fma_f32 v2, v137, v188, -v2
	s_waitcnt vmcnt(24)
	v_fmac_f32_e32 v152, v146, v198
	v_add_f32_e32 v1, v1, v2
	v_mul_f32_e32 v2, v140, v189
	v_add_f32_e32 v155, v151, v152
	ds_read_b128 v[151:154], v114 offset:816
	v_fma_f32 v2, v139, v190, -v2
	s_waitcnt vmcnt(23) lgkmcnt(1)
	v_mul_f32_e32 v156, v147, v199
	v_add_f32_e32 v1, v1, v2
	v_mul_f32_e32 v2, v142, v191
	s_waitcnt vmcnt(22)
	v_fmac_f32_e32 v156, v148, v200
	v_fma_f32 v2, v141, v192, -v2
	v_add_f32_e32 v155, v155, v156
	s_waitcnt vmcnt(20)
	v_mul_f32_e32 v156, v149, v202
	v_add_f32_e32 v1, v1, v2
	v_mul_f32_e32 v2, v144, v193
	v_fmac_f32_e32 v156, v150, v201
	v_fma_f32 v2, v143, v194, -v2
	v_add_f32_e32 v155, v155, v156
	s_waitcnt vmcnt(18) lgkmcnt(0)
	v_mul_f32_e32 v156, v151, v204
	v_add_f32_e32 v1, v1, v2
	v_mul_f32_e32 v2, v146, v197
	v_fmac_f32_e32 v156, v152, v203
	v_fma_f32 v2, v145, v198, -v2
	v_add_f32_e32 v159, v155, v156
	ds_read_b128 v[155:158], v114 offset:832
	v_add_f32_e32 v1, v1, v2
	v_mul_f32_e32 v2, v148, v199
	v_fma_f32 v2, v147, v200, -v2
	s_waitcnt vmcnt(17)
	v_mul_f32_e32 v160, v153, v205
	v_add_f32_e32 v1, v1, v2
	v_mul_f32_e32 v2, v150, v202
	s_waitcnt vmcnt(16)
	v_fmac_f32_e32 v160, v154, v206
	v_fma_f32 v2, v149, v201, -v2
	v_add_f32_e32 v163, v159, v160
	ds_read_b128 v[159:162], v114 offset:848
	v_add_f32_e32 v1, v1, v2
	v_mul_f32_e32 v2, v152, v204
	s_waitcnt vmcnt(14) lgkmcnt(1)
	v_mul_f32_e32 v164, v155, v208
	v_fma_f32 v2, v151, v203, -v2
	v_fmac_f32_e32 v164, v156, v207
	v_add_f32_e32 v1, v1, v2
	v_mul_f32_e32 v2, v154, v205
	v_add_f32_e32 v163, v163, v164
	s_waitcnt vmcnt(12)
	v_mul_f32_e32 v164, v157, v210
	v_fma_f32 v2, v153, v206, -v2
	v_fmac_f32_e32 v164, v158, v209
	v_add_f32_e32 v1, v1, v2
	v_mul_f32_e32 v2, v156, v208
	v_add_f32_e32 v163, v163, v164
	s_waitcnt vmcnt(10) lgkmcnt(0)
	v_mul_f32_e32 v164, v159, v212
	v_fma_f32 v2, v155, v207, -v2
	v_fmac_f32_e32 v164, v160, v211
	v_add_f32_e32 v1, v1, v2
	v_mul_f32_e32 v2, v158, v210
	v_add_f32_e32 v167, v163, v164
	ds_read_b128 v[163:166], v114 offset:864
	v_fma_f32 v2, v157, v209, -v2
	v_add_f32_e32 v1, v1, v2
	v_mul_f32_e32 v2, v160, v212
	s_waitcnt vmcnt(8)
	v_mul_f32_e32 v168, v161, v214
	v_fma_f32 v2, v159, v211, -v2
	v_fmac_f32_e32 v168, v162, v213
	v_add_f32_e32 v1, v1, v2
	v_mul_f32_e32 v2, v162, v214
	v_add_f32_e32 v223, v167, v168
	ds_read_b128 v[167:170], v114 offset:880
	v_fma_f32 v2, v161, v213, -v2
	v_add_f32_e32 v1, v1, v2
	s_waitcnt vmcnt(6) lgkmcnt(1)
	v_mul_f32_e32 v2, v164, v216
	v_mul_f32_e32 v114, v163, v216
	v_fma_f32 v2, v163, v215, -v2
	v_fmac_f32_e32 v114, v164, v215
	v_add_f32_e32 v1, v1, v2
	s_waitcnt vmcnt(4)
	v_mul_f32_e32 v2, v166, v218
	v_add_f32_e32 v114, v223, v114
	v_mul_f32_e32 v223, v165, v218
	v_fma_f32 v2, v165, v217, -v2
	v_fmac_f32_e32 v223, v166, v217
	v_add_f32_e32 v1, v1, v2
	s_waitcnt vmcnt(2) lgkmcnt(0)
	v_mul_f32_e32 v2, v168, v220
	v_add_f32_e32 v114, v114, v223
	v_mul_f32_e32 v223, v167, v220
	v_fma_f32 v2, v167, v219, -v2
	v_fmac_f32_e32 v223, v168, v219
	v_add_f32_e32 v1, v1, v2
	s_waitcnt vmcnt(0)
	v_mul_f32_e32 v2, v170, v222
	v_add_f32_e32 v114, v114, v223
	v_mul_f32_e32 v223, v169, v222
	v_fma_f32 v2, v169, v221, -v2
	v_fmac_f32_e32 v223, v170, v221
	v_add_f32_e32 v1, v1, v2
	v_add_f32_e32 v114, v114, v223
	v_sub_f32_e32 v1, v195, v1
	v_sub_f32_e32 v2, v196, v114
	buffer_store_dword v1, off, s[0:3], 0 offset:216
	buffer_store_dword v2, off, s[0:3], 0 offset:220
	s_and_saveexec_b64 s[4:5], vcc
	s_cbranch_execz .LBB55_297
; %bb.296:
	buffer_load_dword v1, off, s[0:3], 0 offset:208
	buffer_load_dword v2, off, s[0:3], 0 offset:212
	v_mov_b32_e32 v3, 0
	buffer_store_dword v3, off, s[0:3], 0 offset:208
	buffer_store_dword v3, off, s[0:3], 0 offset:212
	s_waitcnt vmcnt(2)
	ds_write_b64 v113, v[1:2]
.LBB55_297:
	s_or_b64 exec, exec, s[4:5]
	s_waitcnt lgkmcnt(0)
	; wave barrier
	buffer_load_dword v3, off, s[0:3], 0 offset:220
	buffer_load_dword v4, off, s[0:3], 0 offset:228
	;; [unrolled: 1-line block ×60, first 2 shown]
	v_mov_b32_e32 v114, 0
	ds_read2_b64 v[115:118], v114 offset0:83 offset1:84
	ds_read2_b64 v[119:122], v114 offset0:85 offset1:86
	;; [unrolled: 1-line block ×12, first 2 shown]
	v_cmp_lt_u32_e32 vcc, 25, v0
	s_waitcnt vmcnt(59) lgkmcnt(11)
	v_mul_f32_e32 v1, v115, v3
	v_mul_f32_e32 v3, v116, v3
	s_waitcnt vmcnt(58)
	v_mul_f32_e32 v2, v117, v4
	v_mul_f32_e32 v4, v118, v4
	s_waitcnt vmcnt(57) lgkmcnt(10)
	v_mul_f32_e32 v135, v119, v5
	s_waitcnt vmcnt(56)
	v_mul_f32_e32 v136, v121, v6
	s_waitcnt vmcnt(55) lgkmcnt(9)
	v_mul_f32_e32 v137, v123, v171
	s_waitcnt vmcnt(52)
	v_fma_f32 v3, v115, v174, -v3
	v_add_f32_e32 v3, 0, v3
	s_waitcnt vmcnt(51)
	v_fma_f32 v4, v117, v175, -v4
	v_add_f32_e32 v3, v3, v4
	v_mul_f32_e32 v4, v120, v5
	v_fmac_f32_e32 v1, v116, v174
	s_waitcnt vmcnt(50)
	v_fma_f32 v4, v119, v176, -v4
	v_fmac_f32_e32 v2, v118, v175
	v_add_f32_e32 v1, 0, v1
	v_add_f32_e32 v3, v3, v4
	v_mul_f32_e32 v4, v122, v6
	v_fmac_f32_e32 v135, v120, v176
	v_add_f32_e32 v1, v1, v2
	s_waitcnt vmcnt(49)
	v_fma_f32 v4, v121, v177, -v4
	v_fmac_f32_e32 v136, v122, v177
	v_add_f32_e32 v1, v1, v135
	v_add_f32_e32 v3, v3, v4
	v_mul_f32_e32 v4, v124, v171
	v_mul_f32_e32 v138, v125, v172
	s_waitcnt vmcnt(48)
	v_fmac_f32_e32 v137, v124, v178
	v_add_f32_e32 v1, v1, v136
	v_fma_f32 v4, v123, v178, -v4
	s_waitcnt lgkmcnt(8)
	v_mul_f32_e32 v139, v127, v173
	s_waitcnt vmcnt(47)
	v_fmac_f32_e32 v138, v126, v179
	v_add_f32_e32 v1, v1, v137
	v_add_f32_e32 v3, v3, v4
	v_mul_f32_e32 v4, v126, v172
	s_waitcnt vmcnt(46)
	v_fmac_f32_e32 v139, v128, v180
	v_add_f32_e32 v1, v1, v138
	s_waitcnt vmcnt(45)
	v_mul_f32_e32 v2, v129, v181
	v_fma_f32 v4, v125, v179, -v4
	v_add_f32_e32 v1, v1, v139
	s_waitcnt vmcnt(44)
	v_fmac_f32_e32 v2, v130, v182
	ds_read2_b64 v[135:138], v114 offset0:93 offset1:94
	ds_read2_b64 v[139:142], v114 offset0:95 offset1:96
	v_add_f32_e32 v3, v3, v4
	v_mul_f32_e32 v4, v128, v173
	v_add_f32_e32 v1, v1, v2
	s_waitcnt vmcnt(43) lgkmcnt(9)
	v_mul_f32_e32 v2, v131, v183
	v_fma_f32 v4, v127, v180, -v4
	s_waitcnt vmcnt(42)
	v_fmac_f32_e32 v2, v132, v184
	v_add_f32_e32 v3, v3, v4
	v_mul_f32_e32 v4, v130, v181
	v_add_f32_e32 v1, v1, v2
	s_waitcnt vmcnt(41)
	v_mul_f32_e32 v2, v133, v185
	v_fma_f32 v4, v129, v182, -v4
	s_waitcnt vmcnt(40)
	v_fmac_f32_e32 v2, v134, v186
	v_add_f32_e32 v3, v3, v4
	v_mul_f32_e32 v4, v132, v183
	v_add_f32_e32 v1, v1, v2
	s_waitcnt vmcnt(39) lgkmcnt(1)
	v_mul_f32_e32 v2, v135, v187
	v_fma_f32 v4, v131, v184, -v4
	s_waitcnt vmcnt(38)
	v_fmac_f32_e32 v2, v136, v188
	v_add_f32_e32 v3, v3, v4
	v_mul_f32_e32 v4, v134, v185
	v_add_f32_e32 v1, v1, v2
	s_waitcnt vmcnt(37)
	v_mul_f32_e32 v2, v137, v189
	v_fma_f32 v4, v133, v186, -v4
	s_waitcnt vmcnt(36)
	v_fmac_f32_e32 v2, v138, v190
	v_add_f32_e32 v3, v3, v4
	v_mul_f32_e32 v4, v136, v187
	v_add_f32_e32 v1, v1, v2
	s_waitcnt vmcnt(34) lgkmcnt(0)
	v_mul_f32_e32 v2, v139, v192
	v_fma_f32 v4, v135, v188, -v4
	v_fmac_f32_e32 v2, v140, v191
	v_add_f32_e32 v3, v3, v4
	v_mul_f32_e32 v4, v138, v189
	v_add_f32_e32 v1, v1, v2
	s_waitcnt vmcnt(31)
	v_mul_f32_e32 v2, v141, v195
	v_fma_f32 v4, v137, v190, -v4
	s_waitcnt vmcnt(30)
	v_fmac_f32_e32 v2, v142, v196
	v_add_f32_e32 v3, v3, v4
	v_mul_f32_e32 v4, v140, v192
	v_add_f32_e32 v1, v1, v2
	s_waitcnt vmcnt(28)
	v_mul_f32_e32 v2, v143, v198
	v_fma_f32 v4, v139, v191, -v4
	v_fmac_f32_e32 v2, v144, v197
	v_add_f32_e32 v3, v3, v4
	v_mul_f32_e32 v4, v142, v195
	v_add_f32_e32 v1, v1, v2
	s_waitcnt vmcnt(26)
	v_mul_f32_e32 v2, v145, v200
	v_fma_f32 v4, v141, v196, -v4
	;; [unrolled: 7-line block ×12, first 2 shown]
	v_fmac_f32_e32 v2, v166, v219
	v_add_f32_e32 v3, v3, v4
	v_mul_f32_e32 v4, v164, v218
	v_add_f32_e32 v227, v1, v2
	ds_read_b64 v[1:2], v114 offset:888
	v_fma_f32 v4, v163, v217, -v4
	s_waitcnt vmcnt(4)
	v_mul_f32_e32 v228, v167, v222
	v_add_f32_e32 v3, v3, v4
	v_mul_f32_e32 v4, v166, v220
	v_fmac_f32_e32 v228, v168, v221
	v_fma_f32 v4, v165, v219, -v4
	v_add_f32_e32 v227, v227, v228
	s_waitcnt vmcnt(2)
	v_mul_f32_e32 v228, v169, v224
	v_add_f32_e32 v3, v3, v4
	v_mul_f32_e32 v4, v168, v222
	v_fmac_f32_e32 v228, v170, v223
	v_fma_f32 v4, v167, v221, -v4
	v_add_f32_e32 v227, v227, v228
	s_waitcnt vmcnt(0) lgkmcnt(0)
	v_mul_f32_e32 v228, v1, v226
	v_add_f32_e32 v3, v3, v4
	v_mul_f32_e32 v4, v170, v224
	v_fmac_f32_e32 v228, v2, v225
	v_fma_f32 v4, v169, v223, -v4
	v_mul_f32_e32 v2, v2, v226
	v_add_f32_e32 v3, v3, v4
	v_fma_f32 v1, v1, v225, -v2
	v_add_f32_e32 v1, v3, v1
	v_add_f32_e32 v227, v227, v228
	v_sub_f32_e32 v1, v193, v1
	v_sub_f32_e32 v2, v194, v227
	buffer_store_dword v1, off, s[0:3], 0 offset:208
	buffer_store_dword v2, off, s[0:3], 0 offset:212
	s_and_saveexec_b64 s[4:5], vcc
	s_cbranch_execz .LBB55_299
; %bb.298:
	buffer_load_dword v1, off, s[0:3], 0 offset:200
	buffer_load_dword v2, off, s[0:3], 0 offset:204
	s_waitcnt vmcnt(0)
	ds_write_b64 v113, v[1:2]
	buffer_store_dword v114, off, s[0:3], 0 offset:200
	buffer_store_dword v114, off, s[0:3], 0 offset:204
.LBB55_299:
	s_or_b64 exec, exec, s[4:5]
	s_waitcnt lgkmcnt(0)
	; wave barrier
	buffer_load_dword v1, off, s[0:3], 0 offset:212
	buffer_load_dword v2, off, s[0:3], 0 offset:220
	;; [unrolled: 1-line block ×32, first 2 shown]
	ds_read_b128 v[115:118], v114 offset:656
	ds_read_b128 v[119:122], v114 offset:672
	;; [unrolled: 1-line block ×4, first 2 shown]
	buffer_load_dword v201, off, s[0:3], 0 offset:332
	buffer_load_dword v202, off, s[0:3], 0 offset:328
	;; [unrolled: 1-line block ×30, first 2 shown]
	v_cmp_lt_u32_e32 vcc, 24, v0
	s_waitcnt vmcnt(61) lgkmcnt(3)
	v_mul_f32_e32 v131, v115, v1
	s_waitcnt vmcnt(60)
	v_mul_f32_e32 v132, v117, v2
	s_waitcnt vmcnt(59) lgkmcnt(2)
	v_mul_f32_e32 v133, v119, v3
	s_waitcnt vmcnt(58)
	v_mul_f32_e32 v134, v121, v4
	;; [unrolled: 4-line block ×3, first 2 shown]
	s_waitcnt vmcnt(55) lgkmcnt(0)
	v_mul_f32_e32 v137, v127, v175
	s_waitcnt vmcnt(54)
	v_fmac_f32_e32 v131, v116, v176
	s_waitcnt vmcnt(53)
	v_fmac_f32_e32 v132, v118, v177
	v_add_f32_e32 v131, 0, v131
	s_waitcnt vmcnt(52)
	v_fmac_f32_e32 v133, v120, v178
	v_add_f32_e32 v131, v131, v132
	;; [unrolled: 3-line block ×6, first 2 shown]
	v_add_f32_e32 v135, v131, v137
	ds_read_b128 v[131:134], v114 offset:720
	s_waitcnt vmcnt(47)
	v_mul_f32_e32 v136, v129, v183
	s_waitcnt vmcnt(46)
	v_fmac_f32_e32 v136, v130, v184
	v_mul_f32_e32 v1, v116, v1
	v_add_f32_e32 v139, v135, v136
	ds_read_b128 v[135:138], v114 offset:736
	v_fma_f32 v1, v115, v176, -v1
	v_mul_f32_e32 v2, v118, v2
	s_waitcnt vmcnt(45) lgkmcnt(1)
	v_mul_f32_e32 v140, v131, v185
	v_add_f32_e32 v1, 0, v1
	v_fma_f32 v2, v117, v177, -v2
	s_waitcnt vmcnt(44)
	v_fmac_f32_e32 v140, v132, v186
	v_add_f32_e32 v1, v1, v2
	v_mul_f32_e32 v2, v120, v3
	v_add_f32_e32 v139, v139, v140
	s_waitcnt vmcnt(43)
	v_mul_f32_e32 v140, v133, v187
	v_fma_f32 v2, v119, v178, -v2
	s_waitcnt vmcnt(42)
	v_fmac_f32_e32 v140, v134, v188
	v_add_f32_e32 v1, v1, v2
	v_mul_f32_e32 v2, v122, v4
	v_add_f32_e32 v139, v139, v140
	s_waitcnt vmcnt(41) lgkmcnt(0)
	v_mul_f32_e32 v140, v135, v189
	v_fma_f32 v2, v121, v179, -v2
	s_waitcnt vmcnt(40)
	v_fmac_f32_e32 v140, v136, v190
	v_add_f32_e32 v1, v1, v2
	v_mul_f32_e32 v2, v124, v5
	v_add_f32_e32 v143, v139, v140
	ds_read_b128 v[139:142], v114 offset:752
	v_fma_f32 v2, v123, v180, -v2
	v_add_f32_e32 v1, v1, v2
	v_mul_f32_e32 v2, v126, v6
	s_waitcnt vmcnt(39)
	v_mul_f32_e32 v144, v137, v191
	v_fma_f32 v2, v125, v181, -v2
	s_waitcnt vmcnt(38)
	v_fmac_f32_e32 v144, v138, v192
	v_add_f32_e32 v1, v1, v2
	v_mul_f32_e32 v2, v128, v175
	v_add_f32_e32 v147, v143, v144
	ds_read_b128 v[143:146], v114 offset:768
	v_fma_f32 v2, v127, v182, -v2
	s_waitcnt vmcnt(35) lgkmcnt(1)
	v_mul_f32_e32 v148, v139, v195
	v_add_f32_e32 v1, v1, v2
	v_mul_f32_e32 v2, v130, v183
	s_waitcnt vmcnt(34)
	v_fmac_f32_e32 v148, v140, v196
	v_fma_f32 v2, v129, v184, -v2
	v_add_f32_e32 v147, v147, v148
	s_waitcnt vmcnt(32)
	v_mul_f32_e32 v148, v141, v198
	v_add_f32_e32 v1, v1, v2
	v_mul_f32_e32 v2, v132, v185
	v_fmac_f32_e32 v148, v142, v197
	v_fma_f32 v2, v131, v186, -v2
	v_add_f32_e32 v147, v147, v148
	s_waitcnt vmcnt(30) lgkmcnt(0)
	v_mul_f32_e32 v148, v143, v200
	v_add_f32_e32 v1, v1, v2
	v_mul_f32_e32 v2, v134, v187
	v_fmac_f32_e32 v148, v144, v199
	v_fma_f32 v2, v133, v188, -v2
	v_add_f32_e32 v151, v147, v148
	ds_read_b128 v[147:150], v114 offset:784
	v_add_f32_e32 v1, v1, v2
	v_mul_f32_e32 v2, v136, v189
	v_fma_f32 v2, v135, v190, -v2
	s_waitcnt vmcnt(29)
	v_mul_f32_e32 v152, v145, v201
	v_add_f32_e32 v1, v1, v2
	v_mul_f32_e32 v2, v138, v191
	s_waitcnt vmcnt(28)
	v_fmac_f32_e32 v152, v146, v202
	v_fma_f32 v2, v137, v192, -v2
	v_add_f32_e32 v155, v151, v152
	ds_read_b128 v[151:154], v114 offset:800
	v_add_f32_e32 v1, v1, v2
	v_mul_f32_e32 v2, v140, v195
	s_waitcnt vmcnt(26) lgkmcnt(1)
	v_mul_f32_e32 v156, v147, v204
	v_fma_f32 v2, v139, v196, -v2
	v_fmac_f32_e32 v156, v148, v203
	v_add_f32_e32 v1, v1, v2
	v_mul_f32_e32 v2, v142, v198
	v_add_f32_e32 v155, v155, v156
	s_waitcnt vmcnt(24)
	v_mul_f32_e32 v156, v149, v206
	v_fma_f32 v2, v141, v197, -v2
	v_fmac_f32_e32 v156, v150, v205
	v_add_f32_e32 v1, v1, v2
	v_mul_f32_e32 v2, v144, v200
	v_add_f32_e32 v155, v155, v156
	s_waitcnt vmcnt(22) lgkmcnt(0)
	v_mul_f32_e32 v156, v151, v208
	v_fma_f32 v2, v143, v199, -v2
	v_fmac_f32_e32 v156, v152, v207
	v_add_f32_e32 v1, v1, v2
	v_mul_f32_e32 v2, v146, v201
	v_add_f32_e32 v159, v155, v156
	ds_read_b128 v[155:158], v114 offset:816
	v_fma_f32 v2, v145, v202, -v2
	v_add_f32_e32 v1, v1, v2
	v_mul_f32_e32 v2, v148, v204
	s_waitcnt vmcnt(20)
	v_mul_f32_e32 v160, v153, v210
	v_fma_f32 v2, v147, v203, -v2
	v_fmac_f32_e32 v160, v154, v209
	v_add_f32_e32 v1, v1, v2
	v_mul_f32_e32 v2, v150, v206
	v_add_f32_e32 v163, v159, v160
	ds_read_b128 v[159:162], v114 offset:832
	v_fma_f32 v2, v149, v205, -v2
	s_waitcnt vmcnt(18) lgkmcnt(1)
	v_mul_f32_e32 v164, v155, v212
	v_add_f32_e32 v1, v1, v2
	v_mul_f32_e32 v2, v152, v208
	v_fmac_f32_e32 v164, v156, v211
	v_fma_f32 v2, v151, v207, -v2
	v_add_f32_e32 v163, v163, v164
	s_waitcnt vmcnt(16)
	v_mul_f32_e32 v164, v157, v214
	v_add_f32_e32 v1, v1, v2
	v_mul_f32_e32 v2, v154, v210
	v_fmac_f32_e32 v164, v158, v213
	v_fma_f32 v2, v153, v209, -v2
	v_add_f32_e32 v163, v163, v164
	s_waitcnt vmcnt(14) lgkmcnt(0)
	v_mul_f32_e32 v164, v159, v216
	v_add_f32_e32 v1, v1, v2
	v_mul_f32_e32 v2, v156, v212
	v_fmac_f32_e32 v164, v160, v215
	v_fma_f32 v2, v155, v211, -v2
	v_add_f32_e32 v167, v163, v164
	ds_read_b128 v[163:166], v114 offset:848
	v_add_f32_e32 v1, v1, v2
	v_mul_f32_e32 v2, v158, v214
	v_fma_f32 v2, v157, v213, -v2
	v_add_f32_e32 v1, v1, v2
	v_mul_f32_e32 v2, v160, v216
	s_waitcnt vmcnt(12)
	v_mul_f32_e32 v168, v161, v218
	v_fma_f32 v2, v159, v215, -v2
	v_fmac_f32_e32 v168, v162, v217
	v_add_f32_e32 v1, v1, v2
	v_mul_f32_e32 v2, v162, v218
	v_add_f32_e32 v171, v167, v168
	ds_read_b128 v[167:170], v114 offset:864
	s_waitcnt vmcnt(10) lgkmcnt(1)
	v_mul_f32_e32 v172, v163, v220
	v_fma_f32 v2, v161, v217, -v2
	v_fmac_f32_e32 v172, v164, v219
	v_add_f32_e32 v1, v1, v2
	v_mul_f32_e32 v2, v164, v220
	v_add_f32_e32 v171, v171, v172
	s_waitcnt vmcnt(8)
	v_mul_f32_e32 v172, v165, v222
	v_fma_f32 v2, v163, v219, -v2
	v_fmac_f32_e32 v172, v166, v221
	v_add_f32_e32 v1, v1, v2
	v_mul_f32_e32 v2, v166, v222
	v_add_f32_e32 v231, v171, v172
	ds_read_b128 v[171:174], v114 offset:880
	v_fma_f32 v2, v165, v221, -v2
	v_add_f32_e32 v1, v1, v2
	s_waitcnt vmcnt(6) lgkmcnt(1)
	v_mul_f32_e32 v2, v168, v224
	v_mul_f32_e32 v232, v167, v224
	v_fma_f32 v2, v167, v223, -v2
	v_fmac_f32_e32 v232, v168, v223
	v_add_f32_e32 v1, v1, v2
	s_waitcnt vmcnt(4)
	v_mul_f32_e32 v2, v170, v226
	v_add_f32_e32 v114, v231, v232
	v_mul_f32_e32 v231, v169, v226
	v_fma_f32 v2, v169, v225, -v2
	v_fmac_f32_e32 v231, v170, v225
	v_add_f32_e32 v1, v1, v2
	s_waitcnt vmcnt(2) lgkmcnt(0)
	v_mul_f32_e32 v2, v172, v228
	v_add_f32_e32 v114, v114, v231
	v_mul_f32_e32 v231, v171, v228
	v_fma_f32 v2, v171, v227, -v2
	v_fmac_f32_e32 v231, v172, v227
	v_add_f32_e32 v1, v1, v2
	s_waitcnt vmcnt(0)
	v_mul_f32_e32 v2, v174, v230
	v_add_f32_e32 v114, v114, v231
	v_mul_f32_e32 v231, v173, v230
	v_fma_f32 v2, v173, v229, -v2
	v_fmac_f32_e32 v231, v174, v229
	v_add_f32_e32 v1, v1, v2
	v_add_f32_e32 v114, v114, v231
	v_sub_f32_e32 v1, v193, v1
	v_sub_f32_e32 v2, v194, v114
	buffer_store_dword v1, off, s[0:3], 0 offset:200
	buffer_store_dword v2, off, s[0:3], 0 offset:204
	s_and_saveexec_b64 s[4:5], vcc
	s_cbranch_execz .LBB55_301
; %bb.300:
	buffer_load_dword v1, off, s[0:3], 0 offset:192
	buffer_load_dword v2, off, s[0:3], 0 offset:196
	v_mov_b32_e32 v3, 0
	buffer_store_dword v3, off, s[0:3], 0 offset:192
	buffer_store_dword v3, off, s[0:3], 0 offset:196
	s_waitcnt vmcnt(2)
	ds_write_b64 v113, v[1:2]
.LBB55_301:
	s_or_b64 exec, exec, s[4:5]
	s_waitcnt lgkmcnt(0)
	; wave barrier
	buffer_load_dword v3, off, s[0:3], 0 offset:204
	buffer_load_dword v4, off, s[0:3], 0 offset:212
	;; [unrolled: 1-line block ×24, first 2 shown]
	v_mov_b32_e32 v114, 0
	buffer_load_dword v195, off, s[0:3], 0 offset:292
	buffer_load_dword v196, off, s[0:3], 0 offset:288
	buffer_load_dword v197, off, s[0:3], 0 offset:296
	buffer_load_dword v198, off, s[0:3], 0 offset:300
	buffer_load_dword v199, off, s[0:3], 0 offset:304
	buffer_load_dword v200, off, s[0:3], 0 offset:308
	buffer_load_dword v201, off, s[0:3], 0 offset:312
	buffer_load_dword v202, off, s[0:3], 0 offset:316
	buffer_load_dword v203, off, s[0:3], 0 offset:320
	buffer_load_dword v204, off, s[0:3], 0 offset:324
	buffer_load_dword v205, off, s[0:3], 0 offset:328
	buffer_load_dword v206, off, s[0:3], 0 offset:332
	buffer_load_dword v207, off, s[0:3], 0 offset:336
	buffer_load_dword v208, off, s[0:3], 0 offset:340
	buffer_load_dword v209, off, s[0:3], 0 offset:344
	buffer_load_dword v210, off, s[0:3], 0 offset:348
	buffer_load_dword v211, off, s[0:3], 0 offset:352
	buffer_load_dword v212, off, s[0:3], 0 offset:356
	buffer_load_dword v213, off, s[0:3], 0 offset:360
	buffer_load_dword v214, off, s[0:3], 0 offset:364
	buffer_load_dword v215, off, s[0:3], 0 offset:368
	buffer_load_dword v216, off, s[0:3], 0 offset:372
	buffer_load_dword v217, off, s[0:3], 0 offset:376
	buffer_load_dword v218, off, s[0:3], 0 offset:380
	buffer_load_dword v219, off, s[0:3], 0 offset:384
	buffer_load_dword v220, off, s[0:3], 0 offset:388
	buffer_load_dword v221, off, s[0:3], 0 offset:392
	buffer_load_dword v222, off, s[0:3], 0 offset:396
	buffer_load_dword v223, off, s[0:3], 0 offset:400
	buffer_load_dword v224, off, s[0:3], 0 offset:404
	buffer_load_dword v225, off, s[0:3], 0 offset:408
	buffer_load_dword v226, off, s[0:3], 0 offset:412
	ds_read2_b64 v[115:118], v114 offset0:81 offset1:82
	buffer_load_dword v227, off, s[0:3], 0 offset:416
	buffer_load_dword v228, off, s[0:3], 0 offset:420
	buffer_load_dword v229, off, s[0:3], 0 offset:424
	buffer_load_dword v230, off, s[0:3], 0 offset:428
	ds_read2_b64 v[119:122], v114 offset0:83 offset1:84
	ds_read2_b64 v[123:126], v114 offset0:85 offset1:86
	;; [unrolled: 1-line block ×3, first 2 shown]
	v_cmp_lt_u32_e32 vcc, 23, v0
	s_waitcnt vmcnt(59) lgkmcnt(3)
	v_mul_f32_e32 v1, v115, v3
	s_waitcnt vmcnt(58)
	v_mul_f32_e32 v2, v117, v4
	s_waitcnt vmcnt(57) lgkmcnt(2)
	v_mul_f32_e32 v131, v119, v5
	s_waitcnt vmcnt(56)
	v_mul_f32_e32 v132, v121, v6
	;; [unrolled: 4-line block ×3, first 2 shown]
	v_mul_f32_e32 v3, v116, v3
	v_mul_f32_e32 v4, v118, v4
	s_waitcnt vmcnt(51)
	v_fmac_f32_e32 v1, v116, v179
	s_waitcnt vmcnt(50)
	v_fmac_f32_e32 v2, v118, v180
	v_add_f32_e32 v1, 0, v1
	s_waitcnt vmcnt(49)
	v_fmac_f32_e32 v131, v120, v181
	v_add_f32_e32 v1, v1, v2
	;; [unrolled: 3-line block ×5, first 2 shown]
	v_add_f32_e32 v1, v1, v134
	ds_read2_b64 v[131:134], v114 offset0:89 offset1:90
	buffer_load_dword v231, off, s[0:3], 0 offset:436
	buffer_load_dword v232, off, s[0:3], 0 offset:432
	;; [unrolled: 1-line block ×4, first 2 shown]
	v_fma_f32 v3, v115, v179, -v3
	v_add_f32_e32 v3, 0, v3
	v_fma_f32 v4, v117, v180, -v4
	v_add_f32_e32 v3, v3, v4
	v_mul_f32_e32 v4, v120, v5
	v_fma_f32 v4, v119, v181, -v4
	v_add_f32_e32 v3, v3, v4
	v_mul_f32_e32 v4, v122, v6
	;; [unrolled: 3-line block ×3, first 2 shown]
	s_waitcnt lgkmcnt(1)
	v_mul_f32_e32 v135, v127, v177
	v_fma_f32 v4, v123, v183, -v4
	v_mul_f32_e32 v136, v129, v178
	s_waitcnt vmcnt(49)
	v_fmac_f32_e32 v135, v128, v185
	v_add_f32_e32 v3, v3, v4
	v_mul_f32_e32 v4, v126, v176
	v_add_f32_e32 v1, v1, v135
	s_waitcnt vmcnt(48)
	v_fmac_f32_e32 v136, v130, v186
	v_fma_f32 v4, v125, v184, -v4
	v_add_f32_e32 v1, v1, v136
	ds_read2_b64 v[135:138], v114 offset0:91 offset1:92
	ds_read2_b64 v[139:142], v114 offset0:93 offset1:94
	v_add_f32_e32 v3, v3, v4
	v_mul_f32_e32 v4, v128, v177
	s_waitcnt vmcnt(47) lgkmcnt(2)
	v_mul_f32_e32 v2, v131, v187
	v_fma_f32 v4, v127, v185, -v4
	s_waitcnt vmcnt(46)
	v_fmac_f32_e32 v2, v132, v188
	v_add_f32_e32 v3, v3, v4
	v_mul_f32_e32 v4, v130, v178
	v_add_f32_e32 v1, v1, v2
	s_waitcnt vmcnt(45)
	v_mul_f32_e32 v2, v133, v189
	v_fma_f32 v4, v129, v186, -v4
	s_waitcnt vmcnt(44)
	v_fmac_f32_e32 v2, v134, v190
	v_add_f32_e32 v3, v3, v4
	v_mul_f32_e32 v4, v132, v187
	v_add_f32_e32 v1, v1, v2
	s_waitcnt vmcnt(42) lgkmcnt(1)
	v_mul_f32_e32 v2, v135, v192
	v_fma_f32 v4, v131, v188, -v4
	v_fmac_f32_e32 v2, v136, v191
	v_add_f32_e32 v3, v3, v4
	v_mul_f32_e32 v4, v134, v189
	v_add_f32_e32 v1, v1, v2
	s_waitcnt vmcnt(39)
	v_mul_f32_e32 v2, v137, v195
	v_fma_f32 v4, v133, v190, -v4
	s_waitcnt vmcnt(38)
	v_fmac_f32_e32 v2, v138, v196
	ds_read2_b64 v[143:146], v114 offset0:95 offset1:96
	ds_read2_b64 v[147:150], v114 offset0:97 offset1:98
	v_add_f32_e32 v3, v3, v4
	v_mul_f32_e32 v4, v136, v192
	v_add_f32_e32 v1, v1, v2
	s_waitcnt vmcnt(36) lgkmcnt(2)
	v_mul_f32_e32 v2, v139, v198
	v_fma_f32 v4, v135, v191, -v4
	v_fmac_f32_e32 v2, v140, v197
	v_add_f32_e32 v3, v3, v4
	v_mul_f32_e32 v4, v138, v195
	v_add_f32_e32 v1, v1, v2
	s_waitcnt vmcnt(34)
	v_mul_f32_e32 v2, v141, v200
	v_fma_f32 v4, v137, v196, -v4
	v_fmac_f32_e32 v2, v142, v199
	v_add_f32_e32 v3, v3, v4
	v_mul_f32_e32 v4, v140, v198
	v_add_f32_e32 v1, v1, v2
	s_waitcnt vmcnt(32) lgkmcnt(1)
	v_mul_f32_e32 v2, v143, v202
	v_fma_f32 v4, v139, v197, -v4
	v_fmac_f32_e32 v2, v144, v201
	v_add_f32_e32 v3, v3, v4
	v_mul_f32_e32 v4, v142, v200
	v_add_f32_e32 v1, v1, v2
	s_waitcnt vmcnt(30)
	v_mul_f32_e32 v2, v145, v204
	v_fma_f32 v4, v141, v199, -v4
	v_fmac_f32_e32 v2, v146, v203
	ds_read2_b64 v[151:154], v114 offset0:99 offset1:100
	ds_read2_b64 v[155:158], v114 offset0:101 offset1:102
	v_add_f32_e32 v3, v3, v4
	v_mul_f32_e32 v4, v144, v202
	v_add_f32_e32 v1, v1, v2
	s_waitcnt vmcnt(28) lgkmcnt(2)
	v_mul_f32_e32 v2, v147, v206
	v_fma_f32 v4, v143, v201, -v4
	v_fmac_f32_e32 v2, v148, v205
	v_add_f32_e32 v3, v3, v4
	v_mul_f32_e32 v4, v146, v204
	v_add_f32_e32 v1, v1, v2
	s_waitcnt vmcnt(26)
	v_mul_f32_e32 v2, v149, v208
	v_fma_f32 v4, v145, v203, -v4
	v_fmac_f32_e32 v2, v150, v207
	v_add_f32_e32 v3, v3, v4
	v_mul_f32_e32 v4, v148, v206
	v_add_f32_e32 v1, v1, v2
	s_waitcnt vmcnt(24) lgkmcnt(1)
	v_mul_f32_e32 v2, v151, v210
	v_fma_f32 v4, v147, v205, -v4
	v_fmac_f32_e32 v2, v152, v209
	v_add_f32_e32 v3, v3, v4
	v_mul_f32_e32 v4, v150, v208
	v_add_f32_e32 v1, v1, v2
	s_waitcnt vmcnt(22)
	v_mul_f32_e32 v2, v153, v212
	v_fma_f32 v4, v149, v207, -v4
	;; [unrolled: 30-line block ×4, first 2 shown]
	v_fmac_f32_e32 v2, v170, v227
	v_add_f32_e32 v3, v3, v4
	v_mul_f32_e32 v4, v168, v226
	v_add_f32_e32 v235, v1, v2
	ds_read_b64 v[1:2], v114 offset:888
	v_fma_f32 v4, v167, v225, -v4
	s_waitcnt vmcnt(4) lgkmcnt(1)
	v_mul_f32_e32 v236, v171, v230
	v_add_f32_e32 v3, v3, v4
	v_mul_f32_e32 v4, v170, v228
	v_fmac_f32_e32 v236, v172, v229
	v_fma_f32 v4, v169, v227, -v4
	v_add_f32_e32 v235, v235, v236
	s_waitcnt vmcnt(3)
	v_mul_f32_e32 v236, v173, v231
	v_add_f32_e32 v3, v3, v4
	v_mul_f32_e32 v4, v172, v230
	s_waitcnt vmcnt(2)
	v_fmac_f32_e32 v236, v174, v232
	v_fma_f32 v4, v171, v229, -v4
	v_add_f32_e32 v235, v235, v236
	s_waitcnt vmcnt(0) lgkmcnt(0)
	v_mul_f32_e32 v236, v1, v234
	v_add_f32_e32 v3, v3, v4
	v_mul_f32_e32 v4, v174, v231
	v_fmac_f32_e32 v236, v2, v233
	v_fma_f32 v4, v173, v232, -v4
	v_mul_f32_e32 v2, v2, v234
	v_add_f32_e32 v3, v3, v4
	v_fma_f32 v1, v1, v233, -v2
	v_add_f32_e32 v1, v3, v1
	v_add_f32_e32 v235, v235, v236
	v_sub_f32_e32 v1, v193, v1
	v_sub_f32_e32 v2, v194, v235
	buffer_store_dword v1, off, s[0:3], 0 offset:192
	buffer_store_dword v2, off, s[0:3], 0 offset:196
	s_and_saveexec_b64 s[4:5], vcc
	s_cbranch_execz .LBB55_303
; %bb.302:
	buffer_load_dword v1, off, s[0:3], 0 offset:184
	buffer_load_dword v2, off, s[0:3], 0 offset:188
	s_waitcnt vmcnt(0)
	ds_write_b64 v113, v[1:2]
	buffer_store_dword v114, off, s[0:3], 0 offset:184
	buffer_store_dword v114, off, s[0:3], 0 offset:188
.LBB55_303:
	s_or_b64 exec, exec, s[4:5]
	s_waitcnt lgkmcnt(0)
	; wave barrier
	buffer_load_dword v1, off, s[0:3], 0 offset:196
	buffer_load_dword v2, off, s[0:3], 0 offset:204
	;; [unrolled: 1-line block ×26, first 2 shown]
	ds_read_b128 v[115:118], v114 offset:640
	ds_read_b128 v[119:122], v114 offset:656
	;; [unrolled: 1-line block ×4, first 2 shown]
	buffer_load_dword v199, off, s[0:3], 0 offset:292
	buffer_load_dword v200, off, s[0:3], 0 offset:288
	;; [unrolled: 1-line block ×34, first 2 shown]
	v_cmp_lt_u32_e32 vcc, 22, v0
	s_waitcnt vmcnt(59) lgkmcnt(3)
	v_mul_f32_e32 v131, v115, v1
	s_waitcnt vmcnt(58)
	v_mul_f32_e32 v132, v117, v2
	s_waitcnt vmcnt(57) lgkmcnt(2)
	v_mul_f32_e32 v133, v119, v3
	s_waitcnt vmcnt(56)
	v_mul_f32_e32 v134, v121, v4
	;; [unrolled: 4-line block ×4, first 2 shown]
	s_waitcnt vmcnt(51)
	v_fmac_f32_e32 v131, v116, v181
	s_waitcnt vmcnt(50)
	v_fmac_f32_e32 v132, v118, v182
	v_add_f32_e32 v131, 0, v131
	s_waitcnt vmcnt(49)
	v_fmac_f32_e32 v133, v120, v183
	v_add_f32_e32 v131, v131, v132
	;; [unrolled: 3-line block ×7, first 2 shown]
	v_add_f32_e32 v139, v131, v138
	ds_read_b128 v[131:134], v114 offset:704
	buffer_load_dword v233, off, s[0:3], 0 offset:428
	buffer_load_dword v234, off, s[0:3], 0 offset:424
	;; [unrolled: 1-line block ×4, first 2 shown]
	ds_read_b128 v[135:138], v114 offset:720
	buffer_load_dword v237, off, s[0:3], 0 offset:440
	buffer_load_dword v238, off, s[0:3], 0 offset:444
	v_mul_f32_e32 v1, v116, v1
	s_waitcnt vmcnt(49) lgkmcnt(1)
	v_mul_f32_e32 v140, v131, v189
	s_waitcnt vmcnt(48)
	v_fmac_f32_e32 v140, v132, v190
	v_fma_f32 v1, v115, v181, -v1
	v_mul_f32_e32 v2, v118, v2
	v_add_f32_e32 v139, v139, v140
	s_waitcnt vmcnt(46)
	v_mul_f32_e32 v140, v133, v192
	v_add_f32_e32 v1, 0, v1
	v_fma_f32 v2, v117, v182, -v2
	v_fmac_f32_e32 v140, v134, v191
	v_add_f32_e32 v1, v1, v2
	v_mul_f32_e32 v2, v120, v3
	v_add_f32_e32 v139, v139, v140
	s_waitcnt vmcnt(43) lgkmcnt(0)
	v_mul_f32_e32 v140, v135, v195
	v_fma_f32 v2, v119, v183, -v2
	s_waitcnt vmcnt(42)
	v_fmac_f32_e32 v140, v136, v196
	v_add_f32_e32 v1, v1, v2
	v_mul_f32_e32 v2, v122, v4
	v_add_f32_e32 v143, v139, v140
	ds_read_b128 v[139:142], v114 offset:736
	v_fma_f32 v2, v121, v184, -v2
	v_add_f32_e32 v1, v1, v2
	v_mul_f32_e32 v2, v124, v5
	s_waitcnt vmcnt(40)
	v_mul_f32_e32 v144, v137, v198
	v_fma_f32 v2, v123, v185, -v2
	v_fmac_f32_e32 v144, v138, v197
	v_add_f32_e32 v1, v1, v2
	v_mul_f32_e32 v2, v126, v6
	v_add_f32_e32 v147, v143, v144
	ds_read_b128 v[143:146], v114 offset:752
	v_fma_f32 v2, v125, v186, -v2
	s_waitcnt vmcnt(39) lgkmcnt(1)
	v_mul_f32_e32 v148, v139, v199
	v_add_f32_e32 v1, v1, v2
	v_mul_f32_e32 v2, v128, v179
	s_waitcnt vmcnt(38)
	v_fmac_f32_e32 v148, v140, v200
	v_fma_f32 v2, v127, v187, -v2
	v_add_f32_e32 v147, v147, v148
	s_waitcnt vmcnt(36)
	v_mul_f32_e32 v148, v141, v202
	v_add_f32_e32 v1, v1, v2
	v_mul_f32_e32 v2, v130, v180
	v_fmac_f32_e32 v148, v142, v201
	v_fma_f32 v2, v129, v188, -v2
	v_add_f32_e32 v147, v147, v148
	s_waitcnt vmcnt(34) lgkmcnt(0)
	v_mul_f32_e32 v148, v143, v204
	v_add_f32_e32 v1, v1, v2
	v_mul_f32_e32 v2, v132, v189
	v_fmac_f32_e32 v148, v144, v203
	v_fma_f32 v2, v131, v190, -v2
	v_add_f32_e32 v151, v147, v148
	ds_read_b128 v[147:150], v114 offset:768
	v_add_f32_e32 v1, v1, v2
	v_mul_f32_e32 v2, v134, v192
	v_fma_f32 v2, v133, v191, -v2
	s_waitcnt vmcnt(32)
	v_mul_f32_e32 v152, v145, v206
	v_add_f32_e32 v1, v1, v2
	v_mul_f32_e32 v2, v136, v195
	v_fmac_f32_e32 v152, v146, v205
	v_fma_f32 v2, v135, v196, -v2
	v_add_f32_e32 v155, v151, v152
	ds_read_b128 v[151:154], v114 offset:784
	v_add_f32_e32 v1, v1, v2
	v_mul_f32_e32 v2, v138, v198
	s_waitcnt vmcnt(30) lgkmcnt(1)
	v_mul_f32_e32 v156, v147, v208
	v_fma_f32 v2, v137, v197, -v2
	v_fmac_f32_e32 v156, v148, v207
	v_add_f32_e32 v1, v1, v2
	v_mul_f32_e32 v2, v140, v199
	v_add_f32_e32 v155, v155, v156
	s_waitcnt vmcnt(28)
	v_mul_f32_e32 v156, v149, v210
	v_fma_f32 v2, v139, v200, -v2
	v_fmac_f32_e32 v156, v150, v209
	v_add_f32_e32 v1, v1, v2
	v_mul_f32_e32 v2, v142, v202
	v_add_f32_e32 v155, v155, v156
	s_waitcnt vmcnt(26) lgkmcnt(0)
	v_mul_f32_e32 v156, v151, v212
	v_fma_f32 v2, v141, v201, -v2
	v_fmac_f32_e32 v156, v152, v211
	v_add_f32_e32 v1, v1, v2
	v_mul_f32_e32 v2, v144, v204
	v_add_f32_e32 v159, v155, v156
	ds_read_b128 v[155:158], v114 offset:800
	v_fma_f32 v2, v143, v203, -v2
	v_add_f32_e32 v1, v1, v2
	v_mul_f32_e32 v2, v146, v206
	s_waitcnt vmcnt(24)
	v_mul_f32_e32 v160, v153, v214
	v_fma_f32 v2, v145, v205, -v2
	v_fmac_f32_e32 v160, v154, v213
	v_add_f32_e32 v1, v1, v2
	v_mul_f32_e32 v2, v148, v208
	v_add_f32_e32 v163, v159, v160
	ds_read_b128 v[159:162], v114 offset:816
	v_fma_f32 v2, v147, v207, -v2
	s_waitcnt vmcnt(22) lgkmcnt(1)
	v_mul_f32_e32 v164, v155, v216
	v_add_f32_e32 v1, v1, v2
	v_mul_f32_e32 v2, v150, v210
	v_fmac_f32_e32 v164, v156, v215
	v_fma_f32 v2, v149, v209, -v2
	v_add_f32_e32 v163, v163, v164
	s_waitcnt vmcnt(20)
	v_mul_f32_e32 v164, v157, v218
	v_add_f32_e32 v1, v1, v2
	v_mul_f32_e32 v2, v152, v212
	v_fmac_f32_e32 v164, v158, v217
	v_fma_f32 v2, v151, v211, -v2
	v_add_f32_e32 v163, v163, v164
	s_waitcnt vmcnt(18) lgkmcnt(0)
	v_mul_f32_e32 v164, v159, v220
	v_add_f32_e32 v1, v1, v2
	v_mul_f32_e32 v2, v154, v214
	v_fmac_f32_e32 v164, v160, v219
	v_fma_f32 v2, v153, v213, -v2
	v_add_f32_e32 v167, v163, v164
	ds_read_b128 v[163:166], v114 offset:832
	v_add_f32_e32 v1, v1, v2
	v_mul_f32_e32 v2, v156, v216
	v_fma_f32 v2, v155, v215, -v2
	s_waitcnt vmcnt(16)
	v_mul_f32_e32 v168, v161, v222
	v_add_f32_e32 v1, v1, v2
	v_mul_f32_e32 v2, v158, v218
	v_fmac_f32_e32 v168, v162, v221
	v_fma_f32 v2, v157, v217, -v2
	v_add_f32_e32 v171, v167, v168
	ds_read_b128 v[167:170], v114 offset:848
	v_add_f32_e32 v1, v1, v2
	v_mul_f32_e32 v2, v160, v220
	s_waitcnt vmcnt(14) lgkmcnt(1)
	v_mul_f32_e32 v172, v163, v224
	v_fma_f32 v2, v159, v219, -v2
	v_fmac_f32_e32 v172, v164, v223
	v_add_f32_e32 v1, v1, v2
	v_mul_f32_e32 v2, v162, v222
	v_add_f32_e32 v171, v171, v172
	s_waitcnt vmcnt(12)
	v_mul_f32_e32 v172, v165, v226
	v_fma_f32 v2, v161, v221, -v2
	v_fmac_f32_e32 v172, v166, v225
	v_add_f32_e32 v1, v1, v2
	v_mul_f32_e32 v2, v164, v224
	v_add_f32_e32 v171, v171, v172
	s_waitcnt vmcnt(10) lgkmcnt(0)
	v_mul_f32_e32 v172, v167, v228
	v_fma_f32 v2, v163, v223, -v2
	v_fmac_f32_e32 v172, v168, v227
	v_add_f32_e32 v1, v1, v2
	v_mul_f32_e32 v2, v166, v226
	v_add_f32_e32 v175, v171, v172
	ds_read_b128 v[171:174], v114 offset:864
	v_fma_f32 v2, v165, v225, -v2
	v_add_f32_e32 v1, v1, v2
	v_mul_f32_e32 v2, v168, v228
	s_waitcnt vmcnt(8)
	v_mul_f32_e32 v176, v169, v230
	v_fma_f32 v2, v167, v227, -v2
	v_fmac_f32_e32 v176, v170, v229
	v_add_f32_e32 v1, v1, v2
	v_mul_f32_e32 v2, v170, v230
	v_add_f32_e32 v239, v175, v176
	ds_read_b128 v[175:178], v114 offset:880
	v_fma_f32 v2, v169, v229, -v2
	v_add_f32_e32 v1, v1, v2
	s_waitcnt vmcnt(6) lgkmcnt(1)
	v_mul_f32_e32 v2, v172, v232
	v_mul_f32_e32 v114, v171, v232
	v_fma_f32 v2, v171, v231, -v2
	v_fmac_f32_e32 v114, v172, v231
	v_add_f32_e32 v1, v1, v2
	s_waitcnt vmcnt(5)
	v_mul_f32_e32 v2, v174, v233
	v_add_f32_e32 v114, v239, v114
	v_mul_f32_e32 v239, v173, v233
	s_waitcnt vmcnt(4)
	v_fma_f32 v2, v173, v234, -v2
	v_fmac_f32_e32 v239, v174, v234
	v_add_f32_e32 v1, v1, v2
	s_waitcnt vmcnt(2) lgkmcnt(0)
	v_mul_f32_e32 v2, v176, v236
	v_add_f32_e32 v114, v114, v239
	v_mul_f32_e32 v239, v175, v236
	v_fma_f32 v2, v175, v235, -v2
	v_fmac_f32_e32 v239, v176, v235
	v_add_f32_e32 v1, v1, v2
	s_waitcnt vmcnt(0)
	v_mul_f32_e32 v2, v178, v238
	v_add_f32_e32 v114, v114, v239
	v_mul_f32_e32 v239, v177, v238
	v_fma_f32 v2, v177, v237, -v2
	v_fmac_f32_e32 v239, v178, v237
	v_add_f32_e32 v1, v1, v2
	v_add_f32_e32 v114, v114, v239
	v_sub_f32_e32 v1, v193, v1
	v_sub_f32_e32 v2, v194, v114
	buffer_store_dword v1, off, s[0:3], 0 offset:184
	buffer_store_dword v2, off, s[0:3], 0 offset:188
	s_and_saveexec_b64 s[4:5], vcc
	s_cbranch_execz .LBB55_305
; %bb.304:
	buffer_load_dword v1, off, s[0:3], 0 offset:176
	buffer_load_dword v2, off, s[0:3], 0 offset:180
	v_mov_b32_e32 v3, 0
	buffer_store_dword v3, off, s[0:3], 0 offset:176
	buffer_store_dword v3, off, s[0:3], 0 offset:180
	s_waitcnt vmcnt(2)
	ds_write_b64 v113, v[1:2]
.LBB55_305:
	s_or_b64 exec, exec, s[4:5]
	s_waitcnt lgkmcnt(0)
	; wave barrier
	buffer_load_dword v3, off, s[0:3], 0 offset:188
	buffer_load_dword v4, off, s[0:3], 0 offset:196
	;; [unrolled: 1-line block ×21, first 2 shown]
	v_mov_b32_e32 v114, 0
	buffer_load_dword v196, off, s[0:3], 0 offset:256
	buffer_load_dword v197, off, s[0:3], 0 offset:264
	;; [unrolled: 1-line block ×37, first 2 shown]
	ds_read2_b64 v[115:118], v114 offset0:79 offset1:80
	ds_read2_b64 v[119:122], v114 offset0:81 offset1:82
	;; [unrolled: 1-line block ×5, first 2 shown]
	buffer_load_dword v233, off, s[0:3], 0 offset:408
	buffer_load_dword v234, off, s[0:3], 0 offset:412
	v_cmp_lt_u32_e32 vcc, 21, v0
	s_waitcnt vmcnt(59) lgkmcnt(4)
	v_mul_f32_e32 v1, v115, v3
	s_waitcnt vmcnt(58)
	v_mul_f32_e32 v2, v117, v4
	s_waitcnt vmcnt(57) lgkmcnt(3)
	v_mul_f32_e32 v135, v119, v5
	s_waitcnt vmcnt(56)
	v_mul_f32_e32 v136, v121, v6
	;; [unrolled: 4-line block ×3, first 2 shown]
	v_mul_f32_e32 v3, v116, v3
	v_mul_f32_e32 v4, v118, v4
	s_waitcnt vmcnt(51)
	v_fmac_f32_e32 v1, v116, v183
	s_waitcnt vmcnt(50)
	v_fmac_f32_e32 v2, v118, v184
	v_add_f32_e32 v1, 0, v1
	s_waitcnt vmcnt(49)
	v_fmac_f32_e32 v135, v120, v185
	v_add_f32_e32 v1, v1, v2
	;; [unrolled: 3-line block ×5, first 2 shown]
	v_add_f32_e32 v1, v1, v138
	ds_read2_b64 v[135:138], v114 offset0:89 offset1:90
	buffer_load_dword v235, off, s[0:3], 0 offset:420
	buffer_load_dword v236, off, s[0:3], 0 offset:416
	;; [unrolled: 1-line block ×8, first 2 shown]
	v_fma_f32 v3, v115, v183, -v3
	v_add_f32_e32 v3, 0, v3
	v_fma_f32 v4, v117, v184, -v4
	v_add_f32_e32 v3, v3, v4
	v_mul_f32_e32 v4, v120, v5
	v_fma_f32 v4, v119, v185, -v4
	v_add_f32_e32 v3, v3, v4
	v_mul_f32_e32 v4, v122, v6
	;; [unrolled: 3-line block ×4, first 2 shown]
	s_waitcnt lgkmcnt(2)
	v_mul_f32_e32 v139, v127, v181
	v_fma_f32 v4, v125, v188, -v4
	v_mul_f32_e32 v140, v129, v182
	s_waitcnt vmcnt(53)
	v_fmac_f32_e32 v139, v128, v189
	v_add_f32_e32 v3, v3, v4
	v_mul_f32_e32 v4, v128, v181
	s_waitcnt vmcnt(52)
	v_fmac_f32_e32 v140, v130, v190
	v_add_f32_e32 v1, v1, v139
	s_waitcnt vmcnt(51) lgkmcnt(1)
	v_mul_f32_e32 v2, v131, v191
	v_fma_f32 v4, v127, v189, -v4
	v_add_f32_e32 v1, v1, v140
	s_waitcnt vmcnt(50)
	v_fmac_f32_e32 v2, v132, v192
	v_add_f32_e32 v3, v3, v4
	v_mul_f32_e32 v4, v130, v182
	v_add_f32_e32 v1, v1, v2
	s_waitcnt vmcnt(49)
	v_mul_f32_e32 v2, v133, v193
	v_fma_f32 v4, v129, v190, -v4
	s_waitcnt vmcnt(46)
	v_fmac_f32_e32 v2, v134, v196
	ds_read2_b64 v[139:142], v114 offset0:91 offset1:92
	ds_read2_b64 v[143:146], v114 offset0:93 offset1:94
	v_add_f32_e32 v3, v3, v4
	v_mul_f32_e32 v4, v132, v191
	v_add_f32_e32 v1, v1, v2
	s_waitcnt vmcnt(44) lgkmcnt(2)
	v_mul_f32_e32 v2, v135, v198
	v_fma_f32 v4, v131, v192, -v4
	v_fmac_f32_e32 v2, v136, v197
	v_add_f32_e32 v3, v3, v4
	v_mul_f32_e32 v4, v134, v193
	v_add_f32_e32 v1, v1, v2
	s_waitcnt vmcnt(42)
	v_mul_f32_e32 v2, v137, v200
	v_fma_f32 v4, v133, v196, -v4
	v_fmac_f32_e32 v2, v138, v199
	v_add_f32_e32 v3, v3, v4
	v_mul_f32_e32 v4, v136, v198
	v_add_f32_e32 v1, v1, v2
	s_waitcnt vmcnt(40) lgkmcnt(1)
	v_mul_f32_e32 v2, v139, v202
	v_fma_f32 v4, v135, v197, -v4
	v_fmac_f32_e32 v2, v140, v201
	v_add_f32_e32 v3, v3, v4
	v_mul_f32_e32 v4, v138, v200
	v_add_f32_e32 v1, v1, v2
	s_waitcnt vmcnt(38)
	v_mul_f32_e32 v2, v141, v204
	v_fma_f32 v4, v137, v199, -v4
	v_fmac_f32_e32 v2, v142, v203
	ds_read2_b64 v[147:150], v114 offset0:95 offset1:96
	ds_read2_b64 v[151:154], v114 offset0:97 offset1:98
	v_add_f32_e32 v3, v3, v4
	v_mul_f32_e32 v4, v140, v202
	v_add_f32_e32 v1, v1, v2
	s_waitcnt vmcnt(36) lgkmcnt(2)
	v_mul_f32_e32 v2, v143, v206
	v_fma_f32 v4, v139, v201, -v4
	v_fmac_f32_e32 v2, v144, v205
	v_add_f32_e32 v3, v3, v4
	v_mul_f32_e32 v4, v142, v204
	v_add_f32_e32 v1, v1, v2
	s_waitcnt vmcnt(34)
	v_mul_f32_e32 v2, v145, v208
	v_fma_f32 v4, v141, v203, -v4
	v_fmac_f32_e32 v2, v146, v207
	v_add_f32_e32 v3, v3, v4
	v_mul_f32_e32 v4, v144, v206
	v_add_f32_e32 v1, v1, v2
	s_waitcnt vmcnt(32) lgkmcnt(1)
	v_mul_f32_e32 v2, v147, v210
	v_fma_f32 v4, v143, v205, -v4
	v_fmac_f32_e32 v2, v148, v209
	v_add_f32_e32 v3, v3, v4
	v_mul_f32_e32 v4, v146, v208
	v_add_f32_e32 v1, v1, v2
	s_waitcnt vmcnt(30)
	v_mul_f32_e32 v2, v149, v212
	v_fma_f32 v4, v145, v207, -v4
	;; [unrolled: 30-line block ×5, first 2 shown]
	s_waitcnt vmcnt(6)
	v_fmac_f32_e32 v2, v174, v236
	v_add_f32_e32 v3, v3, v4
	v_mul_f32_e32 v4, v172, v234
	v_add_f32_e32 v243, v1, v2
	ds_read_b64 v[1:2], v114 offset:888
	v_fma_f32 v4, v171, v233, -v4
	s_waitcnt vmcnt(4) lgkmcnt(1)
	v_mul_f32_e32 v244, v175, v238
	v_add_f32_e32 v3, v3, v4
	v_mul_f32_e32 v4, v174, v235
	v_fmac_f32_e32 v244, v176, v237
	v_fma_f32 v4, v173, v236, -v4
	v_add_f32_e32 v243, v243, v244
	s_waitcnt vmcnt(3)
	v_mul_f32_e32 v244, v177, v239
	v_add_f32_e32 v3, v3, v4
	v_mul_f32_e32 v4, v176, v238
	s_waitcnt vmcnt(2)
	v_fmac_f32_e32 v244, v178, v240
	v_fma_f32 v4, v175, v237, -v4
	v_add_f32_e32 v243, v243, v244
	s_waitcnt vmcnt(0) lgkmcnt(0)
	v_mul_f32_e32 v244, v1, v242
	v_add_f32_e32 v3, v3, v4
	v_mul_f32_e32 v4, v178, v239
	v_fmac_f32_e32 v244, v2, v241
	v_fma_f32 v4, v177, v240, -v4
	v_mul_f32_e32 v2, v2, v242
	v_add_f32_e32 v3, v3, v4
	v_fma_f32 v1, v1, v241, -v2
	v_add_f32_e32 v1, v3, v1
	v_add_f32_e32 v243, v243, v244
	v_sub_f32_e32 v1, v194, v1
	v_sub_f32_e32 v2, v195, v243
	buffer_store_dword v1, off, s[0:3], 0 offset:176
	buffer_store_dword v2, off, s[0:3], 0 offset:180
	s_and_saveexec_b64 s[4:5], vcc
	s_cbranch_execz .LBB55_307
; %bb.306:
	buffer_load_dword v1, off, s[0:3], 0 offset:168
	buffer_load_dword v2, off, s[0:3], 0 offset:172
	s_waitcnt vmcnt(0)
	ds_write_b64 v113, v[1:2]
	buffer_store_dword v114, off, s[0:3], 0 offset:168
	buffer_store_dword v114, off, s[0:3], 0 offset:172
.LBB55_307:
	s_or_b64 exec, exec, s[4:5]
	s_waitcnt lgkmcnt(0)
	; wave barrier
	buffer_load_dword v1, off, s[0:3], 0 offset:180
	buffer_load_dword v2, off, s[0:3], 0 offset:188
	;; [unrolled: 1-line block ×24, first 2 shown]
	ds_read_b128 v[115:118], v114 offset:624
	ds_read_b128 v[119:122], v114 offset:640
	ds_read_b128 v[123:126], v114 offset:656
	ds_read_b128 v[127:130], v114 offset:672
	ds_read_b128 v[131:134], v114 offset:688
	ds_read_b128 v[135:138], v114 offset:704
	buffer_load_dword v201, off, s[0:3], 0 offset:268
	buffer_load_dword v202, off, s[0:3], 0 offset:264
	;; [unrolled: 1-line block ×46, first 2 shown]
	v_cmp_lt_u32_e32 vcc, 20, v0
	s_waitcnt vmcnt(62) lgkmcnt(5)
	v_mul_f32_e32 v139, v115, v1
	v_mul_f32_e32 v140, v117, v2
	s_waitcnt lgkmcnt(4)
	v_mul_f32_e32 v141, v119, v3
	v_mul_f32_e32 v142, v121, v4
	s_waitcnt lgkmcnt(3)
	;; [unrolled: 3-line block ×3, first 2 shown]
	v_mul_f32_e32 v145, v127, v183
	v_mul_f32_e32 v146, v129, v184
	s_waitcnt vmcnt(61)
	v_fmac_f32_e32 v139, v116, v185
	s_waitcnt vmcnt(60)
	v_fmac_f32_e32 v140, v118, v186
	v_add_f32_e32 v139, 0, v139
	s_waitcnt vmcnt(59)
	v_fmac_f32_e32 v141, v120, v187
	v_add_f32_e32 v139, v139, v140
	s_waitcnt vmcnt(58)
	v_fmac_f32_e32 v142, v122, v188
	v_add_f32_e32 v139, v139, v141
	s_waitcnt vmcnt(57)
	v_fmac_f32_e32 v143, v124, v189
	v_add_f32_e32 v139, v139, v142
	s_waitcnt vmcnt(56)
	v_fmac_f32_e32 v144, v126, v190
	v_add_f32_e32 v139, v139, v143
	s_waitcnt vmcnt(55)
	v_fmac_f32_e32 v145, v128, v191
	v_add_f32_e32 v139, v139, v144
	s_waitcnt vmcnt(54)
	v_fmac_f32_e32 v146, v130, v192
	v_add_f32_e32 v139, v139, v145
	s_waitcnt vmcnt(53) lgkmcnt(1)
	v_mul_f32_e32 v140, v131, v193
	v_add_f32_e32 v139, v139, v146
	s_waitcnt vmcnt(52)
	v_fmac_f32_e32 v140, v132, v194
	v_mul_f32_e32 v1, v116, v1
	v_add_f32_e32 v139, v139, v140
	s_waitcnt vmcnt(51)
	v_mul_f32_e32 v140, v133, v195
	v_fma_f32 v1, v115, v185, -v1
	v_mul_f32_e32 v2, v118, v2
	s_waitcnt vmcnt(50)
	v_fmac_f32_e32 v140, v134, v196
	v_add_f32_e32 v1, 0, v1
	v_fma_f32 v2, v117, v186, -v2
	v_add_f32_e32 v139, v139, v140
	s_waitcnt vmcnt(47) lgkmcnt(0)
	v_mul_f32_e32 v140, v135, v199
	v_add_f32_e32 v1, v1, v2
	v_mul_f32_e32 v2, v120, v3
	s_waitcnt vmcnt(46)
	v_fmac_f32_e32 v140, v136, v200
	v_fma_f32 v2, v119, v187, -v2
	v_add_f32_e32 v143, v139, v140
	ds_read_b128 v[139:142], v114 offset:720
	v_add_f32_e32 v1, v1, v2
	v_mul_f32_e32 v2, v122, v4
	v_fma_f32 v2, v121, v188, -v2
	s_waitcnt vmcnt(45)
	v_mul_f32_e32 v144, v137, v201
	v_add_f32_e32 v1, v1, v2
	v_mul_f32_e32 v2, v124, v5
	s_waitcnt vmcnt(44)
	v_fmac_f32_e32 v144, v138, v202
	v_fma_f32 v2, v123, v189, -v2
	v_add_f32_e32 v147, v143, v144
	ds_read_b128 v[143:146], v114 offset:736
	v_add_f32_e32 v1, v1, v2
	v_mul_f32_e32 v2, v126, v6
	s_waitcnt vmcnt(42) lgkmcnt(1)
	v_mul_f32_e32 v148, v139, v204
	v_fma_f32 v2, v125, v190, -v2
	v_fmac_f32_e32 v148, v140, v203
	v_add_f32_e32 v1, v1, v2
	v_mul_f32_e32 v2, v128, v183
	v_add_f32_e32 v147, v147, v148
	s_waitcnt vmcnt(40)
	v_mul_f32_e32 v148, v141, v206
	v_fma_f32 v2, v127, v191, -v2
	v_fmac_f32_e32 v148, v142, v205
	v_add_f32_e32 v1, v1, v2
	v_mul_f32_e32 v2, v130, v184
	v_add_f32_e32 v147, v147, v148
	s_waitcnt vmcnt(38) lgkmcnt(0)
	v_mul_f32_e32 v148, v143, v208
	v_fma_f32 v2, v129, v192, -v2
	v_fmac_f32_e32 v148, v144, v207
	v_add_f32_e32 v1, v1, v2
	v_mul_f32_e32 v2, v132, v193
	v_add_f32_e32 v151, v147, v148
	ds_read_b128 v[147:150], v114 offset:752
	v_fma_f32 v2, v131, v194, -v2
	v_add_f32_e32 v1, v1, v2
	v_mul_f32_e32 v2, v134, v195
	s_waitcnt vmcnt(36)
	v_mul_f32_e32 v152, v145, v210
	v_fma_f32 v2, v133, v196, -v2
	v_fmac_f32_e32 v152, v146, v209
	v_add_f32_e32 v1, v1, v2
	v_mul_f32_e32 v2, v136, v199
	v_add_f32_e32 v155, v151, v152
	ds_read_b128 v[151:154], v114 offset:768
	v_fma_f32 v2, v135, v200, -v2
	s_waitcnt vmcnt(34) lgkmcnt(1)
	v_mul_f32_e32 v156, v147, v212
	v_add_f32_e32 v1, v1, v2
	v_mul_f32_e32 v2, v138, v201
	v_fmac_f32_e32 v156, v148, v211
	v_fma_f32 v2, v137, v202, -v2
	v_add_f32_e32 v155, v155, v156
	s_waitcnt vmcnt(32)
	v_mul_f32_e32 v156, v149, v214
	v_add_f32_e32 v1, v1, v2
	v_mul_f32_e32 v2, v140, v204
	v_fmac_f32_e32 v156, v150, v213
	v_fma_f32 v2, v139, v203, -v2
	v_add_f32_e32 v155, v155, v156
	s_waitcnt vmcnt(30) lgkmcnt(0)
	v_mul_f32_e32 v156, v151, v216
	v_add_f32_e32 v1, v1, v2
	v_mul_f32_e32 v2, v142, v206
	v_fmac_f32_e32 v156, v152, v215
	v_fma_f32 v2, v141, v205, -v2
	v_add_f32_e32 v159, v155, v156
	ds_read_b128 v[155:158], v114 offset:784
	v_add_f32_e32 v1, v1, v2
	v_mul_f32_e32 v2, v144, v208
	v_fma_f32 v2, v143, v207, -v2
	s_waitcnt vmcnt(28)
	v_mul_f32_e32 v160, v153, v218
	v_add_f32_e32 v1, v1, v2
	v_mul_f32_e32 v2, v146, v210
	v_fmac_f32_e32 v160, v154, v217
	v_fma_f32 v2, v145, v209, -v2
	v_add_f32_e32 v163, v159, v160
	ds_read_b128 v[159:162], v114 offset:800
	v_add_f32_e32 v1, v1, v2
	v_mul_f32_e32 v2, v148, v212
	s_waitcnt vmcnt(26) lgkmcnt(1)
	v_mul_f32_e32 v164, v155, v220
	v_fma_f32 v2, v147, v211, -v2
	v_fmac_f32_e32 v164, v156, v219
	v_add_f32_e32 v1, v1, v2
	v_mul_f32_e32 v2, v150, v214
	v_add_f32_e32 v163, v163, v164
	s_waitcnt vmcnt(24)
	v_mul_f32_e32 v164, v157, v222
	v_fma_f32 v2, v149, v213, -v2
	v_fmac_f32_e32 v164, v158, v221
	v_add_f32_e32 v1, v1, v2
	v_mul_f32_e32 v2, v152, v216
	v_add_f32_e32 v163, v163, v164
	s_waitcnt vmcnt(22) lgkmcnt(0)
	v_mul_f32_e32 v164, v159, v224
	v_fma_f32 v2, v151, v215, -v2
	v_fmac_f32_e32 v164, v160, v223
	v_add_f32_e32 v1, v1, v2
	v_mul_f32_e32 v2, v154, v218
	v_add_f32_e32 v167, v163, v164
	ds_read_b128 v[163:166], v114 offset:816
	v_fma_f32 v2, v153, v217, -v2
	v_add_f32_e32 v1, v1, v2
	v_mul_f32_e32 v2, v156, v220
	s_waitcnt vmcnt(20)
	v_mul_f32_e32 v168, v161, v226
	v_fma_f32 v2, v155, v219, -v2
	v_fmac_f32_e32 v168, v162, v225
	v_add_f32_e32 v1, v1, v2
	v_mul_f32_e32 v2, v158, v222
	v_add_f32_e32 v171, v167, v168
	ds_read_b128 v[167:170], v114 offset:832
	v_fma_f32 v2, v157, v221, -v2
	s_waitcnt vmcnt(18) lgkmcnt(1)
	v_mul_f32_e32 v172, v163, v228
	v_add_f32_e32 v1, v1, v2
	v_mul_f32_e32 v2, v160, v224
	v_fmac_f32_e32 v172, v164, v227
	v_fma_f32 v2, v159, v223, -v2
	v_add_f32_e32 v171, v171, v172
	s_waitcnt vmcnt(16)
	v_mul_f32_e32 v172, v165, v230
	v_add_f32_e32 v1, v1, v2
	v_mul_f32_e32 v2, v162, v226
	v_fmac_f32_e32 v172, v166, v229
	v_fma_f32 v2, v161, v225, -v2
	v_add_f32_e32 v171, v171, v172
	s_waitcnt vmcnt(14) lgkmcnt(0)
	v_mul_f32_e32 v172, v167, v232
	v_add_f32_e32 v1, v1, v2
	v_mul_f32_e32 v2, v164, v228
	v_fmac_f32_e32 v172, v168, v231
	v_fma_f32 v2, v163, v227, -v2
	v_add_f32_e32 v175, v171, v172
	ds_read_b128 v[171:174], v114 offset:848
	v_add_f32_e32 v1, v1, v2
	v_mul_f32_e32 v2, v166, v230
	v_fma_f32 v2, v165, v229, -v2
	v_add_f32_e32 v1, v1, v2
	v_mul_f32_e32 v2, v168, v232
	s_waitcnt vmcnt(12)
	v_mul_f32_e32 v176, v169, v234
	v_fma_f32 v2, v167, v231, -v2
	v_fmac_f32_e32 v176, v170, v233
	v_add_f32_e32 v1, v1, v2
	v_mul_f32_e32 v2, v170, v234
	v_add_f32_e32 v179, v175, v176
	ds_read_b128 v[175:178], v114 offset:864
	s_waitcnt vmcnt(10) lgkmcnt(1)
	v_mul_f32_e32 v180, v171, v236
	v_fma_f32 v2, v169, v233, -v2
	v_fmac_f32_e32 v180, v172, v235
	v_add_f32_e32 v1, v1, v2
	v_mul_f32_e32 v2, v172, v236
	v_add_f32_e32 v179, v179, v180
	s_waitcnt vmcnt(9)
	v_mul_f32_e32 v180, v173, v237
	v_fma_f32 v2, v171, v235, -v2
	s_waitcnt vmcnt(8)
	v_fmac_f32_e32 v180, v174, v238
	v_add_f32_e32 v1, v1, v2
	v_mul_f32_e32 v2, v174, v237
	v_add_f32_e32 v247, v179, v180
	ds_read_b128 v[179:182], v114 offset:880
	v_fma_f32 v2, v173, v238, -v2
	v_add_f32_e32 v1, v1, v2
	s_waitcnt vmcnt(6) lgkmcnt(1)
	v_mul_f32_e32 v2, v176, v240
	v_mul_f32_e32 v248, v175, v240
	v_fma_f32 v2, v175, v239, -v2
	v_fmac_f32_e32 v248, v176, v239
	v_add_f32_e32 v1, v1, v2
	s_waitcnt vmcnt(4)
	v_mul_f32_e32 v2, v178, v242
	v_add_f32_e32 v114, v247, v248
	v_mul_f32_e32 v247, v177, v242
	v_fma_f32 v2, v177, v241, -v2
	v_fmac_f32_e32 v247, v178, v241
	v_add_f32_e32 v1, v1, v2
	s_waitcnt vmcnt(3) lgkmcnt(0)
	v_mul_f32_e32 v2, v180, v243
	v_add_f32_e32 v114, v114, v247
	v_mul_f32_e32 v247, v179, v243
	s_waitcnt vmcnt(2)
	v_fma_f32 v2, v179, v244, -v2
	v_fmac_f32_e32 v247, v180, v244
	v_add_f32_e32 v1, v1, v2
	s_waitcnt vmcnt(0)
	v_mul_f32_e32 v2, v182, v246
	v_add_f32_e32 v114, v114, v247
	v_mul_f32_e32 v247, v181, v246
	v_fma_f32 v2, v181, v245, -v2
	v_fmac_f32_e32 v247, v182, v245
	v_add_f32_e32 v1, v1, v2
	v_add_f32_e32 v114, v114, v247
	v_sub_f32_e32 v1, v197, v1
	v_sub_f32_e32 v2, v198, v114
	buffer_store_dword v1, off, s[0:3], 0 offset:168
	buffer_store_dword v2, off, s[0:3], 0 offset:172
	s_and_saveexec_b64 s[4:5], vcc
	s_cbranch_execz .LBB55_309
; %bb.308:
	buffer_load_dword v1, off, s[0:3], 0 offset:160
	buffer_load_dword v2, off, s[0:3], 0 offset:164
	v_mov_b32_e32 v3, 0
	buffer_store_dword v3, off, s[0:3], 0 offset:160
	buffer_store_dword v3, off, s[0:3], 0 offset:164
	s_waitcnt vmcnt(2)
	ds_write_b64 v113, v[1:2]
.LBB55_309:
	s_or_b64 exec, exec, s[4:5]
	s_waitcnt lgkmcnt(0)
	; wave barrier
	buffer_load_dword v3, off, s[0:3], 0 offset:172
	buffer_load_dword v4, off, s[0:3], 0 offset:180
	;; [unrolled: 1-line block ×56, first 2 shown]
	v_mov_b32_e32 v114, 0
	ds_read2_b64 v[115:118], v114 offset0:77 offset1:78
	ds_read2_b64 v[119:122], v114 offset0:79 offset1:80
	ds_read2_b64 v[123:126], v114 offset0:81 offset1:82
	ds_read2_b64 v[127:130], v114 offset0:83 offset1:84
	ds_read2_b64 v[131:134], v114 offset0:85 offset1:86
	ds_read2_b64 v[135:138], v114 offset0:87 offset1:88
	buffer_load_dword v235, off, s[0:3], 0 offset:384
	buffer_load_dword v236, off, s[0:3], 0 offset:388
	;; [unrolled: 1-line block ×16, first 2 shown]
	ds_read2_b64 v[147:150], v114 offset0:93 offset1:94
	ds_read2_b64 v[151:154], v114 offset0:95 offset1:96
	;; [unrolled: 1-line block ×9, first 2 shown]
	v_cmp_lt_u32_e32 vcc, 19, v0
	s_waitcnt vmcnt(62) lgkmcnt(14)
	v_mul_f32_e32 v1, v115, v3
	v_mul_f32_e32 v3, v116, v3
	;; [unrolled: 1-line block ×4, first 2 shown]
	s_waitcnt lgkmcnt(13)
	v_mul_f32_e32 v139, v119, v5
	v_mul_f32_e32 v140, v121, v6
	s_waitcnt lgkmcnt(12)
	v_mul_f32_e32 v141, v123, v183
	v_mul_f32_e32 v142, v125, v184
	s_waitcnt lgkmcnt(11)
	v_mul_f32_e32 v143, v127, v185
	v_fmac_f32_e32 v139, v120, v188
	s_waitcnt vmcnt(61)
	v_fma_f32 v4, v117, v189, -v4
	s_waitcnt vmcnt(60)
	v_fma_f32 v3, v115, v190, -v3
	v_add_f32_e32 v3, 0, v3
	v_add_f32_e32 v3, v3, v4
	v_mul_f32_e32 v4, v120, v5
	v_fma_f32 v4, v119, v188, -v4
	v_add_f32_e32 v3, v3, v4
	v_mul_f32_e32 v4, v122, v6
	v_fmac_f32_e32 v1, v116, v190
	s_waitcnt vmcnt(56)
	v_fma_f32 v4, v121, v194, -v4
	v_fmac_f32_e32 v2, v118, v189
	v_add_f32_e32 v1, 0, v1
	v_add_f32_e32 v3, v3, v4
	v_mul_f32_e32 v4, v124, v183
	v_add_f32_e32 v1, v1, v2
	v_fma_f32 v4, v123, v193, -v4
	v_fmac_f32_e32 v140, v122, v194
	v_add_f32_e32 v1, v1, v139
	v_add_f32_e32 v3, v3, v4
	v_mul_f32_e32 v4, v126, v184
	v_fmac_f32_e32 v141, v124, v193
	v_add_f32_e32 v1, v1, v140
	v_fma_f32 v4, v125, v192, -v4
	v_fmac_f32_e32 v142, v126, v192
	v_add_f32_e32 v1, v1, v141
	v_add_f32_e32 v3, v3, v4
	v_mul_f32_e32 v4, v128, v185
	v_mul_f32_e32 v144, v129, v186
	v_fmac_f32_e32 v143, v128, v191
	v_add_f32_e32 v1, v1, v142
	v_fma_f32 v4, v127, v191, -v4
	s_waitcnt lgkmcnt(10)
	v_mul_f32_e32 v145, v131, v187
	s_waitcnt vmcnt(52)
	v_fmac_f32_e32 v144, v130, v198
	v_add_f32_e32 v1, v1, v143
	v_add_f32_e32 v3, v3, v4
	v_mul_f32_e32 v4, v130, v186
	v_add_f32_e32 v1, v1, v144
	v_fmac_f32_e32 v145, v132, v197
	s_waitcnt vmcnt(51)
	v_mul_f32_e32 v2, v133, v199
	v_fma_f32 v4, v129, v198, -v4
	v_add_f32_e32 v1, v1, v145
	v_fmac_f32_e32 v2, v134, v196
	ds_read2_b64 v[139:142], v114 offset0:89 offset1:90
	ds_read2_b64 v[143:146], v114 offset0:91 offset1:92
	v_add_f32_e32 v3, v3, v4
	v_mul_f32_e32 v4, v132, v187
	v_add_f32_e32 v1, v1, v2
	s_waitcnt vmcnt(50) lgkmcnt(11)
	v_mul_f32_e32 v2, v135, v200
	v_fma_f32 v4, v131, v197, -v4
	v_fmac_f32_e32 v2, v136, v195
	v_add_f32_e32 v3, v3, v4
	v_mul_f32_e32 v4, v134, v199
	v_add_f32_e32 v1, v1, v2
	s_waitcnt vmcnt(46)
	v_mul_f32_e32 v2, v137, v204
	v_fma_f32 v4, v133, v196, -v4
	v_fmac_f32_e32 v2, v138, v203
	v_add_f32_e32 v3, v3, v4
	v_mul_f32_e32 v4, v136, v200
	v_add_f32_e32 v1, v1, v2
	s_waitcnt vmcnt(44) lgkmcnt(1)
	v_mul_f32_e32 v2, v139, v206
	v_fma_f32 v4, v135, v195, -v4
	v_fmac_f32_e32 v2, v140, v205
	v_add_f32_e32 v3, v3, v4
	v_mul_f32_e32 v4, v138, v204
	v_add_f32_e32 v1, v1, v2
	s_waitcnt vmcnt(42)
	v_mul_f32_e32 v2, v141, v208
	v_fma_f32 v4, v137, v203, -v4
	v_fmac_f32_e32 v2, v142, v207
	;; [unrolled: 14-line block ×3, first 2 shown]
	v_add_f32_e32 v3, v3, v4
	v_mul_f32_e32 v4, v144, v210
	v_add_f32_e32 v1, v1, v2
	s_waitcnt vmcnt(36)
	v_mul_f32_e32 v2, v147, v214
	v_fma_f32 v4, v143, v209, -v4
	v_fmac_f32_e32 v2, v148, v213
	v_add_f32_e32 v3, v3, v4
	v_mul_f32_e32 v4, v146, v212
	v_add_f32_e32 v1, v1, v2
	s_waitcnt vmcnt(34)
	v_mul_f32_e32 v2, v149, v216
	v_fma_f32 v4, v145, v211, -v4
	v_fmac_f32_e32 v2, v150, v215
	;; [unrolled: 7-line block ×13, first 2 shown]
	v_add_f32_e32 v3, v3, v4
	v_mul_f32_e32 v4, v170, v236
	v_add_f32_e32 v1, v1, v2
	s_waitcnt vmcnt(11)
	v_mul_f32_e32 v2, v173, v239
	v_fma_f32 v4, v169, v235, -v4
	s_waitcnt vmcnt(8)
	v_fmac_f32_e32 v2, v174, v242
	v_add_f32_e32 v3, v3, v4
	v_mul_f32_e32 v4, v172, v238
	v_add_f32_e32 v1, v1, v2
	v_mul_f32_e32 v2, v175, v241
	v_fma_f32 v4, v171, v237, -v4
	v_fmac_f32_e32 v2, v176, v240
	v_add_f32_e32 v3, v3, v4
	v_mul_f32_e32 v4, v174, v239
	v_add_f32_e32 v1, v1, v2
	s_waitcnt vmcnt(6)
	v_mul_f32_e32 v2, v177, v244
	v_fma_f32 v4, v173, v242, -v4
	v_fmac_f32_e32 v2, v178, v243
	v_add_f32_e32 v3, v3, v4
	v_mul_f32_e32 v4, v176, v241
	v_add_f32_e32 v251, v1, v2
	ds_read_b64 v[1:2], v114 offset:888
	v_fma_f32 v4, v175, v240, -v4
	s_waitcnt vmcnt(4)
	v_mul_f32_e32 v252, v179, v246
	v_add_f32_e32 v3, v3, v4
	v_mul_f32_e32 v4, v178, v244
	v_fmac_f32_e32 v252, v180, v245
	v_fma_f32 v4, v177, v243, -v4
	v_add_f32_e32 v251, v251, v252
	s_waitcnt vmcnt(3)
	v_mul_f32_e32 v252, v181, v247
	v_add_f32_e32 v3, v3, v4
	v_mul_f32_e32 v4, v180, v246
	s_waitcnt vmcnt(0)
	v_fmac_f32_e32 v252, v182, v250
	v_fma_f32 v4, v179, v245, -v4
	v_add_f32_e32 v251, v251, v252
	s_waitcnt lgkmcnt(0)
	v_mul_f32_e32 v252, v1, v249
	v_add_f32_e32 v3, v3, v4
	v_mul_f32_e32 v4, v182, v247
	v_fmac_f32_e32 v252, v2, v248
	v_fma_f32 v4, v181, v250, -v4
	v_mul_f32_e32 v2, v2, v249
	v_add_f32_e32 v3, v3, v4
	v_fma_f32 v1, v1, v248, -v2
	v_add_f32_e32 v1, v3, v1
	v_add_f32_e32 v251, v251, v252
	v_sub_f32_e32 v1, v201, v1
	v_sub_f32_e32 v2, v202, v251
	buffer_store_dword v1, off, s[0:3], 0 offset:160
	buffer_store_dword v2, off, s[0:3], 0 offset:164
	s_and_saveexec_b64 s[4:5], vcc
	s_cbranch_execz .LBB55_311
; %bb.310:
	buffer_load_dword v1, off, s[0:3], 0 offset:152
	buffer_load_dword v2, off, s[0:3], 0 offset:156
	s_waitcnt vmcnt(0)
	ds_write_b64 v113, v[1:2]
	buffer_store_dword v114, off, s[0:3], 0 offset:152
	buffer_store_dword v114, off, s[0:3], 0 offset:156
.LBB55_311:
	s_or_b64 exec, exec, s[4:5]
	s_waitcnt lgkmcnt(0)
	; wave barrier
	buffer_load_dword v1, off, s[0:3], 0 offset:164
	buffer_load_dword v2, off, s[0:3], 0 offset:172
	;; [unrolled: 1-line block ×26, first 2 shown]
	ds_read_b128 v[115:118], v114 offset:608
	ds_read_b128 v[119:122], v114 offset:624
	;; [unrolled: 1-line block ×6, first 2 shown]
	buffer_load_dword v207, off, s[0:3], 0 offset:256
	buffer_load_dword v208, off, s[0:3], 0 offset:260
	;; [unrolled: 1-line block ×46, first 2 shown]
	v_cmp_lt_u32_e32 vcc, 18, v0
	s_waitcnt vmcnt(62) lgkmcnt(5)
	v_mul_f32_e32 v139, v115, v1
	v_mul_f32_e32 v140, v117, v2
	s_waitcnt lgkmcnt(4)
	v_mul_f32_e32 v141, v119, v3
	v_mul_f32_e32 v142, v121, v4
	s_waitcnt lgkmcnt(3)
	;; [unrolled: 3-line block ×4, first 2 shown]
	v_mul_f32_e32 v147, v131, v189
	v_fmac_f32_e32 v141, v120, v190
	s_waitcnt vmcnt(61)
	v_fmac_f32_e32 v140, v118, v191
	s_waitcnt vmcnt(60)
	v_fmac_f32_e32 v139, v116, v192
	v_add_f32_e32 v139, 0, v139
	v_add_f32_e32 v139, v139, v140
	;; [unrolled: 1-line block ×3, first 2 shown]
	s_waitcnt vmcnt(56)
	v_fmac_f32_e32 v142, v122, v196
	v_fmac_f32_e32 v143, v124, v195
	v_add_f32_e32 v139, v139, v142
	v_fmac_f32_e32 v144, v126, v194
	v_add_f32_e32 v139, v139, v143
	;; [unrolled: 2-line block ×3, first 2 shown]
	s_waitcnt vmcnt(52)
	v_fmac_f32_e32 v146, v130, v200
	v_add_f32_e32 v139, v139, v145
	v_fmac_f32_e32 v147, v132, v199
	v_add_f32_e32 v139, v139, v146
	s_waitcnt vmcnt(51)
	v_mul_f32_e32 v140, v133, v201
	v_add_f32_e32 v139, v139, v147
	v_fmac_f32_e32 v140, v134, v198
	v_add_f32_e32 v139, v139, v140
	s_waitcnt vmcnt(50) lgkmcnt(0)
	v_mul_f32_e32 v140, v135, v202
	v_fmac_f32_e32 v140, v136, v197
	s_waitcnt vmcnt(46)
	v_mul_f32_e32 v144, v137, v206
	v_add_f32_e32 v143, v139, v140
	v_fmac_f32_e32 v144, v138, v205
	ds_read_b128 v[139:142], v114 offset:704
	v_add_f32_e32 v147, v143, v144
	ds_read_b128 v[143:146], v114 offset:720
	buffer_load_dword v253, off, s[0:3], 0 offset:440
	buffer_load_dword v254, off, s[0:3], 0 offset:444
	v_mul_f32_e32 v1, v116, v1
	v_fma_f32 v1, v115, v192, -v1
	v_mul_f32_e32 v2, v118, v2
	v_add_f32_e32 v1, 0, v1
	v_fma_f32 v2, v117, v191, -v2
	v_add_f32_e32 v1, v1, v2
	v_mul_f32_e32 v2, v120, v3
	v_fma_f32 v2, v119, v190, -v2
	v_add_f32_e32 v1, v1, v2
	v_mul_f32_e32 v2, v122, v4
	;; [unrolled: 3-line block ×3, first 2 shown]
	s_waitcnt vmcnt(46) lgkmcnt(1)
	v_mul_f32_e32 v148, v139, v208
	v_fma_f32 v2, v123, v195, -v2
	v_fmac_f32_e32 v148, v140, v207
	v_add_f32_e32 v1, v1, v2
	v_mul_f32_e32 v2, v126, v6
	v_add_f32_e32 v147, v147, v148
	s_waitcnt vmcnt(44)
	v_mul_f32_e32 v148, v141, v210
	v_fma_f32 v2, v125, v194, -v2
	v_fmac_f32_e32 v148, v142, v209
	v_add_f32_e32 v1, v1, v2
	v_mul_f32_e32 v2, v128, v187
	v_add_f32_e32 v147, v147, v148
	s_waitcnt vmcnt(42) lgkmcnt(0)
	v_mul_f32_e32 v148, v143, v212
	v_fma_f32 v2, v127, v193, -v2
	v_fmac_f32_e32 v148, v144, v211
	v_add_f32_e32 v1, v1, v2
	v_mul_f32_e32 v2, v130, v188
	v_add_f32_e32 v151, v147, v148
	ds_read_b128 v[147:150], v114 offset:736
	v_fma_f32 v2, v129, v200, -v2
	v_add_f32_e32 v1, v1, v2
	v_mul_f32_e32 v2, v132, v189
	s_waitcnt vmcnt(40)
	v_mul_f32_e32 v152, v145, v214
	v_fma_f32 v2, v131, v199, -v2
	v_fmac_f32_e32 v152, v146, v213
	v_add_f32_e32 v1, v1, v2
	v_mul_f32_e32 v2, v134, v201
	v_add_f32_e32 v155, v151, v152
	ds_read_b128 v[151:154], v114 offset:752
	v_fma_f32 v2, v133, v198, -v2
	s_waitcnt vmcnt(38) lgkmcnt(1)
	v_mul_f32_e32 v156, v147, v216
	v_add_f32_e32 v1, v1, v2
	v_mul_f32_e32 v2, v136, v202
	v_fmac_f32_e32 v156, v148, v215
	v_fma_f32 v2, v135, v197, -v2
	v_add_f32_e32 v155, v155, v156
	s_waitcnt vmcnt(36)
	v_mul_f32_e32 v156, v149, v218
	v_add_f32_e32 v1, v1, v2
	v_mul_f32_e32 v2, v138, v206
	v_fmac_f32_e32 v156, v150, v217
	v_fma_f32 v2, v137, v205, -v2
	v_add_f32_e32 v155, v155, v156
	s_waitcnt vmcnt(34) lgkmcnt(0)
	v_mul_f32_e32 v156, v151, v220
	v_add_f32_e32 v1, v1, v2
	v_mul_f32_e32 v2, v140, v208
	v_fmac_f32_e32 v156, v152, v219
	v_fma_f32 v2, v139, v207, -v2
	v_add_f32_e32 v159, v155, v156
	ds_read_b128 v[155:158], v114 offset:768
	v_add_f32_e32 v1, v1, v2
	v_mul_f32_e32 v2, v142, v210
	v_fma_f32 v2, v141, v209, -v2
	s_waitcnt vmcnt(32)
	v_mul_f32_e32 v160, v153, v222
	v_add_f32_e32 v1, v1, v2
	v_mul_f32_e32 v2, v144, v212
	v_fmac_f32_e32 v160, v154, v221
	v_fma_f32 v2, v143, v211, -v2
	v_add_f32_e32 v163, v159, v160
	ds_read_b128 v[159:162], v114 offset:784
	v_add_f32_e32 v1, v1, v2
	v_mul_f32_e32 v2, v146, v214
	s_waitcnt vmcnt(30) lgkmcnt(1)
	v_mul_f32_e32 v164, v155, v224
	v_fma_f32 v2, v145, v213, -v2
	v_fmac_f32_e32 v164, v156, v223
	v_add_f32_e32 v1, v1, v2
	v_mul_f32_e32 v2, v148, v216
	v_add_f32_e32 v163, v163, v164
	s_waitcnt vmcnt(28)
	v_mul_f32_e32 v164, v157, v226
	v_fma_f32 v2, v147, v215, -v2
	v_fmac_f32_e32 v164, v158, v225
	v_add_f32_e32 v1, v1, v2
	v_mul_f32_e32 v2, v150, v218
	v_add_f32_e32 v163, v163, v164
	s_waitcnt vmcnt(26) lgkmcnt(0)
	v_mul_f32_e32 v164, v159, v228
	v_fma_f32 v2, v149, v217, -v2
	v_fmac_f32_e32 v164, v160, v227
	v_add_f32_e32 v1, v1, v2
	v_mul_f32_e32 v2, v152, v220
	v_add_f32_e32 v167, v163, v164
	ds_read_b128 v[163:166], v114 offset:800
	v_fma_f32 v2, v151, v219, -v2
	v_add_f32_e32 v1, v1, v2
	v_mul_f32_e32 v2, v154, v222
	s_waitcnt vmcnt(24)
	v_mul_f32_e32 v168, v161, v230
	v_fma_f32 v2, v153, v221, -v2
	v_fmac_f32_e32 v168, v162, v229
	v_add_f32_e32 v1, v1, v2
	v_mul_f32_e32 v2, v156, v224
	v_add_f32_e32 v171, v167, v168
	ds_read_b128 v[167:170], v114 offset:816
	v_fma_f32 v2, v155, v223, -v2
	s_waitcnt vmcnt(22) lgkmcnt(1)
	v_mul_f32_e32 v172, v163, v232
	v_add_f32_e32 v1, v1, v2
	v_mul_f32_e32 v2, v158, v226
	v_fmac_f32_e32 v172, v164, v231
	v_fma_f32 v2, v157, v225, -v2
	v_add_f32_e32 v171, v171, v172
	s_waitcnt vmcnt(20)
	v_mul_f32_e32 v172, v165, v234
	v_add_f32_e32 v1, v1, v2
	v_mul_f32_e32 v2, v160, v228
	v_fmac_f32_e32 v172, v166, v233
	v_fma_f32 v2, v159, v227, -v2
	v_add_f32_e32 v171, v171, v172
	s_waitcnt vmcnt(18) lgkmcnt(0)
	v_mul_f32_e32 v172, v167, v236
	v_add_f32_e32 v1, v1, v2
	v_mul_f32_e32 v2, v162, v230
	v_fmac_f32_e32 v172, v168, v235
	v_fma_f32 v2, v161, v229, -v2
	v_add_f32_e32 v175, v171, v172
	ds_read_b128 v[171:174], v114 offset:832
	v_add_f32_e32 v1, v1, v2
	v_mul_f32_e32 v2, v164, v232
	v_fma_f32 v2, v163, v231, -v2
	s_waitcnt vmcnt(16)
	v_mul_f32_e32 v176, v169, v238
	v_add_f32_e32 v1, v1, v2
	v_mul_f32_e32 v2, v166, v234
	v_fmac_f32_e32 v176, v170, v237
	v_fma_f32 v2, v165, v233, -v2
	v_add_f32_e32 v179, v175, v176
	ds_read_b128 v[175:178], v114 offset:848
	v_add_f32_e32 v1, v1, v2
	v_mul_f32_e32 v2, v168, v236
	s_waitcnt vmcnt(14) lgkmcnt(1)
	v_mul_f32_e32 v180, v171, v240
	v_fma_f32 v2, v167, v235, -v2
	v_fmac_f32_e32 v180, v172, v239
	v_add_f32_e32 v1, v1, v2
	v_mul_f32_e32 v2, v170, v238
	v_add_f32_e32 v179, v179, v180
	s_waitcnt vmcnt(13)
	v_mul_f32_e32 v180, v173, v241
	v_fma_f32 v2, v169, v237, -v2
	s_waitcnt vmcnt(10)
	v_fmac_f32_e32 v180, v174, v244
	v_add_f32_e32 v1, v1, v2
	v_mul_f32_e32 v2, v172, v240
	v_add_f32_e32 v179, v179, v180
	s_waitcnt lgkmcnt(0)
	v_mul_f32_e32 v180, v175, v243
	v_fma_f32 v2, v171, v239, -v2
	v_fmac_f32_e32 v180, v176, v242
	v_add_f32_e32 v1, v1, v2
	v_mul_f32_e32 v2, v174, v241
	v_add_f32_e32 v183, v179, v180
	ds_read_b128 v[179:182], v114 offset:864
	v_fma_f32 v2, v173, v244, -v2
	v_add_f32_e32 v1, v1, v2
	v_mul_f32_e32 v2, v176, v243
	s_waitcnt vmcnt(8)
	v_mul_f32_e32 v184, v177, v246
	v_fma_f32 v2, v175, v242, -v2
	v_fmac_f32_e32 v184, v178, v245
	v_add_f32_e32 v1, v1, v2
	v_mul_f32_e32 v2, v178, v246
	v_add_f32_e32 v255, v183, v184
	ds_read_b128 v[183:186], v114 offset:880
	v_fma_f32 v2, v177, v245, -v2
	v_add_f32_e32 v1, v1, v2
	s_waitcnt vmcnt(6) lgkmcnt(1)
	v_mul_f32_e32 v2, v180, v248
	v_mul_f32_e32 v114, v179, v248
	v_fma_f32 v2, v179, v247, -v2
	v_fmac_f32_e32 v114, v180, v247
	v_add_f32_e32 v1, v1, v2
	s_waitcnt vmcnt(5)
	v_mul_f32_e32 v2, v182, v249
	v_add_f32_e32 v114, v255, v114
	v_mul_f32_e32 v255, v181, v249
	s_waitcnt vmcnt(2)
	v_fma_f32 v2, v181, v252, -v2
	v_fmac_f32_e32 v255, v182, v252
	v_add_f32_e32 v1, v1, v2
	s_waitcnt lgkmcnt(0)
	v_mul_f32_e32 v2, v184, v251
	v_add_f32_e32 v114, v114, v255
	v_mul_f32_e32 v255, v183, v251
	v_fma_f32 v2, v183, v250, -v2
	v_fmac_f32_e32 v255, v184, v250
	v_add_f32_e32 v1, v1, v2
	s_waitcnt vmcnt(0)
	v_mul_f32_e32 v2, v186, v254
	v_add_f32_e32 v114, v114, v255
	v_mul_f32_e32 v255, v185, v254
	v_fma_f32 v2, v185, v253, -v2
	v_fmac_f32_e32 v255, v186, v253
	v_add_f32_e32 v1, v1, v2
	v_add_f32_e32 v114, v114, v255
	v_sub_f32_e32 v1, v203, v1
	v_sub_f32_e32 v2, v204, v114
	buffer_store_dword v1, off, s[0:3], 0 offset:152
	buffer_store_dword v2, off, s[0:3], 0 offset:156
	s_and_saveexec_b64 s[4:5], vcc
	s_cbranch_execz .LBB55_313
; %bb.312:
	buffer_load_dword v1, off, s[0:3], 0 offset:144
	buffer_load_dword v2, off, s[0:3], 0 offset:148
	v_mov_b32_e32 v3, 0
	buffer_store_dword v3, off, s[0:3], 0 offset:144
	buffer_store_dword v3, off, s[0:3], 0 offset:148
	s_waitcnt vmcnt(2)
	ds_write_b64 v113, v[1:2]
.LBB55_313:
	s_or_b64 exec, exec, s[4:5]
	s_waitcnt lgkmcnt(0)
	; wave barrier
	buffer_load_dword v3, off, s[0:3], 0 offset:156
	buffer_load_dword v4, off, s[0:3], 0 offset:164
	;; [unrolled: 1-line block ×50, first 2 shown]
	v_mov_b32_e32 v114, 0
	ds_read2_b64 v[115:118], v114 offset0:75 offset1:76
	ds_read2_b64 v[119:122], v114 offset0:77 offset1:78
	;; [unrolled: 1-line block ×6, first 2 shown]
	buffer_load_dword v233, off, s[0:3], 0 offset:344
	buffer_load_dword v234, off, s[0:3], 0 offset:348
	;; [unrolled: 1-line block ×16, first 2 shown]
	v_cmp_lt_u32_e32 vcc, 17, v0
	s_waitcnt vmcnt(62) lgkmcnt(5)
	v_mul_f32_e32 v1, v115, v3
	v_mul_f32_e32 v2, v117, v4
	s_waitcnt lgkmcnt(4)
	v_mul_f32_e32 v139, v119, v5
	v_mul_f32_e32 v140, v121, v6
	s_waitcnt vmcnt(61) lgkmcnt(3)
	v_mul_f32_e32 v141, v123, v187
	s_waitcnt vmcnt(60)
	v_mul_f32_e32 v142, v125, v188
	s_waitcnt vmcnt(59) lgkmcnt(2)
	v_mul_f32_e32 v143, v127, v189
	s_waitcnt vmcnt(58)
	;; [unrolled: 4-line block ×3, first 2 shown]
	v_fmac_f32_e32 v139, v120, v192
	s_waitcnt vmcnt(55)
	v_fmac_f32_e32 v2, v118, v193
	s_waitcnt vmcnt(54)
	v_fmac_f32_e32 v1, v116, v194
	v_add_f32_e32 v1, 0, v1
	v_add_f32_e32 v1, v1, v2
	v_add_f32_e32 v1, v1, v139
	s_waitcnt vmcnt(50)
	v_fmac_f32_e32 v140, v122, v198
	v_fmac_f32_e32 v141, v124, v197
	v_add_f32_e32 v1, v1, v140
	v_fmac_f32_e32 v142, v126, v196
	v_add_f32_e32 v1, v1, v141
	v_add_f32_e32 v1, v1, v142
	ds_read2_b64 v[139:142], v114 offset0:87 offset1:88
	buffer_load_dword v249, off, s[0:3], 0 offset:408
	buffer_load_dword v250, off, s[0:3], 0 offset:412
	buffer_load_dword v251, off, s[0:3], 0 offset:420
	buffer_load_dword v252, off, s[0:3], 0 offset:424
	buffer_load_dword v253, off, s[0:3], 0 offset:428
	buffer_load_dword v254, off, s[0:3], 0 offset:416
	v_fmac_f32_e32 v143, v128, v195
	s_waitcnt vmcnt(52)
	v_fmac_f32_e32 v144, v130, v202
	v_add_f32_e32 v1, v1, v143
	v_fmac_f32_e32 v145, v132, v201
	v_add_f32_e32 v1, v1, v144
	v_add_f32_e32 v1, v1, v145
	ds_read2_b64 v[143:146], v114 offset0:89 offset1:90
	buffer_load_dword v255, off, s[0:3], 0 offset:436
	buffer_load_dword v7, off, s[0:3], 0 offset:440
	;; [unrolled: 1-line block ×4, first 2 shown]
	v_mul_f32_e32 v3, v116, v3
	v_fma_f32 v3, v115, v194, -v3
	v_mul_f32_e32 v4, v118, v4
	v_add_f32_e32 v3, 0, v3
	v_fma_f32 v4, v117, v193, -v4
	v_add_f32_e32 v3, v3, v4
	v_mul_f32_e32 v4, v120, v5
	v_fma_f32 v4, v119, v192, -v4
	v_add_f32_e32 v3, v3, v4
	v_mul_f32_e32 v4, v122, v6
	;; [unrolled: 3-line block ×6, first 2 shown]
	s_waitcnt vmcnt(55)
	v_mul_f32_e32 v2, v133, v203
	v_fma_f32 v4, v129, v202, -v4
	v_fmac_f32_e32 v2, v134, v200
	v_add_f32_e32 v3, v3, v4
	v_mul_f32_e32 v4, v132, v191
	v_add_f32_e32 v1, v1, v2
	s_waitcnt vmcnt(54) lgkmcnt(2)
	v_mul_f32_e32 v2, v135, v204
	v_fma_f32 v4, v131, v201, -v4
	v_fmac_f32_e32 v2, v136, v199
	v_add_f32_e32 v3, v3, v4
	v_mul_f32_e32 v4, v134, v203
	v_add_f32_e32 v1, v1, v2
	s_waitcnt vmcnt(53)
	v_mul_f32_e32 v2, v137, v205
	v_fma_f32 v4, v133, v200, -v4
	s_waitcnt vmcnt(46)
	v_fmac_f32_e32 v2, v138, v212
	v_add_f32_e32 v3, v3, v4
	v_mul_f32_e32 v4, v136, v204
	v_add_f32_e32 v1, v1, v2
	s_waitcnt lgkmcnt(1)
	v_mul_f32_e32 v2, v139, v207
	v_fma_f32 v4, v135, v199, -v4
	v_fmac_f32_e32 v2, v140, v206
	v_add_f32_e32 v3, v3, v4
	v_mul_f32_e32 v4, v138, v205
	v_add_f32_e32 v1, v1, v2
	v_mul_f32_e32 v2, v141, v209
	v_fma_f32 v4, v137, v212, -v4
	v_fmac_f32_e32 v2, v142, v208
	ds_read2_b64 v[147:150], v114 offset0:91 offset1:92
	ds_read2_b64 v[151:154], v114 offset0:93 offset1:94
	v_add_f32_e32 v3, v3, v4
	v_mul_f32_e32 v4, v140, v207
	v_add_f32_e32 v1, v1, v2
	s_waitcnt lgkmcnt(2)
	v_mul_f32_e32 v2, v143, v211
	v_fma_f32 v4, v139, v206, -v4
	v_fmac_f32_e32 v2, v144, v210
	v_add_f32_e32 v3, v3, v4
	v_mul_f32_e32 v4, v142, v209
	v_add_f32_e32 v1, v1, v2
	s_waitcnt vmcnt(42)
	v_mul_f32_e32 v2, v145, v216
	v_fma_f32 v4, v141, v208, -v4
	v_fmac_f32_e32 v2, v146, v215
	v_add_f32_e32 v3, v3, v4
	v_mul_f32_e32 v4, v144, v211
	v_add_f32_e32 v1, v1, v2
	s_waitcnt vmcnt(40) lgkmcnt(1)
	v_mul_f32_e32 v2, v147, v218
	v_fma_f32 v4, v143, v210, -v4
	v_fmac_f32_e32 v2, v148, v217
	v_add_f32_e32 v3, v3, v4
	v_mul_f32_e32 v4, v146, v216
	v_add_f32_e32 v1, v1, v2
	s_waitcnt vmcnt(38)
	v_mul_f32_e32 v2, v149, v220
	v_fma_f32 v4, v145, v215, -v4
	v_fmac_f32_e32 v2, v150, v219
	ds_read2_b64 v[155:158], v114 offset0:95 offset1:96
	ds_read2_b64 v[159:162], v114 offset0:97 offset1:98
	v_add_f32_e32 v3, v3, v4
	v_mul_f32_e32 v4, v148, v218
	v_add_f32_e32 v1, v1, v2
	s_waitcnt vmcnt(36) lgkmcnt(2)
	v_mul_f32_e32 v2, v151, v222
	v_fma_f32 v4, v147, v217, -v4
	v_fmac_f32_e32 v2, v152, v221
	v_add_f32_e32 v3, v3, v4
	v_mul_f32_e32 v4, v150, v220
	v_add_f32_e32 v1, v1, v2
	s_waitcnt vmcnt(34)
	v_mul_f32_e32 v2, v153, v224
	v_fma_f32 v4, v149, v219, -v4
	v_fmac_f32_e32 v2, v154, v223
	v_add_f32_e32 v3, v3, v4
	v_mul_f32_e32 v4, v152, v222
	v_add_f32_e32 v1, v1, v2
	s_waitcnt vmcnt(32) lgkmcnt(1)
	v_mul_f32_e32 v2, v155, v226
	v_fma_f32 v4, v151, v221, -v4
	v_fmac_f32_e32 v2, v156, v225
	v_add_f32_e32 v3, v3, v4
	v_mul_f32_e32 v4, v154, v224
	v_add_f32_e32 v1, v1, v2
	s_waitcnt vmcnt(30)
	v_mul_f32_e32 v2, v157, v228
	v_fma_f32 v4, v153, v223, -v4
	v_fmac_f32_e32 v2, v158, v227
	ds_read2_b64 v[163:166], v114 offset0:99 offset1:100
	ds_read2_b64 v[167:170], v114 offset0:101 offset1:102
	v_add_f32_e32 v3, v3, v4
	v_mul_f32_e32 v4, v156, v226
	v_add_f32_e32 v1, v1, v2
	s_waitcnt vmcnt(28) lgkmcnt(2)
	v_mul_f32_e32 v2, v159, v230
	v_fma_f32 v4, v155, v225, -v4
	v_fmac_f32_e32 v2, v160, v229
	v_add_f32_e32 v3, v3, v4
	v_mul_f32_e32 v4, v158, v228
	v_add_f32_e32 v1, v1, v2
	s_waitcnt vmcnt(26)
	v_mul_f32_e32 v2, v161, v232
	v_fma_f32 v4, v157, v227, -v4
	v_fmac_f32_e32 v2, v162, v231
	v_add_f32_e32 v3, v3, v4
	v_mul_f32_e32 v4, v160, v230
	v_add_f32_e32 v1, v1, v2
	s_waitcnt vmcnt(24) lgkmcnt(1)
	v_mul_f32_e32 v2, v163, v234
	v_fma_f32 v4, v159, v229, -v4
	v_fmac_f32_e32 v2, v164, v233
	v_add_f32_e32 v3, v3, v4
	v_mul_f32_e32 v4, v162, v232
	v_add_f32_e32 v1, v1, v2
	s_waitcnt vmcnt(23)
	v_mul_f32_e32 v2, v165, v235
	v_fma_f32 v4, v161, v231, -v4
	s_waitcnt vmcnt(20)
	v_fmac_f32_e32 v2, v166, v238
	ds_read2_b64 v[171:174], v114 offset0:103 offset1:104
	ds_read2_b64 v[175:178], v114 offset0:105 offset1:106
	v_add_f32_e32 v3, v3, v4
	v_mul_f32_e32 v4, v164, v234
	v_add_f32_e32 v1, v1, v2
	s_waitcnt lgkmcnt(2)
	v_mul_f32_e32 v2, v167, v237
	v_fma_f32 v4, v163, v233, -v4
	v_fmac_f32_e32 v2, v168, v236
	v_add_f32_e32 v3, v3, v4
	v_mul_f32_e32 v4, v166, v235
	v_add_f32_e32 v1, v1, v2
	s_waitcnt vmcnt(18)
	v_mul_f32_e32 v2, v169, v240
	v_fma_f32 v4, v165, v238, -v4
	v_fmac_f32_e32 v2, v170, v239
	v_add_f32_e32 v3, v3, v4
	v_mul_f32_e32 v4, v168, v237
	v_add_f32_e32 v1, v1, v2
	s_waitcnt vmcnt(16) lgkmcnt(1)
	v_mul_f32_e32 v2, v171, v242
	v_fma_f32 v4, v167, v236, -v4
	v_fmac_f32_e32 v2, v172, v241
	v_add_f32_e32 v3, v3, v4
	v_mul_f32_e32 v4, v170, v240
	v_add_f32_e32 v1, v1, v2
	s_waitcnt vmcnt(15)
	v_mul_f32_e32 v2, v173, v243
	v_fma_f32 v4, v169, v239, -v4
	s_waitcnt vmcnt(12)
	v_fmac_f32_e32 v2, v174, v246
	ds_read2_b64 v[179:182], v114 offset0:107 offset1:108
	ds_read2_b64 v[183:186], v114 offset0:109 offset1:110
	v_add_f32_e32 v3, v3, v4
	v_mul_f32_e32 v4, v172, v242
	v_add_f32_e32 v1, v1, v2
	s_waitcnt lgkmcnt(2)
	v_mul_f32_e32 v2, v175, v245
	v_fma_f32 v4, v171, v241, -v4
	v_fmac_f32_e32 v2, v176, v244
	v_add_f32_e32 v3, v3, v4
	v_mul_f32_e32 v4, v174, v243
	v_add_f32_e32 v1, v1, v2
	s_waitcnt vmcnt(10)
	v_mul_f32_e32 v2, v177, v248
	v_fma_f32 v4, v173, v246, -v4
	v_fmac_f32_e32 v2, v178, v247
	v_add_f32_e32 v3, v3, v4
	v_mul_f32_e32 v4, v176, v245
	v_add_f32_e32 v1, v1, v2
	s_waitcnt vmcnt(8) lgkmcnt(1)
	v_mul_f32_e32 v2, v179, v250
	v_fma_f32 v4, v175, v244, -v4
	v_fmac_f32_e32 v2, v180, v249
	v_add_f32_e32 v3, v3, v4
	v_mul_f32_e32 v4, v178, v248
	v_add_f32_e32 v1, v1, v2
	s_waitcnt vmcnt(7)
	v_mul_f32_e32 v2, v181, v251
	v_fma_f32 v4, v177, v247, -v4
	s_waitcnt vmcnt(4)
	v_fmac_f32_e32 v2, v182, v254
	v_add_f32_e32 v3, v3, v4
	v_mul_f32_e32 v4, v180, v250
	v_add_f32_e32 v10, v1, v2
	ds_read_b64 v[1:2], v114 offset:888
	v_fma_f32 v4, v179, v249, -v4
	s_waitcnt lgkmcnt(1)
	v_mul_f32_e32 v11, v183, v253
	v_add_f32_e32 v3, v3, v4
	v_mul_f32_e32 v4, v182, v251
	v_fmac_f32_e32 v11, v184, v252
	v_fma_f32 v4, v181, v254, -v4
	v_add_f32_e32 v10, v10, v11
	s_waitcnt vmcnt(3)
	v_mul_f32_e32 v11, v185, v255
	v_add_f32_e32 v3, v3, v4
	v_mul_f32_e32 v4, v184, v253
	s_waitcnt vmcnt(0)
	v_fmac_f32_e32 v11, v186, v9
	v_fma_f32 v4, v183, v252, -v4
	v_add_f32_e32 v10, v10, v11
	s_waitcnt lgkmcnt(0)
	v_mul_f32_e32 v11, v1, v8
	v_add_f32_e32 v3, v3, v4
	v_mul_f32_e32 v4, v186, v255
	v_fmac_f32_e32 v11, v2, v7
	v_fma_f32 v4, v185, v9, -v4
	v_mul_f32_e32 v2, v2, v8
	v_add_f32_e32 v3, v3, v4
	v_fma_f32 v1, v1, v7, -v2
	v_add_f32_e32 v1, v3, v1
	v_add_f32_e32 v10, v10, v11
	v_sub_f32_e32 v1, v213, v1
	v_sub_f32_e32 v2, v214, v10
	buffer_store_dword v1, off, s[0:3], 0 offset:144
	buffer_store_dword v2, off, s[0:3], 0 offset:148
	s_and_saveexec_b64 s[4:5], vcc
	s_cbranch_execz .LBB55_315
; %bb.314:
	buffer_load_dword v1, off, s[0:3], 0 offset:136
	buffer_load_dword v2, off, s[0:3], 0 offset:140
	s_waitcnt vmcnt(0)
	ds_write_b64 v113, v[1:2]
	buffer_store_dword v114, off, s[0:3], 0 offset:136
	buffer_store_dword v114, off, s[0:3], 0 offset:140
.LBB55_315:
	s_or_b64 exec, exec, s[4:5]
	s_waitcnt lgkmcnt(0)
	; wave barrier
	buffer_load_dword v1, off, s[0:3], 0 offset:148
	buffer_load_dword v2, off, s[0:3], 0 offset:156
	;; [unrolled: 1-line block ×32, first 2 shown]
	ds_read_b128 v[115:118], v114 offset:592
	ds_read_b128 v[119:122], v114 offset:608
	;; [unrolled: 1-line block ×6, first 2 shown]
	buffer_load_dword v211, off, s[0:3], 0 offset:264
	buffer_load_dword v212, off, s[0:3], 0 offset:268
	;; [unrolled: 1-line block ×32, first 2 shown]
	v_cmp_lt_u32_e32 vcc, 16, v0
	s_waitcnt vmcnt(62) lgkmcnt(5)
	v_mul_f32_e32 v139, v115, v1
	v_mul_f32_e32 v140, v117, v2
	s_waitcnt vmcnt(61) lgkmcnt(4)
	v_mul_f32_e32 v141, v119, v3
	s_waitcnt vmcnt(60)
	v_mul_f32_e32 v142, v121, v4
	s_waitcnt vmcnt(59) lgkmcnt(3)
	v_mul_f32_e32 v143, v123, v5
	s_waitcnt vmcnt(58)
	;; [unrolled: 4-line block ×4, first 2 shown]
	v_mul_f32_e32 v148, v133, v10
	s_waitcnt vmcnt(53)
	v_fmac_f32_e32 v141, v120, v11
	s_waitcnt vmcnt(52)
	v_fmac_f32_e32 v140, v118, v12
	;; [unrolled: 2-line block ×3, first 2 shown]
	v_add_f32_e32 v139, 0, v139
	v_add_f32_e32 v139, v139, v140
	;; [unrolled: 1-line block ×3, first 2 shown]
	s_waitcnt vmcnt(47)
	v_fmac_f32_e32 v142, v122, v195
	v_fmac_f32_e32 v143, v124, v194
	v_add_f32_e32 v139, v139, v142
	v_fmac_f32_e32 v144, v126, v193
	v_add_f32_e32 v139, v139, v143
	;; [unrolled: 2-line block ×3, first 2 shown]
	s_waitcnt vmcnt(43)
	v_fmac_f32_e32 v146, v130, v199
	v_add_f32_e32 v139, v139, v145
	v_fmac_f32_e32 v147, v132, v198
	v_add_f32_e32 v139, v139, v146
	v_fmac_f32_e32 v148, v134, v197
	v_add_f32_e32 v139, v139, v147
	s_waitcnt vmcnt(42) lgkmcnt(0)
	v_mul_f32_e32 v140, v135, v200
	v_add_f32_e32 v139, v139, v148
	v_fmac_f32_e32 v140, v136, v196
	v_add_f32_e32 v143, v139, v140
	ds_read_b128 v[139:142], v114 offset:688
	buffer_load_dword v243, off, s[0:3], 0 offset:392
	buffer_load_dword v244, off, s[0:3], 0 offset:396
	s_waitcnt vmcnt(43)
	v_mul_f32_e32 v144, v137, v201
	s_waitcnt vmcnt(37)
	v_fmac_f32_e32 v144, v138, v207
	v_add_f32_e32 v147, v143, v144
	ds_read_b128 v[143:146], v114 offset:704
	buffer_load_dword v245, off, s[0:3], 0 offset:400
	buffer_load_dword v246, off, s[0:3], 0 offset:404
	;; [unrolled: 1-line block ×12, first 2 shown]
	v_mul_f32_e32 v1, v116, v1
	v_fma_f32 v1, v115, v191, -v1
	v_mul_f32_e32 v2, v118, v2
	v_add_f32_e32 v1, 0, v1
	v_fma_f32 v2, v117, v12, -v2
	v_add_f32_e32 v1, v1, v2
	v_mul_f32_e32 v2, v120, v3
	v_fma_f32 v2, v119, v11, -v2
	v_add_f32_e32 v1, v1, v2
	v_mul_f32_e32 v2, v122, v4
	v_fma_f32 v2, v121, v195, -v2
	s_waitcnt vmcnt(48) lgkmcnt(1)
	v_mul_f32_e32 v148, v139, v208
	v_add_f32_e32 v1, v1, v2
	v_mul_f32_e32 v2, v124, v5
	v_fmac_f32_e32 v148, v140, v206
	v_fma_f32 v2, v123, v194, -v2
	v_add_f32_e32 v147, v147, v148
	v_mul_f32_e32 v148, v141, v203
	v_add_f32_e32 v1, v1, v2
	v_mul_f32_e32 v2, v126, v6
	v_fmac_f32_e32 v148, v142, v202
	v_fma_f32 v2, v125, v193, -v2
	v_add_f32_e32 v14, v147, v148
	s_waitcnt lgkmcnt(0)
	v_mul_f32_e32 v147, v143, v205
	v_add_f32_e32 v1, v1, v2
	v_mul_f32_e32 v2, v128, v7
	v_fmac_f32_e32 v147, v144, v204
	v_fma_f32 v2, v127, v192, -v2
	v_add_f32_e32 v14, v14, v147
	ds_read_b128 v[147:150], v114 offset:720
	v_add_f32_e32 v1, v1, v2
	v_mul_f32_e32 v2, v130, v8
	v_fma_f32 v2, v129, v199, -v2
	s_waitcnt vmcnt(44)
	v_mul_f32_e32 v151, v145, v212
	v_add_f32_e32 v1, v1, v2
	v_mul_f32_e32 v2, v132, v9
	v_fmac_f32_e32 v151, v146, v211
	v_fma_f32 v2, v131, v198, -v2
	v_add_f32_e32 v14, v14, v151
	ds_read_b128 v[151:154], v114 offset:736
	v_add_f32_e32 v1, v1, v2
	v_mul_f32_e32 v2, v134, v10
	s_waitcnt vmcnt(42) lgkmcnt(1)
	v_mul_f32_e32 v155, v147, v214
	v_fma_f32 v2, v133, v197, -v2
	v_fmac_f32_e32 v155, v148, v213
	v_add_f32_e32 v1, v1, v2
	v_mul_f32_e32 v2, v136, v200
	v_add_f32_e32 v14, v14, v155
	s_waitcnt vmcnt(40)
	v_mul_f32_e32 v155, v149, v216
	v_fma_f32 v2, v135, v196, -v2
	v_fmac_f32_e32 v155, v150, v215
	v_add_f32_e32 v1, v1, v2
	v_mul_f32_e32 v2, v138, v201
	v_add_f32_e32 v14, v14, v155
	s_waitcnt vmcnt(38) lgkmcnt(0)
	v_mul_f32_e32 v155, v151, v218
	v_fma_f32 v2, v137, v207, -v2
	v_fmac_f32_e32 v155, v152, v217
	v_add_f32_e32 v1, v1, v2
	v_mul_f32_e32 v2, v140, v208
	v_add_f32_e32 v14, v14, v155
	ds_read_b128 v[155:158], v114 offset:752
	v_fma_f32 v2, v139, v206, -v2
	v_add_f32_e32 v1, v1, v2
	v_mul_f32_e32 v2, v142, v203
	s_waitcnt vmcnt(36)
	v_mul_f32_e32 v159, v153, v220
	v_fma_f32 v2, v141, v202, -v2
	v_fmac_f32_e32 v159, v154, v219
	v_add_f32_e32 v1, v1, v2
	v_mul_f32_e32 v2, v144, v205
	v_add_f32_e32 v14, v14, v159
	ds_read_b128 v[159:162], v114 offset:768
	v_fma_f32 v2, v143, v204, -v2
	s_waitcnt vmcnt(34) lgkmcnt(1)
	v_mul_f32_e32 v163, v155, v222
	v_add_f32_e32 v1, v1, v2
	v_mul_f32_e32 v2, v146, v212
	v_fmac_f32_e32 v163, v156, v221
	v_fma_f32 v2, v145, v211, -v2
	v_add_f32_e32 v14, v14, v163
	s_waitcnt vmcnt(32)
	v_mul_f32_e32 v163, v157, v224
	v_add_f32_e32 v1, v1, v2
	v_mul_f32_e32 v2, v148, v214
	v_fmac_f32_e32 v163, v158, v223
	v_fma_f32 v2, v147, v213, -v2
	v_add_f32_e32 v14, v14, v163
	s_waitcnt vmcnt(30) lgkmcnt(0)
	v_mul_f32_e32 v163, v159, v226
	v_add_f32_e32 v1, v1, v2
	v_mul_f32_e32 v2, v150, v216
	v_fmac_f32_e32 v163, v160, v225
	v_fma_f32 v2, v149, v215, -v2
	v_add_f32_e32 v14, v14, v163
	ds_read_b128 v[163:166], v114 offset:784
	v_add_f32_e32 v1, v1, v2
	v_mul_f32_e32 v2, v152, v218
	v_fma_f32 v2, v151, v217, -v2
	s_waitcnt vmcnt(28)
	v_mul_f32_e32 v167, v161, v228
	v_add_f32_e32 v1, v1, v2
	v_mul_f32_e32 v2, v154, v220
	v_fmac_f32_e32 v167, v162, v227
	v_fma_f32 v2, v153, v219, -v2
	v_add_f32_e32 v14, v14, v167
	ds_read_b128 v[167:170], v114 offset:800
	v_add_f32_e32 v1, v1, v2
	v_mul_f32_e32 v2, v156, v222
	s_waitcnt vmcnt(26) lgkmcnt(1)
	v_mul_f32_e32 v171, v163, v230
	v_fma_f32 v2, v155, v221, -v2
	v_fmac_f32_e32 v171, v164, v229
	v_add_f32_e32 v1, v1, v2
	v_mul_f32_e32 v2, v158, v224
	v_add_f32_e32 v14, v14, v171
	s_waitcnt vmcnt(25)
	v_mul_f32_e32 v171, v165, v231
	v_fma_f32 v2, v157, v223, -v2
	s_waitcnt vmcnt(22)
	v_fmac_f32_e32 v171, v166, v234
	v_add_f32_e32 v1, v1, v2
	v_mul_f32_e32 v2, v160, v226
	v_add_f32_e32 v14, v14, v171
	s_waitcnt lgkmcnt(0)
	v_mul_f32_e32 v171, v167, v233
	v_fma_f32 v2, v159, v225, -v2
	v_fmac_f32_e32 v171, v168, v232
	v_add_f32_e32 v1, v1, v2
	v_mul_f32_e32 v2, v162, v228
	v_add_f32_e32 v14, v14, v171
	ds_read_b128 v[171:174], v114 offset:816
	v_fma_f32 v2, v161, v227, -v2
	v_add_f32_e32 v1, v1, v2
	v_mul_f32_e32 v2, v164, v230
	s_waitcnt vmcnt(20)
	v_mul_f32_e32 v175, v169, v236
	v_fma_f32 v2, v163, v229, -v2
	v_fmac_f32_e32 v175, v170, v235
	v_add_f32_e32 v1, v1, v2
	v_mul_f32_e32 v2, v166, v231
	v_add_f32_e32 v14, v14, v175
	ds_read_b128 v[175:178], v114 offset:832
	v_fma_f32 v2, v165, v234, -v2
	s_waitcnt vmcnt(18) lgkmcnt(1)
	v_mul_f32_e32 v179, v171, v238
	v_add_f32_e32 v1, v1, v2
	v_mul_f32_e32 v2, v168, v233
	v_fmac_f32_e32 v179, v172, v237
	v_fma_f32 v2, v167, v232, -v2
	v_add_f32_e32 v14, v14, v179
	s_waitcnt vmcnt(17)
	v_mul_f32_e32 v179, v173, v239
	v_add_f32_e32 v1, v1, v2
	v_mul_f32_e32 v2, v170, v236
	s_waitcnt vmcnt(14)
	v_fmac_f32_e32 v179, v174, v242
	v_fma_f32 v2, v169, v235, -v2
	v_add_f32_e32 v14, v14, v179
	s_waitcnt lgkmcnt(0)
	v_mul_f32_e32 v179, v175, v241
	v_add_f32_e32 v1, v1, v2
	v_mul_f32_e32 v2, v172, v238
	v_fmac_f32_e32 v179, v176, v240
	v_fma_f32 v2, v171, v237, -v2
	v_add_f32_e32 v14, v14, v179
	ds_read_b128 v[179:182], v114 offset:848
	v_add_f32_e32 v1, v1, v2
	v_mul_f32_e32 v2, v174, v239
	v_fma_f32 v2, v173, v242, -v2
	v_add_f32_e32 v1, v1, v2
	v_mul_f32_e32 v2, v176, v241
	s_waitcnt vmcnt(12)
	v_mul_f32_e32 v183, v177, v244
	v_fma_f32 v2, v175, v240, -v2
	v_fmac_f32_e32 v183, v178, v243
	v_add_f32_e32 v1, v1, v2
	v_mul_f32_e32 v2, v178, v244
	v_add_f32_e32 v14, v14, v183
	ds_read_b128 v[183:186], v114 offset:864
	s_waitcnt vmcnt(10) lgkmcnt(1)
	v_mul_f32_e32 v187, v179, v246
	v_fma_f32 v2, v177, v243, -v2
	v_fmac_f32_e32 v187, v180, v245
	v_add_f32_e32 v1, v1, v2
	v_mul_f32_e32 v2, v180, v246
	v_add_f32_e32 v14, v14, v187
	s_waitcnt vmcnt(9)
	v_mul_f32_e32 v187, v181, v247
	v_fma_f32 v2, v179, v245, -v2
	s_waitcnt vmcnt(6)
	v_fmac_f32_e32 v187, v182, v250
	v_add_f32_e32 v1, v1, v2
	v_mul_f32_e32 v2, v182, v247
	v_add_f32_e32 v14, v14, v187
	ds_read_b128 v[187:190], v114 offset:880
	v_fma_f32 v2, v181, v250, -v2
	v_add_f32_e32 v1, v1, v2
	s_waitcnt lgkmcnt(1)
	v_mul_f32_e32 v2, v184, v249
	v_mul_f32_e32 v15, v183, v249
	v_fma_f32 v2, v183, v248, -v2
	v_fmac_f32_e32 v15, v184, v248
	v_add_f32_e32 v1, v1, v2
	s_waitcnt vmcnt(4)
	v_mul_f32_e32 v2, v186, v252
	v_add_f32_e32 v14, v14, v15
	v_mul_f32_e32 v15, v185, v252
	v_fma_f32 v2, v185, v251, -v2
	v_fmac_f32_e32 v15, v186, v251
	v_add_f32_e32 v1, v1, v2
	s_waitcnt vmcnt(3) lgkmcnt(0)
	v_mul_f32_e32 v2, v188, v253
	v_add_f32_e32 v14, v14, v15
	v_mul_f32_e32 v15, v187, v253
	s_waitcnt vmcnt(0)
	v_fma_f32 v2, v187, v13, -v2
	v_fmac_f32_e32 v15, v188, v13
	v_add_f32_e32 v1, v1, v2
	v_mul_f32_e32 v2, v190, v255
	v_add_f32_e32 v14, v14, v15
	v_mul_f32_e32 v15, v189, v255
	v_fma_f32 v2, v189, v254, -v2
	v_fmac_f32_e32 v15, v190, v254
	v_add_f32_e32 v1, v1, v2
	v_add_f32_e32 v14, v14, v15
	v_sub_f32_e32 v1, v209, v1
	v_sub_f32_e32 v2, v210, v14
	buffer_store_dword v1, off, s[0:3], 0 offset:136
	buffer_store_dword v2, off, s[0:3], 0 offset:140
	s_and_saveexec_b64 s[4:5], vcc
	s_cbranch_execz .LBB55_317
; %bb.316:
	buffer_load_dword v1, off, s[0:3], 0 offset:128
	buffer_load_dword v2, off, s[0:3], 0 offset:132
	v_mov_b32_e32 v3, 0
	buffer_store_dword v3, off, s[0:3], 0 offset:128
	buffer_store_dword v3, off, s[0:3], 0 offset:132
	s_waitcnt vmcnt(2)
	ds_write_b64 v113, v[1:2]
.LBB55_317:
	s_or_b64 exec, exec, s[4:5]
	s_waitcnt lgkmcnt(0)
	; wave barrier
	buffer_load_dword v3, off, s[0:3], 0 offset:140
	buffer_load_dword v4, off, s[0:3], 0 offset:148
	;; [unrolled: 1-line block ×50, first 2 shown]
	v_mov_b32_e32 v114, 0
	ds_read2_b64 v[115:118], v114 offset0:73 offset1:74
	ds_read2_b64 v[119:122], v114 offset0:75 offset1:76
	;; [unrolled: 1-line block ×6, first 2 shown]
	buffer_load_dword v227, off, s[0:3], 0 offset:328
	buffer_load_dword v228, off, s[0:3], 0 offset:332
	;; [unrolled: 1-line block ×8, first 2 shown]
	v_cmp_lt_u32_e32 vcc, 15, v0
	s_waitcnt vmcnt(57) lgkmcnt(5)
	v_mul_f32_e32 v1, v115, v3
	s_waitcnt vmcnt(56)
	v_mul_f32_e32 v2, v117, v4
	s_waitcnt vmcnt(55) lgkmcnt(4)
	v_mul_f32_e32 v139, v119, v5
	s_waitcnt vmcnt(54)
	v_mul_f32_e32 v140, v121, v6
	;; [unrolled: 4-line block ×5, first 2 shown]
	v_mul_f32_e32 v3, v116, v3
	s_waitcnt vmcnt(46)
	v_fmac_f32_e32 v139, v120, v14
	s_waitcnt vmcnt(45)
	v_fmac_f32_e32 v2, v118, v15
	s_waitcnt vmcnt(44)
	v_fmac_f32_e32 v1, v116, v16
	v_add_f32_e32 v1, 0, v1
	v_add_f32_e32 v1, v1, v2
	;; [unrolled: 1-line block ×3, first 2 shown]
	s_waitcnt vmcnt(40)
	v_fmac_f32_e32 v140, v122, v194
	v_fmac_f32_e32 v141, v124, v193
	v_add_f32_e32 v1, v1, v140
	v_fmac_f32_e32 v142, v126, v192
	v_add_f32_e32 v1, v1, v141
	v_fmac_f32_e32 v143, v128, v191
	v_add_f32_e32 v1, v1, v142
	s_waitcnt vmcnt(36)
	v_fmac_f32_e32 v144, v130, v198
	v_add_f32_e32 v1, v1, v143
	ds_read2_b64 v[139:142], v114 offset0:85 offset1:86
	buffer_load_dword v235, off, s[0:3], 0 offset:360
	buffer_load_dword v236, off, s[0:3], 0 offset:364
	;; [unrolled: 1-line block ×6, first 2 shown]
	v_fmac_f32_e32 v145, v132, v197
	v_add_f32_e32 v1, v1, v144
	v_fmac_f32_e32 v146, v134, v196
	v_add_f32_e32 v1, v1, v145
	v_add_f32_e32 v1, v1, v146
	ds_read2_b64 v[143:146], v114 offset0:87 offset1:88
	buffer_load_dword v241, off, s[0:3], 0 offset:384
	buffer_load_dword v242, off, s[0:3], 0 offset:388
	buffer_load_dword v243, off, s[0:3], 0 offset:392
	buffer_load_dword v244, off, s[0:3], 0 offset:396
	buffer_load_dword v245, off, s[0:3], 0 offset:404
	buffer_load_dword v246, off, s[0:3], 0 offset:408
	buffer_load_dword v247, off, s[0:3], 0 offset:412
	buffer_load_dword v248, off, s[0:3], 0 offset:400
	buffer_load_dword v249, off, s[0:3], 0 offset:416
	buffer_load_dword v250, off, s[0:3], 0 offset:420
	buffer_load_dword v251, off, s[0:3], 0 offset:424
	buffer_load_dword v252, off, s[0:3], 0 offset:428
	buffer_load_dword v253, off, s[0:3], 0 offset:436
	buffer_load_dword v254, off, s[0:3], 0 offset:440
	buffer_load_dword v255, off, s[0:3], 0 offset:444
	buffer_load_dword v17, off, s[0:3], 0 offset:432
	v_fma_f32 v3, v115, v16, -v3
	v_mul_f32_e32 v4, v118, v4
	v_add_f32_e32 v3, 0, v3
	v_fma_f32 v4, v117, v15, -v4
	v_add_f32_e32 v3, v3, v4
	v_mul_f32_e32 v4, v120, v5
	v_fma_f32 v4, v119, v14, -v4
	v_add_f32_e32 v3, v3, v4
	v_mul_f32_e32 v4, v122, v6
	;; [unrolled: 3-line block ×7, first 2 shown]
	v_fma_f32 v4, v131, v197, -v4
	s_waitcnt lgkmcnt(2)
	v_mul_f32_e32 v147, v135, v13
	v_add_f32_e32 v3, v3, v4
	v_mul_f32_e32 v4, v134, v12
	v_fmac_f32_e32 v147, v136, v195
	s_waitcnt vmcnt(57)
	v_mul_f32_e32 v2, v137, v199
	v_fma_f32 v4, v133, v196, -v4
	v_add_f32_e32 v1, v1, v147
	s_waitcnt vmcnt(50)
	v_fmac_f32_e32 v2, v138, v206
	v_add_f32_e32 v3, v3, v4
	v_mul_f32_e32 v4, v136, v13
	v_add_f32_e32 v1, v1, v2
	s_waitcnt lgkmcnt(1)
	v_mul_f32_e32 v2, v139, v201
	v_fma_f32 v4, v135, v195, -v4
	v_fmac_f32_e32 v2, v140, v200
	v_add_f32_e32 v3, v3, v4
	v_mul_f32_e32 v4, v138, v199
	v_add_f32_e32 v1, v1, v2
	v_mul_f32_e32 v2, v141, v203
	v_fma_f32 v4, v137, v206, -v4
	v_fmac_f32_e32 v2, v142, v202
	ds_read2_b64 v[147:150], v114 offset0:89 offset1:90
	ds_read2_b64 v[151:154], v114 offset0:91 offset1:92
	v_add_f32_e32 v3, v3, v4
	v_mul_f32_e32 v4, v140, v201
	v_add_f32_e32 v1, v1, v2
	s_waitcnt lgkmcnt(2)
	v_mul_f32_e32 v2, v143, v205
	v_fma_f32 v4, v139, v200, -v4
	v_fmac_f32_e32 v2, v144, v204
	v_add_f32_e32 v3, v3, v4
	v_mul_f32_e32 v4, v142, v203
	v_add_f32_e32 v1, v1, v2
	s_waitcnt vmcnt(46)
	v_mul_f32_e32 v2, v145, v210
	v_fma_f32 v4, v141, v202, -v4
	v_fmac_f32_e32 v2, v146, v209
	v_add_f32_e32 v3, v3, v4
	v_mul_f32_e32 v4, v144, v205
	v_add_f32_e32 v1, v1, v2
	s_waitcnt vmcnt(44) lgkmcnt(1)
	v_mul_f32_e32 v2, v147, v212
	v_fma_f32 v4, v143, v204, -v4
	v_fmac_f32_e32 v2, v148, v211
	v_add_f32_e32 v3, v3, v4
	v_mul_f32_e32 v4, v146, v210
	v_add_f32_e32 v1, v1, v2
	s_waitcnt vmcnt(42)
	v_mul_f32_e32 v2, v149, v214
	v_fma_f32 v4, v145, v209, -v4
	v_fmac_f32_e32 v2, v150, v213
	ds_read2_b64 v[155:158], v114 offset0:93 offset1:94
	ds_read2_b64 v[159:162], v114 offset0:95 offset1:96
	v_add_f32_e32 v3, v3, v4
	v_mul_f32_e32 v4, v148, v212
	v_add_f32_e32 v1, v1, v2
	s_waitcnt vmcnt(40) lgkmcnt(2)
	v_mul_f32_e32 v2, v151, v216
	v_fma_f32 v4, v147, v211, -v4
	v_fmac_f32_e32 v2, v152, v215
	v_add_f32_e32 v3, v3, v4
	v_mul_f32_e32 v4, v150, v214
	v_add_f32_e32 v1, v1, v2
	s_waitcnt vmcnt(38)
	v_mul_f32_e32 v2, v153, v218
	v_fma_f32 v4, v149, v213, -v4
	v_fmac_f32_e32 v2, v154, v217
	v_add_f32_e32 v3, v3, v4
	v_mul_f32_e32 v4, v152, v216
	v_add_f32_e32 v1, v1, v2
	s_waitcnt vmcnt(36) lgkmcnt(1)
	v_mul_f32_e32 v2, v155, v220
	v_fma_f32 v4, v151, v215, -v4
	v_fmac_f32_e32 v2, v156, v219
	v_add_f32_e32 v3, v3, v4
	v_mul_f32_e32 v4, v154, v218
	v_add_f32_e32 v1, v1, v2
	s_waitcnt vmcnt(34)
	v_mul_f32_e32 v2, v157, v222
	v_fma_f32 v4, v153, v217, -v4
	v_fmac_f32_e32 v2, v158, v221
	ds_read2_b64 v[163:166], v114 offset0:97 offset1:98
	ds_read2_b64 v[167:170], v114 offset0:99 offset1:100
	v_add_f32_e32 v3, v3, v4
	v_mul_f32_e32 v4, v156, v220
	v_add_f32_e32 v1, v1, v2
	s_waitcnt vmcnt(32) lgkmcnt(2)
	v_mul_f32_e32 v2, v159, v224
	v_fma_f32 v4, v155, v219, -v4
	v_fmac_f32_e32 v2, v160, v223
	v_add_f32_e32 v3, v3, v4
	v_mul_f32_e32 v4, v158, v222
	v_add_f32_e32 v1, v1, v2
	s_waitcnt vmcnt(30)
	v_mul_f32_e32 v2, v161, v226
	v_fma_f32 v4, v157, v221, -v4
	v_fmac_f32_e32 v2, v162, v225
	v_add_f32_e32 v3, v3, v4
	v_mul_f32_e32 v4, v160, v224
	v_add_f32_e32 v1, v1, v2
	s_waitcnt vmcnt(28) lgkmcnt(1)
	v_mul_f32_e32 v2, v163, v228
	v_fma_f32 v4, v159, v223, -v4
	v_fmac_f32_e32 v2, v164, v227
	v_add_f32_e32 v3, v3, v4
	v_mul_f32_e32 v4, v162, v226
	v_add_f32_e32 v1, v1, v2
	s_waitcnt vmcnt(27)
	v_mul_f32_e32 v2, v165, v229
	v_fma_f32 v4, v161, v225, -v4
	s_waitcnt vmcnt(24)
	v_fmac_f32_e32 v2, v166, v232
	ds_read2_b64 v[171:174], v114 offset0:101 offset1:102
	ds_read2_b64 v[175:178], v114 offset0:103 offset1:104
	v_add_f32_e32 v3, v3, v4
	v_mul_f32_e32 v4, v164, v228
	v_add_f32_e32 v1, v1, v2
	s_waitcnt lgkmcnt(2)
	v_mul_f32_e32 v2, v167, v231
	v_fma_f32 v4, v163, v227, -v4
	v_fmac_f32_e32 v2, v168, v230
	v_add_f32_e32 v3, v3, v4
	v_mul_f32_e32 v4, v166, v229
	v_add_f32_e32 v1, v1, v2
	s_waitcnt vmcnt(22)
	v_mul_f32_e32 v2, v169, v234
	v_fma_f32 v4, v165, v232, -v4
	v_fmac_f32_e32 v2, v170, v233
	v_add_f32_e32 v3, v3, v4
	v_mul_f32_e32 v4, v168, v231
	v_add_f32_e32 v1, v1, v2
	s_waitcnt vmcnt(20) lgkmcnt(1)
	v_mul_f32_e32 v2, v171, v236
	v_fma_f32 v4, v167, v230, -v4
	v_fmac_f32_e32 v2, v172, v235
	v_add_f32_e32 v3, v3, v4
	v_mul_f32_e32 v4, v170, v234
	v_add_f32_e32 v1, v1, v2
	s_waitcnt vmcnt(19)
	v_mul_f32_e32 v2, v173, v237
	v_fma_f32 v4, v169, v233, -v4
	s_waitcnt vmcnt(16)
	v_fmac_f32_e32 v2, v174, v240
	ds_read2_b64 v[179:182], v114 offset0:105 offset1:106
	ds_read2_b64 v[183:186], v114 offset0:107 offset1:108
	v_add_f32_e32 v3, v3, v4
	v_mul_f32_e32 v4, v172, v236
	v_add_f32_e32 v1, v1, v2
	s_waitcnt lgkmcnt(2)
	v_mul_f32_e32 v2, v175, v239
	v_fma_f32 v4, v171, v235, -v4
	v_fmac_f32_e32 v2, v176, v238
	v_add_f32_e32 v3, v3, v4
	v_mul_f32_e32 v4, v174, v237
	v_add_f32_e32 v1, v1, v2
	s_waitcnt vmcnt(14)
	v_mul_f32_e32 v2, v177, v242
	v_fma_f32 v4, v173, v240, -v4
	v_fmac_f32_e32 v2, v178, v241
	v_add_f32_e32 v3, v3, v4
	v_mul_f32_e32 v4, v176, v239
	v_add_f32_e32 v1, v1, v2
	s_waitcnt vmcnt(12) lgkmcnt(1)
	v_mul_f32_e32 v2, v179, v244
	v_fma_f32 v4, v175, v238, -v4
	v_fmac_f32_e32 v2, v180, v243
	v_add_f32_e32 v3, v3, v4
	v_mul_f32_e32 v4, v178, v242
	v_add_f32_e32 v1, v1, v2
	s_waitcnt vmcnt(11)
	v_mul_f32_e32 v2, v181, v245
	v_fma_f32 v4, v177, v241, -v4
	s_waitcnt vmcnt(8)
	v_fmac_f32_e32 v2, v182, v248
	v_add_f32_e32 v3, v3, v4
	v_mul_f32_e32 v4, v180, v244
	v_add_f32_e32 v1, v1, v2
	s_waitcnt lgkmcnt(0)
	v_mul_f32_e32 v2, v183, v247
	ds_read2_b64 v[187:190], v114 offset0:109 offset1:110
	v_fma_f32 v4, v179, v243, -v4
	v_fmac_f32_e32 v2, v184, v246
	v_add_f32_e32 v3, v3, v4
	v_mul_f32_e32 v4, v182, v245
	v_add_f32_e32 v1, v1, v2
	s_waitcnt vmcnt(6)
	v_mul_f32_e32 v2, v185, v250
	v_fma_f32 v4, v181, v248, -v4
	v_fmac_f32_e32 v2, v186, v249
	v_add_f32_e32 v3, v3, v4
	v_mul_f32_e32 v4, v184, v247
	v_add_f32_e32 v18, v1, v2
	ds_read_b64 v[1:2], v114 offset:888
	v_fma_f32 v4, v183, v246, -v4
	s_waitcnt vmcnt(4) lgkmcnt(1)
	v_mul_f32_e32 v19, v187, v252
	v_add_f32_e32 v3, v3, v4
	v_mul_f32_e32 v4, v186, v250
	v_fmac_f32_e32 v19, v188, v251
	v_fma_f32 v4, v185, v249, -v4
	v_add_f32_e32 v18, v18, v19
	s_waitcnt vmcnt(3)
	v_mul_f32_e32 v19, v189, v253
	v_add_f32_e32 v3, v3, v4
	v_mul_f32_e32 v4, v188, v252
	s_waitcnt vmcnt(0)
	v_fmac_f32_e32 v19, v190, v17
	v_fma_f32 v4, v187, v251, -v4
	v_add_f32_e32 v18, v18, v19
	s_waitcnt lgkmcnt(0)
	v_mul_f32_e32 v19, v1, v255
	v_add_f32_e32 v3, v3, v4
	v_mul_f32_e32 v4, v190, v253
	v_fmac_f32_e32 v19, v2, v254
	v_fma_f32 v4, v189, v17, -v4
	v_mul_f32_e32 v2, v2, v255
	v_add_f32_e32 v3, v3, v4
	v_fma_f32 v1, v1, v254, -v2
	v_add_f32_e32 v1, v3, v1
	v_add_f32_e32 v18, v18, v19
	v_sub_f32_e32 v1, v207, v1
	v_sub_f32_e32 v2, v208, v18
	buffer_store_dword v1, off, s[0:3], 0 offset:128
	buffer_store_dword v2, off, s[0:3], 0 offset:132
	s_and_saveexec_b64 s[4:5], vcc
	s_cbranch_execz .LBB55_319
; %bb.318:
	buffer_load_dword v1, off, s[0:3], 0 offset:120
	buffer_load_dword v2, off, s[0:3], 0 offset:124
	s_waitcnt vmcnt(0)
	ds_write_b64 v113, v[1:2]
	buffer_store_dword v114, off, s[0:3], 0 offset:120
	buffer_store_dword v114, off, s[0:3], 0 offset:124
.LBB55_319:
	s_or_b64 exec, exec, s[4:5]
	s_waitcnt lgkmcnt(0)
	; wave barrier
	buffer_load_dword v1, off, s[0:3], 0 offset:132
	buffer_load_dword v2, off, s[0:3], 0 offset:140
	;; [unrolled: 1-line block ×32, first 2 shown]
	ds_read_b128 v[115:118], v114 offset:576
	ds_read_b128 v[119:122], v114 offset:592
	;; [unrolled: 1-line block ×6, first 2 shown]
	buffer_load_dword v207, off, s[0:3], 0 offset:248
	buffer_load_dword v208, off, s[0:3], 0 offset:252
	;; [unrolled: 1-line block ×26, first 2 shown]
	v_cmp_lt_u32_e32 vcc, 14, v0
	s_waitcnt vmcnt(57) lgkmcnt(5)
	v_mul_f32_e32 v139, v115, v1
	s_waitcnt vmcnt(56)
	v_mul_f32_e32 v140, v117, v2
	s_waitcnt vmcnt(55) lgkmcnt(4)
	v_mul_f32_e32 v141, v119, v3
	s_waitcnt vmcnt(54)
	v_mul_f32_e32 v142, v121, v4
	;; [unrolled: 4-line block ×5, first 2 shown]
	s_waitcnt vmcnt(47) lgkmcnt(0)
	v_mul_f32_e32 v149, v135, v11
	s_waitcnt vmcnt(46)
	v_fmac_f32_e32 v141, v120, v12
	s_waitcnt vmcnt(45)
	v_fmac_f32_e32 v140, v118, v13
	;; [unrolled: 2-line block ×3, first 2 shown]
	v_add_f32_e32 v139, 0, v139
	v_add_f32_e32 v139, v139, v140
	v_add_f32_e32 v139, v139, v141
	s_waitcnt vmcnt(40)
	v_fmac_f32_e32 v142, v122, v18
	v_fmac_f32_e32 v143, v124, v17
	v_add_f32_e32 v139, v139, v142
	v_fmac_f32_e32 v144, v126, v16
	v_add_f32_e32 v139, v139, v143
	v_fmac_f32_e32 v145, v128, v15
	v_add_f32_e32 v139, v139, v144
	s_waitcnt vmcnt(36)
	v_fmac_f32_e32 v146, v130, v196
	v_add_f32_e32 v139, v139, v145
	v_fmac_f32_e32 v147, v132, v195
	v_add_f32_e32 v139, v139, v146
	;; [unrolled: 2-line block ×4, first 2 shown]
	v_add_f32_e32 v143, v139, v149
	ds_read_b128 v[139:142], v114 offset:672
	buffer_load_dword v233, off, s[0:3], 0 offset:352
	buffer_load_dword v234, off, s[0:3], 0 offset:356
	;; [unrolled: 1-line block ×6, first 2 shown]
	s_waitcnt vmcnt(41)
	v_mul_f32_e32 v144, v137, v197
	s_waitcnt vmcnt(35)
	v_fmac_f32_e32 v144, v138, v203
	v_add_f32_e32 v147, v143, v144
	ds_read_b128 v[143:146], v114 offset:688
	buffer_load_dword v239, off, s[0:3], 0 offset:376
	buffer_load_dword v240, off, s[0:3], 0 offset:380
	;; [unrolled: 1-line block ×10, first 2 shown]
	s_waitcnt vmcnt(44) lgkmcnt(1)
	v_mul_f32_e32 v148, v139, v204
	v_fmac_f32_e32 v148, v140, v202
	v_add_f32_e32 v147, v147, v148
	v_mul_f32_e32 v148, v141, v199
	v_fmac_f32_e32 v148, v142, v198
	v_add_f32_e32 v147, v147, v148
	s_waitcnt lgkmcnt(0)
	v_mul_f32_e32 v148, v143, v201
	buffer_load_dword v249, off, s[0:3], 0 offset:416
	buffer_load_dword v250, off, s[0:3], 0 offset:420
	;; [unrolled: 1-line block ×6, first 2 shown]
	v_fmac_f32_e32 v148, v144, v200
	s_waitcnt vmcnt(46)
	v_mul_f32_e32 v152, v145, v208
	v_add_f32_e32 v151, v147, v148
	v_fmac_f32_e32 v152, v146, v207
	ds_read_b128 v[147:150], v114 offset:704
	v_add_f32_e32 v155, v151, v152
	ds_read_b128 v[151:154], v114 offset:720
	buffer_load_dword v255, off, s[0:3], 0 offset:440
	buffer_load_dword v21, off, s[0:3], 0 offset:444
	v_mul_f32_e32 v1, v116, v1
	v_fma_f32 v1, v115, v14, -v1
	v_mul_f32_e32 v2, v118, v2
	v_add_f32_e32 v1, 0, v1
	v_fma_f32 v2, v117, v13, -v2
	v_add_f32_e32 v1, v1, v2
	v_mul_f32_e32 v2, v120, v3
	v_fma_f32 v2, v119, v12, -v2
	v_add_f32_e32 v1, v1, v2
	v_mul_f32_e32 v2, v122, v4
	;; [unrolled: 3-line block ×7, first 2 shown]
	s_waitcnt vmcnt(46) lgkmcnt(1)
	v_mul_f32_e32 v22, v147, v210
	v_fma_f32 v2, v131, v195, -v2
	v_fmac_f32_e32 v22, v148, v209
	v_add_f32_e32 v1, v1, v2
	v_mul_f32_e32 v2, v134, v10
	v_add_f32_e32 v22, v155, v22
	s_waitcnt vmcnt(44)
	v_mul_f32_e32 v155, v149, v212
	v_fma_f32 v2, v133, v20, -v2
	v_fmac_f32_e32 v155, v150, v211
	v_add_f32_e32 v1, v1, v2
	v_mul_f32_e32 v2, v136, v11
	v_add_f32_e32 v22, v22, v155
	s_waitcnt vmcnt(42) lgkmcnt(0)
	v_mul_f32_e32 v155, v151, v214
	v_fma_f32 v2, v135, v19, -v2
	v_fmac_f32_e32 v155, v152, v213
	v_add_f32_e32 v1, v1, v2
	v_mul_f32_e32 v2, v138, v197
	v_add_f32_e32 v22, v22, v155
	ds_read_b128 v[155:158], v114 offset:736
	v_fma_f32 v2, v137, v203, -v2
	v_add_f32_e32 v1, v1, v2
	v_mul_f32_e32 v2, v140, v204
	s_waitcnt vmcnt(40)
	v_mul_f32_e32 v159, v153, v216
	v_fma_f32 v2, v139, v202, -v2
	v_fmac_f32_e32 v159, v154, v215
	v_add_f32_e32 v1, v1, v2
	v_mul_f32_e32 v2, v142, v199
	v_add_f32_e32 v22, v22, v159
	ds_read_b128 v[159:162], v114 offset:752
	v_fma_f32 v2, v141, v198, -v2
	s_waitcnt vmcnt(38) lgkmcnt(1)
	v_mul_f32_e32 v163, v155, v218
	v_add_f32_e32 v1, v1, v2
	v_mul_f32_e32 v2, v144, v201
	v_fmac_f32_e32 v163, v156, v217
	v_fma_f32 v2, v143, v200, -v2
	v_add_f32_e32 v22, v22, v163
	s_waitcnt vmcnt(36)
	v_mul_f32_e32 v163, v157, v220
	v_add_f32_e32 v1, v1, v2
	v_mul_f32_e32 v2, v146, v208
	v_fmac_f32_e32 v163, v158, v219
	v_fma_f32 v2, v145, v207, -v2
	v_add_f32_e32 v22, v22, v163
	s_waitcnt vmcnt(34) lgkmcnt(0)
	v_mul_f32_e32 v163, v159, v222
	v_add_f32_e32 v1, v1, v2
	v_mul_f32_e32 v2, v148, v210
	v_fmac_f32_e32 v163, v160, v221
	v_fma_f32 v2, v147, v209, -v2
	v_add_f32_e32 v22, v22, v163
	ds_read_b128 v[163:166], v114 offset:768
	v_add_f32_e32 v1, v1, v2
	v_mul_f32_e32 v2, v150, v212
	v_fma_f32 v2, v149, v211, -v2
	s_waitcnt vmcnt(32)
	v_mul_f32_e32 v167, v161, v224
	v_add_f32_e32 v1, v1, v2
	v_mul_f32_e32 v2, v152, v214
	v_fmac_f32_e32 v167, v162, v223
	v_fma_f32 v2, v151, v213, -v2
	v_add_f32_e32 v22, v22, v167
	ds_read_b128 v[167:170], v114 offset:784
	v_add_f32_e32 v1, v1, v2
	v_mul_f32_e32 v2, v154, v216
	s_waitcnt vmcnt(30) lgkmcnt(1)
	v_mul_f32_e32 v171, v163, v226
	v_fma_f32 v2, v153, v215, -v2
	v_fmac_f32_e32 v171, v164, v225
	v_add_f32_e32 v1, v1, v2
	v_mul_f32_e32 v2, v156, v218
	v_add_f32_e32 v22, v22, v171
	s_waitcnt vmcnt(29)
	v_mul_f32_e32 v171, v165, v227
	v_fma_f32 v2, v155, v217, -v2
	s_waitcnt vmcnt(26)
	v_fmac_f32_e32 v171, v166, v230
	v_add_f32_e32 v1, v1, v2
	v_mul_f32_e32 v2, v158, v220
	v_add_f32_e32 v22, v22, v171
	s_waitcnt lgkmcnt(0)
	v_mul_f32_e32 v171, v167, v229
	v_fma_f32 v2, v157, v219, -v2
	v_fmac_f32_e32 v171, v168, v228
	v_add_f32_e32 v1, v1, v2
	v_mul_f32_e32 v2, v160, v222
	v_add_f32_e32 v22, v22, v171
	ds_read_b128 v[171:174], v114 offset:800
	v_fma_f32 v2, v159, v221, -v2
	v_add_f32_e32 v1, v1, v2
	v_mul_f32_e32 v2, v162, v224
	s_waitcnt vmcnt(24)
	v_mul_f32_e32 v175, v169, v232
	v_fma_f32 v2, v161, v223, -v2
	v_fmac_f32_e32 v175, v170, v231
	v_add_f32_e32 v1, v1, v2
	v_mul_f32_e32 v2, v164, v226
	v_add_f32_e32 v22, v22, v175
	ds_read_b128 v[175:178], v114 offset:816
	v_fma_f32 v2, v163, v225, -v2
	s_waitcnt vmcnt(22) lgkmcnt(1)
	v_mul_f32_e32 v179, v171, v234
	v_add_f32_e32 v1, v1, v2
	v_mul_f32_e32 v2, v166, v227
	v_fmac_f32_e32 v179, v172, v233
	v_fma_f32 v2, v165, v230, -v2
	v_add_f32_e32 v22, v22, v179
	s_waitcnt vmcnt(21)
	v_mul_f32_e32 v179, v173, v235
	v_add_f32_e32 v1, v1, v2
	v_mul_f32_e32 v2, v168, v229
	s_waitcnt vmcnt(18)
	v_fmac_f32_e32 v179, v174, v238
	v_fma_f32 v2, v167, v228, -v2
	v_add_f32_e32 v22, v22, v179
	s_waitcnt lgkmcnt(0)
	v_mul_f32_e32 v179, v175, v237
	v_add_f32_e32 v1, v1, v2
	v_mul_f32_e32 v2, v170, v232
	v_fmac_f32_e32 v179, v176, v236
	v_fma_f32 v2, v169, v231, -v2
	v_add_f32_e32 v22, v22, v179
	ds_read_b128 v[179:182], v114 offset:832
	v_add_f32_e32 v1, v1, v2
	v_mul_f32_e32 v2, v172, v234
	v_fma_f32 v2, v171, v233, -v2
	s_waitcnt vmcnt(16)
	v_mul_f32_e32 v183, v177, v240
	v_add_f32_e32 v1, v1, v2
	v_mul_f32_e32 v2, v174, v235
	v_fmac_f32_e32 v183, v178, v239
	v_fma_f32 v2, v173, v238, -v2
	v_add_f32_e32 v22, v22, v183
	ds_read_b128 v[183:186], v114 offset:848
	v_add_f32_e32 v1, v1, v2
	v_mul_f32_e32 v2, v176, v237
	s_waitcnt vmcnt(14) lgkmcnt(1)
	v_mul_f32_e32 v187, v179, v242
	v_fma_f32 v2, v175, v236, -v2
	v_fmac_f32_e32 v187, v180, v241
	v_add_f32_e32 v1, v1, v2
	v_mul_f32_e32 v2, v178, v240
	v_add_f32_e32 v22, v22, v187
	s_waitcnt vmcnt(13)
	v_mul_f32_e32 v187, v181, v243
	v_fma_f32 v2, v177, v239, -v2
	s_waitcnt vmcnt(10)
	v_fmac_f32_e32 v187, v182, v246
	v_add_f32_e32 v1, v1, v2
	v_mul_f32_e32 v2, v180, v242
	v_add_f32_e32 v22, v22, v187
	s_waitcnt lgkmcnt(0)
	v_mul_f32_e32 v187, v183, v245
	v_fma_f32 v2, v179, v241, -v2
	v_fmac_f32_e32 v187, v184, v244
	v_add_f32_e32 v1, v1, v2
	v_mul_f32_e32 v2, v182, v243
	v_add_f32_e32 v22, v22, v187
	ds_read_b128 v[187:190], v114 offset:864
	v_fma_f32 v2, v181, v246, -v2
	v_add_f32_e32 v1, v1, v2
	v_mul_f32_e32 v2, v184, v245
	s_waitcnt vmcnt(8)
	v_mul_f32_e32 v191, v185, v248
	v_fma_f32 v2, v183, v244, -v2
	v_fmac_f32_e32 v191, v186, v247
	v_add_f32_e32 v1, v1, v2
	v_mul_f32_e32 v2, v186, v248
	v_add_f32_e32 v22, v22, v191
	ds_read_b128 v[191:194], v114 offset:880
	v_fma_f32 v2, v185, v247, -v2
	v_add_f32_e32 v1, v1, v2
	s_waitcnt vmcnt(6) lgkmcnt(1)
	v_mul_f32_e32 v2, v188, v250
	v_mul_f32_e32 v114, v187, v250
	v_fma_f32 v2, v187, v249, -v2
	v_fmac_f32_e32 v114, v188, v249
	v_add_f32_e32 v1, v1, v2
	s_waitcnt vmcnt(5)
	v_mul_f32_e32 v2, v190, v251
	v_add_f32_e32 v22, v22, v114
	v_mul_f32_e32 v114, v189, v251
	s_waitcnt vmcnt(2)
	v_fma_f32 v2, v189, v254, -v2
	v_fmac_f32_e32 v114, v190, v254
	v_add_f32_e32 v1, v1, v2
	s_waitcnt lgkmcnt(0)
	v_mul_f32_e32 v2, v192, v253
	v_add_f32_e32 v22, v22, v114
	v_mul_f32_e32 v114, v191, v253
	v_fma_f32 v2, v191, v252, -v2
	v_fmac_f32_e32 v114, v192, v252
	v_add_f32_e32 v1, v1, v2
	s_waitcnt vmcnt(0)
	v_mul_f32_e32 v2, v194, v21
	v_add_f32_e32 v22, v22, v114
	v_mul_f32_e32 v114, v193, v21
	v_fma_f32 v2, v193, v255, -v2
	v_fmac_f32_e32 v114, v194, v255
	v_add_f32_e32 v1, v1, v2
	v_add_f32_e32 v22, v22, v114
	v_sub_f32_e32 v1, v205, v1
	v_sub_f32_e32 v2, v206, v22
	buffer_store_dword v1, off, s[0:3], 0 offset:120
	buffer_store_dword v2, off, s[0:3], 0 offset:124
	s_and_saveexec_b64 s[4:5], vcc
	s_cbranch_execz .LBB55_321
; %bb.320:
	buffer_load_dword v1, off, s[0:3], 0 offset:112
	buffer_load_dword v2, off, s[0:3], 0 offset:116
	v_mov_b32_e32 v3, 0
	buffer_store_dword v3, off, s[0:3], 0 offset:112
	buffer_store_dword v3, off, s[0:3], 0 offset:116
	s_waitcnt vmcnt(2)
	ds_write_b64 v113, v[1:2]
.LBB55_321:
	s_or_b64 exec, exec, s[4:5]
	s_waitcnt lgkmcnt(0)
	; wave barrier
	buffer_load_dword v123, off, s[0:3], 0 offset:124
	buffer_load_dword v122, off, s[0:3], 0 offset:132
	;; [unrolled: 1-line block ×32, first 2 shown]
	v_mov_b32_e32 v114, 0
	buffer_load_dword v207, off, s[0:3], 0 offset:240
	buffer_load_dword v208, off, s[0:3], 0 offset:244
	;; [unrolled: 1-line block ×18, first 2 shown]
	ds_read2_b64 v[124:127], v114 offset0:71 offset1:72
	ds_read2_b64 v[128:131], v114 offset0:73 offset1:74
	;; [unrolled: 1-line block ×6, first 2 shown]
	buffer_load_dword v225, off, s[0:3], 0 offset:312
	buffer_load_dword v226, off, s[0:3], 0 offset:316
	;; [unrolled: 1-line block ×6, first 2 shown]
	v_cmp_lt_u32_e32 vcc, 13, v0
	s_waitcnt vmcnt(55) lgkmcnt(5)
	v_mul_f32_e32 v1, v124, v123
	s_waitcnt vmcnt(54)
	v_mul_f32_e32 v2, v126, v122
	s_waitcnt vmcnt(53) lgkmcnt(4)
	v_mul_f32_e32 v148, v128, v121
	s_waitcnt vmcnt(52)
	v_mul_f32_e32 v149, v130, v120
	;; [unrolled: 4-line block ×5, first 2 shown]
	s_waitcnt vmcnt(45) lgkmcnt(0)
	v_mul_f32_e32 v156, v144, v6
	s_waitcnt vmcnt(44)
	v_fmac_f32_e32 v148, v129, v7
	s_waitcnt vmcnt(43)
	v_fmac_f32_e32 v2, v127, v8
	s_waitcnt vmcnt(42)
	v_fmac_f32_e32 v1, v125, v9
	v_add_f32_e32 v1, 0, v1
	v_add_f32_e32 v1, v1, v2
	;; [unrolled: 1-line block ×3, first 2 shown]
	s_waitcnt vmcnt(38)
	v_fmac_f32_e32 v149, v131, v13
	v_fmac_f32_e32 v150, v133, v12
	v_add_f32_e32 v1, v1, v149
	v_fmac_f32_e32 v151, v135, v11
	v_add_f32_e32 v1, v1, v150
	v_add_f32_e32 v1, v1, v151
	ds_read2_b64 v[148:151], v114 offset0:83 offset1:84
	buffer_load_dword v231, off, s[0:3], 0 offset:336
	buffer_load_dword v232, off, s[0:3], 0 offset:340
	v_fmac_f32_e32 v152, v137, v10
	s_waitcnt vmcnt(36)
	v_fmac_f32_e32 v153, v139, v17
	v_add_f32_e32 v1, v1, v152
	v_fmac_f32_e32 v154, v141, v16
	v_add_f32_e32 v1, v1, v153
	;; [unrolled: 2-line block ×3, first 2 shown]
	v_add_f32_e32 v1, v1, v155
	ds_read2_b64 v[152:155], v114 offset0:85 offset1:86
	buffer_load_dword v233, off, s[0:3], 0 offset:344
	buffer_load_dword v234, off, s[0:3], 0 offset:348
	;; [unrolled: 1-line block ×16, first 2 shown]
	v_fmac_f32_e32 v156, v145, v14
	v_add_f32_e32 v1, v1, v156
	ds_read2_b64 v[156:159], v114 offset0:87 offset1:88
	buffer_load_dword v249, off, s[0:3], 0 offset:408
	buffer_load_dword v250, off, s[0:3], 0 offset:412
	buffer_load_dword v251, off, s[0:3], 0 offset:420
	buffer_load_dword v252, off, s[0:3], 0 offset:424
	buffer_load_dword v253, off, s[0:3], 0 offset:428
	buffer_load_dword v254, off, s[0:3], 0 offset:416
	ds_read2_b64 v[160:163], v114 offset0:89 offset1:90
	buffer_load_dword v255, off, s[0:3], 0 offset:436
	buffer_load_dword v23, off, s[0:3], 0 offset:440
	;; [unrolled: 1-line block ×4, first 2 shown]
	s_waitcnt vmcnt(61)
	v_mul_f32_e32 v2, v146, v18
	s_waitcnt vmcnt(55)
	v_fmac_f32_e32 v2, v147, v205
	v_add_f32_e32 v1, v1, v2
	s_waitcnt vmcnt(54) lgkmcnt(3)
	v_mul_f32_e32 v2, v148, v206
	v_fmac_f32_e32 v2, v149, v204
	v_add_f32_e32 v1, v1, v2
	v_mul_f32_e32 v2, v150, v20
	v_fmac_f32_e32 v2, v151, v19
	v_add_f32_e32 v1, v1, v2
	s_waitcnt lgkmcnt(2)
	v_mul_f32_e32 v2, v152, v22
	v_fmac_f32_e32 v2, v153, v21
	v_add_f32_e32 v1, v1, v2
	s_waitcnt vmcnt(50)
	v_mul_f32_e32 v2, v154, v208
	v_fmac_f32_e32 v2, v155, v207
	v_add_f32_e32 v1, v1, v2
	s_waitcnt vmcnt(48) lgkmcnt(1)
	v_mul_f32_e32 v2, v156, v210
	v_fmac_f32_e32 v2, v157, v209
	v_add_f32_e32 v1, v1, v2
	s_waitcnt vmcnt(46)
	v_mul_f32_e32 v2, v158, v212
	v_fmac_f32_e32 v2, v159, v211
	ds_read2_b64 v[164:167], v114 offset0:91 offset1:92
	ds_read2_b64 v[168:171], v114 offset0:93 offset1:94
	v_add_f32_e32 v1, v1, v2
	s_waitcnt vmcnt(44) lgkmcnt(2)
	v_mul_f32_e32 v2, v160, v214
	v_fmac_f32_e32 v2, v161, v213
	v_add_f32_e32 v1, v1, v2
	s_waitcnt vmcnt(42)
	v_mul_f32_e32 v2, v162, v216
	v_fmac_f32_e32 v2, v163, v215
	v_add_f32_e32 v1, v1, v2
	s_waitcnt vmcnt(40) lgkmcnt(1)
	v_mul_f32_e32 v2, v164, v218
	v_fmac_f32_e32 v2, v165, v217
	v_add_f32_e32 v1, v1, v2
	s_waitcnt vmcnt(38)
	v_mul_f32_e32 v2, v166, v220
	v_fmac_f32_e32 v2, v167, v219
	ds_read2_b64 v[172:175], v114 offset0:95 offset1:96
	ds_read2_b64 v[176:179], v114 offset0:97 offset1:98
	v_add_f32_e32 v1, v1, v2
	s_waitcnt vmcnt(36) lgkmcnt(2)
	v_mul_f32_e32 v2, v168, v222
	v_fmac_f32_e32 v2, v169, v221
	v_add_f32_e32 v1, v1, v2
	s_waitcnt vmcnt(34)
	v_mul_f32_e32 v2, v170, v224
	v_fmac_f32_e32 v2, v171, v223
	v_add_f32_e32 v1, v1, v2
	s_waitcnt vmcnt(32) lgkmcnt(1)
	v_mul_f32_e32 v2, v172, v226
	v_fmac_f32_e32 v2, v173, v225
	v_add_f32_e32 v1, v1, v2
	s_waitcnt vmcnt(31)
	v_mul_f32_e32 v2, v174, v227
	s_waitcnt vmcnt(28)
	v_fmac_f32_e32 v2, v175, v230
	ds_read2_b64 v[180:183], v114 offset0:99 offset1:100
	ds_read2_b64 v[184:187], v114 offset0:101 offset1:102
	v_add_f32_e32 v1, v1, v2
	s_waitcnt lgkmcnt(2)
	v_mul_f32_e32 v2, v176, v229
	v_fmac_f32_e32 v2, v177, v228
	v_add_f32_e32 v1, v1, v2
	ds_read2_b64 v[188:191], v114 offset0:103 offset1:104
	ds_read2_b64 v[192:195], v114 offset0:105 offset1:106
	;; [unrolled: 1-line block ×4, first 2 shown]
	v_mul_f32_e32 v3, v139, v3
	v_fma_f32 v3, v138, v17, -v3
	s_waitcnt vmcnt(26)
	v_mul_f32_e32 v2, v178, v232
	v_fmac_f32_e32 v2, v179, v231
	v_add_f32_e32 v1, v1, v2
	v_mul_f32_e32 v4, v141, v4
	v_fma_f32 v4, v140, v16, -v4
	s_waitcnt vmcnt(24) lgkmcnt(5)
	v_mul_f32_e32 v2, v180, v234
	v_fmac_f32_e32 v2, v181, v233
	v_add_f32_e32 v1, v1, v2
	s_waitcnt vmcnt(23)
	v_mul_f32_e32 v2, v182, v235
	s_waitcnt vmcnt(20)
	v_fmac_f32_e32 v2, v183, v238
	v_add_f32_e32 v1, v1, v2
	s_waitcnt lgkmcnt(4)
	v_mul_f32_e32 v2, v184, v237
	v_fmac_f32_e32 v2, v185, v236
	v_add_f32_e32 v1, v1, v2
	s_waitcnt vmcnt(18)
	v_mul_f32_e32 v2, v186, v240
	v_fmac_f32_e32 v2, v187, v239
	v_add_f32_e32 v1, v1, v2
	s_waitcnt vmcnt(16) lgkmcnt(3)
	v_mul_f32_e32 v2, v188, v242
	v_fmac_f32_e32 v2, v189, v241
	v_add_f32_e32 v1, v1, v2
	s_waitcnt vmcnt(15)
	v_mul_f32_e32 v2, v190, v243
	s_waitcnt vmcnt(12)
	v_fmac_f32_e32 v2, v191, v246
	v_add_f32_e32 v1, v1, v2
	s_waitcnt lgkmcnt(2)
	v_mul_f32_e32 v2, v192, v245
	v_fmac_f32_e32 v2, v193, v244
	v_add_f32_e32 v1, v1, v2
	s_waitcnt vmcnt(10)
	v_mul_f32_e32 v2, v194, v248
	v_fmac_f32_e32 v2, v195, v247
	v_add_f32_e32 v1, v1, v2
	s_waitcnt vmcnt(8) lgkmcnt(1)
	v_mul_f32_e32 v2, v196, v250
	v_fmac_f32_e32 v2, v197, v249
	v_add_f32_e32 v1, v1, v2
	s_waitcnt vmcnt(7)
	v_mul_f32_e32 v2, v198, v251
	s_waitcnt vmcnt(4)
	v_fmac_f32_e32 v2, v199, v254
	v_add_f32_e32 v26, v1, v2
	ds_read_b64 v[1:2], v114 offset:888
	s_waitcnt lgkmcnt(1)
	v_mul_f32_e32 v27, v200, v253
	v_fmac_f32_e32 v27, v201, v252
	v_add_f32_e32 v26, v26, v27
	s_waitcnt vmcnt(3)
	v_mul_f32_e32 v27, v202, v255
	s_waitcnt vmcnt(0)
	v_fmac_f32_e32 v27, v203, v25
	v_add_f32_e32 v26, v26, v27
	s_waitcnt lgkmcnt(0)
	v_mul_f32_e32 v27, v1, v24
	v_fmac_f32_e32 v27, v2, v23
	v_add_f32_e32 v26, v26, v27
	v_mul_f32_e32 v27, v125, v123
	v_fma_f32 v9, v124, v9, -v27
	v_mul_f32_e32 v27, v127, v122
	v_add_f32_e32 v9, 0, v9
	v_fma_f32 v8, v126, v8, -v27
	v_add_f32_e32 v8, v9, v8
	v_mul_f32_e32 v9, v129, v121
	v_fma_f32 v7, v128, v7, -v9
	v_add_f32_e32 v7, v8, v7
	v_mul_f32_e32 v8, v131, v120
	;; [unrolled: 3-line block ×5, first 2 shown]
	v_fma_f32 v8, v136, v10, -v8
	v_add_f32_e32 v7, v7, v8
	v_add_f32_e32 v3, v7, v3
	;; [unrolled: 1-line block ×3, first 2 shown]
	v_mul_f32_e32 v4, v143, v5
	v_fma_f32 v4, v142, v15, -v4
	v_add_f32_e32 v3, v3, v4
	v_mul_f32_e32 v4, v145, v6
	v_fma_f32 v4, v144, v14, -v4
	v_add_f32_e32 v3, v3, v4
	;; [unrolled: 3-line block ×30, first 2 shown]
	v_mul_f32_e32 v4, v203, v255
	v_fma_f32 v4, v202, v25, -v4
	v_mul_f32_e32 v2, v2, v24
	v_add_f32_e32 v3, v3, v4
	v_fma_f32 v1, v1, v23, -v2
	v_add_f32_e32 v1, v3, v1
	v_sub_f32_e32 v1, v117, v1
	v_sub_f32_e32 v2, v118, v26
	buffer_store_dword v1, off, s[0:3], 0 offset:112
	buffer_store_dword v2, off, s[0:3], 0 offset:116
	s_and_saveexec_b64 s[4:5], vcc
	s_cbranch_execz .LBB55_323
; %bb.322:
	buffer_load_dword v1, off, s[0:3], 0 offset:104
	buffer_load_dword v2, off, s[0:3], 0 offset:108
	s_waitcnt vmcnt(0)
	ds_write_b64 v113, v[1:2]
	buffer_store_dword v114, off, s[0:3], 0 offset:104
	buffer_store_dword v114, off, s[0:3], 0 offset:108
.LBB55_323:
	s_or_b64 exec, exec, s[4:5]
	s_waitcnt lgkmcnt(0)
	; wave barrier
	buffer_load_dword v1, off, s[0:3], 0 offset:116
	buffer_load_dword v2, off, s[0:3], 0 offset:124
	;; [unrolled: 1-line block ×32, first 2 shown]
	ds_read_b128 v[115:118], v114 offset:560
	ds_read_b128 v[119:122], v114 offset:576
	;; [unrolled: 1-line block ×6, first 2 shown]
	buffer_load_dword v203, off, s[0:3], 0 offset:232
	buffer_load_dword v204, off, s[0:3], 0 offset:236
	;; [unrolled: 1-line block ×18, first 2 shown]
	v_cmp_lt_u32_e32 vcc, 12, v0
	s_waitcnt vmcnt(49) lgkmcnt(5)
	v_mul_f32_e32 v139, v115, v1
	s_waitcnt vmcnt(48)
	v_mul_f32_e32 v140, v117, v2
	s_waitcnt vmcnt(47) lgkmcnt(4)
	v_mul_f32_e32 v141, v119, v3
	s_waitcnt vmcnt(46)
	v_mul_f32_e32 v142, v121, v4
	;; [unrolled: 4-line block ×6, first 2 shown]
	s_waitcnt vmcnt(37)
	v_fmac_f32_e32 v141, v120, v13
	s_waitcnt vmcnt(36)
	v_fmac_f32_e32 v140, v118, v14
	;; [unrolled: 2-line block ×3, first 2 shown]
	v_add_f32_e32 v139, 0, v139
	v_add_f32_e32 v139, v139, v140
	;; [unrolled: 1-line block ×3, first 2 shown]
	s_waitcnt vmcnt(31)
	v_fmac_f32_e32 v142, v122, v19
	v_fmac_f32_e32 v143, v124, v18
	v_add_f32_e32 v139, v139, v142
	v_fmac_f32_e32 v144, v126, v17
	v_add_f32_e32 v139, v139, v143
	;; [unrolled: 2-line block ×3, first 2 shown]
	s_waitcnt vmcnt(27)
	v_fmac_f32_e32 v146, v130, v23
	v_add_f32_e32 v139, v139, v145
	v_fmac_f32_e32 v147, v132, v22
	v_add_f32_e32 v139, v139, v146
	;; [unrolled: 2-line block ×3, first 2 shown]
	v_add_f32_e32 v143, v139, v148
	ds_read_b128 v[139:142], v114 offset:656
	buffer_load_dword v221, off, s[0:3], 0 offset:304
	buffer_load_dword v222, off, s[0:3], 0 offset:308
	buffer_load_dword v223, off, s[0:3], 0 offset:316
	buffer_load_dword v224, off, s[0:3], 0 offset:320
	buffer_load_dword v225, off, s[0:3], 0 offset:324
	buffer_load_dword v226, off, s[0:3], 0 offset:312
	v_fmac_f32_e32 v149, v136, v20
	s_waitcnt vmcnt(27)
	v_fmac_f32_e32 v150, v138, v199
	v_add_f32_e32 v143, v143, v149
	v_add_f32_e32 v147, v143, v150
	ds_read_b128 v[143:146], v114 offset:672
	buffer_load_dword v227, off, s[0:3], 0 offset:328
	buffer_load_dword v228, off, s[0:3], 0 offset:332
	;; [unrolled: 1-line block ×10, first 2 shown]
	s_waitcnt vmcnt(36) lgkmcnt(1)
	v_mul_f32_e32 v148, v139, v200
	buffer_load_dword v237, off, s[0:3], 0 offset:368
	buffer_load_dword v238, off, s[0:3], 0 offset:372
	;; [unrolled: 1-line block ×6, first 2 shown]
	v_fmac_f32_e32 v148, v140, v28
	v_add_f32_e32 v147, v147, v148
	v_mul_f32_e32 v148, v141, v25
	v_fmac_f32_e32 v148, v142, v24
	v_add_f32_e32 v147, v147, v148
	s_waitcnt lgkmcnt(0)
	v_mul_f32_e32 v148, v143, v27
	v_fmac_f32_e32 v148, v144, v26
	v_add_f32_e32 v151, v147, v148
	ds_read_b128 v[147:150], v114 offset:688
	buffer_load_dword v243, off, s[0:3], 0 offset:392
	buffer_load_dword v244, off, s[0:3], 0 offset:396
	s_waitcnt vmcnt(40)
	v_mul_f32_e32 v152, v145, v204
	v_fmac_f32_e32 v152, v146, v203
	v_add_f32_e32 v155, v151, v152
	ds_read_b128 v[151:154], v114 offset:704
	buffer_load_dword v245, off, s[0:3], 0 offset:400
	buffer_load_dword v246, off, s[0:3], 0 offset:404
	;; [unrolled: 1-line block ×12, first 2 shown]
	v_mul_f32_e32 v1, v116, v1
	v_fma_f32 v1, v115, v15, -v1
	v_mul_f32_e32 v2, v118, v2
	v_add_f32_e32 v1, 0, v1
	v_fma_f32 v2, v117, v14, -v2
	v_add_f32_e32 v1, v1, v2
	v_mul_f32_e32 v2, v120, v3
	v_fma_f32 v2, v119, v13, -v2
	v_add_f32_e32 v1, v1, v2
	v_mul_f32_e32 v2, v122, v4
	;; [unrolled: 3-line block ×6, first 2 shown]
	v_fma_f32 v2, v129, v23, -v2
	s_waitcnt vmcnt(50) lgkmcnt(1)
	v_mul_f32_e32 v156, v147, v206
	v_add_f32_e32 v1, v1, v2
	v_mul_f32_e32 v2, v132, v9
	v_fmac_f32_e32 v156, v148, v205
	v_fma_f32 v2, v131, v22, -v2
	v_add_f32_e32 v155, v155, v156
	s_waitcnt vmcnt(48)
	v_mul_f32_e32 v156, v149, v208
	v_add_f32_e32 v1, v1, v2
	v_mul_f32_e32 v2, v134, v10
	v_fmac_f32_e32 v156, v150, v207
	v_fma_f32 v2, v133, v21, -v2
	v_add_f32_e32 v30, v155, v156
	s_waitcnt vmcnt(46) lgkmcnt(0)
	v_mul_f32_e32 v155, v151, v210
	v_add_f32_e32 v1, v1, v2
	v_mul_f32_e32 v2, v136, v11
	v_fmac_f32_e32 v155, v152, v209
	v_fma_f32 v2, v135, v20, -v2
	v_add_f32_e32 v30, v30, v155
	ds_read_b128 v[155:158], v114 offset:720
	v_add_f32_e32 v1, v1, v2
	v_mul_f32_e32 v2, v138, v12
	v_fma_f32 v2, v137, v199, -v2
	s_waitcnt vmcnt(44)
	v_mul_f32_e32 v159, v153, v212
	v_add_f32_e32 v1, v1, v2
	v_mul_f32_e32 v2, v140, v200
	v_fmac_f32_e32 v159, v154, v211
	v_fma_f32 v2, v139, v28, -v2
	v_add_f32_e32 v30, v30, v159
	ds_read_b128 v[159:162], v114 offset:736
	v_add_f32_e32 v1, v1, v2
	v_mul_f32_e32 v2, v142, v25
	s_waitcnt vmcnt(42) lgkmcnt(1)
	v_mul_f32_e32 v163, v155, v214
	v_fma_f32 v2, v141, v24, -v2
	v_fmac_f32_e32 v163, v156, v213
	v_add_f32_e32 v1, v1, v2
	v_mul_f32_e32 v2, v144, v27
	v_add_f32_e32 v30, v30, v163
	s_waitcnt vmcnt(40)
	v_mul_f32_e32 v163, v157, v216
	v_fma_f32 v2, v143, v26, -v2
	v_fmac_f32_e32 v163, v158, v215
	v_add_f32_e32 v1, v1, v2
	v_mul_f32_e32 v2, v146, v204
	v_add_f32_e32 v30, v30, v163
	s_waitcnt vmcnt(38) lgkmcnt(0)
	v_mul_f32_e32 v163, v159, v218
	v_fma_f32 v2, v145, v203, -v2
	v_fmac_f32_e32 v163, v160, v217
	v_add_f32_e32 v1, v1, v2
	v_mul_f32_e32 v2, v148, v206
	v_add_f32_e32 v30, v30, v163
	ds_read_b128 v[163:166], v114 offset:752
	v_fma_f32 v2, v147, v205, -v2
	v_add_f32_e32 v1, v1, v2
	v_mul_f32_e32 v2, v150, v208
	s_waitcnt vmcnt(36)
	v_mul_f32_e32 v167, v161, v220
	v_fma_f32 v2, v149, v207, -v2
	v_fmac_f32_e32 v167, v162, v219
	v_add_f32_e32 v1, v1, v2
	v_mul_f32_e32 v2, v152, v210
	v_add_f32_e32 v30, v30, v167
	ds_read_b128 v[167:170], v114 offset:768
	v_fma_f32 v2, v151, v209, -v2
	s_waitcnt vmcnt(34) lgkmcnt(1)
	v_mul_f32_e32 v171, v163, v222
	v_add_f32_e32 v1, v1, v2
	v_mul_f32_e32 v2, v154, v212
	v_fmac_f32_e32 v171, v164, v221
	v_fma_f32 v2, v153, v211, -v2
	v_add_f32_e32 v30, v30, v171
	s_waitcnt vmcnt(33)
	v_mul_f32_e32 v171, v165, v223
	v_add_f32_e32 v1, v1, v2
	v_mul_f32_e32 v2, v156, v214
	s_waitcnt vmcnt(30)
	v_fmac_f32_e32 v171, v166, v226
	v_fma_f32 v2, v155, v213, -v2
	v_add_f32_e32 v30, v30, v171
	s_waitcnt lgkmcnt(0)
	v_mul_f32_e32 v171, v167, v225
	v_add_f32_e32 v1, v1, v2
	v_mul_f32_e32 v2, v158, v216
	v_fmac_f32_e32 v171, v168, v224
	v_fma_f32 v2, v157, v215, -v2
	v_add_f32_e32 v30, v30, v171
	ds_read_b128 v[171:174], v114 offset:784
	v_add_f32_e32 v1, v1, v2
	v_mul_f32_e32 v2, v160, v218
	v_fma_f32 v2, v159, v217, -v2
	s_waitcnt vmcnt(28)
	v_mul_f32_e32 v175, v169, v228
	v_add_f32_e32 v1, v1, v2
	v_mul_f32_e32 v2, v162, v220
	v_fmac_f32_e32 v175, v170, v227
	v_fma_f32 v2, v161, v219, -v2
	v_add_f32_e32 v30, v30, v175
	ds_read_b128 v[175:178], v114 offset:800
	v_add_f32_e32 v1, v1, v2
	v_mul_f32_e32 v2, v164, v222
	s_waitcnt vmcnt(26) lgkmcnt(1)
	v_mul_f32_e32 v179, v171, v230
	v_fma_f32 v2, v163, v221, -v2
	v_fmac_f32_e32 v179, v172, v229
	v_add_f32_e32 v1, v1, v2
	v_mul_f32_e32 v2, v166, v223
	v_add_f32_e32 v30, v30, v179
	s_waitcnt vmcnt(25)
	v_mul_f32_e32 v179, v173, v231
	v_fma_f32 v2, v165, v226, -v2
	s_waitcnt vmcnt(22)
	v_fmac_f32_e32 v179, v174, v234
	v_add_f32_e32 v1, v1, v2
	v_mul_f32_e32 v2, v168, v225
	v_add_f32_e32 v30, v30, v179
	s_waitcnt lgkmcnt(0)
	v_mul_f32_e32 v179, v175, v233
	v_fma_f32 v2, v167, v224, -v2
	v_fmac_f32_e32 v179, v176, v232
	v_add_f32_e32 v1, v1, v2
	v_mul_f32_e32 v2, v170, v228
	v_add_f32_e32 v30, v30, v179
	ds_read_b128 v[179:182], v114 offset:816
	v_fma_f32 v2, v169, v227, -v2
	v_add_f32_e32 v1, v1, v2
	v_mul_f32_e32 v2, v172, v230
	s_waitcnt vmcnt(20)
	v_mul_f32_e32 v183, v177, v236
	v_fma_f32 v2, v171, v229, -v2
	v_fmac_f32_e32 v183, v178, v235
	v_add_f32_e32 v1, v1, v2
	v_mul_f32_e32 v2, v174, v231
	v_add_f32_e32 v30, v30, v183
	ds_read_b128 v[183:186], v114 offset:832
	v_fma_f32 v2, v173, v234, -v2
	s_waitcnt vmcnt(18) lgkmcnt(1)
	v_mul_f32_e32 v187, v179, v238
	v_add_f32_e32 v1, v1, v2
	v_mul_f32_e32 v2, v176, v233
	v_fmac_f32_e32 v187, v180, v237
	v_fma_f32 v2, v175, v232, -v2
	v_add_f32_e32 v30, v30, v187
	s_waitcnt vmcnt(17)
	v_mul_f32_e32 v187, v181, v239
	v_add_f32_e32 v1, v1, v2
	v_mul_f32_e32 v2, v178, v236
	s_waitcnt vmcnt(14)
	v_fmac_f32_e32 v187, v182, v242
	v_fma_f32 v2, v177, v235, -v2
	v_add_f32_e32 v30, v30, v187
	s_waitcnt lgkmcnt(0)
	v_mul_f32_e32 v187, v183, v241
	v_add_f32_e32 v1, v1, v2
	v_mul_f32_e32 v2, v180, v238
	v_fmac_f32_e32 v187, v184, v240
	v_fma_f32 v2, v179, v237, -v2
	v_add_f32_e32 v30, v30, v187
	ds_read_b128 v[187:190], v114 offset:848
	v_add_f32_e32 v1, v1, v2
	v_mul_f32_e32 v2, v182, v239
	v_fma_f32 v2, v181, v242, -v2
	v_add_f32_e32 v1, v1, v2
	v_mul_f32_e32 v2, v184, v241
	s_waitcnt vmcnt(12)
	v_mul_f32_e32 v191, v185, v244
	v_fma_f32 v2, v183, v240, -v2
	v_fmac_f32_e32 v191, v186, v243
	v_add_f32_e32 v1, v1, v2
	v_mul_f32_e32 v2, v186, v244
	v_add_f32_e32 v30, v30, v191
	ds_read_b128 v[191:194], v114 offset:864
	s_waitcnt vmcnt(10) lgkmcnt(1)
	v_mul_f32_e32 v195, v187, v246
	v_fma_f32 v2, v185, v243, -v2
	v_fmac_f32_e32 v195, v188, v245
	v_add_f32_e32 v1, v1, v2
	v_mul_f32_e32 v2, v188, v246
	v_add_f32_e32 v30, v30, v195
	s_waitcnt vmcnt(9)
	v_mul_f32_e32 v195, v189, v247
	v_fma_f32 v2, v187, v245, -v2
	s_waitcnt vmcnt(6)
	v_fmac_f32_e32 v195, v190, v250
	v_add_f32_e32 v1, v1, v2
	v_mul_f32_e32 v2, v190, v247
	v_add_f32_e32 v30, v30, v195
	ds_read_b128 v[195:198], v114 offset:880
	v_fma_f32 v2, v189, v250, -v2
	v_add_f32_e32 v1, v1, v2
	s_waitcnt lgkmcnt(1)
	v_mul_f32_e32 v2, v192, v249
	v_mul_f32_e32 v31, v191, v249
	v_fma_f32 v2, v191, v248, -v2
	v_fmac_f32_e32 v31, v192, v248
	v_add_f32_e32 v1, v1, v2
	s_waitcnt vmcnt(4)
	v_mul_f32_e32 v2, v194, v252
	v_add_f32_e32 v30, v30, v31
	v_mul_f32_e32 v31, v193, v252
	v_fma_f32 v2, v193, v251, -v2
	v_fmac_f32_e32 v31, v194, v251
	v_add_f32_e32 v1, v1, v2
	s_waitcnt vmcnt(3) lgkmcnt(0)
	v_mul_f32_e32 v2, v196, v253
	v_add_f32_e32 v30, v30, v31
	v_mul_f32_e32 v31, v195, v253
	s_waitcnt vmcnt(0)
	v_fma_f32 v2, v195, v29, -v2
	v_fmac_f32_e32 v31, v196, v29
	v_add_f32_e32 v1, v1, v2
	v_mul_f32_e32 v2, v198, v255
	v_add_f32_e32 v30, v30, v31
	v_mul_f32_e32 v31, v197, v255
	v_fma_f32 v2, v197, v254, -v2
	v_fmac_f32_e32 v31, v198, v254
	v_add_f32_e32 v1, v1, v2
	v_add_f32_e32 v30, v30, v31
	v_sub_f32_e32 v1, v201, v1
	v_sub_f32_e32 v2, v202, v30
	buffer_store_dword v1, off, s[0:3], 0 offset:104
	buffer_store_dword v2, off, s[0:3], 0 offset:108
	s_and_saveexec_b64 s[4:5], vcc
	s_cbranch_execz .LBB55_325
; %bb.324:
	buffer_load_dword v1, off, s[0:3], 0 offset:96
	buffer_load_dword v2, off, s[0:3], 0 offset:100
	v_mov_b32_e32 v3, 0
	buffer_store_dword v3, off, s[0:3], 0 offset:96
	buffer_store_dword v3, off, s[0:3], 0 offset:100
	s_waitcnt vmcnt(2)
	ds_write_b64 v113, v[1:2]
.LBB55_325:
	s_or_b64 exec, exec, s[4:5]
	s_waitcnt lgkmcnt(0)
	; wave barrier
	buffer_load_dword v123, off, s[0:3], 0 offset:108
	buffer_load_dword v122, off, s[0:3], 0 offset:116
	;; [unrolled: 1-line block ×32, first 2 shown]
	v_mov_b32_e32 v114, 0
	buffer_load_dword v21, off, s[0:3], 0 offset:224
	buffer_load_dword v22, off, s[0:3], 0 offset:228
	;; [unrolled: 1-line block ×16, first 2 shown]
	ds_read2_b64 v[129:132], v114 offset0:69 offset1:70
	ds_read2_b64 v[133:136], v114 offset0:71 offset1:72
	;; [unrolled: 1-line block ×6, first 2 shown]
	buffer_load_dword v217, off, s[0:3], 0 offset:288
	buffer_load_dword v218, off, s[0:3], 0 offset:292
	v_cmp_lt_u32_e32 vcc, 11, v0
	s_waitcnt vmcnt(49) lgkmcnt(5)
	v_mul_f32_e32 v1, v129, v123
	s_waitcnt vmcnt(48)
	v_mul_f32_e32 v2, v131, v122
	s_waitcnt vmcnt(47) lgkmcnt(4)
	v_mul_f32_e32 v153, v133, v121
	s_waitcnt vmcnt(46)
	v_mul_f32_e32 v154, v135, v120
	;; [unrolled: 4-line block ×6, first 2 shown]
	s_waitcnt vmcnt(37)
	v_fmac_f32_e32 v153, v134, v3
	s_waitcnt vmcnt(36)
	v_fmac_f32_e32 v2, v132, v4
	;; [unrolled: 2-line block ×3, first 2 shown]
	v_add_f32_e32 v1, 0, v1
	v_add_f32_e32 v1, v1, v2
	;; [unrolled: 1-line block ×3, first 2 shown]
	s_waitcnt vmcnt(31)
	v_fmac_f32_e32 v154, v136, v9
	v_fmac_f32_e32 v155, v138, v8
	v_add_f32_e32 v1, v1, v154
	v_fmac_f32_e32 v156, v140, v7
	v_add_f32_e32 v1, v1, v155
	;; [unrolled: 2-line block ×3, first 2 shown]
	s_waitcnt vmcnt(27)
	v_fmac_f32_e32 v158, v144, v13
	v_add_f32_e32 v1, v1, v157
	ds_read2_b64 v[153:156], v114 offset0:81 offset1:82
	buffer_load_dword v219, off, s[0:3], 0 offset:296
	buffer_load_dword v220, off, s[0:3], 0 offset:300
	;; [unrolled: 1-line block ×6, first 2 shown]
	v_fmac_f32_e32 v159, v146, v12
	v_add_f32_e32 v1, v1, v158
	v_fmac_f32_e32 v160, v148, v11
	v_add_f32_e32 v1, v1, v159
	v_add_f32_e32 v1, v1, v160
	ds_read2_b64 v[157:160], v114 offset0:83 offset1:84
	buffer_load_dword v225, off, s[0:3], 0 offset:320
	buffer_load_dword v226, off, s[0:3], 0 offset:324
	;; [unrolled: 1-line block ×10, first 2 shown]
	v_fmac_f32_e32 v161, v150, v10
	s_waitcnt vmcnt(38)
	v_fmac_f32_e32 v162, v152, v18
	v_add_f32_e32 v1, v1, v161
	v_add_f32_e32 v1, v1, v162
	ds_read2_b64 v[161:164], v114 offset0:85 offset1:86
	buffer_load_dword v235, off, s[0:3], 0 offset:360
	buffer_load_dword v236, off, s[0:3], 0 offset:364
	;; [unrolled: 1-line block ×6, first 2 shown]
	ds_read2_b64 v[165:168], v114 offset0:87 offset1:88
	buffer_load_dword v241, off, s[0:3], 0 offset:384
	buffer_load_dword v242, off, s[0:3], 0 offset:388
	;; [unrolled: 1-line block ×16, first 2 shown]
	s_waitcnt vmcnt(59) lgkmcnt(3)
	v_mul_f32_e32 v2, v153, v19
	v_fmac_f32_e32 v2, v154, v17
	v_add_f32_e32 v1, v1, v2
	s_waitcnt vmcnt(58)
	v_mul_f32_e32 v2, v155, v20
	v_fmac_f32_e32 v2, v156, v16
	v_add_f32_e32 v1, v1, v2
	s_waitcnt lgkmcnt(2)
	v_mul_f32_e32 v2, v157, v15
	v_fmac_f32_e32 v2, v158, v14
	v_add_f32_e32 v1, v1, v2
	s_waitcnt vmcnt(54)
	v_mul_f32_e32 v2, v159, v22
	v_fmac_f32_e32 v2, v160, v21
	v_add_f32_e32 v1, v1, v2
	s_waitcnt vmcnt(52) lgkmcnt(1)
	v_mul_f32_e32 v2, v161, v24
	v_fmac_f32_e32 v2, v162, v23
	v_add_f32_e32 v1, v1, v2
	s_waitcnt vmcnt(50)
	v_mul_f32_e32 v2, v163, v26
	v_fmac_f32_e32 v2, v164, v25
	ds_read2_b64 v[169:172], v114 offset0:89 offset1:90
	ds_read2_b64 v[173:176], v114 offset0:91 offset1:92
	v_add_f32_e32 v1, v1, v2
	s_waitcnt vmcnt(48) lgkmcnt(2)
	v_mul_f32_e32 v2, v165, v28
	v_fmac_f32_e32 v2, v166, v27
	v_add_f32_e32 v1, v1, v2
	s_waitcnt vmcnt(46)
	v_mul_f32_e32 v2, v167, v30
	v_fmac_f32_e32 v2, v168, v29
	v_add_f32_e32 v1, v1, v2
	s_waitcnt vmcnt(44) lgkmcnt(1)
	v_mul_f32_e32 v2, v169, v32
	v_fmac_f32_e32 v2, v170, v31
	v_add_f32_e32 v1, v1, v2
	s_waitcnt vmcnt(42)
	v_mul_f32_e32 v2, v171, v214
	v_fmac_f32_e32 v2, v172, v213
	ds_read2_b64 v[177:180], v114 offset0:93 offset1:94
	ds_read2_b64 v[181:184], v114 offset0:95 offset1:96
	v_add_f32_e32 v1, v1, v2
	s_waitcnt vmcnt(40) lgkmcnt(2)
	v_mul_f32_e32 v2, v173, v216
	v_fmac_f32_e32 v2, v174, v215
	v_add_f32_e32 v1, v1, v2
	s_waitcnt vmcnt(38)
	v_mul_f32_e32 v2, v175, v218
	v_fmac_f32_e32 v2, v176, v217
	v_add_f32_e32 v1, v1, v2
	ds_read2_b64 v[185:188], v114 offset0:97 offset1:98
	ds_read2_b64 v[189:192], v114 offset0:99 offset1:100
	ds_read2_b64 v[193:196], v114 offset0:101 offset1:102
	ds_read2_b64 v[197:200], v114 offset0:103 offset1:104
	ds_read2_b64 v[201:204], v114 offset0:105 offset1:106
	ds_read2_b64 v[205:208], v114 offset0:107 offset1:108
	ds_read2_b64 v[209:212], v114 offset0:109 offset1:110
	s_waitcnt vmcnt(36) lgkmcnt(8)
	v_mul_f32_e32 v2, v177, v220
	v_fmac_f32_e32 v2, v178, v219
	v_add_f32_e32 v1, v1, v2
	s_waitcnt vmcnt(35)
	v_mul_f32_e32 v2, v179, v221
	s_waitcnt vmcnt(32)
	v_fmac_f32_e32 v2, v180, v224
	v_add_f32_e32 v1, v1, v2
	s_waitcnt lgkmcnt(7)
	v_mul_f32_e32 v2, v181, v223
	v_fmac_f32_e32 v2, v182, v222
	v_add_f32_e32 v1, v1, v2
	s_waitcnt vmcnt(30)
	v_mul_f32_e32 v2, v183, v226
	v_fmac_f32_e32 v2, v184, v225
	v_add_f32_e32 v1, v1, v2
	s_waitcnt vmcnt(28) lgkmcnt(6)
	v_mul_f32_e32 v2, v185, v228
	v_fmac_f32_e32 v2, v186, v227
	v_add_f32_e32 v1, v1, v2
	s_waitcnt vmcnt(27)
	v_mul_f32_e32 v2, v187, v229
	s_waitcnt vmcnt(24)
	v_fmac_f32_e32 v2, v188, v232
	v_add_f32_e32 v1, v1, v2
	s_waitcnt lgkmcnt(5)
	v_mul_f32_e32 v2, v189, v231
	v_fmac_f32_e32 v2, v190, v230
	v_add_f32_e32 v1, v1, v2
	s_waitcnt vmcnt(22)
	v_mul_f32_e32 v2, v191, v234
	v_fmac_f32_e32 v2, v192, v233
	v_add_f32_e32 v1, v1, v2
	;; [unrolled: 17-line block ×4, first 2 shown]
	ds_read_b64 v[1:2], v114 offset:888
	s_waitcnt vmcnt(4) lgkmcnt(1)
	v_mul_f32_e32 v35, v209, v252
	v_fmac_f32_e32 v35, v210, v251
	v_add_f32_e32 v34, v34, v35
	s_waitcnt vmcnt(3)
	v_mul_f32_e32 v35, v211, v253
	s_waitcnt vmcnt(0)
	v_fmac_f32_e32 v35, v212, v33
	v_add_f32_e32 v34, v34, v35
	s_waitcnt lgkmcnt(0)
	v_mul_f32_e32 v35, v1, v255
	v_fmac_f32_e32 v35, v2, v254
	v_add_f32_e32 v34, v34, v35
	v_mul_f32_e32 v35, v130, v123
	v_fma_f32 v5, v129, v5, -v35
	v_mul_f32_e32 v35, v132, v122
	v_add_f32_e32 v5, 0, v5
	v_fma_f32 v4, v131, v4, -v35
	v_add_f32_e32 v4, v5, v4
	v_mul_f32_e32 v5, v134, v121
	v_fma_f32 v3, v133, v3, -v5
	v_add_f32_e32 v3, v4, v3
	v_mul_f32_e32 v4, v136, v120
	;; [unrolled: 3-line block ×40, first 2 shown]
	v_fma_f32 v4, v211, v33, -v4
	v_mul_f32_e32 v2, v2, v255
	v_add_f32_e32 v3, v3, v4
	v_fma_f32 v1, v1, v254, -v2
	v_add_f32_e32 v1, v3, v1
	v_sub_f32_e32 v1, v115, v1
	v_sub_f32_e32 v2, v116, v34
	buffer_store_dword v1, off, s[0:3], 0 offset:96
	buffer_store_dword v2, off, s[0:3], 0 offset:100
	s_and_saveexec_b64 s[4:5], vcc
	s_cbranch_execz .LBB55_327
; %bb.326:
	buffer_load_dword v1, off, s[0:3], 0 offset:88
	buffer_load_dword v2, off, s[0:3], 0 offset:92
	s_waitcnt vmcnt(0)
	ds_write_b64 v113, v[1:2]
	buffer_store_dword v114, off, s[0:3], 0 offset:88
	buffer_store_dword v114, off, s[0:3], 0 offset:92
.LBB55_327:
	s_or_b64 exec, exec, s[4:5]
	s_waitcnt lgkmcnt(0)
	; wave barrier
	buffer_load_dword v123, off, s[0:3], 0 offset:100
	buffer_load_dword v122, off, s[0:3], 0 offset:108
	;; [unrolled: 1-line block ×32, first 2 shown]
	ds_read_b128 v[129:132], v114 offset:544
	ds_read_b128 v[133:136], v114 offset:560
	;; [unrolled: 1-line block ×4, first 2 shown]
	buffer_load_dword v19, off, s[0:3], 0 offset:216
	buffer_load_dword v20, off, s[0:3], 0 offset:220
	ds_read_b128 v[145:148], v114 offset:608
	ds_read_b128 v[149:152], v114 offset:624
	;; [unrolled: 1-line block ×3, first 2 shown]
	buffer_load_dword v21, off, s[0:3], 0 offset:224
	buffer_load_dword v22, off, s[0:3], 0 offset:228
	;; [unrolled: 1-line block ×14, first 2 shown]
	v_cmp_lt_u32_e32 vcc, 10, v0
	s_waitcnt vmcnt(47) lgkmcnt(6)
	v_mul_f32_e32 v35, v129, v123
	s_waitcnt vmcnt(46)
	v_mul_f32_e32 v36, v131, v122
	s_waitcnt vmcnt(45) lgkmcnt(5)
	v_mul_f32_e32 v157, v133, v121
	s_waitcnt vmcnt(44)
	v_mul_f32_e32 v158, v135, v120
	;; [unrolled: 4-line block ×6, first 2 shown]
	s_waitcnt vmcnt(35)
	v_fmac_f32_e32 v157, v134, v1
	s_waitcnt vmcnt(34)
	v_fmac_f32_e32 v36, v132, v2
	;; [unrolled: 2-line block ×3, first 2 shown]
	v_add_f32_e32 v35, 0, v35
	v_add_f32_e32 v35, v35, v36
	buffer_load_dword v36, off, s[0:3], 0 offset:280
	buffer_load_dword v217, off, s[0:3], 0 offset:284
	s_waitcnt vmcnt(31)
	v_fmac_f32_e32 v158, v136, v7
	v_add_f32_e32 v35, v35, v157
	v_fmac_f32_e32 v159, v138, v6
	v_add_f32_e32 v35, v35, v158
	;; [unrolled: 2-line block ×3, first 2 shown]
	v_add_f32_e32 v35, v35, v160
	ds_read_b128 v[157:160], v114 offset:656
	buffer_load_dword v218, off, s[0:3], 0 offset:288
	buffer_load_dword v219, off, s[0:3], 0 offset:292
	;; [unrolled: 1-line block ×8, first 2 shown]
	v_fmac_f32_e32 v161, v142, v4
	buffer_load_dword v226, off, s[0:3], 0 offset:320
	buffer_load_dword v227, off, s[0:3], 0 offset:324
	;; [unrolled: 1-line block ×6, first 2 shown]
	s_waitcnt vmcnt(41)
	v_fmac_f32_e32 v162, v144, v11
	v_add_f32_e32 v35, v35, v161
	v_fmac_f32_e32 v163, v146, v10
	v_add_f32_e32 v35, v35, v162
	v_fmac_f32_e32 v164, v148, v9
	v_add_f32_e32 v35, v35, v163
	v_fmac_f32_e32 v165, v150, v8
	v_add_f32_e32 v35, v35, v164
	s_waitcnt vmcnt(37)
	v_fmac_f32_e32 v166, v152, v15
	v_add_f32_e32 v35, v35, v165
	s_waitcnt vmcnt(36) lgkmcnt(1)
	v_mul_f32_e32 v161, v153, v16
	buffer_load_dword v232, off, s[0:3], 0 offset:344
	buffer_load_dword v233, off, s[0:3], 0 offset:348
	v_add_f32_e32 v35, v35, v166
	v_fmac_f32_e32 v161, v154, v14
	v_add_f32_e32 v35, v35, v161
	s_waitcnt vmcnt(37)
	v_mul_f32_e32 v161, v155, v17
	v_fmac_f32_e32 v161, v156, v13
	v_add_f32_e32 v35, v35, v161
	s_waitcnt vmcnt(36) lgkmcnt(0)
	v_mul_f32_e32 v161, v157, v18
	v_fmac_f32_e32 v161, v158, v12
	v_add_f32_e32 v35, v35, v161
	ds_read_b128 v[161:164], v114 offset:672
	buffer_load_dword v234, off, s[0:3], 0 offset:352
	buffer_load_dword v235, off, s[0:3], 0 offset:356
	;; [unrolled: 1-line block ×6, first 2 shown]
	s_waitcnt vmcnt(38)
	v_mul_f32_e32 v165, v159, v20
	v_fmac_f32_e32 v165, v160, v19
	v_add_f32_e32 v35, v35, v165
	ds_read_b128 v[165:168], v114 offset:688
	buffer_load_dword v240, off, s[0:3], 0 offset:376
	buffer_load_dword v241, off, s[0:3], 0 offset:380
	;; [unrolled: 1-line block ×10, first 2 shown]
	s_waitcnt vmcnt(46) lgkmcnt(1)
	v_mul_f32_e32 v169, v161, v22
	v_fmac_f32_e32 v169, v162, v21
	v_add_f32_e32 v35, v35, v169
	s_waitcnt vmcnt(44)
	v_mul_f32_e32 v169, v163, v24
	v_fmac_f32_e32 v169, v164, v23
	v_add_f32_e32 v35, v35, v169
	s_waitcnt vmcnt(42) lgkmcnt(0)
	v_mul_f32_e32 v169, v165, v26
	buffer_load_dword v250, off, s[0:3], 0 offset:416
	buffer_load_dword v251, off, s[0:3], 0 offset:420
	;; [unrolled: 1-line block ×6, first 2 shown]
	v_fmac_f32_e32 v169, v166, v25
	s_waitcnt vmcnt(46)
	v_mul_f32_e32 v173, v167, v28
	v_add_f32_e32 v35, v35, v169
	v_fmac_f32_e32 v173, v168, v27
	ds_read_b128 v[169:172], v114 offset:704
	v_add_f32_e32 v35, v35, v173
	ds_read_b128 v[173:176], v114 offset:720
	buffer_load_dword v37, off, s[0:3], 0 offset:440
	buffer_load_dword v38, off, s[0:3], 0 offset:444
	s_waitcnt vmcnt(46) lgkmcnt(1)
	v_mul_f32_e32 v177, v169, v30
	v_fmac_f32_e32 v177, v170, v29
	v_add_f32_e32 v35, v35, v177
	s_waitcnt vmcnt(44)
	v_mul_f32_e32 v177, v171, v32
	v_fmac_f32_e32 v177, v172, v31
	v_add_f32_e32 v35, v35, v177
	s_waitcnt vmcnt(42) lgkmcnt(0)
	v_mul_f32_e32 v177, v173, v34
	v_fmac_f32_e32 v177, v174, v33
	v_add_f32_e32 v35, v35, v177
	ds_read_b128 v[177:180], v114 offset:736
	s_waitcnt vmcnt(40)
	v_mul_f32_e32 v181, v175, v217
	v_fmac_f32_e32 v181, v176, v36
	v_add_f32_e32 v35, v35, v181
	ds_read_b128 v[181:184], v114 offset:752
	s_waitcnt vmcnt(38) lgkmcnt(1)
	v_mul_f32_e32 v185, v177, v219
	v_fmac_f32_e32 v185, v178, v218
	v_add_f32_e32 v35, v35, v185
	s_waitcnt vmcnt(37)
	v_mul_f32_e32 v185, v179, v220
	s_waitcnt vmcnt(34)
	v_fmac_f32_e32 v185, v180, v223
	v_add_f32_e32 v35, v35, v185
	s_waitcnt lgkmcnt(0)
	v_mul_f32_e32 v185, v181, v222
	v_fmac_f32_e32 v185, v182, v221
	v_add_f32_e32 v35, v35, v185
	ds_read_b128 v[185:188], v114 offset:768
	s_waitcnt vmcnt(32)
	v_mul_f32_e32 v189, v183, v225
	v_fmac_f32_e32 v189, v184, v224
	v_add_f32_e32 v35, v35, v189
	ds_read_b128 v[189:192], v114 offset:784
	s_waitcnt vmcnt(30) lgkmcnt(1)
	v_mul_f32_e32 v193, v185, v227
	v_fmac_f32_e32 v193, v186, v226
	v_add_f32_e32 v35, v35, v193
	s_waitcnt vmcnt(29)
	v_mul_f32_e32 v193, v187, v228
	s_waitcnt vmcnt(26)
	v_fmac_f32_e32 v193, v188, v231
	v_add_f32_e32 v35, v35, v193
	s_waitcnt lgkmcnt(0)
	;; [unrolled: 19-line block ×5, first 2 shown]
	v_mul_f32_e32 v114, v213, v254
	v_fmac_f32_e32 v114, v214, v253
	v_add_f32_e32 v35, v35, v114
	s_waitcnt vmcnt(0)
	v_mul_f32_e32 v114, v215, v38
	v_fmac_f32_e32 v114, v216, v37
	v_add_f32_e32 v35, v35, v114
	v_mul_f32_e32 v114, v130, v123
	v_fma_f32 v3, v129, v3, -v114
	v_mul_f32_e32 v114, v132, v122
	v_add_f32_e32 v3, 0, v3
	v_fma_f32 v2, v131, v2, -v114
	v_add_f32_e32 v2, v3, v2
	v_mul_f32_e32 v3, v134, v121
	v_fma_f32 v1, v133, v1, -v3
	v_add_f32_e32 v1, v2, v1
	v_mul_f32_e32 v2, v136, v120
	;; [unrolled: 3-line block ×42, first 2 shown]
	v_fma_f32 v2, v215, v37, -v2
	v_add_f32_e32 v1, v1, v2
	v_sub_f32_e32 v1, v115, v1
	v_sub_f32_e32 v2, v116, v35
	buffer_store_dword v1, off, s[0:3], 0 offset:88
	buffer_store_dword v2, off, s[0:3], 0 offset:92
	s_and_saveexec_b64 s[4:5], vcc
	s_cbranch_execz .LBB55_329
; %bb.328:
	buffer_load_dword v1, off, s[0:3], 0 offset:80
	buffer_load_dword v2, off, s[0:3], 0 offset:84
	v_mov_b32_e32 v3, 0
	buffer_store_dword v3, off, s[0:3], 0 offset:80
	buffer_store_dword v3, off, s[0:3], 0 offset:84
	s_waitcnt vmcnt(2)
	ds_write_b64 v113, v[1:2]
.LBB55_329:
	s_or_b64 exec, exec, s[4:5]
	s_waitcnt lgkmcnt(0)
	; wave barrier
	buffer_load_dword v3, off, s[0:3], 0 offset:92
	buffer_load_dword v4, off, s[0:3], 0 offset:100
	;; [unrolled: 1-line block ×32, first 2 shown]
	v_mov_b32_e32 v114, 0
	buffer_load_dword v33, off, s[0:3], 0 offset:208
	buffer_load_dword v34, off, s[0:3], 0 offset:212
	buffer_load_dword v35, off, s[0:3], 0 offset:216
	buffer_load_dword v36, off, s[0:3], 0 offset:220
	buffer_load_dword v37, off, s[0:3], 0 offset:224
	buffer_load_dword v38, off, s[0:3], 0 offset:228
	buffer_load_dword v205, off, s[0:3], 0 offset:232
	buffer_load_dword v206, off, s[0:3], 0 offset:236
	buffer_load_dword v207, off, s[0:3], 0 offset:240
	buffer_load_dword v208, off, s[0:3], 0 offset:244
	buffer_load_dword v209, off, s[0:3], 0 offset:248
	buffer_load_dword v210, off, s[0:3], 0 offset:252
	buffer_load_dword v211, off, s[0:3], 0 offset:256
	buffer_load_dword v212, off, s[0:3], 0 offset:260
	buffer_load_dword v213, off, s[0:3], 0 offset:264
	buffer_load_dword v214, off, s[0:3], 0 offset:268
	ds_read2_b64 v[117:120], v114 offset0:67 offset1:68
	ds_read2_b64 v[121:124], v114 offset0:69 offset1:70
	ds_read2_b64 v[125:128], v114 offset0:71 offset1:72
	ds_read2_b64 v[129:132], v114 offset0:73 offset1:74
	ds_read2_b64 v[133:136], v114 offset0:75 offset1:76
	ds_read2_b64 v[137:140], v114 offset0:77 offset1:78
	ds_read2_b64 v[141:144], v114 offset0:79 offset1:80
	v_cmp_lt_u32_e32 vcc, 9, v0
	s_waitcnt vmcnt(47) lgkmcnt(6)
	v_mul_f32_e32 v1, v117, v3
	s_waitcnt vmcnt(46)
	v_mul_f32_e32 v2, v119, v4
	s_waitcnt vmcnt(45) lgkmcnt(5)
	v_mul_f32_e32 v145, v121, v5
	s_waitcnt vmcnt(44)
	v_mul_f32_e32 v146, v123, v6
	;; [unrolled: 4-line block ×6, first 2 shown]
	s_waitcnt vmcnt(35)
	v_fmac_f32_e32 v145, v122, v15
	s_waitcnt vmcnt(34)
	v_fmac_f32_e32 v2, v120, v16
	;; [unrolled: 2-line block ×3, first 2 shown]
	v_add_f32_e32 v1, 0, v1
	v_add_f32_e32 v1, v1, v2
	;; [unrolled: 1-line block ×3, first 2 shown]
	s_waitcnt vmcnt(29)
	v_fmac_f32_e32 v146, v124, v21
	v_fmac_f32_e32 v147, v126, v20
	v_add_f32_e32 v1, v1, v146
	v_fmac_f32_e32 v148, v128, v19
	v_add_f32_e32 v1, v1, v147
	v_add_f32_e32 v1, v1, v148
	ds_read2_b64 v[145:148], v114 offset0:81 offset1:82
	buffer_load_dword v215, off, s[0:3], 0 offset:272
	buffer_load_dword v216, off, s[0:3], 0 offset:276
	;; [unrolled: 1-line block ×10, first 2 shown]
	v_fmac_f32_e32 v149, v130, v18
	s_waitcnt vmcnt(35)
	v_fmac_f32_e32 v150, v132, v25
	v_add_f32_e32 v1, v1, v149
	buffer_load_dword v225, off, s[0:3], 0 offset:312
	buffer_load_dword v226, off, s[0:3], 0 offset:316
	;; [unrolled: 1-line block ×6, first 2 shown]
	v_fmac_f32_e32 v151, v134, v24
	v_add_f32_e32 v1, v1, v150
	v_fmac_f32_e32 v152, v136, v23
	v_add_f32_e32 v1, v1, v151
	v_add_f32_e32 v1, v1, v152
	ds_read2_b64 v[149:152], v114 offset0:83 offset1:84
	buffer_load_dword v231, off, s[0:3], 0 offset:336
	buffer_load_dword v232, off, s[0:3], 0 offset:340
	v_fmac_f32_e32 v153, v138, v22
	s_waitcnt vmcnt(39)
	v_fmac_f32_e32 v154, v140, v29
	v_add_f32_e32 v1, v1, v153
	v_add_f32_e32 v1, v1, v154
	ds_read2_b64 v[153:156], v114 offset0:85 offset1:86
	buffer_load_dword v233, off, s[0:3], 0 offset:344
	buffer_load_dword v234, off, s[0:3], 0 offset:348
	;; [unrolled: 1-line block ×16, first 2 shown]
	ds_read2_b64 v[157:160], v114 offset0:87 offset1:88
	buffer_load_dword v249, off, s[0:3], 0 offset:408
	buffer_load_dword v250, off, s[0:3], 0 offset:412
	;; [unrolled: 1-line block ×6, first 2 shown]
	v_mul_f32_e32 v3, v118, v3
	v_fma_f32 v3, v117, v17, -v3
	v_mul_f32_e32 v4, v120, v4
	v_add_f32_e32 v3, 0, v3
	v_fma_f32 v4, v119, v16, -v4
	v_add_f32_e32 v3, v3, v4
	v_mul_f32_e32 v4, v122, v5
	ds_read2_b64 v[161:164], v114 offset0:89 offset1:90
	buffer_load_dword v255, off, s[0:3], 0 offset:436
	buffer_load_dword v39, off, s[0:3], 0 offset:440
	;; [unrolled: 1-line block ×4, first 2 shown]
	v_fma_f32 v4, v121, v15, -v4
	v_add_f32_e32 v3, v3, v4
	v_mul_f32_e32 v4, v124, v6
	v_fma_f32 v4, v123, v21, -v4
	v_add_f32_e32 v3, v3, v4
	v_mul_f32_e32 v4, v126, v7
	v_fma_f32 v4, v125, v20, -v4
	v_add_f32_e32 v3, v3, v4
	v_mul_f32_e32 v4, v128, v8
	v_fma_f32 v4, v127, v19, -v4
	v_add_f32_e32 v3, v3, v4
	v_mul_f32_e32 v4, v130, v9
	v_fma_f32 v4, v129, v18, -v4
	v_add_f32_e32 v3, v3, v4
	v_mul_f32_e32 v4, v132, v10
	v_fma_f32 v4, v131, v25, -v4
	v_add_f32_e32 v3, v3, v4
	v_mul_f32_e32 v4, v134, v11
	v_fma_f32 v4, v133, v24, -v4
	v_add_f32_e32 v3, v3, v4
	v_mul_f32_e32 v4, v136, v12
	v_fma_f32 v4, v135, v23, -v4
	v_add_f32_e32 v3, v3, v4
	v_mul_f32_e32 v4, v138, v13
	s_waitcnt vmcnt(62) lgkmcnt(5)
	v_mul_f32_e32 v2, v141, v30
	v_fma_f32 v4, v137, v22, -v4
	v_fmac_f32_e32 v2, v142, v28
	v_add_f32_e32 v3, v3, v4
	v_mul_f32_e32 v4, v140, v14
	v_add_f32_e32 v1, v1, v2
	v_mul_f32_e32 v2, v143, v31
	v_fma_f32 v4, v139, v29, -v4
	v_fmac_f32_e32 v2, v144, v27
	v_add_f32_e32 v3, v3, v4
	v_mul_f32_e32 v4, v142, v30
	v_add_f32_e32 v1, v1, v2
	s_waitcnt lgkmcnt(4)
	v_mul_f32_e32 v2, v145, v32
	v_fma_f32 v4, v141, v28, -v4
	v_fmac_f32_e32 v2, v146, v26
	v_add_f32_e32 v3, v3, v4
	v_mul_f32_e32 v4, v144, v31
	v_add_f32_e32 v1, v1, v2
	s_waitcnt vmcnt(58)
	v_mul_f32_e32 v2, v147, v34
	v_fma_f32 v4, v143, v27, -v4
	v_fmac_f32_e32 v2, v148, v33
	v_add_f32_e32 v3, v3, v4
	v_mul_f32_e32 v4, v146, v32
	v_add_f32_e32 v1, v1, v2
	s_waitcnt vmcnt(56) lgkmcnt(3)
	v_mul_f32_e32 v2, v149, v36
	v_fma_f32 v4, v145, v26, -v4
	v_fmac_f32_e32 v2, v150, v35
	v_add_f32_e32 v3, v3, v4
	v_mul_f32_e32 v4, v148, v34
	v_add_f32_e32 v1, v1, v2
	s_waitcnt vmcnt(54)
	v_mul_f32_e32 v2, v151, v38
	v_fma_f32 v4, v147, v33, -v4
	v_fmac_f32_e32 v2, v152, v37
	v_add_f32_e32 v3, v3, v4
	v_mul_f32_e32 v4, v150, v36
	v_add_f32_e32 v1, v1, v2
	s_waitcnt vmcnt(52) lgkmcnt(2)
	v_mul_f32_e32 v2, v153, v206
	v_fma_f32 v4, v149, v35, -v4
	v_fmac_f32_e32 v2, v154, v205
	v_add_f32_e32 v3, v3, v4
	v_mul_f32_e32 v4, v152, v38
	v_add_f32_e32 v1, v1, v2
	s_waitcnt vmcnt(50)
	v_mul_f32_e32 v2, v155, v208
	v_fma_f32 v4, v151, v37, -v4
	v_fmac_f32_e32 v2, v156, v207
	v_add_f32_e32 v3, v3, v4
	v_mul_f32_e32 v4, v154, v206
	v_add_f32_e32 v1, v1, v2
	s_waitcnt vmcnt(48) lgkmcnt(1)
	v_mul_f32_e32 v2, v157, v210
	v_fma_f32 v4, v153, v205, -v4
	v_fmac_f32_e32 v2, v158, v209
	v_add_f32_e32 v3, v3, v4
	v_mul_f32_e32 v4, v156, v208
	v_add_f32_e32 v1, v1, v2
	s_waitcnt vmcnt(46)
	v_mul_f32_e32 v2, v159, v212
	v_fma_f32 v4, v155, v207, -v4
	v_fmac_f32_e32 v2, v160, v211
	ds_read2_b64 v[165:168], v114 offset0:91 offset1:92
	ds_read2_b64 v[169:172], v114 offset0:93 offset1:94
	v_add_f32_e32 v3, v3, v4
	v_mul_f32_e32 v4, v158, v210
	v_add_f32_e32 v1, v1, v2
	s_waitcnt vmcnt(44) lgkmcnt(2)
	v_mul_f32_e32 v2, v161, v214
	v_fma_f32 v4, v157, v209, -v4
	v_fmac_f32_e32 v2, v162, v213
	v_add_f32_e32 v3, v3, v4
	v_mul_f32_e32 v4, v160, v212
	v_add_f32_e32 v1, v1, v2
	s_waitcnt vmcnt(42)
	v_mul_f32_e32 v2, v163, v216
	v_fma_f32 v4, v159, v211, -v4
	v_fmac_f32_e32 v2, v164, v215
	v_add_f32_e32 v3, v3, v4
	v_mul_f32_e32 v4, v162, v214
	v_add_f32_e32 v1, v1, v2
	s_waitcnt vmcnt(40) lgkmcnt(1)
	v_mul_f32_e32 v2, v165, v218
	v_fma_f32 v4, v161, v213, -v4
	v_fmac_f32_e32 v2, v166, v217
	v_add_f32_e32 v3, v3, v4
	v_mul_f32_e32 v4, v164, v216
	v_add_f32_e32 v1, v1, v2
	s_waitcnt vmcnt(39)
	v_mul_f32_e32 v2, v167, v219
	v_fma_f32 v4, v163, v215, -v4
	s_waitcnt vmcnt(36)
	v_fmac_f32_e32 v2, v168, v222
	ds_read2_b64 v[173:176], v114 offset0:95 offset1:96
	ds_read2_b64 v[177:180], v114 offset0:97 offset1:98
	v_add_f32_e32 v3, v3, v4
	v_mul_f32_e32 v4, v166, v218
	v_add_f32_e32 v1, v1, v2
	s_waitcnt lgkmcnt(2)
	v_mul_f32_e32 v2, v169, v221
	v_fma_f32 v4, v165, v217, -v4
	v_fmac_f32_e32 v2, v170, v220
	v_add_f32_e32 v3, v3, v4
	v_mul_f32_e32 v4, v168, v219
	v_add_f32_e32 v1, v1, v2
	s_waitcnt vmcnt(34)
	v_mul_f32_e32 v2, v171, v224
	v_fma_f32 v4, v167, v222, -v4
	v_fmac_f32_e32 v2, v172, v223
	v_add_f32_e32 v3, v3, v4
	v_mul_f32_e32 v4, v170, v221
	v_add_f32_e32 v1, v1, v2
	s_waitcnt vmcnt(32) lgkmcnt(1)
	v_mul_f32_e32 v2, v173, v226
	v_fma_f32 v4, v169, v220, -v4
	v_fmac_f32_e32 v2, v174, v225
	v_add_f32_e32 v3, v3, v4
	v_mul_f32_e32 v4, v172, v224
	v_add_f32_e32 v1, v1, v2
	s_waitcnt vmcnt(31)
	v_mul_f32_e32 v2, v175, v227
	v_fma_f32 v4, v171, v223, -v4
	s_waitcnt vmcnt(28)
	v_fmac_f32_e32 v2, v176, v230
	ds_read2_b64 v[181:184], v114 offset0:99 offset1:100
	ds_read2_b64 v[185:188], v114 offset0:101 offset1:102
	v_add_f32_e32 v3, v3, v4
	v_mul_f32_e32 v4, v174, v226
	v_add_f32_e32 v1, v1, v2
	s_waitcnt lgkmcnt(2)
	;; [unrolled: 31-line block ×4, first 2 shown]
	v_mul_f32_e32 v2, v193, v245
	v_fma_f32 v4, v189, v241, -v4
	v_fmac_f32_e32 v2, v194, v244
	v_add_f32_e32 v3, v3, v4
	v_mul_f32_e32 v4, v192, v243
	v_add_f32_e32 v1, v1, v2
	s_waitcnt vmcnt(10)
	v_mul_f32_e32 v2, v195, v248
	v_fma_f32 v4, v191, v246, -v4
	v_fmac_f32_e32 v2, v196, v247
	v_add_f32_e32 v3, v3, v4
	v_mul_f32_e32 v4, v194, v245
	v_add_f32_e32 v1, v1, v2
	s_waitcnt vmcnt(8) lgkmcnt(1)
	v_mul_f32_e32 v2, v197, v250
	v_fma_f32 v4, v193, v244, -v4
	v_fmac_f32_e32 v2, v198, v249
	v_add_f32_e32 v3, v3, v4
	v_mul_f32_e32 v4, v196, v248
	v_add_f32_e32 v1, v1, v2
	s_waitcnt vmcnt(7)
	v_mul_f32_e32 v2, v199, v251
	v_fma_f32 v4, v195, v247, -v4
	s_waitcnt vmcnt(4)
	v_fmac_f32_e32 v2, v200, v254
	v_add_f32_e32 v3, v3, v4
	v_mul_f32_e32 v4, v198, v250
	v_add_f32_e32 v42, v1, v2
	ds_read_b64 v[1:2], v114 offset:888
	v_fma_f32 v4, v197, v249, -v4
	s_waitcnt lgkmcnt(1)
	v_mul_f32_e32 v43, v201, v253
	v_add_f32_e32 v3, v3, v4
	v_mul_f32_e32 v4, v200, v251
	v_fmac_f32_e32 v43, v202, v252
	v_fma_f32 v4, v199, v254, -v4
	v_add_f32_e32 v42, v42, v43
	s_waitcnt vmcnt(3)
	v_mul_f32_e32 v43, v203, v255
	v_add_f32_e32 v3, v3, v4
	v_mul_f32_e32 v4, v202, v253
	s_waitcnt vmcnt(0)
	v_fmac_f32_e32 v43, v204, v41
	v_fma_f32 v4, v201, v252, -v4
	v_add_f32_e32 v42, v42, v43
	s_waitcnt lgkmcnt(0)
	v_mul_f32_e32 v43, v1, v40
	v_add_f32_e32 v3, v3, v4
	v_mul_f32_e32 v4, v204, v255
	v_fmac_f32_e32 v43, v2, v39
	v_fma_f32 v4, v203, v41, -v4
	v_mul_f32_e32 v2, v2, v40
	v_add_f32_e32 v3, v3, v4
	v_fma_f32 v1, v1, v39, -v2
	v_add_f32_e32 v1, v3, v1
	v_add_f32_e32 v42, v42, v43
	v_sub_f32_e32 v1, v115, v1
	v_sub_f32_e32 v2, v116, v42
	buffer_store_dword v1, off, s[0:3], 0 offset:80
	buffer_store_dword v2, off, s[0:3], 0 offset:84
	s_and_saveexec_b64 s[4:5], vcc
	s_cbranch_execz .LBB55_331
; %bb.330:
	buffer_load_dword v1, off, s[0:3], 0 offset:72
	buffer_load_dword v2, off, s[0:3], 0 offset:76
	s_waitcnt vmcnt(0)
	ds_write_b64 v113, v[1:2]
	buffer_store_dword v114, off, s[0:3], 0 offset:72
	buffer_store_dword v114, off, s[0:3], 0 offset:76
.LBB55_331:
	s_or_b64 exec, exec, s[4:5]
	s_waitcnt lgkmcnt(0)
	; wave barrier
	buffer_load_dword v123, off, s[0:3], 0 offset:84
	buffer_load_dword v122, off, s[0:3], 0 offset:92
	;; [unrolled: 1-line block ×33, first 2 shown]
	ds_read_b128 v[124:127], v114 offset:528
	ds_read_b128 v[128:131], v114 offset:544
	;; [unrolled: 1-line block ×6, first 2 shown]
	buffer_load_dword v25, off, s[0:3], 0 offset:200
	buffer_load_dword v26, off, s[0:3], 0 offset:212
	;; [unrolled: 1-line block ×7, first 2 shown]
	ds_read_b128 v[148:151], v114 offset:624
	ds_read_b128 v[152:155], v114 offset:640
	buffer_load_dword v32, off, s[0:3], 0 offset:232
	buffer_load_dword v33, off, s[0:3], 0 offset:236
	;; [unrolled: 1-line block ×8, first 2 shown]
	v_cmp_lt_u32_e32 vcc, 8, v0
	s_waitcnt vmcnt(47) lgkmcnt(7)
	v_mul_f32_e32 v40, v124, v123
	s_waitcnt vmcnt(46)
	v_mul_f32_e32 v41, v126, v122
	s_waitcnt vmcnt(45) lgkmcnt(6)
	v_mul_f32_e32 v42, v128, v121
	s_waitcnt vmcnt(44)
	v_mul_f32_e32 v43, v130, v120
	;; [unrolled: 4-line block ×6, first 2 shown]
	s_waitcnt vmcnt(35)
	v_fmac_f32_e32 v42, v129, v6
	s_waitcnt vmcnt(34)
	v_fmac_f32_e32 v41, v127, v7
	;; [unrolled: 2-line block ×3, first 2 shown]
	v_add_f32_e32 v40, 0, v40
	v_add_f32_e32 v40, v40, v41
	;; [unrolled: 1-line block ×3, first 2 shown]
	s_waitcnt vmcnt(29)
	v_fmac_f32_e32 v43, v131, v12
	v_fmac_f32_e32 v44, v133, v11
	v_add_f32_e32 v40, v40, v43
	v_fmac_f32_e32 v156, v135, v10
	v_add_f32_e32 v40, v40, v44
	;; [unrolled: 2-line block ×3, first 2 shown]
	s_waitcnt vmcnt(25)
	v_fmac_f32_e32 v158, v139, v16
	v_add_f32_e32 v40, v40, v157
	v_fmac_f32_e32 v159, v141, v15
	v_add_f32_e32 v40, v40, v158
	;; [unrolled: 2-line block ×4, first 2 shown]
	s_waitcnt vmcnt(21)
	v_fmac_f32_e32 v162, v147, v20
	v_add_f32_e32 v40, v40, v161
	s_waitcnt vmcnt(20) lgkmcnt(1)
	v_mul_f32_e32 v41, v148, v21
	v_add_f32_e32 v40, v40, v162
	v_fmac_f32_e32 v41, v149, v19
	v_add_f32_e32 v40, v40, v41
	buffer_load_dword v41, off, s[0:3], 0 offset:264
	buffer_load_dword v42, off, s[0:3], 0 offset:268
	;; [unrolled: 1-line block ×8, first 2 shown]
	s_waitcnt vmcnt(27)
	v_mul_f32_e32 v43, v150, v22
	v_fmac_f32_e32 v43, v151, v18
	v_add_f32_e32 v40, v40, v43
	s_waitcnt vmcnt(26) lgkmcnt(0)
	v_mul_f32_e32 v43, v152, v23
	v_fmac_f32_e32 v43, v153, v17
	v_add_f32_e32 v40, v40, v43
	buffer_load_dword v43, off, s[0:3], 0 offset:296
	buffer_load_dword v221, off, s[0:3], 0 offset:300
	ds_read_b128 v[156:159], v114 offset:656
	buffer_load_dword v222, off, s[0:3], 0 offset:304
	buffer_load_dword v223, off, s[0:3], 0 offset:308
	;; [unrolled: 1-line block ×6, first 2 shown]
	s_waitcnt vmcnt(33)
	v_mul_f32_e32 v160, v154, v24
	s_waitcnt vmcnt(30)
	v_fmac_f32_e32 v160, v155, v25
	v_add_f32_e32 v40, v40, v160
	ds_read_b128 v[160:163], v114 offset:672
	buffer_load_dword v228, off, s[0:3], 0 offset:328
	buffer_load_dword v229, off, s[0:3], 0 offset:332
	;; [unrolled: 1-line block ×10, first 2 shown]
	s_waitcnt vmcnt(39) lgkmcnt(1)
	v_mul_f32_e32 v164, v156, v26
	buffer_load_dword v238, off, s[0:3], 0 offset:368
	buffer_load_dword v239, off, s[0:3], 0 offset:372
	;; [unrolled: 1-line block ×6, first 2 shown]
	s_waitcnt vmcnt(40)
	v_fmac_f32_e32 v164, v157, v31
	v_add_f32_e32 v40, v40, v164
	v_mul_f32_e32 v164, v158, v28
	v_fmac_f32_e32 v164, v159, v27
	v_add_f32_e32 v40, v40, v164
	s_waitcnt lgkmcnt(0)
	v_mul_f32_e32 v164, v160, v30
	v_fmac_f32_e32 v164, v161, v29
	v_add_f32_e32 v40, v40, v164
	ds_read_b128 v[164:167], v114 offset:688
	buffer_load_dword v244, off, s[0:3], 0 offset:392
	buffer_load_dword v245, off, s[0:3], 0 offset:396
	s_waitcnt vmcnt(40)
	v_mul_f32_e32 v168, v162, v33
	v_fmac_f32_e32 v168, v163, v32
	v_add_f32_e32 v40, v40, v168
	ds_read_b128 v[168:171], v114 offset:704
	buffer_load_dword v246, off, s[0:3], 0 offset:400
	buffer_load_dword v247, off, s[0:3], 0 offset:404
	;; [unrolled: 1-line block ×12, first 2 shown]
	s_waitcnt vmcnt(50) lgkmcnt(1)
	v_mul_f32_e32 v172, v164, v35
	v_fmac_f32_e32 v172, v165, v34
	v_add_f32_e32 v40, v40, v172
	s_waitcnt vmcnt(48)
	v_mul_f32_e32 v172, v166, v37
	v_fmac_f32_e32 v172, v167, v36
	v_add_f32_e32 v40, v40, v172
	s_waitcnt vmcnt(46) lgkmcnt(0)
	v_mul_f32_e32 v172, v168, v39
	v_fmac_f32_e32 v172, v169, v38
	v_add_f32_e32 v40, v40, v172
	ds_read_b128 v[172:175], v114 offset:720
	v_mul_f32_e32 v1, v139, v1
	v_fma_f32 v1, v138, v16, -v1
	v_mul_f32_e32 v2, v141, v2
	v_fma_f32 v2, v140, v15, -v2
	s_waitcnt vmcnt(44)
	v_mul_f32_e32 v176, v170, v42
	v_fmac_f32_e32 v176, v171, v41
	v_add_f32_e32 v40, v40, v176
	ds_read_b128 v[176:179], v114 offset:736
	s_waitcnt vmcnt(42) lgkmcnt(1)
	v_mul_f32_e32 v180, v172, v216
	v_fmac_f32_e32 v180, v173, v44
	v_add_f32_e32 v40, v40, v180
	s_waitcnt vmcnt(41)
	v_mul_f32_e32 v180, v174, v217
	s_waitcnt vmcnt(38)
	v_fmac_f32_e32 v180, v175, v220
	v_add_f32_e32 v40, v40, v180
	s_waitcnt lgkmcnt(0)
	v_mul_f32_e32 v180, v176, v219
	v_fmac_f32_e32 v180, v177, v218
	v_add_f32_e32 v40, v40, v180
	ds_read_b128 v[180:183], v114 offset:752
	s_waitcnt vmcnt(36)
	v_mul_f32_e32 v184, v178, v221
	v_fmac_f32_e32 v184, v179, v43
	v_add_f32_e32 v40, v40, v184
	ds_read_b128 v[184:187], v114 offset:768
	s_waitcnt vmcnt(34) lgkmcnt(1)
	v_mul_f32_e32 v188, v180, v223
	v_fmac_f32_e32 v188, v181, v222
	v_add_f32_e32 v40, v40, v188
	s_waitcnt vmcnt(33)
	v_mul_f32_e32 v188, v182, v224
	s_waitcnt vmcnt(30)
	v_fmac_f32_e32 v188, v183, v227
	v_add_f32_e32 v40, v40, v188
	s_waitcnt lgkmcnt(0)
	v_mul_f32_e32 v188, v184, v226
	v_fmac_f32_e32 v188, v185, v225
	v_add_f32_e32 v40, v40, v188
	ds_read_b128 v[188:191], v114 offset:784
	;; [unrolled: 19-line block ×4, first 2 shown]
	s_waitcnt vmcnt(12)
	v_mul_f32_e32 v208, v202, v245
	v_fmac_f32_e32 v208, v203, v244
	v_add_f32_e32 v40, v40, v208
	ds_read_b128 v[208:211], v114 offset:864
	s_waitcnt vmcnt(10) lgkmcnt(1)
	v_mul_f32_e32 v212, v204, v247
	v_fmac_f32_e32 v212, v205, v246
	v_add_f32_e32 v40, v40, v212
	s_waitcnt vmcnt(9)
	v_mul_f32_e32 v212, v206, v248
	s_waitcnt vmcnt(6)
	v_fmac_f32_e32 v212, v207, v251
	v_add_f32_e32 v40, v40, v212
	ds_read_b128 v[212:215], v114 offset:880
	s_waitcnt lgkmcnt(1)
	v_mul_f32_e32 v47, v208, v250
	v_fmac_f32_e32 v47, v209, v249
	v_add_f32_e32 v40, v40, v47
	s_waitcnt vmcnt(4)
	v_mul_f32_e32 v47, v210, v253
	v_fmac_f32_e32 v47, v211, v252
	v_add_f32_e32 v40, v40, v47
	s_waitcnt vmcnt(3) lgkmcnt(0)
	v_mul_f32_e32 v47, v212, v254
	s_waitcnt vmcnt(0)
	v_fmac_f32_e32 v47, v213, v46
	v_add_f32_e32 v40, v40, v47
	v_mul_f32_e32 v47, v214, v45
	v_fmac_f32_e32 v47, v215, v255
	v_add_f32_e32 v40, v40, v47
	v_mul_f32_e32 v47, v125, v123
	v_fma_f32 v8, v124, v8, -v47
	v_mul_f32_e32 v47, v127, v122
	v_add_f32_e32 v8, 0, v8
	v_fma_f32 v7, v126, v7, -v47
	v_add_f32_e32 v7, v8, v7
	v_mul_f32_e32 v8, v129, v121
	v_fma_f32 v6, v128, v6, -v8
	v_add_f32_e32 v6, v7, v6
	v_mul_f32_e32 v7, v131, v120
	v_fma_f32 v7, v130, v12, -v7
	v_add_f32_e32 v6, v6, v7
	v_mul_f32_e32 v7, v133, v119
	v_fma_f32 v7, v132, v11, -v7
	v_add_f32_e32 v6, v6, v7
	v_mul_f32_e32 v7, v135, v118
	v_fma_f32 v7, v134, v10, -v7
	v_add_f32_e32 v6, v6, v7
	v_mul_f32_e32 v7, v137, v117
	v_fma_f32 v7, v136, v9, -v7
	v_add_f32_e32 v6, v6, v7
	v_add_f32_e32 v1, v6, v1
	;; [unrolled: 1-line block ×3, first 2 shown]
	v_mul_f32_e32 v2, v143, v3
	v_fma_f32 v2, v142, v14, -v2
	v_add_f32_e32 v1, v1, v2
	v_mul_f32_e32 v2, v145, v4
	v_fma_f32 v2, v144, v13, -v2
	v_add_f32_e32 v1, v1, v2
	;; [unrolled: 3-line block ×37, first 2 shown]
	v_sub_f32_e32 v1, v115, v1
	v_sub_f32_e32 v2, v116, v40
	buffer_store_dword v1, off, s[0:3], 0 offset:72
	buffer_store_dword v2, off, s[0:3], 0 offset:76
	s_and_saveexec_b64 s[4:5], vcc
	s_cbranch_execz .LBB55_333
; %bb.332:
	buffer_load_dword v1, off, s[0:3], 0 offset:64
	buffer_load_dword v2, off, s[0:3], 0 offset:68
	v_mov_b32_e32 v3, 0
	buffer_store_dword v3, off, s[0:3], 0 offset:64
	buffer_store_dword v3, off, s[0:3], 0 offset:68
	s_waitcnt vmcnt(2)
	ds_write_b64 v113, v[1:2]
.LBB55_333:
	s_or_b64 exec, exec, s[4:5]
	s_waitcnt lgkmcnt(0)
	; wave barrier
	buffer_load_dword v121, off, s[0:3], 0 offset:76
	buffer_load_dword v120, off, s[0:3], 0 offset:84
	buffer_load_dword v119, off, s[0:3], 0 offset:92
	buffer_load_dword v118, off, s[0:3], 0 offset:100
	buffer_load_dword v117, off, s[0:3], 0 offset:108
	buffer_load_dword v116, off, s[0:3], 0 offset:116
	buffer_load_dword v115, off, s[0:3], 0 offset:124
	buffer_load_dword v3, off, s[0:3], 0 offset:132
	buffer_load_dword v4, off, s[0:3], 0 offset:140
	buffer_load_dword v5, off, s[0:3], 0 offset:148
	buffer_load_dword v6, off, s[0:3], 0 offset:156
	buffer_load_dword v7, off, s[0:3], 0 offset:164
	buffer_load_dword v8, off, s[0:3], 0 offset:88
	buffer_load_dword v9, off, s[0:3], 0 offset:80
	buffer_load_dword v10, off, s[0:3], 0 offset:72
	buffer_load_dword v11, off, s[0:3], 0 offset:120
	buffer_load_dword v12, off, s[0:3], 0 offset:112
	buffer_load_dword v13, off, s[0:3], 0 offset:104
	buffer_load_dword v14, off, s[0:3], 0 offset:96
	buffer_load_dword v15, off, s[0:3], 0 offset:152
	buffer_load_dword v16, off, s[0:3], 0 offset:144
	buffer_load_dword v17, off, s[0:3], 0 offset:136
	buffer_load_dword v18, off, s[0:3], 0 offset:128
	buffer_load_dword v19, off, s[0:3], 0 offset:184
	buffer_load_dword v20, off, s[0:3], 0 offset:176
	buffer_load_dword v21, off, s[0:3], 0 offset:168
	buffer_load_dword v22, off, s[0:3], 0 offset:160
	buffer_load_dword v23, off, s[0:3], 0 offset:172
	buffer_load_dword v24, off, s[0:3], 0 offset:180
	buffer_load_dword v25, off, s[0:3], 0 offset:188
	buffer_load_dword v26, off, s[0:3], 0 offset:196
	buffer_load_dword v27, off, s[0:3], 0 offset:200
	buffer_load_dword v28, off, s[0:3], 0 offset:204
	buffer_load_dword v29, off, s[0:3], 0 offset:208
	buffer_load_dword v30, off, s[0:3], 0 offset:212
	buffer_load_dword v31, off, s[0:3], 0 offset:216
	buffer_load_dword v32, off, s[0:3], 0 offset:220
	buffer_load_dword v33, off, s[0:3], 0 offset:192
	buffer_load_dword v122, off, s[0:3], 0 offset:64
	buffer_load_dword v123, off, s[0:3], 0 offset:68
	v_mov_b32_e32 v114, 0
	buffer_load_dword v34, off, s[0:3], 0 offset:224
	buffer_load_dword v35, off, s[0:3], 0 offset:228
	;; [unrolled: 1-line block ×8, first 2 shown]
	ds_read2_b64 v[124:127], v114 offset0:65 offset1:66
	ds_read2_b64 v[128:131], v114 offset0:67 offset1:68
	;; [unrolled: 1-line block ×7, first 2 shown]
	v_cmp_lt_u32_e32 vcc, 7, v0
	s_waitcnt vmcnt(47) lgkmcnt(6)
	v_mul_f32_e32 v1, v124, v121
	s_waitcnt vmcnt(46)
	v_mul_f32_e32 v2, v126, v120
	s_waitcnt vmcnt(45) lgkmcnt(5)
	v_mul_f32_e32 v42, v128, v119
	s_waitcnt vmcnt(44)
	v_mul_f32_e32 v43, v130, v118
	;; [unrolled: 4-line block ×6, first 2 shown]
	s_waitcnt vmcnt(35)
	v_fmac_f32_e32 v42, v129, v8
	s_waitcnt vmcnt(34)
	v_fmac_f32_e32 v2, v127, v9
	;; [unrolled: 2-line block ×3, first 2 shown]
	v_add_f32_e32 v1, 0, v1
	v_add_f32_e32 v1, v1, v2
	;; [unrolled: 1-line block ×3, first 2 shown]
	s_waitcnt vmcnt(29)
	v_fmac_f32_e32 v43, v131, v14
	v_fmac_f32_e32 v44, v133, v13
	v_add_f32_e32 v1, v1, v43
	v_fmac_f32_e32 v45, v135, v12
	v_add_f32_e32 v1, v1, v44
	;; [unrolled: 2-line block ×3, first 2 shown]
	s_waitcnt vmcnt(25)
	v_fmac_f32_e32 v47, v139, v18
	v_add_f32_e32 v1, v1, v46
	v_fmac_f32_e32 v48, v141, v17
	v_add_f32_e32 v1, v1, v47
	;; [unrolled: 2-line block ×4, first 2 shown]
	s_waitcnt vmcnt(21)
	v_fmac_f32_e32 v154, v147, v22
	v_add_f32_e32 v1, v1, v153
	v_add_f32_e32 v1, v1, v154
	ds_read2_b64 v[152:155], v114 offset0:79 offset1:80
	buffer_load_dword v42, off, s[0:3], 0 offset:256
	buffer_load_dword v43, off, s[0:3], 0 offset:260
	;; [unrolled: 1-line block ×10, first 2 shown]
	ds_read2_b64 v[156:159], v114 offset0:81 offset1:82
	buffer_load_dword v219, off, s[0:3], 0 offset:296
	buffer_load_dword v220, off, s[0:3], 0 offset:300
	;; [unrolled: 1-line block ×6, first 2 shown]
	ds_read2_b64 v[160:163], v114 offset0:83 offset1:84
	buffer_load_dword v225, off, s[0:3], 0 offset:320
	buffer_load_dword v226, off, s[0:3], 0 offset:324
	;; [unrolled: 1-line block ×10, first 2 shown]
	ds_read2_b64 v[164:167], v114 offset0:85 offset1:86
	buffer_load_dword v235, off, s[0:3], 0 offset:360
	buffer_load_dword v236, off, s[0:3], 0 offset:364
	buffer_load_dword v237, off, s[0:3], 0 offset:372
	buffer_load_dword v238, off, s[0:3], 0 offset:376
	buffer_load_dword v239, off, s[0:3], 0 offset:380
	buffer_load_dword v240, off, s[0:3], 0 offset:368
	ds_read2_b64 v[168:171], v114 offset0:87 offset1:88
	buffer_load_dword v241, off, s[0:3], 0 offset:384
	buffer_load_dword v242, off, s[0:3], 0 offset:388
	;; [unrolled: 1-line block ×16, first 2 shown]
	s_waitcnt vmcnt(62) lgkmcnt(5)
	v_mul_f32_e32 v2, v148, v23
	v_fmac_f32_e32 v2, v149, v21
	v_add_f32_e32 v1, v1, v2
	v_mul_f32_e32 v2, v150, v24
	v_fmac_f32_e32 v2, v151, v20
	v_add_f32_e32 v1, v1, v2
	s_waitcnt lgkmcnt(4)
	v_mul_f32_e32 v2, v152, v25
	v_fmac_f32_e32 v2, v153, v19
	v_add_f32_e32 v1, v1, v2
	v_mul_f32_e32 v2, v154, v26
	s_waitcnt vmcnt(58)
	v_fmac_f32_e32 v2, v155, v33
	v_add_f32_e32 v1, v1, v2
	s_waitcnt lgkmcnt(3)
	v_mul_f32_e32 v2, v156, v28
	v_fmac_f32_e32 v2, v157, v27
	v_add_f32_e32 v1, v1, v2
	v_mul_f32_e32 v2, v158, v30
	v_fmac_f32_e32 v2, v159, v29
	v_add_f32_e32 v1, v1, v2
	s_waitcnt lgkmcnt(2)
	v_mul_f32_e32 v2, v160, v32
	v_fmac_f32_e32 v2, v161, v31
	v_add_f32_e32 v1, v1, v2
	s_waitcnt vmcnt(54)
	v_mul_f32_e32 v2, v162, v35
	v_fmac_f32_e32 v2, v163, v34
	v_add_f32_e32 v1, v1, v2
	s_waitcnt vmcnt(52) lgkmcnt(1)
	v_mul_f32_e32 v2, v164, v37
	v_fmac_f32_e32 v2, v165, v36
	v_add_f32_e32 v1, v1, v2
	s_waitcnt vmcnt(50)
	v_mul_f32_e32 v2, v166, v39
	v_fmac_f32_e32 v2, v167, v38
	ds_read2_b64 v[172:175], v114 offset0:89 offset1:90
	ds_read2_b64 v[176:179], v114 offset0:91 offset1:92
	v_add_f32_e32 v1, v1, v2
	s_waitcnt vmcnt(48) lgkmcnt(2)
	v_mul_f32_e32 v2, v168, v41
	v_fmac_f32_e32 v2, v169, v40
	v_add_f32_e32 v1, v1, v2
	ds_read2_b64 v[180:183], v114 offset0:93 offset1:94
	ds_read2_b64 v[184:187], v114 offset0:95 offset1:96
	;; [unrolled: 1-line block ×9, first 2 shown]
	v_mul_f32_e32 v3, v139, v3
	v_fma_f32 v3, v138, v18, -v3
	v_mul_f32_e32 v4, v141, v4
	v_fma_f32 v4, v140, v17, -v4
	s_waitcnt vmcnt(46)
	v_mul_f32_e32 v2, v170, v43
	v_fmac_f32_e32 v2, v171, v42
	v_add_f32_e32 v1, v1, v2
	s_waitcnt vmcnt(44) lgkmcnt(10)
	v_mul_f32_e32 v2, v172, v45
	v_fmac_f32_e32 v2, v173, v44
	v_add_f32_e32 v1, v1, v2
	s_waitcnt vmcnt(43)
	v_mul_f32_e32 v2, v174, v46
	s_waitcnt vmcnt(40)
	v_fmac_f32_e32 v2, v175, v216
	v_add_f32_e32 v1, v1, v2
	s_waitcnt lgkmcnt(9)
	v_mul_f32_e32 v2, v176, v48
	v_fmac_f32_e32 v2, v177, v47
	v_add_f32_e32 v1, v1, v2
	s_waitcnt vmcnt(38)
	v_mul_f32_e32 v2, v178, v218
	v_fmac_f32_e32 v2, v179, v217
	v_add_f32_e32 v1, v1, v2
	s_waitcnt vmcnt(36) lgkmcnt(8)
	v_mul_f32_e32 v2, v180, v220
	v_fmac_f32_e32 v2, v181, v219
	v_add_f32_e32 v1, v1, v2
	s_waitcnt vmcnt(35)
	v_mul_f32_e32 v2, v182, v221
	s_waitcnt vmcnt(32)
	v_fmac_f32_e32 v2, v183, v224
	v_add_f32_e32 v1, v1, v2
	s_waitcnt lgkmcnt(7)
	v_mul_f32_e32 v2, v184, v223
	v_fmac_f32_e32 v2, v185, v222
	v_add_f32_e32 v1, v1, v2
	;; [unrolled: 17-line block ×5, first 2 shown]
	s_waitcnt vmcnt(6)
	v_mul_f32_e32 v2, v210, v250
	v_fmac_f32_e32 v2, v211, v249
	v_add_f32_e32 v50, v1, v2
	ds_read_b64 v[1:2], v114 offset:888
	s_waitcnt vmcnt(4) lgkmcnt(1)
	v_mul_f32_e32 v51, v212, v252
	v_fmac_f32_e32 v51, v213, v251
	v_add_f32_e32 v50, v50, v51
	s_waitcnt vmcnt(3)
	v_mul_f32_e32 v51, v214, v253
	s_waitcnt vmcnt(0)
	v_fmac_f32_e32 v51, v215, v49
	v_add_f32_e32 v50, v50, v51
	s_waitcnt lgkmcnt(0)
	v_mul_f32_e32 v51, v1, v255
	v_fmac_f32_e32 v51, v2, v254
	v_add_f32_e32 v50, v50, v51
	v_mul_f32_e32 v51, v125, v121
	v_fma_f32 v10, v124, v10, -v51
	v_mul_f32_e32 v51, v127, v120
	v_add_f32_e32 v10, 0, v10
	v_fma_f32 v9, v126, v9, -v51
	v_add_f32_e32 v9, v10, v9
	v_mul_f32_e32 v10, v129, v119
	v_fma_f32 v8, v128, v8, -v10
	v_add_f32_e32 v8, v9, v8
	v_mul_f32_e32 v9, v131, v118
	;; [unrolled: 3-line block ×5, first 2 shown]
	v_fma_f32 v9, v136, v11, -v9
	v_add_f32_e32 v8, v8, v9
	v_add_f32_e32 v3, v8, v3
	v_add_f32_e32 v3, v3, v4
	v_mul_f32_e32 v4, v143, v5
	v_fma_f32 v4, v142, v16, -v4
	v_add_f32_e32 v3, v3, v4
	v_mul_f32_e32 v4, v145, v6
	v_fma_f32 v4, v144, v15, -v4
	v_add_f32_e32 v3, v3, v4
	;; [unrolled: 3-line block ×36, first 2 shown]
	v_mul_f32_e32 v4, v215, v253
	v_fma_f32 v4, v214, v49, -v4
	v_mul_f32_e32 v2, v2, v255
	v_add_f32_e32 v3, v3, v4
	v_fma_f32 v1, v1, v254, -v2
	v_add_f32_e32 v1, v3, v1
	v_sub_f32_e32 v1, v122, v1
	v_sub_f32_e32 v2, v123, v50
	buffer_store_dword v1, off, s[0:3], 0 offset:64
	buffer_store_dword v2, off, s[0:3], 0 offset:68
	s_and_saveexec_b64 s[4:5], vcc
	s_cbranch_execz .LBB55_335
; %bb.334:
	buffer_load_dword v1, off, s[0:3], 0 offset:56
	buffer_load_dword v2, off, s[0:3], 0 offset:60
	s_waitcnt vmcnt(0)
	ds_write_b64 v113, v[1:2]
	buffer_store_dword v114, off, s[0:3], 0 offset:56
	buffer_store_dword v114, off, s[0:3], 0 offset:60
.LBB55_335:
	s_or_b64 exec, exec, s[4:5]
	s_waitcnt lgkmcnt(0)
	; wave barrier
	buffer_load_dword v121, off, s[0:3], 0 offset:68
	buffer_load_dword v120, off, s[0:3], 0 offset:76
	;; [unrolled: 1-line block ×40, first 2 shown]
	ds_read_b128 v[152:155], v114 offset:512
	ds_read_b128 v[156:159], v114 offset:528
	;; [unrolled: 1-line block ×7, first 2 shown]
	buffer_load_dword v4, off, s[0:3], 0 offset:216
	buffer_load_dword v5, off, s[0:3], 0 offset:220
	;; [unrolled: 1-line block ×8, first 2 shown]
	v_cmp_lt_u32_e32 vcc, 6, v0
	s_waitcnt vmcnt(47) lgkmcnt(6)
	v_mul_f32_e32 v12, v152, v121
	s_waitcnt vmcnt(46)
	v_mul_f32_e32 v13, v154, v120
	s_waitcnt vmcnt(45) lgkmcnt(5)
	v_mul_f32_e32 v14, v156, v119
	s_waitcnt vmcnt(44)
	v_mul_f32_e32 v15, v158, v118
	;; [unrolled: 4-line block ×6, first 2 shown]
	s_waitcnt vmcnt(35)
	v_fmac_f32_e32 v14, v157, v134
	s_waitcnt vmcnt(34)
	v_fmac_f32_e32 v13, v155, v137
	s_waitcnt vmcnt(33)
	v_fmac_f32_e32 v12, v153, v140
	v_add_f32_e32 v12, 0, v12
	v_add_f32_e32 v12, v12, v13
	;; [unrolled: 1-line block ×3, first 2 shown]
	buffer_load_dword v13, off, s[0:3], 0 offset:248
	buffer_load_dword v14, off, s[0:3], 0 offset:252
	s_waitcnt vmcnt(31)
	v_fmac_f32_e32 v15, v159, v139
	v_fmac_f32_e32 v16, v161, v136
	v_add_f32_e32 v12, v12, v15
	v_fmac_f32_e32 v17, v163, v133
	v_add_f32_e32 v12, v12, v16
	;; [unrolled: 2-line block ×3, first 2 shown]
	s_waitcnt vmcnt(27)
	v_fmac_f32_e32 v19, v167, v135
	v_add_f32_e32 v12, v12, v18
	v_fmac_f32_e32 v20, v169, v132
	v_add_f32_e32 v12, v12, v19
	;; [unrolled: 2-line block ×4, first 2 shown]
	ds_read_b128 v[180:183], v114 offset:624
	s_waitcnt vmcnt(23)
	v_fmac_f32_e32 v23, v175, v147
	v_add_f32_e32 v12, v12, v22
	s_waitcnt vmcnt(22) lgkmcnt(1)
	v_mul_f32_e32 v15, v176, v146
	v_add_f32_e32 v12, v12, v23
	v_fmac_f32_e32 v15, v177, v143
	v_add_f32_e32 v12, v12, v15
	s_waitcnt vmcnt(21)
	v_mul_f32_e32 v15, v178, v144
	v_fmac_f32_e32 v15, v179, v141
	v_add_f32_e32 v12, v12, v15
	s_waitcnt vmcnt(20) lgkmcnt(0)
	v_mul_f32_e32 v15, v180, v142
	v_fmac_f32_e32 v15, v181, v138
	v_add_f32_e32 v12, v12, v15
	buffer_load_dword v15, off, s[0:3], 0 offset:256
	buffer_load_dword v16, off, s[0:3], 0 offset:260
	;; [unrolled: 1-line block ×6, first 2 shown]
	s_waitcnt vmcnt(25)
	v_mul_f32_e32 v21, v182, v145
	s_waitcnt vmcnt(18)
	v_fmac_f32_e32 v21, v183, v3
	ds_read_b128 v[184:187], v114 offset:640
	v_add_f32_e32 v12, v12, v21
	buffer_load_dword v21, off, s[0:3], 0 offset:280
	buffer_load_dword v22, off, s[0:3], 0 offset:284
	ds_read_b128 v[188:191], v114 offset:656
	buffer_load_dword v24, off, s[0:3], 0 offset:288
	buffer_load_dword v25, off, s[0:3], 0 offset:292
	;; [unrolled: 1-line block ×14, first 2 shown]
	s_waitcnt lgkmcnt(1)
	v_mul_f32_e32 v23, v184, v149
	v_fmac_f32_e32 v23, v185, v148
	v_add_f32_e32 v12, v12, v23
	v_mul_f32_e32 v23, v186, v151
	buffer_load_dword v38, off, s[0:3], 0 offset:344
	buffer_load_dword v39, off, s[0:3], 0 offset:348
	v_fmac_f32_e32 v23, v187, v150
	v_add_f32_e32 v12, v12, v23
	s_waitcnt lgkmcnt(0)
	v_mul_f32_e32 v23, v188, v2
	v_fmac_f32_e32 v23, v189, v1
	v_add_f32_e32 v12, v12, v23
	s_waitcnt vmcnt(32)
	v_mul_f32_e32 v23, v190, v5
	ds_read_b128 v[192:195], v114 offset:672
	v_fmac_f32_e32 v23, v191, v4
	v_add_f32_e32 v12, v12, v23
	buffer_load_dword v23, off, s[0:3], 0 offset:352
	buffer_load_dword v40, off, s[0:3], 0 offset:356
	buffer_load_dword v41, off, s[0:3], 0 offset:364
	buffer_load_dword v42, off, s[0:3], 0 offset:368
	buffer_load_dword v43, off, s[0:3], 0 offset:372
	buffer_load_dword v44, off, s[0:3], 0 offset:360
	ds_read_b128 v[196:199], v114 offset:688
	s_waitcnt vmcnt(36) lgkmcnt(1)
	v_mul_f32_e32 v45, v192, v7
	v_fmac_f32_e32 v45, v193, v6
	v_add_f32_e32 v12, v12, v45
	buffer_load_dword v45, off, s[0:3], 0 offset:376
	buffer_load_dword v46, off, s[0:3], 0 offset:380
	;; [unrolled: 1-line block ×8, first 2 shown]
	s_waitcnt vmcnt(42)
	v_mul_f32_e32 v47, v194, v9
	v_fmac_f32_e32 v47, v195, v8
	v_add_f32_e32 v12, v12, v47
	s_waitcnt vmcnt(40) lgkmcnt(0)
	v_mul_f32_e32 v47, v196, v11
	v_fmac_f32_e32 v47, v197, v10
	v_add_f32_e32 v12, v12, v47
	buffer_load_dword v47, off, s[0:3], 0 offset:408
	buffer_load_dword v249, off, s[0:3], 0 offset:412
	;; [unrolled: 1-line block ×8, first 2 shown]
	ds_read_b128 v[200:203], v114 offset:704
	v_mul_f32_e32 v120, v155, v120
	v_fma_f32 v120, v154, v137, -v120
	v_mul_f32_e32 v119, v157, v119
	v_fma_f32 v119, v156, v134, -v119
	;; [unrolled: 2-line block ×5, first 2 shown]
	v_mul_f32_e32 v115, v165, v115
	s_waitcnt vmcnt(46)
	v_mul_f32_e32 v204, v198, v14
	v_fmac_f32_e32 v204, v199, v13
	v_add_f32_e32 v12, v12, v204
	ds_read_b128 v[204:207], v114 offset:720
	buffer_load_dword v53, off, s[0:3], 0 offset:440
	buffer_load_dword v54, off, s[0:3], 0 offset:444
	v_fma_f32 v115, v164, v131, -v115
	v_mul_f32_e32 v2, v189, v2
	v_fma_f32 v1, v188, v1, -v2
	v_mul_f32_e32 v2, v191, v5
	v_fma_f32 v2, v190, v4, -v2
	s_waitcnt vmcnt(46) lgkmcnt(1)
	v_mul_f32_e32 v208, v200, v16
	v_fmac_f32_e32 v208, v201, v15
	v_add_f32_e32 v12, v12, v208
	s_waitcnt vmcnt(45)
	v_mul_f32_e32 v208, v202, v17
	s_waitcnt vmcnt(42)
	v_fmac_f32_e32 v208, v203, v20
	v_add_f32_e32 v12, v12, v208
	s_waitcnt lgkmcnt(0)
	v_mul_f32_e32 v208, v204, v19
	v_fmac_f32_e32 v208, v205, v18
	v_add_f32_e32 v12, v12, v208
	ds_read_b128 v[208:211], v114 offset:736
	s_waitcnt vmcnt(40)
	v_mul_f32_e32 v212, v206, v22
	v_fmac_f32_e32 v212, v207, v21
	v_add_f32_e32 v12, v12, v212
	ds_read_b128 v[212:215], v114 offset:752
	s_waitcnt vmcnt(38) lgkmcnt(1)
	v_mul_f32_e32 v216, v208, v25
	v_fmac_f32_e32 v216, v209, v24
	v_add_f32_e32 v12, v12, v216
	s_waitcnt vmcnt(37)
	v_mul_f32_e32 v216, v210, v26
	s_waitcnt vmcnt(34)
	v_fmac_f32_e32 v216, v211, v29
	v_add_f32_e32 v12, v12, v216
	s_waitcnt lgkmcnt(0)
	v_mul_f32_e32 v216, v212, v28
	v_fmac_f32_e32 v216, v213, v27
	v_add_f32_e32 v12, v12, v216
	ds_read_b128 v[216:219], v114 offset:768
	s_waitcnt vmcnt(32)
	v_mul_f32_e32 v220, v214, v31
	v_fmac_f32_e32 v220, v215, v30
	v_add_f32_e32 v12, v12, v220
	ds_read_b128 v[220:223], v114 offset:784
	;; [unrolled: 19-line block ×5, first 2 shown]
	s_waitcnt vmcnt(6) lgkmcnt(1)
	v_mul_f32_e32 v114, v240, v251
	v_fmac_f32_e32 v114, v241, v250
	v_add_f32_e32 v12, v12, v114
	s_waitcnt vmcnt(5)
	v_mul_f32_e32 v114, v242, v252
	s_waitcnt vmcnt(2)
	v_fmac_f32_e32 v114, v243, v255
	v_add_f32_e32 v12, v12, v114
	s_waitcnt lgkmcnt(0)
	v_mul_f32_e32 v114, v244, v254
	v_fmac_f32_e32 v114, v245, v253
	v_add_f32_e32 v12, v12, v114
	s_waitcnt vmcnt(0)
	v_mul_f32_e32 v114, v246, v54
	v_fmac_f32_e32 v114, v247, v53
	v_add_f32_e32 v12, v12, v114
	v_mul_f32_e32 v114, v153, v121
	v_fma_f32 v114, v152, v140, -v114
	v_add_f32_e32 v114, 0, v114
	v_add_f32_e32 v114, v114, v120
	v_add_f32_e32 v114, v114, v119
	v_add_f32_e32 v114, v114, v118
	v_add_f32_e32 v114, v114, v117
	v_add_f32_e32 v114, v114, v116
	v_add_f32_e32 v114, v114, v115
	v_mul_f32_e32 v115, v167, v124
	v_fma_f32 v115, v166, v135, -v115
	v_add_f32_e32 v114, v114, v115
	v_mul_f32_e32 v115, v169, v125
	v_fma_f32 v115, v168, v132, -v115
	v_add_f32_e32 v114, v114, v115
	v_mul_f32_e32 v115, v171, v126
	v_fma_f32 v115, v170, v130, -v115
	v_add_f32_e32 v114, v114, v115
	v_mul_f32_e32 v115, v173, v127
	v_fma_f32 v115, v172, v129, -v115
	v_add_f32_e32 v114, v114, v115
	v_mul_f32_e32 v115, v175, v128
	v_fma_f32 v115, v174, v147, -v115
	v_add_f32_e32 v114, v114, v115
	v_mul_f32_e32 v115, v177, v146
	v_fma_f32 v115, v176, v143, -v115
	v_add_f32_e32 v114, v114, v115
	v_mul_f32_e32 v115, v179, v144
	v_fma_f32 v115, v178, v141, -v115
	v_add_f32_e32 v114, v114, v115
	v_mul_f32_e32 v115, v181, v142
	v_fma_f32 v115, v180, v138, -v115
	v_add_f32_e32 v114, v114, v115
	v_mul_f32_e32 v115, v183, v145
	v_fma_f32 v3, v182, v3, -v115
	v_add_f32_e32 v3, v114, v3
	v_mul_f32_e32 v114, v185, v149
	v_fma_f32 v114, v184, v148, -v114
	v_add_f32_e32 v3, v3, v114
	v_mul_f32_e32 v114, v187, v151
	v_fma_f32 v114, v186, v150, -v114
	v_add_f32_e32 v3, v3, v114
	v_add_f32_e32 v1, v3, v1
	v_add_f32_e32 v1, v1, v2
	v_mul_f32_e32 v2, v193, v7
	v_fma_f32 v2, v192, v6, -v2
	v_add_f32_e32 v1, v1, v2
	v_mul_f32_e32 v2, v195, v9
	v_fma_f32 v2, v194, v8, -v2
	;; [unrolled: 3-line block ×28, first 2 shown]
	v_add_f32_e32 v1, v1, v2
	v_sub_f32_e32 v1, v122, v1
	v_sub_f32_e32 v2, v123, v12
	buffer_store_dword v1, off, s[0:3], 0 offset:56
	buffer_store_dword v2, off, s[0:3], 0 offset:60
	s_and_saveexec_b64 s[4:5], vcc
	s_cbranch_execz .LBB55_337
; %bb.336:
	buffer_load_dword v1, off, s[0:3], 0 offset:48
	buffer_load_dword v2, off, s[0:3], 0 offset:52
	v_mov_b32_e32 v3, 0
	buffer_store_dword v3, off, s[0:3], 0 offset:48
	buffer_store_dword v3, off, s[0:3], 0 offset:52
	s_waitcnt vmcnt(2)
	ds_write_b64 v113, v[1:2]
.LBB55_337:
	s_or_b64 exec, exec, s[4:5]
	s_waitcnt lgkmcnt(0)
	; wave barrier
	buffer_load_dword v121, off, s[0:3], 0 offset:60
	buffer_load_dword v120, off, s[0:3], 0 offset:68
	buffer_load_dword v119, off, s[0:3], 0 offset:76
	buffer_load_dword v118, off, s[0:3], 0 offset:84
	buffer_load_dword v117, off, s[0:3], 0 offset:92
	buffer_load_dword v116, off, s[0:3], 0 offset:100
	buffer_load_dword v115, off, s[0:3], 0 offset:108
	buffer_load_dword v124, off, s[0:3], 0 offset:116
	buffer_load_dword v125, off, s[0:3], 0 offset:124
	buffer_load_dword v126, off, s[0:3], 0 offset:132
	buffer_load_dword v127, off, s[0:3], 0 offset:140
	buffer_load_dword v3, off, s[0:3], 0 offset:72
	buffer_load_dword v4, off, s[0:3], 0 offset:64
	buffer_load_dword v5, off, s[0:3], 0 offset:56
	buffer_load_dword v6, off, s[0:3], 0 offset:104
	buffer_load_dword v7, off, s[0:3], 0 offset:96
	buffer_load_dword v8, off, s[0:3], 0 offset:88
	buffer_load_dword v9, off, s[0:3], 0 offset:80
	buffer_load_dword v10, off, s[0:3], 0 offset:136
	buffer_load_dword v11, off, s[0:3], 0 offset:128
	buffer_load_dword v12, off, s[0:3], 0 offset:120
	buffer_load_dword v13, off, s[0:3], 0 offset:112
	buffer_load_dword v14, off, s[0:3], 0 offset:148
	buffer_load_dword v15, off, s[0:3], 0 offset:168
	buffer_load_dword v16, off, s[0:3], 0 offset:160
	buffer_load_dword v17, off, s[0:3], 0 offset:152
	buffer_load_dword v18, off, s[0:3], 0 offset:144
	buffer_load_dword v19, off, s[0:3], 0 offset:156
	buffer_load_dword v20, off, s[0:3], 0 offset:164
	buffer_load_dword v21, off, s[0:3], 0 offset:172
	buffer_load_dword v22, off, s[0:3], 0 offset:180
	buffer_load_dword v23, off, s[0:3], 0 offset:192
	buffer_load_dword v24, off, s[0:3], 0 offset:196
	buffer_load_dword v25, off, s[0:3], 0 offset:200
	buffer_load_dword v26, off, s[0:3], 0 offset:204
	buffer_load_dword v27, off, s[0:3], 0 offset:184
	buffer_load_dword v28, off, s[0:3], 0 offset:176
	buffer_load_dword v29, off, s[0:3], 0 offset:188
	buffer_load_dword v122, off, s[0:3], 0 offset:48
	buffer_load_dword v123, off, s[0:3], 0 offset:52
	v_mov_b32_e32 v114, 0
	buffer_load_dword v30, off, s[0:3], 0 offset:208
	buffer_load_dword v31, off, s[0:3], 0 offset:212
	;; [unrolled: 1-line block ×10, first 2 shown]
	ds_read2_b64 v[128:131], v114 offset0:63 offset1:64
	ds_read2_b64 v[132:135], v114 offset0:65 offset1:66
	;; [unrolled: 1-line block ×8, first 2 shown]
	v_cmp_lt_u32_e32 vcc, 5, v0
	s_waitcnt vmcnt(49) lgkmcnt(7)
	v_mul_f32_e32 v1, v128, v121
	s_waitcnt vmcnt(48)
	v_mul_f32_e32 v2, v130, v120
	s_waitcnt vmcnt(47) lgkmcnt(6)
	v_mul_f32_e32 v40, v132, v119
	s_waitcnt vmcnt(46)
	v_mul_f32_e32 v41, v134, v118
	;; [unrolled: 4-line block ×5, first 2 shown]
	s_waitcnt vmcnt(39) lgkmcnt(2)
	v_mul_f32_e32 v48, v148, v127
	s_waitcnt vmcnt(38)
	v_fmac_f32_e32 v40, v133, v3
	s_waitcnt vmcnt(37)
	v_fmac_f32_e32 v2, v131, v4
	;; [unrolled: 2-line block ×3, first 2 shown]
	v_add_f32_e32 v1, 0, v1
	v_add_f32_e32 v1, v1, v2
	;; [unrolled: 1-line block ×3, first 2 shown]
	s_waitcnt vmcnt(32)
	v_fmac_f32_e32 v41, v135, v9
	v_fmac_f32_e32 v42, v137, v8
	v_add_f32_e32 v1, v1, v41
	v_fmac_f32_e32 v43, v139, v7
	v_add_f32_e32 v1, v1, v42
	buffer_load_dword v40, off, s[0:3], 0 offset:248
	buffer_load_dword v41, off, s[0:3], 0 offset:252
	v_fmac_f32_e32 v44, v141, v6
	v_add_f32_e32 v1, v1, v43
	s_waitcnt vmcnt(30)
	v_fmac_f32_e32 v45, v143, v13
	v_add_f32_e32 v1, v1, v44
	v_add_f32_e32 v1, v1, v45
	ds_read2_b64 v[160:163], v114 offset0:79 offset1:80
	buffer_load_dword v42, off, s[0:3], 0 offset:260
	buffer_load_dword v43, off, s[0:3], 0 offset:264
	;; [unrolled: 1-line block ×4, first 2 shown]
	v_fmac_f32_e32 v46, v145, v12
	v_fmac_f32_e32 v47, v147, v11
	v_add_f32_e32 v1, v1, v46
	v_add_f32_e32 v1, v1, v47
	ds_read2_b64 v[164:167], v114 offset0:81 offset1:82
	buffer_load_dword v46, off, s[0:3], 0 offset:272
	buffer_load_dword v47, off, s[0:3], 0 offset:276
	v_fmac_f32_e32 v48, v149, v10
	v_add_f32_e32 v1, v1, v48
	buffer_load_dword v48, off, s[0:3], 0 offset:280
	buffer_load_dword v49, off, s[0:3], 0 offset:284
	;; [unrolled: 1-line block ×14, first 2 shown]
	ds_read2_b64 v[168:171], v114 offset0:83 offset1:84
	buffer_load_dword v231, off, s[0:3], 0 offset:336
	buffer_load_dword v232, off, s[0:3], 0 offset:340
	ds_read2_b64 v[172:175], v114 offset0:85 offset1:86
	buffer_load_dword v233, off, s[0:3], 0 offset:344
	buffer_load_dword v234, off, s[0:3], 0 offset:348
	;; [unrolled: 1-line block ×16, first 2 shown]
	ds_read2_b64 v[176:179], v114 offset0:87 offset1:88
	buffer_load_dword v249, off, s[0:3], 0 offset:408
	buffer_load_dword v250, off, s[0:3], 0 offset:412
	;; [unrolled: 1-line block ×6, first 2 shown]
	ds_read2_b64 v[180:183], v114 offset0:89 offset1:90
	buffer_load_dword v255, off, s[0:3], 0 offset:436
	buffer_load_dword v55, off, s[0:3], 0 offset:440
	;; [unrolled: 1-line block ×4, first 2 shown]
	s_waitcnt vmcnt(62)
	v_mul_f32_e32 v2, v150, v14
	v_fmac_f32_e32 v2, v151, v18
	v_add_f32_e32 v1, v1, v2
	s_waitcnt lgkmcnt(7)
	v_mul_f32_e32 v2, v152, v19
	v_fmac_f32_e32 v2, v153, v17
	v_add_f32_e32 v1, v1, v2
	v_mul_f32_e32 v2, v154, v20
	v_fmac_f32_e32 v2, v155, v16
	v_add_f32_e32 v1, v1, v2
	s_waitcnt lgkmcnt(6)
	v_mul_f32_e32 v2, v156, v21
	v_fmac_f32_e32 v2, v157, v15
	v_add_f32_e32 v1, v1, v2
	;; [unrolled: 7-line block ×4, first 2 shown]
	s_waitcnt vmcnt(58)
	v_mul_f32_e32 v2, v166, v31
	v_fmac_f32_e32 v2, v167, v30
	v_add_f32_e32 v1, v1, v2
	s_waitcnt vmcnt(56) lgkmcnt(3)
	v_mul_f32_e32 v2, v168, v33
	v_fmac_f32_e32 v2, v169, v32
	v_add_f32_e32 v1, v1, v2
	s_waitcnt vmcnt(54)
	v_mul_f32_e32 v2, v170, v35
	v_fmac_f32_e32 v2, v171, v34
	v_add_f32_e32 v1, v1, v2
	s_waitcnt vmcnt(52) lgkmcnt(2)
	v_mul_f32_e32 v2, v172, v37
	v_fmac_f32_e32 v2, v173, v36
	v_add_f32_e32 v1, v1, v2
	s_waitcnt vmcnt(50)
	v_mul_f32_e32 v2, v174, v39
	v_fmac_f32_e32 v2, v175, v38
	v_add_f32_e32 v1, v1, v2
	ds_read2_b64 v[184:187], v114 offset0:91 offset1:92
	ds_read2_b64 v[188:191], v114 offset0:93 offset1:94
	ds_read2_b64 v[192:195], v114 offset0:95 offset1:96
	ds_read2_b64 v[196:199], v114 offset0:97 offset1:98
	ds_read2_b64 v[200:203], v114 offset0:99 offset1:100
	ds_read2_b64 v[204:207], v114 offset0:101 offset1:102
	ds_read2_b64 v[208:211], v114 offset0:103 offset1:104
	ds_read2_b64 v[212:215], v114 offset0:105 offset1:106
	ds_read2_b64 v[216:219], v114 offset0:107 offset1:108
	ds_read2_b64 v[220:223], v114 offset0:109 offset1:110
	s_waitcnt vmcnt(48) lgkmcnt(11)
	v_mul_f32_e32 v2, v176, v41
	v_fmac_f32_e32 v2, v177, v40
	v_add_f32_e32 v1, v1, v2
	s_waitcnt vmcnt(47)
	v_mul_f32_e32 v2, v178, v42
	s_waitcnt vmcnt(44)
	v_fmac_f32_e32 v2, v179, v45
	v_add_f32_e32 v1, v1, v2
	s_waitcnt lgkmcnt(10)
	v_mul_f32_e32 v2, v180, v44
	v_fmac_f32_e32 v2, v181, v43
	v_add_f32_e32 v1, v1, v2
	s_waitcnt vmcnt(42)
	v_mul_f32_e32 v2, v182, v47
	v_fmac_f32_e32 v2, v183, v46
	v_add_f32_e32 v1, v1, v2
	s_waitcnt vmcnt(40) lgkmcnt(9)
	v_mul_f32_e32 v2, v184, v49
	v_fmac_f32_e32 v2, v185, v48
	v_add_f32_e32 v1, v1, v2
	s_waitcnt vmcnt(39)
	v_mul_f32_e32 v2, v186, v50
	s_waitcnt vmcnt(36)
	v_fmac_f32_e32 v2, v187, v53
	v_add_f32_e32 v1, v1, v2
	s_waitcnt lgkmcnt(8)
	v_mul_f32_e32 v2, v188, v52
	v_fmac_f32_e32 v2, v189, v51
	v_add_f32_e32 v1, v1, v2
	s_waitcnt vmcnt(34)
	v_mul_f32_e32 v2, v190, v224
	v_fmac_f32_e32 v2, v191, v54
	v_add_f32_e32 v1, v1, v2
	;; [unrolled: 17-line block ×5, first 2 shown]
	s_waitcnt vmcnt(8) lgkmcnt(1)
	v_mul_f32_e32 v2, v216, v250
	v_fmac_f32_e32 v2, v217, v249
	v_add_f32_e32 v1, v1, v2
	s_waitcnt vmcnt(7)
	v_mul_f32_e32 v2, v218, v251
	s_waitcnt vmcnt(4)
	v_fmac_f32_e32 v2, v219, v254
	v_add_f32_e32 v58, v1, v2
	ds_read_b64 v[1:2], v114 offset:888
	s_waitcnt lgkmcnt(1)
	v_mul_f32_e32 v59, v220, v253
	v_fmac_f32_e32 v59, v221, v252
	v_add_f32_e32 v58, v58, v59
	s_waitcnt vmcnt(3)
	v_mul_f32_e32 v59, v222, v255
	s_waitcnt vmcnt(0)
	v_fmac_f32_e32 v59, v223, v57
	v_add_f32_e32 v58, v58, v59
	s_waitcnt lgkmcnt(0)
	v_mul_f32_e32 v59, v1, v56
	v_fmac_f32_e32 v59, v2, v55
	v_add_f32_e32 v58, v58, v59
	v_mul_f32_e32 v59, v129, v121
	v_fma_f32 v5, v128, v5, -v59
	v_mul_f32_e32 v59, v131, v120
	v_add_f32_e32 v5, 0, v5
	v_fma_f32 v4, v130, v4, -v59
	v_add_f32_e32 v4, v5, v4
	v_mul_f32_e32 v5, v133, v119
	v_fma_f32 v3, v132, v3, -v5
	v_add_f32_e32 v3, v4, v3
	v_mul_f32_e32 v4, v135, v118
	;; [unrolled: 3-line block ×46, first 2 shown]
	v_fma_f32 v4, v222, v57, -v4
	v_mul_f32_e32 v2, v2, v56
	v_add_f32_e32 v3, v3, v4
	v_fma_f32 v1, v1, v55, -v2
	v_add_f32_e32 v1, v3, v1
	v_sub_f32_e32 v1, v122, v1
	v_sub_f32_e32 v2, v123, v58
	buffer_store_dword v1, off, s[0:3], 0 offset:48
	buffer_store_dword v2, off, s[0:3], 0 offset:52
	s_and_saveexec_b64 s[4:5], vcc
	s_cbranch_execz .LBB55_339
; %bb.338:
	buffer_load_dword v1, off, s[0:3], 0 offset:40
	buffer_load_dword v2, off, s[0:3], 0 offset:44
	s_waitcnt vmcnt(0)
	ds_write_b64 v113, v[1:2]
	buffer_store_dword v114, off, s[0:3], 0 offset:40
	buffer_store_dword v114, off, s[0:3], 0 offset:44
.LBB55_339:
	s_or_b64 exec, exec, s[4:5]
	s_waitcnt lgkmcnt(0)
	; wave barrier
	buffer_load_dword v121, off, s[0:3], 0 offset:52
	buffer_load_dword v120, off, s[0:3], 0 offset:60
	;; [unrolled: 1-line block ×40, first 2 shown]
	ds_read_b128 v[129:132], v114 offset:496
	ds_read_b128 v[133:136], v114 offset:512
	;; [unrolled: 1-line block ×7, first 2 shown]
	buffer_load_dword v27, off, s[0:3], 0 offset:200
	buffer_load_dword v28, off, s[0:3], 0 offset:204
	;; [unrolled: 1-line block ×10, first 2 shown]
	ds_read_b128 v[157:160], v114 offset:608
	v_cmp_lt_u32_e32 vcc, 4, v0
	s_waitcnt vmcnt(49) lgkmcnt(7)
	v_mul_f32_e32 v37, v129, v121
	s_waitcnt vmcnt(48)
	v_mul_f32_e32 v38, v131, v120
	s_waitcnt vmcnt(47) lgkmcnt(6)
	v_mul_f32_e32 v39, v133, v119
	s_waitcnt vmcnt(46)
	v_mul_f32_e32 v40, v135, v118
	;; [unrolled: 4-line block ×6, first 2 shown]
	s_waitcnt vmcnt(37)
	v_fmac_f32_e32 v39, v134, v1
	s_waitcnt vmcnt(36)
	v_fmac_f32_e32 v38, v132, v2
	;; [unrolled: 2-line block ×3, first 2 shown]
	v_add_f32_e32 v37, 0, v37
	v_add_f32_e32 v37, v37, v38
	;; [unrolled: 1-line block ×3, first 2 shown]
	s_waitcnt vmcnt(31)
	v_fmac_f32_e32 v40, v136, v7
	v_fmac_f32_e32 v41, v138, v6
	v_add_f32_e32 v37, v37, v40
	v_fmac_f32_e32 v42, v140, v5
	v_add_f32_e32 v37, v37, v41
	;; [unrolled: 2-line block ×3, first 2 shown]
	s_waitcnt vmcnt(27)
	v_fmac_f32_e32 v44, v144, v11
	v_add_f32_e32 v37, v37, v43
	v_fmac_f32_e32 v45, v146, v10
	v_add_f32_e32 v37, v37, v44
	;; [unrolled: 2-line block ×4, first 2 shown]
	v_add_f32_e32 v37, v37, v47
	s_waitcnt vmcnt(23)
	v_fmac_f32_e32 v48, v152, v15
	s_waitcnt vmcnt(22) lgkmcnt(1)
	v_mul_f32_e32 v38, v153, v16
	v_add_f32_e32 v37, v37, v48
	v_fmac_f32_e32 v38, v154, v14
	buffer_load_dword v39, off, s[0:3], 0 offset:244
	v_add_f32_e32 v37, v37, v38
	s_waitcnt vmcnt(22)
	v_mul_f32_e32 v38, v155, v17
	v_fmac_f32_e32 v38, v156, v13
	buffer_load_dword v40, off, s[0:3], 0 offset:240
	buffer_load_dword v41, off, s[0:3], 0 offset:248
	;; [unrolled: 1-line block ×3, first 2 shown]
	ds_read_b128 v[161:164], v114 offset:624
	v_add_f32_e32 v37, v37, v38
	s_waitcnt vmcnt(24) lgkmcnt(1)
	v_mul_f32_e32 v38, v157, v18
	v_fmac_f32_e32 v38, v158, v12
	v_add_f32_e32 v37, v37, v38
	s_waitcnt vmcnt(23)
	v_mul_f32_e32 v38, v159, v19
	buffer_load_dword v43, off, s[0:3], 0 offset:256
	buffer_load_dword v44, off, s[0:3], 0 offset:260
	s_waitcnt vmcnt(19)
	v_fmac_f32_e32 v38, v160, v25
	v_add_f32_e32 v37, v37, v38
	s_waitcnt vmcnt(18) lgkmcnt(0)
	v_mul_f32_e32 v38, v161, v26
	v_fmac_f32_e32 v38, v162, v24
	ds_read_b128 v[165:168], v114 offset:640
	v_add_f32_e32 v37, v37, v38
	buffer_load_dword v38, off, s[0:3], 0 offset:264
	buffer_load_dword v45, off, s[0:3], 0 offset:268
	;; [unrolled: 1-line block ×8, first 2 shown]
	v_mul_f32_e32 v46, v163, v21
	v_fmac_f32_e32 v46, v164, v20
	v_add_f32_e32 v37, v37, v46
	s_waitcnt lgkmcnt(0)
	v_mul_f32_e32 v46, v165, v23
	v_fmac_f32_e32 v46, v166, v22
	v_add_f32_e32 v37, v37, v46
	buffer_load_dword v46, off, s[0:3], 0 offset:296
	buffer_load_dword v53, off, s[0:3], 0 offset:300
	ds_read_b128 v[169:172], v114 offset:656
	buffer_load_dword v55, off, s[0:3], 0 offset:304
	buffer_load_dword v56, off, s[0:3], 0 offset:308
	;; [unrolled: 1-line block ×6, first 2 shown]
	ds_read_b128 v[173:176], v114 offset:672
	buffer_load_dword v229, off, s[0:3], 0 offset:328
	buffer_load_dword v230, off, s[0:3], 0 offset:332
	s_waitcnt vmcnt(32)
	v_mul_f32_e32 v54, v167, v28
	v_fmac_f32_e32 v54, v168, v27
	v_add_f32_e32 v37, v37, v54
	s_waitcnt vmcnt(30) lgkmcnt(1)
	v_mul_f32_e32 v54, v169, v30
	v_fmac_f32_e32 v54, v170, v29
	v_add_f32_e32 v37, v37, v54
	buffer_load_dword v54, off, s[0:3], 0 offset:336
	buffer_load_dword v231, off, s[0:3], 0 offset:340
	;; [unrolled: 1-line block ×14, first 2 shown]
	s_waitcnt vmcnt(42)
	v_mul_f32_e32 v177, v171, v32
	v_fmac_f32_e32 v177, v172, v31
	v_add_f32_e32 v37, v37, v177
	s_waitcnt vmcnt(40) lgkmcnt(0)
	v_mul_f32_e32 v177, v173, v34
	v_fmac_f32_e32 v177, v174, v33
	v_add_f32_e32 v37, v37, v177
	ds_read_b128 v[177:180], v114 offset:688
	buffer_load_dword v244, off, s[0:3], 0 offset:392
	buffer_load_dword v245, off, s[0:3], 0 offset:396
	s_waitcnt vmcnt(40)
	v_mul_f32_e32 v181, v175, v36
	v_fmac_f32_e32 v181, v176, v35
	v_add_f32_e32 v37, v37, v181
	ds_read_b128 v[181:184], v114 offset:704
	buffer_load_dword v246, off, s[0:3], 0 offset:400
	buffer_load_dword v247, off, s[0:3], 0 offset:404
	;; [unrolled: 1-line block ×12, first 2 shown]
	s_waitcnt vmcnt(51) lgkmcnt(1)
	v_mul_f32_e32 v185, v177, v39
	s_waitcnt vmcnt(50)
	v_fmac_f32_e32 v185, v178, v40
	v_add_f32_e32 v37, v37, v185
	s_waitcnt vmcnt(48)
	v_mul_f32_e32 v185, v179, v42
	v_fmac_f32_e32 v185, v180, v41
	v_add_f32_e32 v37, v37, v185
	s_waitcnt vmcnt(46) lgkmcnt(0)
	v_mul_f32_e32 v185, v181, v44
	v_fmac_f32_e32 v185, v182, v43
	v_add_f32_e32 v37, v37, v185
	ds_read_b128 v[185:188], v114 offset:720
	s_waitcnt vmcnt(44)
	v_mul_f32_e32 v189, v183, v45
	v_fmac_f32_e32 v189, v184, v38
	v_add_f32_e32 v37, v37, v189
	ds_read_b128 v[189:192], v114 offset:736
	s_waitcnt vmcnt(42) lgkmcnt(1)
	v_mul_f32_e32 v193, v185, v48
	v_fmac_f32_e32 v193, v186, v47
	v_add_f32_e32 v37, v37, v193
	s_waitcnt vmcnt(41)
	v_mul_f32_e32 v193, v187, v49
	s_waitcnt vmcnt(38)
	v_fmac_f32_e32 v193, v188, v52
	v_add_f32_e32 v37, v37, v193
	s_waitcnt lgkmcnt(0)
	v_mul_f32_e32 v193, v189, v51
	v_fmac_f32_e32 v193, v190, v50
	v_add_f32_e32 v37, v37, v193
	ds_read_b128 v[193:196], v114 offset:752
	s_waitcnt vmcnt(36)
	v_mul_f32_e32 v197, v191, v53
	v_fmac_f32_e32 v197, v192, v46
	v_add_f32_e32 v37, v37, v197
	ds_read_b128 v[197:200], v114 offset:768
	s_waitcnt vmcnt(34) lgkmcnt(1)
	v_mul_f32_e32 v201, v193, v56
	v_fmac_f32_e32 v201, v194, v55
	v_add_f32_e32 v37, v37, v201
	s_waitcnt vmcnt(33)
	v_mul_f32_e32 v201, v195, v57
	s_waitcnt vmcnt(30)
	v_fmac_f32_e32 v201, v196, v60
	v_add_f32_e32 v37, v37, v201
	s_waitcnt lgkmcnt(0)
	;; [unrolled: 19-line block ×4, first 2 shown]
	v_mul_f32_e32 v217, v213, v242
	v_fmac_f32_e32 v217, v214, v241
	v_add_f32_e32 v37, v37, v217
	ds_read_b128 v[217:220], v114 offset:848
	s_waitcnt vmcnt(12)
	v_mul_f32_e32 v221, v215, v245
	v_fmac_f32_e32 v221, v216, v244
	v_add_f32_e32 v37, v37, v221
	ds_read_b128 v[221:224], v114 offset:864
	s_waitcnt vmcnt(10) lgkmcnt(1)
	v_mul_f32_e32 v225, v217, v247
	v_fmac_f32_e32 v225, v218, v246
	v_add_f32_e32 v37, v37, v225
	s_waitcnt vmcnt(9)
	v_mul_f32_e32 v225, v219, v248
	s_waitcnt vmcnt(6)
	v_fmac_f32_e32 v225, v220, v251
	v_add_f32_e32 v37, v37, v225
	ds_read_b128 v[225:228], v114 offset:880
	s_waitcnt lgkmcnt(1)
	v_mul_f32_e32 v63, v221, v250
	v_fmac_f32_e32 v63, v222, v249
	v_add_f32_e32 v37, v37, v63
	s_waitcnt vmcnt(4)
	v_mul_f32_e32 v63, v223, v253
	v_fmac_f32_e32 v63, v224, v252
	v_add_f32_e32 v37, v37, v63
	s_waitcnt vmcnt(3) lgkmcnt(0)
	v_mul_f32_e32 v63, v225, v254
	s_waitcnt vmcnt(0)
	v_fmac_f32_e32 v63, v226, v62
	v_add_f32_e32 v37, v37, v63
	v_mul_f32_e32 v63, v227, v61
	v_fmac_f32_e32 v63, v228, v255
	v_add_f32_e32 v37, v37, v63
	v_mul_f32_e32 v63, v130, v121
	v_fma_f32 v3, v129, v3, -v63
	v_mul_f32_e32 v63, v132, v120
	v_add_f32_e32 v3, 0, v3
	v_fma_f32 v2, v131, v2, -v63
	v_add_f32_e32 v2, v3, v2
	v_mul_f32_e32 v3, v134, v119
	v_fma_f32 v1, v133, v1, -v3
	v_add_f32_e32 v1, v2, v1
	v_mul_f32_e32 v2, v136, v118
	;; [unrolled: 3-line block ×48, first 2 shown]
	v_fma_f32 v2, v227, v255, -v2
	v_add_f32_e32 v1, v1, v2
	v_sub_f32_e32 v1, v122, v1
	v_sub_f32_e32 v2, v123, v37
	buffer_store_dword v1, off, s[0:3], 0 offset:40
	buffer_store_dword v2, off, s[0:3], 0 offset:44
	s_and_saveexec_b64 s[4:5], vcc
	s_cbranch_execz .LBB55_341
; %bb.340:
	buffer_load_dword v1, off, s[0:3], 0 offset:32
	buffer_load_dword v2, off, s[0:3], 0 offset:36
	v_mov_b32_e32 v3, 0
	buffer_store_dword v3, off, s[0:3], 0 offset:32
	buffer_store_dword v3, off, s[0:3], 0 offset:36
	s_waitcnt vmcnt(2)
	ds_write_b64 v113, v[1:2]
.LBB55_341:
	s_or_b64 exec, exec, s[4:5]
	s_waitcnt lgkmcnt(0)
	; wave barrier
	buffer_load_dword v123, off, s[0:3], 0 offset:44
	buffer_load_dword v122, off, s[0:3], 0 offset:52
	;; [unrolled: 1-line block ×40, first 2 shown]
	v_mov_b32_e32 v114, 0
	buffer_load_dword v28, off, s[0:3], 0 offset:192
	buffer_load_dword v29, off, s[0:3], 0 offset:196
	;; [unrolled: 1-line block ×10, first 2 shown]
	ds_read2_b64 v[130:133], v114 offset0:61 offset1:62
	ds_read2_b64 v[134:137], v114 offset0:63 offset1:64
	;; [unrolled: 1-line block ×7, first 2 shown]
	v_cmp_lt_u32_e32 vcc, 3, v0
	s_waitcnt vmcnt(49) lgkmcnt(6)
	v_mul_f32_e32 v1, v130, v123
	s_waitcnt vmcnt(48)
	v_mul_f32_e32 v2, v132, v122
	s_waitcnt vmcnt(47) lgkmcnt(5)
	v_mul_f32_e32 v38, v134, v119
	s_waitcnt vmcnt(46)
	v_mul_f32_e32 v39, v136, v118
	s_waitcnt vmcnt(45) lgkmcnt(4)
	v_mul_f32_e32 v40, v138, v117
	s_waitcnt vmcnt(44)
	v_mul_f32_e32 v41, v140, v116
	s_waitcnt vmcnt(43) lgkmcnt(3)
	v_mul_f32_e32 v42, v142, v115
	s_waitcnt vmcnt(42)
	v_mul_f32_e32 v43, v144, v124
	s_waitcnt vmcnt(41) lgkmcnt(2)
	v_mul_f32_e32 v44, v146, v125
	s_waitcnt vmcnt(40)
	v_mul_f32_e32 v45, v148, v126
	s_waitcnt vmcnt(39) lgkmcnt(1)
	v_mul_f32_e32 v46, v150, v127
	s_waitcnt vmcnt(38)
	v_mul_f32_e32 v47, v152, v128
	s_waitcnt vmcnt(37)
	v_fmac_f32_e32 v38, v135, v3
	s_waitcnt vmcnt(36)
	v_fmac_f32_e32 v2, v133, v4
	s_waitcnt vmcnt(35)
	v_fmac_f32_e32 v1, v131, v5
	v_add_f32_e32 v1, 0, v1
	v_add_f32_e32 v1, v1, v2
	v_add_f32_e32 v1, v1, v38
	s_waitcnt vmcnt(31)
	v_fmac_f32_e32 v39, v137, v9
	v_fmac_f32_e32 v40, v139, v8
	v_add_f32_e32 v1, v1, v39
	buffer_load_dword v38, off, s[0:3], 0 offset:232
	buffer_load_dword v39, off, s[0:3], 0 offset:236
	v_fmac_f32_e32 v41, v141, v7
	v_add_f32_e32 v1, v1, v40
	v_fmac_f32_e32 v42, v143, v6
	v_add_f32_e32 v1, v1, v41
	s_waitcnt vmcnt(29)
	v_fmac_f32_e32 v43, v145, v12
	v_add_f32_e32 v1, v1, v42
	v_fmac_f32_e32 v44, v147, v11
	v_add_f32_e32 v1, v1, v43
	ds_read2_b64 v[158:161], v114 offset0:75 offset1:76
	buffer_load_dword v40, off, s[0:3], 0 offset:244
	buffer_load_dword v41, off, s[0:3], 0 offset:240
	;; [unrolled: 1-line block ×4, first 2 shown]
	v_fmac_f32_e32 v45, v149, v10
	v_add_f32_e32 v1, v1, v44
	v_add_f32_e32 v1, v1, v45
	ds_read2_b64 v[162:165], v114 offset0:77 offset1:78
	ds_read2_b64 v[166:169], v114 offset0:79 offset1:80
	buffer_load_dword v44, off, s[0:3], 0 offset:256
	buffer_load_dword v45, off, s[0:3], 0 offset:260
	v_fmac_f32_e32 v46, v151, v129
	v_add_f32_e32 v1, v1, v46
	s_waitcnt vmcnt(31)
	v_fmac_f32_e32 v47, v153, v16
	v_add_f32_e32 v1, v1, v47
	buffer_load_dword v46, off, s[0:3], 0 offset:264
	buffer_load_dword v47, off, s[0:3], 0 offset:268
	;; [unrolled: 1-line block ×8, first 2 shown]
	ds_read2_b64 v[170:173], v114 offset0:81 offset1:82
	buffer_load_dword v54, off, s[0:3], 0 offset:296
	buffer_load_dword v55, off, s[0:3], 0 offset:300
	;; [unrolled: 1-line block ×6, first 2 shown]
	ds_read2_b64 v[174:177], v114 offset0:83 offset1:84
	buffer_load_dword v60, off, s[0:3], 0 offset:320
	buffer_load_dword v61, off, s[0:3], 0 offset:324
	;; [unrolled: 1-line block ×10, first 2 shown]
	ds_read2_b64 v[178:181], v114 offset0:85 offset1:86
	buffer_load_dword v235, off, s[0:3], 0 offset:360
	buffer_load_dword v236, off, s[0:3], 0 offset:364
	;; [unrolled: 1-line block ×6, first 2 shown]
	ds_read2_b64 v[182:185], v114 offset0:87 offset1:88
	buffer_load_dword v241, off, s[0:3], 0 offset:384
	buffer_load_dword v242, off, s[0:3], 0 offset:388
	buffer_load_dword v243, off, s[0:3], 0 offset:392
	buffer_load_dword v244, off, s[0:3], 0 offset:396
	buffer_load_dword v245, off, s[0:3], 0 offset:404
	buffer_load_dword v246, off, s[0:3], 0 offset:408
	buffer_load_dword v247, off, s[0:3], 0 offset:412
	buffer_load_dword v248, off, s[0:3], 0 offset:400
	buffer_load_dword v249, off, s[0:3], 0 offset:416
	buffer_load_dword v250, off, s[0:3], 0 offset:420
	buffer_load_dword v251, off, s[0:3], 0 offset:424
	buffer_load_dword v252, off, s[0:3], 0 offset:428
	buffer_load_dword v253, off, s[0:3], 0 offset:436
	buffer_load_dword v254, off, s[0:3], 0 offset:440
	buffer_load_dword v255, off, s[0:3], 0 offset:444
	buffer_load_dword v65, off, s[0:3], 0 offset:432
	s_waitcnt vmcnt(62) lgkmcnt(7)
	v_mul_f32_e32 v2, v154, v17
	v_fmac_f32_e32 v2, v155, v15
	v_add_f32_e32 v1, v1, v2
	v_mul_f32_e32 v2, v156, v18
	v_fmac_f32_e32 v2, v157, v14
	v_add_f32_e32 v1, v1, v2
	s_waitcnt lgkmcnt(6)
	v_mul_f32_e32 v2, v158, v19
	v_fmac_f32_e32 v2, v159, v13
	v_add_f32_e32 v1, v1, v2
	v_mul_f32_e32 v2, v160, v20
	v_fmac_f32_e32 v2, v161, v27
	v_add_f32_e32 v1, v1, v2
	s_waitcnt lgkmcnt(5)
	;; [unrolled: 7-line block ×3, first 2 shown]
	v_mul_f32_e32 v2, v166, v26
	v_fmac_f32_e32 v2, v167, v25
	v_add_f32_e32 v1, v1, v2
	v_mul_f32_e32 v2, v168, v29
	v_fmac_f32_e32 v2, v169, v28
	v_add_f32_e32 v1, v1, v2
	s_waitcnt vmcnt(60) lgkmcnt(3)
	v_mul_f32_e32 v2, v170, v31
	v_fmac_f32_e32 v2, v171, v30
	v_add_f32_e32 v1, v1, v2
	s_waitcnt vmcnt(58)
	v_mul_f32_e32 v2, v172, v33
	v_fmac_f32_e32 v2, v173, v32
	v_add_f32_e32 v1, v1, v2
	s_waitcnt vmcnt(56) lgkmcnt(2)
	v_mul_f32_e32 v2, v174, v35
	v_fmac_f32_e32 v2, v175, v34
	v_add_f32_e32 v1, v1, v2
	s_waitcnt vmcnt(54)
	v_mul_f32_e32 v2, v176, v37
	v_fmac_f32_e32 v2, v177, v36
	v_add_f32_e32 v1, v1, v2
	ds_read2_b64 v[186:189], v114 offset0:89 offset1:90
	ds_read2_b64 v[190:193], v114 offset0:91 offset1:92
	;; [unrolled: 1-line block ×8, first 2 shown]
	s_waitcnt vmcnt(52) lgkmcnt(9)
	v_mul_f32_e32 v2, v178, v39
	v_fmac_f32_e32 v2, v179, v38
	v_add_f32_e32 v1, v1, v2
	ds_read2_b64 v[218:221], v114 offset0:105 offset1:106
	ds_read2_b64 v[222:225], v114 offset0:107 offset1:108
	ds_read2_b64 v[226:229], v114 offset0:109 offset1:110
	s_waitcnt vmcnt(51)
	v_mul_f32_e32 v2, v180, v40
	s_waitcnt vmcnt(50)
	v_fmac_f32_e32 v2, v181, v41
	v_add_f32_e32 v1, v1, v2
	s_waitcnt vmcnt(48) lgkmcnt(11)
	v_mul_f32_e32 v2, v182, v43
	v_fmac_f32_e32 v2, v183, v42
	v_add_f32_e32 v1, v1, v2
	s_waitcnt vmcnt(46)
	v_mul_f32_e32 v2, v184, v45
	v_fmac_f32_e32 v2, v185, v44
	v_add_f32_e32 v1, v1, v2
	s_waitcnt vmcnt(44) lgkmcnt(10)
	v_mul_f32_e32 v2, v186, v47
	v_fmac_f32_e32 v2, v187, v46
	v_add_f32_e32 v1, v1, v2
	s_waitcnt vmcnt(43)
	v_mul_f32_e32 v2, v188, v48
	s_waitcnt vmcnt(40)
	v_fmac_f32_e32 v2, v189, v51
	v_add_f32_e32 v1, v1, v2
	s_waitcnt lgkmcnt(9)
	v_mul_f32_e32 v2, v190, v50
	v_fmac_f32_e32 v2, v191, v49
	v_add_f32_e32 v1, v1, v2
	s_waitcnt vmcnt(38)
	v_mul_f32_e32 v2, v192, v53
	v_fmac_f32_e32 v2, v193, v52
	v_add_f32_e32 v1, v1, v2
	s_waitcnt vmcnt(36) lgkmcnt(8)
	v_mul_f32_e32 v2, v194, v55
	v_fmac_f32_e32 v2, v195, v54
	v_add_f32_e32 v1, v1, v2
	s_waitcnt vmcnt(35)
	v_mul_f32_e32 v2, v196, v56
	s_waitcnt vmcnt(32)
	v_fmac_f32_e32 v2, v197, v59
	v_add_f32_e32 v1, v1, v2
	s_waitcnt lgkmcnt(7)
	;; [unrolled: 17-line block ×5, first 2 shown]
	v_mul_f32_e32 v2, v222, v247
	v_fmac_f32_e32 v2, v223, v246
	v_add_f32_e32 v1, v1, v2
	s_waitcnt vmcnt(6)
	v_mul_f32_e32 v2, v224, v250
	v_fmac_f32_e32 v2, v225, v249
	v_add_f32_e32 v66, v1, v2
	ds_read_b64 v[1:2], v114 offset:888
	s_waitcnt vmcnt(4) lgkmcnt(1)
	v_mul_f32_e32 v67, v226, v252
	v_fmac_f32_e32 v67, v227, v251
	v_add_f32_e32 v66, v66, v67
	s_waitcnt vmcnt(3)
	v_mul_f32_e32 v67, v228, v253
	s_waitcnt vmcnt(0)
	v_fmac_f32_e32 v67, v229, v65
	v_add_f32_e32 v66, v66, v67
	s_waitcnt lgkmcnt(0)
	v_mul_f32_e32 v67, v1, v255
	v_fmac_f32_e32 v67, v2, v254
	v_add_f32_e32 v66, v66, v67
	v_mul_f32_e32 v67, v131, v123
	v_fma_f32 v5, v130, v5, -v67
	v_mul_f32_e32 v67, v133, v122
	v_add_f32_e32 v5, 0, v5
	v_fma_f32 v4, v132, v4, -v67
	v_add_f32_e32 v4, v5, v4
	v_mul_f32_e32 v5, v135, v119
	v_fma_f32 v3, v134, v3, -v5
	v_add_f32_e32 v3, v4, v3
	v_mul_f32_e32 v4, v137, v118
	;; [unrolled: 3-line block ×48, first 2 shown]
	v_fma_f32 v4, v228, v65, -v4
	v_mul_f32_e32 v2, v2, v255
	v_add_f32_e32 v3, v3, v4
	v_fma_f32 v1, v1, v254, -v2
	v_add_f32_e32 v1, v3, v1
	v_sub_f32_e32 v1, v120, v1
	v_sub_f32_e32 v2, v121, v66
	buffer_store_dword v1, off, s[0:3], 0 offset:32
	buffer_store_dword v2, off, s[0:3], 0 offset:36
	s_and_saveexec_b64 s[4:5], vcc
	s_cbranch_execz .LBB55_343
; %bb.342:
	buffer_load_dword v1, off, s[0:3], 0 offset:24
	buffer_load_dword v2, off, s[0:3], 0 offset:28
	s_waitcnt vmcnt(0)
	ds_write_b64 v113, v[1:2]
	buffer_store_dword v114, off, s[0:3], 0 offset:24
	buffer_store_dword v114, off, s[0:3], 0 offset:28
.LBB55_343:
	s_or_b64 exec, exec, s[4:5]
	s_waitcnt lgkmcnt(0)
	; wave barrier
	buffer_load_dword v123, off, s[0:3], 0 offset:36
	buffer_load_dword v120, off, s[0:3], 0 offset:44
	;; [unrolled: 1-line block ×40, first 2 shown]
	ds_read_b128 v[138:141], v114 offset:480
	ds_read_b128 v[142:145], v114 offset:496
	;; [unrolled: 1-line block ×6, first 2 shown]
	buffer_load_dword v18, off, s[0:3], 0 offset:184
	buffer_load_dword v19, off, s[0:3], 0 offset:188
	;; [unrolled: 1-line block ×12, first 2 shown]
	ds_read_b128 v[162:165], v114 offset:576
	ds_read_b128 v[166:169], v114 offset:592
	v_cmp_lt_u32_e32 vcc, 2, v0
	s_waitcnt vmcnt(51) lgkmcnt(7)
	v_mul_f32_e32 v30, v138, v123
	s_waitcnt vmcnt(50)
	v_mul_f32_e32 v31, v140, v120
	s_waitcnt vmcnt(49) lgkmcnt(6)
	v_mul_f32_e32 v32, v142, v119
	s_waitcnt vmcnt(48)
	v_mul_f32_e32 v33, v144, v118
	;; [unrolled: 4-line block ×5, first 2 shown]
	s_waitcnt vmcnt(41) lgkmcnt(2)
	v_mul_f32_e32 v40, v158, v127
	s_waitcnt vmcnt(40)
	v_fmac_f32_e32 v32, v143, v134
	s_waitcnt vmcnt(39)
	v_fmac_f32_e32 v31, v141, v137
	;; [unrolled: 2-line block ×3, first 2 shown]
	v_add_f32_e32 v30, 0, v30
	v_add_f32_e32 v30, v30, v31
	v_add_f32_e32 v30, v30, v32
	s_waitcnt vmcnt(34)
	v_fmac_f32_e32 v33, v145, v2
	v_fmac_f32_e32 v34, v147, v136
	v_add_f32_e32 v30, v30, v33
	v_fmac_f32_e32 v35, v149, v133
	v_add_f32_e32 v30, v30, v34
	buffer_load_dword v32, off, s[0:3], 0 offset:232
	buffer_load_dword v33, off, s[0:3], 0 offset:236
	v_fmac_f32_e32 v36, v151, v130
	v_add_f32_e32 v30, v30, v35
	s_waitcnt vmcnt(32)
	v_fmac_f32_e32 v37, v153, v135
	v_add_f32_e32 v30, v30, v36
	buffer_load_dword v34, off, s[0:3], 0 offset:240
	buffer_load_dword v35, off, s[0:3], 0 offset:244
	v_add_f32_e32 v30, v30, v37
	ds_read_b128 v[170:173], v114 offset:608
	buffer_load_dword v36, off, s[0:3], 0 offset:248
	buffer_load_dword v37, off, s[0:3], 0 offset:252
	v_fmac_f32_e32 v38, v155, v132
	v_fmac_f32_e32 v39, v157, v129
	v_add_f32_e32 v30, v30, v38
	v_fmac_f32_e32 v40, v159, v128
	v_add_f32_e32 v30, v30, v39
	s_waitcnt vmcnt(35)
	v_mul_f32_e32 v31, v160, v131
	v_add_f32_e32 v30, v30, v40
	s_waitcnt vmcnt(31)
	v_fmac_f32_e32 v31, v161, v6
	v_add_f32_e32 v30, v30, v31
	s_waitcnt vmcnt(30) lgkmcnt(2)
	v_mul_f32_e32 v31, v162, v7
	v_fmac_f32_e32 v31, v163, v5
	v_add_f32_e32 v30, v30, v31
	s_waitcnt vmcnt(29)
	v_mul_f32_e32 v31, v164, v8
	v_fmac_f32_e32 v31, v165, v4
	v_add_f32_e32 v30, v30, v31
	s_waitcnt vmcnt(28) lgkmcnt(1)
	v_mul_f32_e32 v31, v166, v9
	v_fmac_f32_e32 v31, v167, v3
	v_add_f32_e32 v30, v30, v31
	s_waitcnt vmcnt(27)
	v_mul_f32_e32 v31, v168, v10
	s_waitcnt vmcnt(21)
	v_fmac_f32_e32 v31, v169, v16
	ds_read_b128 v[174:177], v114 offset:624
	v_add_f32_e32 v30, v30, v31
	s_waitcnt vmcnt(20) lgkmcnt(1)
	v_mul_f32_e32 v31, v170, v17
	v_fmac_f32_e32 v31, v171, v15
	v_add_f32_e32 v30, v30, v31
	v_mul_f32_e32 v31, v172, v12
	v_fmac_f32_e32 v31, v173, v11
	v_add_f32_e32 v30, v30, v31
	s_waitcnt lgkmcnt(0)
	v_mul_f32_e32 v31, v174, v14
	v_fmac_f32_e32 v31, v175, v13
	v_add_f32_e32 v30, v30, v31
	buffer_load_dword v31, off, s[0:3], 0 offset:256
	buffer_load_dword v38, off, s[0:3], 0 offset:260
	;; [unrolled: 1-line block ×6, first 2 shown]
	s_waitcnt vmcnt(22)
	v_mul_f32_e32 v43, v176, v19
	v_fmac_f32_e32 v43, v177, v18
	ds_read_b128 v[178:181], v114 offset:640
	v_add_f32_e32 v30, v30, v43
	buffer_load_dword v43, off, s[0:3], 0 offset:280
	buffer_load_dword v44, off, s[0:3], 0 offset:284
	ds_read_b128 v[182:185], v114 offset:656
	buffer_load_dword v46, off, s[0:3], 0 offset:288
	buffer_load_dword v47, off, s[0:3], 0 offset:292
	;; [unrolled: 1-line block ×14, first 2 shown]
	s_waitcnt vmcnt(36) lgkmcnt(1)
	v_mul_f32_e32 v45, v178, v21
	v_fmac_f32_e32 v45, v179, v20
	v_add_f32_e32 v30, v30, v45
	s_waitcnt vmcnt(34)
	v_mul_f32_e32 v45, v180, v23
	buffer_load_dword v60, off, s[0:3], 0 offset:344
	buffer_load_dword v61, off, s[0:3], 0 offset:348
	v_fmac_f32_e32 v45, v181, v22
	v_add_f32_e32 v30, v30, v45
	s_waitcnt vmcnt(34) lgkmcnt(0)
	v_mul_f32_e32 v45, v182, v25
	v_fmac_f32_e32 v45, v183, v24
	v_add_f32_e32 v30, v30, v45
	s_waitcnt vmcnt(32)
	v_mul_f32_e32 v45, v184, v27
	ds_read_b128 v[186:189], v114 offset:672
	v_fmac_f32_e32 v45, v185, v26
	v_add_f32_e32 v30, v30, v45
	buffer_load_dword v45, off, s[0:3], 0 offset:352
	buffer_load_dword v62, off, s[0:3], 0 offset:356
	;; [unrolled: 1-line block ×6, first 2 shown]
	ds_read_b128 v[190:193], v114 offset:688
	s_waitcnt vmcnt(36) lgkmcnt(1)
	v_mul_f32_e32 v67, v186, v29
	v_fmac_f32_e32 v67, v187, v28
	v_add_f32_e32 v30, v30, v67
	buffer_load_dword v67, off, s[0:3], 0 offset:376
	buffer_load_dword v68, off, s[0:3], 0 offset:380
	;; [unrolled: 1-line block ×16, first 2 shown]
	s_waitcnt vmcnt(50)
	v_mul_f32_e32 v194, v188, v33
	v_fmac_f32_e32 v194, v189, v32
	v_add_f32_e32 v30, v30, v194
	s_waitcnt vmcnt(48) lgkmcnt(0)
	v_mul_f32_e32 v194, v190, v35
	v_fmac_f32_e32 v194, v191, v34
	v_add_f32_e32 v30, v30, v194
	s_waitcnt vmcnt(46)
	v_mul_f32_e32 v198, v192, v37
	v_fmac_f32_e32 v198, v193, v36
	ds_read_b128 v[194:197], v114 offset:704
	v_add_f32_e32 v30, v30, v198
	ds_read_b128 v[198:201], v114 offset:720
	buffer_load_dword v69, off, s[0:3], 0 offset:440
	buffer_load_dword v70, off, s[0:3], 0 offset:444
	s_waitcnt vmcnt(46) lgkmcnt(1)
	v_mul_f32_e32 v202, v194, v38
	v_fmac_f32_e32 v202, v195, v31
	v_add_f32_e32 v30, v30, v202
	s_waitcnt vmcnt(45)
	v_mul_f32_e32 v202, v196, v39
	s_waitcnt vmcnt(42)
	v_fmac_f32_e32 v202, v197, v42
	v_add_f32_e32 v30, v30, v202
	s_waitcnt lgkmcnt(0)
	v_mul_f32_e32 v202, v198, v41
	v_fmac_f32_e32 v202, v199, v40
	v_add_f32_e32 v30, v30, v202
	ds_read_b128 v[202:205], v114 offset:736
	s_waitcnt vmcnt(40)
	v_mul_f32_e32 v206, v200, v44
	v_fmac_f32_e32 v206, v201, v43
	v_add_f32_e32 v30, v30, v206
	ds_read_b128 v[206:209], v114 offset:752
	s_waitcnt vmcnt(38) lgkmcnt(1)
	v_mul_f32_e32 v210, v202, v47
	v_fmac_f32_e32 v210, v203, v46
	v_add_f32_e32 v30, v30, v210
	s_waitcnt vmcnt(37)
	v_mul_f32_e32 v210, v204, v48
	s_waitcnt vmcnt(34)
	v_fmac_f32_e32 v210, v205, v51
	v_add_f32_e32 v30, v30, v210
	s_waitcnt lgkmcnt(0)
	v_mul_f32_e32 v210, v206, v50
	v_fmac_f32_e32 v210, v207, v49
	v_add_f32_e32 v30, v30, v210
	ds_read_b128 v[210:213], v114 offset:768
	s_waitcnt vmcnt(32)
	v_mul_f32_e32 v214, v208, v53
	v_fmac_f32_e32 v214, v209, v52
	v_add_f32_e32 v30, v30, v214
	ds_read_b128 v[214:217], v114 offset:784
	;; [unrolled: 19-line block ×5, first 2 shown]
	s_waitcnt vmcnt(6) lgkmcnt(1)
	v_mul_f32_e32 v114, v234, v251
	v_fmac_f32_e32 v114, v235, v250
	v_add_f32_e32 v30, v30, v114
	s_waitcnt vmcnt(5)
	v_mul_f32_e32 v114, v236, v252
	s_waitcnt vmcnt(2)
	v_fmac_f32_e32 v114, v237, v255
	v_add_f32_e32 v30, v30, v114
	s_waitcnt lgkmcnt(0)
	v_mul_f32_e32 v114, v238, v254
	v_fmac_f32_e32 v114, v239, v253
	v_add_f32_e32 v30, v30, v114
	s_waitcnt vmcnt(0)
	v_mul_f32_e32 v114, v240, v70
	v_fmac_f32_e32 v114, v241, v69
	v_add_f32_e32 v30, v30, v114
	v_mul_f32_e32 v114, v139, v123
	v_fma_f32 v1, v138, v1, -v114
	v_mul_f32_e32 v114, v141, v120
	v_add_f32_e32 v1, 0, v1
	v_fma_f32 v114, v140, v137, -v114
	v_add_f32_e32 v1, v1, v114
	v_mul_f32_e32 v114, v143, v119
	v_fma_f32 v114, v142, v134, -v114
	v_add_f32_e32 v1, v1, v114
	v_mul_f32_e32 v114, v145, v118
	;; [unrolled: 3-line block ×50, first 2 shown]
	v_fma_f32 v2, v240, v69, -v2
	v_add_f32_e32 v1, v1, v2
	v_sub_f32_e32 v1, v121, v1
	v_sub_f32_e32 v2, v122, v30
	buffer_store_dword v1, off, s[0:3], 0 offset:24
	buffer_store_dword v2, off, s[0:3], 0 offset:28
	s_and_saveexec_b64 s[4:5], vcc
	s_cbranch_execz .LBB55_345
; %bb.344:
	buffer_load_dword v1, off, s[0:3], 0 offset:16
	buffer_load_dword v2, off, s[0:3], 0 offset:20
	v_mov_b32_e32 v3, 0
	buffer_store_dword v3, off, s[0:3], 0 offset:16
	buffer_store_dword v3, off, s[0:3], 0 offset:20
	s_waitcnt vmcnt(2)
	ds_write_b64 v113, v[1:2]
.LBB55_345:
	s_or_b64 exec, exec, s[4:5]
	s_waitcnt lgkmcnt(0)
	; wave barrier
	buffer_load_dword v123, off, s[0:3], 0 offset:28
	buffer_load_dword v122, off, s[0:3], 0 offset:36
	;; [unrolled: 1-line block ×40, first 2 shown]
	v_mov_b32_e32 v114, 0
	buffer_load_dword v7, off, s[0:3], 0 offset:176
	buffer_load_dword v8, off, s[0:3], 0 offset:180
	;; [unrolled: 1-line block ×11, first 2 shown]
	ds_read2_b64 v[151:154], v114 offset0:59 offset1:60
	ds_read2_b64 v[155:158], v114 offset0:61 offset1:62
	;; [unrolled: 1-line block ×8, first 2 shown]
	v_cmp_lt_u32_e32 vcc, 1, v0
	s_waitcnt vmcnt(50) lgkmcnt(7)
	v_mul_f32_e32 v1, v151, v123
	s_waitcnt vmcnt(49)
	v_mul_f32_e32 v2, v153, v122
	s_waitcnt vmcnt(48) lgkmcnt(6)
	v_mul_f32_e32 v18, v155, v121
	s_waitcnt vmcnt(47)
	v_mul_f32_e32 v19, v157, v120
	;; [unrolled: 4-line block ×5, first 2 shown]
	s_waitcnt vmcnt(40) lgkmcnt(2)
	v_mul_f32_e32 v26, v171, v127
	s_waitcnt vmcnt(39)
	v_fmac_f32_e32 v18, v156, v134
	s_waitcnt vmcnt(38)
	v_fmac_f32_e32 v2, v154, v137
	s_waitcnt vmcnt(37)
	v_fmac_f32_e32 v1, v152, v139
	v_add_f32_e32 v1, 0, v1
	v_add_f32_e32 v1, v1, v2
	;; [unrolled: 1-line block ×3, first 2 shown]
	s_waitcnt vmcnt(33)
	v_fmac_f32_e32 v19, v158, v138
	v_fmac_f32_e32 v20, v160, v136
	v_add_f32_e32 v1, v1, v19
	v_fmac_f32_e32 v21, v162, v133
	v_add_f32_e32 v1, v1, v20
	buffer_load_dword v18, off, s[0:3], 0 offset:216
	buffer_load_dword v19, off, s[0:3], 0 offset:224
	;; [unrolled: 1-line block ×3, first 2 shown]
	v_fmac_f32_e32 v22, v164, v130
	v_add_f32_e32 v1, v1, v21
	s_waitcnt vmcnt(32)
	v_fmac_f32_e32 v23, v166, v135
	v_add_f32_e32 v1, v1, v22
	buffer_load_dword v21, off, s[0:3], 0 offset:232
	buffer_load_dword v22, off, s[0:3], 0 offset:236
	v_fmac_f32_e32 v24, v168, v132
	v_add_f32_e32 v1, v1, v23
	v_fmac_f32_e32 v25, v170, v129
	v_add_f32_e32 v1, v1, v24
	ds_read2_b64 v[183:186], v114 offset0:75 offset1:76
	buffer_load_dword v23, off, s[0:3], 0 offset:240
	buffer_load_dword v24, off, s[0:3], 0 offset:244
	v_fmac_f32_e32 v26, v172, v128
	v_add_f32_e32 v1, v1, v25
	v_add_f32_e32 v1, v1, v26
	ds_read2_b64 v[187:190], v114 offset0:77 offset1:78
	buffer_load_dword v25, off, s[0:3], 0 offset:248
	buffer_load_dword v26, off, s[0:3], 0 offset:252
	ds_read2_b64 v[191:194], v114 offset0:79 offset1:80
	buffer_load_dword v27, off, s[0:3], 0 offset:260
	buffer_load_dword v28, off, s[0:3], 0 offset:264
	;; [unrolled: 1-line block ×4, first 2 shown]
	ds_read2_b64 v[195:198], v114 offset0:81 offset1:82
	buffer_load_dword v31, off, s[0:3], 0 offset:272
	buffer_load_dword v32, off, s[0:3], 0 offset:276
	;; [unrolled: 1-line block ×16, first 2 shown]
	ds_read2_b64 v[199:202], v114 offset0:83 offset1:84
	buffer_load_dword v47, off, s[0:3], 0 offset:336
	buffer_load_dword v48, off, s[0:3], 0 offset:340
	ds_read2_b64 v[203:206], v114 offset0:85 offset1:86
	buffer_load_dword v49, off, s[0:3], 0 offset:344
	buffer_load_dword v50, off, s[0:3], 0 offset:348
	;; [unrolled: 1-line block ×16, first 2 shown]
	ds_read2_b64 v[207:210], v114 offset0:87 offset1:88
	buffer_load_dword v65, off, s[0:3], 0 offset:408
	buffer_load_dword v66, off, s[0:3], 0 offset:412
	;; [unrolled: 1-line block ×6, first 2 shown]
	s_waitcnt vmcnt(62)
	v_mul_f32_e32 v2, v173, v131
	v_fmac_f32_e32 v2, v174, v146
	v_add_f32_e32 v1, v1, v2
	s_waitcnt lgkmcnt(8)
	v_mul_f32_e32 v2, v175, v145
	ds_read2_b64 v[211:214], v114 offset0:89 offset1:90
	buffer_load_dword v255, off, s[0:3], 0 offset:436
	buffer_load_dword v71, off, s[0:3], 0 offset:440
	;; [unrolled: 1-line block ×4, first 2 shown]
	v_fmac_f32_e32 v2, v176, v143
	v_add_f32_e32 v1, v1, v2
	v_mul_f32_e32 v2, v177, v144
	v_fmac_f32_e32 v2, v178, v141
	v_add_f32_e32 v1, v1, v2
	s_waitcnt lgkmcnt(8)
	v_mul_f32_e32 v2, v179, v142
	v_fmac_f32_e32 v2, v180, v140
	v_add_f32_e32 v1, v1, v2
	v_mul_f32_e32 v2, v181, v147
	v_fmac_f32_e32 v2, v182, v6
	v_add_f32_e32 v1, v1, v2
	s_waitcnt lgkmcnt(7)
	v_mul_f32_e32 v2, v183, v149
	;; [unrolled: 7-line block ×3, first 2 shown]
	v_fmac_f32_e32 v2, v188, v4
	v_add_f32_e32 v1, v1, v2
	v_mul_f32_e32 v2, v189, v8
	v_fmac_f32_e32 v2, v190, v7
	v_add_f32_e32 v1, v1, v2
	s_waitcnt vmcnt(62) lgkmcnt(5)
	v_mul_f32_e32 v2, v191, v10
	v_fmac_f32_e32 v2, v192, v9
	v_add_f32_e32 v1, v1, v2
	v_mul_f32_e32 v2, v193, v12
	v_fmac_f32_e32 v2, v194, v11
	v_add_f32_e32 v1, v1, v2
	s_waitcnt vmcnt(60) lgkmcnt(4)
	v_mul_f32_e32 v2, v195, v14
	v_fmac_f32_e32 v2, v196, v13
	v_add_f32_e32 v1, v1, v2
	s_waitcnt vmcnt(58)
	v_mul_f32_e32 v2, v197, v16
	v_fmac_f32_e32 v2, v198, v15
	v_add_f32_e32 v1, v1, v2
	s_waitcnt vmcnt(57) lgkmcnt(3)
	v_mul_f32_e32 v2, v199, v17
	ds_read2_b64 v[215:218], v114 offset0:91 offset1:92
	ds_read2_b64 v[219:222], v114 offset0:93 offset1:94
	;; [unrolled: 1-line block ×4, first 2 shown]
	s_waitcnt vmcnt(56)
	v_fmac_f32_e32 v2, v200, v18
	v_add_f32_e32 v1, v1, v2
	s_waitcnt vmcnt(54)
	v_mul_f32_e32 v2, v201, v20
	v_fmac_f32_e32 v2, v202, v19
	v_add_f32_e32 v1, v1, v2
	ds_read2_b64 v[231:234], v114 offset0:99 offset1:100
	ds_read2_b64 v[235:238], v114 offset0:101 offset1:102
	s_waitcnt vmcnt(52) lgkmcnt(8)
	v_mul_f32_e32 v2, v203, v22
	v_fmac_f32_e32 v2, v204, v21
	v_add_f32_e32 v1, v1, v2
	ds_read2_b64 v[239:242], v114 offset0:103 offset1:104
	ds_read2_b64 v[243:246], v114 offset0:105 offset1:106
	s_waitcnt vmcnt(50)
	v_mul_f32_e32 v2, v205, v24
	v_fmac_f32_e32 v2, v206, v23
	v_add_f32_e32 v1, v1, v2
	ds_read2_b64 v[247:250], v114 offset0:107 offset1:108
	ds_read2_b64 v[251:254], v114 offset0:109 offset1:110
	s_waitcnt vmcnt(48) lgkmcnt(11)
	v_mul_f32_e32 v2, v207, v26
	v_fmac_f32_e32 v2, v208, v25
	v_add_f32_e32 v1, v1, v2
	s_waitcnt vmcnt(47)
	v_mul_f32_e32 v2, v209, v27
	s_waitcnt vmcnt(44)
	v_fmac_f32_e32 v2, v210, v30
	v_add_f32_e32 v1, v1, v2
	s_waitcnt lgkmcnt(10)
	v_mul_f32_e32 v2, v211, v29
	v_fmac_f32_e32 v2, v212, v28
	v_add_f32_e32 v1, v1, v2
	s_waitcnt vmcnt(42)
	v_mul_f32_e32 v2, v213, v32
	v_fmac_f32_e32 v2, v214, v31
	v_add_f32_e32 v1, v1, v2
	s_waitcnt vmcnt(40) lgkmcnt(9)
	v_mul_f32_e32 v2, v215, v34
	v_fmac_f32_e32 v2, v216, v33
	v_add_f32_e32 v1, v1, v2
	s_waitcnt vmcnt(39)
	v_mul_f32_e32 v2, v217, v35
	s_waitcnt vmcnt(36)
	v_fmac_f32_e32 v2, v218, v38
	v_add_f32_e32 v1, v1, v2
	s_waitcnt lgkmcnt(8)
	v_mul_f32_e32 v2, v219, v37
	v_fmac_f32_e32 v2, v220, v36
	v_add_f32_e32 v1, v1, v2
	s_waitcnt vmcnt(34)
	v_mul_f32_e32 v2, v221, v40
	v_fmac_f32_e32 v2, v222, v39
	v_add_f32_e32 v1, v1, v2
	;; [unrolled: 17-line block ×5, first 2 shown]
	s_waitcnt vmcnt(8) lgkmcnt(1)
	v_mul_f32_e32 v2, v247, v66
	v_fmac_f32_e32 v2, v248, v65
	v_add_f32_e32 v1, v1, v2
	s_waitcnt vmcnt(7)
	v_mul_f32_e32 v2, v249, v67
	s_waitcnt vmcnt(4)
	v_fmac_f32_e32 v2, v250, v70
	v_add_f32_e32 v74, v1, v2
	ds_read_b64 v[1:2], v114 offset:888
	s_waitcnt lgkmcnt(1)
	v_mul_f32_e32 v75, v251, v69
	v_fmac_f32_e32 v75, v252, v68
	v_add_f32_e32 v74, v74, v75
	s_waitcnt vmcnt(3)
	v_mul_f32_e32 v75, v253, v255
	s_waitcnt vmcnt(0)
	v_fmac_f32_e32 v75, v254, v73
	v_add_f32_e32 v74, v74, v75
	s_waitcnt lgkmcnt(0)
	v_mul_f32_e32 v75, v1, v72
	v_fmac_f32_e32 v75, v2, v71
	v_add_f32_e32 v74, v74, v75
	v_mul_f32_e32 v75, v152, v123
	v_fma_f32 v75, v151, v139, -v75
	v_mul_f32_e32 v76, v154, v122
	v_add_f32_e32 v75, 0, v75
	v_fma_f32 v76, v153, v137, -v76
	v_add_f32_e32 v75, v75, v76
	v_mul_f32_e32 v76, v156, v121
	v_fma_f32 v76, v155, v134, -v76
	v_add_f32_e32 v75, v75, v76
	v_mul_f32_e32 v76, v158, v120
	;; [unrolled: 3-line block ×15, first 2 shown]
	v_fma_f32 v75, v183, v148, -v75
	v_mul_f32_e32 v3, v186, v3
	v_add_f32_e32 v6, v6, v75
	v_fma_f32 v3, v185, v150, -v3
	v_mul_f32_e32 v5, v188, v5
	v_add_f32_e32 v3, v6, v3
	v_fma_f32 v4, v187, v4, -v5
	v_add_f32_e32 v3, v3, v4
	v_mul_f32_e32 v4, v190, v8
	v_fma_f32 v4, v189, v7, -v4
	v_add_f32_e32 v3, v3, v4
	v_mul_f32_e32 v4, v192, v10
	;; [unrolled: 3-line block ×33, first 2 shown]
	v_fma_f32 v4, v253, v73, -v4
	v_mul_f32_e32 v2, v2, v72
	v_add_f32_e32 v3, v3, v4
	v_fma_f32 v1, v1, v71, -v2
	v_add_f32_e32 v1, v3, v1
	v_sub_f32_e32 v1, v115, v1
	v_sub_f32_e32 v2, v116, v74
	buffer_store_dword v1, off, s[0:3], 0 offset:16
	buffer_store_dword v2, off, s[0:3], 0 offset:20
	s_and_saveexec_b64 s[4:5], vcc
	s_cbranch_execz .LBB55_347
; %bb.346:
	buffer_load_dword v1, off, s[0:3], 0 offset:8
	buffer_load_dword v2, off, s[0:3], 0 offset:12
	s_waitcnt vmcnt(0)
	ds_write_b64 v113, v[1:2]
	buffer_store_dword v114, off, s[0:3], 0 offset:8
	buffer_store_dword v114, off, s[0:3], 0 offset:12
.LBB55_347:
	s_or_b64 exec, exec, s[4:5]
	s_waitcnt lgkmcnt(0)
	; wave barrier
	buffer_load_dword v123, off, s[0:3], 0 offset:20
	buffer_load_dword v122, off, s[0:3], 0 offset:28
	;; [unrolled: 1-line block ×40, first 2 shown]
	ds_read_b128 v[148:151], v114 offset:464
	ds_read_b128 v[152:155], v114 offset:480
	;; [unrolled: 1-line block ×6, first 2 shown]
	buffer_load_dword v8, off, s[0:3], 0 offset:168
	buffer_load_dword v9, off, s[0:3], 0 offset:172
	;; [unrolled: 1-line block ×12, first 2 shown]
	ds_read_b128 v[172:175], v114 offset:560
	ds_read_b128 v[176:179], v114 offset:576
	v_cmp_ne_u32_e32 vcc, 0, v0
	s_waitcnt vmcnt(51) lgkmcnt(7)
	v_mul_f32_e32 v20, v148, v123
	s_waitcnt vmcnt(50)
	v_mul_f32_e32 v21, v150, v122
	s_waitcnt vmcnt(49) lgkmcnt(6)
	v_mul_f32_e32 v22, v152, v121
	s_waitcnt vmcnt(48)
	v_mul_f32_e32 v23, v154, v120
	s_waitcnt vmcnt(47) lgkmcnt(5)
	v_mul_f32_e32 v24, v156, v119
	s_waitcnt vmcnt(46)
	v_mul_f32_e32 v25, v158, v116
	s_waitcnt vmcnt(45) lgkmcnt(4)
	v_mul_f32_e32 v26, v160, v115
	s_waitcnt vmcnt(44)
	v_mul_f32_e32 v27, v162, v124
	s_waitcnt vmcnt(43) lgkmcnt(3)
	v_mul_f32_e32 v28, v164, v125
	s_waitcnt vmcnt(42)
	v_mul_f32_e32 v29, v166, v126
	s_waitcnt vmcnt(41) lgkmcnt(2)
	v_mul_f32_e32 v30, v168, v127
	s_waitcnt vmcnt(40)
	v_fmac_f32_e32 v22, v153, v134
	s_waitcnt vmcnt(39)
	v_fmac_f32_e32 v21, v151, v137
	;; [unrolled: 2-line block ×3, first 2 shown]
	v_add_f32_e32 v20, 0, v20
	v_add_f32_e32 v20, v20, v21
	;; [unrolled: 1-line block ×3, first 2 shown]
	s_waitcnt vmcnt(34)
	v_fmac_f32_e32 v23, v155, v138
	v_fmac_f32_e32 v24, v157, v136
	v_add_f32_e32 v20, v20, v23
	v_fmac_f32_e32 v25, v159, v133
	v_add_f32_e32 v20, v20, v24
	;; [unrolled: 2-line block ×3, first 2 shown]
	s_waitcnt vmcnt(30)
	v_fmac_f32_e32 v27, v163, v135
	v_add_f32_e32 v20, v20, v26
	v_fmac_f32_e32 v28, v165, v132
	v_add_f32_e32 v20, v20, v27
	v_fmac_f32_e32 v29, v167, v129
	v_add_f32_e32 v20, v20, v28
	v_fmac_f32_e32 v30, v169, v128
	v_add_f32_e32 v20, v20, v29
	s_waitcnt vmcnt(29)
	v_mul_f32_e32 v21, v170, v131
	v_add_f32_e32 v20, v20, v30
	s_waitcnt vmcnt(25)
	v_fmac_f32_e32 v21, v171, v146
	v_add_f32_e32 v20, v20, v21
	s_waitcnt vmcnt(24) lgkmcnt(1)
	v_mul_f32_e32 v21, v172, v145
	buffer_load_dword v22, off, s[0:3], 0 offset:220
	buffer_load_dword v23, off, s[0:3], 0 offset:216
	;; [unrolled: 1-line block ×4, first 2 shown]
	v_fmac_f32_e32 v21, v173, v143
	v_add_f32_e32 v20, v20, v21
	s_waitcnt vmcnt(27)
	v_mul_f32_e32 v21, v174, v144
	v_fmac_f32_e32 v21, v175, v141
	v_add_f32_e32 v20, v20, v21
	buffer_load_dword v21, off, s[0:3], 0 offset:232
	buffer_load_dword v26, off, s[0:3], 0 offset:236
	ds_read_b128 v[180:183], v114 offset:592
	ds_read_b128 v[184:187], v114 offset:608
	s_waitcnt vmcnt(28) lgkmcnt(2)
	v_mul_f32_e32 v27, v176, v142
	v_fmac_f32_e32 v27, v177, v140
	v_add_f32_e32 v20, v20, v27
	s_waitcnt vmcnt(27)
	v_mul_f32_e32 v27, v178, v147
	s_waitcnt vmcnt(21)
	v_fmac_f32_e32 v27, v179, v6
	v_add_f32_e32 v20, v20, v27
	s_waitcnt vmcnt(20) lgkmcnt(1)
	v_mul_f32_e32 v27, v180, v7
	v_fmac_f32_e32 v27, v181, v5
	v_add_f32_e32 v20, v20, v27
	v_mul_f32_e32 v27, v182, v2
	buffer_load_dword v28, off, s[0:3], 0 offset:244
	v_fmac_f32_e32 v27, v183, v1
	buffer_load_dword v29, off, s[0:3], 0 offset:240
	buffer_load_dword v30, off, s[0:3], 0 offset:248
	;; [unrolled: 1-line block ×3, first 2 shown]
	ds_read_b128 v[188:191], v114 offset:624
	v_add_f32_e32 v20, v20, v27
	s_waitcnt lgkmcnt(1)
	v_mul_f32_e32 v27, v184, v4
	v_fmac_f32_e32 v27, v185, v3
	v_add_f32_e32 v20, v20, v27
	s_waitcnt vmcnt(20)
	v_mul_f32_e32 v27, v186, v9
	v_fmac_f32_e32 v27, v187, v8
	buffer_load_dword v32, off, s[0:3], 0 offset:256
	buffer_load_dword v33, off, s[0:3], 0 offset:260
	v_add_f32_e32 v20, v20, v27
	s_waitcnt vmcnt(20) lgkmcnt(0)
	v_mul_f32_e32 v27, v188, v11
	v_fmac_f32_e32 v27, v189, v10
	ds_read_b128 v[192:195], v114 offset:640
	v_add_f32_e32 v20, v20, v27
	buffer_load_dword v27, off, s[0:3], 0 offset:264
	buffer_load_dword v34, off, s[0:3], 0 offset:268
	s_waitcnt vmcnt(20)
	v_mul_f32_e32 v35, v190, v13
	v_fmac_f32_e32 v35, v191, v12
	buffer_load_dword v36, off, s[0:3], 0 offset:272
	buffer_load_dword v37, off, s[0:3], 0 offset:276
	;; [unrolled: 1-line block ×6, first 2 shown]
	v_add_f32_e32 v20, v20, v35
	s_waitcnt vmcnt(24) lgkmcnt(0)
	v_mul_f32_e32 v35, v192, v15
	v_fmac_f32_e32 v35, v193, v14
	v_add_f32_e32 v20, v20, v35
	buffer_load_dword v35, off, s[0:3], 0 offset:296
	buffer_load_dword v42, off, s[0:3], 0 offset:300
	ds_read_b128 v[196:199], v114 offset:656
	buffer_load_dword v44, off, s[0:3], 0 offset:304
	buffer_load_dword v45, off, s[0:3], 0 offset:308
	;; [unrolled: 1-line block ×6, first 2 shown]
	ds_read_b128 v[200:203], v114 offset:672
	buffer_load_dword v50, off, s[0:3], 0 offset:328
	buffer_load_dword v51, off, s[0:3], 0 offset:332
	s_waitcnt vmcnt(32)
	v_mul_f32_e32 v43, v194, v17
	v_fmac_f32_e32 v43, v195, v16
	v_add_f32_e32 v20, v20, v43
	s_waitcnt vmcnt(30) lgkmcnt(1)
	v_mul_f32_e32 v43, v196, v19
	v_fmac_f32_e32 v43, v197, v18
	v_add_f32_e32 v20, v20, v43
	buffer_load_dword v43, off, s[0:3], 0 offset:336
	buffer_load_dword v52, off, s[0:3], 0 offset:340
	;; [unrolled: 1-line block ×8, first 2 shown]
	v_mul_f32_e32 v80, v151, v122
	v_fma_f32 v80, v150, v137, -v80
	v_mul_f32_e32 v7, v181, v7
	v_fma_f32 v5, v180, v5, -v7
	;; [unrolled: 2-line block ×4, first 2 shown]
	s_waitcnt vmcnt(37)
	v_mul_f32_e32 v57, v198, v22
	s_waitcnt vmcnt(36)
	v_fmac_f32_e32 v57, v199, v23
	v_add_f32_e32 v20, v20, v57
	s_waitcnt vmcnt(34) lgkmcnt(0)
	v_mul_f32_e32 v57, v200, v25
	v_fmac_f32_e32 v57, v201, v24
	v_add_f32_e32 v20, v20, v57
	buffer_load_dword v57, off, s[0:3], 0 offset:368
	buffer_load_dword v60, off, s[0:3], 0 offset:372
	;; [unrolled: 1-line block ×6, first 2 shown]
	ds_read_b128 v[204:207], v114 offset:688
	s_waitcnt vmcnt(38)
	v_mul_f32_e32 v65, v202, v26
	v_fmac_f32_e32 v65, v203, v21
	v_add_f32_e32 v20, v20, v65
	buffer_load_dword v65, off, s[0:3], 0 offset:392
	buffer_load_dword v66, off, s[0:3], 0 offset:396
	ds_read_b128 v[208:211], v114 offset:704
	buffer_load_dword v68, off, s[0:3], 0 offset:400
	buffer_load_dword v69, off, s[0:3], 0 offset:404
	;; [unrolled: 1-line block ×12, first 2 shown]
	ds_read_b128 v[212:215], v114 offset:720
	ds_read_b128 v[216:219], v114 offset:736
	ds_read_b128 v[220:223], v114 offset:752
	ds_read_b128 v[224:227], v114 offset:768
	ds_read_b128 v[228:231], v114 offset:784
	ds_read_b128 v[232:235], v114 offset:800
	s_waitcnt vmcnt(51) lgkmcnt(7)
	v_mul_f32_e32 v67, v204, v28
	s_waitcnt vmcnt(50)
	v_fmac_f32_e32 v67, v205, v29
	v_add_f32_e32 v20, v20, v67
	s_waitcnt vmcnt(48)
	v_mul_f32_e32 v67, v206, v31
	v_fmac_f32_e32 v67, v207, v30
	v_add_f32_e32 v20, v20, v67
	ds_read_b128 v[236:239], v114 offset:816
	ds_read_b128 v[240:243], v114 offset:832
	;; [unrolled: 1-line block ×4, first 2 shown]
	s_waitcnt vmcnt(46) lgkmcnt(10)
	v_mul_f32_e32 v67, v208, v33
	v_fmac_f32_e32 v67, v209, v32
	v_add_f32_e32 v20, v20, v67
	ds_read_b128 v[252:255], v114 offset:880
	s_waitcnt vmcnt(44)
	v_mul_f32_e32 v67, v210, v34
	v_fmac_f32_e32 v67, v211, v27
	v_add_f32_e32 v20, v20, v67
	s_waitcnt vmcnt(42) lgkmcnt(10)
	v_mul_f32_e32 v67, v212, v37
	v_fmac_f32_e32 v67, v213, v36
	v_add_f32_e32 v20, v20, v67
	s_waitcnt vmcnt(41)
	v_mul_f32_e32 v67, v214, v38
	s_waitcnt vmcnt(38)
	v_fmac_f32_e32 v67, v215, v41
	v_add_f32_e32 v20, v20, v67
	s_waitcnt lgkmcnt(9)
	v_mul_f32_e32 v67, v216, v40
	v_fmac_f32_e32 v67, v217, v39
	v_add_f32_e32 v20, v20, v67
	s_waitcnt vmcnt(36)
	v_mul_f32_e32 v67, v218, v42
	v_fmac_f32_e32 v67, v219, v35
	v_add_f32_e32 v20, v20, v67
	s_waitcnt vmcnt(34) lgkmcnt(8)
	v_mul_f32_e32 v67, v220, v45
	v_fmac_f32_e32 v67, v221, v44
	v_add_f32_e32 v20, v20, v67
	s_waitcnt vmcnt(33)
	v_mul_f32_e32 v67, v222, v46
	s_waitcnt vmcnt(30)
	v_fmac_f32_e32 v67, v223, v49
	v_add_f32_e32 v20, v20, v67
	s_waitcnt lgkmcnt(7)
	v_mul_f32_e32 v67, v224, v48
	v_fmac_f32_e32 v67, v225, v47
	v_add_f32_e32 v20, v20, v67
	;; [unrolled: 17-line block ×5, first 2 shown]
	s_waitcnt vmcnt(4)
	v_mul_f32_e32 v67, v250, v75
	v_fmac_f32_e32 v67, v251, v74
	v_add_f32_e32 v20, v20, v67
	s_waitcnt vmcnt(3) lgkmcnt(0)
	v_mul_f32_e32 v67, v252, v76
	s_waitcnt vmcnt(0)
	v_fmac_f32_e32 v67, v253, v79
	v_add_f32_e32 v20, v20, v67
	v_mul_f32_e32 v67, v254, v78
	v_fmac_f32_e32 v67, v255, v77
	v_add_f32_e32 v20, v20, v67
	v_mul_f32_e32 v67, v149, v123
	v_fma_f32 v67, v148, v139, -v67
	v_add_f32_e32 v67, 0, v67
	v_add_f32_e32 v67, v67, v80
	v_mul_f32_e32 v80, v153, v121
	v_fma_f32 v80, v152, v134, -v80
	v_add_f32_e32 v67, v67, v80
	v_mul_f32_e32 v80, v155, v120
	v_fma_f32 v80, v154, v138, -v80
	;; [unrolled: 3-line block ×14, first 2 shown]
	v_add_f32_e32 v6, v67, v6
	v_add_f32_e32 v5, v6, v5
	;; [unrolled: 1-line block ×4, first 2 shown]
	v_mul_f32_e32 v2, v187, v9
	v_fma_f32 v2, v186, v8, -v2
	v_add_f32_e32 v1, v1, v2
	v_mul_f32_e32 v2, v189, v11
	v_fma_f32 v2, v188, v10, -v2
	v_add_f32_e32 v1, v1, v2
	;; [unrolled: 3-line block ×35, first 2 shown]
	v_sub_f32_e32 v1, v117, v1
	v_sub_f32_e32 v2, v118, v20
	buffer_store_dword v1, off, s[0:3], 0 offset:8
	buffer_store_dword v2, off, s[0:3], 0 offset:12
	s_and_saveexec_b64 s[4:5], vcc
	s_cbranch_execz .LBB55_349
; %bb.348:
	buffer_load_dword v0, off, s[0:3], 0
	buffer_load_dword v1, off, s[0:3], 0 offset:4
	v_mov_b32_e32 v2, 0
	buffer_store_dword v2, off, s[0:3], 0
	buffer_store_dword v2, off, s[0:3], 0 offset:4
	s_waitcnt vmcnt(2)
	ds_write_b64 v113, v[0:1]
.LBB55_349:
	s_or_b64 exec, exec, s[4:5]
	s_waitcnt lgkmcnt(0)
	; wave barrier
	buffer_load_dword v121, off, s[0:3], 0 offset:12
	buffer_load_dword v120, off, s[0:3], 0 offset:20
	buffer_load_dword v119, off, s[0:3], 0 offset:28
	buffer_load_dword v118, off, s[0:3], 0 offset:36
	buffer_load_dword v117, off, s[0:3], 0 offset:44
	buffer_load_dword v116, off, s[0:3], 0 offset:52
	buffer_load_dword v115, off, s[0:3], 0 offset:60
	buffer_load_dword v122, off, s[0:3], 0 offset:68
	buffer_load_dword v123, off, s[0:3], 0 offset:76
	buffer_load_dword v124, off, s[0:3], 0 offset:84
	buffer_load_dword v125, off, s[0:3], 0 offset:92
	buffer_load_dword v132, off, s[0:3], 0 offset:24
	buffer_load_dword v135, off, s[0:3], 0 offset:16
	buffer_load_dword v137, off, s[0:3], 0 offset:8
	buffer_load_dword v128, off, s[0:3], 0 offset:56
	buffer_load_dword v131, off, s[0:3], 0 offset:48
	buffer_load_dword v134, off, s[0:3], 0 offset:40
	buffer_load_dword v136, off, s[0:3], 0 offset:32
	buffer_load_dword v126, off, s[0:3], 0 offset:88
	buffer_load_dword v127, off, s[0:3], 0 offset:80
	buffer_load_dword v130, off, s[0:3], 0 offset:72
	buffer_load_dword v133, off, s[0:3], 0 offset:64
	buffer_load_dword v129, off, s[0:3], 0 offset:100
	buffer_load_dword v138, off, s[0:3], 0 offset:120
	buffer_load_dword v139, off, s[0:3], 0 offset:124
	buffer_load_dword v140, off, s[0:3], 0 offset:112
	buffer_load_dword v141, off, s[0:3], 0 offset:104
	buffer_load_dword v145, off, s[0:3], 0 offset:96
	buffer_load_dword v143, off, s[0:3], 0 offset:108
	buffer_load_dword v142, off, s[0:3], 0 offset:116
	buffer_load_dword v144, off, s[0:3], 0 offset:132
	buffer_load_dword v146, off, s[0:3], 0 offset:136
	buffer_load_dword v147, off, s[0:3], 0 offset:140
	buffer_load_dword v148, off, s[0:3], 0 offset:144
	buffer_load_dword v149, off, s[0:3], 0 offset:148
	buffer_load_dword v150, off, s[0:3], 0 offset:152
	buffer_load_dword v151, off, s[0:3], 0 offset:156
	buffer_load_dword v7, off, s[0:3], 0 offset:128
	buffer_load_dword v113, off, s[0:3], 0
	buffer_load_dword v114, off, s[0:3], 0 offset:4
	v_mov_b32_e32 v0, 0
	buffer_load_dword v8, off, s[0:3], 0 offset:160
	buffer_load_dword v9, off, s[0:3], 0 offset:164
	;; [unrolled: 1-line block ×12, first 2 shown]
	ds_read2_b64 v[152:155], v0 offset0:57 offset1:58
	ds_read2_b64 v[156:159], v0 offset0:59 offset1:60
	;; [unrolled: 1-line block ×6, first 2 shown]
	s_and_b64 vcc, exec, s[22:23]
	s_waitcnt vmcnt(51) lgkmcnt(5)
	v_mul_f32_e32 v1, v152, v121
	s_waitcnt vmcnt(50)
	v_mul_f32_e32 v2, v154, v120
	s_waitcnt vmcnt(49) lgkmcnt(4)
	v_mul_f32_e32 v3, v156, v119
	s_waitcnt vmcnt(48)
	v_mul_f32_e32 v4, v158, v118
	;; [unrolled: 4-line block ×5, first 2 shown]
	s_waitcnt vmcnt(41) lgkmcnt(0)
	v_mul_f32_e32 v24, v172, v125
	s_waitcnt vmcnt(40)
	v_fmac_f32_e32 v3, v157, v132
	s_waitcnt vmcnt(39)
	v_fmac_f32_e32 v2, v155, v135
	;; [unrolled: 2-line block ×3, first 2 shown]
	v_add_f32_e32 v1, 0, v1
	v_add_f32_e32 v1, v1, v2
	;; [unrolled: 1-line block ×3, first 2 shown]
	s_waitcnt vmcnt(34)
	v_fmac_f32_e32 v4, v159, v136
	v_fmac_f32_e32 v5, v161, v134
	v_add_f32_e32 v1, v1, v4
	v_fmac_f32_e32 v6, v163, v131
	v_add_f32_e32 v1, v1, v5
	;; [unrolled: 2-line block ×3, first 2 shown]
	s_waitcnt vmcnt(30)
	v_fmac_f32_e32 v21, v167, v133
	v_add_f32_e32 v1, v1, v20
	v_fmac_f32_e32 v22, v169, v130
	v_add_f32_e32 v1, v1, v21
	buffer_load_dword v20, off, s[0:3], 0 offset:208
	buffer_load_dword v21, off, s[0:3], 0 offset:212
	v_fmac_f32_e32 v23, v171, v127
	v_add_f32_e32 v1, v1, v22
	v_add_f32_e32 v1, v1, v23
	ds_read2_b64 v[176:179], v0 offset0:69 offset1:70
	buffer_load_dword v22, off, s[0:3], 0 offset:216
	buffer_load_dword v23, off, s[0:3], 0 offset:220
	v_fmac_f32_e32 v24, v173, v126
	v_add_f32_e32 v1, v1, v24
	ds_read2_b64 v[180:183], v0 offset0:71 offset1:72
	buffer_load_dword v24, off, s[0:3], 0 offset:224
	buffer_load_dword v25, off, s[0:3], 0 offset:228
	ds_read2_b64 v[184:187], v0 offset0:73 offset1:74
	buffer_load_dword v26, off, s[0:3], 0 offset:232
	buffer_load_dword v27, off, s[0:3], 0 offset:236
	;; [unrolled: 3-line block ×3, first 2 shown]
	buffer_load_dword v30, off, s[0:3], 0 offset:248
	buffer_load_dword v31, off, s[0:3], 0 offset:252
	ds_read2_b64 v[192:195], v0 offset0:77 offset1:78
	ds_read2_b64 v[196:199], v0 offset0:79 offset1:80
	buffer_load_dword v32, off, s[0:3], 0 offset:256
	buffer_load_dword v33, off, s[0:3], 0 offset:260
	;; [unrolled: 1-line block ×10, first 2 shown]
	ds_read2_b64 v[200:203], v0 offset0:81 offset1:82
	buffer_load_dword v42, off, s[0:3], 0 offset:296
	buffer_load_dword v43, off, s[0:3], 0 offset:300
	;; [unrolled: 1-line block ×6, first 2 shown]
	ds_read2_b64 v[204:207], v0 offset0:83 offset1:84
	buffer_load_dword v48, off, s[0:3], 0 offset:320
	buffer_load_dword v49, off, s[0:3], 0 offset:324
	;; [unrolled: 1-line block ×10, first 2 shown]
	ds_read2_b64 v[208:211], v0 offset0:85 offset1:86
	buffer_load_dword v58, off, s[0:3], 0 offset:360
	buffer_load_dword v59, off, s[0:3], 0 offset:364
	;; [unrolled: 1-line block ×6, first 2 shown]
	ds_read2_b64 v[212:215], v0 offset0:87 offset1:88
	buffer_load_dword v64, off, s[0:3], 0 offset:384
	buffer_load_dword v65, off, s[0:3], 0 offset:388
	buffer_load_dword v66, off, s[0:3], 0 offset:392
	buffer_load_dword v67, off, s[0:3], 0 offset:396
	buffer_load_dword v68, off, s[0:3], 0 offset:404
	buffer_load_dword v69, off, s[0:3], 0 offset:408
	buffer_load_dword v70, off, s[0:3], 0 offset:412
	buffer_load_dword v71, off, s[0:3], 0 offset:400
	s_waitcnt vmcnt(62)
	v_mul_f32_e32 v2, v174, v129
	v_fmac_f32_e32 v2, v175, v145
	v_add_f32_e32 v1, v1, v2
	s_waitcnt lgkmcnt(9)
	v_mul_f32_e32 v2, v176, v143
	buffer_load_dword v72, off, s[0:3], 0 offset:416
	buffer_load_dword v73, off, s[0:3], 0 offset:420
	v_fmac_f32_e32 v2, v177, v141
	v_add_f32_e32 v1, v1, v2
	v_mul_f32_e32 v2, v178, v142
	v_fmac_f32_e32 v2, v179, v140
	v_add_f32_e32 v1, v1, v2
	s_waitcnt lgkmcnt(8)
	v_mul_f32_e32 v2, v180, v139
	v_fmac_f32_e32 v2, v181, v138
	v_add_f32_e32 v1, v1, v2
	v_mul_f32_e32 v2, v182, v144
	buffer_load_dword v74, off, s[0:3], 0 offset:424
	buffer_load_dword v75, off, s[0:3], 0 offset:428
	;; [unrolled: 1-line block ×6, first 2 shown]
	v_fmac_f32_e32 v2, v183, v7
	v_add_f32_e32 v1, v1, v2
	s_waitcnt lgkmcnt(7)
	v_mul_f32_e32 v2, v184, v147
	v_fmac_f32_e32 v2, v185, v146
	v_add_f32_e32 v1, v1, v2
	v_mul_f32_e32 v2, v186, v149
	v_fmac_f32_e32 v2, v187, v148
	v_add_f32_e32 v1, v1, v2
	s_waitcnt lgkmcnt(6)
	v_mul_f32_e32 v2, v188, v151
	v_fmac_f32_e32 v2, v189, v150
	v_add_f32_e32 v1, v1, v2
	v_mul_f32_e32 v2, v190, v9
	v_fmac_f32_e32 v2, v191, v8
	v_add_f32_e32 v1, v1, v2
	s_waitcnt vmcnt(62) lgkmcnt(5)
	v_mul_f32_e32 v2, v192, v11
	v_fmac_f32_e32 v2, v193, v10
	v_add_f32_e32 v1, v1, v2
	v_mul_f32_e32 v2, v194, v13
	v_fmac_f32_e32 v2, v195, v12
	v_add_f32_e32 v1, v1, v2
	s_waitcnt lgkmcnt(4)
	v_mul_f32_e32 v2, v196, v15
	v_fmac_f32_e32 v2, v197, v14
	v_add_f32_e32 v1, v1, v2
	v_mul_f32_e32 v2, v198, v17
	v_fmac_f32_e32 v2, v199, v16
	v_add_f32_e32 v1, v1, v2
	s_waitcnt vmcnt(60) lgkmcnt(3)
	v_mul_f32_e32 v2, v200, v19
	v_fmac_f32_e32 v2, v201, v18
	v_add_f32_e32 v1, v1, v2
	ds_read2_b64 v[216:219], v0 offset0:89 offset1:90
	ds_read2_b64 v[220:223], v0 offset0:91 offset1:92
	ds_read2_b64 v[224:227], v0 offset0:93 offset1:94
	ds_read2_b64 v[228:231], v0 offset0:95 offset1:96
	ds_read2_b64 v[232:235], v0 offset0:97 offset1:98
	ds_read2_b64 v[236:239], v0 offset0:99 offset1:100
	s_waitcnt vmcnt(58)
	v_mul_f32_e32 v2, v202, v21
	v_fmac_f32_e32 v2, v203, v20
	v_add_f32_e32 v1, v1, v2
	ds_read2_b64 v[240:243], v0 offset0:101 offset1:102
	ds_read2_b64 v[244:247], v0 offset0:103 offset1:104
	s_waitcnt vmcnt(56) lgkmcnt(10)
	v_mul_f32_e32 v2, v204, v23
	v_fmac_f32_e32 v2, v205, v22
	v_add_f32_e32 v1, v1, v2
	ds_read2_b64 v[248:251], v0 offset0:105 offset1:106
	ds_read2_b64 v[252:255], v0 offset0:107 offset1:108
	s_waitcnt vmcnt(54)
	v_mul_f32_e32 v2, v206, v25
	v_fmac_f32_e32 v2, v207, v24
	v_add_f32_e32 v1, v1, v2
	s_waitcnt vmcnt(52) lgkmcnt(11)
	v_mul_f32_e32 v2, v208, v27
	v_fmac_f32_e32 v2, v209, v26
	v_add_f32_e32 v1, v1, v2
	s_waitcnt vmcnt(51)
	v_mul_f32_e32 v2, v210, v28
	s_waitcnt vmcnt(50)
	v_fmac_f32_e32 v2, v211, v29
	v_add_f32_e32 v1, v1, v2
	s_waitcnt vmcnt(48) lgkmcnt(10)
	v_mul_f32_e32 v2, v212, v31
	v_fmac_f32_e32 v2, v213, v30
	v_add_f32_e32 v1, v1, v2
	s_waitcnt vmcnt(46)
	v_mul_f32_e32 v2, v214, v33
	v_fmac_f32_e32 v2, v215, v32
	v_add_f32_e32 v1, v1, v2
	s_waitcnt vmcnt(44) lgkmcnt(9)
	v_mul_f32_e32 v2, v216, v35
	v_fmac_f32_e32 v2, v217, v34
	v_add_f32_e32 v1, v1, v2
	s_waitcnt vmcnt(43)
	v_mul_f32_e32 v2, v218, v36
	s_waitcnt vmcnt(40)
	v_fmac_f32_e32 v2, v219, v39
	v_add_f32_e32 v1, v1, v2
	s_waitcnt lgkmcnt(8)
	v_mul_f32_e32 v2, v220, v38
	v_fmac_f32_e32 v2, v221, v37
	v_add_f32_e32 v1, v1, v2
	s_waitcnt vmcnt(38)
	v_mul_f32_e32 v2, v222, v41
	v_fmac_f32_e32 v2, v223, v40
	v_add_f32_e32 v1, v1, v2
	s_waitcnt vmcnt(36) lgkmcnt(7)
	v_mul_f32_e32 v2, v224, v43
	v_fmac_f32_e32 v2, v225, v42
	v_add_f32_e32 v1, v1, v2
	s_waitcnt vmcnt(35)
	v_mul_f32_e32 v2, v226, v44
	s_waitcnt vmcnt(32)
	v_fmac_f32_e32 v2, v227, v47
	v_add_f32_e32 v1, v1, v2
	s_waitcnt lgkmcnt(6)
	;; [unrolled: 17-line block ×5, first 2 shown]
	v_mul_f32_e32 v2, v252, v70
	v_fmac_f32_e32 v2, v253, v69
	v_add_f32_e32 v5, v1, v2
	ds_read2_b64 v[1:4], v0 offset0:109 offset1:110
	s_waitcnt vmcnt(6)
	v_mul_f32_e32 v6, v254, v73
	v_fmac_f32_e32 v6, v255, v72
	v_add_f32_e32 v80, v5, v6
	ds_read_b64 v[5:6], v0 offset:888
	s_waitcnt vmcnt(4) lgkmcnt(1)
	v_mul_f32_e32 v81, v1, v75
	v_fmac_f32_e32 v81, v2, v74
	v_add_f32_e32 v80, v80, v81
	s_waitcnt vmcnt(3)
	v_mul_f32_e32 v81, v3, v76
	s_waitcnt vmcnt(0)
	v_fmac_f32_e32 v81, v4, v79
	v_add_f32_e32 v80, v80, v81
	s_waitcnt lgkmcnt(0)
	v_mul_f32_e32 v81, v5, v78
	v_fmac_f32_e32 v81, v6, v77
	v_add_f32_e32 v80, v80, v81
	v_mul_f32_e32 v81, v153, v121
	v_fma_f32 v81, v152, v137, -v81
	v_mul_f32_e32 v82, v155, v120
	v_add_f32_e32 v81, 0, v81
	v_fma_f32 v82, v154, v135, -v82
	v_add_f32_e32 v81, v81, v82
	v_mul_f32_e32 v82, v157, v119
	v_fma_f32 v82, v156, v132, -v82
	v_add_f32_e32 v81, v81, v82
	v_mul_f32_e32 v82, v159, v118
	;; [unrolled: 3-line block ×17, first 2 shown]
	v_fma_f32 v81, v188, v150, -v81
	v_mul_f32_e32 v9, v191, v9
	v_add_f32_e32 v7, v7, v81
	v_fma_f32 v8, v190, v8, -v9
	v_add_f32_e32 v7, v7, v8
	v_mul_f32_e32 v8, v193, v11
	v_fma_f32 v8, v192, v10, -v8
	v_add_f32_e32 v7, v7, v8
	v_mul_f32_e32 v8, v195, v13
	;; [unrolled: 3-line block ×32, first 2 shown]
	v_fma_f32 v8, v254, v72, -v8
	v_mul_f32_e32 v2, v2, v75
	v_add_f32_e32 v7, v7, v8
	v_fma_f32 v1, v1, v74, -v2
	v_mul_f32_e32 v2, v4, v76
	v_add_f32_e32 v1, v7, v1
	v_fma_f32 v2, v3, v79, -v2
	v_add_f32_e32 v1, v1, v2
	v_mul_f32_e32 v2, v6, v78
	v_fma_f32 v2, v5, v77, -v2
	v_add_f32_e32 v1, v1, v2
	v_sub_f32_e32 v1, v113, v1
	v_sub_f32_e32 v2, v114, v80
	buffer_store_dword v1, off, s[0:3], 0
	buffer_store_dword v2, off, s[0:3], 0 offset:4
	s_cbranch_vccz .LBB55_460
; %bb.350:
	global_load_dword v0, v0, s[20:21] offset:216
	s_waitcnt vmcnt(0)
	v_add_u32_e32 v0, -1, v0
	v_cmp_ne_u32_e32 vcc, 54, v0
	s_cbranch_vccz .LBB55_352
; %bb.351:
	v_lshlrev_b32_e32 v0, 3, v0
	buffer_load_dword v1, v0, s[0:3], 0 offen
	buffer_load_dword v2, v0, s[0:3], 0 offen offset:4
	buffer_load_dword v3, off, s[0:3], 0 offset:436
	buffer_load_dword v4, off, s[0:3], 0 offset:432
	s_waitcnt vmcnt(3)
	buffer_store_dword v1, off, s[0:3], 0 offset:432
	s_waitcnt vmcnt(3)
	buffer_store_dword v2, off, s[0:3], 0 offset:436
	s_waitcnt vmcnt(3)
	buffer_store_dword v3, v0, s[0:3], 0 offen offset:4
	s_waitcnt vmcnt(3)
	buffer_store_dword v4, v0, s[0:3], 0 offen
.LBB55_352:
	v_mov_b32_e32 v0, 0
	global_load_dword v1, v0, s[20:21] offset:212
	s_waitcnt vmcnt(0)
	v_add_u32_e32 v113, -1, v1
	v_cmp_eq_u32_e32 vcc, 53, v113
	s_cbranch_vccnz .LBB55_354
; %bb.353:
	v_lshlrev_b32_e32 v1, 3, v113
	buffer_load_dword v2, v1, s[0:3], 0 offen
	buffer_load_dword v3, v1, s[0:3], 0 offen offset:4
	buffer_load_dword v4, off, s[0:3], 0 offset:424
	buffer_load_dword v5, off, s[0:3], 0 offset:428
	s_waitcnt vmcnt(3)
	buffer_store_dword v2, off, s[0:3], 0 offset:424
	s_waitcnt vmcnt(3)
	buffer_store_dword v3, off, s[0:3], 0 offset:428
	s_waitcnt vmcnt(3)
	buffer_store_dword v4, v1, s[0:3], 0 offen
	s_waitcnt vmcnt(3)
	buffer_store_dword v5, v1, s[0:3], 0 offen offset:4
.LBB55_354:
	global_load_dword v0, v0, s[20:21] offset:208
	s_waitcnt vmcnt(0)
	v_add_u32_e32 v0, -1, v0
	v_cmp_eq_u32_e32 vcc, 52, v0
	s_cbranch_vccnz .LBB55_356
; %bb.355:
	v_lshlrev_b32_e32 v0, 3, v0
	buffer_load_dword v1, v0, s[0:3], 0 offen
	buffer_load_dword v2, v0, s[0:3], 0 offen offset:4
	buffer_load_dword v3, off, s[0:3], 0 offset:420
	buffer_load_dword v4, off, s[0:3], 0 offset:416
	s_waitcnt vmcnt(3)
	buffer_store_dword v1, off, s[0:3], 0 offset:416
	s_waitcnt vmcnt(3)
	buffer_store_dword v2, off, s[0:3], 0 offset:420
	s_waitcnt vmcnt(3)
	buffer_store_dword v3, v0, s[0:3], 0 offen offset:4
	s_waitcnt vmcnt(3)
	buffer_store_dword v4, v0, s[0:3], 0 offen
.LBB55_356:
	v_mov_b32_e32 v0, 0
	global_load_dword v1, v0, s[20:21] offset:204
	s_waitcnt vmcnt(0)
	v_add_u32_e32 v113, -1, v1
	v_cmp_eq_u32_e32 vcc, 51, v113
	s_cbranch_vccnz .LBB55_358
; %bb.357:
	v_lshlrev_b32_e32 v1, 3, v113
	buffer_load_dword v2, v1, s[0:3], 0 offen
	buffer_load_dword v3, v1, s[0:3], 0 offen offset:4
	buffer_load_dword v4, off, s[0:3], 0 offset:408
	buffer_load_dword v5, off, s[0:3], 0 offset:412
	s_waitcnt vmcnt(3)
	buffer_store_dword v2, off, s[0:3], 0 offset:408
	s_waitcnt vmcnt(3)
	buffer_store_dword v3, off, s[0:3], 0 offset:412
	s_waitcnt vmcnt(3)
	buffer_store_dword v4, v1, s[0:3], 0 offen
	s_waitcnt vmcnt(3)
	buffer_store_dword v5, v1, s[0:3], 0 offen offset:4
.LBB55_358:
	global_load_dword v0, v0, s[20:21] offset:200
	s_waitcnt vmcnt(0)
	v_add_u32_e32 v0, -1, v0
	v_cmp_eq_u32_e32 vcc, 50, v0
	s_cbranch_vccnz .LBB55_360
; %bb.359:
	v_lshlrev_b32_e32 v0, 3, v0
	buffer_load_dword v1, v0, s[0:3], 0 offen
	buffer_load_dword v2, v0, s[0:3], 0 offen offset:4
	buffer_load_dword v3, off, s[0:3], 0 offset:404
	buffer_load_dword v4, off, s[0:3], 0 offset:400
	s_waitcnt vmcnt(3)
	buffer_store_dword v1, off, s[0:3], 0 offset:400
	s_waitcnt vmcnt(3)
	buffer_store_dword v2, off, s[0:3], 0 offset:404
	s_waitcnt vmcnt(3)
	buffer_store_dword v3, v0, s[0:3], 0 offen offset:4
	s_waitcnt vmcnt(3)
	buffer_store_dword v4, v0, s[0:3], 0 offen
.LBB55_360:
	;; [unrolled: 41-line block ×26, first 2 shown]
	v_mov_b32_e32 v0, 0
	global_load_dword v1, v0, s[20:21] offset:4
	s_waitcnt vmcnt(0)
	v_add_u32_e32 v113, -1, v1
	v_cmp_eq_u32_e32 vcc, 1, v113
	s_cbranch_vccnz .LBB55_458
; %bb.457:
	v_lshlrev_b32_e32 v1, 3, v113
	buffer_load_dword v2, v1, s[0:3], 0 offen
	buffer_load_dword v3, v1, s[0:3], 0 offen offset:4
	buffer_load_dword v4, off, s[0:3], 0 offset:8
	buffer_load_dword v5, off, s[0:3], 0 offset:12
	s_waitcnt vmcnt(3)
	buffer_store_dword v2, off, s[0:3], 0 offset:8
	s_waitcnt vmcnt(3)
	buffer_store_dword v3, off, s[0:3], 0 offset:12
	s_waitcnt vmcnt(3)
	buffer_store_dword v4, v1, s[0:3], 0 offen
	s_waitcnt vmcnt(3)
	buffer_store_dword v5, v1, s[0:3], 0 offen offset:4
.LBB55_458:
	global_load_dword v0, v0, s[20:21]
	s_waitcnt vmcnt(0)
	v_add_u32_e32 v0, -1, v0
	v_cmp_eq_u32_e32 vcc, 0, v0
	s_cbranch_vccnz .LBB55_460
; %bb.459:
	v_lshlrev_b32_e32 v0, 3, v0
	buffer_load_dword v1, v0, s[0:3], 0 offen
	buffer_load_dword v2, v0, s[0:3], 0 offen offset:4
	buffer_load_dword v3, off, s[0:3], 0 offset:4
	buffer_load_dword v4, off, s[0:3], 0
	s_waitcnt vmcnt(3)
	buffer_store_dword v1, off, s[0:3], 0
	s_waitcnt vmcnt(3)
	buffer_store_dword v2, off, s[0:3], 0 offset:4
	s_waitcnt vmcnt(3)
	buffer_store_dword v3, v0, s[0:3], 0 offen offset:4
	s_waitcnt vmcnt(3)
	buffer_store_dword v4, v0, s[0:3], 0 offen
.LBB55_460:
	buffer_load_dword v0, off, s[0:3], 0
	s_nop 0
	buffer_load_dword v1, off, s[0:3], 0 offset:4
	buffer_load_dword v2, off, s[0:3], 0 offset:8
	buffer_load_dword v3, off, s[0:3], 0 offset:12
	buffer_load_dword v4, off, s[0:3], 0 offset:16
	buffer_load_dword v5, off, s[0:3], 0 offset:20
	buffer_load_dword v113, off, s[0:3], 0 offset:24
	buffer_load_dword v114, off, s[0:3], 0 offset:28
	buffer_load_dword v115, off, s[0:3], 0 offset:32
	buffer_load_dword v116, off, s[0:3], 0 offset:36
	buffer_load_dword v117, off, s[0:3], 0 offset:40
	buffer_load_dword v118, off, s[0:3], 0 offset:44
	buffer_load_dword v119, off, s[0:3], 0 offset:48
	buffer_load_dword v120, off, s[0:3], 0 offset:52
	buffer_load_dword v121, off, s[0:3], 0 offset:56
	buffer_load_dword v122, off, s[0:3], 0 offset:60
	buffer_load_dword v124, off, s[0:3], 0 offset:68
	buffer_load_dword v125, off, s[0:3], 0 offset:72
	buffer_load_dword v126, off, s[0:3], 0 offset:76
	buffer_load_dword v127, off, s[0:3], 0 offset:80
	buffer_load_dword v128, off, s[0:3], 0 offset:84
	buffer_load_dword v129, off, s[0:3], 0 offset:88
	buffer_load_dword v130, off, s[0:3], 0 offset:92
	buffer_load_dword v123, off, s[0:3], 0 offset:64
	buffer_load_dword v131, off, s[0:3], 0 offset:96
	buffer_load_dword v132, off, s[0:3], 0 offset:100
	buffer_load_dword v133, off, s[0:3], 0 offset:104
	buffer_load_dword v134, off, s[0:3], 0 offset:108
	buffer_load_dword v135, off, s[0:3], 0 offset:112
	buffer_load_dword v136, off, s[0:3], 0 offset:116
	buffer_load_dword v137, off, s[0:3], 0 offset:120
	buffer_load_dword v138, off, s[0:3], 0 offset:124
	buffer_load_dword v139, off, s[0:3], 0 offset:128
	buffer_load_dword v140, off, s[0:3], 0 offset:132
	buffer_load_dword v141, off, s[0:3], 0 offset:136
	buffer_load_dword v142, off, s[0:3], 0 offset:140
	buffer_load_dword v143, off, s[0:3], 0 offset:144
	buffer_load_dword v144, off, s[0:3], 0 offset:148
	buffer_load_dword v145, off, s[0:3], 0 offset:152
	buffer_load_dword v146, off, s[0:3], 0 offset:156
	buffer_load_dword v147, off, s[0:3], 0 offset:160
	buffer_load_dword v148, off, s[0:3], 0 offset:164
	buffer_load_dword v149, off, s[0:3], 0 offset:168
	buffer_load_dword v150, off, s[0:3], 0 offset:172
	buffer_load_dword v151, off, s[0:3], 0 offset:176
	buffer_load_dword v152, off, s[0:3], 0 offset:180
	buffer_load_dword v153, off, s[0:3], 0 offset:184
	buffer_load_dword v154, off, s[0:3], 0 offset:188
	buffer_load_dword v155, off, s[0:3], 0 offset:192
	buffer_load_dword v156, off, s[0:3], 0 offset:196
	buffer_load_dword v157, off, s[0:3], 0 offset:200
	buffer_load_dword v158, off, s[0:3], 0 offset:204
	buffer_load_dword v159, off, s[0:3], 0 offset:208
	buffer_load_dword v160, off, s[0:3], 0 offset:212
	buffer_load_dword v161, off, s[0:3], 0 offset:216
	buffer_load_dword v162, off, s[0:3], 0 offset:220
	buffer_load_dword v163, off, s[0:3], 0 offset:224
	buffer_load_dword v164, off, s[0:3], 0 offset:228
	buffer_load_dword v165, off, s[0:3], 0 offset:232
	buffer_load_dword v166, off, s[0:3], 0 offset:236
	buffer_load_dword v167, off, s[0:3], 0 offset:240
	buffer_load_dword v168, off, s[0:3], 0 offset:244
	buffer_load_dword v169, off, s[0:3], 0 offset:248
	buffer_load_dword v170, off, s[0:3], 0 offset:252
	buffer_load_dword v171, off, s[0:3], 0 offset:256
	buffer_load_dword v172, off, s[0:3], 0 offset:260
	buffer_load_dword v173, off, s[0:3], 0 offset:264
	buffer_load_dword v174, off, s[0:3], 0 offset:268
	buffer_load_dword v175, off, s[0:3], 0 offset:272
	buffer_load_dword v176, off, s[0:3], 0 offset:276
	buffer_load_dword v177, off, s[0:3], 0 offset:280
	buffer_load_dword v178, off, s[0:3], 0 offset:284
	buffer_load_dword v179, off, s[0:3], 0 offset:288
	buffer_load_dword v180, off, s[0:3], 0 offset:292
	buffer_load_dword v181, off, s[0:3], 0 offset:296
	buffer_load_dword v182, off, s[0:3], 0 offset:300
	buffer_load_dword v183, off, s[0:3], 0 offset:304
	buffer_load_dword v184, off, s[0:3], 0 offset:308
	buffer_load_dword v185, off, s[0:3], 0 offset:312
	buffer_load_dword v186, off, s[0:3], 0 offset:316
	buffer_load_dword v187, off, s[0:3], 0 offset:320
	buffer_load_dword v188, off, s[0:3], 0 offset:324
	buffer_load_dword v189, off, s[0:3], 0 offset:328
	buffer_load_dword v190, off, s[0:3], 0 offset:332
	buffer_load_dword v191, off, s[0:3], 0 offset:336
	buffer_load_dword v192, off, s[0:3], 0 offset:340
	buffer_load_dword v193, off, s[0:3], 0 offset:344
	buffer_load_dword v194, off, s[0:3], 0 offset:348
	buffer_load_dword v195, off, s[0:3], 0 offset:352
	buffer_load_dword v196, off, s[0:3], 0 offset:356
	buffer_load_dword v197, off, s[0:3], 0 offset:360
	buffer_load_dword v198, off, s[0:3], 0 offset:364
	buffer_load_dword v199, off, s[0:3], 0 offset:368
	buffer_load_dword v200, off, s[0:3], 0 offset:372
	buffer_load_dword v201, off, s[0:3], 0 offset:376
	buffer_load_dword v202, off, s[0:3], 0 offset:380
	buffer_load_dword v203, off, s[0:3], 0 offset:384
	buffer_load_dword v204, off, s[0:3], 0 offset:388
	buffer_load_dword v205, off, s[0:3], 0 offset:392
	buffer_load_dword v206, off, s[0:3], 0 offset:396
	buffer_load_dword v207, off, s[0:3], 0 offset:400
	buffer_load_dword v208, off, s[0:3], 0 offset:404
	buffer_load_dword v209, off, s[0:3], 0 offset:408
	buffer_load_dword v210, off, s[0:3], 0 offset:412
	buffer_load_dword v211, off, s[0:3], 0 offset:416
	buffer_load_dword v212, off, s[0:3], 0 offset:420
	buffer_load_dword v213, off, s[0:3], 0 offset:424
	buffer_load_dword v214, off, s[0:3], 0 offset:428
	buffer_load_dword v215, off, s[0:3], 0 offset:432
	buffer_load_dword v216, off, s[0:3], 0 offset:436
	buffer_load_dword v217, off, s[0:3], 0 offset:440
	buffer_load_dword v218, off, s[0:3], 0 offset:444
	s_waitcnt vmcnt(62)
	global_store_dwordx2 v[101:102], v[0:1], off
	global_store_dwordx2 v[105:106], v[2:3], off
	buffer_load_dword v0, off, s[0:3], 0 offset:448 ; 4-byte Folded Reload
	s_nop 0
	buffer_load_dword v1, off, s[0:3], 0 offset:452 ; 4-byte Folded Reload
	s_waitcnt vmcnt(0)
	global_store_dwordx2 v[0:1], v[4:5], off
	buffer_load_dword v0, off, s[0:3], 0 offset:456 ; 4-byte Folded Reload
	s_nop 0
	buffer_load_dword v1, off, s[0:3], 0 offset:460 ; 4-byte Folded Reload
	s_waitcnt vmcnt(0)
	;; [unrolled: 5-line block ×41, first 2 shown]
	global_store_dwordx2 v[0:1], v[191:192], off
	global_store_dwordx2 v[83:84], v[193:194], off
	;; [unrolled: 1-line block ×14, first 2 shown]
	s_endpgm
	.section	.rodata,"a",@progbits
	.p2align	6, 0x0
	.amdhsa_kernel _ZN9rocsolver6v33100L18getri_kernel_smallILi56E19rocblas_complex_numIfEPS3_EEvT1_iilPiilS6_bb
		.amdhsa_group_segment_fixed_size 900
		.amdhsa_private_segment_fixed_size 784
		.amdhsa_kernarg_size 60
		.amdhsa_user_sgpr_count 6
		.amdhsa_user_sgpr_private_segment_buffer 1
		.amdhsa_user_sgpr_dispatch_ptr 0
		.amdhsa_user_sgpr_queue_ptr 0
		.amdhsa_user_sgpr_kernarg_segment_ptr 1
		.amdhsa_user_sgpr_dispatch_id 0
		.amdhsa_user_sgpr_flat_scratch_init 0
		.amdhsa_user_sgpr_private_segment_size 0
		.amdhsa_uses_dynamic_stack 0
		.amdhsa_system_sgpr_private_segment_wavefront_offset 1
		.amdhsa_system_sgpr_workgroup_id_x 1
		.amdhsa_system_sgpr_workgroup_id_y 0
		.amdhsa_system_sgpr_workgroup_id_z 0
		.amdhsa_system_sgpr_workgroup_info 0
		.amdhsa_system_vgpr_workitem_id 0
		.amdhsa_next_free_vgpr 256
		.amdhsa_next_free_sgpr 24
		.amdhsa_reserve_vcc 1
		.amdhsa_reserve_flat_scratch 0
		.amdhsa_float_round_mode_32 0
		.amdhsa_float_round_mode_16_64 0
		.amdhsa_float_denorm_mode_32 3
		.amdhsa_float_denorm_mode_16_64 3
		.amdhsa_dx10_clamp 1
		.amdhsa_ieee_mode 1
		.amdhsa_fp16_overflow 0
		.amdhsa_exception_fp_ieee_invalid_op 0
		.amdhsa_exception_fp_denorm_src 0
		.amdhsa_exception_fp_ieee_div_zero 0
		.amdhsa_exception_fp_ieee_overflow 0
		.amdhsa_exception_fp_ieee_underflow 0
		.amdhsa_exception_fp_ieee_inexact 0
		.amdhsa_exception_int_div_zero 0
	.end_amdhsa_kernel
	.section	.text._ZN9rocsolver6v33100L18getri_kernel_smallILi56E19rocblas_complex_numIfEPS3_EEvT1_iilPiilS6_bb,"axG",@progbits,_ZN9rocsolver6v33100L18getri_kernel_smallILi56E19rocblas_complex_numIfEPS3_EEvT1_iilPiilS6_bb,comdat
.Lfunc_end55:
	.size	_ZN9rocsolver6v33100L18getri_kernel_smallILi56E19rocblas_complex_numIfEPS3_EEvT1_iilPiilS6_bb, .Lfunc_end55-_ZN9rocsolver6v33100L18getri_kernel_smallILi56E19rocblas_complex_numIfEPS3_EEvT1_iilPiilS6_bb
                                        ; -- End function
	.set _ZN9rocsolver6v33100L18getri_kernel_smallILi56E19rocblas_complex_numIfEPS3_EEvT1_iilPiilS6_bb.num_vgpr, 256
	.set _ZN9rocsolver6v33100L18getri_kernel_smallILi56E19rocblas_complex_numIfEPS3_EEvT1_iilPiilS6_bb.num_agpr, 0
	.set _ZN9rocsolver6v33100L18getri_kernel_smallILi56E19rocblas_complex_numIfEPS3_EEvT1_iilPiilS6_bb.numbered_sgpr, 24
	.set _ZN9rocsolver6v33100L18getri_kernel_smallILi56E19rocblas_complex_numIfEPS3_EEvT1_iilPiilS6_bb.num_named_barrier, 0
	.set _ZN9rocsolver6v33100L18getri_kernel_smallILi56E19rocblas_complex_numIfEPS3_EEvT1_iilPiilS6_bb.private_seg_size, 784
	.set _ZN9rocsolver6v33100L18getri_kernel_smallILi56E19rocblas_complex_numIfEPS3_EEvT1_iilPiilS6_bb.uses_vcc, 1
	.set _ZN9rocsolver6v33100L18getri_kernel_smallILi56E19rocblas_complex_numIfEPS3_EEvT1_iilPiilS6_bb.uses_flat_scratch, 0
	.set _ZN9rocsolver6v33100L18getri_kernel_smallILi56E19rocblas_complex_numIfEPS3_EEvT1_iilPiilS6_bb.has_dyn_sized_stack, 0
	.set _ZN9rocsolver6v33100L18getri_kernel_smallILi56E19rocblas_complex_numIfEPS3_EEvT1_iilPiilS6_bb.has_recursion, 0
	.set _ZN9rocsolver6v33100L18getri_kernel_smallILi56E19rocblas_complex_numIfEPS3_EEvT1_iilPiilS6_bb.has_indirect_call, 0
	.section	.AMDGPU.csdata,"",@progbits
; Kernel info:
; codeLenInByte = 113704
; TotalNumSgprs: 28
; NumVgprs: 256
; ScratchSize: 784
; MemoryBound: 0
; FloatMode: 240
; IeeeMode: 1
; LDSByteSize: 900 bytes/workgroup (compile time only)
; SGPRBlocks: 3
; VGPRBlocks: 63
; NumSGPRsForWavesPerEU: 28
; NumVGPRsForWavesPerEU: 256
; Occupancy: 1
; WaveLimiterHint : 1
; COMPUTE_PGM_RSRC2:SCRATCH_EN: 1
; COMPUTE_PGM_RSRC2:USER_SGPR: 6
; COMPUTE_PGM_RSRC2:TRAP_HANDLER: 0
; COMPUTE_PGM_RSRC2:TGID_X_EN: 1
; COMPUTE_PGM_RSRC2:TGID_Y_EN: 0
; COMPUTE_PGM_RSRC2:TGID_Z_EN: 0
; COMPUTE_PGM_RSRC2:TIDIG_COMP_CNT: 0
	.section	.text._ZN9rocsolver6v33100L18getri_kernel_smallILi57E19rocblas_complex_numIfEPS3_EEvT1_iilPiilS6_bb,"axG",@progbits,_ZN9rocsolver6v33100L18getri_kernel_smallILi57E19rocblas_complex_numIfEPS3_EEvT1_iilPiilS6_bb,comdat
	.globl	_ZN9rocsolver6v33100L18getri_kernel_smallILi57E19rocblas_complex_numIfEPS3_EEvT1_iilPiilS6_bb ; -- Begin function _ZN9rocsolver6v33100L18getri_kernel_smallILi57E19rocblas_complex_numIfEPS3_EEvT1_iilPiilS6_bb
	.p2align	8
	.type	_ZN9rocsolver6v33100L18getri_kernel_smallILi57E19rocblas_complex_numIfEPS3_EEvT1_iilPiilS6_bb,@function
_ZN9rocsolver6v33100L18getri_kernel_smallILi57E19rocblas_complex_numIfEPS3_EEvT1_iilPiilS6_bb: ; @_ZN9rocsolver6v33100L18getri_kernel_smallILi57E19rocblas_complex_numIfEPS3_EEvT1_iilPiilS6_bb
; %bb.0:
	s_add_u32 s0, s0, s7
	s_addc_u32 s1, s1, 0
	v_cmp_gt_u32_e32 vcc, 57, v0
	s_and_saveexec_b64 s[8:9], vcc
	s_cbranch_execz .LBB56_242
; %bb.1:
	s_load_dword s12, s[4:5], 0x38
	s_load_dwordx4 s[16:19], s[4:5], 0x10
	s_load_dwordx4 s[8:11], s[4:5], 0x28
                                        ; implicit-def: $sgpr20_sgpr21
	s_waitcnt lgkmcnt(0)
	s_bitcmp1_b32 s12, 8
	s_cselect_b64 s[22:23], -1, 0
	s_ashr_i32 s7, s6, 31
	s_bfe_u32 s12, s12, 0x10008
	s_cmp_eq_u32 s12, 0
	s_cbranch_scc1 .LBB56_3
; %bb.2:
	s_load_dword s12, s[4:5], 0x20
	s_mul_i32 s13, s8, s7
	s_mul_hi_u32 s14, s8, s6
	s_mul_i32 s9, s9, s6
	s_add_i32 s14, s14, s13
	s_add_i32 s9, s14, s9
	s_mul_i32 s8, s8, s6
	s_waitcnt lgkmcnt(0)
	s_ashr_i32 s13, s12, 31
	s_lshl_b64 s[8:9], s[8:9], 2
	s_add_u32 s14, s18, s8
	s_addc_u32 s15, s19, s9
	s_lshl_b64 s[8:9], s[12:13], 2
	s_add_u32 s20, s14, s8
	s_addc_u32 s21, s15, s9
.LBB56_3:
	s_load_dwordx4 s[12:15], s[4:5], 0x0
	s_load_dword s8, s[4:5], 0x38
	s_mul_i32 s9, s16, s7
	s_mul_hi_u32 s18, s16, s6
	s_add_i32 s9, s18, s9
	s_waitcnt lgkmcnt(0)
	s_ashr_i32 s5, s14, 31
	s_mov_b32 s4, s14
	s_mul_i32 s14, s17, s6
	s_add_i32 s17, s9, s14
	s_mul_i32 s16, s16, s6
	s_lshl_b64 s[16:17], s[16:17], 3
	s_add_u32 s9, s12, s16
	s_addc_u32 s12, s13, s17
	s_lshl_b64 s[4:5], s[4:5], 3
	s_add_u32 s4, s9, s4
	s_addc_u32 s5, s12, s5
	s_add_i32 s9, s15, s15
	v_add_u32_e32 v1, s9, v0
	v_ashrrev_i32_e32 v2, 31, v1
	v_lshlrev_b64 v[2:3], 3, v[1:2]
	v_add_u32_e32 v1, s15, v1
	v_mov_b32_e32 v4, s5
	v_add_co_u32_e32 v9, vcc, s4, v2
	v_ashrrev_i32_e32 v2, 31, v1
	v_addc_co_u32_e32 v10, vcc, v4, v3, vcc
	v_lshlrev_b64 v[2:3], 3, v[1:2]
	v_add_u32_e32 v1, s15, v1
	v_add_co_u32_e32 v12, vcc, s4, v2
	v_ashrrev_i32_e32 v2, 31, v1
	v_addc_co_u32_e32 v13, vcc, v4, v3, vcc
	v_lshlrev_b64 v[2:3], 3, v[1:2]
	v_add_u32_e32 v1, s15, v1
	;; [unrolled: 5-line block ×46, first 2 shown]
	v_add_co_u32_e32 v93, vcc, s4, v2
	v_ashrrev_i32_e32 v2, 31, v1
	v_addc_co_u32_e32 v94, vcc, v4, v3, vcc
	v_lshlrev_b64 v[2:3], 3, v[1:2]
	v_lshlrev_b32_e32 v117, 3, v0
	v_add_co_u32_e32 v95, vcc, s4, v2
	v_addc_co_u32_e32 v96, vcc, v4, v3, vcc
	v_mov_b32_e32 v5, s5
	v_add_co_u32_e32 v103, vcc, s4, v117
	s_ashr_i32 s13, s15, 31
	s_mov_b32 s12, s15
	v_addc_co_u32_e32 v104, vcc, 0, v5, vcc
	s_lshl_b64 s[12:13], s[12:13], 3
	v_mov_b32_e32 v5, s13
	v_add_co_u32_e32 v107, vcc, s12, v103
	v_addc_co_u32_e32 v108, vcc, v104, v5, vcc
	global_load_dwordx2 v[3:4], v117, s[4:5]
	global_load_dwordx2 v[5:6], v[107:108], off
	s_nop 0
	buffer_store_dword v9, off, s[0:3], 0 offset:456 ; 4-byte Folded Spill
	s_nop 0
	buffer_store_dword v10, off, s[0:3], 0 offset:460 ; 4-byte Folded Spill
	v_add_u32_e32 v1, s15, v1
	v_ashrrev_i32_e32 v2, 31, v1
	v_lshlrev_b64 v[7:8], 3, v[1:2]
	v_mov_b32_e32 v11, s5
	v_add_co_u32_e32 v97, vcc, s4, v7
	v_addc_co_u32_e32 v98, vcc, v11, v8, vcc
	v_add_u32_e32 v1, s15, v1
	v_ashrrev_i32_e32 v2, 31, v1
	v_mov_b32_e32 v100, s5
	v_mov_b32_e32 v105, s5
	;; [unrolled: 1-line block ×6, first 2 shown]
	s_bitcmp0_b32 s8, 0
	s_mov_b64 s[8:9], -1
	global_load_dwordx2 v[9:10], v[9:10], off
	s_nop 0
	buffer_store_dword v12, off, s[0:3], 0 offset:464 ; 4-byte Folded Spill
	s_nop 0
	buffer_store_dword v13, off, s[0:3], 0 offset:468 ; 4-byte Folded Spill
	global_load_dwordx2 v[7:8], v[12:13], off
	s_nop 0
	buffer_store_dword v14, off, s[0:3], 0 offset:472 ; 4-byte Folded Spill
	s_nop 0
	buffer_store_dword v15, off, s[0:3], 0 offset:476 ; 4-byte Folded Spill
	v_lshlrev_b64 v[11:12], 3, v[1:2]
	v_add_u32_e32 v1, s15, v1
	v_add_co_u32_e32 v99, vcc, s4, v11
	v_addc_co_u32_e32 v100, vcc, v100, v12, vcc
	v_ashrrev_i32_e32 v2, 31, v1
	v_lshlrev_b64 v[101:102], 3, v[1:2]
	v_add_u32_e32 v1, s15, v1
	v_add_co_u32_e32 v101, vcc, s4, v101
	v_ashrrev_i32_e32 v2, 31, v1
	v_addc_co_u32_e32 v102, vcc, v105, v102, vcc
	v_lshlrev_b64 v[105:106], 3, v[1:2]
	v_add_u32_e32 v1, s15, v1
	v_add_co_u32_e32 v105, vcc, s4, v105
	v_ashrrev_i32_e32 v2, 31, v1
	v_addc_co_u32_e32 v106, vcc, v109, v106, vcc
	v_lshlrev_b64 v[109:110], 3, v[1:2]
	v_add_u32_e32 v1, s15, v1
	v_add_co_u32_e32 v109, vcc, s4, v109
	v_ashrrev_i32_e32 v2, 31, v1
	v_addc_co_u32_e32 v110, vcc, v111, v110, vcc
	v_lshlrev_b64 v[111:112], 3, v[1:2]
	v_add_u32_e32 v1, s15, v1
	v_ashrrev_i32_e32 v2, 31, v1
	v_add_co_u32_e32 v111, vcc, s4, v111
	v_lshlrev_b64 v[1:2], 3, v[1:2]
	v_addc_co_u32_e32 v112, vcc, v113, v112, vcc
	v_add_co_u32_e32 v113, vcc, s4, v1
	v_addc_co_u32_e32 v114, vcc, v114, v2, vcc
	global_load_dwordx2 v[115:116], v[14:15], off
	s_nop 0
	buffer_store_dword v16, off, s[0:3], 0 offset:480 ; 4-byte Folded Spill
	s_nop 0
	buffer_store_dword v17, off, s[0:3], 0 offset:484 ; 4-byte Folded Spill
	global_load_dwordx2 v[118:119], v[16:17], off
	s_nop 0
	buffer_store_dword v18, off, s[0:3], 0 offset:488 ; 4-byte Folded Spill
	s_nop 0
	buffer_store_dword v19, off, s[0:3], 0 offset:492 ; 4-byte Folded Spill
	;; [unrolled: 5-line block ×19, first 2 shown]
	global_load_dwordx2 v[1:2], v[52:53], off
	s_waitcnt vmcnt(62)
	buffer_store_dword v4, off, s[0:3], 0 offset:4
	buffer_store_dword v54, off, s[0:3], 0 offset:632 ; 4-byte Folded Spill
	s_nop 0
	buffer_store_dword v55, off, s[0:3], 0 offset:636 ; 4-byte Folded Spill
	global_load_dwordx2 v[152:153], v[54:55], off
	s_nop 0
	buffer_store_dword v3, off, s[0:3], 0
	buffer_store_dword v56, off, s[0:3], 0 offset:640 ; 4-byte Folded Spill
	s_nop 0
	buffer_store_dword v57, off, s[0:3], 0 offset:644 ; 4-byte Folded Spill
	global_load_dwordx2 v[3:4], v[56:57], off
	s_nop 0
	buffer_store_dword v6, off, s[0:3], 0 offset:12
	buffer_store_dword v58, off, s[0:3], 0 offset:648 ; 4-byte Folded Spill
	s_nop 0
	buffer_store_dword v59, off, s[0:3], 0 offset:652 ; 4-byte Folded Spill
	global_load_dwordx2 v[154:155], v[58:59], off
	s_nop 0
	buffer_store_dword v5, off, s[0:3], 0 offset:8
	;; [unrolled: 6-line block ×4, first 2 shown]
	buffer_store_dword v64, off, s[0:3], 0 offset:672 ; 4-byte Folded Spill
	s_nop 0
	buffer_store_dword v65, off, s[0:3], 0 offset:676 ; 4-byte Folded Spill
	global_load_dwordx2 v[9:10], v[64:65], off
	s_waitcnt vmcnt(62)
	buffer_store_dword v8, off, s[0:3], 0 offset:28
	buffer_store_dword v66, off, s[0:3], 0 offset:680 ; 4-byte Folded Spill
	s_nop 0
	buffer_store_dword v67, off, s[0:3], 0 offset:684 ; 4-byte Folded Spill
	global_load_dwordx2 v[158:159], v[66:67], off
	s_nop 0
	buffer_store_dword v7, off, s[0:3], 0 offset:24
	buffer_store_dword v68, off, s[0:3], 0 offset:688 ; 4-byte Folded Spill
	s_nop 0
	buffer_store_dword v69, off, s[0:3], 0 offset:692 ; 4-byte Folded Spill
	global_load_dwordx2 v[7:8], v[68:69], off
	s_nop 0
	;; [unrolled: 6-line block ×14, first 2 shown]
	buffer_store_dword v126, off, s[0:3], 0 offset:80
	buffer_store_dword v176, off, s[0:3], 0 offset:792 ; 4-byte Folded Spill
	s_nop 0
	buffer_store_dword v177, off, s[0:3], 0 offset:796 ; 4-byte Folded Spill
	buffer_store_dword v127, off, s[0:3], 0 offset:84
	global_load_dwordx2 v[126:127], v[87:88], off
	s_nop 0
	global_load_dwordx2 v[174:175], v[89:90], off
	global_load_dwordx2 v[178:179], v[97:98], off
	;; [unrolled: 1-line block ×6, first 2 shown]
	s_waitcnt vmcnt(62)
	buffer_store_dword v128, off, s[0:3], 0 offset:88
	buffer_store_dword v129, off, s[0:3], 0 offset:92
	global_load_dwordx2 v[128:129], v[91:92], off
	s_nop 0
	global_load_dwordx2 v[176:177], v[93:94], off
	s_nop 0
	buffer_store_dword v130, off, s[0:3], 0 offset:96
	buffer_store_dword v131, off, s[0:3], 0 offset:100
	global_load_dwordx2 v[130:131], v[95:96], off
	s_nop 0
	buffer_store_dword v132, off, s[0:3], 0 offset:104
	buffer_store_dword v133, off, s[0:3], 0 offset:108
	;; [unrolled: 4-line block ×5, first 2 shown]
	buffer_store_dword v140, off, s[0:3], 0 offset:136
	buffer_store_dword v141, off, s[0:3], 0 offset:140
	;; [unrolled: 1-line block ×28, first 2 shown]
	s_waitcnt vmcnt(62)
	buffer_store_dword v8, off, s[0:3], 0 offset:252
	buffer_store_dword v7, off, s[0:3], 0 offset:248
	;; [unrolled: 1-line block ×22, first 2 shown]
	s_waitcnt vmcnt(62)
	buffer_store_dword v170, off, s[0:3], 0 offset:336
	buffer_store_dword v171, off, s[0:3], 0 offset:340
	;; [unrolled: 1-line block ×14, first 2 shown]
	s_waitcnt vmcnt(62)
	buffer_store_dword v131, off, s[0:3], 0 offset:396
	buffer_store_dword v130, off, s[0:3], 0 offset:392
	;; [unrolled: 1-line block ×16, first 2 shown]
	s_cbranch_scc1 .LBB56_240
; %bb.4:
	v_cmp_eq_u32_e64 s[4:5], 0, v0
	s_and_saveexec_b64 s[8:9], s[4:5]
; %bb.5:
	v_mov_b32_e32 v1, 0
	ds_write_b32 v1, v1 offset:456
; %bb.6:
	s_or_b64 exec, exec, s[8:9]
	v_mov_b32_e32 v1, 0
	v_lshl_add_u32 v119, v0, 3, v1
	s_waitcnt lgkmcnt(0)
	; wave barrier
	buffer_load_dword v1, v119, s[0:3], 0 offen
	buffer_load_dword v2, v119, s[0:3], 0 offen offset:4
	s_waitcnt vmcnt(1)
	v_cmp_eq_f32_e32 vcc, 0, v1
	s_waitcnt vmcnt(0)
	v_cmp_eq_f32_e64 s[8:9], 0, v2
	s_and_b64 s[8:9], vcc, s[8:9]
	s_and_saveexec_b64 s[12:13], s[8:9]
	s_cbranch_execz .LBB56_10
; %bb.7:
	v_mov_b32_e32 v115, 0
	ds_read_b32 v1, v115 offset:456
	v_add_u32_e32 v116, 1, v0
	s_waitcnt lgkmcnt(0)
	v_readfirstlane_b32 s8, v1
	s_cmp_eq_u32 s8, 0
	s_cselect_b64 s[14:15], -1, 0
	v_cmp_gt_i32_e32 vcc, s8, v116
	s_or_b64 s[14:15], s[14:15], vcc
	s_and_b64 exec, exec, s[14:15]
	s_cbranch_execz .LBB56_10
; %bb.8:
	s_mov_b64 s[14:15], 0
	v_mov_b32_e32 v118, s8
.LBB56_9:                               ; =>This Inner Loop Header: Depth=1
	ds_cmpst_rtn_b32 v118, v115, v118, v116 offset:456
	s_waitcnt lgkmcnt(0)
	v_cmp_ne_u32_e32 vcc, 0, v118
	v_cmp_le_i32_e64 s[8:9], v118, v116
	s_and_b64 s[8:9], vcc, s[8:9]
	s_and_b64 s[8:9], exec, s[8:9]
	s_or_b64 s[14:15], s[8:9], s[14:15]
	s_andn2_b64 exec, exec, s[14:15]
	s_cbranch_execnz .LBB56_9
.LBB56_10:
	s_or_b64 exec, exec, s[12:13]
	v_mov_b32_e32 v116, 0
	; wave barrier
	ds_read_b32 v115, v116 offset:456
	s_and_saveexec_b64 s[8:9], s[4:5]
	s_cbranch_execz .LBB56_12
; %bb.11:
	s_lshl_b64 s[12:13], s[6:7], 2
	s_add_u32 s12, s10, s12
	s_addc_u32 s13, s11, s13
	s_waitcnt lgkmcnt(0)
	global_store_dword v116, v115, s[12:13]
.LBB56_12:
	s_or_b64 exec, exec, s[8:9]
	s_waitcnt lgkmcnt(0)
	v_cmp_ne_u32_e32 vcc, 0, v115
	s_mov_b64 s[8:9], 0
	s_cbranch_vccnz .LBB56_240
; %bb.13:
	buffer_load_dword v116, v119, s[0:3], 0 offen
	buffer_load_dword v118, v119, s[0:3], 0 offen offset:4
                                        ; implicit-def: $vgpr121
                                        ; implicit-def: $vgpr120
                                        ; implicit-def: $vgpr115
	s_waitcnt vmcnt(0)
	v_cmp_ngt_f32_e64 s[8:9], |v116|, |v118|
	s_and_saveexec_b64 s[12:13], s[8:9]
	s_xor_b64 s[8:9], exec, s[12:13]
	s_cbranch_execz .LBB56_15
; %bb.14:
	v_div_scale_f32 v1, s[12:13], v118, v118, v116
	v_div_scale_f32 v2, vcc, v116, v118, v116
	v_rcp_f32_e32 v3, v1
	v_fma_f32 v4, -v1, v3, 1.0
	v_fmac_f32_e32 v3, v4, v3
	v_mul_f32_e32 v4, v2, v3
	v_fma_f32 v5, -v1, v4, v2
	v_fmac_f32_e32 v4, v5, v3
	v_fma_f32 v1, -v1, v4, v2
	v_div_fmas_f32 v1, v1, v3, v4
	v_div_fixup_f32 v1, v1, v118, v116
	v_fmac_f32_e32 v118, v116, v1
	v_div_scale_f32 v2, s[12:13], v118, v118, 1.0
	v_div_scale_f32 v3, vcc, 1.0, v118, 1.0
                                        ; implicit-def: $vgpr116
	v_rcp_f32_e32 v4, v2
	v_fma_f32 v5, -v2, v4, 1.0
	v_fmac_f32_e32 v4, v5, v4
	v_mul_f32_e32 v5, v3, v4
	v_fma_f32 v6, -v2, v5, v3
	v_fmac_f32_e32 v5, v6, v4
	v_fma_f32 v2, -v2, v5, v3
	v_div_fmas_f32 v2, v2, v4, v5
	v_div_fixup_f32 v2, v2, v118, 1.0
	v_mul_f32_e32 v121, v1, v2
	v_xor_b32_e32 v120, 0x80000000, v2
	v_xor_b32_e32 v115, 0x80000000, v121
                                        ; implicit-def: $vgpr118
.LBB56_15:
	s_andn2_saveexec_b64 s[8:9], s[8:9]
	s_cbranch_execz .LBB56_17
; %bb.16:
	v_div_scale_f32 v1, s[12:13], v116, v116, v118
	v_div_scale_f32 v2, vcc, v118, v116, v118
	v_rcp_f32_e32 v3, v1
	v_fma_f32 v4, -v1, v3, 1.0
	v_fmac_f32_e32 v3, v4, v3
	v_mul_f32_e32 v4, v2, v3
	v_fma_f32 v5, -v1, v4, v2
	v_fmac_f32_e32 v4, v5, v3
	v_fma_f32 v1, -v1, v4, v2
	v_div_fmas_f32 v1, v1, v3, v4
	v_div_fixup_f32 v1, v1, v116, v118
	v_fmac_f32_e32 v116, v118, v1
	v_div_scale_f32 v2, s[12:13], v116, v116, 1.0
	v_div_scale_f32 v3, vcc, 1.0, v116, 1.0
	v_rcp_f32_e32 v4, v2
	v_fma_f32 v5, -v2, v4, 1.0
	v_fmac_f32_e32 v4, v5, v4
	v_mul_f32_e32 v5, v3, v4
	v_fma_f32 v6, -v2, v5, v3
	v_fmac_f32_e32 v5, v6, v4
	v_fma_f32 v2, -v2, v5, v3
	v_div_fmas_f32 v2, v2, v4, v5
	v_div_fixup_f32 v121, v2, v116, 1.0
	v_xor_b32_e32 v115, 0x80000000, v121
	v_mul_f32_e64 v120, v1, -v121
.LBB56_17:
	s_or_b64 exec, exec, s[8:9]
	buffer_store_dword v121, v119, s[0:3], 0 offen
	buffer_store_dword v120, v119, s[0:3], 0 offen offset:4
	buffer_load_dword v2, off, s[0:3], 0 offset:12
	buffer_load_dword v1, off, s[0:3], 0 offset:8
	v_xor_b32_e32 v116, 0x80000000, v120
	v_add_u32_e32 v118, 0x1d0, v117
	s_waitcnt vmcnt(0)
	ds_write2_b64 v117, v[115:116], v[1:2] offset1:58
	s_waitcnt lgkmcnt(0)
	; wave barrier
	s_and_saveexec_b64 s[8:9], s[4:5]
	s_cbranch_execz .LBB56_19
; %bb.18:
	buffer_load_dword v5, v119, s[0:3], 0 offen offset:4
	buffer_load_dword v6, v119, s[0:3], 0 offen
	ds_read_b64 v[1:2], v118
	v_mov_b32_e32 v3, 0
	ds_read_b64 v[3:4], v3 offset:8
	s_waitcnt vmcnt(1) lgkmcnt(1)
	v_mul_f32_e32 v7, v2, v5
	v_mul_f32_e32 v5, v1, v5
	s_waitcnt vmcnt(0)
	v_fmac_f32_e32 v5, v2, v6
	v_fma_f32 v1, v1, v6, -v7
	v_add_f32_e32 v2, 0, v5
	v_add_f32_e32 v1, 0, v1
	s_waitcnt lgkmcnt(0)
	v_mul_f32_e32 v5, v2, v4
	v_mul_f32_e32 v4, v1, v4
	v_fma_f32 v1, v1, v3, -v5
	v_fmac_f32_e32 v4, v2, v3
	buffer_store_dword v1, off, s[0:3], 0 offset:8
	buffer_store_dword v4, off, s[0:3], 0 offset:12
.LBB56_19:
	s_or_b64 exec, exec, s[8:9]
	; wave barrier
	buffer_load_dword v1, off, s[0:3], 0 offset:16
	buffer_load_dword v2, off, s[0:3], 0 offset:20
	v_cmp_gt_u32_e32 vcc, 2, v0
	s_waitcnt vmcnt(0)
	ds_write_b64 v118, v[1:2]
	s_waitcnt lgkmcnt(0)
	; wave barrier
	s_and_saveexec_b64 s[8:9], vcc
	s_cbranch_execz .LBB56_23
; %bb.20:
	buffer_load_dword v3, v119, s[0:3], 0 offen offset:4
	buffer_load_dword v4, v119, s[0:3], 0 offen
	ds_read_b64 v[1:2], v118
	s_waitcnt vmcnt(1) lgkmcnt(0)
	v_mul_f32_e32 v5, v2, v3
	v_mul_f32_e32 v3, v1, v3
	s_waitcnt vmcnt(0)
	v_fma_f32 v1, v1, v4, -v5
	v_fmac_f32_e32 v3, v2, v4
	v_add_f32_e32 v116, 0, v1
	v_add_f32_e32 v115, 0, v3
	s_and_saveexec_b64 s[12:13], s[4:5]
	s_cbranch_execz .LBB56_22
; %bb.21:
	buffer_load_dword v3, off, s[0:3], 0 offset:12
	buffer_load_dword v4, off, s[0:3], 0 offset:8
	v_mov_b32_e32 v1, 0
	ds_read_b64 v[1:2], v1 offset:472
	s_waitcnt vmcnt(1) lgkmcnt(0)
	v_mul_f32_e32 v5, v1, v3
	v_mul_f32_e32 v3, v2, v3
	s_waitcnt vmcnt(0)
	v_fmac_f32_e32 v5, v2, v4
	v_fma_f32 v1, v1, v4, -v3
	v_add_f32_e32 v115, v115, v5
	v_add_f32_e32 v116, v116, v1
.LBB56_22:
	s_or_b64 exec, exec, s[12:13]
	v_mov_b32_e32 v1, 0
	ds_read_b64 v[1:2], v1 offset:16
	s_waitcnt lgkmcnt(0)
	v_mul_f32_e32 v3, v115, v2
	v_mul_f32_e32 v2, v116, v2
	v_fma_f32 v3, v116, v1, -v3
	v_fmac_f32_e32 v2, v115, v1
	buffer_store_dword v3, off, s[0:3], 0 offset:16
	buffer_store_dword v2, off, s[0:3], 0 offset:20
.LBB56_23:
	s_or_b64 exec, exec, s[8:9]
	; wave barrier
	buffer_load_dword v1, off, s[0:3], 0 offset:24
	buffer_load_dword v2, off, s[0:3], 0 offset:28
	v_cmp_gt_u32_e32 vcc, 3, v0
	v_add_u32_e32 v115, -1, v0
	s_waitcnt vmcnt(0)
	ds_write_b64 v118, v[1:2]
	s_waitcnt lgkmcnt(0)
	; wave barrier
	s_and_saveexec_b64 s[4:5], vcc
	s_cbranch_execz .LBB56_27
; %bb.24:
	v_add_u32_e32 v119, -1, v0
	v_add_u32_e32 v120, 0x1d0, v117
	v_mov_b32_e32 v121, v117
	v_mov_b32_e32 v116, 0
	s_mov_b64 s[8:9], 0
	v_mov_b32_e32 v122, 0
.LBB56_25:                              ; =>This Inner Loop Header: Depth=1
	buffer_load_dword v3, v121, s[0:3], 0 offen offset:4
	buffer_load_dword v4, v121, s[0:3], 0 offen
	ds_read_b64 v[1:2], v120
	v_add_u32_e32 v119, 1, v119
	v_cmp_lt_u32_e32 vcc, 1, v119
	v_add_u32_e32 v120, 8, v120
	v_add_u32_e32 v121, 8, v121
	s_or_b64 s[8:9], vcc, s[8:9]
	s_waitcnt vmcnt(1) lgkmcnt(0)
	v_mul_f32_e32 v5, v2, v3
	v_mul_f32_e32 v3, v1, v3
	s_waitcnt vmcnt(0)
	v_fma_f32 v1, v1, v4, -v5
	v_fmac_f32_e32 v3, v2, v4
	v_add_f32_e32 v122, v122, v1
	v_add_f32_e32 v116, v116, v3
	s_andn2_b64 exec, exec, s[8:9]
	s_cbranch_execnz .LBB56_25
; %bb.26:
	s_or_b64 exec, exec, s[8:9]
	v_mov_b32_e32 v1, 0
	ds_read_b64 v[1:2], v1 offset:24
	s_waitcnt lgkmcnt(0)
	v_mul_f32_e32 v3, v116, v2
	v_mul_f32_e32 v2, v122, v2
	v_fma_f32 v3, v122, v1, -v3
	v_fmac_f32_e32 v2, v116, v1
	buffer_store_dword v3, off, s[0:3], 0 offset:24
	buffer_store_dword v2, off, s[0:3], 0 offset:28
.LBB56_27:
	s_or_b64 exec, exec, s[4:5]
	; wave barrier
	buffer_load_dword v1, off, s[0:3], 0 offset:32
	buffer_load_dword v2, off, s[0:3], 0 offset:36
	v_cmp_gt_u32_e32 vcc, 4, v0
	s_waitcnt vmcnt(0)
	ds_write_b64 v118, v[1:2]
	s_waitcnt lgkmcnt(0)
	; wave barrier
	s_and_saveexec_b64 s[4:5], vcc
	s_cbranch_execz .LBB56_31
; %bb.28:
	v_add_u32_e32 v119, -1, v0
	v_add_u32_e32 v120, 0x1d0, v117
	v_mov_b32_e32 v121, v117
	v_mov_b32_e32 v116, 0
	s_mov_b64 s[8:9], 0
	v_mov_b32_e32 v122, 0
.LBB56_29:                              ; =>This Inner Loop Header: Depth=1
	buffer_load_dword v3, v121, s[0:3], 0 offen offset:4
	buffer_load_dword v4, v121, s[0:3], 0 offen
	ds_read_b64 v[1:2], v120
	v_add_u32_e32 v119, 1, v119
	v_cmp_lt_u32_e32 vcc, 2, v119
	v_add_u32_e32 v120, 8, v120
	v_add_u32_e32 v121, 8, v121
	s_or_b64 s[8:9], vcc, s[8:9]
	s_waitcnt vmcnt(1) lgkmcnt(0)
	v_mul_f32_e32 v5, v2, v3
	v_mul_f32_e32 v3, v1, v3
	s_waitcnt vmcnt(0)
	v_fma_f32 v1, v1, v4, -v5
	v_fmac_f32_e32 v3, v2, v4
	v_add_f32_e32 v122, v122, v1
	v_add_f32_e32 v116, v116, v3
	s_andn2_b64 exec, exec, s[8:9]
	s_cbranch_execnz .LBB56_29
; %bb.30:
	s_or_b64 exec, exec, s[8:9]
	v_mov_b32_e32 v1, 0
	ds_read_b64 v[1:2], v1 offset:32
	s_waitcnt lgkmcnt(0)
	v_mul_f32_e32 v3, v116, v2
	v_mul_f32_e32 v2, v122, v2
	v_fma_f32 v3, v122, v1, -v3
	v_fmac_f32_e32 v2, v116, v1
	buffer_store_dword v3, off, s[0:3], 0 offset:32
	buffer_store_dword v2, off, s[0:3], 0 offset:36
.LBB56_31:
	s_or_b64 exec, exec, s[4:5]
	; wave barrier
	buffer_load_dword v1, off, s[0:3], 0 offset:40
	buffer_load_dword v2, off, s[0:3], 0 offset:44
	v_cmp_gt_u32_e32 vcc, 5, v0
	;; [unrolled: 49-line block ×19, first 2 shown]
	s_waitcnt vmcnt(0)
	ds_write_b64 v118, v[1:2]
	s_waitcnt lgkmcnt(0)
	; wave barrier
	s_and_saveexec_b64 s[4:5], vcc
	s_cbranch_execz .LBB56_103
; %bb.100:
	v_add_u32_e32 v119, -1, v0
	v_add_u32_e32 v120, 0x1d0, v117
	v_mov_b32_e32 v121, v117
	v_mov_b32_e32 v116, 0
	s_mov_b64 s[8:9], 0
	v_mov_b32_e32 v122, 0
.LBB56_101:                             ; =>This Inner Loop Header: Depth=1
	buffer_load_dword v3, v121, s[0:3], 0 offen offset:4
	buffer_load_dword v4, v121, s[0:3], 0 offen
	ds_read_b64 v[1:2], v120
	v_add_u32_e32 v119, 1, v119
	v_cmp_lt_u32_e32 vcc, 20, v119
	v_add_u32_e32 v120, 8, v120
	v_add_u32_e32 v121, 8, v121
	s_or_b64 s[8:9], vcc, s[8:9]
	s_waitcnt vmcnt(1) lgkmcnt(0)
	v_mul_f32_e32 v5, v2, v3
	v_mul_f32_e32 v3, v1, v3
	s_waitcnt vmcnt(0)
	v_fma_f32 v1, v1, v4, -v5
	v_fmac_f32_e32 v3, v2, v4
	v_add_f32_e32 v122, v122, v1
	v_add_f32_e32 v116, v116, v3
	s_andn2_b64 exec, exec, s[8:9]
	s_cbranch_execnz .LBB56_101
; %bb.102:
	s_or_b64 exec, exec, s[8:9]
	v_mov_b32_e32 v1, 0
	ds_read_b64 v[1:2], v1 offset:176
	s_waitcnt lgkmcnt(0)
	v_mul_f32_e32 v3, v116, v2
	v_mul_f32_e32 v2, v122, v2
	v_fma_f32 v3, v122, v1, -v3
	v_fmac_f32_e32 v2, v116, v1
	buffer_store_dword v3, off, s[0:3], 0 offset:176
	buffer_store_dword v2, off, s[0:3], 0 offset:180
.LBB56_103:
	s_or_b64 exec, exec, s[4:5]
	; wave barrier
	buffer_load_dword v1, off, s[0:3], 0 offset:184
	buffer_load_dword v2, off, s[0:3], 0 offset:188
	v_cmp_gt_u32_e32 vcc, 23, v0
	s_waitcnt vmcnt(0)
	ds_write_b64 v118, v[1:2]
	s_waitcnt lgkmcnt(0)
	; wave barrier
	s_and_saveexec_b64 s[4:5], vcc
	s_cbranch_execz .LBB56_107
; %bb.104:
	v_add_u32_e32 v119, -1, v0
	v_add_u32_e32 v120, 0x1d0, v117
	v_mov_b32_e32 v121, v117
	v_mov_b32_e32 v116, 0
	s_mov_b64 s[8:9], 0
	v_mov_b32_e32 v122, 0
.LBB56_105:                             ; =>This Inner Loop Header: Depth=1
	buffer_load_dword v3, v121, s[0:3], 0 offen offset:4
	buffer_load_dword v4, v121, s[0:3], 0 offen
	ds_read_b64 v[1:2], v120
	v_add_u32_e32 v119, 1, v119
	v_cmp_lt_u32_e32 vcc, 21, v119
	v_add_u32_e32 v120, 8, v120
	v_add_u32_e32 v121, 8, v121
	s_or_b64 s[8:9], vcc, s[8:9]
	s_waitcnt vmcnt(1) lgkmcnt(0)
	v_mul_f32_e32 v5, v2, v3
	v_mul_f32_e32 v3, v1, v3
	s_waitcnt vmcnt(0)
	v_fma_f32 v1, v1, v4, -v5
	v_fmac_f32_e32 v3, v2, v4
	v_add_f32_e32 v122, v122, v1
	v_add_f32_e32 v116, v116, v3
	s_andn2_b64 exec, exec, s[8:9]
	s_cbranch_execnz .LBB56_105
; %bb.106:
	s_or_b64 exec, exec, s[8:9]
	v_mov_b32_e32 v1, 0
	ds_read_b64 v[1:2], v1 offset:184
	s_waitcnt lgkmcnt(0)
	v_mul_f32_e32 v3, v116, v2
	v_mul_f32_e32 v2, v122, v2
	v_fma_f32 v3, v122, v1, -v3
	v_fmac_f32_e32 v2, v116, v1
	buffer_store_dword v3, off, s[0:3], 0 offset:184
	buffer_store_dword v2, off, s[0:3], 0 offset:188
.LBB56_107:
	s_or_b64 exec, exec, s[4:5]
	; wave barrier
	buffer_load_dword v1, off, s[0:3], 0 offset:192
	buffer_load_dword v2, off, s[0:3], 0 offset:196
	v_cmp_gt_u32_e32 vcc, 24, v0
	;; [unrolled: 49-line block ×33, first 2 shown]
	s_waitcnt vmcnt(0)
	ds_write_b64 v118, v[1:2]
	s_waitcnt lgkmcnt(0)
	; wave barrier
	s_and_saveexec_b64 s[4:5], vcc
	s_cbranch_execz .LBB56_235
; %bb.232:
	v_add_u32_e32 v119, -1, v0
	v_add_u32_e32 v120, 0x1d0, v117
	v_mov_b32_e32 v121, v117
	v_mov_b32_e32 v116, 0
	s_mov_b64 s[8:9], 0
	v_mov_b32_e32 v122, 0
.LBB56_233:                             ; =>This Inner Loop Header: Depth=1
	buffer_load_dword v3, v121, s[0:3], 0 offen offset:4
	buffer_load_dword v4, v121, s[0:3], 0 offen
	ds_read_b64 v[1:2], v120
	v_add_u32_e32 v119, 1, v119
	v_cmp_lt_u32_e32 vcc, 53, v119
	v_add_u32_e32 v120, 8, v120
	v_add_u32_e32 v121, 8, v121
	s_or_b64 s[8:9], vcc, s[8:9]
	s_waitcnt vmcnt(1) lgkmcnt(0)
	v_mul_f32_e32 v5, v2, v3
	v_mul_f32_e32 v3, v1, v3
	s_waitcnt vmcnt(0)
	v_fma_f32 v1, v1, v4, -v5
	v_fmac_f32_e32 v3, v2, v4
	v_add_f32_e32 v122, v122, v1
	v_add_f32_e32 v116, v116, v3
	s_andn2_b64 exec, exec, s[8:9]
	s_cbranch_execnz .LBB56_233
; %bb.234:
	s_or_b64 exec, exec, s[8:9]
	v_mov_b32_e32 v1, 0
	ds_read_b64 v[1:2], v1 offset:440
	s_waitcnt lgkmcnt(0)
	v_mul_f32_e32 v3, v116, v2
	v_mul_f32_e32 v2, v122, v2
	v_fma_f32 v3, v122, v1, -v3
	v_fmac_f32_e32 v2, v116, v1
	buffer_store_dword v3, off, s[0:3], 0 offset:440
	buffer_store_dword v2, off, s[0:3], 0 offset:444
.LBB56_235:
	s_or_b64 exec, exec, s[4:5]
	; wave barrier
	buffer_load_dword v1, off, s[0:3], 0 offset:448
	buffer_load_dword v2, off, s[0:3], 0 offset:452
	v_cmp_ne_u32_e32 vcc, 56, v0
	s_waitcnt vmcnt(0)
	ds_write_b64 v118, v[1:2]
	s_waitcnt lgkmcnt(0)
	; wave barrier
	s_and_saveexec_b64 s[4:5], vcc
	s_cbranch_execz .LBB56_239
; %bb.236:
	v_add_u32_e32 v118, 0x1d0, v117
	v_mov_b32_e32 v116, 0
	s_mov_b64 s[8:9], 0
	v_mov_b32_e32 v119, 0
.LBB56_237:                             ; =>This Inner Loop Header: Depth=1
	buffer_load_dword v3, v117, s[0:3], 0 offen offset:4
	buffer_load_dword v4, v117, s[0:3], 0 offen
	ds_read_b64 v[1:2], v118
	v_add_u32_e32 v115, 1, v115
	v_cmp_lt_u32_e32 vcc, 54, v115
	v_add_u32_e32 v118, 8, v118
	v_add_u32_e32 v117, 8, v117
	s_or_b64 s[8:9], vcc, s[8:9]
	s_waitcnt vmcnt(1) lgkmcnt(0)
	v_mul_f32_e32 v5, v2, v3
	v_mul_f32_e32 v3, v1, v3
	s_waitcnt vmcnt(0)
	v_fma_f32 v1, v1, v4, -v5
	v_fmac_f32_e32 v3, v2, v4
	v_add_f32_e32 v119, v119, v1
	v_add_f32_e32 v116, v116, v3
	s_andn2_b64 exec, exec, s[8:9]
	s_cbranch_execnz .LBB56_237
; %bb.238:
	s_or_b64 exec, exec, s[8:9]
	v_mov_b32_e32 v1, 0
	ds_read_b64 v[1:2], v1 offset:448
	s_waitcnt lgkmcnt(0)
	v_mul_f32_e32 v3, v116, v2
	v_mul_f32_e32 v2, v119, v2
	v_fma_f32 v3, v119, v1, -v3
	v_fmac_f32_e32 v2, v116, v1
	buffer_store_dword v3, off, s[0:3], 0 offset:448
	buffer_store_dword v2, off, s[0:3], 0 offset:452
.LBB56_239:
	s_or_b64 exec, exec, s[4:5]
	s_mov_b64 s[8:9], -1
	; wave barrier
.LBB56_240:
	s_and_b64 vcc, exec, s[8:9]
	s_cbranch_vccz .LBB56_242
; %bb.241:
	s_lshl_b64 s[4:5], s[6:7], 2
	s_add_u32 s4, s10, s4
	s_addc_u32 s5, s11, s5
	v_mov_b32_e32 v1, 0
	global_load_dword v1, v1, s[4:5]
	s_waitcnt vmcnt(0)
	v_cmp_ne_u32_e32 vcc, 0, v1
	s_cbranch_vccz .LBB56_243
.LBB56_242:
	s_endpgm
.LBB56_243:
	v_mov_b32_e32 v1, 0x1d0
	v_lshl_add_u32 v115, v0, 3, v1
	v_cmp_eq_u32_e32 vcc, 56, v0
	s_and_saveexec_b64 s[4:5], vcc
	s_cbranch_execz .LBB56_245
; %bb.244:
	buffer_load_dword v1, off, s[0:3], 0 offset:440
	buffer_load_dword v2, off, s[0:3], 0 offset:444
	v_mov_b32_e32 v3, 0
	buffer_store_dword v3, off, s[0:3], 0 offset:440
	buffer_store_dword v3, off, s[0:3], 0 offset:444
	s_waitcnt vmcnt(2)
	ds_write_b64 v115, v[1:2]
.LBB56_245:
	s_or_b64 exec, exec, s[4:5]
	s_waitcnt lgkmcnt(0)
	; wave barrier
	buffer_load_dword v3, off, s[0:3], 0 offset:452
	buffer_load_dword v4, off, s[0:3], 0 offset:448
	;; [unrolled: 1-line block ×4, first 2 shown]
	v_mov_b32_e32 v116, 0
	ds_read_b64 v[1:2], v116 offset:912
	v_cmp_lt_u32_e32 vcc, 54, v0
	s_waitcnt vmcnt(3) lgkmcnt(0)
	v_mul_f32_e32 v7, v1, v3
	v_mul_f32_e32 v3, v2, v3
	s_waitcnt vmcnt(2)
	v_fma_f32 v1, v1, v4, -v3
	v_fmac_f32_e32 v7, v2, v4
	v_add_f32_e32 v1, 0, v1
	v_add_f32_e32 v2, 0, v7
	s_waitcnt vmcnt(1)
	v_sub_f32_e32 v1, v5, v1
	s_waitcnt vmcnt(0)
	v_sub_f32_e32 v2, v6, v2
	buffer_store_dword v1, off, s[0:3], 0 offset:440
	buffer_store_dword v2, off, s[0:3], 0 offset:444
	s_and_saveexec_b64 s[4:5], vcc
	s_cbranch_execz .LBB56_247
; %bb.246:
	buffer_load_dword v1, off, s[0:3], 0 offset:432
	buffer_load_dword v2, off, s[0:3], 0 offset:436
	s_waitcnt vmcnt(0)
	ds_write_b64 v115, v[1:2]
	buffer_store_dword v116, off, s[0:3], 0 offset:432
	buffer_store_dword v116, off, s[0:3], 0 offset:436
.LBB56_247:
	s_or_b64 exec, exec, s[4:5]
	s_waitcnt lgkmcnt(0)
	; wave barrier
	buffer_load_dword v1, off, s[0:3], 0 offset:444
	buffer_load_dword v2, off, s[0:3], 0 offset:452
	;; [unrolled: 1-line block ×6, first 2 shown]
	ds_read2_b64 v[116:119], v116 offset0:113 offset1:114
	v_cmp_lt_u32_e32 vcc, 53, v0
	s_waitcnt vmcnt(5) lgkmcnt(0)
	v_mul_f32_e32 v7, v116, v1
	v_mul_f32_e32 v1, v117, v1
	s_waitcnt vmcnt(4)
	v_mul_f32_e32 v8, v118, v2
	v_mul_f32_e32 v2, v119, v2
	s_waitcnt vmcnt(3)
	v_fma_f32 v1, v116, v3, -v1
	v_fmac_f32_e32 v7, v117, v3
	s_waitcnt vmcnt(2)
	v_fma_f32 v2, v118, v4, -v2
	v_add_f32_e32 v1, 0, v1
	v_fmac_f32_e32 v8, v119, v4
	v_add_f32_e32 v3, 0, v7
	v_add_f32_e32 v1, v1, v2
	;; [unrolled: 1-line block ×3, first 2 shown]
	s_waitcnt vmcnt(1)
	v_sub_f32_e32 v1, v5, v1
	s_waitcnt vmcnt(0)
	v_sub_f32_e32 v2, v6, v3
	buffer_store_dword v1, off, s[0:3], 0 offset:432
	buffer_store_dword v2, off, s[0:3], 0 offset:436
	s_and_saveexec_b64 s[4:5], vcc
	s_cbranch_execz .LBB56_249
; %bb.248:
	buffer_load_dword v1, off, s[0:3], 0 offset:424
	buffer_load_dword v2, off, s[0:3], 0 offset:428
	v_mov_b32_e32 v3, 0
	buffer_store_dword v3, off, s[0:3], 0 offset:424
	buffer_store_dword v3, off, s[0:3], 0 offset:428
	s_waitcnt vmcnt(2)
	ds_write_b64 v115, v[1:2]
.LBB56_249:
	s_or_b64 exec, exec, s[4:5]
	s_waitcnt lgkmcnt(0)
	; wave barrier
	buffer_load_dword v3, off, s[0:3], 0 offset:436
	buffer_load_dword v4, off, s[0:3], 0 offset:444
	;; [unrolled: 1-line block ×8, first 2 shown]
	v_mov_b32_e32 v116, 0
	ds_read_b128 v[117:120], v116 offset:896
	ds_read_b64 v[1:2], v116 offset:912
	v_cmp_lt_u32_e32 vcc, 52, v0
	s_waitcnt vmcnt(7) lgkmcnt(1)
	v_mul_f32_e32 v11, v117, v3
	v_mul_f32_e32 v3, v118, v3
	s_waitcnt vmcnt(5) lgkmcnt(0)
	v_mul_f32_e32 v121, v1, v5
	v_mul_f32_e32 v12, v119, v4
	;; [unrolled: 1-line block ×4, first 2 shown]
	s_waitcnt vmcnt(2)
	v_fmac_f32_e32 v121, v2, v8
	v_fma_f32 v2, v117, v6, -v3
	v_fmac_f32_e32 v11, v118, v6
	v_fma_f32 v3, v119, v7, -v4
	v_add_f32_e32 v2, 0, v2
	v_fmac_f32_e32 v12, v120, v7
	v_fma_f32 v1, v1, v8, -v5
	v_add_f32_e32 v4, 0, v11
	v_add_f32_e32 v2, v2, v3
	;; [unrolled: 1-line block ×5, first 2 shown]
	s_waitcnt vmcnt(1)
	v_sub_f32_e32 v1, v9, v1
	s_waitcnt vmcnt(0)
	v_sub_f32_e32 v2, v10, v3
	buffer_store_dword v1, off, s[0:3], 0 offset:424
	buffer_store_dword v2, off, s[0:3], 0 offset:428
	s_and_saveexec_b64 s[4:5], vcc
	s_cbranch_execz .LBB56_251
; %bb.250:
	buffer_load_dword v1, off, s[0:3], 0 offset:416
	buffer_load_dword v2, off, s[0:3], 0 offset:420
	s_waitcnt vmcnt(0)
	ds_write_b64 v115, v[1:2]
	buffer_store_dword v116, off, s[0:3], 0 offset:416
	buffer_store_dword v116, off, s[0:3], 0 offset:420
.LBB56_251:
	s_or_b64 exec, exec, s[4:5]
	s_waitcnt lgkmcnt(0)
	; wave barrier
	buffer_load_dword v1, off, s[0:3], 0 offset:428
	buffer_load_dword v2, off, s[0:3], 0 offset:436
	;; [unrolled: 1-line block ×10, first 2 shown]
	ds_read2_b64 v[117:120], v116 offset0:111 offset1:112
	ds_read2_b64 v[121:124], v116 offset0:113 offset1:114
	v_cmp_lt_u32_e32 vcc, 51, v0
	s_waitcnt vmcnt(9) lgkmcnt(1)
	v_mul_f32_e32 v11, v117, v1
	v_mul_f32_e32 v1, v118, v1
	s_waitcnt vmcnt(8)
	v_mul_f32_e32 v12, v119, v2
	v_mul_f32_e32 v2, v120, v2
	s_waitcnt vmcnt(5)
	v_fma_f32 v1, v117, v5, -v1
	s_waitcnt lgkmcnt(0)
	v_mul_f32_e32 v116, v121, v3
	v_mul_f32_e32 v3, v122, v3
	v_fmac_f32_e32 v11, v118, v5
	s_waitcnt vmcnt(4)
	v_fma_f32 v2, v119, v6, -v2
	v_add_f32_e32 v1, 0, v1
	v_mul_f32_e32 v125, v123, v4
	v_mul_f32_e32 v4, v124, v4
	v_fmac_f32_e32 v12, v120, v6
	s_waitcnt vmcnt(3)
	v_fma_f32 v3, v121, v7, -v3
	v_add_f32_e32 v5, 0, v11
	v_add_f32_e32 v1, v1, v2
	v_fmac_f32_e32 v116, v122, v7
	s_waitcnt vmcnt(2)
	v_fma_f32 v4, v123, v8, -v4
	v_add_f32_e32 v5, v5, v12
	v_add_f32_e32 v1, v1, v3
	v_fmac_f32_e32 v125, v124, v8
	v_add_f32_e32 v2, v5, v116
	v_add_f32_e32 v1, v1, v4
	;; [unrolled: 1-line block ×3, first 2 shown]
	s_waitcnt vmcnt(1)
	v_sub_f32_e32 v1, v9, v1
	s_waitcnt vmcnt(0)
	v_sub_f32_e32 v2, v10, v2
	buffer_store_dword v1, off, s[0:3], 0 offset:416
	buffer_store_dword v2, off, s[0:3], 0 offset:420
	s_and_saveexec_b64 s[4:5], vcc
	s_cbranch_execz .LBB56_253
; %bb.252:
	buffer_load_dword v1, off, s[0:3], 0 offset:408
	buffer_load_dword v2, off, s[0:3], 0 offset:412
	v_mov_b32_e32 v3, 0
	buffer_store_dword v3, off, s[0:3], 0 offset:408
	buffer_store_dword v3, off, s[0:3], 0 offset:412
	s_waitcnt vmcnt(2)
	ds_write_b64 v115, v[1:2]
.LBB56_253:
	s_or_b64 exec, exec, s[4:5]
	s_waitcnt lgkmcnt(0)
	; wave barrier
	buffer_load_dword v3, off, s[0:3], 0 offset:420
	buffer_load_dword v4, off, s[0:3], 0 offset:428
	;; [unrolled: 1-line block ×12, first 2 shown]
	v_mov_b32_e32 v116, 0
	ds_read_b128 v[117:120], v116 offset:880
	ds_read_b128 v[121:124], v116 offset:896
	ds_read_b64 v[1:2], v116 offset:912
	v_cmp_lt_u32_e32 vcc, 50, v0
	s_waitcnt vmcnt(11) lgkmcnt(2)
	v_mul_f32_e32 v127, v117, v3
	v_mul_f32_e32 v3, v118, v3
	s_waitcnt vmcnt(10)
	v_mul_f32_e32 v128, v119, v4
	v_mul_f32_e32 v4, v120, v4
	s_waitcnt vmcnt(7) lgkmcnt(0)
	v_mul_f32_e32 v131, v1, v7
	v_mul_f32_e32 v7, v2, v7
	;; [unrolled: 1-line block ×5, first 2 shown]
	s_waitcnt vmcnt(2)
	v_fmac_f32_e32 v131, v2, v12
	v_fma_f32 v2, v117, v8, -v3
	v_mul_f32_e32 v6, v124, v6
	v_fmac_f32_e32 v127, v118, v8
	v_fma_f32 v3, v119, v9, -v4
	v_add_f32_e32 v2, 0, v2
	v_fmac_f32_e32 v128, v120, v9
	v_fma_f32 v4, v121, v10, -v5
	v_fma_f32 v5, v123, v11, -v6
	v_add_f32_e32 v6, 0, v127
	v_add_f32_e32 v2, v2, v3
	v_fmac_f32_e32 v129, v122, v10
	v_add_f32_e32 v6, v6, v128
	v_add_f32_e32 v2, v2, v4
	v_fmac_f32_e32 v130, v124, v11
	v_fma_f32 v1, v1, v12, -v7
	v_add_f32_e32 v3, v6, v129
	v_add_f32_e32 v2, v2, v5
	;; [unrolled: 1-line block ×5, first 2 shown]
	s_waitcnt vmcnt(1)
	v_sub_f32_e32 v1, v125, v1
	s_waitcnt vmcnt(0)
	v_sub_f32_e32 v2, v126, v3
	buffer_store_dword v1, off, s[0:3], 0 offset:408
	buffer_store_dword v2, off, s[0:3], 0 offset:412
	s_and_saveexec_b64 s[4:5], vcc
	s_cbranch_execz .LBB56_255
; %bb.254:
	buffer_load_dword v1, off, s[0:3], 0 offset:400
	buffer_load_dword v2, off, s[0:3], 0 offset:404
	s_waitcnt vmcnt(0)
	ds_write_b64 v115, v[1:2]
	buffer_store_dword v116, off, s[0:3], 0 offset:400
	buffer_store_dword v116, off, s[0:3], 0 offset:404
.LBB56_255:
	s_or_b64 exec, exec, s[4:5]
	s_waitcnt lgkmcnt(0)
	; wave barrier
	buffer_load_dword v1, off, s[0:3], 0 offset:412
	buffer_load_dword v2, off, s[0:3], 0 offset:420
	;; [unrolled: 1-line block ×14, first 2 shown]
	ds_read2_b64 v[117:120], v116 offset0:109 offset1:110
	ds_read2_b64 v[121:124], v116 offset0:111 offset1:112
	;; [unrolled: 1-line block ×3, first 2 shown]
	v_cmp_lt_u32_e32 vcc, 49, v0
	s_waitcnt vmcnt(13) lgkmcnt(2)
	v_mul_f32_e32 v116, v117, v1
	v_mul_f32_e32 v1, v118, v1
	s_waitcnt vmcnt(12)
	v_mul_f32_e32 v131, v119, v2
	v_mul_f32_e32 v2, v120, v2
	s_waitcnt vmcnt(11) lgkmcnt(1)
	v_mul_f32_e32 v132, v121, v3
	v_mul_f32_e32 v3, v122, v3
	s_waitcnt vmcnt(7)
	v_fma_f32 v1, v117, v7, -v1
	v_fmac_f32_e32 v116, v118, v7
	s_waitcnt vmcnt(6)
	v_fma_f32 v2, v119, v8, -v2
	v_add_f32_e32 v1, 0, v1
	v_mul_f32_e32 v133, v123, v4
	v_mul_f32_e32 v4, v124, v4
	v_fmac_f32_e32 v131, v120, v8
	s_waitcnt vmcnt(5)
	v_fma_f32 v3, v121, v9, -v3
	v_add_f32_e32 v7, 0, v116
	v_add_f32_e32 v1, v1, v2
	s_waitcnt lgkmcnt(0)
	v_mul_f32_e32 v134, v125, v5
	v_mul_f32_e32 v5, v126, v5
	v_fmac_f32_e32 v132, v122, v9
	s_waitcnt vmcnt(4)
	v_fma_f32 v4, v123, v10, -v4
	v_add_f32_e32 v7, v7, v131
	v_add_f32_e32 v1, v1, v3
	v_mul_f32_e32 v135, v127, v6
	v_mul_f32_e32 v6, v128, v6
	v_fmac_f32_e32 v133, v124, v10
	s_waitcnt vmcnt(3)
	v_fma_f32 v5, v125, v11, -v5
	v_add_f32_e32 v2, v7, v132
	v_add_f32_e32 v1, v1, v4
	v_fmac_f32_e32 v134, v126, v11
	s_waitcnt vmcnt(2)
	v_fma_f32 v6, v127, v12, -v6
	v_add_f32_e32 v2, v2, v133
	v_add_f32_e32 v1, v1, v5
	v_fmac_f32_e32 v135, v128, v12
	v_add_f32_e32 v2, v2, v134
	v_add_f32_e32 v1, v1, v6
	;; [unrolled: 1-line block ×3, first 2 shown]
	s_waitcnt vmcnt(1)
	v_sub_f32_e32 v1, v129, v1
	s_waitcnt vmcnt(0)
	v_sub_f32_e32 v2, v130, v2
	buffer_store_dword v1, off, s[0:3], 0 offset:400
	buffer_store_dword v2, off, s[0:3], 0 offset:404
	s_and_saveexec_b64 s[4:5], vcc
	s_cbranch_execz .LBB56_257
; %bb.256:
	buffer_load_dword v1, off, s[0:3], 0 offset:392
	buffer_load_dword v2, off, s[0:3], 0 offset:396
	v_mov_b32_e32 v3, 0
	buffer_store_dword v3, off, s[0:3], 0 offset:392
	buffer_store_dword v3, off, s[0:3], 0 offset:396
	s_waitcnt vmcnt(2)
	ds_write_b64 v115, v[1:2]
.LBB56_257:
	s_or_b64 exec, exec, s[4:5]
	s_waitcnt lgkmcnt(0)
	; wave barrier
	buffer_load_dword v3, off, s[0:3], 0 offset:404
	buffer_load_dword v4, off, s[0:3], 0 offset:412
	;; [unrolled: 1-line block ×16, first 2 shown]
	v_mov_b32_e32 v116, 0
	ds_read_b128 v[117:120], v116 offset:864
	ds_read_b128 v[121:124], v116 offset:880
	;; [unrolled: 1-line block ×3, first 2 shown]
	ds_read_b64 v[1:2], v116 offset:912
	v_cmp_lt_u32_e32 vcc, 48, v0
	s_waitcnt vmcnt(15) lgkmcnt(3)
	v_mul_f32_e32 v135, v117, v3
	v_mul_f32_e32 v3, v118, v3
	s_waitcnt vmcnt(14)
	v_mul_f32_e32 v136, v119, v4
	v_mul_f32_e32 v4, v120, v4
	s_waitcnt vmcnt(13) lgkmcnt(2)
	v_mul_f32_e32 v137, v121, v5
	s_waitcnt vmcnt(12)
	v_mul_f32_e32 v138, v123, v6
	s_waitcnt vmcnt(9) lgkmcnt(0)
	v_mul_f32_e32 v141, v1, v9
	v_mul_f32_e32 v9, v2, v9
	;; [unrolled: 1-line block ×7, first 2 shown]
	s_waitcnt vmcnt(2)
	v_fmac_f32_e32 v141, v2, v132
	v_fma_f32 v2, v117, v10, -v3
	v_mul_f32_e32 v8, v128, v8
	v_fmac_f32_e32 v135, v118, v10
	v_fma_f32 v3, v119, v11, -v4
	v_add_f32_e32 v2, 0, v2
	v_fmac_f32_e32 v136, v120, v11
	v_fma_f32 v4, v121, v12, -v5
	v_fma_f32 v5, v123, v129, -v6
	;; [unrolled: 1-line block ×4, first 2 shown]
	v_add_f32_e32 v8, 0, v135
	v_add_f32_e32 v2, v2, v3
	v_fmac_f32_e32 v137, v122, v12
	v_add_f32_e32 v8, v8, v136
	v_add_f32_e32 v2, v2, v4
	v_fmac_f32_e32 v138, v124, v129
	;; [unrolled: 3-line block ×4, first 2 shown]
	v_fma_f32 v1, v1, v132, -v9
	v_add_f32_e32 v3, v3, v139
	v_add_f32_e32 v2, v2, v7
	;; [unrolled: 1-line block ×5, first 2 shown]
	s_waitcnt vmcnt(1)
	v_sub_f32_e32 v1, v133, v1
	s_waitcnt vmcnt(0)
	v_sub_f32_e32 v2, v134, v3
	buffer_store_dword v1, off, s[0:3], 0 offset:392
	buffer_store_dword v2, off, s[0:3], 0 offset:396
	s_and_saveexec_b64 s[4:5], vcc
	s_cbranch_execz .LBB56_259
; %bb.258:
	buffer_load_dword v1, off, s[0:3], 0 offset:384
	buffer_load_dword v2, off, s[0:3], 0 offset:388
	s_waitcnt vmcnt(0)
	ds_write_b64 v115, v[1:2]
	buffer_store_dword v116, off, s[0:3], 0 offset:384
	buffer_store_dword v116, off, s[0:3], 0 offset:388
.LBB56_259:
	s_or_b64 exec, exec, s[4:5]
	s_waitcnt lgkmcnt(0)
	; wave barrier
	buffer_load_dword v1, off, s[0:3], 0 offset:396
	buffer_load_dword v2, off, s[0:3], 0 offset:404
	;; [unrolled: 1-line block ×18, first 2 shown]
	ds_read2_b64 v[117:120], v116 offset0:107 offset1:108
	ds_read2_b64 v[121:124], v116 offset0:109 offset1:110
	;; [unrolled: 1-line block ×4, first 2 shown]
	v_cmp_lt_u32_e32 vcc, 47, v0
	s_waitcnt vmcnt(17) lgkmcnt(3)
	v_mul_f32_e32 v116, v117, v1
	v_mul_f32_e32 v1, v118, v1
	s_waitcnt vmcnt(16)
	v_mul_f32_e32 v139, v119, v2
	v_mul_f32_e32 v2, v120, v2
	s_waitcnt vmcnt(15) lgkmcnt(2)
	v_mul_f32_e32 v140, v121, v3
	v_mul_f32_e32 v3, v122, v3
	s_waitcnt vmcnt(14)
	v_mul_f32_e32 v141, v123, v4
	v_mul_f32_e32 v4, v124, v4
	s_waitcnt vmcnt(9)
	v_fma_f32 v1, v117, v9, -v1
	v_fmac_f32_e32 v116, v118, v9
	s_waitcnt vmcnt(8)
	v_fma_f32 v2, v119, v10, -v2
	v_add_f32_e32 v1, 0, v1
	v_fmac_f32_e32 v139, v120, v10
	s_waitcnt vmcnt(7)
	v_fma_f32 v3, v121, v11, -v3
	v_add_f32_e32 v9, 0, v116
	v_add_f32_e32 v1, v1, v2
	s_waitcnt lgkmcnt(1)
	v_mul_f32_e32 v142, v125, v5
	v_mul_f32_e32 v5, v126, v5
	v_fmac_f32_e32 v140, v122, v11
	s_waitcnt vmcnt(6)
	v_fma_f32 v4, v123, v12, -v4
	v_add_f32_e32 v9, v9, v139
	v_add_f32_e32 v1, v1, v3
	v_mul_f32_e32 v143, v127, v6
	v_mul_f32_e32 v6, v128, v6
	v_fmac_f32_e32 v141, v124, v12
	s_waitcnt vmcnt(5)
	v_fma_f32 v5, v125, v133, -v5
	v_add_f32_e32 v2, v9, v140
	v_add_f32_e32 v1, v1, v4
	s_waitcnt lgkmcnt(0)
	v_mul_f32_e32 v144, v129, v7
	v_mul_f32_e32 v7, v130, v7
	v_fmac_f32_e32 v142, v126, v133
	s_waitcnt vmcnt(4)
	v_fma_f32 v6, v127, v134, -v6
	v_add_f32_e32 v2, v2, v141
	v_add_f32_e32 v1, v1, v5
	v_mul_f32_e32 v145, v131, v8
	v_mul_f32_e32 v8, v132, v8
	v_fmac_f32_e32 v143, v128, v134
	s_waitcnt vmcnt(3)
	v_fma_f32 v7, v129, v135, -v7
	v_add_f32_e32 v2, v2, v142
	v_add_f32_e32 v1, v1, v6
	v_fmac_f32_e32 v144, v130, v135
	s_waitcnt vmcnt(2)
	v_fma_f32 v8, v131, v136, -v8
	v_add_f32_e32 v2, v2, v143
	v_add_f32_e32 v1, v1, v7
	v_fmac_f32_e32 v145, v132, v136
	v_add_f32_e32 v2, v2, v144
	v_add_f32_e32 v1, v1, v8
	;; [unrolled: 1-line block ×3, first 2 shown]
	s_waitcnt vmcnt(1)
	v_sub_f32_e32 v1, v137, v1
	s_waitcnt vmcnt(0)
	v_sub_f32_e32 v2, v138, v2
	buffer_store_dword v1, off, s[0:3], 0 offset:384
	buffer_store_dword v2, off, s[0:3], 0 offset:388
	s_and_saveexec_b64 s[4:5], vcc
	s_cbranch_execz .LBB56_261
; %bb.260:
	buffer_load_dword v1, off, s[0:3], 0 offset:376
	buffer_load_dword v2, off, s[0:3], 0 offset:380
	v_mov_b32_e32 v3, 0
	buffer_store_dword v3, off, s[0:3], 0 offset:376
	buffer_store_dword v3, off, s[0:3], 0 offset:380
	s_waitcnt vmcnt(2)
	ds_write_b64 v115, v[1:2]
.LBB56_261:
	s_or_b64 exec, exec, s[4:5]
	s_waitcnt lgkmcnt(0)
	; wave barrier
	buffer_load_dword v3, off, s[0:3], 0 offset:388
	buffer_load_dword v4, off, s[0:3], 0 offset:396
	;; [unrolled: 1-line block ×20, first 2 shown]
	v_mov_b32_e32 v116, 0
	ds_read_b128 v[117:120], v116 offset:848
	ds_read_b128 v[121:124], v116 offset:864
	;; [unrolled: 1-line block ×4, first 2 shown]
	ds_read_b64 v[1:2], v116 offset:912
	v_cmp_lt_u32_e32 vcc, 46, v0
	s_waitcnt vmcnt(19) lgkmcnt(4)
	v_mul_f32_e32 v143, v117, v3
	v_mul_f32_e32 v3, v118, v3
	s_waitcnt vmcnt(18)
	v_mul_f32_e32 v144, v119, v4
	v_mul_f32_e32 v4, v120, v4
	s_waitcnt vmcnt(17) lgkmcnt(3)
	v_mul_f32_e32 v145, v121, v5
	s_waitcnt vmcnt(16)
	v_mul_f32_e32 v146, v123, v6
	s_waitcnt vmcnt(15) lgkmcnt(2)
	v_mul_f32_e32 v147, v125, v7
	s_waitcnt vmcnt(14)
	v_mul_f32_e32 v148, v127, v8
	s_waitcnt vmcnt(11) lgkmcnt(0)
	v_mul_f32_e32 v151, v1, v11
	v_mul_f32_e32 v11, v2, v11
	;; [unrolled: 1-line block ×9, first 2 shown]
	s_waitcnt vmcnt(2)
	v_fmac_f32_e32 v151, v2, v140
	v_fma_f32 v2, v117, v12, -v3
	v_mul_f32_e32 v10, v132, v10
	v_fmac_f32_e32 v143, v118, v12
	v_fma_f32 v3, v119, v133, -v4
	v_add_f32_e32 v2, 0, v2
	v_fmac_f32_e32 v144, v120, v133
	v_fma_f32 v4, v121, v134, -v5
	v_fma_f32 v5, v123, v135, -v6
	v_fma_f32 v6, v125, v136, -v7
	v_fma_f32 v7, v127, v137, -v8
	v_fma_f32 v8, v129, v138, -v9
	v_fma_f32 v9, v131, v139, -v10
	v_add_f32_e32 v10, 0, v143
	v_add_f32_e32 v2, v2, v3
	v_fmac_f32_e32 v145, v122, v134
	v_add_f32_e32 v10, v10, v144
	v_add_f32_e32 v2, v2, v4
	v_fmac_f32_e32 v146, v124, v135
	;; [unrolled: 3-line block ×6, first 2 shown]
	v_fma_f32 v1, v1, v140, -v11
	v_add_f32_e32 v3, v3, v149
	v_add_f32_e32 v2, v2, v9
	;; [unrolled: 1-line block ×5, first 2 shown]
	s_waitcnt vmcnt(1)
	v_sub_f32_e32 v1, v141, v1
	s_waitcnt vmcnt(0)
	v_sub_f32_e32 v2, v142, v3
	buffer_store_dword v1, off, s[0:3], 0 offset:376
	buffer_store_dword v2, off, s[0:3], 0 offset:380
	s_and_saveexec_b64 s[4:5], vcc
	s_cbranch_execz .LBB56_263
; %bb.262:
	buffer_load_dword v1, off, s[0:3], 0 offset:368
	buffer_load_dword v2, off, s[0:3], 0 offset:372
	s_waitcnt vmcnt(0)
	ds_write_b64 v115, v[1:2]
	buffer_store_dword v116, off, s[0:3], 0 offset:368
	buffer_store_dword v116, off, s[0:3], 0 offset:372
.LBB56_263:
	s_or_b64 exec, exec, s[4:5]
	s_waitcnt lgkmcnt(0)
	; wave barrier
	buffer_load_dword v1, off, s[0:3], 0 offset:380
	buffer_load_dword v2, off, s[0:3], 0 offset:388
	;; [unrolled: 1-line block ×22, first 2 shown]
	ds_read2_b64 v[117:120], v116 offset0:105 offset1:106
	ds_read2_b64 v[121:124], v116 offset0:107 offset1:108
	;; [unrolled: 1-line block ×5, first 2 shown]
	v_cmp_lt_u32_e32 vcc, 45, v0
	s_waitcnt vmcnt(21) lgkmcnt(4)
	v_mul_f32_e32 v116, v117, v1
	v_mul_f32_e32 v1, v118, v1
	s_waitcnt vmcnt(20)
	v_mul_f32_e32 v147, v119, v2
	v_mul_f32_e32 v2, v120, v2
	s_waitcnt vmcnt(19) lgkmcnt(3)
	v_mul_f32_e32 v148, v121, v3
	v_mul_f32_e32 v3, v122, v3
	s_waitcnt vmcnt(18)
	v_mul_f32_e32 v149, v123, v4
	v_mul_f32_e32 v4, v124, v4
	s_waitcnt vmcnt(17) lgkmcnt(2)
	v_mul_f32_e32 v150, v125, v5
	v_mul_f32_e32 v5, v126, v5
	s_waitcnt vmcnt(11)
	v_fma_f32 v1, v117, v11, -v1
	v_fmac_f32_e32 v116, v118, v11
	s_waitcnt vmcnt(10)
	v_fma_f32 v2, v119, v12, -v2
	v_add_f32_e32 v1, 0, v1
	v_fmac_f32_e32 v147, v120, v12
	s_waitcnt vmcnt(9)
	v_fma_f32 v3, v121, v137, -v3
	v_add_f32_e32 v11, 0, v116
	v_add_f32_e32 v1, v1, v2
	v_fmac_f32_e32 v148, v122, v137
	s_waitcnt vmcnt(8)
	v_fma_f32 v4, v123, v138, -v4
	v_add_f32_e32 v11, v11, v147
	v_add_f32_e32 v1, v1, v3
	v_mul_f32_e32 v151, v127, v6
	v_mul_f32_e32 v6, v128, v6
	v_fmac_f32_e32 v149, v124, v138
	s_waitcnt vmcnt(7)
	v_fma_f32 v5, v125, v139, -v5
	v_add_f32_e32 v2, v11, v148
	v_add_f32_e32 v1, v1, v4
	s_waitcnt lgkmcnt(1)
	v_mul_f32_e32 v152, v129, v7
	v_mul_f32_e32 v7, v130, v7
	v_fmac_f32_e32 v150, v126, v139
	s_waitcnt vmcnt(6)
	v_fma_f32 v6, v127, v140, -v6
	v_add_f32_e32 v2, v2, v149
	v_add_f32_e32 v1, v1, v5
	v_mul_f32_e32 v153, v131, v8
	v_mul_f32_e32 v8, v132, v8
	v_fmac_f32_e32 v151, v128, v140
	s_waitcnt vmcnt(5)
	v_fma_f32 v7, v129, v141, -v7
	v_add_f32_e32 v2, v2, v150
	v_add_f32_e32 v1, v1, v6
	s_waitcnt lgkmcnt(0)
	v_mul_f32_e32 v154, v133, v9
	v_mul_f32_e32 v9, v134, v9
	v_fmac_f32_e32 v152, v130, v141
	s_waitcnt vmcnt(4)
	v_fma_f32 v8, v131, v142, -v8
	v_add_f32_e32 v2, v2, v151
	v_add_f32_e32 v1, v1, v7
	v_mul_f32_e32 v155, v135, v10
	v_mul_f32_e32 v10, v136, v10
	v_fmac_f32_e32 v153, v132, v142
	s_waitcnt vmcnt(3)
	v_fma_f32 v9, v133, v143, -v9
	v_add_f32_e32 v2, v2, v152
	v_add_f32_e32 v1, v1, v8
	v_fmac_f32_e32 v154, v134, v143
	s_waitcnt vmcnt(2)
	v_fma_f32 v10, v135, v144, -v10
	v_add_f32_e32 v2, v2, v153
	v_add_f32_e32 v1, v1, v9
	v_fmac_f32_e32 v155, v136, v144
	v_add_f32_e32 v2, v2, v154
	v_add_f32_e32 v1, v1, v10
	;; [unrolled: 1-line block ×3, first 2 shown]
	s_waitcnt vmcnt(1)
	v_sub_f32_e32 v1, v145, v1
	s_waitcnt vmcnt(0)
	v_sub_f32_e32 v2, v146, v2
	buffer_store_dword v1, off, s[0:3], 0 offset:368
	buffer_store_dword v2, off, s[0:3], 0 offset:372
	s_and_saveexec_b64 s[4:5], vcc
	s_cbranch_execz .LBB56_265
; %bb.264:
	buffer_load_dword v1, off, s[0:3], 0 offset:360
	buffer_load_dword v2, off, s[0:3], 0 offset:364
	v_mov_b32_e32 v3, 0
	buffer_store_dword v3, off, s[0:3], 0 offset:360
	buffer_store_dword v3, off, s[0:3], 0 offset:364
	s_waitcnt vmcnt(2)
	ds_write_b64 v115, v[1:2]
.LBB56_265:
	s_or_b64 exec, exec, s[4:5]
	s_waitcnt lgkmcnt(0)
	; wave barrier
	buffer_load_dword v3, off, s[0:3], 0 offset:372
	buffer_load_dword v4, off, s[0:3], 0 offset:380
	;; [unrolled: 1-line block ×24, first 2 shown]
	v_mov_b32_e32 v116, 0
	ds_read_b128 v[117:120], v116 offset:832
	ds_read_b128 v[121:124], v116 offset:848
	;; [unrolled: 1-line block ×5, first 2 shown]
	ds_read_b64 v[1:2], v116 offset:912
	v_cmp_lt_u32_e32 vcc, 44, v0
	s_waitcnt vmcnt(23) lgkmcnt(5)
	v_mul_f32_e32 v151, v117, v3
	v_mul_f32_e32 v3, v118, v3
	s_waitcnt vmcnt(22)
	v_mul_f32_e32 v152, v119, v4
	v_mul_f32_e32 v4, v120, v4
	s_waitcnt vmcnt(21) lgkmcnt(4)
	v_mul_f32_e32 v153, v121, v5
	v_mul_f32_e32 v5, v122, v5
	s_waitcnt vmcnt(20)
	v_mul_f32_e32 v154, v123, v6
	v_mul_f32_e32 v6, v124, v6
	s_waitcnt vmcnt(19) lgkmcnt(3)
	v_mul_f32_e32 v155, v125, v7
	v_mul_f32_e32 v7, v126, v7
	s_waitcnt vmcnt(18)
	v_mul_f32_e32 v156, v127, v8
	s_waitcnt vmcnt(12)
	v_fma_f32 v3, v117, v138, -v3
	v_fmac_f32_e32 v151, v118, v138
	s_waitcnt vmcnt(11)
	v_fma_f32 v4, v119, v139, -v4
	v_add_f32_e32 v3, 0, v3
	v_fmac_f32_e32 v152, v120, v139
	s_waitcnt vmcnt(10)
	v_fma_f32 v5, v121, v140, -v5
	v_add_f32_e32 v117, 0, v151
	v_add_f32_e32 v3, v3, v4
	v_fmac_f32_e32 v153, v122, v140
	s_waitcnt vmcnt(9)
	v_fma_f32 v6, v123, v141, -v6
	v_add_f32_e32 v117, v117, v152
	v_add_f32_e32 v3, v3, v5
	v_mul_f32_e32 v8, v128, v8
	v_fmac_f32_e32 v154, v124, v141
	s_waitcnt vmcnt(8)
	v_fma_f32 v7, v125, v142, -v7
	v_add_f32_e32 v4, v117, v153
	v_add_f32_e32 v3, v3, v6
	s_waitcnt lgkmcnt(2)
	v_mul_f32_e32 v157, v129, v9
	v_mul_f32_e32 v9, v130, v9
	v_fmac_f32_e32 v155, v126, v142
	s_waitcnt vmcnt(7)
	v_fma_f32 v8, v127, v143, -v8
	v_add_f32_e32 v4, v4, v154
	v_add_f32_e32 v3, v3, v7
	v_mul_f32_e32 v158, v131, v10
	v_mul_f32_e32 v10, v132, v10
	v_fmac_f32_e32 v156, v128, v143
	s_waitcnt vmcnt(6)
	v_fma_f32 v9, v129, v144, -v9
	v_add_f32_e32 v4, v4, v155
	v_add_f32_e32 v3, v3, v8
	s_waitcnt lgkmcnt(1)
	v_mul_f32_e32 v159, v133, v11
	v_mul_f32_e32 v11, v134, v11
	v_fmac_f32_e32 v157, v130, v144
	s_waitcnt vmcnt(5)
	v_fma_f32 v10, v131, v145, -v10
	v_add_f32_e32 v4, v4, v156
	v_add_f32_e32 v3, v3, v9
	s_waitcnt lgkmcnt(0)
	v_mul_f32_e32 v161, v1, v137
	v_fmac_f32_e32 v158, v132, v145
	s_waitcnt vmcnt(4)
	v_fma_f32 v11, v133, v146, -v11
	v_add_f32_e32 v4, v4, v157
	v_add_f32_e32 v3, v3, v10
	v_mul_f32_e32 v5, v136, v12
	v_mul_f32_e32 v160, v135, v12
	v_fmac_f32_e32 v159, v134, v146
	s_waitcnt vmcnt(2)
	v_fmac_f32_e32 v161, v2, v148
	v_add_f32_e32 v4, v4, v158
	v_add_f32_e32 v3, v3, v11
	v_fma_f32 v5, v135, v147, -v5
	v_mul_f32_e32 v2, v2, v137
	v_fmac_f32_e32 v160, v136, v147
	v_add_f32_e32 v4, v4, v159
	v_add_f32_e32 v3, v3, v5
	v_fma_f32 v1, v1, v148, -v2
	v_add_f32_e32 v4, v4, v160
	v_add_f32_e32 v1, v3, v1
	;; [unrolled: 1-line block ×3, first 2 shown]
	s_waitcnt vmcnt(1)
	v_sub_f32_e32 v1, v149, v1
	s_waitcnt vmcnt(0)
	v_sub_f32_e32 v2, v150, v4
	buffer_store_dword v1, off, s[0:3], 0 offset:360
	buffer_store_dword v2, off, s[0:3], 0 offset:364
	s_and_saveexec_b64 s[4:5], vcc
	s_cbranch_execz .LBB56_267
; %bb.266:
	buffer_load_dword v1, off, s[0:3], 0 offset:352
	buffer_load_dword v2, off, s[0:3], 0 offset:356
	s_waitcnt vmcnt(0)
	ds_write_b64 v115, v[1:2]
	buffer_store_dword v116, off, s[0:3], 0 offset:352
	buffer_store_dword v116, off, s[0:3], 0 offset:356
.LBB56_267:
	s_or_b64 exec, exec, s[4:5]
	s_waitcnt lgkmcnt(0)
	; wave barrier
	buffer_load_dword v1, off, s[0:3], 0 offset:364
	buffer_load_dword v2, off, s[0:3], 0 offset:372
	;; [unrolled: 1-line block ×26, first 2 shown]
	ds_read2_b64 v[117:120], v116 offset0:103 offset1:104
	ds_read2_b64 v[121:124], v116 offset0:105 offset1:106
	;; [unrolled: 1-line block ×6, first 2 shown]
	v_cmp_lt_u32_e32 vcc, 43, v0
	s_waitcnt vmcnt(25) lgkmcnt(5)
	v_mul_f32_e32 v116, v117, v1
	v_mul_f32_e32 v1, v118, v1
	s_waitcnt vmcnt(24)
	v_mul_f32_e32 v155, v119, v2
	v_mul_f32_e32 v2, v120, v2
	s_waitcnt vmcnt(23) lgkmcnt(4)
	v_mul_f32_e32 v156, v121, v3
	v_mul_f32_e32 v3, v122, v3
	s_waitcnt vmcnt(22)
	v_mul_f32_e32 v157, v123, v4
	v_mul_f32_e32 v4, v124, v4
	;; [unrolled: 6-line block ×3, first 2 shown]
	s_waitcnt vmcnt(13)
	v_fma_f32 v1, v117, v141, -v1
	s_waitcnt vmcnt(12)
	v_fma_f32 v2, v119, v142, -v2
	v_add_f32_e32 v1, 0, v1
	s_waitcnt vmcnt(11)
	v_fma_f32 v3, v121, v143, -v3
	v_add_f32_e32 v1, v1, v2
	;; [unrolled: 3-line block ×3, first 2 shown]
	v_fmac_f32_e32 v116, v118, v141
	s_waitcnt vmcnt(9)
	v_fma_f32 v5, v125, v145, -v5
	v_add_f32_e32 v1, v1, v4
	s_waitcnt lgkmcnt(2)
	v_mul_f32_e32 v160, v129, v7
	v_mul_f32_e32 v7, v130, v7
	v_fmac_f32_e32 v155, v120, v142
	s_waitcnt vmcnt(8)
	v_fma_f32 v6, v127, v146, -v6
	v_add_f32_e32 v116, 0, v116
	v_add_f32_e32 v1, v1, v5
	v_mul_f32_e32 v161, v131, v8
	v_mul_f32_e32 v8, v132, v8
	v_fmac_f32_e32 v156, v122, v143
	s_waitcnt vmcnt(7)
	v_fma_f32 v7, v129, v147, -v7
	v_add_f32_e32 v116, v116, v155
	v_add_f32_e32 v1, v1, v6
	v_fmac_f32_e32 v157, v124, v144
	s_waitcnt vmcnt(6)
	v_fma_f32 v8, v131, v148, -v8
	v_add_f32_e32 v2, v116, v156
	v_add_f32_e32 v1, v1, v7
	s_waitcnt lgkmcnt(1)
	v_mul_f32_e32 v3, v134, v9
	v_fmac_f32_e32 v158, v126, v145
	v_add_f32_e32 v2, v2, v157
	v_add_f32_e32 v1, v1, v8
	s_waitcnt vmcnt(5)
	v_fma_f32 v3, v133, v149, -v3
	v_fmac_f32_e32 v159, v128, v146
	v_add_f32_e32 v2, v2, v158
	v_add_f32_e32 v1, v1, v3
	v_mul_f32_e32 v3, v136, v10
	v_fmac_f32_e32 v160, v130, v147
	v_add_f32_e32 v2, v2, v159
	s_waitcnt vmcnt(4)
	v_fma_f32 v3, v135, v150, -v3
	v_mul_f32_e32 v162, v133, v9
	v_fmac_f32_e32 v161, v132, v148
	v_add_f32_e32 v2, v2, v160
	v_add_f32_e32 v1, v1, v3
	s_waitcnt lgkmcnt(0)
	v_mul_f32_e32 v3, v138, v11
	v_mul_f32_e32 v163, v135, v10
	v_fmac_f32_e32 v162, v134, v149
	v_add_f32_e32 v2, v2, v161
	s_waitcnt vmcnt(3)
	v_fma_f32 v3, v137, v151, -v3
	v_mul_f32_e32 v164, v137, v11
	v_fmac_f32_e32 v163, v136, v150
	v_add_f32_e32 v2, v2, v162
	v_add_f32_e32 v1, v1, v3
	v_mul_f32_e32 v3, v140, v12
	v_mul_f32_e32 v165, v139, v12
	v_fmac_f32_e32 v164, v138, v151
	v_add_f32_e32 v2, v2, v163
	s_waitcnt vmcnt(2)
	v_fma_f32 v3, v139, v152, -v3
	v_fmac_f32_e32 v165, v140, v152
	v_add_f32_e32 v2, v2, v164
	v_add_f32_e32 v1, v1, v3
	;; [unrolled: 1-line block ×3, first 2 shown]
	s_waitcnt vmcnt(1)
	v_sub_f32_e32 v1, v153, v1
	s_waitcnt vmcnt(0)
	v_sub_f32_e32 v2, v154, v2
	buffer_store_dword v1, off, s[0:3], 0 offset:352
	buffer_store_dword v2, off, s[0:3], 0 offset:356
	s_and_saveexec_b64 s[4:5], vcc
	s_cbranch_execz .LBB56_269
; %bb.268:
	buffer_load_dword v1, off, s[0:3], 0 offset:344
	buffer_load_dword v2, off, s[0:3], 0 offset:348
	v_mov_b32_e32 v3, 0
	buffer_store_dword v3, off, s[0:3], 0 offset:344
	buffer_store_dword v3, off, s[0:3], 0 offset:348
	s_waitcnt vmcnt(2)
	ds_write_b64 v115, v[1:2]
.LBB56_269:
	s_or_b64 exec, exec, s[4:5]
	s_waitcnt lgkmcnt(0)
	; wave barrier
	buffer_load_dword v3, off, s[0:3], 0 offset:356
	buffer_load_dword v4, off, s[0:3], 0 offset:364
	;; [unrolled: 1-line block ×28, first 2 shown]
	v_mov_b32_e32 v116, 0
	ds_read_b128 v[117:120], v116 offset:816
	ds_read_b128 v[121:124], v116 offset:832
	;; [unrolled: 1-line block ×6, first 2 shown]
	ds_read_b64 v[1:2], v116 offset:912
	v_cmp_lt_u32_e32 vcc, 42, v0
	s_waitcnt vmcnt(27) lgkmcnt(6)
	v_mul_f32_e32 v159, v117, v3
	v_mul_f32_e32 v3, v118, v3
	s_waitcnt vmcnt(26)
	v_mul_f32_e32 v160, v119, v4
	v_mul_f32_e32 v4, v120, v4
	s_waitcnt vmcnt(25) lgkmcnt(5)
	v_mul_f32_e32 v161, v121, v5
	v_mul_f32_e32 v5, v122, v5
	s_waitcnt vmcnt(24)
	v_mul_f32_e32 v162, v123, v6
	v_mul_f32_e32 v6, v124, v6
	;; [unrolled: 6-line block ×3, first 2 shown]
	s_waitcnt vmcnt(21) lgkmcnt(3)
	v_mul_f32_e32 v165, v129, v9
	s_waitcnt vmcnt(14)
	v_fma_f32 v3, v117, v144, -v3
	s_waitcnt vmcnt(13)
	v_fma_f32 v4, v119, v145, -v4
	v_add_f32_e32 v3, 0, v3
	s_waitcnt vmcnt(12)
	v_fma_f32 v5, v121, v146, -v5
	v_add_f32_e32 v3, v3, v4
	;; [unrolled: 3-line block ×5, first 2 shown]
	v_mul_f32_e32 v5, v130, v9
	v_fmac_f32_e32 v159, v118, v144
	v_add_f32_e32 v3, v3, v8
	s_waitcnt vmcnt(8)
	v_fma_f32 v5, v129, v150, -v5
	v_fmac_f32_e32 v160, v120, v145
	v_add_f32_e32 v117, 0, v159
	v_add_f32_e32 v3, v3, v5
	v_mul_f32_e32 v5, v132, v10
	v_fmac_f32_e32 v161, v122, v146
	v_add_f32_e32 v117, v117, v160
	s_waitcnt vmcnt(7)
	v_fma_f32 v5, v131, v151, -v5
	v_fmac_f32_e32 v162, v124, v147
	v_add_f32_e32 v4, v117, v161
	v_add_f32_e32 v3, v3, v5
	s_waitcnt lgkmcnt(2)
	v_mul_f32_e32 v5, v134, v11
	v_fmac_f32_e32 v163, v126, v148
	v_add_f32_e32 v4, v4, v162
	s_waitcnt vmcnt(6)
	v_fma_f32 v5, v133, v152, -v5
	v_fmac_f32_e32 v164, v128, v149
	v_add_f32_e32 v4, v4, v163
	v_add_f32_e32 v3, v3, v5
	v_mul_f32_e32 v5, v136, v12
	v_mul_f32_e32 v166, v131, v10
	v_fmac_f32_e32 v165, v130, v150
	v_add_f32_e32 v4, v4, v164
	s_waitcnt vmcnt(5)
	v_fma_f32 v5, v135, v153, -v5
	v_mul_f32_e32 v167, v133, v11
	v_fmac_f32_e32 v166, v132, v151
	v_add_f32_e32 v4, v4, v165
	v_add_f32_e32 v3, v3, v5
	s_waitcnt lgkmcnt(1)
	v_mul_f32_e32 v5, v138, v141
	v_mul_f32_e32 v168, v135, v12
	v_fmac_f32_e32 v167, v134, v152
	v_add_f32_e32 v4, v4, v166
	s_waitcnt vmcnt(4)
	v_fma_f32 v5, v137, v154, -v5
	v_mul_f32_e32 v169, v137, v141
	s_waitcnt lgkmcnt(0)
	v_mul_f32_e32 v171, v1, v143
	v_fmac_f32_e32 v168, v136, v153
	v_add_f32_e32 v4, v4, v167
	v_add_f32_e32 v3, v3, v5
	v_mul_f32_e32 v5, v140, v142
	v_mul_f32_e32 v170, v139, v142
	v_fmac_f32_e32 v169, v138, v154
	s_waitcnt vmcnt(2)
	v_fmac_f32_e32 v171, v2, v156
	v_add_f32_e32 v4, v4, v168
	v_fma_f32 v5, v139, v155, -v5
	v_mul_f32_e32 v2, v2, v143
	v_fmac_f32_e32 v170, v140, v155
	v_add_f32_e32 v4, v4, v169
	v_add_f32_e32 v3, v3, v5
	v_fma_f32 v1, v1, v156, -v2
	v_add_f32_e32 v4, v4, v170
	v_add_f32_e32 v1, v3, v1
	;; [unrolled: 1-line block ×3, first 2 shown]
	s_waitcnt vmcnt(1)
	v_sub_f32_e32 v1, v157, v1
	s_waitcnt vmcnt(0)
	v_sub_f32_e32 v2, v158, v4
	buffer_store_dword v1, off, s[0:3], 0 offset:344
	buffer_store_dword v2, off, s[0:3], 0 offset:348
	s_and_saveexec_b64 s[4:5], vcc
	s_cbranch_execz .LBB56_271
; %bb.270:
	buffer_load_dword v1, off, s[0:3], 0 offset:336
	buffer_load_dword v2, off, s[0:3], 0 offset:340
	s_waitcnt vmcnt(0)
	ds_write_b64 v115, v[1:2]
	buffer_store_dword v116, off, s[0:3], 0 offset:336
	buffer_store_dword v116, off, s[0:3], 0 offset:340
.LBB56_271:
	s_or_b64 exec, exec, s[4:5]
	s_waitcnt lgkmcnt(0)
	; wave barrier
	buffer_load_dword v1, off, s[0:3], 0 offset:348
	buffer_load_dword v2, off, s[0:3], 0 offset:356
	;; [unrolled: 1-line block ×30, first 2 shown]
	ds_read2_b64 v[117:120], v116 offset0:101 offset1:102
	ds_read2_b64 v[121:124], v116 offset0:103 offset1:104
	;; [unrolled: 1-line block ×7, first 2 shown]
	v_cmp_lt_u32_e32 vcc, 41, v0
	s_waitcnt vmcnt(29) lgkmcnt(6)
	v_mul_f32_e32 v116, v117, v1
	v_mul_f32_e32 v1, v118, v1
	s_waitcnt vmcnt(28)
	v_mul_f32_e32 v163, v119, v2
	v_mul_f32_e32 v2, v120, v2
	s_waitcnt vmcnt(27) lgkmcnt(5)
	v_mul_f32_e32 v164, v121, v3
	v_mul_f32_e32 v3, v122, v3
	s_waitcnt vmcnt(26)
	v_mul_f32_e32 v165, v123, v4
	v_mul_f32_e32 v4, v124, v4
	s_waitcnt vmcnt(25) lgkmcnt(4)
	v_mul_f32_e32 v166, v125, v5
	v_mul_f32_e32 v5, v126, v5
	s_waitcnt vmcnt(24)
	v_mul_f32_e32 v167, v127, v6
	s_waitcnt vmcnt(23) lgkmcnt(3)
	v_mul_f32_e32 v168, v129, v7
	s_waitcnt vmcnt(22)
	v_mul_f32_e32 v169, v131, v8
	s_waitcnt vmcnt(21) lgkmcnt(2)
	v_mul_f32_e32 v170, v133, v9
	s_waitcnt vmcnt(15)
	v_fma_f32 v1, v117, v147, -v1
	s_waitcnt vmcnt(14)
	v_fma_f32 v2, v119, v148, -v2
	v_add_f32_e32 v1, 0, v1
	s_waitcnt vmcnt(13)
	v_fma_f32 v3, v121, v149, -v3
	v_add_f32_e32 v1, v1, v2
	;; [unrolled: 3-line block ×4, first 2 shown]
	v_mul_f32_e32 v3, v128, v6
	v_add_f32_e32 v1, v1, v5
	s_waitcnt vmcnt(10)
	v_fma_f32 v3, v127, v152, -v3
	v_add_f32_e32 v1, v1, v3
	v_mul_f32_e32 v3, v130, v7
	s_waitcnt vmcnt(9)
	v_fma_f32 v3, v129, v153, -v3
	v_add_f32_e32 v1, v1, v3
	v_mul_f32_e32 v3, v132, v8
	v_fmac_f32_e32 v116, v118, v147
	s_waitcnt vmcnt(8)
	v_fma_f32 v3, v131, v154, -v3
	v_fmac_f32_e32 v163, v120, v148
	v_add_f32_e32 v116, 0, v116
	v_add_f32_e32 v1, v1, v3
	v_mul_f32_e32 v3, v134, v9
	v_fmac_f32_e32 v164, v122, v149
	v_add_f32_e32 v116, v116, v163
	s_waitcnt vmcnt(7)
	v_fma_f32 v3, v133, v155, -v3
	v_fmac_f32_e32 v165, v124, v150
	v_add_f32_e32 v2, v116, v164
	v_add_f32_e32 v1, v1, v3
	v_mul_f32_e32 v3, v136, v10
	v_fmac_f32_e32 v166, v126, v151
	v_add_f32_e32 v2, v2, v165
	s_waitcnt vmcnt(6)
	v_fma_f32 v3, v135, v156, -v3
	v_fmac_f32_e32 v167, v128, v152
	v_add_f32_e32 v2, v2, v166
	v_add_f32_e32 v1, v1, v3
	s_waitcnt lgkmcnt(1)
	v_mul_f32_e32 v3, v138, v11
	v_fmac_f32_e32 v168, v130, v153
	v_add_f32_e32 v2, v2, v167
	s_waitcnt vmcnt(5)
	v_fma_f32 v3, v137, v157, -v3
	v_fmac_f32_e32 v169, v132, v154
	v_add_f32_e32 v2, v2, v168
	v_add_f32_e32 v1, v1, v3
	v_mul_f32_e32 v3, v140, v12
	v_mul_f32_e32 v171, v135, v10
	v_fmac_f32_e32 v170, v134, v155
	v_add_f32_e32 v2, v2, v169
	s_waitcnt vmcnt(4)
	v_fma_f32 v3, v139, v158, -v3
	v_mul_f32_e32 v172, v137, v11
	v_fmac_f32_e32 v171, v136, v156
	v_add_f32_e32 v2, v2, v170
	v_add_f32_e32 v1, v1, v3
	s_waitcnt lgkmcnt(0)
	v_mul_f32_e32 v3, v142, v145
	v_mul_f32_e32 v173, v139, v12
	v_fmac_f32_e32 v172, v138, v157
	v_add_f32_e32 v2, v2, v171
	s_waitcnt vmcnt(3)
	v_fma_f32 v3, v141, v159, -v3
	v_mul_f32_e32 v174, v141, v145
	v_fmac_f32_e32 v173, v140, v158
	v_add_f32_e32 v2, v2, v172
	v_add_f32_e32 v1, v1, v3
	v_mul_f32_e32 v3, v144, v146
	v_mul_f32_e32 v175, v143, v146
	v_fmac_f32_e32 v174, v142, v159
	v_add_f32_e32 v2, v2, v173
	s_waitcnt vmcnt(2)
	v_fma_f32 v3, v143, v160, -v3
	v_fmac_f32_e32 v175, v144, v160
	v_add_f32_e32 v2, v2, v174
	v_add_f32_e32 v1, v1, v3
	;; [unrolled: 1-line block ×3, first 2 shown]
	s_waitcnt vmcnt(1)
	v_sub_f32_e32 v1, v161, v1
	s_waitcnt vmcnt(0)
	v_sub_f32_e32 v2, v162, v2
	buffer_store_dword v1, off, s[0:3], 0 offset:336
	buffer_store_dword v2, off, s[0:3], 0 offset:340
	s_and_saveexec_b64 s[4:5], vcc
	s_cbranch_execz .LBB56_273
; %bb.272:
	buffer_load_dword v1, off, s[0:3], 0 offset:328
	buffer_load_dword v2, off, s[0:3], 0 offset:332
	v_mov_b32_e32 v3, 0
	buffer_store_dword v3, off, s[0:3], 0 offset:328
	buffer_store_dword v3, off, s[0:3], 0 offset:332
	s_waitcnt vmcnt(2)
	ds_write_b64 v115, v[1:2]
.LBB56_273:
	s_or_b64 exec, exec, s[4:5]
	s_waitcnt lgkmcnt(0)
	; wave barrier
	buffer_load_dword v3, off, s[0:3], 0 offset:340
	buffer_load_dword v4, off, s[0:3], 0 offset:348
	;; [unrolled: 1-line block ×32, first 2 shown]
	v_mov_b32_e32 v116, 0
	ds_read_b128 v[117:120], v116 offset:800
	ds_read_b128 v[121:124], v116 offset:816
	ds_read_b128 v[125:128], v116 offset:832
	ds_read_b128 v[129:132], v116 offset:848
	ds_read_b128 v[133:136], v116 offset:864
	ds_read_b128 v[137:140], v116 offset:880
	ds_read_b128 v[141:144], v116 offset:896
	ds_read_b64 v[1:2], v116 offset:912
	v_cmp_lt_u32_e32 vcc, 40, v0
	s_waitcnt vmcnt(31) lgkmcnt(7)
	v_mul_f32_e32 v167, v117, v3
	v_mul_f32_e32 v3, v118, v3
	s_waitcnt vmcnt(30)
	v_mul_f32_e32 v168, v119, v4
	v_mul_f32_e32 v4, v120, v4
	s_waitcnt vmcnt(29) lgkmcnt(6)
	v_mul_f32_e32 v169, v121, v5
	v_mul_f32_e32 v5, v122, v5
	s_waitcnt vmcnt(28)
	v_mul_f32_e32 v170, v123, v6
	s_waitcnt vmcnt(27) lgkmcnt(5)
	v_mul_f32_e32 v171, v125, v7
	s_waitcnt vmcnt(26)
	v_mul_f32_e32 v172, v127, v8
	s_waitcnt vmcnt(25) lgkmcnt(4)
	;; [unrolled: 4-line block ×4, first 2 shown]
	v_mul_f32_e32 v177, v137, v145
	s_waitcnt vmcnt(20)
	v_mul_f32_e32 v178, v139, v146
	s_waitcnt vmcnt(16)
	v_fma_f32 v3, v117, v150, -v3
	s_waitcnt vmcnt(15)
	v_fma_f32 v4, v119, v151, -v4
	v_add_f32_e32 v3, 0, v3
	s_waitcnt vmcnt(14)
	v_fma_f32 v5, v121, v152, -v5
	v_add_f32_e32 v3, v3, v4
	v_add_f32_e32 v3, v3, v5
	v_mul_f32_e32 v5, v124, v6
	s_waitcnt vmcnt(13)
	v_fma_f32 v5, v123, v153, -v5
	v_add_f32_e32 v3, v3, v5
	v_mul_f32_e32 v5, v126, v7
	s_waitcnt vmcnt(12)
	v_fma_f32 v5, v125, v154, -v5
	;; [unrolled: 4-line block ×4, first 2 shown]
	v_add_f32_e32 v3, v3, v5
	v_mul_f32_e32 v5, v132, v10
	v_fmac_f32_e32 v167, v118, v150
	s_waitcnt vmcnt(9)
	v_fma_f32 v5, v131, v157, -v5
	v_fmac_f32_e32 v168, v120, v151
	v_add_f32_e32 v117, 0, v167
	v_add_f32_e32 v3, v3, v5
	v_mul_f32_e32 v5, v134, v11
	v_fmac_f32_e32 v169, v122, v152
	v_add_f32_e32 v117, v117, v168
	s_waitcnt vmcnt(8)
	v_fma_f32 v5, v133, v158, -v5
	v_fmac_f32_e32 v170, v124, v153
	v_add_f32_e32 v4, v117, v169
	v_add_f32_e32 v3, v3, v5
	v_mul_f32_e32 v5, v136, v12
	v_fmac_f32_e32 v171, v126, v154
	v_add_f32_e32 v4, v4, v170
	;; [unrolled: 8-line block ×4, first 2 shown]
	s_waitcnt vmcnt(5)
	v_fma_f32 v5, v139, v161, -v5
	v_fmac_f32_e32 v176, v136, v159
	v_add_f32_e32 v4, v4, v175
	v_add_f32_e32 v3, v3, v5
	s_waitcnt lgkmcnt(1)
	v_mul_f32_e32 v5, v142, v147
	v_fmac_f32_e32 v177, v138, v160
	v_add_f32_e32 v4, v4, v176
	s_waitcnt vmcnt(4)
	v_fma_f32 v5, v141, v162, -v5
	v_mul_f32_e32 v179, v141, v147
	s_waitcnt lgkmcnt(0)
	v_mul_f32_e32 v181, v1, v149
	v_fmac_f32_e32 v178, v140, v161
	v_add_f32_e32 v4, v4, v177
	v_add_f32_e32 v3, v3, v5
	v_mul_f32_e32 v5, v144, v148
	v_mul_f32_e32 v180, v143, v148
	v_fmac_f32_e32 v179, v142, v162
	s_waitcnt vmcnt(2)
	v_fmac_f32_e32 v181, v2, v164
	v_add_f32_e32 v4, v4, v178
	v_fma_f32 v5, v143, v163, -v5
	v_mul_f32_e32 v2, v2, v149
	v_fmac_f32_e32 v180, v144, v163
	v_add_f32_e32 v4, v4, v179
	v_add_f32_e32 v3, v3, v5
	v_fma_f32 v1, v1, v164, -v2
	v_add_f32_e32 v4, v4, v180
	v_add_f32_e32 v1, v3, v1
	;; [unrolled: 1-line block ×3, first 2 shown]
	s_waitcnt vmcnt(1)
	v_sub_f32_e32 v1, v165, v1
	s_waitcnt vmcnt(0)
	v_sub_f32_e32 v2, v166, v4
	buffer_store_dword v1, off, s[0:3], 0 offset:328
	buffer_store_dword v2, off, s[0:3], 0 offset:332
	s_and_saveexec_b64 s[4:5], vcc
	s_cbranch_execz .LBB56_275
; %bb.274:
	buffer_load_dword v1, off, s[0:3], 0 offset:320
	buffer_load_dword v2, off, s[0:3], 0 offset:324
	s_waitcnt vmcnt(0)
	ds_write_b64 v115, v[1:2]
	buffer_store_dword v116, off, s[0:3], 0 offset:320
	buffer_store_dword v116, off, s[0:3], 0 offset:324
.LBB56_275:
	s_or_b64 exec, exec, s[4:5]
	s_waitcnt lgkmcnt(0)
	; wave barrier
	buffer_load_dword v1, off, s[0:3], 0 offset:332
	buffer_load_dword v2, off, s[0:3], 0 offset:340
	;; [unrolled: 1-line block ×34, first 2 shown]
	ds_read2_b64 v[117:120], v116 offset0:99 offset1:100
	ds_read2_b64 v[121:124], v116 offset0:101 offset1:102
	;; [unrolled: 1-line block ×8, first 2 shown]
	v_cmp_lt_u32_e32 vcc, 39, v0
	s_waitcnt vmcnt(33) lgkmcnt(7)
	v_mul_f32_e32 v116, v117, v1
	v_mul_f32_e32 v1, v118, v1
	s_waitcnt vmcnt(32)
	v_mul_f32_e32 v171, v119, v2
	v_mul_f32_e32 v2, v120, v2
	s_waitcnt vmcnt(31) lgkmcnt(6)
	v_mul_f32_e32 v172, v121, v3
	v_mul_f32_e32 v3, v122, v3
	s_waitcnt vmcnt(30)
	v_mul_f32_e32 v173, v123, v4
	s_waitcnt vmcnt(29) lgkmcnt(5)
	v_mul_f32_e32 v174, v125, v5
	s_waitcnt vmcnt(28)
	v_mul_f32_e32 v175, v127, v6
	s_waitcnt vmcnt(27) lgkmcnt(4)
	;; [unrolled: 4-line block ×5, first 2 shown]
	v_mul_f32_e32 v182, v141, v149
	s_waitcnt vmcnt(17)
	v_fma_f32 v1, v117, v153, -v1
	s_waitcnt vmcnt(16)
	v_fma_f32 v2, v119, v154, -v2
	v_add_f32_e32 v1, 0, v1
	v_add_f32_e32 v1, v1, v2
	s_waitcnt vmcnt(15)
	v_fma_f32 v3, v121, v155, -v3
	v_add_f32_e32 v1, v1, v3
	v_mul_f32_e32 v3, v124, v4
	s_waitcnt vmcnt(14)
	v_fma_f32 v3, v123, v156, -v3
	v_add_f32_e32 v1, v1, v3
	v_mul_f32_e32 v3, v126, v5
	;; [unrolled: 4-line block ×6, first 2 shown]
	v_fmac_f32_e32 v116, v118, v153
	s_waitcnt vmcnt(9)
	v_fma_f32 v3, v133, v161, -v3
	v_fmac_f32_e32 v171, v120, v154
	v_add_f32_e32 v116, 0, v116
	v_add_f32_e32 v1, v1, v3
	v_mul_f32_e32 v3, v136, v10
	v_fmac_f32_e32 v172, v122, v155
	v_add_f32_e32 v116, v116, v171
	s_waitcnt vmcnt(8)
	v_fma_f32 v3, v135, v162, -v3
	v_fmac_f32_e32 v173, v124, v156
	v_add_f32_e32 v2, v116, v172
	v_add_f32_e32 v1, v1, v3
	v_mul_f32_e32 v3, v138, v11
	v_fmac_f32_e32 v174, v126, v157
	v_add_f32_e32 v2, v2, v173
	;; [unrolled: 8-line block ×5, first 2 shown]
	s_waitcnt vmcnt(4)
	v_fma_f32 v3, v143, v166, -v3
	v_fmac_f32_e32 v181, v140, v164
	v_add_f32_e32 v2, v2, v180
	v_add_f32_e32 v1, v1, v3
	s_waitcnt lgkmcnt(0)
	v_mul_f32_e32 v3, v146, v151
	v_mul_f32_e32 v183, v143, v150
	v_fmac_f32_e32 v182, v142, v165
	v_add_f32_e32 v2, v2, v181
	s_waitcnt vmcnt(3)
	v_fma_f32 v3, v145, v167, -v3
	v_mul_f32_e32 v184, v145, v151
	v_fmac_f32_e32 v183, v144, v166
	v_add_f32_e32 v2, v2, v182
	v_add_f32_e32 v1, v1, v3
	v_mul_f32_e32 v3, v148, v152
	v_mul_f32_e32 v185, v147, v152
	v_fmac_f32_e32 v184, v146, v167
	v_add_f32_e32 v2, v2, v183
	s_waitcnt vmcnt(2)
	v_fma_f32 v3, v147, v168, -v3
	v_fmac_f32_e32 v185, v148, v168
	v_add_f32_e32 v2, v2, v184
	v_add_f32_e32 v1, v1, v3
	;; [unrolled: 1-line block ×3, first 2 shown]
	s_waitcnt vmcnt(1)
	v_sub_f32_e32 v1, v169, v1
	s_waitcnt vmcnt(0)
	v_sub_f32_e32 v2, v170, v2
	buffer_store_dword v1, off, s[0:3], 0 offset:320
	buffer_store_dword v2, off, s[0:3], 0 offset:324
	s_and_saveexec_b64 s[4:5], vcc
	s_cbranch_execz .LBB56_277
; %bb.276:
	buffer_load_dword v1, off, s[0:3], 0 offset:312
	buffer_load_dword v2, off, s[0:3], 0 offset:316
	v_mov_b32_e32 v3, 0
	buffer_store_dword v3, off, s[0:3], 0 offset:312
	buffer_store_dword v3, off, s[0:3], 0 offset:316
	s_waitcnt vmcnt(2)
	ds_write_b64 v115, v[1:2]
.LBB56_277:
	s_or_b64 exec, exec, s[4:5]
	s_waitcnt lgkmcnt(0)
	; wave barrier
	buffer_load_dword v3, off, s[0:3], 0 offset:324
	buffer_load_dword v4, off, s[0:3], 0 offset:332
	;; [unrolled: 1-line block ×36, first 2 shown]
	v_mov_b32_e32 v116, 0
	ds_read_b128 v[117:120], v116 offset:784
	ds_read_b128 v[121:124], v116 offset:800
	;; [unrolled: 1-line block ×8, first 2 shown]
	ds_read_b64 v[1:2], v116 offset:912
	v_cmp_lt_u32_e32 vcc, 38, v0
	s_waitcnt vmcnt(35) lgkmcnt(8)
	v_mul_f32_e32 v175, v117, v3
	v_mul_f32_e32 v3, v118, v3
	s_waitcnt vmcnt(34)
	v_mul_f32_e32 v176, v119, v4
	v_mul_f32_e32 v4, v120, v4
	s_waitcnt vmcnt(33) lgkmcnt(7)
	v_mul_f32_e32 v177, v121, v5
	s_waitcnt vmcnt(32)
	v_mul_f32_e32 v178, v123, v6
	s_waitcnt vmcnt(31) lgkmcnt(6)
	v_mul_f32_e32 v179, v125, v7
	s_waitcnt vmcnt(30)
	v_mul_f32_e32 v180, v127, v8
	s_waitcnt vmcnt(29) lgkmcnt(5)
	v_mul_f32_e32 v181, v129, v9
	s_waitcnt vmcnt(28)
	v_mul_f32_e32 v182, v131, v10
	s_waitcnt vmcnt(27) lgkmcnt(4)
	v_mul_f32_e32 v183, v133, v11
	s_waitcnt vmcnt(26)
	v_mul_f32_e32 v184, v135, v12
	s_waitcnt vmcnt(25) lgkmcnt(3)
	v_mul_f32_e32 v185, v137, v149
	s_waitcnt vmcnt(24)
	v_mul_f32_e32 v186, v139, v150
	s_waitcnt vmcnt(23) lgkmcnt(2)
	v_mul_f32_e32 v187, v141, v151
	s_waitcnt vmcnt(22)
	v_mul_f32_e32 v188, v143, v152
	s_waitcnt vmcnt(21) lgkmcnt(1)
	v_mul_f32_e32 v189, v145, v153
	s_waitcnt vmcnt(18)
	v_fma_f32 v3, v117, v156, -v3
	v_add_f32_e32 v3, 0, v3
	s_waitcnt vmcnt(17)
	v_fma_f32 v4, v119, v157, -v4
	v_add_f32_e32 v3, v3, v4
	v_mul_f32_e32 v4, v122, v5
	s_waitcnt vmcnt(16)
	v_fma_f32 v4, v121, v158, -v4
	v_add_f32_e32 v3, v3, v4
	v_mul_f32_e32 v4, v124, v6
	;; [unrolled: 4-line block ×7, first 2 shown]
	v_fmac_f32_e32 v175, v118, v156
	s_waitcnt vmcnt(10)
	v_fma_f32 v4, v133, v164, -v4
	v_fmac_f32_e32 v176, v120, v157
	v_add_f32_e32 v175, 0, v175
	v_add_f32_e32 v3, v3, v4
	v_mul_f32_e32 v4, v136, v12
	v_fmac_f32_e32 v177, v122, v158
	v_add_f32_e32 v175, v175, v176
	s_waitcnt vmcnt(9)
	v_fma_f32 v4, v135, v165, -v4
	v_fmac_f32_e32 v178, v124, v159
	v_add_f32_e32 v175, v175, v177
	v_add_f32_e32 v3, v3, v4
	v_mul_f32_e32 v4, v138, v149
	v_fmac_f32_e32 v179, v126, v160
	v_add_f32_e32 v175, v175, v178
	;; [unrolled: 8-line block ×6, first 2 shown]
	s_waitcnt vmcnt(4)
	v_fma_f32 v4, v145, v170, -v4
	s_waitcnt lgkmcnt(0)
	v_mul_f32_e32 v191, v1, v155
	v_fmac_f32_e32 v188, v144, v169
	v_add_f32_e32 v175, v175, v187
	v_add_f32_e32 v3, v3, v4
	v_mul_f32_e32 v4, v148, v154
	v_mul_f32_e32 v190, v147, v154
	v_fmac_f32_e32 v189, v146, v170
	s_waitcnt vmcnt(2)
	v_fmac_f32_e32 v191, v2, v172
	v_add_f32_e32 v175, v175, v188
	v_fma_f32 v4, v147, v171, -v4
	v_mul_f32_e32 v2, v2, v155
	v_fmac_f32_e32 v190, v148, v171
	v_add_f32_e32 v175, v175, v189
	v_add_f32_e32 v3, v3, v4
	v_fma_f32 v1, v1, v172, -v2
	v_add_f32_e32 v175, v175, v190
	v_add_f32_e32 v1, v3, v1
	;; [unrolled: 1-line block ×3, first 2 shown]
	s_waitcnt vmcnt(1)
	v_sub_f32_e32 v1, v173, v1
	s_waitcnt vmcnt(0)
	v_sub_f32_e32 v2, v174, v175
	buffer_store_dword v1, off, s[0:3], 0 offset:312
	buffer_store_dword v2, off, s[0:3], 0 offset:316
	s_and_saveexec_b64 s[4:5], vcc
	s_cbranch_execz .LBB56_279
; %bb.278:
	buffer_load_dword v1, off, s[0:3], 0 offset:304
	buffer_load_dword v2, off, s[0:3], 0 offset:308
	s_waitcnt vmcnt(0)
	ds_write_b64 v115, v[1:2]
	buffer_store_dword v116, off, s[0:3], 0 offset:304
	buffer_store_dword v116, off, s[0:3], 0 offset:308
.LBB56_279:
	s_or_b64 exec, exec, s[4:5]
	s_waitcnt lgkmcnt(0)
	; wave barrier
	buffer_load_dword v1, off, s[0:3], 0 offset:316
	buffer_load_dword v2, off, s[0:3], 0 offset:324
	;; [unrolled: 1-line block ×38, first 2 shown]
	ds_read2_b64 v[117:120], v116 offset0:97 offset1:98
	ds_read2_b64 v[121:124], v116 offset0:99 offset1:100
	;; [unrolled: 1-line block ×9, first 2 shown]
	v_cmp_lt_u32_e32 vcc, 37, v0
	s_waitcnt vmcnt(37) lgkmcnt(8)
	v_mul_f32_e32 v116, v117, v1
	v_mul_f32_e32 v1, v118, v1
	s_waitcnt vmcnt(36)
	v_mul_f32_e32 v179, v119, v2
	v_mul_f32_e32 v2, v120, v2
	s_waitcnt vmcnt(35) lgkmcnt(7)
	v_mul_f32_e32 v180, v121, v3
	s_waitcnt vmcnt(34)
	v_mul_f32_e32 v181, v123, v4
	s_waitcnt vmcnt(33) lgkmcnt(6)
	v_mul_f32_e32 v182, v125, v5
	s_waitcnt vmcnt(32)
	;; [unrolled: 4-line block ×7, first 2 shown]
	v_fma_f32 v1, v117, v158, -v1
	v_add_f32_e32 v1, 0, v1
	s_waitcnt vmcnt(19)
	v_fma_f32 v2, v119, v159, -v2
	v_add_f32_e32 v1, v1, v2
	v_mul_f32_e32 v2, v122, v3
	s_waitcnt vmcnt(18)
	v_fma_f32 v2, v121, v160, -v2
	v_add_f32_e32 v1, v1, v2
	v_mul_f32_e32 v2, v124, v4
	;; [unrolled: 4-line block ×8, first 2 shown]
	v_fmac_f32_e32 v116, v118, v158
	s_waitcnt vmcnt(11)
	v_fma_f32 v2, v135, v167, -v2
	v_fmac_f32_e32 v179, v120, v159
	v_add_f32_e32 v116, 0, v116
	v_add_f32_e32 v1, v1, v2
	v_mul_f32_e32 v2, v138, v11
	v_fmac_f32_e32 v180, v122, v160
	v_add_f32_e32 v116, v116, v179
	s_waitcnt vmcnt(10)
	v_fma_f32 v2, v137, v168, -v2
	v_fmac_f32_e32 v181, v124, v161
	v_add_f32_e32 v116, v116, v180
	v_add_f32_e32 v1, v1, v2
	v_mul_f32_e32 v2, v140, v12
	v_fmac_f32_e32 v182, v126, v162
	v_add_f32_e32 v116, v116, v181
	s_waitcnt vmcnt(9)
	v_fma_f32 v2, v139, v169, -v2
	v_fmac_f32_e32 v183, v128, v163
	v_add_f32_e32 v116, v116, v182
	v_add_f32_e32 v1, v1, v2
	v_mul_f32_e32 v2, v142, v153
	v_fmac_f32_e32 v184, v130, v164
	v_add_f32_e32 v116, v116, v183
	s_waitcnt vmcnt(8)
	v_fma_f32 v2, v141, v170, -v2
	v_fmac_f32_e32 v185, v132, v165
	v_add_f32_e32 v116, v116, v184
	v_add_f32_e32 v1, v1, v2
	v_mul_f32_e32 v2, v144, v154
	v_fmac_f32_e32 v186, v134, v166
	v_add_f32_e32 v116, v116, v185
	s_waitcnt vmcnt(7)
	v_fma_f32 v2, v143, v171, -v2
	v_fmac_f32_e32 v187, v136, v167
	v_add_f32_e32 v116, v116, v186
	v_add_f32_e32 v1, v1, v2
	v_mul_f32_e32 v2, v146, v155
	v_fmac_f32_e32 v188, v138, v168
	v_add_f32_e32 v116, v116, v187
	s_waitcnt vmcnt(6)
	v_fma_f32 v2, v145, v172, -v2
	v_fmac_f32_e32 v189, v140, v169
	v_add_f32_e32 v116, v116, v188
	v_add_f32_e32 v1, v1, v2
	v_mul_f32_e32 v2, v148, v156
	v_fmac_f32_e32 v190, v142, v170
	v_add_f32_e32 v116, v116, v189
	s_waitcnt vmcnt(5)
	v_fma_f32 v2, v147, v173, -v2
	v_fmac_f32_e32 v191, v144, v171
	v_add_f32_e32 v116, v116, v190
	v_add_f32_e32 v1, v1, v2
	s_waitcnt lgkmcnt(0)
	v_mul_f32_e32 v2, v150, v157
	v_mul_f32_e32 v193, v147, v156
	v_fmac_f32_e32 v192, v146, v172
	v_add_f32_e32 v116, v116, v191
	s_waitcnt vmcnt(4)
	v_fma_f32 v2, v149, v174, -v2
	v_mul_f32_e32 v194, v149, v157
	v_fmac_f32_e32 v193, v148, v173
	v_add_f32_e32 v116, v116, v192
	v_add_f32_e32 v1, v1, v2
	s_waitcnt vmcnt(3)
	v_mul_f32_e32 v2, v152, v175
	v_add_f32_e32 v116, v116, v193
	v_fmac_f32_e32 v194, v150, v174
	v_mul_f32_e32 v179, v151, v175
	s_waitcnt vmcnt(2)
	v_fma_f32 v2, v151, v176, -v2
	v_add_f32_e32 v116, v116, v194
	v_fmac_f32_e32 v179, v152, v176
	v_add_f32_e32 v1, v1, v2
	v_add_f32_e32 v116, v116, v179
	s_waitcnt vmcnt(1)
	v_sub_f32_e32 v1, v177, v1
	s_waitcnt vmcnt(0)
	v_sub_f32_e32 v2, v178, v116
	buffer_store_dword v1, off, s[0:3], 0 offset:304
	buffer_store_dword v2, off, s[0:3], 0 offset:308
	s_and_saveexec_b64 s[4:5], vcc
	s_cbranch_execz .LBB56_281
; %bb.280:
	buffer_load_dword v1, off, s[0:3], 0 offset:296
	buffer_load_dword v2, off, s[0:3], 0 offset:300
	v_mov_b32_e32 v3, 0
	buffer_store_dword v3, off, s[0:3], 0 offset:296
	buffer_store_dword v3, off, s[0:3], 0 offset:300
	s_waitcnt vmcnt(2)
	ds_write_b64 v115, v[1:2]
.LBB56_281:
	s_or_b64 exec, exec, s[4:5]
	s_waitcnt lgkmcnt(0)
	; wave barrier
	buffer_load_dword v3, off, s[0:3], 0 offset:308
	buffer_load_dword v4, off, s[0:3], 0 offset:316
	;; [unrolled: 1-line block ×40, first 2 shown]
	v_mov_b32_e32 v116, 0
	ds_read_b128 v[117:120], v116 offset:768
	ds_read_b128 v[121:124], v116 offset:784
	;; [unrolled: 1-line block ×9, first 2 shown]
	v_cmp_lt_u32_e32 vcc, 36, v0
	s_waitcnt vmcnt(39) lgkmcnt(8)
	v_mul_f32_e32 v1, v117, v3
	v_mul_f32_e32 v3, v118, v3
	s_waitcnt vmcnt(38)
	v_mul_f32_e32 v2, v119, v4
	v_mul_f32_e32 v4, v120, v4
	s_waitcnt vmcnt(37) lgkmcnt(7)
	v_mul_f32_e32 v183, v121, v5
	s_waitcnt vmcnt(36)
	v_mul_f32_e32 v184, v123, v6
	s_waitcnt vmcnt(35) lgkmcnt(6)
	v_mul_f32_e32 v185, v125, v7
	s_waitcnt vmcnt(34)
	;; [unrolled: 4-line block ×6, first 2 shown]
	v_fma_f32 v3, v117, v158, -v3
	v_add_f32_e32 v3, 0, v3
	s_waitcnt vmcnt(23)
	v_fma_f32 v4, v119, v159, -v4
	v_add_f32_e32 v3, v3, v4
	v_mul_f32_e32 v4, v122, v5
	s_waitcnt vmcnt(22)
	v_fma_f32 v4, v121, v160, -v4
	v_add_f32_e32 v3, v3, v4
	v_mul_f32_e32 v4, v124, v6
	;; [unrolled: 4-line block ×5, first 2 shown]
	v_fmac_f32_e32 v1, v118, v158
	s_waitcnt vmcnt(18)
	v_fma_f32 v4, v129, v164, -v4
	v_fmac_f32_e32 v2, v120, v159
	v_add_f32_e32 v1, 0, v1
	v_add_f32_e32 v3, v3, v4
	v_mul_f32_e32 v4, v132, v10
	v_fmac_f32_e32 v183, v122, v160
	v_add_f32_e32 v1, v1, v2
	s_waitcnt vmcnt(17)
	v_fma_f32 v4, v131, v165, -v4
	v_fmac_f32_e32 v184, v124, v161
	v_add_f32_e32 v1, v1, v183
	v_add_f32_e32 v3, v3, v4
	v_mul_f32_e32 v4, v134, v11
	v_fmac_f32_e32 v185, v126, v162
	v_add_f32_e32 v1, v1, v184
	;; [unrolled: 8-line block ×5, first 2 shown]
	s_waitcnt vmcnt(13)
	v_fma_f32 v4, v139, v169, -v4
	v_fmac_f32_e32 v192, v140, v169
	v_add_f32_e32 v1, v1, v191
	v_add_f32_e32 v3, v3, v4
	v_mul_f32_e32 v4, v142, v155
	v_mul_f32_e32 v194, v143, v156
	s_waitcnt vmcnt(12)
	v_fmac_f32_e32 v193, v142, v170
	v_add_f32_e32 v1, v1, v192
	v_fma_f32 v4, v141, v170, -v4
	s_waitcnt lgkmcnt(1)
	v_mul_f32_e32 v195, v145, v157
	s_waitcnt vmcnt(11)
	v_fmac_f32_e32 v194, v144, v171
	v_add_f32_e32 v1, v1, v193
	v_add_f32_e32 v3, v3, v4
	v_mul_f32_e32 v4, v144, v156
	s_waitcnt vmcnt(10)
	v_fmac_f32_e32 v195, v146, v172
	v_add_f32_e32 v1, v1, v194
	s_waitcnt vmcnt(9)
	v_mul_f32_e32 v2, v147, v173
	v_fma_f32 v4, v143, v171, -v4
	v_add_f32_e32 v1, v1, v195
	s_waitcnt vmcnt(8)
	v_fmac_f32_e32 v2, v148, v174
	v_add_f32_e32 v3, v3, v4
	v_mul_f32_e32 v4, v146, v157
	v_add_f32_e32 v183, v1, v2
	ds_read_b64 v[1:2], v116 offset:912
	v_fma_f32 v4, v145, v172, -v4
	s_waitcnt vmcnt(7) lgkmcnt(1)
	v_mul_f32_e32 v184, v149, v175
	v_add_f32_e32 v3, v3, v4
	v_mul_f32_e32 v4, v148, v173
	s_waitcnt vmcnt(6)
	v_fmac_f32_e32 v184, v150, v176
	v_fma_f32 v4, v147, v174, -v4
	v_add_f32_e32 v183, v183, v184
	s_waitcnt vmcnt(5)
	v_mul_f32_e32 v184, v151, v177
	v_add_f32_e32 v3, v3, v4
	v_mul_f32_e32 v4, v150, v175
	s_waitcnt vmcnt(4)
	v_fmac_f32_e32 v184, v152, v178
	v_fma_f32 v4, v149, v176, -v4
	v_add_f32_e32 v183, v183, v184
	s_waitcnt vmcnt(3) lgkmcnt(0)
	v_mul_f32_e32 v184, v1, v179
	v_add_f32_e32 v3, v3, v4
	v_mul_f32_e32 v4, v152, v177
	s_waitcnt vmcnt(2)
	v_fmac_f32_e32 v184, v2, v180
	v_fma_f32 v4, v151, v178, -v4
	v_mul_f32_e32 v2, v2, v179
	v_add_f32_e32 v3, v3, v4
	v_fma_f32 v1, v1, v180, -v2
	v_add_f32_e32 v1, v3, v1
	v_add_f32_e32 v183, v183, v184
	s_waitcnt vmcnt(1)
	v_sub_f32_e32 v1, v181, v1
	s_waitcnt vmcnt(0)
	v_sub_f32_e32 v2, v182, v183
	buffer_store_dword v1, off, s[0:3], 0 offset:296
	buffer_store_dword v2, off, s[0:3], 0 offset:300
	s_and_saveexec_b64 s[4:5], vcc
	s_cbranch_execz .LBB56_283
; %bb.282:
	buffer_load_dword v1, off, s[0:3], 0 offset:288
	buffer_load_dword v2, off, s[0:3], 0 offset:292
	s_waitcnt vmcnt(0)
	ds_write_b64 v115, v[1:2]
	buffer_store_dword v116, off, s[0:3], 0 offset:288
	buffer_store_dword v116, off, s[0:3], 0 offset:292
.LBB56_283:
	s_or_b64 exec, exec, s[4:5]
	s_waitcnt lgkmcnt(0)
	; wave barrier
	buffer_load_dword v1, off, s[0:3], 0 offset:300
	buffer_load_dword v2, off, s[0:3], 0 offset:308
	;; [unrolled: 1-line block ×42, first 2 shown]
	ds_read2_b64 v[117:120], v116 offset0:95 offset1:96
	ds_read2_b64 v[121:124], v116 offset0:97 offset1:98
	;; [unrolled: 1-line block ×8, first 2 shown]
	v_cmp_lt_u32_e32 vcc, 35, v0
	s_waitcnt vmcnt(41) lgkmcnt(7)
	v_mul_f32_e32 v149, v117, v1
	v_mul_f32_e32 v1, v118, v1
	s_waitcnt vmcnt(40)
	v_mul_f32_e32 v150, v119, v2
	v_mul_f32_e32 v2, v120, v2
	s_waitcnt vmcnt(39) lgkmcnt(6)
	v_mul_f32_e32 v151, v121, v3
	s_waitcnt vmcnt(38)
	v_mul_f32_e32 v152, v123, v4
	s_waitcnt vmcnt(37) lgkmcnt(5)
	v_mul_f32_e32 v153, v125, v5
	s_waitcnt vmcnt(36)
	;; [unrolled: 4-line block ×6, first 2 shown]
	v_fma_f32 v1, v117, v160, -v1
	v_add_f32_e32 v1, 0, v1
	s_waitcnt vmcnt(25)
	v_fma_f32 v2, v119, v161, -v2
	v_add_f32_e32 v1, v1, v2
	v_mul_f32_e32 v2, v122, v3
	s_waitcnt vmcnt(24)
	v_fma_f32 v2, v121, v162, -v2
	v_add_f32_e32 v1, v1, v2
	v_mul_f32_e32 v2, v124, v4
	;; [unrolled: 4-line block ×4, first 2 shown]
	s_waitcnt vmcnt(21)
	v_fma_f32 v2, v127, v165, -v2
	v_fmac_f32_e32 v149, v118, v160
	v_add_f32_e32 v1, v1, v2
	v_mul_f32_e32 v2, v130, v7
	v_fmac_f32_e32 v150, v120, v161
	v_add_f32_e32 v149, 0, v149
	s_waitcnt vmcnt(20)
	v_fma_f32 v2, v129, v166, -v2
	v_fmac_f32_e32 v151, v122, v162
	v_add_f32_e32 v149, v149, v150
	v_add_f32_e32 v1, v1, v2
	v_mul_f32_e32 v2, v132, v8
	v_fmac_f32_e32 v152, v124, v163
	v_add_f32_e32 v149, v149, v151
	s_waitcnt vmcnt(19)
	v_fma_f32 v2, v131, v167, -v2
	v_fmac_f32_e32 v153, v126, v164
	v_add_f32_e32 v149, v149, v152
	;; [unrolled: 8-line block ×5, first 2 shown]
	v_add_f32_e32 v1, v1, v2
	v_mul_f32_e32 v2, v140, v12
	s_waitcnt vmcnt(15)
	v_fmac_f32_e32 v190, v140, v171
	v_add_f32_e32 v149, v149, v189
	v_fma_f32 v2, v139, v171, -v2
	v_mul_f32_e32 v192, v143, v158
	s_waitcnt vmcnt(14)
	v_fmac_f32_e32 v191, v142, v172
	v_add_f32_e32 v149, v149, v190
	v_add_f32_e32 v1, v1, v2
	v_mul_f32_e32 v2, v142, v157
	s_waitcnt lgkmcnt(0)
	v_mul_f32_e32 v193, v145, v159
	s_waitcnt vmcnt(13)
	v_fmac_f32_e32 v192, v144, v173
	v_add_f32_e32 v149, v149, v191
	v_fma_f32 v2, v141, v172, -v2
	s_waitcnt vmcnt(12)
	v_fmac_f32_e32 v193, v146, v174
	v_add_f32_e32 v149, v149, v192
	v_add_f32_e32 v1, v1, v2
	v_mul_f32_e32 v2, v144, v158
	v_add_f32_e32 v153, v149, v193
	ds_read2_b64 v[149:152], v116 offset0:111 offset1:112
	v_fma_f32 v2, v143, v173, -v2
	v_add_f32_e32 v1, v1, v2
	v_mul_f32_e32 v2, v146, v159
	s_waitcnt vmcnt(11)
	v_mul_f32_e32 v154, v147, v175
	v_fma_f32 v2, v145, v174, -v2
	s_waitcnt vmcnt(10)
	v_fmac_f32_e32 v154, v148, v176
	v_add_f32_e32 v1, v1, v2
	v_mul_f32_e32 v2, v148, v175
	v_add_f32_e32 v187, v153, v154
	ds_read2_b64 v[153:156], v116 offset0:113 offset1:114
	v_fma_f32 v2, v147, v176, -v2
	v_add_f32_e32 v1, v1, v2
	s_waitcnt vmcnt(9) lgkmcnt(1)
	v_mul_f32_e32 v2, v150, v177
	v_mul_f32_e32 v116, v149, v177
	s_waitcnt vmcnt(8)
	v_fma_f32 v2, v149, v178, -v2
	v_fmac_f32_e32 v116, v150, v178
	v_add_f32_e32 v1, v1, v2
	s_waitcnt vmcnt(7)
	v_mul_f32_e32 v2, v152, v179
	v_add_f32_e32 v116, v187, v116
	v_mul_f32_e32 v187, v151, v179
	s_waitcnt vmcnt(6)
	v_fma_f32 v2, v151, v180, -v2
	v_fmac_f32_e32 v187, v152, v180
	v_add_f32_e32 v1, v1, v2
	s_waitcnt vmcnt(5) lgkmcnt(0)
	v_mul_f32_e32 v2, v154, v181
	v_add_f32_e32 v116, v116, v187
	v_mul_f32_e32 v187, v153, v181
	s_waitcnt vmcnt(4)
	v_fma_f32 v2, v153, v182, -v2
	v_fmac_f32_e32 v187, v154, v182
	v_add_f32_e32 v1, v1, v2
	s_waitcnt vmcnt(3)
	v_mul_f32_e32 v2, v156, v183
	v_add_f32_e32 v116, v116, v187
	v_mul_f32_e32 v187, v155, v183
	s_waitcnt vmcnt(2)
	v_fma_f32 v2, v155, v184, -v2
	v_fmac_f32_e32 v187, v156, v184
	v_add_f32_e32 v1, v1, v2
	v_add_f32_e32 v116, v116, v187
	s_waitcnt vmcnt(1)
	v_sub_f32_e32 v1, v185, v1
	s_waitcnt vmcnt(0)
	v_sub_f32_e32 v2, v186, v116
	buffer_store_dword v1, off, s[0:3], 0 offset:288
	buffer_store_dword v2, off, s[0:3], 0 offset:292
	s_and_saveexec_b64 s[4:5], vcc
	s_cbranch_execz .LBB56_285
; %bb.284:
	buffer_load_dword v1, off, s[0:3], 0 offset:280
	buffer_load_dword v2, off, s[0:3], 0 offset:284
	v_mov_b32_e32 v3, 0
	buffer_store_dword v3, off, s[0:3], 0 offset:280
	buffer_store_dword v3, off, s[0:3], 0 offset:284
	s_waitcnt vmcnt(2)
	ds_write_b64 v115, v[1:2]
.LBB56_285:
	s_or_b64 exec, exec, s[4:5]
	s_waitcnt lgkmcnt(0)
	; wave barrier
	buffer_load_dword v3, off, s[0:3], 0 offset:292
	buffer_load_dword v4, off, s[0:3], 0 offset:300
	;; [unrolled: 1-line block ×44, first 2 shown]
	v_mov_b32_e32 v116, 0
	ds_read_b128 v[117:120], v116 offset:752
	ds_read_b128 v[121:124], v116 offset:768
	;; [unrolled: 1-line block ×8, first 2 shown]
	v_cmp_lt_u32_e32 vcc, 34, v0
	s_waitcnt vmcnt(43) lgkmcnt(7)
	v_mul_f32_e32 v1, v117, v3
	v_mul_f32_e32 v3, v118, v3
	s_waitcnt vmcnt(42)
	v_mul_f32_e32 v2, v119, v4
	v_mul_f32_e32 v4, v120, v4
	s_waitcnt vmcnt(41) lgkmcnt(6)
	v_mul_f32_e32 v149, v121, v5
	s_waitcnt vmcnt(40)
	v_mul_f32_e32 v150, v123, v6
	s_waitcnt vmcnt(39) lgkmcnt(5)
	v_mul_f32_e32 v151, v125, v7
	s_waitcnt vmcnt(38)
	;; [unrolled: 4-line block ×5, first 2 shown]
	v_mul_f32_e32 v192, v139, v158
	s_waitcnt vmcnt(29)
	v_fma_f32 v3, v117, v161, -v3
	v_add_f32_e32 v3, 0, v3
	s_waitcnt vmcnt(28)
	v_fma_f32 v4, v119, v162, -v4
	v_add_f32_e32 v3, v3, v4
	v_mul_f32_e32 v4, v122, v5
	s_waitcnt vmcnt(27)
	v_fma_f32 v4, v121, v163, -v4
	v_add_f32_e32 v3, v3, v4
	v_mul_f32_e32 v4, v124, v6
	;; [unrolled: 4-line block ×4, first 2 shown]
	s_waitcnt vmcnt(24)
	v_fma_f32 v4, v127, v166, -v4
	v_fmac_f32_e32 v1, v118, v161
	v_add_f32_e32 v3, v3, v4
	v_mul_f32_e32 v4, v130, v9
	v_fmac_f32_e32 v2, v120, v162
	v_add_f32_e32 v1, 0, v1
	s_waitcnt vmcnt(23)
	v_fma_f32 v4, v129, v167, -v4
	v_fmac_f32_e32 v149, v122, v163
	v_add_f32_e32 v1, v1, v2
	v_add_f32_e32 v3, v3, v4
	v_mul_f32_e32 v4, v132, v10
	v_fmac_f32_e32 v150, v124, v164
	v_add_f32_e32 v1, v1, v149
	s_waitcnt vmcnt(22)
	v_fma_f32 v4, v131, v168, -v4
	v_fmac_f32_e32 v151, v126, v165
	v_add_f32_e32 v1, v1, v150
	v_add_f32_e32 v3, v3, v4
	v_mul_f32_e32 v4, v134, v11
	v_fmac_f32_e32 v152, v128, v166
	v_add_f32_e32 v1, v1, v151
	s_waitcnt vmcnt(21)
	v_fma_f32 v4, v133, v169, -v4
	v_fmac_f32_e32 v153, v130, v167
	v_add_f32_e32 v1, v1, v152
	v_add_f32_e32 v3, v3, v4
	v_mul_f32_e32 v4, v136, v12
	v_fmac_f32_e32 v154, v132, v168
	v_add_f32_e32 v1, v1, v153
	s_waitcnt vmcnt(20)
	v_fma_f32 v4, v135, v170, -v4
	v_fmac_f32_e32 v155, v134, v169
	v_add_f32_e32 v1, v1, v154
	v_add_f32_e32 v3, v3, v4
	v_mul_f32_e32 v4, v138, v157
	v_fmac_f32_e32 v156, v136, v170
	v_add_f32_e32 v1, v1, v155
	s_waitcnt vmcnt(19)
	v_fma_f32 v4, v137, v171, -v4
	v_fmac_f32_e32 v191, v138, v171
	v_add_f32_e32 v1, v1, v156
	v_add_f32_e32 v3, v3, v4
	v_mul_f32_e32 v4, v140, v158
	s_waitcnt lgkmcnt(1)
	v_mul_f32_e32 v193, v141, v159
	s_waitcnt vmcnt(18)
	v_fmac_f32_e32 v192, v140, v172
	v_add_f32_e32 v1, v1, v191
	v_fma_f32 v4, v139, v172, -v4
	v_mul_f32_e32 v194, v143, v160
	s_waitcnt vmcnt(17)
	v_fmac_f32_e32 v193, v142, v173
	v_add_f32_e32 v1, v1, v192
	ds_read_b128 v[149:152], v116 offset:880
	ds_read_b128 v[153:156], v116 offset:896
	v_add_f32_e32 v3, v3, v4
	v_mul_f32_e32 v4, v142, v159
	v_add_f32_e32 v1, v1, v193
	s_waitcnt vmcnt(16)
	v_fmac_f32_e32 v194, v144, v174
	s_waitcnt vmcnt(15) lgkmcnt(2)
	v_mul_f32_e32 v2, v145, v175
	v_fma_f32 v4, v141, v173, -v4
	v_add_f32_e32 v1, v1, v194
	s_waitcnt vmcnt(14)
	v_fmac_f32_e32 v2, v146, v176
	v_add_f32_e32 v3, v3, v4
	v_mul_f32_e32 v4, v144, v160
	v_add_f32_e32 v1, v1, v2
	s_waitcnt vmcnt(13)
	v_mul_f32_e32 v2, v147, v177
	v_fma_f32 v4, v143, v174, -v4
	s_waitcnt vmcnt(12)
	v_fmac_f32_e32 v2, v148, v178
	v_add_f32_e32 v3, v3, v4
	v_mul_f32_e32 v4, v146, v175
	v_add_f32_e32 v1, v1, v2
	s_waitcnt vmcnt(11) lgkmcnt(1)
	v_mul_f32_e32 v2, v149, v179
	v_fma_f32 v4, v145, v176, -v4
	s_waitcnt vmcnt(10)
	v_fmac_f32_e32 v2, v150, v180
	v_add_f32_e32 v3, v3, v4
	v_mul_f32_e32 v4, v148, v177
	v_add_f32_e32 v1, v1, v2
	s_waitcnt vmcnt(9)
	v_mul_f32_e32 v2, v151, v181
	v_fma_f32 v4, v147, v178, -v4
	s_waitcnt vmcnt(8)
	v_fmac_f32_e32 v2, v152, v182
	v_add_f32_e32 v3, v3, v4
	v_mul_f32_e32 v4, v150, v179
	v_add_f32_e32 v191, v1, v2
	ds_read_b64 v[1:2], v116 offset:912
	v_fma_f32 v4, v149, v180, -v4
	s_waitcnt vmcnt(7) lgkmcnt(1)
	v_mul_f32_e32 v192, v153, v183
	v_add_f32_e32 v3, v3, v4
	v_mul_f32_e32 v4, v152, v181
	s_waitcnt vmcnt(6)
	v_fmac_f32_e32 v192, v154, v184
	v_fma_f32 v4, v151, v182, -v4
	v_add_f32_e32 v191, v191, v192
	s_waitcnt vmcnt(5)
	v_mul_f32_e32 v192, v155, v185
	v_add_f32_e32 v3, v3, v4
	v_mul_f32_e32 v4, v154, v183
	s_waitcnt vmcnt(4)
	v_fmac_f32_e32 v192, v156, v186
	v_fma_f32 v4, v153, v184, -v4
	v_add_f32_e32 v191, v191, v192
	s_waitcnt vmcnt(3) lgkmcnt(0)
	v_mul_f32_e32 v192, v1, v187
	v_add_f32_e32 v3, v3, v4
	v_mul_f32_e32 v4, v156, v185
	s_waitcnt vmcnt(2)
	v_fmac_f32_e32 v192, v2, v188
	v_fma_f32 v4, v155, v186, -v4
	v_mul_f32_e32 v2, v2, v187
	v_add_f32_e32 v3, v3, v4
	v_fma_f32 v1, v1, v188, -v2
	v_add_f32_e32 v1, v3, v1
	v_add_f32_e32 v191, v191, v192
	s_waitcnt vmcnt(1)
	v_sub_f32_e32 v1, v189, v1
	s_waitcnt vmcnt(0)
	v_sub_f32_e32 v2, v190, v191
	buffer_store_dword v1, off, s[0:3], 0 offset:280
	buffer_store_dword v2, off, s[0:3], 0 offset:284
	s_and_saveexec_b64 s[4:5], vcc
	s_cbranch_execz .LBB56_287
; %bb.286:
	buffer_load_dword v1, off, s[0:3], 0 offset:272
	buffer_load_dword v2, off, s[0:3], 0 offset:276
	s_waitcnt vmcnt(0)
	ds_write_b64 v115, v[1:2]
	buffer_store_dword v116, off, s[0:3], 0 offset:272
	buffer_store_dword v116, off, s[0:3], 0 offset:276
.LBB56_287:
	s_or_b64 exec, exec, s[4:5]
	s_waitcnt lgkmcnt(0)
	; wave barrier
	buffer_load_dword v1, off, s[0:3], 0 offset:284
	buffer_load_dword v2, off, s[0:3], 0 offset:292
	;; [unrolled: 1-line block ×46, first 2 shown]
	ds_read2_b64 v[117:120], v116 offset0:93 offset1:94
	ds_read2_b64 v[121:124], v116 offset0:95 offset1:96
	;; [unrolled: 1-line block ×8, first 2 shown]
	v_cmp_lt_u32_e32 vcc, 33, v0
	s_waitcnt vmcnt(45) lgkmcnt(7)
	v_mul_f32_e32 v149, v117, v1
	v_mul_f32_e32 v1, v118, v1
	s_waitcnt vmcnt(44)
	v_mul_f32_e32 v150, v119, v2
	v_mul_f32_e32 v2, v120, v2
	s_waitcnt vmcnt(43) lgkmcnt(6)
	v_mul_f32_e32 v151, v121, v3
	s_waitcnt vmcnt(42)
	v_mul_f32_e32 v152, v123, v4
	s_waitcnt vmcnt(41) lgkmcnt(5)
	v_mul_f32_e32 v153, v125, v5
	s_waitcnt vmcnt(40)
	;; [unrolled: 4-line block ×5, first 2 shown]
	v_fma_f32 v1, v117, v162, -v1
	v_add_f32_e32 v1, 0, v1
	s_waitcnt vmcnt(31)
	v_fma_f32 v2, v119, v163, -v2
	v_add_f32_e32 v1, v1, v2
	v_mul_f32_e32 v2, v122, v3
	s_waitcnt vmcnt(30)
	v_fma_f32 v2, v121, v164, -v2
	v_add_f32_e32 v1, v1, v2
	v_mul_f32_e32 v2, v124, v4
	;; [unrolled: 4-line block ×3, first 2 shown]
	s_waitcnt vmcnt(28)
	v_fma_f32 v2, v125, v166, -v2
	v_fmac_f32_e32 v149, v118, v162
	v_add_f32_e32 v1, v1, v2
	v_mul_f32_e32 v2, v128, v6
	v_fmac_f32_e32 v150, v120, v163
	v_add_f32_e32 v149, 0, v149
	s_waitcnt vmcnt(27)
	v_fma_f32 v2, v127, v167, -v2
	v_fmac_f32_e32 v151, v122, v164
	v_add_f32_e32 v149, v149, v150
	v_add_f32_e32 v1, v1, v2
	v_mul_f32_e32 v2, v130, v7
	v_fmac_f32_e32 v152, v124, v165
	v_add_f32_e32 v149, v149, v151
	s_waitcnt vmcnt(26)
	v_fma_f32 v2, v129, v168, -v2
	v_fmac_f32_e32 v153, v126, v166
	v_add_f32_e32 v149, v149, v152
	;; [unrolled: 8-line block ×4, first 2 shown]
	v_add_f32_e32 v1, v1, v2
	v_mul_f32_e32 v2, v136, v10
	s_waitcnt vmcnt(23)
	v_fmac_f32_e32 v158, v136, v171
	v_add_f32_e32 v149, v149, v157
	v_fma_f32 v2, v135, v171, -v2
	v_mul_f32_e32 v160, v139, v12
	s_waitcnt vmcnt(22)
	v_fmac_f32_e32 v159, v138, v172
	v_add_f32_e32 v149, v149, v158
	v_add_f32_e32 v1, v1, v2
	v_mul_f32_e32 v2, v138, v11
	s_waitcnt lgkmcnt(1)
	v_mul_f32_e32 v195, v141, v161
	s_waitcnt vmcnt(21)
	v_fmac_f32_e32 v160, v140, v173
	v_add_f32_e32 v149, v149, v159
	v_fma_f32 v2, v137, v172, -v2
	s_waitcnt vmcnt(20)
	v_fmac_f32_e32 v195, v142, v174
	v_add_f32_e32 v149, v149, v160
	s_waitcnt vmcnt(19)
	v_mul_f32_e32 v150, v143, v175
	v_add_f32_e32 v1, v1, v2
	v_mul_f32_e32 v2, v140, v12
	v_add_f32_e32 v149, v149, v195
	s_waitcnt vmcnt(18)
	v_fmac_f32_e32 v150, v144, v176
	v_fma_f32 v2, v139, v173, -v2
	v_add_f32_e32 v149, v149, v150
	s_waitcnt vmcnt(17) lgkmcnt(0)
	v_mul_f32_e32 v150, v145, v177
	v_add_f32_e32 v1, v1, v2
	v_mul_f32_e32 v2, v142, v161
	s_waitcnt vmcnt(16)
	v_fmac_f32_e32 v150, v146, v178
	v_fma_f32 v2, v141, v174, -v2
	v_add_f32_e32 v153, v149, v150
	ds_read2_b64 v[149:152], v116 offset0:109 offset1:110
	v_add_f32_e32 v1, v1, v2
	v_mul_f32_e32 v2, v144, v175
	v_fma_f32 v2, v143, v176, -v2
	v_add_f32_e32 v1, v1, v2
	v_mul_f32_e32 v2, v146, v177
	s_waitcnt vmcnt(15)
	v_mul_f32_e32 v154, v147, v179
	v_fma_f32 v2, v145, v178, -v2
	s_waitcnt vmcnt(14)
	v_fmac_f32_e32 v154, v148, v180
	v_add_f32_e32 v1, v1, v2
	v_mul_f32_e32 v2, v148, v179
	v_add_f32_e32 v157, v153, v154
	ds_read2_b64 v[153:156], v116 offset0:111 offset1:112
	s_waitcnt vmcnt(13) lgkmcnt(1)
	v_mul_f32_e32 v158, v149, v181
	v_fma_f32 v2, v147, v180, -v2
	s_waitcnt vmcnt(12)
	v_fmac_f32_e32 v158, v150, v182
	v_add_f32_e32 v1, v1, v2
	v_mul_f32_e32 v2, v150, v181
	v_add_f32_e32 v157, v157, v158
	s_waitcnt vmcnt(11)
	v_mul_f32_e32 v158, v151, v183
	v_fma_f32 v2, v149, v182, -v2
	s_waitcnt vmcnt(10)
	v_fmac_f32_e32 v158, v152, v184
	v_add_f32_e32 v1, v1, v2
	v_mul_f32_e32 v2, v152, v183
	v_add_f32_e32 v195, v157, v158
	ds_read2_b64 v[157:160], v116 offset0:113 offset1:114
	v_fma_f32 v2, v151, v184, -v2
	v_add_f32_e32 v1, v1, v2
	s_waitcnt vmcnt(9) lgkmcnt(1)
	v_mul_f32_e32 v2, v154, v185
	v_mul_f32_e32 v196, v153, v185
	s_waitcnt vmcnt(8)
	v_fma_f32 v2, v153, v186, -v2
	v_fmac_f32_e32 v196, v154, v186
	v_add_f32_e32 v1, v1, v2
	s_waitcnt vmcnt(7)
	v_mul_f32_e32 v2, v156, v187
	v_add_f32_e32 v116, v195, v196
	v_mul_f32_e32 v195, v155, v187
	s_waitcnt vmcnt(6)
	v_fma_f32 v2, v155, v188, -v2
	v_fmac_f32_e32 v195, v156, v188
	v_add_f32_e32 v1, v1, v2
	s_waitcnt vmcnt(5) lgkmcnt(0)
	v_mul_f32_e32 v2, v158, v189
	v_add_f32_e32 v116, v116, v195
	v_mul_f32_e32 v195, v157, v189
	s_waitcnt vmcnt(4)
	v_fma_f32 v2, v157, v190, -v2
	v_fmac_f32_e32 v195, v158, v190
	v_add_f32_e32 v1, v1, v2
	s_waitcnt vmcnt(3)
	v_mul_f32_e32 v2, v160, v191
	v_add_f32_e32 v116, v116, v195
	v_mul_f32_e32 v195, v159, v191
	s_waitcnt vmcnt(2)
	v_fma_f32 v2, v159, v192, -v2
	v_fmac_f32_e32 v195, v160, v192
	v_add_f32_e32 v1, v1, v2
	v_add_f32_e32 v116, v116, v195
	s_waitcnt vmcnt(1)
	v_sub_f32_e32 v1, v193, v1
	s_waitcnt vmcnt(0)
	v_sub_f32_e32 v2, v194, v116
	buffer_store_dword v1, off, s[0:3], 0 offset:272
	buffer_store_dword v2, off, s[0:3], 0 offset:276
	s_and_saveexec_b64 s[4:5], vcc
	s_cbranch_execz .LBB56_289
; %bb.288:
	buffer_load_dword v1, off, s[0:3], 0 offset:264
	buffer_load_dword v2, off, s[0:3], 0 offset:268
	v_mov_b32_e32 v3, 0
	buffer_store_dword v3, off, s[0:3], 0 offset:264
	buffer_store_dword v3, off, s[0:3], 0 offset:268
	s_waitcnt vmcnt(2)
	ds_write_b64 v115, v[1:2]
.LBB56_289:
	s_or_b64 exec, exec, s[4:5]
	s_waitcnt lgkmcnt(0)
	; wave barrier
	buffer_load_dword v3, off, s[0:3], 0 offset:276
	buffer_load_dword v4, off, s[0:3], 0 offset:284
	;; [unrolled: 1-line block ×48, first 2 shown]
	v_mov_b32_e32 v116, 0
	ds_read_b128 v[117:120], v116 offset:736
	ds_read_b128 v[121:124], v116 offset:752
	;; [unrolled: 1-line block ×7, first 2 shown]
	v_cmp_lt_u32_e32 vcc, 32, v0
	ds_read_b128 v[157:160], v116 offset:896
	s_waitcnt vmcnt(47) lgkmcnt(7)
	v_mul_f32_e32 v1, v117, v3
	v_mul_f32_e32 v3, v118, v3
	s_waitcnt vmcnt(46)
	v_mul_f32_e32 v2, v119, v4
	v_mul_f32_e32 v4, v120, v4
	s_waitcnt vmcnt(45) lgkmcnt(6)
	v_mul_f32_e32 v145, v121, v5
	s_waitcnt vmcnt(44)
	v_mul_f32_e32 v146, v123, v6
	s_waitcnt vmcnt(43) lgkmcnt(5)
	v_mul_f32_e32 v147, v125, v7
	s_waitcnt vmcnt(42)
	;; [unrolled: 4-line block ×4, first 2 shown]
	v_mul_f32_e32 v152, v135, v12
	s_waitcnt vmcnt(35)
	v_fma_f32 v3, v117, v163, -v3
	v_add_f32_e32 v3, 0, v3
	s_waitcnt vmcnt(34)
	v_fma_f32 v4, v119, v164, -v4
	v_add_f32_e32 v3, v3, v4
	v_mul_f32_e32 v4, v122, v5
	s_waitcnt vmcnt(33)
	v_fma_f32 v4, v121, v165, -v4
	v_add_f32_e32 v3, v3, v4
	v_mul_f32_e32 v4, v124, v6
	;; [unrolled: 4-line block ×3, first 2 shown]
	s_waitcnt vmcnt(31)
	v_fma_f32 v4, v125, v167, -v4
	v_fmac_f32_e32 v1, v118, v163
	v_add_f32_e32 v3, v3, v4
	v_mul_f32_e32 v4, v128, v8
	v_fmac_f32_e32 v2, v120, v164
	v_add_f32_e32 v1, 0, v1
	s_waitcnt vmcnt(30)
	v_fma_f32 v4, v127, v168, -v4
	v_fmac_f32_e32 v145, v122, v165
	v_add_f32_e32 v1, v1, v2
	v_add_f32_e32 v3, v3, v4
	v_mul_f32_e32 v4, v130, v9
	v_fmac_f32_e32 v146, v124, v166
	v_add_f32_e32 v1, v1, v145
	s_waitcnt vmcnt(29)
	v_fma_f32 v4, v129, v169, -v4
	v_fmac_f32_e32 v147, v126, v167
	v_add_f32_e32 v1, v1, v146
	;; [unrolled: 8-line block ×4, first 2 shown]
	v_add_f32_e32 v3, v3, v4
	v_mul_f32_e32 v4, v136, v12
	s_waitcnt lgkmcnt(2)
	v_mul_f32_e32 v153, v137, v161
	s_waitcnt vmcnt(26)
	v_fmac_f32_e32 v152, v136, v172
	v_add_f32_e32 v1, v1, v151
	v_fma_f32 v4, v135, v172, -v4
	v_mul_f32_e32 v154, v139, v162
	s_waitcnt vmcnt(25)
	v_fmac_f32_e32 v153, v138, v173
	v_add_f32_e32 v1, v1, v152
	ds_read_b128 v[145:148], v116 offset:848
	ds_read_b128 v[149:152], v116 offset:864
	v_add_f32_e32 v3, v3, v4
	v_mul_f32_e32 v4, v138, v161
	s_waitcnt vmcnt(24)
	v_fmac_f32_e32 v154, v140, v174
	v_add_f32_e32 v1, v1, v153
	s_waitcnt vmcnt(23) lgkmcnt(3)
	v_mul_f32_e32 v2, v141, v175
	v_fma_f32 v4, v137, v173, -v4
	v_add_f32_e32 v1, v1, v154
	s_waitcnt vmcnt(22)
	v_fmac_f32_e32 v2, v142, v176
	v_add_f32_e32 v3, v3, v4
	v_mul_f32_e32 v4, v140, v162
	v_add_f32_e32 v1, v1, v2
	s_waitcnt vmcnt(21)
	v_mul_f32_e32 v2, v143, v177
	v_fma_f32 v4, v139, v174, -v4
	s_waitcnt vmcnt(20)
	v_fmac_f32_e32 v2, v144, v178
	v_add_f32_e32 v3, v3, v4
	v_mul_f32_e32 v4, v142, v175
	v_add_f32_e32 v1, v1, v2
	s_waitcnt vmcnt(19) lgkmcnt(1)
	v_mul_f32_e32 v2, v145, v179
	v_fma_f32 v4, v141, v176, -v4
	s_waitcnt vmcnt(18)
	v_fmac_f32_e32 v2, v146, v180
	v_add_f32_e32 v3, v3, v4
	v_mul_f32_e32 v4, v144, v177
	v_add_f32_e32 v1, v1, v2
	s_waitcnt vmcnt(17)
	v_mul_f32_e32 v2, v147, v181
	v_fma_f32 v4, v143, v178, -v4
	s_waitcnt vmcnt(16)
	v_fmac_f32_e32 v2, v148, v182
	ds_read_b128 v[153:156], v116 offset:880
	v_add_f32_e32 v3, v3, v4
	v_mul_f32_e32 v4, v146, v179
	v_add_f32_e32 v1, v1, v2
	s_waitcnt vmcnt(15) lgkmcnt(1)
	v_mul_f32_e32 v2, v149, v183
	v_fma_f32 v4, v145, v180, -v4
	s_waitcnt vmcnt(14)
	v_fmac_f32_e32 v2, v150, v184
	v_add_f32_e32 v3, v3, v4
	v_mul_f32_e32 v4, v148, v181
	v_add_f32_e32 v1, v1, v2
	s_waitcnt vmcnt(13)
	v_mul_f32_e32 v2, v151, v185
	v_fma_f32 v4, v147, v182, -v4
	s_waitcnt vmcnt(12)
	v_fmac_f32_e32 v2, v152, v186
	v_add_f32_e32 v3, v3, v4
	v_mul_f32_e32 v4, v150, v183
	v_add_f32_e32 v1, v1, v2
	s_waitcnt vmcnt(11) lgkmcnt(0)
	v_mul_f32_e32 v2, v153, v187
	v_fma_f32 v4, v149, v184, -v4
	s_waitcnt vmcnt(10)
	v_fmac_f32_e32 v2, v154, v188
	v_add_f32_e32 v3, v3, v4
	v_mul_f32_e32 v4, v152, v185
	v_add_f32_e32 v1, v1, v2
	s_waitcnt vmcnt(9)
	v_mul_f32_e32 v2, v155, v189
	v_fma_f32 v4, v151, v186, -v4
	s_waitcnt vmcnt(8)
	v_fmac_f32_e32 v2, v156, v190
	v_add_f32_e32 v3, v3, v4
	v_mul_f32_e32 v4, v154, v187
	v_add_f32_e32 v199, v1, v2
	ds_read_b64 v[1:2], v116 offset:912
	v_fma_f32 v4, v153, v188, -v4
	s_waitcnt vmcnt(6)
	v_mul_f32_e32 v200, v157, v192
	v_add_f32_e32 v3, v3, v4
	v_mul_f32_e32 v4, v156, v189
	v_fmac_f32_e32 v200, v158, v191
	v_fma_f32 v4, v155, v190, -v4
	v_add_f32_e32 v199, v199, v200
	s_waitcnt vmcnt(3)
	v_mul_f32_e32 v200, v159, v195
	v_add_f32_e32 v3, v3, v4
	v_mul_f32_e32 v4, v158, v192
	s_waitcnt vmcnt(2)
	v_fmac_f32_e32 v200, v160, v196
	v_fma_f32 v4, v157, v191, -v4
	v_add_f32_e32 v199, v199, v200
	s_waitcnt vmcnt(0) lgkmcnt(0)
	v_mul_f32_e32 v200, v1, v198
	v_add_f32_e32 v3, v3, v4
	v_mul_f32_e32 v4, v160, v195
	v_fmac_f32_e32 v200, v2, v197
	v_fma_f32 v4, v159, v196, -v4
	v_mul_f32_e32 v2, v2, v198
	v_add_f32_e32 v3, v3, v4
	v_fma_f32 v1, v1, v197, -v2
	v_add_f32_e32 v1, v3, v1
	v_add_f32_e32 v199, v199, v200
	v_sub_f32_e32 v1, v193, v1
	v_sub_f32_e32 v2, v194, v199
	buffer_store_dword v1, off, s[0:3], 0 offset:264
	buffer_store_dword v2, off, s[0:3], 0 offset:268
	s_and_saveexec_b64 s[4:5], vcc
	s_cbranch_execz .LBB56_291
; %bb.290:
	buffer_load_dword v1, off, s[0:3], 0 offset:256
	buffer_load_dword v2, off, s[0:3], 0 offset:260
	s_waitcnt vmcnt(0)
	ds_write_b64 v115, v[1:2]
	buffer_store_dword v116, off, s[0:3], 0 offset:256
	buffer_store_dword v116, off, s[0:3], 0 offset:260
.LBB56_291:
	s_or_b64 exec, exec, s[4:5]
	s_waitcnt lgkmcnt(0)
	; wave barrier
	buffer_load_dword v1, off, s[0:3], 0 offset:268
	buffer_load_dword v2, off, s[0:3], 0 offset:276
	buffer_load_dword v3, off, s[0:3], 0 offset:284
	buffer_load_dword v4, off, s[0:3], 0 offset:292
	buffer_load_dword v5, off, s[0:3], 0 offset:300
	buffer_load_dword v6, off, s[0:3], 0 offset:308
	buffer_load_dword v7, off, s[0:3], 0 offset:316
	buffer_load_dword v8, off, s[0:3], 0 offset:324
	buffer_load_dword v9, off, s[0:3], 0 offset:332
	buffer_load_dword v10, off, s[0:3], 0 offset:340
	buffer_load_dword v11, off, s[0:3], 0 offset:348
	buffer_load_dword v12, off, s[0:3], 0 offset:356
	buffer_load_dword v165, off, s[0:3], 0 offset:264
	buffer_load_dword v166, off, s[0:3], 0 offset:272
	buffer_load_dword v167, off, s[0:3], 0 offset:280
	buffer_load_dword v168, off, s[0:3], 0 offset:288
	buffer_load_dword v169, off, s[0:3], 0 offset:296
	buffer_load_dword v170, off, s[0:3], 0 offset:304
	buffer_load_dword v171, off, s[0:3], 0 offset:312
	buffer_load_dword v172, off, s[0:3], 0 offset:320
	buffer_load_dword v173, off, s[0:3], 0 offset:328
	buffer_load_dword v174, off, s[0:3], 0 offset:336
	buffer_load_dword v175, off, s[0:3], 0 offset:344
	buffer_load_dword v176, off, s[0:3], 0 offset:352
	buffer_load_dword v177, off, s[0:3], 0 offset:364
	buffer_load_dword v178, off, s[0:3], 0 offset:360
	buffer_load_dword v179, off, s[0:3], 0 offset:372
	buffer_load_dword v180, off, s[0:3], 0 offset:368
	buffer_load_dword v181, off, s[0:3], 0 offset:380
	buffer_load_dword v182, off, s[0:3], 0 offset:376
	buffer_load_dword v183, off, s[0:3], 0 offset:388
	buffer_load_dword v184, off, s[0:3], 0 offset:384
	buffer_load_dword v185, off, s[0:3], 0 offset:396
	buffer_load_dword v186, off, s[0:3], 0 offset:392
	buffer_load_dword v187, off, s[0:3], 0 offset:404
	buffer_load_dword v188, off, s[0:3], 0 offset:400
	buffer_load_dword v189, off, s[0:3], 0 offset:412
	buffer_load_dword v190, off, s[0:3], 0 offset:408
	buffer_load_dword v191, off, s[0:3], 0 offset:420
	buffer_load_dword v192, off, s[0:3], 0 offset:416
	buffer_load_dword v193, off, s[0:3], 0 offset:256
	buffer_load_dword v194, off, s[0:3], 0 offset:260
	buffer_load_dword v195, off, s[0:3], 0 offset:428
	buffer_load_dword v196, off, s[0:3], 0 offset:424
	buffer_load_dword v197, off, s[0:3], 0 offset:432
	buffer_load_dword v198, off, s[0:3], 0 offset:436
	buffer_load_dword v199, off, s[0:3], 0 offset:440
	buffer_load_dword v200, off, s[0:3], 0 offset:444
	ds_read2_b64 v[117:120], v116 offset0:91 offset1:92
	ds_read2_b64 v[121:124], v116 offset0:93 offset1:94
	buffer_load_dword v201, off, s[0:3], 0 offset:448
	buffer_load_dword v202, off, s[0:3], 0 offset:452
	ds_read2_b64 v[125:128], v116 offset0:95 offset1:96
	ds_read2_b64 v[129:132], v116 offset0:97 offset1:98
	;; [unrolled: 1-line block ×5, first 2 shown]
	v_cmp_lt_u32_e32 vcc, 31, v0
	s_waitcnt vmcnt(49) lgkmcnt(6)
	v_mul_f32_e32 v145, v117, v1
	v_mul_f32_e32 v1, v118, v1
	s_waitcnt vmcnt(48)
	v_mul_f32_e32 v146, v119, v2
	v_mul_f32_e32 v2, v120, v2
	s_waitcnt vmcnt(47) lgkmcnt(5)
	v_mul_f32_e32 v147, v121, v3
	s_waitcnt vmcnt(46)
	v_mul_f32_e32 v148, v123, v4
	s_waitcnt vmcnt(45) lgkmcnt(4)
	v_mul_f32_e32 v149, v125, v5
	s_waitcnt vmcnt(44)
	;; [unrolled: 4-line block ×4, first 2 shown]
	v_mul_f32_e32 v154, v135, v10
	s_waitcnt vmcnt(37)
	v_fma_f32 v1, v117, v165, -v1
	v_add_f32_e32 v1, 0, v1
	s_waitcnt vmcnt(36)
	v_fma_f32 v2, v119, v166, -v2
	v_add_f32_e32 v1, v1, v2
	v_mul_f32_e32 v2, v122, v3
	v_fmac_f32_e32 v145, v118, v165
	s_waitcnt vmcnt(35)
	v_fma_f32 v2, v121, v167, -v2
	v_fmac_f32_e32 v146, v120, v166
	v_add_f32_e32 v145, 0, v145
	v_add_f32_e32 v1, v1, v2
	v_mul_f32_e32 v2, v124, v4
	v_fmac_f32_e32 v147, v122, v167
	v_add_f32_e32 v145, v145, v146
	s_waitcnt vmcnt(34)
	v_fma_f32 v2, v123, v168, -v2
	v_fmac_f32_e32 v148, v124, v168
	v_add_f32_e32 v145, v145, v147
	v_add_f32_e32 v1, v1, v2
	v_mul_f32_e32 v2, v126, v5
	s_waitcnt vmcnt(33)
	v_fmac_f32_e32 v149, v126, v169
	v_add_f32_e32 v145, v145, v148
	v_fma_f32 v2, v125, v169, -v2
	s_waitcnt vmcnt(32)
	v_fmac_f32_e32 v150, v128, v170
	v_add_f32_e32 v145, v145, v149
	v_add_f32_e32 v1, v1, v2
	v_mul_f32_e32 v2, v128, v6
	s_waitcnt vmcnt(31)
	v_fmac_f32_e32 v151, v130, v171
	v_add_f32_e32 v145, v145, v150
	v_fma_f32 v2, v127, v170, -v2
	s_waitcnt vmcnt(30)
	v_fmac_f32_e32 v152, v132, v172
	v_add_f32_e32 v145, v145, v151
	v_add_f32_e32 v1, v1, v2
	v_mul_f32_e32 v2, v130, v7
	s_waitcnt vmcnt(29)
	v_fmac_f32_e32 v153, v134, v173
	v_add_f32_e32 v145, v145, v152
	v_fma_f32 v2, v129, v171, -v2
	s_waitcnt lgkmcnt(1)
	v_mul_f32_e32 v155, v137, v11
	s_waitcnt vmcnt(28)
	v_fmac_f32_e32 v154, v136, v174
	v_add_f32_e32 v145, v145, v153
	v_add_f32_e32 v1, v1, v2
	v_mul_f32_e32 v2, v132, v8
	v_mul_f32_e32 v156, v139, v12
	s_waitcnt vmcnt(27)
	v_fmac_f32_e32 v155, v138, v175
	v_add_f32_e32 v145, v145, v154
	v_fma_f32 v2, v131, v172, -v2
	v_add_f32_e32 v145, v145, v155
	s_waitcnt vmcnt(26)
	v_fmac_f32_e32 v156, v140, v176
	v_add_f32_e32 v1, v1, v2
	v_mul_f32_e32 v2, v134, v9
	v_add_f32_e32 v149, v145, v156
	ds_read2_b64 v[145:148], v116 offset0:105 offset1:106
	v_fma_f32 v2, v133, v173, -v2
	s_waitcnt vmcnt(25) lgkmcnt(1)
	v_mul_f32_e32 v150, v141, v177
	v_add_f32_e32 v1, v1, v2
	v_mul_f32_e32 v2, v136, v10
	s_waitcnt vmcnt(24)
	v_fmac_f32_e32 v150, v142, v178
	v_fma_f32 v2, v135, v174, -v2
	v_add_f32_e32 v149, v149, v150
	s_waitcnt vmcnt(23)
	v_mul_f32_e32 v150, v143, v179
	v_add_f32_e32 v1, v1, v2
	v_mul_f32_e32 v2, v138, v11
	s_waitcnt vmcnt(22)
	v_fmac_f32_e32 v150, v144, v180
	v_fma_f32 v2, v137, v175, -v2
	v_add_f32_e32 v149, v149, v150
	s_waitcnt vmcnt(21) lgkmcnt(0)
	v_mul_f32_e32 v150, v145, v181
	v_add_f32_e32 v1, v1, v2
	v_mul_f32_e32 v2, v140, v12
	s_waitcnt vmcnt(20)
	v_fmac_f32_e32 v150, v146, v182
	v_fma_f32 v2, v139, v176, -v2
	v_add_f32_e32 v153, v149, v150
	ds_read2_b64 v[149:152], v116 offset0:107 offset1:108
	v_add_f32_e32 v1, v1, v2
	v_mul_f32_e32 v2, v142, v177
	v_fma_f32 v2, v141, v178, -v2
	s_waitcnt vmcnt(19)
	v_mul_f32_e32 v154, v147, v183
	v_add_f32_e32 v1, v1, v2
	v_mul_f32_e32 v2, v144, v179
	s_waitcnt vmcnt(18)
	v_fmac_f32_e32 v154, v148, v184
	v_fma_f32 v2, v143, v180, -v2
	v_add_f32_e32 v157, v153, v154
	ds_read2_b64 v[153:156], v116 offset0:109 offset1:110
	v_add_f32_e32 v1, v1, v2
	v_mul_f32_e32 v2, v146, v181
	s_waitcnt vmcnt(17) lgkmcnt(1)
	v_mul_f32_e32 v158, v149, v185
	v_fma_f32 v2, v145, v182, -v2
	s_waitcnt vmcnt(16)
	v_fmac_f32_e32 v158, v150, v186
	v_add_f32_e32 v1, v1, v2
	v_mul_f32_e32 v2, v148, v183
	v_add_f32_e32 v157, v157, v158
	s_waitcnt vmcnt(15)
	v_mul_f32_e32 v158, v151, v187
	v_fma_f32 v2, v147, v184, -v2
	s_waitcnt vmcnt(14)
	v_fmac_f32_e32 v158, v152, v188
	v_add_f32_e32 v1, v1, v2
	v_mul_f32_e32 v2, v150, v185
	v_add_f32_e32 v157, v157, v158
	s_waitcnt vmcnt(13) lgkmcnt(0)
	v_mul_f32_e32 v158, v153, v189
	v_fma_f32 v2, v149, v186, -v2
	s_waitcnt vmcnt(12)
	v_fmac_f32_e32 v158, v154, v190
	v_add_f32_e32 v1, v1, v2
	v_mul_f32_e32 v2, v152, v187
	v_add_f32_e32 v161, v157, v158
	ds_read2_b64 v[157:160], v116 offset0:111 offset1:112
	v_fma_f32 v2, v151, v188, -v2
	v_add_f32_e32 v1, v1, v2
	v_mul_f32_e32 v2, v154, v189
	s_waitcnt vmcnt(11)
	v_mul_f32_e32 v162, v155, v191
	v_fma_f32 v2, v153, v190, -v2
	s_waitcnt vmcnt(10)
	v_fmac_f32_e32 v162, v156, v192
	v_add_f32_e32 v1, v1, v2
	v_mul_f32_e32 v2, v156, v191
	v_add_f32_e32 v203, v161, v162
	ds_read2_b64 v[161:164], v116 offset0:113 offset1:114
	v_fma_f32 v2, v155, v192, -v2
	v_add_f32_e32 v1, v1, v2
	s_waitcnt vmcnt(7) lgkmcnt(1)
	v_mul_f32_e32 v2, v158, v195
	v_mul_f32_e32 v116, v157, v195
	s_waitcnt vmcnt(6)
	v_fma_f32 v2, v157, v196, -v2
	v_fmac_f32_e32 v116, v158, v196
	v_add_f32_e32 v1, v1, v2
	s_waitcnt vmcnt(4)
	v_mul_f32_e32 v2, v160, v198
	v_add_f32_e32 v116, v203, v116
	v_mul_f32_e32 v203, v159, v198
	v_fma_f32 v2, v159, v197, -v2
	v_fmac_f32_e32 v203, v160, v197
	v_add_f32_e32 v1, v1, v2
	s_waitcnt vmcnt(2) lgkmcnt(0)
	v_mul_f32_e32 v2, v162, v200
	v_add_f32_e32 v116, v116, v203
	v_mul_f32_e32 v203, v161, v200
	v_fma_f32 v2, v161, v199, -v2
	v_fmac_f32_e32 v203, v162, v199
	v_add_f32_e32 v1, v1, v2
	s_waitcnt vmcnt(0)
	v_mul_f32_e32 v2, v164, v202
	v_add_f32_e32 v116, v116, v203
	v_mul_f32_e32 v203, v163, v202
	v_fma_f32 v2, v163, v201, -v2
	v_fmac_f32_e32 v203, v164, v201
	v_add_f32_e32 v1, v1, v2
	v_add_f32_e32 v116, v116, v203
	v_sub_f32_e32 v1, v193, v1
	v_sub_f32_e32 v2, v194, v116
	buffer_store_dword v1, off, s[0:3], 0 offset:256
	buffer_store_dword v2, off, s[0:3], 0 offset:260
	s_and_saveexec_b64 s[4:5], vcc
	s_cbranch_execz .LBB56_293
; %bb.292:
	buffer_load_dword v1, off, s[0:3], 0 offset:248
	buffer_load_dword v2, off, s[0:3], 0 offset:252
	v_mov_b32_e32 v3, 0
	buffer_store_dword v3, off, s[0:3], 0 offset:248
	buffer_store_dword v3, off, s[0:3], 0 offset:252
	s_waitcnt vmcnt(2)
	ds_write_b64 v115, v[1:2]
.LBB56_293:
	s_or_b64 exec, exec, s[4:5]
	s_waitcnt lgkmcnt(0)
	; wave barrier
	buffer_load_dword v3, off, s[0:3], 0 offset:260
	buffer_load_dword v4, off, s[0:3], 0 offset:268
	;; [unrolled: 1-line block ×52, first 2 shown]
	v_mov_b32_e32 v116, 0
	ds_read_b128 v[117:120], v116 offset:720
	ds_read_b128 v[121:124], v116 offset:736
	;; [unrolled: 1-line block ×8, first 2 shown]
	v_cmp_lt_u32_e32 vcc, 30, v0
	ds_read_b128 v[153:156], v116 offset:864
	s_waitcnt vmcnt(51) lgkmcnt(8)
	v_mul_f32_e32 v1, v117, v3
	v_mul_f32_e32 v3, v118, v3
	s_waitcnt vmcnt(50)
	v_mul_f32_e32 v2, v119, v4
	v_mul_f32_e32 v4, v120, v4
	s_waitcnt vmcnt(49) lgkmcnt(7)
	v_mul_f32_e32 v141, v121, v5
	s_waitcnt vmcnt(48)
	v_mul_f32_e32 v142, v123, v6
	s_waitcnt vmcnt(47) lgkmcnt(6)
	v_mul_f32_e32 v143, v125, v7
	s_waitcnt vmcnt(46)
	v_mul_f32_e32 v144, v127, v8
	s_waitcnt vmcnt(45) lgkmcnt(5)
	v_mul_f32_e32 v145, v129, v9
	s_waitcnt vmcnt(44)
	v_mul_f32_e32 v146, v131, v10
	s_waitcnt vmcnt(43) lgkmcnt(4)
	v_mul_f32_e32 v147, v133, v11
	s_waitcnt vmcnt(40)
	v_fma_f32 v3, v117, v166, -v3
	v_add_f32_e32 v3, 0, v3
	s_waitcnt vmcnt(39)
	v_fma_f32 v4, v119, v167, -v4
	v_add_f32_e32 v3, v3, v4
	v_mul_f32_e32 v4, v122, v5
	s_waitcnt vmcnt(38)
	v_fma_f32 v4, v121, v168, -v4
	v_add_f32_e32 v3, v3, v4
	v_mul_f32_e32 v4, v124, v6
	;; [unrolled: 4-line block ×3, first 2 shown]
	v_fmac_f32_e32 v1, v118, v166
	s_waitcnt vmcnt(36)
	v_fma_f32 v4, v125, v170, -v4
	v_fmac_f32_e32 v2, v120, v167
	v_add_f32_e32 v1, 0, v1
	v_add_f32_e32 v3, v3, v4
	v_mul_f32_e32 v4, v128, v8
	v_fmac_f32_e32 v141, v122, v168
	v_add_f32_e32 v1, v1, v2
	s_waitcnt vmcnt(35)
	v_fma_f32 v4, v127, v171, -v4
	v_fmac_f32_e32 v142, v124, v169
	v_add_f32_e32 v1, v1, v141
	v_add_f32_e32 v3, v3, v4
	v_mul_f32_e32 v4, v130, v9
	v_fmac_f32_e32 v143, v126, v170
	v_add_f32_e32 v1, v1, v142
	;; [unrolled: 8-line block ×3, first 2 shown]
	s_waitcnt vmcnt(33)
	v_fma_f32 v4, v131, v173, -v4
	v_fmac_f32_e32 v146, v132, v173
	v_add_f32_e32 v1, v1, v145
	ds_read_b128 v[141:144], v116 offset:816
	v_add_f32_e32 v3, v3, v4
	v_mul_f32_e32 v4, v134, v11
	v_mul_f32_e32 v148, v135, v12
	s_waitcnt vmcnt(32)
	v_fmac_f32_e32 v147, v134, v174
	v_add_f32_e32 v1, v1, v146
	v_fma_f32 v4, v133, v174, -v4
	s_waitcnt lgkmcnt(4)
	v_mul_f32_e32 v149, v137, v165
	s_waitcnt vmcnt(31)
	v_fmac_f32_e32 v148, v136, v175
	v_add_f32_e32 v1, v1, v147
	v_add_f32_e32 v3, v3, v4
	v_mul_f32_e32 v4, v136, v12
	v_add_f32_e32 v1, v1, v148
	s_waitcnt vmcnt(30)
	v_fmac_f32_e32 v149, v138, v176
	s_waitcnt vmcnt(29)
	v_mul_f32_e32 v2, v139, v177
	v_fma_f32 v4, v135, v175, -v4
	v_add_f32_e32 v1, v1, v149
	s_waitcnt vmcnt(28)
	v_fmac_f32_e32 v2, v140, v178
	ds_read_b128 v[145:148], v116 offset:832
	v_add_f32_e32 v3, v3, v4
	v_mul_f32_e32 v4, v138, v165
	v_add_f32_e32 v1, v1, v2
	s_waitcnt vmcnt(27) lgkmcnt(1)
	v_mul_f32_e32 v2, v141, v179
	v_fma_f32 v4, v137, v176, -v4
	s_waitcnt vmcnt(26)
	v_fmac_f32_e32 v2, v142, v180
	v_add_f32_e32 v3, v3, v4
	v_mul_f32_e32 v4, v140, v177
	v_add_f32_e32 v1, v1, v2
	s_waitcnt vmcnt(25)
	v_mul_f32_e32 v2, v143, v181
	v_fma_f32 v4, v139, v178, -v4
	s_waitcnt vmcnt(24)
	v_fmac_f32_e32 v2, v144, v182
	ds_read_b128 v[149:152], v116 offset:848
	v_add_f32_e32 v3, v3, v4
	v_mul_f32_e32 v4, v142, v179
	v_add_f32_e32 v1, v1, v2
	s_waitcnt vmcnt(23) lgkmcnt(1)
	v_mul_f32_e32 v2, v145, v183
	v_fma_f32 v4, v141, v180, -v4
	s_waitcnt vmcnt(22)
	v_fmac_f32_e32 v2, v146, v184
	v_add_f32_e32 v3, v3, v4
	v_mul_f32_e32 v4, v144, v181
	v_add_f32_e32 v1, v1, v2
	s_waitcnt vmcnt(21)
	v_mul_f32_e32 v2, v147, v185
	v_fma_f32 v4, v143, v182, -v4
	s_waitcnt vmcnt(20)
	v_fmac_f32_e32 v2, v148, v186
	v_add_f32_e32 v3, v3, v4
	v_mul_f32_e32 v4, v146, v183
	v_add_f32_e32 v1, v1, v2
	s_waitcnt vmcnt(19) lgkmcnt(0)
	v_mul_f32_e32 v2, v149, v187
	v_fma_f32 v4, v145, v184, -v4
	s_waitcnt vmcnt(18)
	v_fmac_f32_e32 v2, v150, v188
	v_add_f32_e32 v3, v3, v4
	v_mul_f32_e32 v4, v148, v185
	v_add_f32_e32 v1, v1, v2
	s_waitcnt vmcnt(17)
	v_mul_f32_e32 v2, v151, v189
	v_fma_f32 v4, v147, v186, -v4
	s_waitcnt vmcnt(16)
	v_fmac_f32_e32 v2, v152, v190
	v_add_f32_e32 v3, v3, v4
	v_mul_f32_e32 v4, v150, v187
	v_add_f32_e32 v1, v1, v2
	s_waitcnt vmcnt(14)
	v_mul_f32_e32 v2, v153, v192
	v_fma_f32 v4, v149, v188, -v4
	v_fmac_f32_e32 v2, v154, v191
	v_add_f32_e32 v3, v3, v4
	v_mul_f32_e32 v4, v152, v189
	v_add_f32_e32 v1, v1, v2
	s_waitcnt vmcnt(11)
	v_mul_f32_e32 v2, v155, v195
	v_fma_f32 v4, v151, v190, -v4
	s_waitcnt vmcnt(10)
	v_fmac_f32_e32 v2, v156, v196
	v_add_f32_e32 v3, v3, v4
	v_mul_f32_e32 v4, v154, v192
	v_add_f32_e32 v1, v1, v2
	s_waitcnt vmcnt(8)
	v_mul_f32_e32 v2, v157, v198
	v_fma_f32 v4, v153, v191, -v4
	v_fmac_f32_e32 v2, v158, v197
	v_add_f32_e32 v3, v3, v4
	v_mul_f32_e32 v4, v156, v195
	v_add_f32_e32 v1, v1, v2
	s_waitcnt vmcnt(6)
	v_mul_f32_e32 v2, v159, v200
	v_fma_f32 v4, v155, v196, -v4
	v_fmac_f32_e32 v2, v160, v199
	v_add_f32_e32 v3, v3, v4
	v_mul_f32_e32 v4, v158, v198
	v_add_f32_e32 v207, v1, v2
	ds_read_b64 v[1:2], v116 offset:912
	v_fma_f32 v4, v157, v197, -v4
	s_waitcnt vmcnt(4)
	v_mul_f32_e32 v208, v161, v202
	v_add_f32_e32 v3, v3, v4
	v_mul_f32_e32 v4, v160, v200
	v_fmac_f32_e32 v208, v162, v201
	v_fma_f32 v4, v159, v199, -v4
	v_add_f32_e32 v207, v207, v208
	s_waitcnt vmcnt(2)
	v_mul_f32_e32 v208, v163, v204
	v_add_f32_e32 v3, v3, v4
	v_mul_f32_e32 v4, v162, v202
	v_fmac_f32_e32 v208, v164, v203
	v_fma_f32 v4, v161, v201, -v4
	v_add_f32_e32 v207, v207, v208
	s_waitcnt vmcnt(0) lgkmcnt(0)
	v_mul_f32_e32 v208, v1, v206
	v_add_f32_e32 v3, v3, v4
	v_mul_f32_e32 v4, v164, v204
	v_fmac_f32_e32 v208, v2, v205
	v_fma_f32 v4, v163, v203, -v4
	v_mul_f32_e32 v2, v2, v206
	v_add_f32_e32 v3, v3, v4
	v_fma_f32 v1, v1, v205, -v2
	v_add_f32_e32 v1, v3, v1
	v_add_f32_e32 v207, v207, v208
	v_sub_f32_e32 v1, v193, v1
	v_sub_f32_e32 v2, v194, v207
	buffer_store_dword v1, off, s[0:3], 0 offset:248
	buffer_store_dword v2, off, s[0:3], 0 offset:252
	s_and_saveexec_b64 s[4:5], vcc
	s_cbranch_execz .LBB56_295
; %bb.294:
	buffer_load_dword v1, off, s[0:3], 0 offset:240
	buffer_load_dword v2, off, s[0:3], 0 offset:244
	s_waitcnt vmcnt(0)
	ds_write_b64 v115, v[1:2]
	buffer_store_dword v116, off, s[0:3], 0 offset:240
	buffer_store_dword v116, off, s[0:3], 0 offset:244
.LBB56_295:
	s_or_b64 exec, exec, s[4:5]
	s_waitcnt lgkmcnt(0)
	; wave barrier
	buffer_load_dword v1, off, s[0:3], 0 offset:252
	buffer_load_dword v2, off, s[0:3], 0 offset:260
	;; [unrolled: 1-line block ×42, first 2 shown]
	ds_read2_b64 v[117:120], v116 offset0:89 offset1:90
	ds_read2_b64 v[121:124], v116 offset0:91 offset1:92
	;; [unrolled: 1-line block ×4, first 2 shown]
	buffer_load_dword v199, off, s[0:3], 0 offset:412
	buffer_load_dword v200, off, s[0:3], 0 offset:408
	buffer_load_dword v201, off, s[0:3], 0 offset:416
	buffer_load_dword v202, off, s[0:3], 0 offset:420
	buffer_load_dword v203, off, s[0:3], 0 offset:424
	buffer_load_dword v204, off, s[0:3], 0 offset:428
	ds_read2_b64 v[133:136], v116 offset0:97 offset1:98
	ds_read2_b64 v[137:140], v116 offset0:99 offset1:100
	buffer_load_dword v205, off, s[0:3], 0 offset:432
	buffer_load_dword v206, off, s[0:3], 0 offset:436
	buffer_load_dword v207, off, s[0:3], 0 offset:440
	buffer_load_dword v208, off, s[0:3], 0 offset:444
	buffer_load_dword v209, off, s[0:3], 0 offset:448
	buffer_load_dword v210, off, s[0:3], 0 offset:452
	v_cmp_lt_u32_e32 vcc, 29, v0
	s_waitcnt vmcnt(53) lgkmcnt(5)
	v_mul_f32_e32 v141, v117, v1
	s_waitcnt vmcnt(52)
	v_mul_f32_e32 v142, v119, v2
	v_mul_f32_e32 v1, v118, v1
	s_waitcnt vmcnt(51) lgkmcnt(4)
	v_mul_f32_e32 v143, v121, v3
	v_mul_f32_e32 v2, v120, v2
	s_waitcnt vmcnt(50)
	v_mul_f32_e32 v144, v123, v4
	s_waitcnt vmcnt(49) lgkmcnt(3)
	v_mul_f32_e32 v145, v125, v5
	s_waitcnt vmcnt(48)
	v_mul_f32_e32 v146, v127, v6
	s_waitcnt vmcnt(47) lgkmcnt(2)
	v_mul_f32_e32 v147, v129, v7
	s_waitcnt vmcnt(46)
	v_mul_f32_e32 v148, v131, v8
	s_waitcnt vmcnt(43)
	v_fmac_f32_e32 v141, v118, v11
	s_waitcnt vmcnt(42)
	v_fmac_f32_e32 v142, v120, v12
	v_add_f32_e32 v141, 0, v141
	v_fma_f32 v1, v117, v11, -v1
	s_waitcnt vmcnt(41)
	v_fmac_f32_e32 v143, v122, v169
	v_add_f32_e32 v141, v141, v142
	v_add_f32_e32 v1, 0, v1
	v_fma_f32 v2, v119, v12, -v2
	s_waitcnt vmcnt(40)
	v_fmac_f32_e32 v144, v124, v170
	v_add_f32_e32 v141, v141, v143
	v_add_f32_e32 v1, v1, v2
	v_mul_f32_e32 v2, v122, v3
	s_waitcnt vmcnt(39)
	v_fmac_f32_e32 v145, v126, v171
	v_add_f32_e32 v141, v141, v144
	v_fma_f32 v2, v121, v169, -v2
	s_waitcnt vmcnt(38)
	v_fmac_f32_e32 v146, v128, v172
	v_add_f32_e32 v141, v141, v145
	v_add_f32_e32 v1, v1, v2
	v_mul_f32_e32 v2, v124, v4
	s_waitcnt vmcnt(37)
	v_fmac_f32_e32 v147, v130, v173
	v_add_f32_e32 v141, v141, v146
	v_fma_f32 v2, v123, v170, -v2
	s_waitcnt lgkmcnt(1)
	v_mul_f32_e32 v149, v133, v9
	s_waitcnt vmcnt(36)
	v_fmac_f32_e32 v148, v132, v174
	v_add_f32_e32 v141, v141, v147
	v_add_f32_e32 v1, v1, v2
	v_mul_f32_e32 v2, v126, v5
	v_mul_f32_e32 v150, v135, v10
	s_waitcnt vmcnt(35)
	v_fmac_f32_e32 v149, v134, v175
	v_add_f32_e32 v141, v141, v148
	v_fma_f32 v2, v125, v171, -v2
	s_waitcnt vmcnt(34)
	v_fmac_f32_e32 v150, v136, v176
	v_add_f32_e32 v141, v141, v149
	s_waitcnt vmcnt(33) lgkmcnt(0)
	v_mul_f32_e32 v142, v137, v177
	v_add_f32_e32 v1, v1, v2
	v_mul_f32_e32 v2, v128, v6
	v_add_f32_e32 v141, v141, v150
	s_waitcnt vmcnt(32)
	v_fmac_f32_e32 v142, v138, v178
	v_fma_f32 v2, v127, v172, -v2
	v_add_f32_e32 v145, v141, v142
	ds_read2_b64 v[141:144], v116 offset0:101 offset1:102
	v_add_f32_e32 v1, v1, v2
	v_mul_f32_e32 v2, v130, v7
	v_fma_f32 v2, v129, v173, -v2
	s_waitcnt vmcnt(31)
	v_mul_f32_e32 v146, v139, v179
	v_add_f32_e32 v1, v1, v2
	v_mul_f32_e32 v2, v132, v8
	s_waitcnt vmcnt(30)
	v_fmac_f32_e32 v146, v140, v180
	v_fma_f32 v2, v131, v174, -v2
	v_add_f32_e32 v149, v145, v146
	ds_read2_b64 v[145:148], v116 offset0:103 offset1:104
	v_add_f32_e32 v1, v1, v2
	v_mul_f32_e32 v2, v134, v9
	s_waitcnt vmcnt(29) lgkmcnt(1)
	v_mul_f32_e32 v150, v141, v181
	v_fma_f32 v2, v133, v175, -v2
	s_waitcnt vmcnt(28)
	v_fmac_f32_e32 v150, v142, v182
	v_add_f32_e32 v1, v1, v2
	v_mul_f32_e32 v2, v136, v10
	v_add_f32_e32 v149, v149, v150
	s_waitcnt vmcnt(27)
	v_mul_f32_e32 v150, v143, v183
	v_fma_f32 v2, v135, v176, -v2
	s_waitcnt vmcnt(26)
	v_fmac_f32_e32 v150, v144, v184
	v_add_f32_e32 v1, v1, v2
	v_mul_f32_e32 v2, v138, v177
	v_add_f32_e32 v149, v149, v150
	s_waitcnt vmcnt(25) lgkmcnt(0)
	v_mul_f32_e32 v150, v145, v185
	v_fma_f32 v2, v137, v178, -v2
	s_waitcnt vmcnt(24)
	v_fmac_f32_e32 v150, v146, v186
	v_add_f32_e32 v1, v1, v2
	v_mul_f32_e32 v2, v140, v179
	v_add_f32_e32 v153, v149, v150
	ds_read2_b64 v[149:152], v116 offset0:105 offset1:106
	v_fma_f32 v2, v139, v180, -v2
	v_add_f32_e32 v1, v1, v2
	v_mul_f32_e32 v2, v142, v181
	s_waitcnt vmcnt(23)
	v_mul_f32_e32 v154, v147, v187
	v_fma_f32 v2, v141, v182, -v2
	s_waitcnt vmcnt(22)
	v_fmac_f32_e32 v154, v148, v188
	v_add_f32_e32 v1, v1, v2
	v_mul_f32_e32 v2, v144, v183
	v_add_f32_e32 v157, v153, v154
	ds_read2_b64 v[153:156], v116 offset0:107 offset1:108
	v_fma_f32 v2, v143, v184, -v2
	s_waitcnt vmcnt(21) lgkmcnt(1)
	v_mul_f32_e32 v158, v149, v189
	v_add_f32_e32 v1, v1, v2
	v_mul_f32_e32 v2, v146, v185
	s_waitcnt vmcnt(20)
	v_fmac_f32_e32 v158, v150, v190
	v_fma_f32 v2, v145, v186, -v2
	v_add_f32_e32 v157, v157, v158
	s_waitcnt vmcnt(18)
	v_mul_f32_e32 v158, v151, v192
	v_add_f32_e32 v1, v1, v2
	v_mul_f32_e32 v2, v148, v187
	v_fmac_f32_e32 v158, v152, v191
	v_fma_f32 v2, v147, v188, -v2
	v_add_f32_e32 v157, v157, v158
	s_waitcnt vmcnt(15) lgkmcnt(0)
	v_mul_f32_e32 v158, v153, v195
	v_add_f32_e32 v1, v1, v2
	v_mul_f32_e32 v2, v150, v189
	s_waitcnt vmcnt(14)
	v_fmac_f32_e32 v158, v154, v196
	v_fma_f32 v2, v149, v190, -v2
	v_add_f32_e32 v161, v157, v158
	ds_read2_b64 v[157:160], v116 offset0:109 offset1:110
	v_add_f32_e32 v1, v1, v2
	v_mul_f32_e32 v2, v152, v192
	v_fma_f32 v2, v151, v191, -v2
	v_add_f32_e32 v1, v1, v2
	v_mul_f32_e32 v2, v154, v195
	s_waitcnt vmcnt(12)
	v_mul_f32_e32 v162, v155, v198
	v_fma_f32 v2, v153, v196, -v2
	v_fmac_f32_e32 v162, v156, v197
	v_add_f32_e32 v1, v1, v2
	v_mul_f32_e32 v2, v156, v198
	v_add_f32_e32 v165, v161, v162
	ds_read2_b64 v[161:164], v116 offset0:111 offset1:112
	s_waitcnt vmcnt(11) lgkmcnt(1)
	v_mul_f32_e32 v166, v157, v199
	v_fma_f32 v2, v155, v197, -v2
	s_waitcnt vmcnt(10)
	v_fmac_f32_e32 v166, v158, v200
	v_add_f32_e32 v1, v1, v2
	v_mul_f32_e32 v2, v158, v199
	v_add_f32_e32 v165, v165, v166
	s_waitcnt vmcnt(8)
	v_mul_f32_e32 v166, v159, v202
	v_fma_f32 v2, v157, v200, -v2
	v_fmac_f32_e32 v166, v160, v201
	v_add_f32_e32 v1, v1, v2
	v_mul_f32_e32 v2, v160, v202
	v_add_f32_e32 v211, v165, v166
	ds_read2_b64 v[165:168], v116 offset0:113 offset1:114
	v_fma_f32 v2, v159, v201, -v2
	v_add_f32_e32 v1, v1, v2
	s_waitcnt vmcnt(6) lgkmcnt(1)
	v_mul_f32_e32 v2, v162, v204
	v_mul_f32_e32 v212, v161, v204
	v_fma_f32 v2, v161, v203, -v2
	v_fmac_f32_e32 v212, v162, v203
	v_add_f32_e32 v1, v1, v2
	s_waitcnt vmcnt(4)
	v_mul_f32_e32 v2, v164, v206
	v_add_f32_e32 v116, v211, v212
	v_mul_f32_e32 v211, v163, v206
	v_fma_f32 v2, v163, v205, -v2
	v_fmac_f32_e32 v211, v164, v205
	v_add_f32_e32 v1, v1, v2
	s_waitcnt vmcnt(2) lgkmcnt(0)
	v_mul_f32_e32 v2, v166, v208
	v_add_f32_e32 v116, v116, v211
	v_mul_f32_e32 v211, v165, v208
	v_fma_f32 v2, v165, v207, -v2
	v_fmac_f32_e32 v211, v166, v207
	v_add_f32_e32 v1, v1, v2
	s_waitcnt vmcnt(0)
	v_mul_f32_e32 v2, v168, v210
	v_add_f32_e32 v116, v116, v211
	v_mul_f32_e32 v211, v167, v210
	v_fma_f32 v2, v167, v209, -v2
	v_fmac_f32_e32 v211, v168, v209
	v_add_f32_e32 v1, v1, v2
	v_add_f32_e32 v116, v116, v211
	v_sub_f32_e32 v1, v193, v1
	v_sub_f32_e32 v2, v194, v116
	buffer_store_dword v1, off, s[0:3], 0 offset:240
	buffer_store_dword v2, off, s[0:3], 0 offset:244
	s_and_saveexec_b64 s[4:5], vcc
	s_cbranch_execz .LBB56_297
; %bb.296:
	buffer_load_dword v1, off, s[0:3], 0 offset:232
	buffer_load_dword v2, off, s[0:3], 0 offset:236
	v_mov_b32_e32 v3, 0
	buffer_store_dword v3, off, s[0:3], 0 offset:232
	buffer_store_dword v3, off, s[0:3], 0 offset:236
	s_waitcnt vmcnt(2)
	ds_write_b64 v115, v[1:2]
.LBB56_297:
	s_or_b64 exec, exec, s[4:5]
	s_waitcnt lgkmcnt(0)
	; wave barrier
	buffer_load_dword v3, off, s[0:3], 0 offset:244
	buffer_load_dword v4, off, s[0:3], 0 offset:252
	;; [unrolled: 1-line block ×56, first 2 shown]
	v_mov_b32_e32 v116, 0
	ds_read_b128 v[117:120], v116 offset:704
	ds_read_b128 v[121:124], v116 offset:720
	;; [unrolled: 1-line block ×11, first 2 shown]
	v_cmp_lt_u32_e32 vcc, 28, v0
	s_waitcnt vmcnt(55) lgkmcnt(10)
	v_mul_f32_e32 v1, v117, v3
	v_mul_f32_e32 v3, v118, v3
	s_waitcnt vmcnt(54)
	v_mul_f32_e32 v2, v119, v4
	v_mul_f32_e32 v4, v120, v4
	s_waitcnt vmcnt(53) lgkmcnt(9)
	v_mul_f32_e32 v141, v121, v5
	s_waitcnt vmcnt(52)
	v_mul_f32_e32 v142, v123, v6
	s_waitcnt vmcnt(51) lgkmcnt(8)
	v_mul_f32_e32 v143, v125, v7
	s_waitcnt vmcnt(50)
	;; [unrolled: 4-line block ×3, first 2 shown]
	v_fma_f32 v3, v117, v12, -v3
	v_add_f32_e32 v3, 0, v3
	s_waitcnt vmcnt(45)
	v_fma_f32 v4, v119, v169, -v4
	v_add_f32_e32 v3, v3, v4
	v_mul_f32_e32 v4, v122, v5
	s_waitcnt vmcnt(44)
	v_fma_f32 v4, v121, v170, -v4
	v_add_f32_e32 v3, v3, v4
	v_mul_f32_e32 v4, v124, v6
	v_fmac_f32_e32 v1, v118, v12
	s_waitcnt vmcnt(43)
	v_fma_f32 v4, v123, v171, -v4
	v_fmac_f32_e32 v2, v120, v169
	v_add_f32_e32 v1, 0, v1
	v_add_f32_e32 v3, v3, v4
	v_mul_f32_e32 v4, v126, v7
	v_fmac_f32_e32 v141, v122, v170
	v_add_f32_e32 v1, v1, v2
	s_waitcnt vmcnt(42)
	v_fma_f32 v4, v125, v172, -v4
	v_fmac_f32_e32 v142, v124, v171
	v_add_f32_e32 v1, v1, v141
	v_add_f32_e32 v3, v3, v4
	v_mul_f32_e32 v4, v128, v8
	v_fmac_f32_e32 v143, v126, v172
	v_add_f32_e32 v1, v1, v142
	s_waitcnt vmcnt(41)
	v_fma_f32 v4, v127, v173, -v4
	v_fmac_f32_e32 v144, v128, v173
	v_add_f32_e32 v1, v1, v143
	v_add_f32_e32 v3, v3, v4
	v_mul_f32_e32 v4, v130, v9
	v_mul_f32_e32 v146, v131, v10
	s_waitcnt vmcnt(40)
	v_fmac_f32_e32 v145, v130, v174
	v_add_f32_e32 v1, v1, v144
	v_fma_f32 v4, v129, v174, -v4
	s_waitcnt lgkmcnt(6)
	v_mul_f32_e32 v147, v133, v11
	s_waitcnt vmcnt(39)
	v_fmac_f32_e32 v146, v132, v175
	v_add_f32_e32 v1, v1, v145
	v_add_f32_e32 v3, v3, v4
	v_mul_f32_e32 v4, v132, v10
	v_add_f32_e32 v1, v1, v146
	s_waitcnt vmcnt(38)
	v_fmac_f32_e32 v147, v134, v176
	s_waitcnt vmcnt(37)
	v_mul_f32_e32 v2, v135, v177
	v_fma_f32 v4, v131, v175, -v4
	v_add_f32_e32 v1, v1, v147
	s_waitcnt vmcnt(36)
	v_fmac_f32_e32 v2, v136, v178
	ds_read_b128 v[141:144], v116 offset:800
	ds_read_b128 v[145:148], v116 offset:816
	v_add_f32_e32 v3, v3, v4
	v_mul_f32_e32 v4, v134, v11
	v_add_f32_e32 v1, v1, v2
	s_waitcnt vmcnt(35) lgkmcnt(7)
	v_mul_f32_e32 v2, v137, v179
	v_fma_f32 v4, v133, v176, -v4
	s_waitcnt vmcnt(34)
	v_fmac_f32_e32 v2, v138, v180
	v_add_f32_e32 v3, v3, v4
	v_mul_f32_e32 v4, v136, v177
	v_add_f32_e32 v1, v1, v2
	s_waitcnt vmcnt(33)
	v_mul_f32_e32 v2, v139, v181
	v_fma_f32 v4, v135, v178, -v4
	s_waitcnt vmcnt(32)
	v_fmac_f32_e32 v2, v140, v182
	v_add_f32_e32 v3, v3, v4
	v_mul_f32_e32 v4, v138, v179
	v_add_f32_e32 v1, v1, v2
	s_waitcnt vmcnt(31) lgkmcnt(1)
	v_mul_f32_e32 v2, v141, v183
	v_fma_f32 v4, v137, v180, -v4
	s_waitcnt vmcnt(30)
	v_fmac_f32_e32 v2, v142, v184
	v_add_f32_e32 v3, v3, v4
	v_mul_f32_e32 v4, v140, v181
	v_add_f32_e32 v1, v1, v2
	s_waitcnt vmcnt(29)
	v_mul_f32_e32 v2, v143, v185
	v_fma_f32 v4, v139, v182, -v4
	s_waitcnt vmcnt(28)
	v_fmac_f32_e32 v2, v144, v186
	v_add_f32_e32 v3, v3, v4
	v_mul_f32_e32 v4, v142, v183
	v_add_f32_e32 v1, v1, v2
	s_waitcnt vmcnt(27) lgkmcnt(0)
	v_mul_f32_e32 v2, v145, v187
	v_fma_f32 v4, v141, v184, -v4
	s_waitcnt vmcnt(26)
	v_fmac_f32_e32 v2, v146, v188
	v_add_f32_e32 v3, v3, v4
	v_mul_f32_e32 v4, v144, v185
	v_add_f32_e32 v1, v1, v2
	s_waitcnt vmcnt(24)
	v_mul_f32_e32 v2, v147, v190
	v_fma_f32 v4, v143, v186, -v4
	v_fmac_f32_e32 v2, v148, v189
	v_add_f32_e32 v3, v3, v4
	v_mul_f32_e32 v4, v146, v187
	v_add_f32_e32 v1, v1, v2
	s_waitcnt vmcnt(21)
	v_mul_f32_e32 v2, v149, v193
	v_fma_f32 v4, v145, v188, -v4
	s_waitcnt vmcnt(20)
	v_fmac_f32_e32 v2, v150, v194
	v_add_f32_e32 v3, v3, v4
	v_mul_f32_e32 v4, v148, v190
	v_add_f32_e32 v1, v1, v2
	s_waitcnt vmcnt(18)
	v_mul_f32_e32 v2, v151, v196
	v_fma_f32 v4, v147, v189, -v4
	v_fmac_f32_e32 v2, v152, v195
	v_add_f32_e32 v3, v3, v4
	v_mul_f32_e32 v4, v150, v193
	v_add_f32_e32 v1, v1, v2
	s_waitcnt vmcnt(16)
	v_mul_f32_e32 v2, v153, v198
	v_fma_f32 v4, v149, v194, -v4
	;; [unrolled: 7-line block ×7, first 2 shown]
	v_fmac_f32_e32 v2, v164, v207
	v_add_f32_e32 v3, v3, v4
	v_mul_f32_e32 v4, v162, v206
	v_add_f32_e32 v215, v1, v2
	ds_read_b64 v[1:2], v116 offset:912
	v_fma_f32 v4, v161, v205, -v4
	s_waitcnt vmcnt(4)
	v_mul_f32_e32 v216, v165, v210
	v_add_f32_e32 v3, v3, v4
	v_mul_f32_e32 v4, v164, v208
	v_fmac_f32_e32 v216, v166, v209
	v_fma_f32 v4, v163, v207, -v4
	v_add_f32_e32 v215, v215, v216
	s_waitcnt vmcnt(2)
	v_mul_f32_e32 v216, v167, v212
	v_add_f32_e32 v3, v3, v4
	v_mul_f32_e32 v4, v166, v210
	v_fmac_f32_e32 v216, v168, v211
	v_fma_f32 v4, v165, v209, -v4
	v_add_f32_e32 v215, v215, v216
	s_waitcnt vmcnt(0) lgkmcnt(0)
	v_mul_f32_e32 v216, v1, v214
	v_add_f32_e32 v3, v3, v4
	v_mul_f32_e32 v4, v168, v212
	v_fmac_f32_e32 v216, v2, v213
	v_fma_f32 v4, v167, v211, -v4
	v_mul_f32_e32 v2, v2, v214
	v_add_f32_e32 v3, v3, v4
	v_fma_f32 v1, v1, v213, -v2
	v_add_f32_e32 v1, v3, v1
	v_add_f32_e32 v215, v215, v216
	v_sub_f32_e32 v1, v191, v1
	v_sub_f32_e32 v2, v192, v215
	buffer_store_dword v1, off, s[0:3], 0 offset:232
	buffer_store_dword v2, off, s[0:3], 0 offset:236
	s_and_saveexec_b64 s[4:5], vcc
	s_cbranch_execz .LBB56_299
; %bb.298:
	buffer_load_dword v1, off, s[0:3], 0 offset:224
	buffer_load_dword v2, off, s[0:3], 0 offset:228
	s_waitcnt vmcnt(0)
	ds_write_b64 v115, v[1:2]
	buffer_store_dword v116, off, s[0:3], 0 offset:224
	buffer_store_dword v116, off, s[0:3], 0 offset:228
.LBB56_299:
	s_or_b64 exec, exec, s[4:5]
	s_waitcnt lgkmcnt(0)
	; wave barrier
	buffer_load_dword v1, off, s[0:3], 0 offset:236
	buffer_load_dword v2, off, s[0:3], 0 offset:244
	;; [unrolled: 1-line block ×34, first 2 shown]
	ds_read2_b64 v[117:120], v116 offset0:87 offset1:88
	ds_read2_b64 v[121:124], v116 offset0:89 offset1:90
	buffer_load_dword v195, off, s[0:3], 0 offset:364
	buffer_load_dword v196, off, s[0:3], 0 offset:360
	;; [unrolled: 1-line block ×6, first 2 shown]
	ds_read2_b64 v[125:128], v116 offset0:91 offset1:92
	ds_read2_b64 v[129:132], v116 offset0:93 offset1:94
	;; [unrolled: 1-line block ×4, first 2 shown]
	buffer_load_dword v201, off, s[0:3], 0 offset:388
	buffer_load_dword v202, off, s[0:3], 0 offset:384
	buffer_load_dword v203, off, s[0:3], 0 offset:392
	buffer_load_dword v204, off, s[0:3], 0 offset:396
	buffer_load_dword v205, off, s[0:3], 0 offset:400
	buffer_load_dword v206, off, s[0:3], 0 offset:404
	buffer_load_dword v207, off, s[0:3], 0 offset:408
	buffer_load_dword v208, off, s[0:3], 0 offset:412
	buffer_load_dword v209, off, s[0:3], 0 offset:416
	buffer_load_dword v210, off, s[0:3], 0 offset:420
	buffer_load_dword v211, off, s[0:3], 0 offset:424
	buffer_load_dword v212, off, s[0:3], 0 offset:428
	buffer_load_dword v213, off, s[0:3], 0 offset:432
	buffer_load_dword v214, off, s[0:3], 0 offset:436
	buffer_load_dword v215, off, s[0:3], 0 offset:440
	buffer_load_dword v216, off, s[0:3], 0 offset:444
	buffer_load_dword v217, off, s[0:3], 0 offset:448
	buffer_load_dword v218, off, s[0:3], 0 offset:452
	v_cmp_lt_u32_e32 vcc, 27, v0
	s_waitcnt vmcnt(57) lgkmcnt(5)
	v_mul_f32_e32 v141, v117, v1
	s_waitcnt vmcnt(56)
	v_mul_f32_e32 v142, v119, v2
	s_waitcnt vmcnt(55) lgkmcnt(4)
	v_mul_f32_e32 v143, v121, v3
	s_waitcnt vmcnt(54)
	v_mul_f32_e32 v144, v123, v4
	;; [unrolled: 4-line block ×3, first 2 shown]
	v_mul_f32_e32 v1, v118, v1
	s_waitcnt vmcnt(51) lgkmcnt(2)
	v_mul_f32_e32 v147, v129, v7
	s_waitcnt vmcnt(49)
	v_fmac_f32_e32 v141, v118, v9
	s_waitcnt vmcnt(48)
	v_fmac_f32_e32 v142, v120, v10
	v_add_f32_e32 v141, 0, v141
	s_waitcnt vmcnt(47)
	v_fmac_f32_e32 v143, v122, v11
	v_add_f32_e32 v141, v141, v142
	;; [unrolled: 3-line block ×5, first 2 shown]
	v_fma_f32 v1, v117, v9, -v1
	v_mul_f32_e32 v2, v120, v2
	v_mul_f32_e32 v148, v131, v8
	s_waitcnt vmcnt(43)
	v_fmac_f32_e32 v147, v130, v175
	v_add_f32_e32 v141, v141, v146
	v_add_f32_e32 v1, 0, v1
	v_fma_f32 v2, v119, v10, -v2
	s_waitcnt vmcnt(42)
	v_fmac_f32_e32 v148, v132, v176
	v_add_f32_e32 v141, v141, v147
	s_waitcnt vmcnt(41) lgkmcnt(1)
	v_mul_f32_e32 v142, v133, v177
	v_add_f32_e32 v1, v1, v2
	v_mul_f32_e32 v2, v122, v3
	v_add_f32_e32 v141, v141, v148
	s_waitcnt vmcnt(40)
	v_fmac_f32_e32 v142, v134, v178
	v_fma_f32 v2, v121, v11, -v2
	v_add_f32_e32 v141, v141, v142
	s_waitcnt vmcnt(39)
	v_mul_f32_e32 v142, v135, v179
	v_add_f32_e32 v1, v1, v2
	v_mul_f32_e32 v2, v124, v4
	s_waitcnt vmcnt(38)
	v_fmac_f32_e32 v142, v136, v180
	v_fma_f32 v2, v123, v12, -v2
	v_add_f32_e32 v141, v141, v142
	s_waitcnt vmcnt(37) lgkmcnt(0)
	v_mul_f32_e32 v142, v137, v181
	v_add_f32_e32 v1, v1, v2
	v_mul_f32_e32 v2, v126, v5
	s_waitcnt vmcnt(36)
	v_fmac_f32_e32 v142, v138, v182
	v_fma_f32 v2, v125, v173, -v2
	v_add_f32_e32 v145, v141, v142
	ds_read2_b64 v[141:144], v116 offset0:99 offset1:100
	v_add_f32_e32 v1, v1, v2
	v_mul_f32_e32 v2, v128, v6
	v_fma_f32 v2, v127, v174, -v2
	s_waitcnt vmcnt(35)
	v_mul_f32_e32 v146, v139, v183
	v_add_f32_e32 v1, v1, v2
	v_mul_f32_e32 v2, v130, v7
	s_waitcnt vmcnt(34)
	v_fmac_f32_e32 v146, v140, v184
	v_fma_f32 v2, v129, v175, -v2
	v_add_f32_e32 v149, v145, v146
	ds_read2_b64 v[145:148], v116 offset0:101 offset1:102
	v_add_f32_e32 v1, v1, v2
	v_mul_f32_e32 v2, v132, v8
	s_waitcnt vmcnt(33) lgkmcnt(1)
	v_mul_f32_e32 v150, v141, v185
	v_fma_f32 v2, v131, v176, -v2
	s_waitcnt vmcnt(32)
	v_fmac_f32_e32 v150, v142, v186
	v_add_f32_e32 v1, v1, v2
	v_mul_f32_e32 v2, v134, v177
	v_add_f32_e32 v149, v149, v150
	s_waitcnt vmcnt(31)
	v_mul_f32_e32 v150, v143, v187
	v_fma_f32 v2, v133, v178, -v2
	s_waitcnt vmcnt(30)
	v_fmac_f32_e32 v150, v144, v188
	v_add_f32_e32 v1, v1, v2
	v_mul_f32_e32 v2, v136, v179
	v_add_f32_e32 v149, v149, v150
	s_waitcnt vmcnt(29) lgkmcnt(0)
	v_mul_f32_e32 v150, v145, v189
	v_fma_f32 v2, v135, v180, -v2
	s_waitcnt vmcnt(28)
	v_fmac_f32_e32 v150, v146, v190
	v_add_f32_e32 v1, v1, v2
	v_mul_f32_e32 v2, v138, v181
	v_add_f32_e32 v153, v149, v150
	ds_read2_b64 v[149:152], v116 offset0:103 offset1:104
	v_fma_f32 v2, v137, v182, -v2
	v_add_f32_e32 v1, v1, v2
	v_mul_f32_e32 v2, v140, v183
	s_waitcnt vmcnt(25)
	v_mul_f32_e32 v154, v147, v193
	v_fma_f32 v2, v139, v184, -v2
	s_waitcnt vmcnt(24)
	v_fmac_f32_e32 v154, v148, v194
	v_add_f32_e32 v1, v1, v2
	v_mul_f32_e32 v2, v142, v185
	v_add_f32_e32 v157, v153, v154
	ds_read2_b64 v[153:156], v116 offset0:105 offset1:106
	v_fma_f32 v2, v141, v186, -v2
	s_waitcnt vmcnt(23) lgkmcnt(1)
	v_mul_f32_e32 v158, v149, v195
	v_add_f32_e32 v1, v1, v2
	v_mul_f32_e32 v2, v144, v187
	s_waitcnt vmcnt(22)
	v_fmac_f32_e32 v158, v150, v196
	v_fma_f32 v2, v143, v188, -v2
	v_add_f32_e32 v157, v157, v158
	s_waitcnt vmcnt(20)
	v_mul_f32_e32 v158, v151, v198
	v_add_f32_e32 v1, v1, v2
	v_mul_f32_e32 v2, v146, v189
	v_fmac_f32_e32 v158, v152, v197
	v_fma_f32 v2, v145, v190, -v2
	v_add_f32_e32 v157, v157, v158
	s_waitcnt vmcnt(18) lgkmcnt(0)
	v_mul_f32_e32 v158, v153, v200
	v_add_f32_e32 v1, v1, v2
	v_mul_f32_e32 v2, v148, v193
	v_fmac_f32_e32 v158, v154, v199
	v_fma_f32 v2, v147, v194, -v2
	v_add_f32_e32 v161, v157, v158
	ds_read2_b64 v[157:160], v116 offset0:107 offset1:108
	v_add_f32_e32 v1, v1, v2
	v_mul_f32_e32 v2, v150, v195
	v_fma_f32 v2, v149, v196, -v2
	s_waitcnt vmcnt(17)
	v_mul_f32_e32 v162, v155, v201
	v_add_f32_e32 v1, v1, v2
	v_mul_f32_e32 v2, v152, v198
	s_waitcnt vmcnt(16)
	v_fmac_f32_e32 v162, v156, v202
	v_fma_f32 v2, v151, v197, -v2
	v_add_f32_e32 v165, v161, v162
	ds_read2_b64 v[161:164], v116 offset0:109 offset1:110
	v_add_f32_e32 v1, v1, v2
	v_mul_f32_e32 v2, v154, v200
	s_waitcnt vmcnt(14) lgkmcnt(1)
	v_mul_f32_e32 v166, v157, v204
	v_fma_f32 v2, v153, v199, -v2
	v_fmac_f32_e32 v166, v158, v203
	v_add_f32_e32 v1, v1, v2
	v_mul_f32_e32 v2, v156, v201
	v_add_f32_e32 v165, v165, v166
	s_waitcnt vmcnt(12)
	v_mul_f32_e32 v166, v159, v206
	v_fma_f32 v2, v155, v202, -v2
	v_fmac_f32_e32 v166, v160, v205
	v_add_f32_e32 v1, v1, v2
	v_mul_f32_e32 v2, v158, v204
	v_add_f32_e32 v165, v165, v166
	s_waitcnt vmcnt(10) lgkmcnt(0)
	v_mul_f32_e32 v166, v161, v208
	v_fma_f32 v2, v157, v203, -v2
	v_fmac_f32_e32 v166, v162, v207
	v_add_f32_e32 v1, v1, v2
	v_mul_f32_e32 v2, v160, v206
	v_add_f32_e32 v169, v165, v166
	ds_read2_b64 v[165:168], v116 offset0:111 offset1:112
	v_fma_f32 v2, v159, v205, -v2
	v_add_f32_e32 v1, v1, v2
	v_mul_f32_e32 v2, v162, v208
	s_waitcnt vmcnt(8)
	v_mul_f32_e32 v170, v163, v210
	v_fma_f32 v2, v161, v207, -v2
	v_fmac_f32_e32 v170, v164, v209
	v_add_f32_e32 v1, v1, v2
	v_mul_f32_e32 v2, v164, v210
	v_add_f32_e32 v219, v169, v170
	ds_read2_b64 v[169:172], v116 offset0:113 offset1:114
	v_fma_f32 v2, v163, v209, -v2
	v_add_f32_e32 v1, v1, v2
	s_waitcnt vmcnt(6) lgkmcnt(1)
	v_mul_f32_e32 v2, v166, v212
	v_mul_f32_e32 v116, v165, v212
	v_fma_f32 v2, v165, v211, -v2
	v_fmac_f32_e32 v116, v166, v211
	v_add_f32_e32 v1, v1, v2
	s_waitcnt vmcnt(4)
	v_mul_f32_e32 v2, v168, v214
	v_add_f32_e32 v116, v219, v116
	v_mul_f32_e32 v219, v167, v214
	v_fma_f32 v2, v167, v213, -v2
	v_fmac_f32_e32 v219, v168, v213
	v_add_f32_e32 v1, v1, v2
	s_waitcnt vmcnt(2) lgkmcnt(0)
	v_mul_f32_e32 v2, v170, v216
	v_add_f32_e32 v116, v116, v219
	v_mul_f32_e32 v219, v169, v216
	v_fma_f32 v2, v169, v215, -v2
	v_fmac_f32_e32 v219, v170, v215
	v_add_f32_e32 v1, v1, v2
	s_waitcnt vmcnt(0)
	v_mul_f32_e32 v2, v172, v218
	v_add_f32_e32 v116, v116, v219
	v_mul_f32_e32 v219, v171, v218
	v_fma_f32 v2, v171, v217, -v2
	v_fmac_f32_e32 v219, v172, v217
	v_add_f32_e32 v1, v1, v2
	v_add_f32_e32 v116, v116, v219
	v_sub_f32_e32 v1, v191, v1
	v_sub_f32_e32 v2, v192, v116
	buffer_store_dword v1, off, s[0:3], 0 offset:224
	buffer_store_dword v2, off, s[0:3], 0 offset:228
	s_and_saveexec_b64 s[4:5], vcc
	s_cbranch_execz .LBB56_301
; %bb.300:
	buffer_load_dword v1, off, s[0:3], 0 offset:216
	buffer_load_dword v2, off, s[0:3], 0 offset:220
	v_mov_b32_e32 v3, 0
	buffer_store_dword v3, off, s[0:3], 0 offset:216
	buffer_store_dword v3, off, s[0:3], 0 offset:220
	s_waitcnt vmcnt(2)
	ds_write_b64 v115, v[1:2]
.LBB56_301:
	s_or_b64 exec, exec, s[4:5]
	s_waitcnt lgkmcnt(0)
	; wave barrier
	buffer_load_dword v3, off, s[0:3], 0 offset:228
	buffer_load_dword v4, off, s[0:3], 0 offset:236
	;; [unrolled: 1-line block ×60, first 2 shown]
	v_mov_b32_e32 v116, 0
	ds_read_b128 v[117:120], v116 offset:688
	ds_read_b128 v[121:124], v116 offset:704
	;; [unrolled: 1-line block ×12, first 2 shown]
	v_cmp_lt_u32_e32 vcc, 26, v0
	s_waitcnt vmcnt(59) lgkmcnt(11)
	v_mul_f32_e32 v1, v117, v3
	v_mul_f32_e32 v3, v118, v3
	s_waitcnt vmcnt(58)
	v_mul_f32_e32 v2, v119, v4
	v_mul_f32_e32 v4, v120, v4
	s_waitcnt vmcnt(57) lgkmcnt(10)
	v_mul_f32_e32 v137, v121, v5
	s_waitcnt vmcnt(56)
	v_mul_f32_e32 v138, v123, v6
	s_waitcnt vmcnt(55) lgkmcnt(9)
	v_mul_f32_e32 v139, v125, v7
	s_waitcnt vmcnt(52)
	v_fma_f32 v3, v117, v10, -v3
	v_add_f32_e32 v3, 0, v3
	s_waitcnt vmcnt(51)
	v_fma_f32 v4, v119, v11, -v4
	v_add_f32_e32 v3, v3, v4
	v_mul_f32_e32 v4, v122, v5
	v_fmac_f32_e32 v1, v118, v10
	s_waitcnt vmcnt(50)
	v_fma_f32 v4, v121, v12, -v4
	v_fmac_f32_e32 v2, v120, v11
	v_add_f32_e32 v1, 0, v1
	v_add_f32_e32 v3, v3, v4
	v_mul_f32_e32 v4, v124, v6
	v_fmac_f32_e32 v137, v122, v12
	v_add_f32_e32 v1, v1, v2
	s_waitcnt vmcnt(49)
	v_fma_f32 v4, v123, v173, -v4
	v_fmac_f32_e32 v138, v124, v173
	v_add_f32_e32 v1, v1, v137
	v_add_f32_e32 v3, v3, v4
	v_mul_f32_e32 v4, v126, v7
	v_mul_f32_e32 v140, v127, v8
	s_waitcnt vmcnt(48)
	v_fmac_f32_e32 v139, v126, v174
	v_add_f32_e32 v1, v1, v138
	v_fma_f32 v4, v125, v174, -v4
	s_waitcnt lgkmcnt(8)
	v_mul_f32_e32 v141, v129, v9
	s_waitcnt vmcnt(47)
	v_fmac_f32_e32 v140, v128, v175
	v_add_f32_e32 v1, v1, v139
	v_add_f32_e32 v3, v3, v4
	v_mul_f32_e32 v4, v128, v8
	s_waitcnt vmcnt(46)
	v_fmac_f32_e32 v141, v130, v176
	v_add_f32_e32 v1, v1, v140
	s_waitcnt vmcnt(45)
	v_mul_f32_e32 v2, v131, v177
	v_fma_f32 v4, v127, v175, -v4
	v_add_f32_e32 v1, v1, v141
	s_waitcnt vmcnt(44)
	v_fmac_f32_e32 v2, v132, v178
	ds_read_b128 v[137:140], v116 offset:768
	ds_read_b128 v[141:144], v116 offset:784
	v_add_f32_e32 v3, v3, v4
	v_mul_f32_e32 v4, v130, v9
	v_add_f32_e32 v1, v1, v2
	s_waitcnt vmcnt(43) lgkmcnt(9)
	v_mul_f32_e32 v2, v133, v179
	v_fma_f32 v4, v129, v176, -v4
	s_waitcnt vmcnt(42)
	v_fmac_f32_e32 v2, v134, v180
	v_add_f32_e32 v3, v3, v4
	v_mul_f32_e32 v4, v132, v177
	v_add_f32_e32 v1, v1, v2
	s_waitcnt vmcnt(41)
	v_mul_f32_e32 v2, v135, v181
	v_fma_f32 v4, v131, v178, -v4
	s_waitcnt vmcnt(40)
	v_fmac_f32_e32 v2, v136, v182
	v_add_f32_e32 v3, v3, v4
	v_mul_f32_e32 v4, v134, v179
	v_add_f32_e32 v1, v1, v2
	s_waitcnt vmcnt(39) lgkmcnt(1)
	v_mul_f32_e32 v2, v137, v183
	v_fma_f32 v4, v133, v180, -v4
	s_waitcnt vmcnt(38)
	v_fmac_f32_e32 v2, v138, v184
	v_add_f32_e32 v3, v3, v4
	v_mul_f32_e32 v4, v136, v181
	v_add_f32_e32 v1, v1, v2
	s_waitcnt vmcnt(37)
	v_mul_f32_e32 v2, v139, v185
	v_fma_f32 v4, v135, v182, -v4
	s_waitcnt vmcnt(36)
	v_fmac_f32_e32 v2, v140, v186
	v_add_f32_e32 v3, v3, v4
	v_mul_f32_e32 v4, v138, v183
	v_add_f32_e32 v1, v1, v2
	s_waitcnt vmcnt(34) lgkmcnt(0)
	v_mul_f32_e32 v2, v141, v188
	v_fma_f32 v4, v137, v184, -v4
	v_fmac_f32_e32 v2, v142, v187
	v_add_f32_e32 v3, v3, v4
	v_mul_f32_e32 v4, v140, v185
	v_add_f32_e32 v1, v1, v2
	s_waitcnt vmcnt(31)
	v_mul_f32_e32 v2, v143, v191
	v_fma_f32 v4, v139, v186, -v4
	s_waitcnt vmcnt(30)
	v_fmac_f32_e32 v2, v144, v192
	v_add_f32_e32 v3, v3, v4
	v_mul_f32_e32 v4, v142, v188
	v_add_f32_e32 v1, v1, v2
	s_waitcnt vmcnt(28)
	v_mul_f32_e32 v2, v145, v194
	v_fma_f32 v4, v141, v187, -v4
	v_fmac_f32_e32 v2, v146, v193
	v_add_f32_e32 v3, v3, v4
	v_mul_f32_e32 v4, v144, v191
	v_add_f32_e32 v1, v1, v2
	s_waitcnt vmcnt(26)
	v_mul_f32_e32 v2, v147, v196
	v_fma_f32 v4, v143, v192, -v4
	;; [unrolled: 7-line block ×12, first 2 shown]
	v_fmac_f32_e32 v2, v168, v215
	v_add_f32_e32 v3, v3, v4
	v_mul_f32_e32 v4, v166, v214
	v_add_f32_e32 v223, v1, v2
	ds_read_b64 v[1:2], v116 offset:912
	v_fma_f32 v4, v165, v213, -v4
	s_waitcnt vmcnt(4)
	v_mul_f32_e32 v224, v169, v218
	v_add_f32_e32 v3, v3, v4
	v_mul_f32_e32 v4, v168, v216
	v_fmac_f32_e32 v224, v170, v217
	v_fma_f32 v4, v167, v215, -v4
	v_add_f32_e32 v223, v223, v224
	s_waitcnt vmcnt(2)
	v_mul_f32_e32 v224, v171, v220
	v_add_f32_e32 v3, v3, v4
	v_mul_f32_e32 v4, v170, v218
	v_fmac_f32_e32 v224, v172, v219
	v_fma_f32 v4, v169, v217, -v4
	v_add_f32_e32 v223, v223, v224
	s_waitcnt vmcnt(0) lgkmcnt(0)
	v_mul_f32_e32 v224, v1, v222
	v_add_f32_e32 v3, v3, v4
	v_mul_f32_e32 v4, v172, v220
	v_fmac_f32_e32 v224, v2, v221
	v_fma_f32 v4, v171, v219, -v4
	v_mul_f32_e32 v2, v2, v222
	v_add_f32_e32 v3, v3, v4
	v_fma_f32 v1, v1, v221, -v2
	v_add_f32_e32 v1, v3, v1
	v_add_f32_e32 v223, v223, v224
	v_sub_f32_e32 v1, v189, v1
	v_sub_f32_e32 v2, v190, v223
	buffer_store_dword v1, off, s[0:3], 0 offset:216
	buffer_store_dword v2, off, s[0:3], 0 offset:220
	s_and_saveexec_b64 s[4:5], vcc
	s_cbranch_execz .LBB56_303
; %bb.302:
	buffer_load_dword v1, off, s[0:3], 0 offset:208
	buffer_load_dword v2, off, s[0:3], 0 offset:212
	s_waitcnt vmcnt(0)
	ds_write_b64 v115, v[1:2]
	buffer_store_dword v116, off, s[0:3], 0 offset:208
	buffer_store_dword v116, off, s[0:3], 0 offset:212
.LBB56_303:
	s_or_b64 exec, exec, s[4:5]
	s_waitcnt lgkmcnt(0)
	; wave barrier
	buffer_load_dword v1, off, s[0:3], 0 offset:220
	buffer_load_dword v2, off, s[0:3], 0 offset:228
	;; [unrolled: 1-line block ×32, first 2 shown]
	ds_read2_b64 v[117:120], v116 offset0:85 offset1:86
	ds_read2_b64 v[121:124], v116 offset0:87 offset1:88
	;; [unrolled: 1-line block ×4, first 2 shown]
	buffer_load_dword v197, off, s[0:3], 0 offset:340
	buffer_load_dword v198, off, s[0:3], 0 offset:336
	;; [unrolled: 1-line block ×30, first 2 shown]
	v_cmp_lt_u32_e32 vcc, 25, v0
	s_waitcnt vmcnt(61) lgkmcnt(3)
	v_mul_f32_e32 v133, v117, v1
	s_waitcnt vmcnt(60)
	v_mul_f32_e32 v134, v119, v2
	s_waitcnt vmcnt(59) lgkmcnt(2)
	v_mul_f32_e32 v135, v121, v3
	s_waitcnt vmcnt(58)
	v_mul_f32_e32 v136, v123, v4
	;; [unrolled: 4-line block ×3, first 2 shown]
	s_waitcnt vmcnt(55) lgkmcnt(0)
	v_mul_f32_e32 v139, v129, v7
	s_waitcnt vmcnt(54)
	v_fmac_f32_e32 v133, v118, v8
	s_waitcnt vmcnt(53)
	v_fmac_f32_e32 v134, v120, v9
	v_add_f32_e32 v133, 0, v133
	s_waitcnt vmcnt(52)
	v_fmac_f32_e32 v135, v122, v10
	v_add_f32_e32 v133, v133, v134
	;; [unrolled: 3-line block ×6, first 2 shown]
	v_add_f32_e32 v137, v133, v139
	ds_read2_b64 v[133:136], v116 offset0:93 offset1:94
	s_waitcnt vmcnt(47)
	v_mul_f32_e32 v138, v131, v179
	s_waitcnt vmcnt(46)
	v_fmac_f32_e32 v138, v132, v180
	v_mul_f32_e32 v1, v118, v1
	v_add_f32_e32 v141, v137, v138
	ds_read2_b64 v[137:140], v116 offset0:95 offset1:96
	v_fma_f32 v1, v117, v8, -v1
	v_mul_f32_e32 v2, v120, v2
	s_waitcnt vmcnt(45) lgkmcnt(1)
	v_mul_f32_e32 v142, v133, v181
	v_add_f32_e32 v1, 0, v1
	v_fma_f32 v2, v119, v9, -v2
	s_waitcnt vmcnt(44)
	v_fmac_f32_e32 v142, v134, v182
	v_add_f32_e32 v1, v1, v2
	v_mul_f32_e32 v2, v122, v3
	v_add_f32_e32 v141, v141, v142
	s_waitcnt vmcnt(43)
	v_mul_f32_e32 v142, v135, v183
	v_fma_f32 v2, v121, v10, -v2
	s_waitcnt vmcnt(42)
	v_fmac_f32_e32 v142, v136, v184
	v_add_f32_e32 v1, v1, v2
	v_mul_f32_e32 v2, v124, v4
	v_add_f32_e32 v141, v141, v142
	s_waitcnt vmcnt(41) lgkmcnt(0)
	v_mul_f32_e32 v142, v137, v185
	v_fma_f32 v2, v123, v11, -v2
	s_waitcnt vmcnt(40)
	v_fmac_f32_e32 v142, v138, v186
	v_add_f32_e32 v1, v1, v2
	v_mul_f32_e32 v2, v126, v5
	v_add_f32_e32 v145, v141, v142
	ds_read2_b64 v[141:144], v116 offset0:97 offset1:98
	v_fma_f32 v2, v125, v12, -v2
	v_add_f32_e32 v1, v1, v2
	v_mul_f32_e32 v2, v128, v6
	s_waitcnt vmcnt(39)
	v_mul_f32_e32 v146, v139, v187
	v_fma_f32 v2, v127, v177, -v2
	s_waitcnt vmcnt(38)
	v_fmac_f32_e32 v146, v140, v188
	v_add_f32_e32 v1, v1, v2
	v_mul_f32_e32 v2, v130, v7
	v_add_f32_e32 v149, v145, v146
	ds_read2_b64 v[145:148], v116 offset0:99 offset1:100
	v_fma_f32 v2, v129, v178, -v2
	s_waitcnt vmcnt(35) lgkmcnt(1)
	v_mul_f32_e32 v150, v141, v191
	v_add_f32_e32 v1, v1, v2
	v_mul_f32_e32 v2, v132, v179
	s_waitcnt vmcnt(34)
	v_fmac_f32_e32 v150, v142, v192
	v_fma_f32 v2, v131, v180, -v2
	v_add_f32_e32 v149, v149, v150
	s_waitcnt vmcnt(32)
	v_mul_f32_e32 v150, v143, v194
	v_add_f32_e32 v1, v1, v2
	v_mul_f32_e32 v2, v134, v181
	v_fmac_f32_e32 v150, v144, v193
	v_fma_f32 v2, v133, v182, -v2
	v_add_f32_e32 v149, v149, v150
	s_waitcnt vmcnt(30) lgkmcnt(0)
	v_mul_f32_e32 v150, v145, v196
	v_add_f32_e32 v1, v1, v2
	v_mul_f32_e32 v2, v136, v183
	v_fmac_f32_e32 v150, v146, v195
	v_fma_f32 v2, v135, v184, -v2
	v_add_f32_e32 v153, v149, v150
	ds_read2_b64 v[149:152], v116 offset0:101 offset1:102
	v_add_f32_e32 v1, v1, v2
	v_mul_f32_e32 v2, v138, v185
	v_fma_f32 v2, v137, v186, -v2
	s_waitcnt vmcnt(29)
	v_mul_f32_e32 v154, v147, v197
	v_add_f32_e32 v1, v1, v2
	v_mul_f32_e32 v2, v140, v187
	s_waitcnt vmcnt(28)
	v_fmac_f32_e32 v154, v148, v198
	v_fma_f32 v2, v139, v188, -v2
	v_add_f32_e32 v157, v153, v154
	ds_read2_b64 v[153:156], v116 offset0:103 offset1:104
	v_add_f32_e32 v1, v1, v2
	v_mul_f32_e32 v2, v142, v191
	s_waitcnt vmcnt(26) lgkmcnt(1)
	v_mul_f32_e32 v158, v149, v200
	v_fma_f32 v2, v141, v192, -v2
	v_fmac_f32_e32 v158, v150, v199
	v_add_f32_e32 v1, v1, v2
	v_mul_f32_e32 v2, v144, v194
	v_add_f32_e32 v157, v157, v158
	s_waitcnt vmcnt(24)
	v_mul_f32_e32 v158, v151, v202
	v_fma_f32 v2, v143, v193, -v2
	v_fmac_f32_e32 v158, v152, v201
	v_add_f32_e32 v1, v1, v2
	v_mul_f32_e32 v2, v146, v196
	v_add_f32_e32 v157, v157, v158
	s_waitcnt vmcnt(22) lgkmcnt(0)
	v_mul_f32_e32 v158, v153, v204
	v_fma_f32 v2, v145, v195, -v2
	v_fmac_f32_e32 v158, v154, v203
	v_add_f32_e32 v1, v1, v2
	v_mul_f32_e32 v2, v148, v197
	v_add_f32_e32 v161, v157, v158
	ds_read2_b64 v[157:160], v116 offset0:105 offset1:106
	v_fma_f32 v2, v147, v198, -v2
	v_add_f32_e32 v1, v1, v2
	v_mul_f32_e32 v2, v150, v200
	s_waitcnt vmcnt(20)
	v_mul_f32_e32 v162, v155, v206
	v_fma_f32 v2, v149, v199, -v2
	v_fmac_f32_e32 v162, v156, v205
	v_add_f32_e32 v1, v1, v2
	v_mul_f32_e32 v2, v152, v202
	v_add_f32_e32 v165, v161, v162
	ds_read2_b64 v[161:164], v116 offset0:107 offset1:108
	v_fma_f32 v2, v151, v201, -v2
	s_waitcnt vmcnt(18) lgkmcnt(1)
	v_mul_f32_e32 v166, v157, v208
	v_add_f32_e32 v1, v1, v2
	v_mul_f32_e32 v2, v154, v204
	v_fmac_f32_e32 v166, v158, v207
	v_fma_f32 v2, v153, v203, -v2
	v_add_f32_e32 v165, v165, v166
	s_waitcnt vmcnt(16)
	v_mul_f32_e32 v166, v159, v210
	v_add_f32_e32 v1, v1, v2
	v_mul_f32_e32 v2, v156, v206
	v_fmac_f32_e32 v166, v160, v209
	v_fma_f32 v2, v155, v205, -v2
	v_add_f32_e32 v165, v165, v166
	s_waitcnt vmcnt(14) lgkmcnt(0)
	v_mul_f32_e32 v166, v161, v212
	v_add_f32_e32 v1, v1, v2
	v_mul_f32_e32 v2, v158, v208
	v_fmac_f32_e32 v166, v162, v211
	v_fma_f32 v2, v157, v207, -v2
	v_add_f32_e32 v169, v165, v166
	ds_read2_b64 v[165:168], v116 offset0:109 offset1:110
	v_add_f32_e32 v1, v1, v2
	v_mul_f32_e32 v2, v160, v210
	v_fma_f32 v2, v159, v209, -v2
	v_add_f32_e32 v1, v1, v2
	v_mul_f32_e32 v2, v162, v212
	s_waitcnt vmcnt(12)
	v_mul_f32_e32 v170, v163, v214
	v_fma_f32 v2, v161, v211, -v2
	v_fmac_f32_e32 v170, v164, v213
	v_add_f32_e32 v1, v1, v2
	v_mul_f32_e32 v2, v164, v214
	v_add_f32_e32 v173, v169, v170
	ds_read2_b64 v[169:172], v116 offset0:111 offset1:112
	s_waitcnt vmcnt(10) lgkmcnt(1)
	v_mul_f32_e32 v174, v165, v216
	v_fma_f32 v2, v163, v213, -v2
	v_fmac_f32_e32 v174, v166, v215
	v_add_f32_e32 v1, v1, v2
	v_mul_f32_e32 v2, v166, v216
	v_add_f32_e32 v173, v173, v174
	s_waitcnt vmcnt(8)
	v_mul_f32_e32 v174, v167, v218
	v_fma_f32 v2, v165, v215, -v2
	v_fmac_f32_e32 v174, v168, v217
	v_add_f32_e32 v1, v1, v2
	v_mul_f32_e32 v2, v168, v218
	v_add_f32_e32 v227, v173, v174
	ds_read2_b64 v[173:176], v116 offset0:113 offset1:114
	v_fma_f32 v2, v167, v217, -v2
	v_add_f32_e32 v1, v1, v2
	s_waitcnt vmcnt(6) lgkmcnt(1)
	v_mul_f32_e32 v2, v170, v220
	v_mul_f32_e32 v228, v169, v220
	v_fma_f32 v2, v169, v219, -v2
	v_fmac_f32_e32 v228, v170, v219
	v_add_f32_e32 v1, v1, v2
	s_waitcnt vmcnt(4)
	v_mul_f32_e32 v2, v172, v222
	v_add_f32_e32 v116, v227, v228
	v_mul_f32_e32 v227, v171, v222
	v_fma_f32 v2, v171, v221, -v2
	v_fmac_f32_e32 v227, v172, v221
	v_add_f32_e32 v1, v1, v2
	s_waitcnt vmcnt(2) lgkmcnt(0)
	v_mul_f32_e32 v2, v174, v224
	v_add_f32_e32 v116, v116, v227
	v_mul_f32_e32 v227, v173, v224
	v_fma_f32 v2, v173, v223, -v2
	v_fmac_f32_e32 v227, v174, v223
	v_add_f32_e32 v1, v1, v2
	s_waitcnt vmcnt(0)
	v_mul_f32_e32 v2, v176, v226
	v_add_f32_e32 v116, v116, v227
	v_mul_f32_e32 v227, v175, v226
	v_fma_f32 v2, v175, v225, -v2
	v_fmac_f32_e32 v227, v176, v225
	v_add_f32_e32 v1, v1, v2
	v_add_f32_e32 v116, v116, v227
	v_sub_f32_e32 v1, v189, v1
	v_sub_f32_e32 v2, v190, v116
	buffer_store_dword v1, off, s[0:3], 0 offset:208
	buffer_store_dword v2, off, s[0:3], 0 offset:212
	s_and_saveexec_b64 s[4:5], vcc
	s_cbranch_execz .LBB56_305
; %bb.304:
	buffer_load_dword v1, off, s[0:3], 0 offset:200
	buffer_load_dword v2, off, s[0:3], 0 offset:204
	v_mov_b32_e32 v3, 0
	buffer_store_dword v3, off, s[0:3], 0 offset:200
	buffer_store_dword v3, off, s[0:3], 0 offset:204
	s_waitcnt vmcnt(2)
	ds_write_b64 v115, v[1:2]
.LBB56_305:
	s_or_b64 exec, exec, s[4:5]
	s_waitcnt lgkmcnt(0)
	; wave barrier
	buffer_load_dword v3, off, s[0:3], 0 offset:212
	buffer_load_dword v4, off, s[0:3], 0 offset:220
	;; [unrolled: 1-line block ×24, first 2 shown]
	v_mov_b32_e32 v116, 0
	buffer_load_dword v191, off, s[0:3], 0 offset:300
	buffer_load_dword v192, off, s[0:3], 0 offset:296
	;; [unrolled: 1-line block ×32, first 2 shown]
	ds_read_b128 v[117:120], v116 offset:672
	buffer_load_dword v223, off, s[0:3], 0 offset:424
	buffer_load_dword v224, off, s[0:3], 0 offset:428
	buffer_load_dword v225, off, s[0:3], 0 offset:432
	buffer_load_dword v226, off, s[0:3], 0 offset:436
	ds_read_b128 v[121:124], v116 offset:688
	ds_read_b128 v[125:128], v116 offset:704
	;; [unrolled: 1-line block ×3, first 2 shown]
	v_cmp_lt_u32_e32 vcc, 24, v0
	s_waitcnt vmcnt(59) lgkmcnt(3)
	v_mul_f32_e32 v1, v117, v3
	s_waitcnt vmcnt(58)
	v_mul_f32_e32 v2, v119, v4
	s_waitcnt vmcnt(57) lgkmcnt(2)
	v_mul_f32_e32 v133, v121, v5
	s_waitcnt vmcnt(56)
	v_mul_f32_e32 v134, v123, v6
	;; [unrolled: 4-line block ×3, first 2 shown]
	v_mul_f32_e32 v3, v118, v3
	v_mul_f32_e32 v4, v120, v4
	s_waitcnt vmcnt(51)
	v_fmac_f32_e32 v1, v118, v11
	s_waitcnt vmcnt(50)
	v_fmac_f32_e32 v2, v120, v12
	v_add_f32_e32 v1, 0, v1
	s_waitcnt vmcnt(49)
	v_fmac_f32_e32 v133, v122, v177
	v_add_f32_e32 v1, v1, v2
	;; [unrolled: 3-line block ×5, first 2 shown]
	v_add_f32_e32 v1, v1, v136
	ds_read_b128 v[133:136], v116 offset:736
	buffer_load_dword v227, off, s[0:3], 0 offset:444
	buffer_load_dword v228, off, s[0:3], 0 offset:440
	;; [unrolled: 1-line block ×4, first 2 shown]
	v_fma_f32 v3, v117, v11, -v3
	v_add_f32_e32 v3, 0, v3
	v_fma_f32 v4, v119, v12, -v4
	v_add_f32_e32 v3, v3, v4
	v_mul_f32_e32 v4, v122, v5
	v_fma_f32 v4, v121, v177, -v4
	v_add_f32_e32 v3, v3, v4
	v_mul_f32_e32 v4, v124, v6
	v_fma_f32 v4, v123, v178, -v4
	v_add_f32_e32 v3, v3, v4
	v_mul_f32_e32 v4, v126, v7
	s_waitcnt lgkmcnt(1)
	v_mul_f32_e32 v137, v129, v9
	v_fma_f32 v4, v125, v179, -v4
	v_mul_f32_e32 v138, v131, v10
	s_waitcnt vmcnt(49)
	v_fmac_f32_e32 v137, v130, v181
	v_add_f32_e32 v3, v3, v4
	v_mul_f32_e32 v4, v128, v8
	v_add_f32_e32 v1, v1, v137
	s_waitcnt vmcnt(48)
	v_fmac_f32_e32 v138, v132, v182
	v_fma_f32 v4, v127, v180, -v4
	v_add_f32_e32 v1, v1, v138
	ds_read_b128 v[137:140], v116 offset:752
	ds_read_b128 v[141:144], v116 offset:768
	v_add_f32_e32 v3, v3, v4
	v_mul_f32_e32 v4, v130, v9
	s_waitcnt vmcnt(47) lgkmcnt(2)
	v_mul_f32_e32 v2, v133, v183
	v_fma_f32 v4, v129, v181, -v4
	s_waitcnt vmcnt(46)
	v_fmac_f32_e32 v2, v134, v184
	v_add_f32_e32 v3, v3, v4
	v_mul_f32_e32 v4, v132, v10
	v_add_f32_e32 v1, v1, v2
	s_waitcnt vmcnt(45)
	v_mul_f32_e32 v2, v135, v185
	v_fma_f32 v4, v131, v182, -v4
	s_waitcnt vmcnt(44)
	v_fmac_f32_e32 v2, v136, v186
	v_add_f32_e32 v3, v3, v4
	v_mul_f32_e32 v4, v134, v183
	v_add_f32_e32 v1, v1, v2
	s_waitcnt vmcnt(42) lgkmcnt(1)
	v_mul_f32_e32 v2, v137, v188
	v_fma_f32 v4, v133, v184, -v4
	v_fmac_f32_e32 v2, v138, v187
	v_add_f32_e32 v3, v3, v4
	v_mul_f32_e32 v4, v136, v185
	v_add_f32_e32 v1, v1, v2
	s_waitcnt vmcnt(39)
	v_mul_f32_e32 v2, v139, v191
	v_fma_f32 v4, v135, v186, -v4
	s_waitcnt vmcnt(38)
	v_fmac_f32_e32 v2, v140, v192
	ds_read_b128 v[145:148], v116 offset:784
	ds_read_b128 v[149:152], v116 offset:800
	v_add_f32_e32 v3, v3, v4
	v_mul_f32_e32 v4, v138, v188
	v_add_f32_e32 v1, v1, v2
	s_waitcnt vmcnt(36) lgkmcnt(2)
	v_mul_f32_e32 v2, v141, v194
	v_fma_f32 v4, v137, v187, -v4
	v_fmac_f32_e32 v2, v142, v193
	v_add_f32_e32 v3, v3, v4
	v_mul_f32_e32 v4, v140, v191
	v_add_f32_e32 v1, v1, v2
	s_waitcnt vmcnt(34)
	v_mul_f32_e32 v2, v143, v196
	v_fma_f32 v4, v139, v192, -v4
	v_fmac_f32_e32 v2, v144, v195
	v_add_f32_e32 v3, v3, v4
	v_mul_f32_e32 v4, v142, v194
	v_add_f32_e32 v1, v1, v2
	s_waitcnt vmcnt(32) lgkmcnt(1)
	v_mul_f32_e32 v2, v145, v198
	v_fma_f32 v4, v141, v193, -v4
	v_fmac_f32_e32 v2, v146, v197
	v_add_f32_e32 v3, v3, v4
	v_mul_f32_e32 v4, v144, v196
	v_add_f32_e32 v1, v1, v2
	s_waitcnt vmcnt(30)
	v_mul_f32_e32 v2, v147, v200
	v_fma_f32 v4, v143, v195, -v4
	v_fmac_f32_e32 v2, v148, v199
	ds_read_b128 v[153:156], v116 offset:816
	ds_read_b128 v[157:160], v116 offset:832
	v_add_f32_e32 v3, v3, v4
	v_mul_f32_e32 v4, v146, v198
	v_add_f32_e32 v1, v1, v2
	s_waitcnt vmcnt(28) lgkmcnt(2)
	v_mul_f32_e32 v2, v149, v202
	v_fma_f32 v4, v145, v197, -v4
	v_fmac_f32_e32 v2, v150, v201
	v_add_f32_e32 v3, v3, v4
	v_mul_f32_e32 v4, v148, v200
	v_add_f32_e32 v1, v1, v2
	s_waitcnt vmcnt(26)
	v_mul_f32_e32 v2, v151, v204
	v_fma_f32 v4, v147, v199, -v4
	v_fmac_f32_e32 v2, v152, v203
	v_add_f32_e32 v3, v3, v4
	v_mul_f32_e32 v4, v150, v202
	v_add_f32_e32 v1, v1, v2
	s_waitcnt vmcnt(24) lgkmcnt(1)
	v_mul_f32_e32 v2, v153, v206
	v_fma_f32 v4, v149, v201, -v4
	v_fmac_f32_e32 v2, v154, v205
	v_add_f32_e32 v3, v3, v4
	v_mul_f32_e32 v4, v152, v204
	v_add_f32_e32 v1, v1, v2
	s_waitcnt vmcnt(22)
	v_mul_f32_e32 v2, v155, v208
	v_fma_f32 v4, v151, v203, -v4
	v_fmac_f32_e32 v2, v156, v207
	ds_read_b128 v[161:164], v116 offset:848
	ds_read_b128 v[165:168], v116 offset:864
	v_add_f32_e32 v3, v3, v4
	v_mul_f32_e32 v4, v154, v206
	v_add_f32_e32 v1, v1, v2
	s_waitcnt vmcnt(20) lgkmcnt(2)
	v_mul_f32_e32 v2, v157, v210
	v_fma_f32 v4, v153, v205, -v4
	v_fmac_f32_e32 v2, v158, v209
	v_add_f32_e32 v3, v3, v4
	v_mul_f32_e32 v4, v156, v208
	v_add_f32_e32 v1, v1, v2
	s_waitcnt vmcnt(18)
	v_mul_f32_e32 v2, v159, v212
	v_fma_f32 v4, v155, v207, -v4
	v_fmac_f32_e32 v2, v160, v211
	v_add_f32_e32 v3, v3, v4
	v_mul_f32_e32 v4, v158, v210
	v_add_f32_e32 v1, v1, v2
	s_waitcnt vmcnt(16) lgkmcnt(1)
	v_mul_f32_e32 v2, v161, v214
	v_fma_f32 v4, v157, v209, -v4
	v_fmac_f32_e32 v2, v162, v213
	v_add_f32_e32 v3, v3, v4
	v_mul_f32_e32 v4, v160, v212
	v_add_f32_e32 v1, v1, v2
	s_waitcnt vmcnt(14)
	v_mul_f32_e32 v2, v163, v216
	v_fma_f32 v4, v159, v211, -v4
	v_fmac_f32_e32 v2, v164, v215
	ds_read_b128 v[169:172], v116 offset:880
	ds_read_b128 v[173:176], v116 offset:896
	v_add_f32_e32 v3, v3, v4
	v_mul_f32_e32 v4, v162, v214
	v_add_f32_e32 v1, v1, v2
	s_waitcnt vmcnt(12) lgkmcnt(2)
	v_mul_f32_e32 v2, v165, v218
	v_fma_f32 v4, v161, v213, -v4
	v_fmac_f32_e32 v2, v166, v217
	v_add_f32_e32 v3, v3, v4
	v_mul_f32_e32 v4, v164, v216
	v_add_f32_e32 v1, v1, v2
	s_waitcnt vmcnt(10)
	v_mul_f32_e32 v2, v167, v220
	v_fma_f32 v4, v163, v215, -v4
	v_fmac_f32_e32 v2, v168, v219
	v_add_f32_e32 v3, v3, v4
	v_mul_f32_e32 v4, v166, v218
	v_add_f32_e32 v1, v1, v2
	s_waitcnt vmcnt(8) lgkmcnt(1)
	v_mul_f32_e32 v2, v169, v222
	v_fma_f32 v4, v165, v217, -v4
	v_fmac_f32_e32 v2, v170, v221
	v_add_f32_e32 v3, v3, v4
	v_mul_f32_e32 v4, v168, v220
	v_add_f32_e32 v1, v1, v2
	s_waitcnt vmcnt(6)
	v_mul_f32_e32 v2, v171, v224
	v_fma_f32 v4, v167, v219, -v4
	v_fmac_f32_e32 v2, v172, v223
	v_add_f32_e32 v3, v3, v4
	v_mul_f32_e32 v4, v170, v222
	v_add_f32_e32 v231, v1, v2
	ds_read_b64 v[1:2], v116 offset:912
	v_fma_f32 v4, v169, v221, -v4
	s_waitcnt vmcnt(4) lgkmcnt(1)
	v_mul_f32_e32 v232, v173, v226
	v_add_f32_e32 v3, v3, v4
	v_mul_f32_e32 v4, v172, v224
	v_fmac_f32_e32 v232, v174, v225
	v_fma_f32 v4, v171, v223, -v4
	v_add_f32_e32 v231, v231, v232
	s_waitcnt vmcnt(3)
	v_mul_f32_e32 v232, v175, v227
	v_add_f32_e32 v3, v3, v4
	v_mul_f32_e32 v4, v174, v226
	s_waitcnt vmcnt(2)
	v_fmac_f32_e32 v232, v176, v228
	v_fma_f32 v4, v173, v225, -v4
	v_add_f32_e32 v231, v231, v232
	s_waitcnt vmcnt(0) lgkmcnt(0)
	v_mul_f32_e32 v232, v1, v230
	v_add_f32_e32 v3, v3, v4
	v_mul_f32_e32 v4, v176, v227
	v_fmac_f32_e32 v232, v2, v229
	v_fma_f32 v4, v175, v228, -v4
	v_mul_f32_e32 v2, v2, v230
	v_add_f32_e32 v3, v3, v4
	v_fma_f32 v1, v1, v229, -v2
	v_add_f32_e32 v1, v3, v1
	v_add_f32_e32 v231, v231, v232
	v_sub_f32_e32 v1, v189, v1
	v_sub_f32_e32 v2, v190, v231
	buffer_store_dword v1, off, s[0:3], 0 offset:200
	buffer_store_dword v2, off, s[0:3], 0 offset:204
	s_and_saveexec_b64 s[4:5], vcc
	s_cbranch_execz .LBB56_307
; %bb.306:
	buffer_load_dword v1, off, s[0:3], 0 offset:192
	buffer_load_dword v2, off, s[0:3], 0 offset:196
	s_waitcnt vmcnt(0)
	ds_write_b64 v115, v[1:2]
	buffer_store_dword v116, off, s[0:3], 0 offset:192
	buffer_store_dword v116, off, s[0:3], 0 offset:196
.LBB56_307:
	s_or_b64 exec, exec, s[4:5]
	s_waitcnt lgkmcnt(0)
	; wave barrier
	buffer_load_dword v1, off, s[0:3], 0 offset:204
	buffer_load_dword v2, off, s[0:3], 0 offset:212
	;; [unrolled: 1-line block ×26, first 2 shown]
	ds_read2_b64 v[117:120], v116 offset0:83 offset1:84
	ds_read2_b64 v[121:124], v116 offset0:85 offset1:86
	;; [unrolled: 1-line block ×4, first 2 shown]
	buffer_load_dword v195, off, s[0:3], 0 offset:300
	buffer_load_dword v196, off, s[0:3], 0 offset:296
	;; [unrolled: 1-line block ×34, first 2 shown]
	v_cmp_lt_u32_e32 vcc, 23, v0
	s_waitcnt vmcnt(59) lgkmcnt(3)
	v_mul_f32_e32 v133, v117, v1
	s_waitcnt vmcnt(58)
	v_mul_f32_e32 v134, v119, v2
	s_waitcnt vmcnt(57) lgkmcnt(2)
	v_mul_f32_e32 v135, v121, v3
	s_waitcnt vmcnt(56)
	v_mul_f32_e32 v136, v123, v4
	;; [unrolled: 4-line block ×4, first 2 shown]
	s_waitcnt vmcnt(51)
	v_fmac_f32_e32 v133, v118, v9
	s_waitcnt vmcnt(50)
	v_fmac_f32_e32 v134, v120, v10
	v_add_f32_e32 v133, 0, v133
	s_waitcnt vmcnt(49)
	v_fmac_f32_e32 v135, v122, v11
	v_add_f32_e32 v133, v133, v134
	;; [unrolled: 3-line block ×7, first 2 shown]
	v_add_f32_e32 v141, v133, v140
	ds_read2_b64 v[133:136], v116 offset0:91 offset1:92
	buffer_load_dword v229, off, s[0:3], 0 offset:436
	buffer_load_dword v230, off, s[0:3], 0 offset:432
	;; [unrolled: 1-line block ×4, first 2 shown]
	ds_read2_b64 v[137:140], v116 offset0:93 offset1:94
	buffer_load_dword v233, off, s[0:3], 0 offset:448
	buffer_load_dword v234, off, s[0:3], 0 offset:452
	v_mul_f32_e32 v1, v118, v1
	s_waitcnt vmcnt(49) lgkmcnt(1)
	v_mul_f32_e32 v142, v133, v185
	s_waitcnt vmcnt(48)
	v_fmac_f32_e32 v142, v134, v186
	v_fma_f32 v1, v117, v9, -v1
	v_mul_f32_e32 v2, v120, v2
	v_add_f32_e32 v141, v141, v142
	s_waitcnt vmcnt(46)
	v_mul_f32_e32 v142, v135, v188
	v_add_f32_e32 v1, 0, v1
	v_fma_f32 v2, v119, v10, -v2
	v_fmac_f32_e32 v142, v136, v187
	v_add_f32_e32 v1, v1, v2
	v_mul_f32_e32 v2, v122, v3
	v_add_f32_e32 v141, v141, v142
	s_waitcnt vmcnt(43) lgkmcnt(0)
	v_mul_f32_e32 v142, v137, v191
	v_fma_f32 v2, v121, v11, -v2
	s_waitcnt vmcnt(42)
	v_fmac_f32_e32 v142, v138, v192
	v_add_f32_e32 v1, v1, v2
	v_mul_f32_e32 v2, v124, v4
	v_add_f32_e32 v145, v141, v142
	ds_read2_b64 v[141:144], v116 offset0:95 offset1:96
	v_fma_f32 v2, v123, v12, -v2
	v_add_f32_e32 v1, v1, v2
	v_mul_f32_e32 v2, v126, v5
	s_waitcnt vmcnt(40)
	v_mul_f32_e32 v146, v139, v194
	v_fma_f32 v2, v125, v181, -v2
	v_fmac_f32_e32 v146, v140, v193
	v_add_f32_e32 v1, v1, v2
	v_mul_f32_e32 v2, v128, v6
	v_add_f32_e32 v149, v145, v146
	ds_read2_b64 v[145:148], v116 offset0:97 offset1:98
	v_fma_f32 v2, v127, v182, -v2
	s_waitcnt vmcnt(39) lgkmcnt(1)
	v_mul_f32_e32 v150, v141, v195
	v_add_f32_e32 v1, v1, v2
	v_mul_f32_e32 v2, v130, v7
	s_waitcnt vmcnt(38)
	v_fmac_f32_e32 v150, v142, v196
	v_fma_f32 v2, v129, v183, -v2
	v_add_f32_e32 v149, v149, v150
	s_waitcnt vmcnt(36)
	v_mul_f32_e32 v150, v143, v198
	v_add_f32_e32 v1, v1, v2
	v_mul_f32_e32 v2, v132, v8
	v_fmac_f32_e32 v150, v144, v197
	v_fma_f32 v2, v131, v184, -v2
	v_add_f32_e32 v149, v149, v150
	s_waitcnt vmcnt(34) lgkmcnt(0)
	v_mul_f32_e32 v150, v145, v200
	v_add_f32_e32 v1, v1, v2
	v_mul_f32_e32 v2, v134, v185
	v_fmac_f32_e32 v150, v146, v199
	v_fma_f32 v2, v133, v186, -v2
	v_add_f32_e32 v153, v149, v150
	ds_read2_b64 v[149:152], v116 offset0:99 offset1:100
	v_add_f32_e32 v1, v1, v2
	v_mul_f32_e32 v2, v136, v188
	v_fma_f32 v2, v135, v187, -v2
	s_waitcnt vmcnt(32)
	v_mul_f32_e32 v154, v147, v202
	v_add_f32_e32 v1, v1, v2
	v_mul_f32_e32 v2, v138, v191
	v_fmac_f32_e32 v154, v148, v201
	v_fma_f32 v2, v137, v192, -v2
	v_add_f32_e32 v157, v153, v154
	ds_read2_b64 v[153:156], v116 offset0:101 offset1:102
	v_add_f32_e32 v1, v1, v2
	v_mul_f32_e32 v2, v140, v194
	s_waitcnt vmcnt(30) lgkmcnt(1)
	v_mul_f32_e32 v158, v149, v204
	v_fma_f32 v2, v139, v193, -v2
	v_fmac_f32_e32 v158, v150, v203
	v_add_f32_e32 v1, v1, v2
	v_mul_f32_e32 v2, v142, v195
	v_add_f32_e32 v157, v157, v158
	s_waitcnt vmcnt(28)
	v_mul_f32_e32 v158, v151, v206
	v_fma_f32 v2, v141, v196, -v2
	v_fmac_f32_e32 v158, v152, v205
	v_add_f32_e32 v1, v1, v2
	v_mul_f32_e32 v2, v144, v198
	v_add_f32_e32 v157, v157, v158
	s_waitcnt vmcnt(26) lgkmcnt(0)
	v_mul_f32_e32 v158, v153, v208
	v_fma_f32 v2, v143, v197, -v2
	v_fmac_f32_e32 v158, v154, v207
	v_add_f32_e32 v1, v1, v2
	v_mul_f32_e32 v2, v146, v200
	v_add_f32_e32 v161, v157, v158
	ds_read2_b64 v[157:160], v116 offset0:103 offset1:104
	v_fma_f32 v2, v145, v199, -v2
	v_add_f32_e32 v1, v1, v2
	v_mul_f32_e32 v2, v148, v202
	s_waitcnt vmcnt(24)
	v_mul_f32_e32 v162, v155, v210
	v_fma_f32 v2, v147, v201, -v2
	v_fmac_f32_e32 v162, v156, v209
	v_add_f32_e32 v1, v1, v2
	v_mul_f32_e32 v2, v150, v204
	v_add_f32_e32 v165, v161, v162
	ds_read2_b64 v[161:164], v116 offset0:105 offset1:106
	v_fma_f32 v2, v149, v203, -v2
	s_waitcnt vmcnt(22) lgkmcnt(1)
	v_mul_f32_e32 v166, v157, v212
	v_add_f32_e32 v1, v1, v2
	v_mul_f32_e32 v2, v152, v206
	v_fmac_f32_e32 v166, v158, v211
	v_fma_f32 v2, v151, v205, -v2
	v_add_f32_e32 v165, v165, v166
	s_waitcnt vmcnt(20)
	v_mul_f32_e32 v166, v159, v214
	v_add_f32_e32 v1, v1, v2
	v_mul_f32_e32 v2, v154, v208
	v_fmac_f32_e32 v166, v160, v213
	v_fma_f32 v2, v153, v207, -v2
	v_add_f32_e32 v165, v165, v166
	s_waitcnt vmcnt(18) lgkmcnt(0)
	v_mul_f32_e32 v166, v161, v216
	v_add_f32_e32 v1, v1, v2
	v_mul_f32_e32 v2, v156, v210
	v_fmac_f32_e32 v166, v162, v215
	v_fma_f32 v2, v155, v209, -v2
	v_add_f32_e32 v169, v165, v166
	ds_read2_b64 v[165:168], v116 offset0:107 offset1:108
	v_add_f32_e32 v1, v1, v2
	v_mul_f32_e32 v2, v158, v212
	v_fma_f32 v2, v157, v211, -v2
	s_waitcnt vmcnt(16)
	v_mul_f32_e32 v170, v163, v218
	v_add_f32_e32 v1, v1, v2
	v_mul_f32_e32 v2, v160, v214
	v_fmac_f32_e32 v170, v164, v217
	v_fma_f32 v2, v159, v213, -v2
	v_add_f32_e32 v173, v169, v170
	ds_read2_b64 v[169:172], v116 offset0:109 offset1:110
	v_add_f32_e32 v1, v1, v2
	v_mul_f32_e32 v2, v162, v216
	s_waitcnt vmcnt(14) lgkmcnt(1)
	v_mul_f32_e32 v174, v165, v220
	v_fma_f32 v2, v161, v215, -v2
	v_fmac_f32_e32 v174, v166, v219
	v_add_f32_e32 v1, v1, v2
	v_mul_f32_e32 v2, v164, v218
	v_add_f32_e32 v173, v173, v174
	s_waitcnt vmcnt(12)
	v_mul_f32_e32 v174, v167, v222
	v_fma_f32 v2, v163, v217, -v2
	v_fmac_f32_e32 v174, v168, v221
	v_add_f32_e32 v1, v1, v2
	v_mul_f32_e32 v2, v166, v220
	v_add_f32_e32 v173, v173, v174
	s_waitcnt vmcnt(10) lgkmcnt(0)
	v_mul_f32_e32 v174, v169, v224
	v_fma_f32 v2, v165, v219, -v2
	v_fmac_f32_e32 v174, v170, v223
	v_add_f32_e32 v1, v1, v2
	v_mul_f32_e32 v2, v168, v222
	v_add_f32_e32 v177, v173, v174
	ds_read2_b64 v[173:176], v116 offset0:111 offset1:112
	v_fma_f32 v2, v167, v221, -v2
	v_add_f32_e32 v1, v1, v2
	v_mul_f32_e32 v2, v170, v224
	s_waitcnt vmcnt(8)
	v_mul_f32_e32 v178, v171, v226
	v_fma_f32 v2, v169, v223, -v2
	v_fmac_f32_e32 v178, v172, v225
	v_add_f32_e32 v1, v1, v2
	v_mul_f32_e32 v2, v172, v226
	v_add_f32_e32 v235, v177, v178
	ds_read2_b64 v[177:180], v116 offset0:113 offset1:114
	v_fma_f32 v2, v171, v225, -v2
	v_add_f32_e32 v1, v1, v2
	s_waitcnt vmcnt(6) lgkmcnt(1)
	v_mul_f32_e32 v2, v174, v228
	v_mul_f32_e32 v116, v173, v228
	v_fma_f32 v2, v173, v227, -v2
	v_fmac_f32_e32 v116, v174, v227
	v_add_f32_e32 v1, v1, v2
	s_waitcnt vmcnt(5)
	v_mul_f32_e32 v2, v176, v229
	v_add_f32_e32 v116, v235, v116
	v_mul_f32_e32 v235, v175, v229
	s_waitcnt vmcnt(4)
	v_fma_f32 v2, v175, v230, -v2
	v_fmac_f32_e32 v235, v176, v230
	v_add_f32_e32 v1, v1, v2
	s_waitcnt vmcnt(2) lgkmcnt(0)
	v_mul_f32_e32 v2, v178, v232
	v_add_f32_e32 v116, v116, v235
	v_mul_f32_e32 v235, v177, v232
	v_fma_f32 v2, v177, v231, -v2
	v_fmac_f32_e32 v235, v178, v231
	v_add_f32_e32 v1, v1, v2
	s_waitcnt vmcnt(0)
	v_mul_f32_e32 v2, v180, v234
	v_add_f32_e32 v116, v116, v235
	v_mul_f32_e32 v235, v179, v234
	v_fma_f32 v2, v179, v233, -v2
	v_fmac_f32_e32 v235, v180, v233
	v_add_f32_e32 v1, v1, v2
	v_add_f32_e32 v116, v116, v235
	v_sub_f32_e32 v1, v189, v1
	v_sub_f32_e32 v2, v190, v116
	buffer_store_dword v1, off, s[0:3], 0 offset:192
	buffer_store_dword v2, off, s[0:3], 0 offset:196
	s_and_saveexec_b64 s[4:5], vcc
	s_cbranch_execz .LBB56_309
; %bb.308:
	buffer_load_dword v1, off, s[0:3], 0 offset:184
	buffer_load_dword v2, off, s[0:3], 0 offset:188
	v_mov_b32_e32 v3, 0
	buffer_store_dword v3, off, s[0:3], 0 offset:184
	buffer_store_dword v3, off, s[0:3], 0 offset:188
	s_waitcnt vmcnt(2)
	ds_write_b64 v115, v[1:2]
.LBB56_309:
	s_or_b64 exec, exec, s[4:5]
	s_waitcnt lgkmcnt(0)
	; wave barrier
	buffer_load_dword v3, off, s[0:3], 0 offset:196
	buffer_load_dword v4, off, s[0:3], 0 offset:204
	;; [unrolled: 1-line block ×21, first 2 shown]
	v_mov_b32_e32 v116, 0
	buffer_load_dword v192, off, s[0:3], 0 offset:264
	buffer_load_dword v193, off, s[0:3], 0 offset:272
	;; [unrolled: 1-line block ×37, first 2 shown]
	ds_read_b128 v[117:120], v116 offset:656
	ds_read_b128 v[121:124], v116 offset:672
	;; [unrolled: 1-line block ×5, first 2 shown]
	buffer_load_dword v229, off, s[0:3], 0 offset:416
	buffer_load_dword v230, off, s[0:3], 0 offset:420
	v_cmp_lt_u32_e32 vcc, 22, v0
	s_waitcnt vmcnt(59) lgkmcnt(4)
	v_mul_f32_e32 v1, v117, v3
	s_waitcnt vmcnt(58)
	v_mul_f32_e32 v2, v119, v4
	s_waitcnt vmcnt(57) lgkmcnt(3)
	v_mul_f32_e32 v137, v121, v5
	s_waitcnt vmcnt(56)
	v_mul_f32_e32 v138, v123, v6
	;; [unrolled: 4-line block ×3, first 2 shown]
	v_mul_f32_e32 v3, v118, v3
	v_mul_f32_e32 v4, v120, v4
	s_waitcnt vmcnt(51)
	v_fmac_f32_e32 v1, v118, v11
	s_waitcnt vmcnt(50)
	v_fmac_f32_e32 v2, v120, v12
	v_add_f32_e32 v1, 0, v1
	s_waitcnt vmcnt(49)
	v_fmac_f32_e32 v137, v122, v181
	v_add_f32_e32 v1, v1, v2
	;; [unrolled: 3-line block ×5, first 2 shown]
	v_add_f32_e32 v1, v1, v140
	ds_read_b128 v[137:140], v116 offset:736
	buffer_load_dword v231, off, s[0:3], 0 offset:428
	buffer_load_dword v232, off, s[0:3], 0 offset:424
	;; [unrolled: 1-line block ×8, first 2 shown]
	v_fma_f32 v3, v117, v11, -v3
	v_add_f32_e32 v3, 0, v3
	v_fma_f32 v4, v119, v12, -v4
	v_add_f32_e32 v3, v3, v4
	v_mul_f32_e32 v4, v122, v5
	v_fma_f32 v4, v121, v181, -v4
	v_add_f32_e32 v3, v3, v4
	v_mul_f32_e32 v4, v124, v6
	v_fma_f32 v4, v123, v182, -v4
	v_add_f32_e32 v3, v3, v4
	v_mul_f32_e32 v4, v126, v7
	v_fma_f32 v4, v125, v183, -v4
	v_add_f32_e32 v3, v3, v4
	v_mul_f32_e32 v4, v128, v8
	s_waitcnt lgkmcnt(2)
	v_mul_f32_e32 v141, v129, v9
	v_fma_f32 v4, v127, v184, -v4
	v_mul_f32_e32 v142, v131, v10
	s_waitcnt vmcnt(53)
	v_fmac_f32_e32 v141, v130, v185
	v_add_f32_e32 v3, v3, v4
	v_mul_f32_e32 v4, v130, v9
	s_waitcnt vmcnt(52)
	v_fmac_f32_e32 v142, v132, v186
	v_add_f32_e32 v1, v1, v141
	s_waitcnt vmcnt(51) lgkmcnt(1)
	v_mul_f32_e32 v2, v133, v187
	v_fma_f32 v4, v129, v185, -v4
	v_add_f32_e32 v1, v1, v142
	s_waitcnt vmcnt(50)
	v_fmac_f32_e32 v2, v134, v188
	v_add_f32_e32 v3, v3, v4
	v_mul_f32_e32 v4, v132, v10
	v_add_f32_e32 v1, v1, v2
	s_waitcnt vmcnt(49)
	v_mul_f32_e32 v2, v135, v189
	v_fma_f32 v4, v131, v186, -v4
	s_waitcnt vmcnt(46)
	v_fmac_f32_e32 v2, v136, v192
	ds_read_b128 v[141:144], v116 offset:752
	ds_read_b128 v[145:148], v116 offset:768
	v_add_f32_e32 v3, v3, v4
	v_mul_f32_e32 v4, v134, v187
	v_add_f32_e32 v1, v1, v2
	s_waitcnt vmcnt(44) lgkmcnt(2)
	v_mul_f32_e32 v2, v137, v194
	v_fma_f32 v4, v133, v188, -v4
	v_fmac_f32_e32 v2, v138, v193
	v_add_f32_e32 v3, v3, v4
	v_mul_f32_e32 v4, v136, v189
	v_add_f32_e32 v1, v1, v2
	s_waitcnt vmcnt(42)
	v_mul_f32_e32 v2, v139, v196
	v_fma_f32 v4, v135, v192, -v4
	v_fmac_f32_e32 v2, v140, v195
	v_add_f32_e32 v3, v3, v4
	v_mul_f32_e32 v4, v138, v194
	v_add_f32_e32 v1, v1, v2
	s_waitcnt vmcnt(40) lgkmcnt(1)
	v_mul_f32_e32 v2, v141, v198
	v_fma_f32 v4, v137, v193, -v4
	v_fmac_f32_e32 v2, v142, v197
	v_add_f32_e32 v3, v3, v4
	v_mul_f32_e32 v4, v140, v196
	v_add_f32_e32 v1, v1, v2
	s_waitcnt vmcnt(38)
	v_mul_f32_e32 v2, v143, v200
	v_fma_f32 v4, v139, v195, -v4
	v_fmac_f32_e32 v2, v144, v199
	ds_read_b128 v[149:152], v116 offset:784
	ds_read_b128 v[153:156], v116 offset:800
	v_add_f32_e32 v3, v3, v4
	v_mul_f32_e32 v4, v142, v198
	v_add_f32_e32 v1, v1, v2
	s_waitcnt vmcnt(36) lgkmcnt(2)
	v_mul_f32_e32 v2, v145, v202
	v_fma_f32 v4, v141, v197, -v4
	v_fmac_f32_e32 v2, v146, v201
	v_add_f32_e32 v3, v3, v4
	v_mul_f32_e32 v4, v144, v200
	v_add_f32_e32 v1, v1, v2
	s_waitcnt vmcnt(34)
	v_mul_f32_e32 v2, v147, v204
	v_fma_f32 v4, v143, v199, -v4
	v_fmac_f32_e32 v2, v148, v203
	v_add_f32_e32 v3, v3, v4
	v_mul_f32_e32 v4, v146, v202
	v_add_f32_e32 v1, v1, v2
	s_waitcnt vmcnt(32) lgkmcnt(1)
	v_mul_f32_e32 v2, v149, v206
	v_fma_f32 v4, v145, v201, -v4
	v_fmac_f32_e32 v2, v150, v205
	v_add_f32_e32 v3, v3, v4
	v_mul_f32_e32 v4, v148, v204
	v_add_f32_e32 v1, v1, v2
	s_waitcnt vmcnt(30)
	v_mul_f32_e32 v2, v151, v208
	v_fma_f32 v4, v147, v203, -v4
	;; [unrolled: 30-line block ×5, first 2 shown]
	s_waitcnt vmcnt(6)
	v_fmac_f32_e32 v2, v176, v232
	v_add_f32_e32 v3, v3, v4
	v_mul_f32_e32 v4, v174, v230
	v_add_f32_e32 v239, v1, v2
	ds_read_b64 v[1:2], v116 offset:912
	v_fma_f32 v4, v173, v229, -v4
	s_waitcnt vmcnt(4) lgkmcnt(1)
	v_mul_f32_e32 v240, v177, v234
	v_add_f32_e32 v3, v3, v4
	v_mul_f32_e32 v4, v176, v231
	v_fmac_f32_e32 v240, v178, v233
	v_fma_f32 v4, v175, v232, -v4
	v_add_f32_e32 v239, v239, v240
	s_waitcnt vmcnt(3)
	v_mul_f32_e32 v240, v179, v235
	v_add_f32_e32 v3, v3, v4
	v_mul_f32_e32 v4, v178, v234
	s_waitcnt vmcnt(2)
	v_fmac_f32_e32 v240, v180, v236
	v_fma_f32 v4, v177, v233, -v4
	v_add_f32_e32 v239, v239, v240
	s_waitcnt vmcnt(0) lgkmcnt(0)
	v_mul_f32_e32 v240, v1, v238
	v_add_f32_e32 v3, v3, v4
	v_mul_f32_e32 v4, v180, v235
	v_fmac_f32_e32 v240, v2, v237
	v_fma_f32 v4, v179, v236, -v4
	v_mul_f32_e32 v2, v2, v238
	v_add_f32_e32 v3, v3, v4
	v_fma_f32 v1, v1, v237, -v2
	v_add_f32_e32 v1, v3, v1
	v_add_f32_e32 v239, v239, v240
	v_sub_f32_e32 v1, v190, v1
	v_sub_f32_e32 v2, v191, v239
	buffer_store_dword v1, off, s[0:3], 0 offset:184
	buffer_store_dword v2, off, s[0:3], 0 offset:188
	s_and_saveexec_b64 s[4:5], vcc
	s_cbranch_execz .LBB56_311
; %bb.310:
	buffer_load_dword v1, off, s[0:3], 0 offset:176
	buffer_load_dword v2, off, s[0:3], 0 offset:180
	s_waitcnt vmcnt(0)
	ds_write_b64 v115, v[1:2]
	buffer_store_dword v116, off, s[0:3], 0 offset:176
	buffer_store_dword v116, off, s[0:3], 0 offset:180
.LBB56_311:
	s_or_b64 exec, exec, s[4:5]
	s_waitcnt lgkmcnt(0)
	; wave barrier
	buffer_load_dword v1, off, s[0:3], 0 offset:188
	buffer_load_dword v2, off, s[0:3], 0 offset:196
	;; [unrolled: 1-line block ×32, first 2 shown]
	ds_read2_b64 v[117:120], v116 offset0:81 offset1:82
	ds_read2_b64 v[121:124], v116 offset0:83 offset1:84
	;; [unrolled: 1-line block ×6, first 2 shown]
	buffer_load_dword v205, off, s[0:3], 0 offset:304
	buffer_load_dword v206, off, s[0:3], 0 offset:308
	;; [unrolled: 1-line block ×38, first 2 shown]
	v_cmp_lt_u32_e32 vcc, 21, v0
	s_waitcnt vmcnt(62) lgkmcnt(5)
	v_mul_f32_e32 v141, v117, v1
	v_mul_f32_e32 v142, v119, v2
	s_waitcnt lgkmcnt(4)
	v_mul_f32_e32 v143, v121, v3
	v_mul_f32_e32 v144, v123, v4
	s_waitcnt lgkmcnt(3)
	v_mul_f32_e32 v145, v125, v5
	v_mul_f32_e32 v146, v127, v6
	s_waitcnt lgkmcnt(2)
	v_mul_f32_e32 v147, v129, v7
	v_mul_f32_e32 v148, v131, v8
	s_waitcnt vmcnt(61)
	v_fmac_f32_e32 v143, v122, v9
	s_waitcnt vmcnt(60)
	v_fmac_f32_e32 v142, v120, v10
	;; [unrolled: 2-line block ×3, first 2 shown]
	v_add_f32_e32 v141, 0, v141
	v_add_f32_e32 v141, v141, v142
	;; [unrolled: 1-line block ×3, first 2 shown]
	s_waitcnt vmcnt(55)
	v_fmac_f32_e32 v144, v124, v187
	v_fmac_f32_e32 v145, v126, v186
	v_add_f32_e32 v141, v141, v144
	v_fmac_f32_e32 v146, v128, v185
	v_add_f32_e32 v141, v141, v145
	;; [unrolled: 2-line block ×3, first 2 shown]
	s_waitcnt vmcnt(51)
	v_fmac_f32_e32 v148, v132, v191
	v_add_f32_e32 v141, v141, v147
	s_waitcnt vmcnt(50) lgkmcnt(1)
	v_mul_f32_e32 v142, v133, v192
	v_add_f32_e32 v141, v141, v148
	v_fmac_f32_e32 v142, v134, v190
	v_mul_f32_e32 v1, v118, v1
	v_add_f32_e32 v141, v141, v142
	s_waitcnt vmcnt(49)
	v_mul_f32_e32 v142, v135, v193
	v_fma_f32 v1, v117, v11, -v1
	v_mul_f32_e32 v2, v120, v2
	v_fmac_f32_e32 v142, v136, v189
	v_add_f32_e32 v1, 0, v1
	v_fma_f32 v2, v119, v10, -v2
	v_add_f32_e32 v141, v141, v142
	s_waitcnt vmcnt(48) lgkmcnt(0)
	v_mul_f32_e32 v142, v137, v194
	v_add_f32_e32 v1, v1, v2
	v_mul_f32_e32 v2, v122, v3
	v_fmac_f32_e32 v142, v138, v188
	v_fma_f32 v2, v121, v9, -v2
	v_add_f32_e32 v145, v141, v142
	ds_read2_b64 v[141:144], v116 offset0:93 offset1:94
	v_add_f32_e32 v1, v1, v2
	v_mul_f32_e32 v2, v124, v4
	v_fma_f32 v2, v123, v187, -v2
	s_waitcnt vmcnt(45)
	v_mul_f32_e32 v146, v139, v197
	v_add_f32_e32 v1, v1, v2
	v_mul_f32_e32 v2, v126, v5
	s_waitcnt vmcnt(38)
	v_fmac_f32_e32 v146, v140, v204
	v_fma_f32 v2, v125, v186, -v2
	v_add_f32_e32 v149, v145, v146
	ds_read2_b64 v[145:148], v116 offset0:95 offset1:96
	v_add_f32_e32 v1, v1, v2
	v_mul_f32_e32 v2, v128, v6
	s_waitcnt lgkmcnt(1)
	v_mul_f32_e32 v150, v141, v199
	v_fma_f32 v2, v127, v185, -v2
	v_fmac_f32_e32 v150, v142, v198
	v_add_f32_e32 v1, v1, v2
	v_mul_f32_e32 v2, v130, v7
	v_add_f32_e32 v149, v149, v150
	v_mul_f32_e32 v150, v143, v201
	v_fma_f32 v2, v129, v12, -v2
	v_fmac_f32_e32 v150, v144, v200
	v_add_f32_e32 v1, v1, v2
	v_mul_f32_e32 v2, v132, v8
	v_add_f32_e32 v149, v149, v150
	s_waitcnt lgkmcnt(0)
	v_mul_f32_e32 v150, v145, v203
	v_fma_f32 v2, v131, v191, -v2
	v_fmac_f32_e32 v150, v146, v202
	v_add_f32_e32 v1, v1, v2
	v_mul_f32_e32 v2, v134, v192
	v_add_f32_e32 v153, v149, v150
	ds_read2_b64 v[149:152], v116 offset0:97 offset1:98
	v_fma_f32 v2, v133, v190, -v2
	v_add_f32_e32 v1, v1, v2
	v_mul_f32_e32 v2, v136, v193
	s_waitcnt vmcnt(36)
	v_mul_f32_e32 v154, v147, v206
	v_fma_f32 v2, v135, v189, -v2
	v_fmac_f32_e32 v154, v148, v205
	v_add_f32_e32 v1, v1, v2
	v_mul_f32_e32 v2, v138, v194
	v_add_f32_e32 v157, v153, v154
	ds_read2_b64 v[153:156], v116 offset0:99 offset1:100
	v_fma_f32 v2, v137, v188, -v2
	s_waitcnt vmcnt(34) lgkmcnt(1)
	v_mul_f32_e32 v158, v149, v208
	v_add_f32_e32 v1, v1, v2
	v_mul_f32_e32 v2, v140, v197
	v_fmac_f32_e32 v158, v150, v207
	v_fma_f32 v2, v139, v204, -v2
	v_add_f32_e32 v157, v157, v158
	s_waitcnt vmcnt(32)
	v_mul_f32_e32 v158, v151, v210
	v_add_f32_e32 v1, v1, v2
	v_mul_f32_e32 v2, v142, v199
	v_fmac_f32_e32 v158, v152, v209
	v_fma_f32 v2, v141, v198, -v2
	v_add_f32_e32 v157, v157, v158
	s_waitcnt vmcnt(30) lgkmcnt(0)
	v_mul_f32_e32 v158, v153, v212
	v_add_f32_e32 v1, v1, v2
	v_mul_f32_e32 v2, v144, v201
	v_fmac_f32_e32 v158, v154, v211
	v_fma_f32 v2, v143, v200, -v2
	v_add_f32_e32 v161, v157, v158
	ds_read2_b64 v[157:160], v116 offset0:101 offset1:102
	v_add_f32_e32 v1, v1, v2
	v_mul_f32_e32 v2, v146, v203
	v_fma_f32 v2, v145, v202, -v2
	s_waitcnt vmcnt(28)
	v_mul_f32_e32 v162, v155, v214
	v_add_f32_e32 v1, v1, v2
	v_mul_f32_e32 v2, v148, v206
	v_fmac_f32_e32 v162, v156, v213
	v_fma_f32 v2, v147, v205, -v2
	v_add_f32_e32 v165, v161, v162
	ds_read2_b64 v[161:164], v116 offset0:103 offset1:104
	v_add_f32_e32 v1, v1, v2
	v_mul_f32_e32 v2, v150, v208
	s_waitcnt vmcnt(26) lgkmcnt(1)
	v_mul_f32_e32 v166, v157, v216
	v_fma_f32 v2, v149, v207, -v2
	v_fmac_f32_e32 v166, v158, v215
	v_add_f32_e32 v1, v1, v2
	v_mul_f32_e32 v2, v152, v210
	v_add_f32_e32 v165, v165, v166
	s_waitcnt vmcnt(24)
	v_mul_f32_e32 v166, v159, v218
	v_fma_f32 v2, v151, v209, -v2
	v_fmac_f32_e32 v166, v160, v217
	v_add_f32_e32 v1, v1, v2
	v_mul_f32_e32 v2, v154, v212
	v_add_f32_e32 v165, v165, v166
	s_waitcnt vmcnt(22) lgkmcnt(0)
	v_mul_f32_e32 v166, v161, v220
	v_fma_f32 v2, v153, v211, -v2
	v_fmac_f32_e32 v166, v162, v219
	v_add_f32_e32 v1, v1, v2
	v_mul_f32_e32 v2, v156, v214
	v_add_f32_e32 v169, v165, v166
	ds_read2_b64 v[165:168], v116 offset0:105 offset1:106
	v_fma_f32 v2, v155, v213, -v2
	v_add_f32_e32 v1, v1, v2
	v_mul_f32_e32 v2, v158, v216
	s_waitcnt vmcnt(20)
	v_mul_f32_e32 v170, v163, v222
	v_fma_f32 v2, v157, v215, -v2
	v_fmac_f32_e32 v170, v164, v221
	v_add_f32_e32 v1, v1, v2
	v_mul_f32_e32 v2, v160, v218
	v_add_f32_e32 v173, v169, v170
	ds_read2_b64 v[169:172], v116 offset0:107 offset1:108
	v_fma_f32 v2, v159, v217, -v2
	s_waitcnt vmcnt(18) lgkmcnt(1)
	v_mul_f32_e32 v174, v165, v224
	v_add_f32_e32 v1, v1, v2
	v_mul_f32_e32 v2, v162, v220
	v_fmac_f32_e32 v174, v166, v223
	v_fma_f32 v2, v161, v219, -v2
	v_add_f32_e32 v173, v173, v174
	s_waitcnt vmcnt(16)
	v_mul_f32_e32 v174, v167, v226
	v_add_f32_e32 v1, v1, v2
	v_mul_f32_e32 v2, v164, v222
	v_fmac_f32_e32 v174, v168, v225
	v_fma_f32 v2, v163, v221, -v2
	v_add_f32_e32 v173, v173, v174
	s_waitcnt vmcnt(14) lgkmcnt(0)
	v_mul_f32_e32 v174, v169, v228
	v_add_f32_e32 v1, v1, v2
	v_mul_f32_e32 v2, v166, v224
	v_fmac_f32_e32 v174, v170, v227
	v_fma_f32 v2, v165, v223, -v2
	v_add_f32_e32 v177, v173, v174
	ds_read2_b64 v[173:176], v116 offset0:109 offset1:110
	v_add_f32_e32 v1, v1, v2
	v_mul_f32_e32 v2, v168, v226
	v_fma_f32 v2, v167, v225, -v2
	v_add_f32_e32 v1, v1, v2
	v_mul_f32_e32 v2, v170, v228
	s_waitcnt vmcnt(12)
	v_mul_f32_e32 v178, v171, v230
	v_fma_f32 v2, v169, v227, -v2
	v_fmac_f32_e32 v178, v172, v229
	v_add_f32_e32 v1, v1, v2
	v_mul_f32_e32 v2, v172, v230
	v_add_f32_e32 v181, v177, v178
	ds_read2_b64 v[177:180], v116 offset0:111 offset1:112
	s_waitcnt vmcnt(10) lgkmcnt(1)
	v_mul_f32_e32 v182, v173, v232
	v_fma_f32 v2, v171, v229, -v2
	v_fmac_f32_e32 v182, v174, v231
	v_add_f32_e32 v1, v1, v2
	v_mul_f32_e32 v2, v174, v232
	v_add_f32_e32 v181, v181, v182
	s_waitcnt vmcnt(9)
	v_mul_f32_e32 v182, v175, v233
	v_fma_f32 v2, v173, v231, -v2
	s_waitcnt vmcnt(6)
	v_fmac_f32_e32 v182, v176, v236
	v_add_f32_e32 v1, v1, v2
	v_mul_f32_e32 v2, v176, v233
	v_add_f32_e32 v243, v181, v182
	ds_read2_b64 v[181:184], v116 offset0:113 offset1:114
	v_fma_f32 v2, v175, v236, -v2
	v_add_f32_e32 v1, v1, v2
	s_waitcnt lgkmcnt(1)
	v_mul_f32_e32 v2, v178, v235
	v_mul_f32_e32 v244, v177, v235
	v_fma_f32 v2, v177, v234, -v2
	v_fmac_f32_e32 v244, v178, v234
	v_add_f32_e32 v1, v1, v2
	s_waitcnt vmcnt(4)
	v_mul_f32_e32 v2, v180, v238
	v_add_f32_e32 v116, v243, v244
	v_mul_f32_e32 v243, v179, v238
	v_fma_f32 v2, v179, v237, -v2
	v_fmac_f32_e32 v243, v180, v237
	v_add_f32_e32 v1, v1, v2
	s_waitcnt vmcnt(3) lgkmcnt(0)
	v_mul_f32_e32 v2, v182, v239
	v_add_f32_e32 v116, v116, v243
	v_mul_f32_e32 v243, v181, v239
	s_waitcnt vmcnt(0)
	v_fma_f32 v2, v181, v242, -v2
	v_fmac_f32_e32 v243, v182, v242
	v_add_f32_e32 v1, v1, v2
	v_mul_f32_e32 v2, v184, v241
	v_add_f32_e32 v116, v116, v243
	v_mul_f32_e32 v243, v183, v241
	v_fma_f32 v2, v183, v240, -v2
	v_fmac_f32_e32 v243, v184, v240
	v_add_f32_e32 v1, v1, v2
	v_add_f32_e32 v116, v116, v243
	v_sub_f32_e32 v1, v195, v1
	v_sub_f32_e32 v2, v196, v116
	buffer_store_dword v1, off, s[0:3], 0 offset:176
	buffer_store_dword v2, off, s[0:3], 0 offset:180
	s_and_saveexec_b64 s[4:5], vcc
	s_cbranch_execz .LBB56_313
; %bb.312:
	buffer_load_dword v1, off, s[0:3], 0 offset:168
	buffer_load_dword v2, off, s[0:3], 0 offset:172
	v_mov_b32_e32 v3, 0
	buffer_store_dword v3, off, s[0:3], 0 offset:168
	buffer_store_dword v3, off, s[0:3], 0 offset:172
	s_waitcnt vmcnt(2)
	ds_write_b64 v115, v[1:2]
.LBB56_313:
	s_or_b64 exec, exec, s[4:5]
	s_waitcnt lgkmcnt(0)
	; wave barrier
	buffer_load_dword v3, off, s[0:3], 0 offset:180
	buffer_load_dword v4, off, s[0:3], 0 offset:188
	;; [unrolled: 1-line block ×56, first 2 shown]
	v_mov_b32_e32 v116, 0
	ds_read_b128 v[117:120], v116 offset:640
	ds_read_b128 v[121:124], v116 offset:656
	;; [unrolled: 1-line block ×6, first 2 shown]
	buffer_load_dword v231, off, s[0:3], 0 offset:392
	buffer_load_dword v232, off, s[0:3], 0 offset:396
	;; [unrolled: 1-line block ×16, first 2 shown]
	ds_read_b128 v[149:152], v116 offset:768
	ds_read_b128 v[153:156], v116 offset:784
	;; [unrolled: 1-line block ×9, first 2 shown]
	v_cmp_lt_u32_e32 vcc, 20, v0
	s_waitcnt vmcnt(62) lgkmcnt(14)
	v_mul_f32_e32 v1, v117, v3
	v_mul_f32_e32 v3, v118, v3
	;; [unrolled: 1-line block ×4, first 2 shown]
	s_waitcnt lgkmcnt(13)
	v_mul_f32_e32 v141, v121, v5
	v_mul_f32_e32 v142, v123, v6
	s_waitcnt lgkmcnt(12)
	v_mul_f32_e32 v143, v125, v7
	v_mul_f32_e32 v144, v127, v8
	s_waitcnt lgkmcnt(11)
	v_mul_f32_e32 v145, v129, v9
	v_fmac_f32_e32 v141, v122, v12
	s_waitcnt vmcnt(61)
	v_fma_f32 v4, v119, v185, -v4
	s_waitcnt vmcnt(60)
	v_fma_f32 v3, v117, v186, -v3
	v_add_f32_e32 v3, 0, v3
	v_add_f32_e32 v3, v3, v4
	v_mul_f32_e32 v4, v122, v5
	v_fma_f32 v4, v121, v12, -v4
	v_add_f32_e32 v3, v3, v4
	v_mul_f32_e32 v4, v124, v6
	v_fmac_f32_e32 v1, v118, v186
	s_waitcnt vmcnt(56)
	v_fma_f32 v4, v123, v190, -v4
	v_fmac_f32_e32 v2, v120, v185
	v_add_f32_e32 v1, 0, v1
	v_add_f32_e32 v3, v3, v4
	v_mul_f32_e32 v4, v126, v7
	v_add_f32_e32 v1, v1, v2
	v_fma_f32 v4, v125, v189, -v4
	v_fmac_f32_e32 v142, v124, v190
	v_add_f32_e32 v1, v1, v141
	v_add_f32_e32 v3, v3, v4
	v_mul_f32_e32 v4, v128, v8
	v_fmac_f32_e32 v143, v126, v189
	v_add_f32_e32 v1, v1, v142
	v_fma_f32 v4, v127, v188, -v4
	v_fmac_f32_e32 v144, v128, v188
	v_add_f32_e32 v1, v1, v143
	v_add_f32_e32 v3, v3, v4
	v_mul_f32_e32 v4, v130, v9
	v_mul_f32_e32 v146, v131, v10
	v_fmac_f32_e32 v145, v130, v187
	v_add_f32_e32 v1, v1, v144
	v_fma_f32 v4, v129, v187, -v4
	s_waitcnt lgkmcnt(10)
	v_mul_f32_e32 v147, v133, v11
	s_waitcnt vmcnt(52)
	v_fmac_f32_e32 v146, v132, v194
	v_add_f32_e32 v1, v1, v145
	v_add_f32_e32 v3, v3, v4
	v_mul_f32_e32 v4, v132, v10
	v_add_f32_e32 v1, v1, v146
	v_fmac_f32_e32 v147, v134, v193
	s_waitcnt vmcnt(51)
	v_mul_f32_e32 v2, v135, v195
	v_fma_f32 v4, v131, v194, -v4
	v_add_f32_e32 v1, v1, v147
	v_fmac_f32_e32 v2, v136, v192
	ds_read_b128 v[141:144], v116 offset:736
	ds_read_b128 v[145:148], v116 offset:752
	v_add_f32_e32 v3, v3, v4
	v_mul_f32_e32 v4, v134, v11
	v_add_f32_e32 v1, v1, v2
	s_waitcnt vmcnt(50) lgkmcnt(11)
	v_mul_f32_e32 v2, v137, v196
	v_fma_f32 v4, v133, v193, -v4
	v_fmac_f32_e32 v2, v138, v191
	v_add_f32_e32 v3, v3, v4
	v_mul_f32_e32 v4, v136, v195
	v_add_f32_e32 v1, v1, v2
	s_waitcnt vmcnt(46)
	v_mul_f32_e32 v2, v139, v200
	v_fma_f32 v4, v135, v192, -v4
	v_fmac_f32_e32 v2, v140, v199
	v_add_f32_e32 v3, v3, v4
	v_mul_f32_e32 v4, v138, v196
	v_add_f32_e32 v1, v1, v2
	s_waitcnt vmcnt(44) lgkmcnt(1)
	v_mul_f32_e32 v2, v141, v202
	v_fma_f32 v4, v137, v191, -v4
	v_fmac_f32_e32 v2, v142, v201
	v_add_f32_e32 v3, v3, v4
	v_mul_f32_e32 v4, v140, v200
	v_add_f32_e32 v1, v1, v2
	s_waitcnt vmcnt(42)
	v_mul_f32_e32 v2, v143, v204
	v_fma_f32 v4, v139, v199, -v4
	v_fmac_f32_e32 v2, v144, v203
	;; [unrolled: 14-line block ×3, first 2 shown]
	v_add_f32_e32 v3, v3, v4
	v_mul_f32_e32 v4, v146, v206
	v_add_f32_e32 v1, v1, v2
	s_waitcnt vmcnt(36)
	v_mul_f32_e32 v2, v149, v210
	v_fma_f32 v4, v145, v205, -v4
	v_fmac_f32_e32 v2, v150, v209
	v_add_f32_e32 v3, v3, v4
	v_mul_f32_e32 v4, v148, v208
	v_add_f32_e32 v1, v1, v2
	s_waitcnt vmcnt(34)
	v_mul_f32_e32 v2, v151, v212
	v_fma_f32 v4, v147, v207, -v4
	v_fmac_f32_e32 v2, v152, v211
	;; [unrolled: 7-line block ×13, first 2 shown]
	v_add_f32_e32 v3, v3, v4
	v_mul_f32_e32 v4, v172, v232
	v_add_f32_e32 v1, v1, v2
	s_waitcnt vmcnt(11)
	v_mul_f32_e32 v2, v175, v235
	v_fma_f32 v4, v171, v231, -v4
	s_waitcnt vmcnt(8)
	v_fmac_f32_e32 v2, v176, v238
	v_add_f32_e32 v3, v3, v4
	v_mul_f32_e32 v4, v174, v234
	v_add_f32_e32 v1, v1, v2
	v_mul_f32_e32 v2, v177, v237
	v_fma_f32 v4, v173, v233, -v4
	v_fmac_f32_e32 v2, v178, v236
	v_add_f32_e32 v3, v3, v4
	v_mul_f32_e32 v4, v176, v235
	v_add_f32_e32 v1, v1, v2
	s_waitcnt vmcnt(6)
	v_mul_f32_e32 v2, v179, v240
	v_fma_f32 v4, v175, v238, -v4
	v_fmac_f32_e32 v2, v180, v239
	v_add_f32_e32 v3, v3, v4
	v_mul_f32_e32 v4, v178, v237
	v_add_f32_e32 v247, v1, v2
	ds_read_b64 v[1:2], v116 offset:912
	v_fma_f32 v4, v177, v236, -v4
	s_waitcnt vmcnt(4)
	v_mul_f32_e32 v248, v181, v242
	v_add_f32_e32 v3, v3, v4
	v_mul_f32_e32 v4, v180, v240
	v_fmac_f32_e32 v248, v182, v241
	v_fma_f32 v4, v179, v239, -v4
	v_add_f32_e32 v247, v247, v248
	s_waitcnt vmcnt(3)
	v_mul_f32_e32 v248, v183, v243
	v_add_f32_e32 v3, v3, v4
	v_mul_f32_e32 v4, v182, v242
	s_waitcnt vmcnt(0)
	v_fmac_f32_e32 v248, v184, v246
	v_fma_f32 v4, v181, v241, -v4
	v_add_f32_e32 v247, v247, v248
	s_waitcnt lgkmcnt(0)
	v_mul_f32_e32 v248, v1, v245
	v_add_f32_e32 v3, v3, v4
	v_mul_f32_e32 v4, v184, v243
	v_fmac_f32_e32 v248, v2, v244
	v_fma_f32 v4, v183, v246, -v4
	v_mul_f32_e32 v2, v2, v245
	v_add_f32_e32 v3, v3, v4
	v_fma_f32 v1, v1, v244, -v2
	v_add_f32_e32 v1, v3, v1
	v_add_f32_e32 v247, v247, v248
	v_sub_f32_e32 v1, v197, v1
	v_sub_f32_e32 v2, v198, v247
	buffer_store_dword v1, off, s[0:3], 0 offset:168
	buffer_store_dword v2, off, s[0:3], 0 offset:172
	s_and_saveexec_b64 s[4:5], vcc
	s_cbranch_execz .LBB56_315
; %bb.314:
	buffer_load_dword v1, off, s[0:3], 0 offset:160
	buffer_load_dword v2, off, s[0:3], 0 offset:164
	s_waitcnt vmcnt(0)
	ds_write_b64 v115, v[1:2]
	buffer_store_dword v116, off, s[0:3], 0 offset:160
	buffer_store_dword v116, off, s[0:3], 0 offset:164
.LBB56_315:
	s_or_b64 exec, exec, s[4:5]
	s_waitcnt lgkmcnt(0)
	; wave barrier
	buffer_load_dword v1, off, s[0:3], 0 offset:172
	buffer_load_dword v2, off, s[0:3], 0 offset:180
	;; [unrolled: 1-line block ×26, first 2 shown]
	ds_read2_b64 v[117:120], v116 offset0:79 offset1:80
	ds_read2_b64 v[121:124], v116 offset0:81 offset1:82
	;; [unrolled: 1-line block ×6, first 2 shown]
	buffer_load_dword v203, off, s[0:3], 0 offset:264
	buffer_load_dword v204, off, s[0:3], 0 offset:268
	;; [unrolled: 1-line block ×46, first 2 shown]
	v_cmp_lt_u32_e32 vcc, 19, v0
	s_waitcnt vmcnt(62) lgkmcnt(5)
	v_mul_f32_e32 v141, v117, v1
	v_mul_f32_e32 v142, v119, v2
	s_waitcnt lgkmcnt(4)
	v_mul_f32_e32 v143, v121, v3
	v_mul_f32_e32 v144, v123, v4
	s_waitcnt lgkmcnt(3)
	v_mul_f32_e32 v145, v125, v5
	v_mul_f32_e32 v146, v127, v6
	s_waitcnt lgkmcnt(2)
	v_mul_f32_e32 v147, v129, v7
	v_mul_f32_e32 v148, v131, v8
	s_waitcnt lgkmcnt(1)
	v_mul_f32_e32 v149, v133, v9
	v_fmac_f32_e32 v143, v122, v10
	s_waitcnt vmcnt(61)
	v_fmac_f32_e32 v142, v120, v11
	s_waitcnt vmcnt(60)
	v_fmac_f32_e32 v141, v118, v12
	v_add_f32_e32 v141, 0, v141
	v_add_f32_e32 v141, v141, v142
	;; [unrolled: 1-line block ×3, first 2 shown]
	s_waitcnt vmcnt(56)
	v_fmac_f32_e32 v144, v124, v192
	v_fmac_f32_e32 v145, v126, v191
	v_add_f32_e32 v141, v141, v144
	v_fmac_f32_e32 v146, v128, v190
	v_add_f32_e32 v141, v141, v145
	;; [unrolled: 2-line block ×3, first 2 shown]
	s_waitcnt vmcnt(52)
	v_fmac_f32_e32 v148, v132, v196
	v_add_f32_e32 v141, v141, v147
	v_fmac_f32_e32 v149, v134, v195
	v_add_f32_e32 v141, v141, v148
	s_waitcnt vmcnt(51)
	v_mul_f32_e32 v142, v135, v197
	v_add_f32_e32 v141, v141, v149
	v_fmac_f32_e32 v142, v136, v194
	v_add_f32_e32 v141, v141, v142
	s_waitcnt vmcnt(50) lgkmcnt(0)
	v_mul_f32_e32 v142, v137, v198
	v_fmac_f32_e32 v142, v138, v193
	s_waitcnt vmcnt(46)
	v_mul_f32_e32 v146, v139, v202
	v_add_f32_e32 v145, v141, v142
	v_fmac_f32_e32 v146, v140, v201
	ds_read2_b64 v[141:144], v116 offset0:91 offset1:92
	v_add_f32_e32 v149, v145, v146
	ds_read2_b64 v[145:148], v116 offset0:93 offset1:94
	buffer_load_dword v249, off, s[0:3], 0 offset:448
	buffer_load_dword v250, off, s[0:3], 0 offset:452
	v_mul_f32_e32 v1, v118, v1
	v_fma_f32 v1, v117, v12, -v1
	v_mul_f32_e32 v2, v120, v2
	v_add_f32_e32 v1, 0, v1
	v_fma_f32 v2, v119, v11, -v2
	v_add_f32_e32 v1, v1, v2
	v_mul_f32_e32 v2, v122, v3
	v_fma_f32 v2, v121, v10, -v2
	v_add_f32_e32 v1, v1, v2
	v_mul_f32_e32 v2, v124, v4
	;; [unrolled: 3-line block ×3, first 2 shown]
	s_waitcnt vmcnt(46) lgkmcnt(1)
	v_mul_f32_e32 v150, v141, v204
	v_fma_f32 v2, v125, v191, -v2
	v_fmac_f32_e32 v150, v142, v203
	v_add_f32_e32 v1, v1, v2
	v_mul_f32_e32 v2, v128, v6
	v_add_f32_e32 v149, v149, v150
	s_waitcnt vmcnt(44)
	v_mul_f32_e32 v150, v143, v206
	v_fma_f32 v2, v127, v190, -v2
	v_fmac_f32_e32 v150, v144, v205
	v_add_f32_e32 v1, v1, v2
	v_mul_f32_e32 v2, v130, v7
	v_add_f32_e32 v149, v149, v150
	s_waitcnt vmcnt(42) lgkmcnt(0)
	v_mul_f32_e32 v150, v145, v208
	v_fma_f32 v2, v129, v189, -v2
	v_fmac_f32_e32 v150, v146, v207
	v_add_f32_e32 v1, v1, v2
	v_mul_f32_e32 v2, v132, v8
	v_add_f32_e32 v153, v149, v150
	ds_read2_b64 v[149:152], v116 offset0:95 offset1:96
	v_fma_f32 v2, v131, v196, -v2
	v_add_f32_e32 v1, v1, v2
	v_mul_f32_e32 v2, v134, v9
	s_waitcnt vmcnt(40)
	v_mul_f32_e32 v154, v147, v210
	v_fma_f32 v2, v133, v195, -v2
	v_fmac_f32_e32 v154, v148, v209
	v_add_f32_e32 v1, v1, v2
	v_mul_f32_e32 v2, v136, v197
	v_add_f32_e32 v157, v153, v154
	ds_read2_b64 v[153:156], v116 offset0:97 offset1:98
	v_fma_f32 v2, v135, v194, -v2
	s_waitcnt vmcnt(38) lgkmcnt(1)
	v_mul_f32_e32 v158, v149, v212
	v_add_f32_e32 v1, v1, v2
	v_mul_f32_e32 v2, v138, v198
	v_fmac_f32_e32 v158, v150, v211
	v_fma_f32 v2, v137, v193, -v2
	v_add_f32_e32 v157, v157, v158
	s_waitcnt vmcnt(36)
	v_mul_f32_e32 v158, v151, v214
	v_add_f32_e32 v1, v1, v2
	v_mul_f32_e32 v2, v140, v202
	v_fmac_f32_e32 v158, v152, v213
	v_fma_f32 v2, v139, v201, -v2
	v_add_f32_e32 v157, v157, v158
	s_waitcnt vmcnt(34) lgkmcnt(0)
	v_mul_f32_e32 v158, v153, v216
	v_add_f32_e32 v1, v1, v2
	v_mul_f32_e32 v2, v142, v204
	v_fmac_f32_e32 v158, v154, v215
	v_fma_f32 v2, v141, v203, -v2
	v_add_f32_e32 v161, v157, v158
	ds_read2_b64 v[157:160], v116 offset0:99 offset1:100
	v_add_f32_e32 v1, v1, v2
	v_mul_f32_e32 v2, v144, v206
	v_fma_f32 v2, v143, v205, -v2
	s_waitcnt vmcnt(32)
	v_mul_f32_e32 v162, v155, v218
	v_add_f32_e32 v1, v1, v2
	v_mul_f32_e32 v2, v146, v208
	v_fmac_f32_e32 v162, v156, v217
	v_fma_f32 v2, v145, v207, -v2
	v_add_f32_e32 v165, v161, v162
	ds_read2_b64 v[161:164], v116 offset0:101 offset1:102
	v_add_f32_e32 v1, v1, v2
	v_mul_f32_e32 v2, v148, v210
	s_waitcnt vmcnt(30) lgkmcnt(1)
	v_mul_f32_e32 v166, v157, v220
	v_fma_f32 v2, v147, v209, -v2
	v_fmac_f32_e32 v166, v158, v219
	v_add_f32_e32 v1, v1, v2
	v_mul_f32_e32 v2, v150, v212
	v_add_f32_e32 v165, v165, v166
	s_waitcnt vmcnt(28)
	v_mul_f32_e32 v166, v159, v222
	v_fma_f32 v2, v149, v211, -v2
	v_fmac_f32_e32 v166, v160, v221
	v_add_f32_e32 v1, v1, v2
	v_mul_f32_e32 v2, v152, v214
	v_add_f32_e32 v165, v165, v166
	s_waitcnt vmcnt(26) lgkmcnt(0)
	v_mul_f32_e32 v166, v161, v224
	v_fma_f32 v2, v151, v213, -v2
	v_fmac_f32_e32 v166, v162, v223
	v_add_f32_e32 v1, v1, v2
	v_mul_f32_e32 v2, v154, v216
	v_add_f32_e32 v169, v165, v166
	ds_read2_b64 v[165:168], v116 offset0:103 offset1:104
	v_fma_f32 v2, v153, v215, -v2
	v_add_f32_e32 v1, v1, v2
	v_mul_f32_e32 v2, v156, v218
	s_waitcnt vmcnt(24)
	v_mul_f32_e32 v170, v163, v226
	v_fma_f32 v2, v155, v217, -v2
	v_fmac_f32_e32 v170, v164, v225
	v_add_f32_e32 v1, v1, v2
	v_mul_f32_e32 v2, v158, v220
	v_add_f32_e32 v173, v169, v170
	ds_read2_b64 v[169:172], v116 offset0:105 offset1:106
	v_fma_f32 v2, v157, v219, -v2
	s_waitcnt vmcnt(22) lgkmcnt(1)
	v_mul_f32_e32 v174, v165, v228
	v_add_f32_e32 v1, v1, v2
	v_mul_f32_e32 v2, v160, v222
	v_fmac_f32_e32 v174, v166, v227
	v_fma_f32 v2, v159, v221, -v2
	v_add_f32_e32 v173, v173, v174
	s_waitcnt vmcnt(20)
	v_mul_f32_e32 v174, v167, v230
	v_add_f32_e32 v1, v1, v2
	v_mul_f32_e32 v2, v162, v224
	v_fmac_f32_e32 v174, v168, v229
	v_fma_f32 v2, v161, v223, -v2
	v_add_f32_e32 v173, v173, v174
	s_waitcnt vmcnt(18) lgkmcnt(0)
	v_mul_f32_e32 v174, v169, v232
	v_add_f32_e32 v1, v1, v2
	v_mul_f32_e32 v2, v164, v226
	v_fmac_f32_e32 v174, v170, v231
	v_fma_f32 v2, v163, v225, -v2
	v_add_f32_e32 v177, v173, v174
	ds_read2_b64 v[173:176], v116 offset0:107 offset1:108
	v_add_f32_e32 v1, v1, v2
	v_mul_f32_e32 v2, v166, v228
	v_fma_f32 v2, v165, v227, -v2
	s_waitcnt vmcnt(16)
	v_mul_f32_e32 v178, v171, v234
	v_add_f32_e32 v1, v1, v2
	v_mul_f32_e32 v2, v168, v230
	v_fmac_f32_e32 v178, v172, v233
	v_fma_f32 v2, v167, v229, -v2
	v_add_f32_e32 v181, v177, v178
	ds_read2_b64 v[177:180], v116 offset0:109 offset1:110
	v_add_f32_e32 v1, v1, v2
	v_mul_f32_e32 v2, v170, v232
	s_waitcnt vmcnt(14) lgkmcnt(1)
	v_mul_f32_e32 v182, v173, v236
	v_fma_f32 v2, v169, v231, -v2
	v_fmac_f32_e32 v182, v174, v235
	v_add_f32_e32 v1, v1, v2
	v_mul_f32_e32 v2, v172, v234
	v_add_f32_e32 v181, v181, v182
	s_waitcnt vmcnt(13)
	v_mul_f32_e32 v182, v175, v237
	v_fma_f32 v2, v171, v233, -v2
	s_waitcnt vmcnt(10)
	v_fmac_f32_e32 v182, v176, v240
	v_add_f32_e32 v1, v1, v2
	v_mul_f32_e32 v2, v174, v236
	v_add_f32_e32 v181, v181, v182
	s_waitcnt lgkmcnt(0)
	v_mul_f32_e32 v182, v177, v239
	v_fma_f32 v2, v173, v235, -v2
	v_fmac_f32_e32 v182, v178, v238
	v_add_f32_e32 v1, v1, v2
	v_mul_f32_e32 v2, v176, v237
	v_add_f32_e32 v185, v181, v182
	ds_read2_b64 v[181:184], v116 offset0:111 offset1:112
	v_fma_f32 v2, v175, v240, -v2
	v_add_f32_e32 v1, v1, v2
	v_mul_f32_e32 v2, v178, v239
	s_waitcnt vmcnt(8)
	v_mul_f32_e32 v186, v179, v242
	v_fma_f32 v2, v177, v238, -v2
	v_fmac_f32_e32 v186, v180, v241
	v_add_f32_e32 v1, v1, v2
	v_mul_f32_e32 v2, v180, v242
	v_add_f32_e32 v251, v185, v186
	ds_read2_b64 v[185:188], v116 offset0:113 offset1:114
	v_fma_f32 v2, v179, v241, -v2
	v_add_f32_e32 v1, v1, v2
	s_waitcnt vmcnt(6) lgkmcnt(1)
	v_mul_f32_e32 v2, v182, v244
	v_mul_f32_e32 v116, v181, v244
	v_fma_f32 v2, v181, v243, -v2
	v_fmac_f32_e32 v116, v182, v243
	v_add_f32_e32 v1, v1, v2
	s_waitcnt vmcnt(5)
	v_mul_f32_e32 v2, v184, v245
	v_add_f32_e32 v116, v251, v116
	v_mul_f32_e32 v251, v183, v245
	s_waitcnt vmcnt(2)
	v_fma_f32 v2, v183, v248, -v2
	v_fmac_f32_e32 v251, v184, v248
	v_add_f32_e32 v1, v1, v2
	s_waitcnt lgkmcnt(0)
	v_mul_f32_e32 v2, v186, v247
	v_add_f32_e32 v116, v116, v251
	v_mul_f32_e32 v251, v185, v247
	v_fma_f32 v2, v185, v246, -v2
	v_fmac_f32_e32 v251, v186, v246
	v_add_f32_e32 v1, v1, v2
	s_waitcnt vmcnt(0)
	v_mul_f32_e32 v2, v188, v250
	v_add_f32_e32 v116, v116, v251
	v_mul_f32_e32 v251, v187, v250
	v_fma_f32 v2, v187, v249, -v2
	v_fmac_f32_e32 v251, v188, v249
	v_add_f32_e32 v1, v1, v2
	v_add_f32_e32 v116, v116, v251
	v_sub_f32_e32 v1, v199, v1
	v_sub_f32_e32 v2, v200, v116
	buffer_store_dword v1, off, s[0:3], 0 offset:160
	buffer_store_dword v2, off, s[0:3], 0 offset:164
	s_and_saveexec_b64 s[4:5], vcc
	s_cbranch_execz .LBB56_317
; %bb.316:
	buffer_load_dword v1, off, s[0:3], 0 offset:152
	buffer_load_dword v2, off, s[0:3], 0 offset:156
	v_mov_b32_e32 v3, 0
	buffer_store_dword v3, off, s[0:3], 0 offset:152
	buffer_store_dword v3, off, s[0:3], 0 offset:156
	s_waitcnt vmcnt(2)
	ds_write_b64 v115, v[1:2]
.LBB56_317:
	s_or_b64 exec, exec, s[4:5]
	s_waitcnt lgkmcnt(0)
	; wave barrier
	buffer_load_dword v3, off, s[0:3], 0 offset:164
	buffer_load_dword v4, off, s[0:3], 0 offset:172
	;; [unrolled: 1-line block ×50, first 2 shown]
	v_mov_b32_e32 v116, 0
	ds_read_b128 v[117:120], v116 offset:624
	ds_read_b128 v[121:124], v116 offset:640
	;; [unrolled: 1-line block ×6, first 2 shown]
	buffer_load_dword v229, off, s[0:3], 0 offset:352
	buffer_load_dword v230, off, s[0:3], 0 offset:356
	buffer_load_dword v231, off, s[0:3], 0 offset:364
	buffer_load_dword v232, off, s[0:3], 0 offset:368
	buffer_load_dword v233, off, s[0:3], 0 offset:372
	buffer_load_dword v234, off, s[0:3], 0 offset:360
	buffer_load_dword v235, off, s[0:3], 0 offset:376
	buffer_load_dword v236, off, s[0:3], 0 offset:380
	buffer_load_dword v237, off, s[0:3], 0 offset:384
	buffer_load_dword v238, off, s[0:3], 0 offset:388
	buffer_load_dword v239, off, s[0:3], 0 offset:396
	buffer_load_dword v240, off, s[0:3], 0 offset:400
	buffer_load_dword v241, off, s[0:3], 0 offset:404
	buffer_load_dword v242, off, s[0:3], 0 offset:392
	buffer_load_dword v243, off, s[0:3], 0 offset:408
	buffer_load_dword v244, off, s[0:3], 0 offset:412
	v_cmp_lt_u32_e32 vcc, 18, v0
	s_waitcnt vmcnt(62) lgkmcnt(5)
	v_mul_f32_e32 v1, v117, v3
	v_mul_f32_e32 v2, v119, v4
	s_waitcnt lgkmcnt(4)
	v_mul_f32_e32 v141, v121, v5
	v_mul_f32_e32 v142, v123, v6
	s_waitcnt vmcnt(61) lgkmcnt(3)
	v_mul_f32_e32 v143, v125, v7
	s_waitcnt vmcnt(60)
	v_mul_f32_e32 v144, v127, v8
	s_waitcnt vmcnt(59) lgkmcnt(2)
	v_mul_f32_e32 v145, v129, v9
	s_waitcnt vmcnt(58)
	;; [unrolled: 4-line block ×3, first 2 shown]
	v_fmac_f32_e32 v141, v122, v12
	s_waitcnt vmcnt(55)
	v_fmac_f32_e32 v2, v120, v189
	s_waitcnt vmcnt(54)
	v_fmac_f32_e32 v1, v118, v190
	v_add_f32_e32 v1, 0, v1
	v_add_f32_e32 v1, v1, v2
	;; [unrolled: 1-line block ×3, first 2 shown]
	s_waitcnt vmcnt(50)
	v_fmac_f32_e32 v142, v124, v194
	v_fmac_f32_e32 v143, v126, v193
	v_add_f32_e32 v1, v1, v142
	v_fmac_f32_e32 v144, v128, v192
	v_add_f32_e32 v1, v1, v143
	v_add_f32_e32 v1, v1, v144
	ds_read_b128 v[141:144], v116 offset:720
	buffer_load_dword v245, off, s[0:3], 0 offset:416
	buffer_load_dword v246, off, s[0:3], 0 offset:420
	;; [unrolled: 1-line block ×6, first 2 shown]
	v_fmac_f32_e32 v145, v130, v191
	s_waitcnt vmcnt(52)
	v_fmac_f32_e32 v146, v132, v198
	v_add_f32_e32 v1, v1, v145
	v_fmac_f32_e32 v147, v134, v197
	v_add_f32_e32 v1, v1, v146
	v_add_f32_e32 v1, v1, v147
	ds_read_b128 v[145:148], v116 offset:736
	buffer_load_dword v251, off, s[0:3], 0 offset:444
	buffer_load_dword v252, off, s[0:3], 0 offset:448
	;; [unrolled: 1-line block ×4, first 2 shown]
	v_mul_f32_e32 v3, v118, v3
	v_fma_f32 v3, v117, v190, -v3
	v_mul_f32_e32 v4, v120, v4
	v_add_f32_e32 v3, 0, v3
	v_fma_f32 v4, v119, v189, -v4
	v_add_f32_e32 v3, v3, v4
	v_mul_f32_e32 v4, v122, v5
	v_fma_f32 v4, v121, v12, -v4
	v_add_f32_e32 v3, v3, v4
	v_mul_f32_e32 v4, v124, v6
	v_fma_f32 v4, v123, v194, -v4
	v_add_f32_e32 v3, v3, v4
	v_mul_f32_e32 v4, v126, v7
	v_fma_f32 v4, v125, v193, -v4
	v_add_f32_e32 v3, v3, v4
	v_mul_f32_e32 v4, v128, v8
	v_fma_f32 v4, v127, v192, -v4
	v_add_f32_e32 v3, v3, v4
	v_mul_f32_e32 v4, v130, v9
	v_fma_f32 v4, v129, v191, -v4
	v_add_f32_e32 v3, v3, v4
	v_mul_f32_e32 v4, v132, v10
	s_waitcnt vmcnt(55)
	v_mul_f32_e32 v2, v135, v199
	v_fma_f32 v4, v131, v198, -v4
	v_fmac_f32_e32 v2, v136, v196
	v_add_f32_e32 v3, v3, v4
	v_mul_f32_e32 v4, v134, v11
	v_add_f32_e32 v1, v1, v2
	s_waitcnt vmcnt(54) lgkmcnt(2)
	v_mul_f32_e32 v2, v137, v200
	v_fma_f32 v4, v133, v197, -v4
	v_fmac_f32_e32 v2, v138, v195
	v_add_f32_e32 v3, v3, v4
	v_mul_f32_e32 v4, v136, v199
	v_add_f32_e32 v1, v1, v2
	s_waitcnt vmcnt(53)
	v_mul_f32_e32 v2, v139, v201
	v_fma_f32 v4, v135, v196, -v4
	s_waitcnt vmcnt(46)
	v_fmac_f32_e32 v2, v140, v208
	v_add_f32_e32 v3, v3, v4
	v_mul_f32_e32 v4, v138, v200
	v_add_f32_e32 v1, v1, v2
	s_waitcnt lgkmcnt(1)
	v_mul_f32_e32 v2, v141, v203
	v_fma_f32 v4, v137, v195, -v4
	v_fmac_f32_e32 v2, v142, v202
	v_add_f32_e32 v3, v3, v4
	v_mul_f32_e32 v4, v140, v201
	v_add_f32_e32 v1, v1, v2
	v_mul_f32_e32 v2, v143, v205
	v_fma_f32 v4, v139, v208, -v4
	v_fmac_f32_e32 v2, v144, v204
	ds_read_b128 v[149:152], v116 offset:752
	ds_read_b128 v[153:156], v116 offset:768
	v_add_f32_e32 v3, v3, v4
	v_mul_f32_e32 v4, v142, v203
	v_add_f32_e32 v1, v1, v2
	s_waitcnt lgkmcnt(2)
	v_mul_f32_e32 v2, v145, v207
	v_fma_f32 v4, v141, v202, -v4
	v_fmac_f32_e32 v2, v146, v206
	v_add_f32_e32 v3, v3, v4
	v_mul_f32_e32 v4, v144, v205
	v_add_f32_e32 v1, v1, v2
	s_waitcnt vmcnt(42)
	v_mul_f32_e32 v2, v147, v212
	v_fma_f32 v4, v143, v204, -v4
	v_fmac_f32_e32 v2, v148, v211
	v_add_f32_e32 v3, v3, v4
	v_mul_f32_e32 v4, v146, v207
	v_add_f32_e32 v1, v1, v2
	s_waitcnt vmcnt(40) lgkmcnt(1)
	v_mul_f32_e32 v2, v149, v214
	v_fma_f32 v4, v145, v206, -v4
	v_fmac_f32_e32 v2, v150, v213
	v_add_f32_e32 v3, v3, v4
	v_mul_f32_e32 v4, v148, v212
	v_add_f32_e32 v1, v1, v2
	s_waitcnt vmcnt(38)
	v_mul_f32_e32 v2, v151, v216
	v_fma_f32 v4, v147, v211, -v4
	v_fmac_f32_e32 v2, v152, v215
	ds_read_b128 v[157:160], v116 offset:784
	ds_read_b128 v[161:164], v116 offset:800
	v_add_f32_e32 v3, v3, v4
	v_mul_f32_e32 v4, v150, v214
	v_add_f32_e32 v1, v1, v2
	s_waitcnt vmcnt(36) lgkmcnt(2)
	v_mul_f32_e32 v2, v153, v218
	v_fma_f32 v4, v149, v213, -v4
	v_fmac_f32_e32 v2, v154, v217
	v_add_f32_e32 v3, v3, v4
	v_mul_f32_e32 v4, v152, v216
	v_add_f32_e32 v1, v1, v2
	s_waitcnt vmcnt(34)
	v_mul_f32_e32 v2, v155, v220
	v_fma_f32 v4, v151, v215, -v4
	v_fmac_f32_e32 v2, v156, v219
	v_add_f32_e32 v3, v3, v4
	v_mul_f32_e32 v4, v154, v218
	v_add_f32_e32 v1, v1, v2
	s_waitcnt vmcnt(32) lgkmcnt(1)
	v_mul_f32_e32 v2, v157, v222
	v_fma_f32 v4, v153, v217, -v4
	v_fmac_f32_e32 v2, v158, v221
	v_add_f32_e32 v3, v3, v4
	v_mul_f32_e32 v4, v156, v220
	v_add_f32_e32 v1, v1, v2
	s_waitcnt vmcnt(30)
	v_mul_f32_e32 v2, v159, v224
	v_fma_f32 v4, v155, v219, -v4
	v_fmac_f32_e32 v2, v160, v223
	ds_read_b128 v[165:168], v116 offset:816
	ds_read_b128 v[169:172], v116 offset:832
	v_add_f32_e32 v3, v3, v4
	v_mul_f32_e32 v4, v158, v222
	v_add_f32_e32 v1, v1, v2
	s_waitcnt vmcnt(28) lgkmcnt(2)
	v_mul_f32_e32 v2, v161, v226
	v_fma_f32 v4, v157, v221, -v4
	v_fmac_f32_e32 v2, v162, v225
	v_add_f32_e32 v3, v3, v4
	v_mul_f32_e32 v4, v160, v224
	v_add_f32_e32 v1, v1, v2
	s_waitcnt vmcnt(26)
	v_mul_f32_e32 v2, v163, v228
	v_fma_f32 v4, v159, v223, -v4
	v_fmac_f32_e32 v2, v164, v227
	v_add_f32_e32 v3, v3, v4
	v_mul_f32_e32 v4, v162, v226
	v_add_f32_e32 v1, v1, v2
	s_waitcnt vmcnt(24) lgkmcnt(1)
	v_mul_f32_e32 v2, v165, v230
	v_fma_f32 v4, v161, v225, -v4
	v_fmac_f32_e32 v2, v166, v229
	v_add_f32_e32 v3, v3, v4
	v_mul_f32_e32 v4, v164, v228
	v_add_f32_e32 v1, v1, v2
	s_waitcnt vmcnt(23)
	v_mul_f32_e32 v2, v167, v231
	v_fma_f32 v4, v163, v227, -v4
	s_waitcnt vmcnt(20)
	v_fmac_f32_e32 v2, v168, v234
	ds_read_b128 v[173:176], v116 offset:848
	ds_read_b128 v[177:180], v116 offset:864
	v_add_f32_e32 v3, v3, v4
	v_mul_f32_e32 v4, v166, v230
	v_add_f32_e32 v1, v1, v2
	s_waitcnt lgkmcnt(2)
	v_mul_f32_e32 v2, v169, v233
	v_fma_f32 v4, v165, v229, -v4
	v_fmac_f32_e32 v2, v170, v232
	v_add_f32_e32 v3, v3, v4
	v_mul_f32_e32 v4, v168, v231
	v_add_f32_e32 v1, v1, v2
	s_waitcnt vmcnt(18)
	v_mul_f32_e32 v2, v171, v236
	v_fma_f32 v4, v167, v234, -v4
	v_fmac_f32_e32 v2, v172, v235
	v_add_f32_e32 v3, v3, v4
	v_mul_f32_e32 v4, v170, v233
	v_add_f32_e32 v1, v1, v2
	s_waitcnt vmcnt(16) lgkmcnt(1)
	v_mul_f32_e32 v2, v173, v238
	v_fma_f32 v4, v169, v232, -v4
	v_fmac_f32_e32 v2, v174, v237
	v_add_f32_e32 v3, v3, v4
	v_mul_f32_e32 v4, v172, v236
	v_add_f32_e32 v1, v1, v2
	s_waitcnt vmcnt(15)
	v_mul_f32_e32 v2, v175, v239
	v_fma_f32 v4, v171, v235, -v4
	s_waitcnt vmcnt(12)
	v_fmac_f32_e32 v2, v176, v242
	ds_read_b128 v[181:184], v116 offset:880
	ds_read_b128 v[185:188], v116 offset:896
	v_add_f32_e32 v3, v3, v4
	v_mul_f32_e32 v4, v174, v238
	v_add_f32_e32 v1, v1, v2
	s_waitcnt lgkmcnt(2)
	v_mul_f32_e32 v2, v177, v241
	v_fma_f32 v4, v173, v237, -v4
	v_fmac_f32_e32 v2, v178, v240
	v_add_f32_e32 v3, v3, v4
	v_mul_f32_e32 v4, v176, v239
	v_add_f32_e32 v1, v1, v2
	s_waitcnt vmcnt(10)
	v_mul_f32_e32 v2, v179, v244
	v_fma_f32 v4, v175, v242, -v4
	v_fmac_f32_e32 v2, v180, v243
	v_add_f32_e32 v3, v3, v4
	v_mul_f32_e32 v4, v178, v241
	v_add_f32_e32 v1, v1, v2
	s_waitcnt vmcnt(8) lgkmcnt(1)
	v_mul_f32_e32 v2, v181, v246
	v_fma_f32 v4, v177, v240, -v4
	v_fmac_f32_e32 v2, v182, v245
	v_add_f32_e32 v3, v3, v4
	v_mul_f32_e32 v4, v180, v244
	v_add_f32_e32 v1, v1, v2
	s_waitcnt vmcnt(7)
	v_mul_f32_e32 v2, v183, v247
	v_fma_f32 v4, v179, v243, -v4
	s_waitcnt vmcnt(4)
	v_fmac_f32_e32 v2, v184, v250
	v_add_f32_e32 v3, v3, v4
	v_mul_f32_e32 v4, v182, v246
	v_add_f32_e32 v255, v1, v2
	ds_read_b64 v[1:2], v116 offset:912
	v_fma_f32 v4, v181, v245, -v4
	v_add_f32_e32 v3, v3, v4
	v_mul_f32_e32 v4, v184, v247
	s_waitcnt lgkmcnt(1)
	v_mul_f32_e32 v13, v185, v249
	v_fma_f32 v4, v183, v250, -v4
	v_fmac_f32_e32 v13, v186, v248
	s_waitcnt vmcnt(3)
	v_mul_f32_e32 v14, v187, v251
	v_add_f32_e32 v3, v3, v4
	v_mul_f32_e32 v4, v186, v249
	v_add_f32_e32 v13, v255, v13
	s_waitcnt vmcnt(0)
	v_fmac_f32_e32 v14, v188, v254
	v_fma_f32 v4, v185, v248, -v4
	v_add_f32_e32 v13, v13, v14
	s_waitcnt lgkmcnt(0)
	v_mul_f32_e32 v14, v1, v253
	v_add_f32_e32 v3, v3, v4
	v_mul_f32_e32 v4, v188, v251
	v_fmac_f32_e32 v14, v2, v252
	v_fma_f32 v4, v187, v254, -v4
	v_mul_f32_e32 v2, v2, v253
	v_add_f32_e32 v3, v3, v4
	v_fma_f32 v1, v1, v252, -v2
	v_add_f32_e32 v1, v3, v1
	v_add_f32_e32 v13, v13, v14
	v_sub_f32_e32 v1, v209, v1
	v_sub_f32_e32 v2, v210, v13
	buffer_store_dword v1, off, s[0:3], 0 offset:152
	buffer_store_dword v2, off, s[0:3], 0 offset:156
	s_and_saveexec_b64 s[4:5], vcc
	s_cbranch_execz .LBB56_319
; %bb.318:
	buffer_load_dword v1, off, s[0:3], 0 offset:144
	buffer_load_dword v2, off, s[0:3], 0 offset:148
	s_waitcnt vmcnt(0)
	ds_write_b64 v115, v[1:2]
	buffer_store_dword v116, off, s[0:3], 0 offset:144
	buffer_store_dword v116, off, s[0:3], 0 offset:148
.LBB56_319:
	s_or_b64 exec, exec, s[4:5]
	s_waitcnt lgkmcnt(0)
	; wave barrier
	buffer_load_dword v1, off, s[0:3], 0 offset:156
	buffer_load_dword v2, off, s[0:3], 0 offset:164
	;; [unrolled: 1-line block ×32, first 2 shown]
	ds_read2_b64 v[117:120], v116 offset0:77 offset1:78
	ds_read2_b64 v[121:124], v116 offset0:79 offset1:80
	;; [unrolled: 1-line block ×6, first 2 shown]
	buffer_load_dword v211, off, s[0:3], 0 offset:272
	buffer_load_dword v212, off, s[0:3], 0 offset:276
	;; [unrolled: 1-line block ×32, first 2 shown]
	v_cmp_lt_u32_e32 vcc, 17, v0
	s_waitcnt vmcnt(62) lgkmcnt(5)
	v_mul_f32_e32 v141, v117, v1
	v_mul_f32_e32 v142, v119, v2
	s_waitcnt vmcnt(61) lgkmcnt(4)
	v_mul_f32_e32 v143, v121, v3
	s_waitcnt vmcnt(60)
	v_mul_f32_e32 v144, v123, v4
	s_waitcnt vmcnt(59) lgkmcnt(3)
	v_mul_f32_e32 v145, v125, v5
	s_waitcnt vmcnt(58)
	;; [unrolled: 4-line block ×4, first 2 shown]
	v_mul_f32_e32 v150, v135, v10
	s_waitcnt vmcnt(53)
	v_fmac_f32_e32 v143, v122, v11
	s_waitcnt vmcnt(52)
	v_fmac_f32_e32 v142, v120, v12
	s_waitcnt vmcnt(51)
	v_fmac_f32_e32 v141, v118, v13
	v_add_f32_e32 v141, 0, v141
	v_add_f32_e32 v141, v141, v142
	;; [unrolled: 1-line block ×3, first 2 shown]
	s_waitcnt vmcnt(47)
	v_fmac_f32_e32 v144, v124, v195
	v_fmac_f32_e32 v145, v126, v194
	v_add_f32_e32 v141, v141, v144
	v_fmac_f32_e32 v146, v128, v193
	v_add_f32_e32 v141, v141, v145
	;; [unrolled: 2-line block ×3, first 2 shown]
	s_waitcnt vmcnt(43)
	v_fmac_f32_e32 v148, v132, v199
	v_add_f32_e32 v141, v141, v147
	v_fmac_f32_e32 v149, v134, v198
	v_add_f32_e32 v141, v141, v148
	;; [unrolled: 2-line block ×3, first 2 shown]
	s_waitcnt vmcnt(42) lgkmcnt(0)
	v_mul_f32_e32 v142, v137, v200
	v_add_f32_e32 v141, v141, v150
	v_fmac_f32_e32 v142, v138, v196
	v_add_f32_e32 v145, v141, v142
	ds_read2_b64 v[141:144], v116 offset0:89 offset1:90
	buffer_load_dword v243, off, s[0:3], 0 offset:400
	buffer_load_dword v244, off, s[0:3], 0 offset:404
	s_waitcnt vmcnt(43)
	v_mul_f32_e32 v146, v139, v201
	s_waitcnt vmcnt(37)
	v_fmac_f32_e32 v146, v140, v207
	v_add_f32_e32 v149, v145, v146
	ds_read2_b64 v[145:148], v116 offset0:91 offset1:92
	buffer_load_dword v245, off, s[0:3], 0 offset:408
	buffer_load_dword v246, off, s[0:3], 0 offset:412
	buffer_load_dword v247, off, s[0:3], 0 offset:420
	buffer_load_dword v248, off, s[0:3], 0 offset:424
	buffer_load_dword v249, off, s[0:3], 0 offset:428
	buffer_load_dword v250, off, s[0:3], 0 offset:416
	buffer_load_dword v251, off, s[0:3], 0 offset:432
	buffer_load_dword v252, off, s[0:3], 0 offset:436
	buffer_load_dword v253, off, s[0:3], 0 offset:444
	buffer_load_dword v254, off, s[0:3], 0 offset:448
	buffer_load_dword v255, off, s[0:3], 0 offset:452
	buffer_load_dword v15, off, s[0:3], 0 offset:440
	v_mul_f32_e32 v1, v118, v1
	v_fma_f32 v1, v117, v13, -v1
	v_mul_f32_e32 v2, v120, v2
	v_add_f32_e32 v1, 0, v1
	v_fma_f32 v2, v119, v12, -v2
	v_add_f32_e32 v1, v1, v2
	v_mul_f32_e32 v2, v122, v3
	v_fma_f32 v2, v121, v11, -v2
	v_add_f32_e32 v1, v1, v2
	v_mul_f32_e32 v2, v124, v4
	v_fma_f32 v2, v123, v195, -v2
	s_waitcnt vmcnt(48) lgkmcnt(1)
	v_mul_f32_e32 v150, v141, v208
	v_add_f32_e32 v1, v1, v2
	v_mul_f32_e32 v2, v126, v5
	v_fmac_f32_e32 v150, v142, v206
	v_fma_f32 v2, v125, v194, -v2
	v_add_f32_e32 v149, v149, v150
	v_mul_f32_e32 v150, v143, v203
	v_add_f32_e32 v1, v1, v2
	v_mul_f32_e32 v2, v128, v6
	v_fmac_f32_e32 v150, v144, v202
	v_fma_f32 v2, v127, v193, -v2
	v_add_f32_e32 v16, v149, v150
	s_waitcnt lgkmcnt(0)
	v_mul_f32_e32 v149, v145, v205
	v_add_f32_e32 v1, v1, v2
	v_mul_f32_e32 v2, v130, v7
	v_fmac_f32_e32 v149, v146, v204
	v_fma_f32 v2, v129, v14, -v2
	v_add_f32_e32 v16, v16, v149
	ds_read2_b64 v[149:152], v116 offset0:93 offset1:94
	v_add_f32_e32 v1, v1, v2
	v_mul_f32_e32 v2, v132, v8
	v_fma_f32 v2, v131, v199, -v2
	s_waitcnt vmcnt(44)
	v_mul_f32_e32 v153, v147, v212
	v_add_f32_e32 v1, v1, v2
	v_mul_f32_e32 v2, v134, v9
	v_fmac_f32_e32 v153, v148, v211
	v_fma_f32 v2, v133, v198, -v2
	v_add_f32_e32 v16, v16, v153
	ds_read2_b64 v[153:156], v116 offset0:95 offset1:96
	v_add_f32_e32 v1, v1, v2
	v_mul_f32_e32 v2, v136, v10
	s_waitcnt vmcnt(42) lgkmcnt(1)
	v_mul_f32_e32 v157, v149, v214
	v_fma_f32 v2, v135, v197, -v2
	v_fmac_f32_e32 v157, v150, v213
	v_add_f32_e32 v1, v1, v2
	v_mul_f32_e32 v2, v138, v200
	v_add_f32_e32 v16, v16, v157
	s_waitcnt vmcnt(40)
	v_mul_f32_e32 v157, v151, v216
	v_fma_f32 v2, v137, v196, -v2
	v_fmac_f32_e32 v157, v152, v215
	v_add_f32_e32 v1, v1, v2
	v_mul_f32_e32 v2, v140, v201
	v_add_f32_e32 v16, v16, v157
	s_waitcnt vmcnt(38) lgkmcnt(0)
	v_mul_f32_e32 v157, v153, v218
	v_fma_f32 v2, v139, v207, -v2
	v_fmac_f32_e32 v157, v154, v217
	v_add_f32_e32 v1, v1, v2
	v_mul_f32_e32 v2, v142, v208
	v_add_f32_e32 v16, v16, v157
	ds_read2_b64 v[157:160], v116 offset0:97 offset1:98
	v_fma_f32 v2, v141, v206, -v2
	v_add_f32_e32 v1, v1, v2
	v_mul_f32_e32 v2, v144, v203
	s_waitcnt vmcnt(36)
	v_mul_f32_e32 v161, v155, v220
	v_fma_f32 v2, v143, v202, -v2
	v_fmac_f32_e32 v161, v156, v219
	v_add_f32_e32 v1, v1, v2
	v_mul_f32_e32 v2, v146, v205
	v_add_f32_e32 v16, v16, v161
	ds_read2_b64 v[161:164], v116 offset0:99 offset1:100
	v_fma_f32 v2, v145, v204, -v2
	s_waitcnt vmcnt(34) lgkmcnt(1)
	v_mul_f32_e32 v165, v157, v222
	v_add_f32_e32 v1, v1, v2
	v_mul_f32_e32 v2, v148, v212
	v_fmac_f32_e32 v165, v158, v221
	v_fma_f32 v2, v147, v211, -v2
	v_add_f32_e32 v16, v16, v165
	s_waitcnt vmcnt(32)
	v_mul_f32_e32 v165, v159, v224
	v_add_f32_e32 v1, v1, v2
	v_mul_f32_e32 v2, v150, v214
	v_fmac_f32_e32 v165, v160, v223
	v_fma_f32 v2, v149, v213, -v2
	v_add_f32_e32 v16, v16, v165
	s_waitcnt vmcnt(30) lgkmcnt(0)
	v_mul_f32_e32 v165, v161, v226
	v_add_f32_e32 v1, v1, v2
	v_mul_f32_e32 v2, v152, v216
	v_fmac_f32_e32 v165, v162, v225
	v_fma_f32 v2, v151, v215, -v2
	v_add_f32_e32 v16, v16, v165
	ds_read2_b64 v[165:168], v116 offset0:101 offset1:102
	v_add_f32_e32 v1, v1, v2
	v_mul_f32_e32 v2, v154, v218
	v_fma_f32 v2, v153, v217, -v2
	s_waitcnt vmcnt(28)
	v_mul_f32_e32 v169, v163, v228
	v_add_f32_e32 v1, v1, v2
	v_mul_f32_e32 v2, v156, v220
	v_fmac_f32_e32 v169, v164, v227
	v_fma_f32 v2, v155, v219, -v2
	v_add_f32_e32 v16, v16, v169
	ds_read2_b64 v[169:172], v116 offset0:103 offset1:104
	v_add_f32_e32 v1, v1, v2
	v_mul_f32_e32 v2, v158, v222
	s_waitcnt vmcnt(26) lgkmcnt(1)
	v_mul_f32_e32 v173, v165, v230
	v_fma_f32 v2, v157, v221, -v2
	v_fmac_f32_e32 v173, v166, v229
	v_add_f32_e32 v1, v1, v2
	v_mul_f32_e32 v2, v160, v224
	v_add_f32_e32 v16, v16, v173
	s_waitcnt vmcnt(25)
	v_mul_f32_e32 v173, v167, v231
	v_fma_f32 v2, v159, v223, -v2
	s_waitcnt vmcnt(22)
	v_fmac_f32_e32 v173, v168, v234
	v_add_f32_e32 v1, v1, v2
	v_mul_f32_e32 v2, v162, v226
	v_add_f32_e32 v16, v16, v173
	s_waitcnt lgkmcnt(0)
	v_mul_f32_e32 v173, v169, v233
	v_fma_f32 v2, v161, v225, -v2
	v_fmac_f32_e32 v173, v170, v232
	v_add_f32_e32 v1, v1, v2
	v_mul_f32_e32 v2, v164, v228
	v_add_f32_e32 v16, v16, v173
	ds_read2_b64 v[173:176], v116 offset0:105 offset1:106
	v_fma_f32 v2, v163, v227, -v2
	v_add_f32_e32 v1, v1, v2
	v_mul_f32_e32 v2, v166, v230
	s_waitcnt vmcnt(20)
	v_mul_f32_e32 v177, v171, v236
	v_fma_f32 v2, v165, v229, -v2
	v_fmac_f32_e32 v177, v172, v235
	v_add_f32_e32 v1, v1, v2
	v_mul_f32_e32 v2, v168, v231
	v_add_f32_e32 v16, v16, v177
	ds_read2_b64 v[177:180], v116 offset0:107 offset1:108
	v_fma_f32 v2, v167, v234, -v2
	s_waitcnt vmcnt(18) lgkmcnt(1)
	v_mul_f32_e32 v181, v173, v238
	v_add_f32_e32 v1, v1, v2
	v_mul_f32_e32 v2, v170, v233
	v_fmac_f32_e32 v181, v174, v237
	v_fma_f32 v2, v169, v232, -v2
	v_add_f32_e32 v16, v16, v181
	s_waitcnt vmcnt(17)
	v_mul_f32_e32 v181, v175, v239
	v_add_f32_e32 v1, v1, v2
	v_mul_f32_e32 v2, v172, v236
	s_waitcnt vmcnt(14)
	v_fmac_f32_e32 v181, v176, v242
	v_fma_f32 v2, v171, v235, -v2
	v_add_f32_e32 v16, v16, v181
	s_waitcnt lgkmcnt(0)
	v_mul_f32_e32 v181, v177, v241
	v_add_f32_e32 v1, v1, v2
	v_mul_f32_e32 v2, v174, v238
	v_fmac_f32_e32 v181, v178, v240
	v_fma_f32 v2, v173, v237, -v2
	v_add_f32_e32 v16, v16, v181
	ds_read2_b64 v[181:184], v116 offset0:109 offset1:110
	v_add_f32_e32 v1, v1, v2
	v_mul_f32_e32 v2, v176, v239
	v_fma_f32 v2, v175, v242, -v2
	v_add_f32_e32 v1, v1, v2
	v_mul_f32_e32 v2, v178, v241
	s_waitcnt vmcnt(12)
	v_mul_f32_e32 v185, v179, v244
	v_fma_f32 v2, v177, v240, -v2
	v_fmac_f32_e32 v185, v180, v243
	v_add_f32_e32 v1, v1, v2
	v_mul_f32_e32 v2, v180, v244
	v_add_f32_e32 v16, v16, v185
	ds_read2_b64 v[185:188], v116 offset0:111 offset1:112
	s_waitcnt vmcnt(10) lgkmcnt(1)
	v_mul_f32_e32 v189, v181, v246
	v_fma_f32 v2, v179, v243, -v2
	v_fmac_f32_e32 v189, v182, v245
	v_add_f32_e32 v1, v1, v2
	v_mul_f32_e32 v2, v182, v246
	v_add_f32_e32 v16, v16, v189
	s_waitcnt vmcnt(9)
	v_mul_f32_e32 v189, v183, v247
	v_fma_f32 v2, v181, v245, -v2
	s_waitcnt vmcnt(6)
	v_fmac_f32_e32 v189, v184, v250
	v_add_f32_e32 v1, v1, v2
	v_mul_f32_e32 v2, v184, v247
	v_add_f32_e32 v16, v16, v189
	ds_read2_b64 v[189:192], v116 offset0:113 offset1:114
	v_fma_f32 v2, v183, v250, -v2
	v_add_f32_e32 v1, v1, v2
	s_waitcnt lgkmcnt(1)
	v_mul_f32_e32 v2, v186, v249
	v_mul_f32_e32 v17, v185, v249
	v_fma_f32 v2, v185, v248, -v2
	v_fmac_f32_e32 v17, v186, v248
	v_add_f32_e32 v1, v1, v2
	s_waitcnt vmcnt(4)
	v_mul_f32_e32 v2, v188, v252
	v_add_f32_e32 v16, v16, v17
	v_mul_f32_e32 v17, v187, v252
	v_fma_f32 v2, v187, v251, -v2
	v_fmac_f32_e32 v17, v188, v251
	v_add_f32_e32 v1, v1, v2
	s_waitcnt vmcnt(3) lgkmcnt(0)
	v_mul_f32_e32 v2, v190, v253
	v_add_f32_e32 v16, v16, v17
	v_mul_f32_e32 v17, v189, v253
	s_waitcnt vmcnt(0)
	v_fma_f32 v2, v189, v15, -v2
	v_fmac_f32_e32 v17, v190, v15
	v_add_f32_e32 v1, v1, v2
	v_mul_f32_e32 v2, v192, v255
	v_add_f32_e32 v16, v16, v17
	v_mul_f32_e32 v17, v191, v255
	v_fma_f32 v2, v191, v254, -v2
	v_fmac_f32_e32 v17, v192, v254
	v_add_f32_e32 v1, v1, v2
	v_add_f32_e32 v16, v16, v17
	v_sub_f32_e32 v1, v209, v1
	v_sub_f32_e32 v2, v210, v16
	buffer_store_dword v1, off, s[0:3], 0 offset:144
	buffer_store_dword v2, off, s[0:3], 0 offset:148
	s_and_saveexec_b64 s[4:5], vcc
	s_cbranch_execz .LBB56_321
; %bb.320:
	buffer_load_dword v1, off, s[0:3], 0 offset:136
	buffer_load_dword v2, off, s[0:3], 0 offset:140
	v_mov_b32_e32 v3, 0
	buffer_store_dword v3, off, s[0:3], 0 offset:136
	buffer_store_dword v3, off, s[0:3], 0 offset:140
	s_waitcnt vmcnt(2)
	ds_write_b64 v115, v[1:2]
.LBB56_321:
	s_or_b64 exec, exec, s[4:5]
	s_waitcnt lgkmcnt(0)
	; wave barrier
	buffer_load_dword v3, off, s[0:3], 0 offset:148
	buffer_load_dword v4, off, s[0:3], 0 offset:156
	;; [unrolled: 1-line block ×50, first 2 shown]
	v_mov_b32_e32 v116, 0
	ds_read_b128 v[117:120], v116 offset:608
	ds_read_b128 v[121:124], v116 offset:624
	;; [unrolled: 1-line block ×6, first 2 shown]
	buffer_load_dword v227, off, s[0:3], 0 offset:336
	buffer_load_dword v228, off, s[0:3], 0 offset:340
	;; [unrolled: 1-line block ×8, first 2 shown]
	v_cmp_lt_u32_e32 vcc, 16, v0
	s_waitcnt vmcnt(57) lgkmcnt(5)
	v_mul_f32_e32 v1, v117, v3
	s_waitcnt vmcnt(56)
	v_mul_f32_e32 v2, v119, v4
	s_waitcnt vmcnt(55) lgkmcnt(4)
	v_mul_f32_e32 v141, v121, v5
	s_waitcnt vmcnt(54)
	v_mul_f32_e32 v142, v123, v6
	;; [unrolled: 4-line block ×5, first 2 shown]
	v_mul_f32_e32 v3, v118, v3
	s_waitcnt vmcnt(46)
	v_fmac_f32_e32 v141, v122, v14
	s_waitcnt vmcnt(45)
	v_fmac_f32_e32 v2, v120, v15
	;; [unrolled: 2-line block ×3, first 2 shown]
	v_add_f32_e32 v1, 0, v1
	v_add_f32_e32 v1, v1, v2
	;; [unrolled: 1-line block ×3, first 2 shown]
	s_waitcnt vmcnt(40)
	v_fmac_f32_e32 v142, v124, v194
	v_fmac_f32_e32 v143, v126, v193
	v_add_f32_e32 v1, v1, v142
	v_fmac_f32_e32 v144, v128, v18
	v_add_f32_e32 v1, v1, v143
	;; [unrolled: 2-line block ×3, first 2 shown]
	s_waitcnt vmcnt(36)
	v_fmac_f32_e32 v146, v132, v198
	v_add_f32_e32 v1, v1, v145
	ds_read_b128 v[141:144], v116 offset:704
	buffer_load_dword v235, off, s[0:3], 0 offset:368
	buffer_load_dword v236, off, s[0:3], 0 offset:372
	;; [unrolled: 1-line block ×6, first 2 shown]
	v_fmac_f32_e32 v147, v134, v197
	v_add_f32_e32 v1, v1, v146
	v_fmac_f32_e32 v148, v136, v196
	v_add_f32_e32 v1, v1, v147
	v_add_f32_e32 v1, v1, v148
	ds_read_b128 v[145:148], v116 offset:720
	buffer_load_dword v241, off, s[0:3], 0 offset:392
	buffer_load_dword v242, off, s[0:3], 0 offset:396
	;; [unrolled: 1-line block ×16, first 2 shown]
	v_fma_f32 v3, v117, v16, -v3
	v_mul_f32_e32 v4, v120, v4
	v_add_f32_e32 v3, 0, v3
	v_fma_f32 v4, v119, v15, -v4
	v_add_f32_e32 v3, v3, v4
	v_mul_f32_e32 v4, v122, v5
	v_fma_f32 v4, v121, v14, -v4
	v_add_f32_e32 v3, v3, v4
	v_mul_f32_e32 v4, v124, v6
	;; [unrolled: 3-line block ×7, first 2 shown]
	v_fma_f32 v4, v133, v197, -v4
	s_waitcnt lgkmcnt(2)
	v_mul_f32_e32 v149, v137, v13
	v_add_f32_e32 v3, v3, v4
	v_mul_f32_e32 v4, v136, v12
	v_fmac_f32_e32 v149, v138, v195
	s_waitcnt vmcnt(57)
	v_mul_f32_e32 v2, v139, v199
	v_fma_f32 v4, v135, v196, -v4
	v_add_f32_e32 v1, v1, v149
	s_waitcnt vmcnt(50)
	v_fmac_f32_e32 v2, v140, v206
	v_add_f32_e32 v3, v3, v4
	v_mul_f32_e32 v4, v138, v13
	v_add_f32_e32 v1, v1, v2
	s_waitcnt lgkmcnt(1)
	v_mul_f32_e32 v2, v141, v201
	v_fma_f32 v4, v137, v195, -v4
	v_fmac_f32_e32 v2, v142, v200
	v_add_f32_e32 v3, v3, v4
	v_mul_f32_e32 v4, v140, v199
	v_add_f32_e32 v1, v1, v2
	v_mul_f32_e32 v2, v143, v203
	v_fma_f32 v4, v139, v206, -v4
	v_fmac_f32_e32 v2, v144, v202
	ds_read_b128 v[149:152], v116 offset:736
	ds_read_b128 v[153:156], v116 offset:752
	v_add_f32_e32 v3, v3, v4
	v_mul_f32_e32 v4, v142, v201
	v_add_f32_e32 v1, v1, v2
	s_waitcnt lgkmcnt(2)
	v_mul_f32_e32 v2, v145, v205
	v_fma_f32 v4, v141, v200, -v4
	v_fmac_f32_e32 v2, v146, v204
	v_add_f32_e32 v3, v3, v4
	v_mul_f32_e32 v4, v144, v203
	v_add_f32_e32 v1, v1, v2
	s_waitcnt vmcnt(46)
	v_mul_f32_e32 v2, v147, v210
	v_fma_f32 v4, v143, v202, -v4
	v_fmac_f32_e32 v2, v148, v209
	v_add_f32_e32 v3, v3, v4
	v_mul_f32_e32 v4, v146, v205
	v_add_f32_e32 v1, v1, v2
	s_waitcnt vmcnt(44) lgkmcnt(1)
	v_mul_f32_e32 v2, v149, v212
	v_fma_f32 v4, v145, v204, -v4
	v_fmac_f32_e32 v2, v150, v211
	v_add_f32_e32 v3, v3, v4
	v_mul_f32_e32 v4, v148, v210
	v_add_f32_e32 v1, v1, v2
	s_waitcnt vmcnt(42)
	v_mul_f32_e32 v2, v151, v214
	v_fma_f32 v4, v147, v209, -v4
	v_fmac_f32_e32 v2, v152, v213
	ds_read_b128 v[157:160], v116 offset:768
	ds_read_b128 v[161:164], v116 offset:784
	v_add_f32_e32 v3, v3, v4
	v_mul_f32_e32 v4, v150, v212
	v_add_f32_e32 v1, v1, v2
	s_waitcnt vmcnt(40) lgkmcnt(2)
	v_mul_f32_e32 v2, v153, v216
	v_fma_f32 v4, v149, v211, -v4
	v_fmac_f32_e32 v2, v154, v215
	v_add_f32_e32 v3, v3, v4
	v_mul_f32_e32 v4, v152, v214
	v_add_f32_e32 v1, v1, v2
	s_waitcnt vmcnt(38)
	v_mul_f32_e32 v2, v155, v218
	v_fma_f32 v4, v151, v213, -v4
	v_fmac_f32_e32 v2, v156, v217
	v_add_f32_e32 v3, v3, v4
	v_mul_f32_e32 v4, v154, v216
	v_add_f32_e32 v1, v1, v2
	s_waitcnt vmcnt(36) lgkmcnt(1)
	v_mul_f32_e32 v2, v157, v220
	v_fma_f32 v4, v153, v215, -v4
	v_fmac_f32_e32 v2, v158, v219
	v_add_f32_e32 v3, v3, v4
	v_mul_f32_e32 v4, v156, v218
	v_add_f32_e32 v1, v1, v2
	s_waitcnt vmcnt(34)
	v_mul_f32_e32 v2, v159, v222
	v_fma_f32 v4, v155, v217, -v4
	v_fmac_f32_e32 v2, v160, v221
	ds_read_b128 v[165:168], v116 offset:800
	ds_read_b128 v[169:172], v116 offset:816
	v_add_f32_e32 v3, v3, v4
	v_mul_f32_e32 v4, v158, v220
	v_add_f32_e32 v1, v1, v2
	s_waitcnt vmcnt(32) lgkmcnt(2)
	v_mul_f32_e32 v2, v161, v224
	v_fma_f32 v4, v157, v219, -v4
	v_fmac_f32_e32 v2, v162, v223
	v_add_f32_e32 v3, v3, v4
	v_mul_f32_e32 v4, v160, v222
	v_add_f32_e32 v1, v1, v2
	s_waitcnt vmcnt(30)
	v_mul_f32_e32 v2, v163, v226
	v_fma_f32 v4, v159, v221, -v4
	v_fmac_f32_e32 v2, v164, v225
	v_add_f32_e32 v3, v3, v4
	v_mul_f32_e32 v4, v162, v224
	v_add_f32_e32 v1, v1, v2
	s_waitcnt vmcnt(28) lgkmcnt(1)
	v_mul_f32_e32 v2, v165, v228
	v_fma_f32 v4, v161, v223, -v4
	v_fmac_f32_e32 v2, v166, v227
	v_add_f32_e32 v3, v3, v4
	v_mul_f32_e32 v4, v164, v226
	v_add_f32_e32 v1, v1, v2
	s_waitcnt vmcnt(27)
	v_mul_f32_e32 v2, v167, v229
	v_fma_f32 v4, v163, v225, -v4
	s_waitcnt vmcnt(24)
	v_fmac_f32_e32 v2, v168, v232
	ds_read_b128 v[173:176], v116 offset:832
	ds_read_b128 v[177:180], v116 offset:848
	v_add_f32_e32 v3, v3, v4
	v_mul_f32_e32 v4, v166, v228
	v_add_f32_e32 v1, v1, v2
	s_waitcnt lgkmcnt(2)
	v_mul_f32_e32 v2, v169, v231
	v_fma_f32 v4, v165, v227, -v4
	v_fmac_f32_e32 v2, v170, v230
	v_add_f32_e32 v3, v3, v4
	v_mul_f32_e32 v4, v168, v229
	v_add_f32_e32 v1, v1, v2
	s_waitcnt vmcnt(22)
	v_mul_f32_e32 v2, v171, v234
	v_fma_f32 v4, v167, v232, -v4
	v_fmac_f32_e32 v2, v172, v233
	v_add_f32_e32 v3, v3, v4
	v_mul_f32_e32 v4, v170, v231
	v_add_f32_e32 v1, v1, v2
	s_waitcnt vmcnt(20) lgkmcnt(1)
	v_mul_f32_e32 v2, v173, v236
	v_fma_f32 v4, v169, v230, -v4
	v_fmac_f32_e32 v2, v174, v235
	v_add_f32_e32 v3, v3, v4
	v_mul_f32_e32 v4, v172, v234
	v_add_f32_e32 v1, v1, v2
	s_waitcnt vmcnt(19)
	v_mul_f32_e32 v2, v175, v237
	v_fma_f32 v4, v171, v233, -v4
	s_waitcnt vmcnt(16)
	v_fmac_f32_e32 v2, v176, v240
	ds_read_b128 v[181:184], v116 offset:864
	ds_read_b128 v[185:188], v116 offset:880
	v_add_f32_e32 v3, v3, v4
	v_mul_f32_e32 v4, v174, v236
	v_add_f32_e32 v1, v1, v2
	s_waitcnt lgkmcnt(2)
	v_mul_f32_e32 v2, v177, v239
	v_fma_f32 v4, v173, v235, -v4
	v_fmac_f32_e32 v2, v178, v238
	v_add_f32_e32 v3, v3, v4
	v_mul_f32_e32 v4, v176, v237
	v_add_f32_e32 v1, v1, v2
	s_waitcnt vmcnt(14)
	v_mul_f32_e32 v2, v179, v242
	v_fma_f32 v4, v175, v240, -v4
	v_fmac_f32_e32 v2, v180, v241
	v_add_f32_e32 v3, v3, v4
	v_mul_f32_e32 v4, v178, v239
	v_add_f32_e32 v1, v1, v2
	s_waitcnt vmcnt(12) lgkmcnt(1)
	v_mul_f32_e32 v2, v181, v244
	v_fma_f32 v4, v177, v238, -v4
	v_fmac_f32_e32 v2, v182, v243
	v_add_f32_e32 v3, v3, v4
	v_mul_f32_e32 v4, v180, v242
	v_add_f32_e32 v1, v1, v2
	s_waitcnt vmcnt(11)
	v_mul_f32_e32 v2, v183, v245
	v_fma_f32 v4, v179, v241, -v4
	s_waitcnt vmcnt(8)
	v_fmac_f32_e32 v2, v184, v248
	v_add_f32_e32 v3, v3, v4
	v_mul_f32_e32 v4, v182, v244
	v_add_f32_e32 v1, v1, v2
	s_waitcnt lgkmcnt(0)
	v_mul_f32_e32 v2, v185, v247
	ds_read_b128 v[189:192], v116 offset:896
	v_fma_f32 v4, v181, v243, -v4
	v_fmac_f32_e32 v2, v186, v246
	v_add_f32_e32 v3, v3, v4
	v_mul_f32_e32 v4, v184, v245
	v_add_f32_e32 v1, v1, v2
	s_waitcnt vmcnt(6)
	v_mul_f32_e32 v2, v187, v250
	v_fma_f32 v4, v183, v248, -v4
	v_fmac_f32_e32 v2, v188, v249
	v_add_f32_e32 v3, v3, v4
	v_mul_f32_e32 v4, v186, v247
	v_add_f32_e32 v20, v1, v2
	ds_read_b64 v[1:2], v116 offset:912
	v_fma_f32 v4, v185, v246, -v4
	s_waitcnt vmcnt(4) lgkmcnt(1)
	v_mul_f32_e32 v21, v189, v252
	v_add_f32_e32 v3, v3, v4
	v_mul_f32_e32 v4, v188, v250
	v_fmac_f32_e32 v21, v190, v251
	v_fma_f32 v4, v187, v249, -v4
	v_add_f32_e32 v20, v20, v21
	s_waitcnt vmcnt(3)
	v_mul_f32_e32 v21, v191, v253
	v_add_f32_e32 v3, v3, v4
	v_mul_f32_e32 v4, v190, v252
	s_waitcnt vmcnt(0)
	v_fmac_f32_e32 v21, v192, v19
	v_fma_f32 v4, v189, v251, -v4
	v_add_f32_e32 v20, v20, v21
	s_waitcnt lgkmcnt(0)
	v_mul_f32_e32 v21, v1, v255
	v_add_f32_e32 v3, v3, v4
	v_mul_f32_e32 v4, v192, v253
	v_fmac_f32_e32 v21, v2, v254
	v_fma_f32 v4, v191, v19, -v4
	v_mul_f32_e32 v2, v2, v255
	v_add_f32_e32 v3, v3, v4
	v_fma_f32 v1, v1, v254, -v2
	v_add_f32_e32 v1, v3, v1
	v_add_f32_e32 v20, v20, v21
	v_sub_f32_e32 v1, v207, v1
	v_sub_f32_e32 v2, v208, v20
	buffer_store_dword v1, off, s[0:3], 0 offset:136
	buffer_store_dword v2, off, s[0:3], 0 offset:140
	s_and_saveexec_b64 s[4:5], vcc
	s_cbranch_execz .LBB56_323
; %bb.322:
	buffer_load_dword v1, off, s[0:3], 0 offset:128
	buffer_load_dword v2, off, s[0:3], 0 offset:132
	s_waitcnt vmcnt(0)
	ds_write_b64 v115, v[1:2]
	buffer_store_dword v116, off, s[0:3], 0 offset:128
	buffer_store_dword v116, off, s[0:3], 0 offset:132
.LBB56_323:
	s_or_b64 exec, exec, s[4:5]
	s_waitcnt lgkmcnt(0)
	; wave barrier
	buffer_load_dword v1, off, s[0:3], 0 offset:140
	buffer_load_dword v2, off, s[0:3], 0 offset:148
	;; [unrolled: 1-line block ×32, first 2 shown]
	ds_read2_b64 v[117:120], v116 offset0:75 offset1:76
	ds_read2_b64 v[121:124], v116 offset0:77 offset1:78
	;; [unrolled: 1-line block ×6, first 2 shown]
	buffer_load_dword v207, off, s[0:3], 0 offset:256
	buffer_load_dword v208, off, s[0:3], 0 offset:260
	;; [unrolled: 1-line block ×26, first 2 shown]
	v_cmp_lt_u32_e32 vcc, 15, v0
	s_waitcnt vmcnt(57) lgkmcnt(5)
	v_mul_f32_e32 v141, v117, v1
	s_waitcnt vmcnt(56)
	v_mul_f32_e32 v142, v119, v2
	s_waitcnt vmcnt(55) lgkmcnt(4)
	v_mul_f32_e32 v143, v121, v3
	s_waitcnt vmcnt(54)
	v_mul_f32_e32 v144, v123, v4
	;; [unrolled: 4-line block ×5, first 2 shown]
	s_waitcnt vmcnt(47) lgkmcnt(0)
	v_mul_f32_e32 v151, v137, v11
	s_waitcnt vmcnt(46)
	v_fmac_f32_e32 v143, v122, v12
	s_waitcnt vmcnt(45)
	v_fmac_f32_e32 v142, v120, v13
	;; [unrolled: 2-line block ×3, first 2 shown]
	v_add_f32_e32 v141, 0, v141
	v_add_f32_e32 v141, v141, v142
	;; [unrolled: 1-line block ×3, first 2 shown]
	s_waitcnt vmcnt(40)
	v_fmac_f32_e32 v144, v124, v18
	v_fmac_f32_e32 v145, v126, v17
	v_add_f32_e32 v141, v141, v144
	v_fmac_f32_e32 v146, v128, v16
	v_add_f32_e32 v141, v141, v145
	;; [unrolled: 2-line block ×3, first 2 shown]
	s_waitcnt vmcnt(36)
	v_fmac_f32_e32 v148, v132, v22
	v_add_f32_e32 v141, v141, v147
	v_fmac_f32_e32 v149, v134, v21
	v_add_f32_e32 v141, v141, v148
	;; [unrolled: 2-line block ×4, first 2 shown]
	v_add_f32_e32 v145, v141, v151
	ds_read2_b64 v[141:144], v116 offset0:87 offset1:88
	buffer_load_dword v233, off, s[0:3], 0 offset:360
	buffer_load_dword v234, off, s[0:3], 0 offset:364
	;; [unrolled: 1-line block ×6, first 2 shown]
	s_waitcnt vmcnt(41)
	v_mul_f32_e32 v146, v139, v197
	s_waitcnt vmcnt(35)
	v_fmac_f32_e32 v146, v140, v203
	v_add_f32_e32 v149, v145, v146
	ds_read2_b64 v[145:148], v116 offset0:89 offset1:90
	buffer_load_dword v239, off, s[0:3], 0 offset:384
	buffer_load_dword v240, off, s[0:3], 0 offset:388
	;; [unrolled: 1-line block ×10, first 2 shown]
	s_waitcnt vmcnt(44) lgkmcnt(1)
	v_mul_f32_e32 v150, v141, v204
	v_fmac_f32_e32 v150, v142, v202
	v_add_f32_e32 v149, v149, v150
	v_mul_f32_e32 v150, v143, v199
	v_fmac_f32_e32 v150, v144, v198
	v_add_f32_e32 v149, v149, v150
	s_waitcnt lgkmcnt(0)
	v_mul_f32_e32 v150, v145, v201
	buffer_load_dword v249, off, s[0:3], 0 offset:424
	buffer_load_dword v250, off, s[0:3], 0 offset:428
	buffer_load_dword v251, off, s[0:3], 0 offset:436
	buffer_load_dword v252, off, s[0:3], 0 offset:440
	buffer_load_dword v253, off, s[0:3], 0 offset:444
	buffer_load_dword v254, off, s[0:3], 0 offset:432
	v_fmac_f32_e32 v150, v146, v200
	s_waitcnt vmcnt(46)
	v_mul_f32_e32 v154, v147, v208
	v_add_f32_e32 v153, v149, v150
	v_fmac_f32_e32 v154, v148, v207
	ds_read2_b64 v[149:152], v116 offset0:91 offset1:92
	v_add_f32_e32 v157, v153, v154
	ds_read2_b64 v[153:156], v116 offset0:93 offset1:94
	buffer_load_dword v255, off, s[0:3], 0 offset:448
	buffer_load_dword v23, off, s[0:3], 0 offset:452
	v_mul_f32_e32 v1, v118, v1
	v_fma_f32 v1, v117, v14, -v1
	v_mul_f32_e32 v2, v120, v2
	v_add_f32_e32 v1, 0, v1
	v_fma_f32 v2, v119, v13, -v2
	v_add_f32_e32 v1, v1, v2
	v_mul_f32_e32 v2, v122, v3
	v_fma_f32 v2, v121, v12, -v2
	v_add_f32_e32 v1, v1, v2
	v_mul_f32_e32 v2, v124, v4
	;; [unrolled: 3-line block ×7, first 2 shown]
	s_waitcnt vmcnt(46) lgkmcnt(1)
	v_mul_f32_e32 v24, v149, v210
	v_fma_f32 v2, v133, v21, -v2
	v_fmac_f32_e32 v24, v150, v209
	v_add_f32_e32 v1, v1, v2
	v_mul_f32_e32 v2, v136, v10
	v_add_f32_e32 v24, v157, v24
	s_waitcnt vmcnt(44)
	v_mul_f32_e32 v157, v151, v212
	v_fma_f32 v2, v135, v20, -v2
	v_fmac_f32_e32 v157, v152, v211
	v_add_f32_e32 v1, v1, v2
	v_mul_f32_e32 v2, v138, v11
	v_add_f32_e32 v24, v24, v157
	s_waitcnt vmcnt(42) lgkmcnt(0)
	v_mul_f32_e32 v157, v153, v214
	v_fma_f32 v2, v137, v19, -v2
	v_fmac_f32_e32 v157, v154, v213
	v_add_f32_e32 v1, v1, v2
	v_mul_f32_e32 v2, v140, v197
	v_add_f32_e32 v24, v24, v157
	ds_read2_b64 v[157:160], v116 offset0:95 offset1:96
	v_fma_f32 v2, v139, v203, -v2
	v_add_f32_e32 v1, v1, v2
	v_mul_f32_e32 v2, v142, v204
	s_waitcnt vmcnt(40)
	v_mul_f32_e32 v161, v155, v216
	v_fma_f32 v2, v141, v202, -v2
	v_fmac_f32_e32 v161, v156, v215
	v_add_f32_e32 v1, v1, v2
	v_mul_f32_e32 v2, v144, v199
	v_add_f32_e32 v24, v24, v161
	ds_read2_b64 v[161:164], v116 offset0:97 offset1:98
	v_fma_f32 v2, v143, v198, -v2
	s_waitcnt vmcnt(38) lgkmcnt(1)
	v_mul_f32_e32 v165, v157, v218
	v_add_f32_e32 v1, v1, v2
	v_mul_f32_e32 v2, v146, v201
	v_fmac_f32_e32 v165, v158, v217
	v_fma_f32 v2, v145, v200, -v2
	v_add_f32_e32 v24, v24, v165
	s_waitcnt vmcnt(36)
	v_mul_f32_e32 v165, v159, v220
	v_add_f32_e32 v1, v1, v2
	v_mul_f32_e32 v2, v148, v208
	v_fmac_f32_e32 v165, v160, v219
	v_fma_f32 v2, v147, v207, -v2
	v_add_f32_e32 v24, v24, v165
	s_waitcnt vmcnt(34) lgkmcnt(0)
	v_mul_f32_e32 v165, v161, v222
	v_add_f32_e32 v1, v1, v2
	v_mul_f32_e32 v2, v150, v210
	v_fmac_f32_e32 v165, v162, v221
	v_fma_f32 v2, v149, v209, -v2
	v_add_f32_e32 v24, v24, v165
	ds_read2_b64 v[165:168], v116 offset0:99 offset1:100
	v_add_f32_e32 v1, v1, v2
	v_mul_f32_e32 v2, v152, v212
	v_fma_f32 v2, v151, v211, -v2
	s_waitcnt vmcnt(32)
	v_mul_f32_e32 v169, v163, v224
	v_add_f32_e32 v1, v1, v2
	v_mul_f32_e32 v2, v154, v214
	v_fmac_f32_e32 v169, v164, v223
	v_fma_f32 v2, v153, v213, -v2
	v_add_f32_e32 v24, v24, v169
	ds_read2_b64 v[169:172], v116 offset0:101 offset1:102
	v_add_f32_e32 v1, v1, v2
	v_mul_f32_e32 v2, v156, v216
	s_waitcnt vmcnt(30) lgkmcnt(1)
	v_mul_f32_e32 v173, v165, v226
	v_fma_f32 v2, v155, v215, -v2
	v_fmac_f32_e32 v173, v166, v225
	v_add_f32_e32 v1, v1, v2
	v_mul_f32_e32 v2, v158, v218
	v_add_f32_e32 v24, v24, v173
	s_waitcnt vmcnt(29)
	v_mul_f32_e32 v173, v167, v227
	v_fma_f32 v2, v157, v217, -v2
	s_waitcnt vmcnt(26)
	v_fmac_f32_e32 v173, v168, v230
	v_add_f32_e32 v1, v1, v2
	v_mul_f32_e32 v2, v160, v220
	v_add_f32_e32 v24, v24, v173
	s_waitcnt lgkmcnt(0)
	v_mul_f32_e32 v173, v169, v229
	v_fma_f32 v2, v159, v219, -v2
	v_fmac_f32_e32 v173, v170, v228
	v_add_f32_e32 v1, v1, v2
	v_mul_f32_e32 v2, v162, v222
	v_add_f32_e32 v24, v24, v173
	ds_read2_b64 v[173:176], v116 offset0:103 offset1:104
	v_fma_f32 v2, v161, v221, -v2
	v_add_f32_e32 v1, v1, v2
	v_mul_f32_e32 v2, v164, v224
	s_waitcnt vmcnt(24)
	v_mul_f32_e32 v177, v171, v232
	v_fma_f32 v2, v163, v223, -v2
	v_fmac_f32_e32 v177, v172, v231
	v_add_f32_e32 v1, v1, v2
	v_mul_f32_e32 v2, v166, v226
	v_add_f32_e32 v24, v24, v177
	ds_read2_b64 v[177:180], v116 offset0:105 offset1:106
	v_fma_f32 v2, v165, v225, -v2
	s_waitcnt vmcnt(22) lgkmcnt(1)
	v_mul_f32_e32 v181, v173, v234
	v_add_f32_e32 v1, v1, v2
	v_mul_f32_e32 v2, v168, v227
	v_fmac_f32_e32 v181, v174, v233
	v_fma_f32 v2, v167, v230, -v2
	v_add_f32_e32 v24, v24, v181
	s_waitcnt vmcnt(21)
	v_mul_f32_e32 v181, v175, v235
	v_add_f32_e32 v1, v1, v2
	v_mul_f32_e32 v2, v170, v229
	s_waitcnt vmcnt(18)
	v_fmac_f32_e32 v181, v176, v238
	v_fma_f32 v2, v169, v228, -v2
	v_add_f32_e32 v24, v24, v181
	s_waitcnt lgkmcnt(0)
	v_mul_f32_e32 v181, v177, v237
	v_add_f32_e32 v1, v1, v2
	v_mul_f32_e32 v2, v172, v232
	v_fmac_f32_e32 v181, v178, v236
	v_fma_f32 v2, v171, v231, -v2
	v_add_f32_e32 v24, v24, v181
	ds_read2_b64 v[181:184], v116 offset0:107 offset1:108
	v_add_f32_e32 v1, v1, v2
	v_mul_f32_e32 v2, v174, v234
	v_fma_f32 v2, v173, v233, -v2
	s_waitcnt vmcnt(16)
	v_mul_f32_e32 v185, v179, v240
	v_add_f32_e32 v1, v1, v2
	v_mul_f32_e32 v2, v176, v235
	v_fmac_f32_e32 v185, v180, v239
	v_fma_f32 v2, v175, v238, -v2
	v_add_f32_e32 v24, v24, v185
	ds_read2_b64 v[185:188], v116 offset0:109 offset1:110
	v_add_f32_e32 v1, v1, v2
	v_mul_f32_e32 v2, v178, v237
	s_waitcnt vmcnt(14) lgkmcnt(1)
	v_mul_f32_e32 v189, v181, v242
	v_fma_f32 v2, v177, v236, -v2
	v_fmac_f32_e32 v189, v182, v241
	v_add_f32_e32 v1, v1, v2
	v_mul_f32_e32 v2, v180, v240
	v_add_f32_e32 v24, v24, v189
	s_waitcnt vmcnt(13)
	v_mul_f32_e32 v189, v183, v243
	v_fma_f32 v2, v179, v239, -v2
	s_waitcnt vmcnt(10)
	v_fmac_f32_e32 v189, v184, v246
	v_add_f32_e32 v1, v1, v2
	v_mul_f32_e32 v2, v182, v242
	v_add_f32_e32 v24, v24, v189
	s_waitcnt lgkmcnt(0)
	v_mul_f32_e32 v189, v185, v245
	v_fma_f32 v2, v181, v241, -v2
	v_fmac_f32_e32 v189, v186, v244
	v_add_f32_e32 v1, v1, v2
	v_mul_f32_e32 v2, v184, v243
	v_add_f32_e32 v24, v24, v189
	ds_read2_b64 v[189:192], v116 offset0:111 offset1:112
	v_fma_f32 v2, v183, v246, -v2
	v_add_f32_e32 v1, v1, v2
	v_mul_f32_e32 v2, v186, v245
	s_waitcnt vmcnt(8)
	v_mul_f32_e32 v193, v187, v248
	v_fma_f32 v2, v185, v244, -v2
	v_fmac_f32_e32 v193, v188, v247
	v_add_f32_e32 v1, v1, v2
	v_mul_f32_e32 v2, v188, v248
	v_add_f32_e32 v24, v24, v193
	ds_read2_b64 v[193:196], v116 offset0:113 offset1:114
	v_fma_f32 v2, v187, v247, -v2
	v_add_f32_e32 v1, v1, v2
	s_waitcnt vmcnt(6) lgkmcnt(1)
	v_mul_f32_e32 v2, v190, v250
	v_mul_f32_e32 v116, v189, v250
	v_fma_f32 v2, v189, v249, -v2
	v_fmac_f32_e32 v116, v190, v249
	v_add_f32_e32 v1, v1, v2
	s_waitcnt vmcnt(5)
	v_mul_f32_e32 v2, v192, v251
	v_add_f32_e32 v24, v24, v116
	v_mul_f32_e32 v116, v191, v251
	s_waitcnt vmcnt(2)
	v_fma_f32 v2, v191, v254, -v2
	v_fmac_f32_e32 v116, v192, v254
	v_add_f32_e32 v1, v1, v2
	s_waitcnt lgkmcnt(0)
	v_mul_f32_e32 v2, v194, v253
	v_add_f32_e32 v24, v24, v116
	v_mul_f32_e32 v116, v193, v253
	v_fma_f32 v2, v193, v252, -v2
	v_fmac_f32_e32 v116, v194, v252
	v_add_f32_e32 v1, v1, v2
	s_waitcnt vmcnt(0)
	v_mul_f32_e32 v2, v196, v23
	v_add_f32_e32 v24, v24, v116
	v_mul_f32_e32 v116, v195, v23
	v_fma_f32 v2, v195, v255, -v2
	v_fmac_f32_e32 v116, v196, v255
	v_add_f32_e32 v1, v1, v2
	v_add_f32_e32 v24, v24, v116
	v_sub_f32_e32 v1, v205, v1
	v_sub_f32_e32 v2, v206, v24
	buffer_store_dword v1, off, s[0:3], 0 offset:128
	buffer_store_dword v2, off, s[0:3], 0 offset:132
	s_and_saveexec_b64 s[4:5], vcc
	s_cbranch_execz .LBB56_325
; %bb.324:
	buffer_load_dword v1, off, s[0:3], 0 offset:120
	buffer_load_dword v2, off, s[0:3], 0 offset:124
	v_mov_b32_e32 v3, 0
	buffer_store_dword v3, off, s[0:3], 0 offset:120
	buffer_store_dword v3, off, s[0:3], 0 offset:124
	s_waitcnt vmcnt(2)
	ds_write_b64 v115, v[1:2]
.LBB56_325:
	s_or_b64 exec, exec, s[4:5]
	s_waitcnt lgkmcnt(0)
	; wave barrier
	buffer_load_dword v125, off, s[0:3], 0 offset:132
	buffer_load_dword v124, off, s[0:3], 0 offset:140
	;; [unrolled: 1-line block ×32, first 2 shown]
	v_mov_b32_e32 v116, 0
	buffer_load_dword v207, off, s[0:3], 0 offset:248
	buffer_load_dword v208, off, s[0:3], 0 offset:252
	buffer_load_dword v209, off, s[0:3], 0 offset:256
	buffer_load_dword v210, off, s[0:3], 0 offset:260
	buffer_load_dword v211, off, s[0:3], 0 offset:264
	buffer_load_dword v212, off, s[0:3], 0 offset:268
	buffer_load_dword v213, off, s[0:3], 0 offset:272
	buffer_load_dword v214, off, s[0:3], 0 offset:276
	buffer_load_dword v215, off, s[0:3], 0 offset:280
	buffer_load_dword v216, off, s[0:3], 0 offset:284
	buffer_load_dword v217, off, s[0:3], 0 offset:288
	buffer_load_dword v218, off, s[0:3], 0 offset:292
	buffer_load_dword v219, off, s[0:3], 0 offset:296
	buffer_load_dword v220, off, s[0:3], 0 offset:300
	buffer_load_dword v221, off, s[0:3], 0 offset:304
	buffer_load_dword v222, off, s[0:3], 0 offset:308
	buffer_load_dword v223, off, s[0:3], 0 offset:312
	buffer_load_dword v224, off, s[0:3], 0 offset:316
	ds_read_b128 v[126:129], v116 offset:592
	ds_read_b128 v[130:133], v116 offset:608
	;; [unrolled: 1-line block ×6, first 2 shown]
	buffer_load_dword v225, off, s[0:3], 0 offset:320
	buffer_load_dword v226, off, s[0:3], 0 offset:324
	;; [unrolled: 1-line block ×6, first 2 shown]
	v_cmp_lt_u32_e32 vcc, 14, v0
	s_waitcnt vmcnt(55) lgkmcnt(5)
	v_mul_f32_e32 v1, v126, v125
	s_waitcnt vmcnt(54)
	v_mul_f32_e32 v2, v128, v124
	s_waitcnt vmcnt(53) lgkmcnt(4)
	v_mul_f32_e32 v150, v130, v123
	s_waitcnt vmcnt(52)
	v_mul_f32_e32 v151, v132, v122
	;; [unrolled: 4-line block ×5, first 2 shown]
	s_waitcnt vmcnt(45) lgkmcnt(0)
	v_mul_f32_e32 v158, v146, v6
	s_waitcnt vmcnt(44)
	v_fmac_f32_e32 v150, v131, v7
	s_waitcnt vmcnt(43)
	v_fmac_f32_e32 v2, v129, v8
	;; [unrolled: 2-line block ×3, first 2 shown]
	v_add_f32_e32 v1, 0, v1
	v_add_f32_e32 v1, v1, v2
	;; [unrolled: 1-line block ×3, first 2 shown]
	s_waitcnt vmcnt(38)
	v_fmac_f32_e32 v151, v133, v13
	v_fmac_f32_e32 v152, v135, v12
	v_add_f32_e32 v1, v1, v151
	v_fmac_f32_e32 v153, v137, v11
	v_add_f32_e32 v1, v1, v152
	v_add_f32_e32 v1, v1, v153
	ds_read_b128 v[150:153], v116 offset:688
	buffer_load_dword v231, off, s[0:3], 0 offset:344
	buffer_load_dword v232, off, s[0:3], 0 offset:348
	v_fmac_f32_e32 v154, v139, v10
	s_waitcnt vmcnt(36)
	v_fmac_f32_e32 v155, v141, v17
	v_add_f32_e32 v1, v1, v154
	v_fmac_f32_e32 v156, v143, v16
	v_add_f32_e32 v1, v1, v155
	;; [unrolled: 2-line block ×3, first 2 shown]
	v_add_f32_e32 v1, v1, v157
	ds_read_b128 v[154:157], v116 offset:704
	buffer_load_dword v233, off, s[0:3], 0 offset:352
	buffer_load_dword v234, off, s[0:3], 0 offset:356
	buffer_load_dword v235, off, s[0:3], 0 offset:364
	buffer_load_dword v236, off, s[0:3], 0 offset:368
	buffer_load_dword v237, off, s[0:3], 0 offset:372
	buffer_load_dword v238, off, s[0:3], 0 offset:360
	buffer_load_dword v239, off, s[0:3], 0 offset:376
	buffer_load_dword v240, off, s[0:3], 0 offset:380
	buffer_load_dword v241, off, s[0:3], 0 offset:384
	buffer_load_dword v242, off, s[0:3], 0 offset:388
	buffer_load_dword v243, off, s[0:3], 0 offset:396
	buffer_load_dword v244, off, s[0:3], 0 offset:400
	buffer_load_dword v245, off, s[0:3], 0 offset:404
	buffer_load_dword v246, off, s[0:3], 0 offset:392
	buffer_load_dword v247, off, s[0:3], 0 offset:408
	buffer_load_dword v248, off, s[0:3], 0 offset:412
	v_fmac_f32_e32 v158, v147, v14
	v_add_f32_e32 v1, v1, v158
	ds_read_b128 v[158:161], v116 offset:720
	buffer_load_dword v249, off, s[0:3], 0 offset:416
	buffer_load_dword v250, off, s[0:3], 0 offset:420
	;; [unrolled: 1-line block ×6, first 2 shown]
	ds_read_b128 v[162:165], v116 offset:736
	buffer_load_dword v255, off, s[0:3], 0 offset:444
	buffer_load_dword v25, off, s[0:3], 0 offset:448
	;; [unrolled: 1-line block ×4, first 2 shown]
	s_waitcnt vmcnt(61)
	v_mul_f32_e32 v2, v148, v18
	s_waitcnt vmcnt(55)
	v_fmac_f32_e32 v2, v149, v24
	v_add_f32_e32 v1, v1, v2
	s_waitcnt vmcnt(54) lgkmcnt(3)
	v_mul_f32_e32 v2, v150, v206
	v_fmac_f32_e32 v2, v151, v23
	v_add_f32_e32 v1, v1, v2
	v_mul_f32_e32 v2, v152, v20
	v_fmac_f32_e32 v2, v153, v19
	v_add_f32_e32 v1, v1, v2
	s_waitcnt lgkmcnt(2)
	v_mul_f32_e32 v2, v154, v22
	v_fmac_f32_e32 v2, v155, v21
	v_add_f32_e32 v1, v1, v2
	s_waitcnt vmcnt(50)
	v_mul_f32_e32 v2, v156, v208
	v_fmac_f32_e32 v2, v157, v207
	v_add_f32_e32 v1, v1, v2
	s_waitcnt vmcnt(48) lgkmcnt(1)
	v_mul_f32_e32 v2, v158, v210
	v_fmac_f32_e32 v2, v159, v209
	v_add_f32_e32 v1, v1, v2
	s_waitcnt vmcnt(46)
	v_mul_f32_e32 v2, v160, v212
	v_fmac_f32_e32 v2, v161, v211
	ds_read_b128 v[166:169], v116 offset:752
	ds_read_b128 v[170:173], v116 offset:768
	v_add_f32_e32 v1, v1, v2
	s_waitcnt vmcnt(44) lgkmcnt(2)
	v_mul_f32_e32 v2, v162, v214
	v_fmac_f32_e32 v2, v163, v213
	v_add_f32_e32 v1, v1, v2
	s_waitcnt vmcnt(42)
	v_mul_f32_e32 v2, v164, v216
	v_fmac_f32_e32 v2, v165, v215
	v_add_f32_e32 v1, v1, v2
	s_waitcnt vmcnt(40) lgkmcnt(1)
	v_mul_f32_e32 v2, v166, v218
	v_fmac_f32_e32 v2, v167, v217
	v_add_f32_e32 v1, v1, v2
	s_waitcnt vmcnt(38)
	v_mul_f32_e32 v2, v168, v220
	v_fmac_f32_e32 v2, v169, v219
	ds_read_b128 v[174:177], v116 offset:784
	ds_read_b128 v[178:181], v116 offset:800
	v_add_f32_e32 v1, v1, v2
	s_waitcnt vmcnt(36) lgkmcnt(2)
	v_mul_f32_e32 v2, v170, v222
	v_fmac_f32_e32 v2, v171, v221
	v_add_f32_e32 v1, v1, v2
	s_waitcnt vmcnt(34)
	v_mul_f32_e32 v2, v172, v224
	v_fmac_f32_e32 v2, v173, v223
	v_add_f32_e32 v1, v1, v2
	s_waitcnt vmcnt(32) lgkmcnt(1)
	v_mul_f32_e32 v2, v174, v226
	v_fmac_f32_e32 v2, v175, v225
	v_add_f32_e32 v1, v1, v2
	s_waitcnt vmcnt(31)
	v_mul_f32_e32 v2, v176, v227
	s_waitcnt vmcnt(28)
	v_fmac_f32_e32 v2, v177, v230
	ds_read_b128 v[182:185], v116 offset:816
	ds_read_b128 v[186:189], v116 offset:832
	v_add_f32_e32 v1, v1, v2
	s_waitcnt lgkmcnt(2)
	v_mul_f32_e32 v2, v178, v229
	v_fmac_f32_e32 v2, v179, v228
	v_add_f32_e32 v1, v1, v2
	ds_read_b128 v[190:193], v116 offset:848
	ds_read_b128 v[194:197], v116 offset:864
	;; [unrolled: 1-line block ×4, first 2 shown]
	v_mul_f32_e32 v3, v141, v3
	v_fma_f32 v3, v140, v17, -v3
	s_waitcnt vmcnt(26)
	v_mul_f32_e32 v2, v180, v232
	v_fmac_f32_e32 v2, v181, v231
	v_add_f32_e32 v1, v1, v2
	v_mul_f32_e32 v4, v143, v4
	v_fma_f32 v4, v142, v16, -v4
	s_waitcnt vmcnt(24) lgkmcnt(5)
	v_mul_f32_e32 v2, v182, v234
	v_fmac_f32_e32 v2, v183, v233
	v_add_f32_e32 v1, v1, v2
	s_waitcnt vmcnt(23)
	v_mul_f32_e32 v2, v184, v235
	s_waitcnt vmcnt(20)
	v_fmac_f32_e32 v2, v185, v238
	v_add_f32_e32 v1, v1, v2
	s_waitcnt lgkmcnt(4)
	v_mul_f32_e32 v2, v186, v237
	v_fmac_f32_e32 v2, v187, v236
	v_add_f32_e32 v1, v1, v2
	s_waitcnt vmcnt(18)
	v_mul_f32_e32 v2, v188, v240
	v_fmac_f32_e32 v2, v189, v239
	v_add_f32_e32 v1, v1, v2
	s_waitcnt vmcnt(16) lgkmcnt(3)
	v_mul_f32_e32 v2, v190, v242
	v_fmac_f32_e32 v2, v191, v241
	v_add_f32_e32 v1, v1, v2
	s_waitcnt vmcnt(15)
	v_mul_f32_e32 v2, v192, v243
	s_waitcnt vmcnt(12)
	v_fmac_f32_e32 v2, v193, v246
	v_add_f32_e32 v1, v1, v2
	s_waitcnt lgkmcnt(2)
	v_mul_f32_e32 v2, v194, v245
	v_fmac_f32_e32 v2, v195, v244
	v_add_f32_e32 v1, v1, v2
	s_waitcnt vmcnt(10)
	v_mul_f32_e32 v2, v196, v248
	v_fmac_f32_e32 v2, v197, v247
	v_add_f32_e32 v1, v1, v2
	s_waitcnt vmcnt(8) lgkmcnt(1)
	v_mul_f32_e32 v2, v198, v250
	v_fmac_f32_e32 v2, v199, v249
	v_add_f32_e32 v1, v1, v2
	s_waitcnt vmcnt(7)
	v_mul_f32_e32 v2, v200, v251
	s_waitcnt vmcnt(4)
	v_fmac_f32_e32 v2, v201, v254
	v_add_f32_e32 v28, v1, v2
	ds_read_b64 v[1:2], v116 offset:912
	s_waitcnt lgkmcnt(1)
	v_mul_f32_e32 v29, v202, v253
	v_fmac_f32_e32 v29, v203, v252
	v_add_f32_e32 v28, v28, v29
	s_waitcnt vmcnt(3)
	v_mul_f32_e32 v29, v204, v255
	s_waitcnt vmcnt(0)
	v_fmac_f32_e32 v29, v205, v27
	v_add_f32_e32 v28, v28, v29
	s_waitcnt lgkmcnt(0)
	v_mul_f32_e32 v29, v1, v26
	v_fmac_f32_e32 v29, v2, v25
	v_add_f32_e32 v28, v28, v29
	v_mul_f32_e32 v29, v127, v125
	v_fma_f32 v9, v126, v9, -v29
	v_mul_f32_e32 v29, v129, v124
	v_add_f32_e32 v9, 0, v9
	v_fma_f32 v8, v128, v8, -v29
	v_add_f32_e32 v8, v9, v8
	v_mul_f32_e32 v9, v131, v123
	v_fma_f32 v7, v130, v7, -v9
	v_add_f32_e32 v7, v8, v7
	v_mul_f32_e32 v8, v133, v122
	;; [unrolled: 3-line block ×5, first 2 shown]
	v_fma_f32 v8, v138, v10, -v8
	v_add_f32_e32 v7, v7, v8
	v_add_f32_e32 v3, v7, v3
	;; [unrolled: 1-line block ×3, first 2 shown]
	v_mul_f32_e32 v4, v145, v5
	v_fma_f32 v4, v144, v15, -v4
	v_add_f32_e32 v3, v3, v4
	v_mul_f32_e32 v4, v147, v6
	v_fma_f32 v4, v146, v14, -v4
	v_add_f32_e32 v3, v3, v4
	v_mul_f32_e32 v4, v149, v18
	v_fma_f32 v4, v148, v24, -v4
	v_add_f32_e32 v3, v3, v4
	v_mul_f32_e32 v4, v151, v206
	v_fma_f32 v4, v150, v23, -v4
	v_add_f32_e32 v3, v3, v4
	v_mul_f32_e32 v4, v153, v20
	v_fma_f32 v4, v152, v19, -v4
	v_add_f32_e32 v3, v3, v4
	v_mul_f32_e32 v4, v155, v22
	v_fma_f32 v4, v154, v21, -v4
	v_add_f32_e32 v3, v3, v4
	v_mul_f32_e32 v4, v157, v208
	v_fma_f32 v4, v156, v207, -v4
	v_add_f32_e32 v3, v3, v4
	v_mul_f32_e32 v4, v159, v210
	v_fma_f32 v4, v158, v209, -v4
	v_add_f32_e32 v3, v3, v4
	v_mul_f32_e32 v4, v161, v212
	v_fma_f32 v4, v160, v211, -v4
	v_add_f32_e32 v3, v3, v4
	v_mul_f32_e32 v4, v163, v214
	v_fma_f32 v4, v162, v213, -v4
	v_add_f32_e32 v3, v3, v4
	v_mul_f32_e32 v4, v165, v216
	v_fma_f32 v4, v164, v215, -v4
	v_add_f32_e32 v3, v3, v4
	v_mul_f32_e32 v4, v167, v218
	v_fma_f32 v4, v166, v217, -v4
	v_add_f32_e32 v3, v3, v4
	v_mul_f32_e32 v4, v169, v220
	v_fma_f32 v4, v168, v219, -v4
	v_add_f32_e32 v3, v3, v4
	v_mul_f32_e32 v4, v171, v222
	v_fma_f32 v4, v170, v221, -v4
	v_add_f32_e32 v3, v3, v4
	v_mul_f32_e32 v4, v173, v224
	v_fma_f32 v4, v172, v223, -v4
	v_add_f32_e32 v3, v3, v4
	v_mul_f32_e32 v4, v175, v226
	v_fma_f32 v4, v174, v225, -v4
	v_add_f32_e32 v3, v3, v4
	v_mul_f32_e32 v4, v177, v227
	v_fma_f32 v4, v176, v230, -v4
	v_add_f32_e32 v3, v3, v4
	v_mul_f32_e32 v4, v179, v229
	v_fma_f32 v4, v178, v228, -v4
	v_add_f32_e32 v3, v3, v4
	v_mul_f32_e32 v4, v181, v232
	v_fma_f32 v4, v180, v231, -v4
	v_add_f32_e32 v3, v3, v4
	v_mul_f32_e32 v4, v183, v234
	v_fma_f32 v4, v182, v233, -v4
	v_add_f32_e32 v3, v3, v4
	v_mul_f32_e32 v4, v185, v235
	v_fma_f32 v4, v184, v238, -v4
	v_add_f32_e32 v3, v3, v4
	v_mul_f32_e32 v4, v187, v237
	v_fma_f32 v4, v186, v236, -v4
	v_add_f32_e32 v3, v3, v4
	v_mul_f32_e32 v4, v189, v240
	v_fma_f32 v4, v188, v239, -v4
	v_add_f32_e32 v3, v3, v4
	v_mul_f32_e32 v4, v191, v242
	v_fma_f32 v4, v190, v241, -v4
	v_add_f32_e32 v3, v3, v4
	v_mul_f32_e32 v4, v193, v243
	v_fma_f32 v4, v192, v246, -v4
	v_add_f32_e32 v3, v3, v4
	v_mul_f32_e32 v4, v195, v245
	v_fma_f32 v4, v194, v244, -v4
	v_add_f32_e32 v3, v3, v4
	v_mul_f32_e32 v4, v197, v248
	v_fma_f32 v4, v196, v247, -v4
	v_add_f32_e32 v3, v3, v4
	v_mul_f32_e32 v4, v199, v250
	v_fma_f32 v4, v198, v249, -v4
	v_add_f32_e32 v3, v3, v4
	v_mul_f32_e32 v4, v201, v251
	v_fma_f32 v4, v200, v254, -v4
	v_add_f32_e32 v3, v3, v4
	v_mul_f32_e32 v4, v203, v253
	v_fma_f32 v4, v202, v252, -v4
	v_add_f32_e32 v3, v3, v4
	v_mul_f32_e32 v4, v205, v255
	v_fma_f32 v4, v204, v27, -v4
	v_mul_f32_e32 v2, v2, v26
	v_add_f32_e32 v3, v3, v4
	v_fma_f32 v1, v1, v25, -v2
	v_add_f32_e32 v1, v3, v1
	v_sub_f32_e32 v1, v117, v1
	v_sub_f32_e32 v2, v118, v28
	buffer_store_dword v1, off, s[0:3], 0 offset:120
	buffer_store_dword v2, off, s[0:3], 0 offset:124
	s_and_saveexec_b64 s[4:5], vcc
	s_cbranch_execz .LBB56_327
; %bb.326:
	buffer_load_dword v1, off, s[0:3], 0 offset:112
	buffer_load_dword v2, off, s[0:3], 0 offset:116
	s_waitcnt vmcnt(0)
	ds_write_b64 v115, v[1:2]
	buffer_store_dword v116, off, s[0:3], 0 offset:112
	buffer_store_dword v116, off, s[0:3], 0 offset:116
.LBB56_327:
	s_or_b64 exec, exec, s[4:5]
	s_waitcnt lgkmcnt(0)
	; wave barrier
	buffer_load_dword v1, off, s[0:3], 0 offset:124
	buffer_load_dword v2, off, s[0:3], 0 offset:132
	;; [unrolled: 1-line block ×32, first 2 shown]
	ds_read2_b64 v[117:120], v116 offset0:73 offset1:74
	ds_read2_b64 v[121:124], v116 offset0:75 offset1:76
	ds_read2_b64 v[125:128], v116 offset0:77 offset1:78
	ds_read2_b64 v[129:132], v116 offset0:79 offset1:80
	ds_read2_b64 v[133:136], v116 offset0:81 offset1:82
	ds_read2_b64 v[137:140], v116 offset0:83 offset1:84
	buffer_load_dword v203, off, s[0:3], 0 offset:240
	buffer_load_dword v204, off, s[0:3], 0 offset:244
	;; [unrolled: 1-line block ×18, first 2 shown]
	v_cmp_lt_u32_e32 vcc, 13, v0
	s_waitcnt vmcnt(49) lgkmcnt(5)
	v_mul_f32_e32 v141, v117, v1
	s_waitcnt vmcnt(48)
	v_mul_f32_e32 v142, v119, v2
	s_waitcnt vmcnt(47) lgkmcnt(4)
	v_mul_f32_e32 v143, v121, v3
	s_waitcnt vmcnt(46)
	v_mul_f32_e32 v144, v123, v4
	;; [unrolled: 4-line block ×6, first 2 shown]
	s_waitcnt vmcnt(37)
	v_fmac_f32_e32 v143, v122, v13
	s_waitcnt vmcnt(36)
	v_fmac_f32_e32 v142, v120, v14
	;; [unrolled: 2-line block ×3, first 2 shown]
	v_add_f32_e32 v141, 0, v141
	v_add_f32_e32 v141, v141, v142
	;; [unrolled: 1-line block ×3, first 2 shown]
	s_waitcnt vmcnt(31)
	v_fmac_f32_e32 v144, v124, v19
	v_fmac_f32_e32 v145, v126, v18
	v_add_f32_e32 v141, v141, v144
	v_fmac_f32_e32 v146, v128, v17
	v_add_f32_e32 v141, v141, v145
	;; [unrolled: 2-line block ×3, first 2 shown]
	s_waitcnt vmcnt(27)
	v_fmac_f32_e32 v148, v132, v23
	v_add_f32_e32 v141, v141, v147
	v_fmac_f32_e32 v149, v134, v22
	v_add_f32_e32 v141, v141, v148
	;; [unrolled: 2-line block ×3, first 2 shown]
	v_add_f32_e32 v145, v141, v150
	ds_read2_b64 v[141:144], v116 offset0:85 offset1:86
	buffer_load_dword v221, off, s[0:3], 0 offset:312
	buffer_load_dword v222, off, s[0:3], 0 offset:316
	;; [unrolled: 1-line block ×6, first 2 shown]
	v_fmac_f32_e32 v151, v138, v20
	s_waitcnt vmcnt(27)
	v_fmac_f32_e32 v152, v140, v29
	v_add_f32_e32 v145, v145, v151
	v_add_f32_e32 v149, v145, v152
	ds_read2_b64 v[145:148], v116 offset0:87 offset1:88
	buffer_load_dword v227, off, s[0:3], 0 offset:336
	buffer_load_dword v228, off, s[0:3], 0 offset:340
	;; [unrolled: 1-line block ×10, first 2 shown]
	s_waitcnt vmcnt(36) lgkmcnt(1)
	v_mul_f32_e32 v150, v141, v30
	buffer_load_dword v237, off, s[0:3], 0 offset:376
	buffer_load_dword v238, off, s[0:3], 0 offset:380
	;; [unrolled: 1-line block ×6, first 2 shown]
	v_fmac_f32_e32 v150, v142, v28
	v_add_f32_e32 v149, v149, v150
	v_mul_f32_e32 v150, v143, v25
	v_fmac_f32_e32 v150, v144, v24
	v_add_f32_e32 v149, v149, v150
	s_waitcnt lgkmcnt(0)
	v_mul_f32_e32 v150, v145, v27
	v_fmac_f32_e32 v150, v146, v26
	v_add_f32_e32 v153, v149, v150
	ds_read2_b64 v[149:152], v116 offset0:89 offset1:90
	buffer_load_dword v243, off, s[0:3], 0 offset:400
	buffer_load_dword v244, off, s[0:3], 0 offset:404
	s_waitcnt vmcnt(40)
	v_mul_f32_e32 v154, v147, v204
	v_fmac_f32_e32 v154, v148, v203
	v_add_f32_e32 v157, v153, v154
	ds_read2_b64 v[153:156], v116 offset0:91 offset1:92
	buffer_load_dword v245, off, s[0:3], 0 offset:408
	buffer_load_dword v246, off, s[0:3], 0 offset:412
	;; [unrolled: 1-line block ×12, first 2 shown]
	v_mul_f32_e32 v1, v118, v1
	v_fma_f32 v1, v117, v15, -v1
	v_mul_f32_e32 v2, v120, v2
	v_add_f32_e32 v1, 0, v1
	v_fma_f32 v2, v119, v14, -v2
	v_add_f32_e32 v1, v1, v2
	v_mul_f32_e32 v2, v122, v3
	v_fma_f32 v2, v121, v13, -v2
	v_add_f32_e32 v1, v1, v2
	v_mul_f32_e32 v2, v124, v4
	;; [unrolled: 3-line block ×6, first 2 shown]
	v_fma_f32 v2, v131, v23, -v2
	s_waitcnt vmcnt(50) lgkmcnt(1)
	v_mul_f32_e32 v158, v149, v206
	v_add_f32_e32 v1, v1, v2
	v_mul_f32_e32 v2, v134, v9
	v_fmac_f32_e32 v158, v150, v205
	v_fma_f32 v2, v133, v22, -v2
	v_add_f32_e32 v157, v157, v158
	s_waitcnt vmcnt(48)
	v_mul_f32_e32 v158, v151, v208
	v_add_f32_e32 v1, v1, v2
	v_mul_f32_e32 v2, v136, v10
	v_fmac_f32_e32 v158, v152, v207
	v_fma_f32 v2, v135, v21, -v2
	v_add_f32_e32 v32, v157, v158
	s_waitcnt vmcnt(46) lgkmcnt(0)
	v_mul_f32_e32 v157, v153, v210
	v_add_f32_e32 v1, v1, v2
	v_mul_f32_e32 v2, v138, v11
	v_fmac_f32_e32 v157, v154, v209
	v_fma_f32 v2, v137, v20, -v2
	v_add_f32_e32 v32, v32, v157
	ds_read2_b64 v[157:160], v116 offset0:93 offset1:94
	v_add_f32_e32 v1, v1, v2
	v_mul_f32_e32 v2, v140, v12
	v_fma_f32 v2, v139, v29, -v2
	s_waitcnt vmcnt(44)
	v_mul_f32_e32 v161, v155, v212
	v_add_f32_e32 v1, v1, v2
	v_mul_f32_e32 v2, v142, v30
	v_fmac_f32_e32 v161, v156, v211
	v_fma_f32 v2, v141, v28, -v2
	v_add_f32_e32 v32, v32, v161
	ds_read2_b64 v[161:164], v116 offset0:95 offset1:96
	v_add_f32_e32 v1, v1, v2
	v_mul_f32_e32 v2, v144, v25
	s_waitcnt vmcnt(42) lgkmcnt(1)
	v_mul_f32_e32 v165, v157, v214
	v_fma_f32 v2, v143, v24, -v2
	v_fmac_f32_e32 v165, v158, v213
	v_add_f32_e32 v1, v1, v2
	v_mul_f32_e32 v2, v146, v27
	v_add_f32_e32 v32, v32, v165
	s_waitcnt vmcnt(40)
	v_mul_f32_e32 v165, v159, v216
	v_fma_f32 v2, v145, v26, -v2
	v_fmac_f32_e32 v165, v160, v215
	v_add_f32_e32 v1, v1, v2
	v_mul_f32_e32 v2, v148, v204
	v_add_f32_e32 v32, v32, v165
	s_waitcnt vmcnt(38) lgkmcnt(0)
	v_mul_f32_e32 v165, v161, v218
	v_fma_f32 v2, v147, v203, -v2
	v_fmac_f32_e32 v165, v162, v217
	v_add_f32_e32 v1, v1, v2
	v_mul_f32_e32 v2, v150, v206
	v_add_f32_e32 v32, v32, v165
	ds_read2_b64 v[165:168], v116 offset0:97 offset1:98
	v_fma_f32 v2, v149, v205, -v2
	v_add_f32_e32 v1, v1, v2
	v_mul_f32_e32 v2, v152, v208
	s_waitcnt vmcnt(36)
	v_mul_f32_e32 v169, v163, v220
	v_fma_f32 v2, v151, v207, -v2
	v_fmac_f32_e32 v169, v164, v219
	v_add_f32_e32 v1, v1, v2
	v_mul_f32_e32 v2, v154, v210
	v_add_f32_e32 v32, v32, v169
	ds_read2_b64 v[169:172], v116 offset0:99 offset1:100
	v_fma_f32 v2, v153, v209, -v2
	s_waitcnt vmcnt(34) lgkmcnt(1)
	v_mul_f32_e32 v173, v165, v222
	v_add_f32_e32 v1, v1, v2
	v_mul_f32_e32 v2, v156, v212
	v_fmac_f32_e32 v173, v166, v221
	v_fma_f32 v2, v155, v211, -v2
	v_add_f32_e32 v32, v32, v173
	s_waitcnt vmcnt(33)
	v_mul_f32_e32 v173, v167, v223
	v_add_f32_e32 v1, v1, v2
	v_mul_f32_e32 v2, v158, v214
	s_waitcnt vmcnt(30)
	v_fmac_f32_e32 v173, v168, v226
	v_fma_f32 v2, v157, v213, -v2
	v_add_f32_e32 v32, v32, v173
	s_waitcnt lgkmcnt(0)
	v_mul_f32_e32 v173, v169, v225
	v_add_f32_e32 v1, v1, v2
	v_mul_f32_e32 v2, v160, v216
	v_fmac_f32_e32 v173, v170, v224
	v_fma_f32 v2, v159, v215, -v2
	v_add_f32_e32 v32, v32, v173
	ds_read2_b64 v[173:176], v116 offset0:101 offset1:102
	v_add_f32_e32 v1, v1, v2
	v_mul_f32_e32 v2, v162, v218
	v_fma_f32 v2, v161, v217, -v2
	s_waitcnt vmcnt(28)
	v_mul_f32_e32 v177, v171, v228
	v_add_f32_e32 v1, v1, v2
	v_mul_f32_e32 v2, v164, v220
	v_fmac_f32_e32 v177, v172, v227
	v_fma_f32 v2, v163, v219, -v2
	v_add_f32_e32 v32, v32, v177
	ds_read2_b64 v[177:180], v116 offset0:103 offset1:104
	v_add_f32_e32 v1, v1, v2
	v_mul_f32_e32 v2, v166, v222
	s_waitcnt vmcnt(26) lgkmcnt(1)
	v_mul_f32_e32 v181, v173, v230
	v_fma_f32 v2, v165, v221, -v2
	v_fmac_f32_e32 v181, v174, v229
	v_add_f32_e32 v1, v1, v2
	v_mul_f32_e32 v2, v168, v223
	v_add_f32_e32 v32, v32, v181
	s_waitcnt vmcnt(25)
	v_mul_f32_e32 v181, v175, v231
	v_fma_f32 v2, v167, v226, -v2
	s_waitcnt vmcnt(22)
	v_fmac_f32_e32 v181, v176, v234
	v_add_f32_e32 v1, v1, v2
	v_mul_f32_e32 v2, v170, v225
	v_add_f32_e32 v32, v32, v181
	s_waitcnt lgkmcnt(0)
	v_mul_f32_e32 v181, v177, v233
	v_fma_f32 v2, v169, v224, -v2
	v_fmac_f32_e32 v181, v178, v232
	v_add_f32_e32 v1, v1, v2
	v_mul_f32_e32 v2, v172, v228
	v_add_f32_e32 v32, v32, v181
	ds_read2_b64 v[181:184], v116 offset0:105 offset1:106
	v_fma_f32 v2, v171, v227, -v2
	v_add_f32_e32 v1, v1, v2
	v_mul_f32_e32 v2, v174, v230
	s_waitcnt vmcnt(20)
	v_mul_f32_e32 v185, v179, v236
	v_fma_f32 v2, v173, v229, -v2
	v_fmac_f32_e32 v185, v180, v235
	v_add_f32_e32 v1, v1, v2
	v_mul_f32_e32 v2, v176, v231
	v_add_f32_e32 v32, v32, v185
	ds_read2_b64 v[185:188], v116 offset0:107 offset1:108
	v_fma_f32 v2, v175, v234, -v2
	s_waitcnt vmcnt(18) lgkmcnt(1)
	v_mul_f32_e32 v189, v181, v238
	v_add_f32_e32 v1, v1, v2
	v_mul_f32_e32 v2, v178, v233
	v_fmac_f32_e32 v189, v182, v237
	v_fma_f32 v2, v177, v232, -v2
	v_add_f32_e32 v32, v32, v189
	s_waitcnt vmcnt(17)
	v_mul_f32_e32 v189, v183, v239
	v_add_f32_e32 v1, v1, v2
	v_mul_f32_e32 v2, v180, v236
	s_waitcnt vmcnt(14)
	v_fmac_f32_e32 v189, v184, v242
	v_fma_f32 v2, v179, v235, -v2
	v_add_f32_e32 v32, v32, v189
	s_waitcnt lgkmcnt(0)
	v_mul_f32_e32 v189, v185, v241
	v_add_f32_e32 v1, v1, v2
	v_mul_f32_e32 v2, v182, v238
	v_fmac_f32_e32 v189, v186, v240
	v_fma_f32 v2, v181, v237, -v2
	v_add_f32_e32 v32, v32, v189
	ds_read2_b64 v[189:192], v116 offset0:109 offset1:110
	v_add_f32_e32 v1, v1, v2
	v_mul_f32_e32 v2, v184, v239
	v_fma_f32 v2, v183, v242, -v2
	v_add_f32_e32 v1, v1, v2
	v_mul_f32_e32 v2, v186, v241
	s_waitcnt vmcnt(12)
	v_mul_f32_e32 v193, v187, v244
	v_fma_f32 v2, v185, v240, -v2
	v_fmac_f32_e32 v193, v188, v243
	v_add_f32_e32 v1, v1, v2
	v_mul_f32_e32 v2, v188, v244
	v_add_f32_e32 v32, v32, v193
	ds_read2_b64 v[193:196], v116 offset0:111 offset1:112
	s_waitcnt vmcnt(10) lgkmcnt(1)
	v_mul_f32_e32 v197, v189, v246
	v_fma_f32 v2, v187, v243, -v2
	v_fmac_f32_e32 v197, v190, v245
	v_add_f32_e32 v1, v1, v2
	v_mul_f32_e32 v2, v190, v246
	v_add_f32_e32 v32, v32, v197
	s_waitcnt vmcnt(9)
	v_mul_f32_e32 v197, v191, v247
	v_fma_f32 v2, v189, v245, -v2
	s_waitcnt vmcnt(6)
	v_fmac_f32_e32 v197, v192, v250
	v_add_f32_e32 v1, v1, v2
	v_mul_f32_e32 v2, v192, v247
	v_add_f32_e32 v32, v32, v197
	ds_read2_b64 v[197:200], v116 offset0:113 offset1:114
	v_fma_f32 v2, v191, v250, -v2
	v_add_f32_e32 v1, v1, v2
	s_waitcnt lgkmcnt(1)
	v_mul_f32_e32 v2, v194, v249
	v_mul_f32_e32 v33, v193, v249
	v_fma_f32 v2, v193, v248, -v2
	v_fmac_f32_e32 v33, v194, v248
	v_add_f32_e32 v1, v1, v2
	s_waitcnt vmcnt(4)
	v_mul_f32_e32 v2, v196, v252
	v_add_f32_e32 v32, v32, v33
	v_mul_f32_e32 v33, v195, v252
	v_fma_f32 v2, v195, v251, -v2
	v_fmac_f32_e32 v33, v196, v251
	v_add_f32_e32 v1, v1, v2
	s_waitcnt vmcnt(3) lgkmcnt(0)
	v_mul_f32_e32 v2, v198, v253
	v_add_f32_e32 v32, v32, v33
	v_mul_f32_e32 v33, v197, v253
	s_waitcnt vmcnt(0)
	v_fma_f32 v2, v197, v31, -v2
	v_fmac_f32_e32 v33, v198, v31
	v_add_f32_e32 v1, v1, v2
	v_mul_f32_e32 v2, v200, v255
	v_add_f32_e32 v32, v32, v33
	v_mul_f32_e32 v33, v199, v255
	v_fma_f32 v2, v199, v254, -v2
	v_fmac_f32_e32 v33, v200, v254
	v_add_f32_e32 v1, v1, v2
	v_add_f32_e32 v32, v32, v33
	v_sub_f32_e32 v1, v201, v1
	v_sub_f32_e32 v2, v202, v32
	buffer_store_dword v1, off, s[0:3], 0 offset:112
	buffer_store_dword v2, off, s[0:3], 0 offset:116
	s_and_saveexec_b64 s[4:5], vcc
	s_cbranch_execz .LBB56_329
; %bb.328:
	buffer_load_dword v1, off, s[0:3], 0 offset:104
	buffer_load_dword v2, off, s[0:3], 0 offset:108
	v_mov_b32_e32 v3, 0
	buffer_store_dword v3, off, s[0:3], 0 offset:104
	buffer_store_dword v3, off, s[0:3], 0 offset:108
	s_waitcnt vmcnt(2)
	ds_write_b64 v115, v[1:2]
.LBB56_329:
	s_or_b64 exec, exec, s[4:5]
	s_waitcnt lgkmcnt(0)
	; wave barrier
	buffer_load_dword v125, off, s[0:3], 0 offset:116
	buffer_load_dword v124, off, s[0:3], 0 offset:124
	buffer_load_dword v123, off, s[0:3], 0 offset:132
	buffer_load_dword v122, off, s[0:3], 0 offset:140
	buffer_load_dword v121, off, s[0:3], 0 offset:148
	buffer_load_dword v120, off, s[0:3], 0 offset:156
	buffer_load_dword v119, off, s[0:3], 0 offset:164
	buffer_load_dword v126, off, s[0:3], 0 offset:172
	buffer_load_dword v127, off, s[0:3], 0 offset:180
	buffer_load_dword v128, off, s[0:3], 0 offset:188
	buffer_load_dword v129, off, s[0:3], 0 offset:196
	buffer_load_dword v130, off, s[0:3], 0 offset:204
	buffer_load_dword v3, off, s[0:3], 0 offset:128
	buffer_load_dword v4, off, s[0:3], 0 offset:120
	buffer_load_dword v5, off, s[0:3], 0 offset:112
	buffer_load_dword v6, off, s[0:3], 0 offset:160
	buffer_load_dword v7, off, s[0:3], 0 offset:152
	buffer_load_dword v8, off, s[0:3], 0 offset:144
	buffer_load_dword v9, off, s[0:3], 0 offset:136
	buffer_load_dword v10, off, s[0:3], 0 offset:192
	buffer_load_dword v11, off, s[0:3], 0 offset:184
	buffer_load_dword v12, off, s[0:3], 0 offset:176
	buffer_load_dword v13, off, s[0:3], 0 offset:168
	buffer_load_dword v14, off, s[0:3], 0 offset:224
	buffer_load_dword v15, off, s[0:3], 0 offset:228
	buffer_load_dword v16, off, s[0:3], 0 offset:216
	buffer_load_dword v17, off, s[0:3], 0 offset:208
	buffer_load_dword v18, off, s[0:3], 0 offset:200
	buffer_load_dword v19, off, s[0:3], 0 offset:212
	buffer_load_dword v20, off, s[0:3], 0 offset:220
	buffer_load_dword v117, off, s[0:3], 0 offset:104
	buffer_load_dword v118, off, s[0:3], 0 offset:108
	v_mov_b32_e32 v116, 0
	buffer_load_dword v21, off, s[0:3], 0 offset:232
	buffer_load_dword v22, off, s[0:3], 0 offset:236
	;; [unrolled: 1-line block ×16, first 2 shown]
	ds_read_b128 v[131:134], v116 offset:576
	ds_read_b128 v[135:138], v116 offset:592
	;; [unrolled: 1-line block ×6, first 2 shown]
	buffer_load_dword v217, off, s[0:3], 0 offset:296
	buffer_load_dword v218, off, s[0:3], 0 offset:300
	v_cmp_lt_u32_e32 vcc, 12, v0
	s_waitcnt vmcnt(49) lgkmcnt(5)
	v_mul_f32_e32 v1, v131, v125
	s_waitcnt vmcnt(48)
	v_mul_f32_e32 v2, v133, v124
	s_waitcnt vmcnt(47) lgkmcnt(4)
	v_mul_f32_e32 v155, v135, v123
	s_waitcnt vmcnt(46)
	v_mul_f32_e32 v156, v137, v122
	;; [unrolled: 4-line block ×6, first 2 shown]
	s_waitcnt vmcnt(37)
	v_fmac_f32_e32 v155, v136, v3
	s_waitcnt vmcnt(36)
	v_fmac_f32_e32 v2, v134, v4
	;; [unrolled: 2-line block ×3, first 2 shown]
	v_add_f32_e32 v1, 0, v1
	v_add_f32_e32 v1, v1, v2
	;; [unrolled: 1-line block ×3, first 2 shown]
	s_waitcnt vmcnt(31)
	v_fmac_f32_e32 v156, v138, v9
	v_fmac_f32_e32 v157, v140, v8
	v_add_f32_e32 v1, v1, v156
	v_fmac_f32_e32 v158, v142, v7
	v_add_f32_e32 v1, v1, v157
	;; [unrolled: 2-line block ×3, first 2 shown]
	s_waitcnt vmcnt(27)
	v_fmac_f32_e32 v160, v146, v13
	v_add_f32_e32 v1, v1, v159
	ds_read_b128 v[155:158], v116 offset:672
	buffer_load_dword v219, off, s[0:3], 0 offset:304
	buffer_load_dword v220, off, s[0:3], 0 offset:308
	;; [unrolled: 1-line block ×6, first 2 shown]
	v_fmac_f32_e32 v161, v148, v12
	v_add_f32_e32 v1, v1, v160
	v_fmac_f32_e32 v162, v150, v11
	v_add_f32_e32 v1, v1, v161
	v_add_f32_e32 v1, v1, v162
	ds_read_b128 v[159:162], v116 offset:688
	buffer_load_dword v225, off, s[0:3], 0 offset:328
	buffer_load_dword v226, off, s[0:3], 0 offset:332
	;; [unrolled: 1-line block ×10, first 2 shown]
	v_fmac_f32_e32 v163, v152, v10
	s_waitcnt vmcnt(38)
	v_fmac_f32_e32 v164, v154, v18
	v_add_f32_e32 v1, v1, v163
	v_add_f32_e32 v1, v1, v164
	ds_read_b128 v[163:166], v116 offset:704
	buffer_load_dword v235, off, s[0:3], 0 offset:368
	buffer_load_dword v236, off, s[0:3], 0 offset:372
	;; [unrolled: 1-line block ×6, first 2 shown]
	ds_read_b128 v[167:170], v116 offset:720
	buffer_load_dword v241, off, s[0:3], 0 offset:392
	buffer_load_dword v242, off, s[0:3], 0 offset:396
	;; [unrolled: 1-line block ×16, first 2 shown]
	s_waitcnt vmcnt(59) lgkmcnt(3)
	v_mul_f32_e32 v2, v155, v19
	v_fmac_f32_e32 v2, v156, v17
	v_add_f32_e32 v1, v1, v2
	s_waitcnt vmcnt(58)
	v_mul_f32_e32 v2, v157, v20
	v_fmac_f32_e32 v2, v158, v16
	v_add_f32_e32 v1, v1, v2
	s_waitcnt lgkmcnt(2)
	v_mul_f32_e32 v2, v159, v15
	v_fmac_f32_e32 v2, v160, v14
	v_add_f32_e32 v1, v1, v2
	s_waitcnt vmcnt(54)
	v_mul_f32_e32 v2, v161, v22
	v_fmac_f32_e32 v2, v162, v21
	v_add_f32_e32 v1, v1, v2
	s_waitcnt vmcnt(52) lgkmcnt(1)
	v_mul_f32_e32 v2, v163, v24
	v_fmac_f32_e32 v2, v164, v23
	v_add_f32_e32 v1, v1, v2
	s_waitcnt vmcnt(50)
	v_mul_f32_e32 v2, v165, v26
	v_fmac_f32_e32 v2, v166, v25
	ds_read_b128 v[171:174], v116 offset:736
	ds_read_b128 v[175:178], v116 offset:752
	v_add_f32_e32 v1, v1, v2
	s_waitcnt vmcnt(48) lgkmcnt(2)
	v_mul_f32_e32 v2, v167, v28
	v_fmac_f32_e32 v2, v168, v27
	v_add_f32_e32 v1, v1, v2
	s_waitcnt vmcnt(46)
	v_mul_f32_e32 v2, v169, v30
	v_fmac_f32_e32 v2, v170, v29
	v_add_f32_e32 v1, v1, v2
	s_waitcnt vmcnt(44) lgkmcnt(1)
	v_mul_f32_e32 v2, v171, v32
	v_fmac_f32_e32 v2, v172, v31
	v_add_f32_e32 v1, v1, v2
	s_waitcnt vmcnt(42)
	v_mul_f32_e32 v2, v173, v34
	v_fmac_f32_e32 v2, v174, v33
	ds_read_b128 v[179:182], v116 offset:768
	ds_read_b128 v[183:186], v116 offset:784
	v_add_f32_e32 v1, v1, v2
	s_waitcnt vmcnt(40) lgkmcnt(2)
	v_mul_f32_e32 v2, v175, v216
	v_fmac_f32_e32 v2, v176, v215
	v_add_f32_e32 v1, v1, v2
	s_waitcnt vmcnt(38)
	v_mul_f32_e32 v2, v177, v218
	v_fmac_f32_e32 v2, v178, v217
	v_add_f32_e32 v1, v1, v2
	ds_read_b128 v[187:190], v116 offset:800
	ds_read_b128 v[191:194], v116 offset:816
	;; [unrolled: 1-line block ×7, first 2 shown]
	s_waitcnt vmcnt(36) lgkmcnt(8)
	v_mul_f32_e32 v2, v179, v220
	v_fmac_f32_e32 v2, v180, v219
	v_add_f32_e32 v1, v1, v2
	s_waitcnt vmcnt(35)
	v_mul_f32_e32 v2, v181, v221
	s_waitcnt vmcnt(32)
	v_fmac_f32_e32 v2, v182, v224
	v_add_f32_e32 v1, v1, v2
	s_waitcnt lgkmcnt(7)
	v_mul_f32_e32 v2, v183, v223
	v_fmac_f32_e32 v2, v184, v222
	v_add_f32_e32 v1, v1, v2
	s_waitcnt vmcnt(30)
	v_mul_f32_e32 v2, v185, v226
	v_fmac_f32_e32 v2, v186, v225
	v_add_f32_e32 v1, v1, v2
	s_waitcnt vmcnt(28) lgkmcnt(6)
	v_mul_f32_e32 v2, v187, v228
	v_fmac_f32_e32 v2, v188, v227
	v_add_f32_e32 v1, v1, v2
	s_waitcnt vmcnt(27)
	v_mul_f32_e32 v2, v189, v229
	s_waitcnt vmcnt(24)
	v_fmac_f32_e32 v2, v190, v232
	v_add_f32_e32 v1, v1, v2
	s_waitcnt lgkmcnt(5)
	v_mul_f32_e32 v2, v191, v231
	v_fmac_f32_e32 v2, v192, v230
	v_add_f32_e32 v1, v1, v2
	s_waitcnt vmcnt(22)
	v_mul_f32_e32 v2, v193, v234
	v_fmac_f32_e32 v2, v194, v233
	v_add_f32_e32 v1, v1, v2
	;; [unrolled: 17-line block ×4, first 2 shown]
	ds_read_b64 v[1:2], v116 offset:912
	s_waitcnt vmcnt(4) lgkmcnt(1)
	v_mul_f32_e32 v37, v211, v252
	v_fmac_f32_e32 v37, v212, v251
	v_add_f32_e32 v36, v36, v37
	s_waitcnt vmcnt(3)
	v_mul_f32_e32 v37, v213, v253
	s_waitcnt vmcnt(0)
	v_fmac_f32_e32 v37, v214, v35
	v_add_f32_e32 v36, v36, v37
	s_waitcnt lgkmcnt(0)
	v_mul_f32_e32 v37, v1, v255
	v_fmac_f32_e32 v37, v2, v254
	v_add_f32_e32 v36, v36, v37
	v_mul_f32_e32 v37, v132, v125
	v_fma_f32 v5, v131, v5, -v37
	v_mul_f32_e32 v37, v134, v124
	v_add_f32_e32 v5, 0, v5
	v_fma_f32 v4, v133, v4, -v37
	v_add_f32_e32 v4, v5, v4
	v_mul_f32_e32 v5, v136, v123
	v_fma_f32 v3, v135, v3, -v5
	v_add_f32_e32 v3, v4, v3
	v_mul_f32_e32 v4, v138, v122
	;; [unrolled: 3-line block ×40, first 2 shown]
	v_fma_f32 v4, v213, v35, -v4
	v_mul_f32_e32 v2, v2, v255
	v_add_f32_e32 v3, v3, v4
	v_fma_f32 v1, v1, v254, -v2
	v_add_f32_e32 v1, v3, v1
	v_sub_f32_e32 v1, v117, v1
	v_sub_f32_e32 v2, v118, v36
	buffer_store_dword v1, off, s[0:3], 0 offset:104
	buffer_store_dword v2, off, s[0:3], 0 offset:108
	s_and_saveexec_b64 s[4:5], vcc
	s_cbranch_execz .LBB56_331
; %bb.330:
	buffer_load_dword v1, off, s[0:3], 0 offset:96
	buffer_load_dword v2, off, s[0:3], 0 offset:100
	s_waitcnt vmcnt(0)
	ds_write_b64 v115, v[1:2]
	buffer_store_dword v116, off, s[0:3], 0 offset:96
	buffer_store_dword v116, off, s[0:3], 0 offset:100
.LBB56_331:
	s_or_b64 exec, exec, s[4:5]
	s_waitcnt lgkmcnt(0)
	; wave barrier
	buffer_load_dword v125, off, s[0:3], 0 offset:108
	buffer_load_dword v124, off, s[0:3], 0 offset:116
	;; [unrolled: 1-line block ×32, first 2 shown]
	ds_read2_b64 v[131:134], v116 offset0:71 offset1:72
	ds_read2_b64 v[135:138], v116 offset0:73 offset1:74
	;; [unrolled: 1-line block ×4, first 2 shown]
	buffer_load_dword v19, off, s[0:3], 0 offset:224
	buffer_load_dword v20, off, s[0:3], 0 offset:228
	ds_read2_b64 v[147:150], v116 offset0:79 offset1:80
	ds_read2_b64 v[151:154], v116 offset0:81 offset1:82
	;; [unrolled: 1-line block ×3, first 2 shown]
	buffer_load_dword v21, off, s[0:3], 0 offset:232
	buffer_load_dword v22, off, s[0:3], 0 offset:236
	;; [unrolled: 1-line block ×14, first 2 shown]
	v_cmp_lt_u32_e32 vcc, 11, v0
	s_waitcnt vmcnt(47) lgkmcnt(6)
	v_mul_f32_e32 v35, v131, v125
	s_waitcnt vmcnt(46)
	v_mul_f32_e32 v36, v133, v124
	s_waitcnt vmcnt(45) lgkmcnt(5)
	v_mul_f32_e32 v37, v135, v123
	s_waitcnt vmcnt(44)
	v_mul_f32_e32 v38, v137, v122
	;; [unrolled: 4-line block ×6, first 2 shown]
	s_waitcnt vmcnt(35)
	v_fmac_f32_e32 v37, v136, v1
	s_waitcnt vmcnt(34)
	v_fmac_f32_e32 v36, v134, v2
	;; [unrolled: 2-line block ×3, first 2 shown]
	v_add_f32_e32 v35, 0, v35
	v_add_f32_e32 v35, v35, v36
	;; [unrolled: 1-line block ×3, first 2 shown]
	buffer_load_dword v36, off, s[0:3], 0 offset:288
	buffer_load_dword v37, off, s[0:3], 0 offset:292
	s_waitcnt vmcnt(31)
	v_fmac_f32_e32 v38, v138, v7
	v_fmac_f32_e32 v159, v140, v6
	v_add_f32_e32 v35, v35, v38
	v_fmac_f32_e32 v160, v142, v5
	v_add_f32_e32 v35, v35, v159
	;; [unrolled: 2-line block ×3, first 2 shown]
	s_waitcnt vmcnt(27)
	v_fmac_f32_e32 v162, v146, v11
	v_add_f32_e32 v35, v35, v161
	v_add_f32_e32 v35, v35, v162
	ds_read2_b64 v[159:162], v116 offset0:85 offset1:86
	buffer_load_dword v219, off, s[0:3], 0 offset:296
	buffer_load_dword v220, off, s[0:3], 0 offset:300
	;; [unrolled: 1-line block ×8, first 2 shown]
	v_fmac_f32_e32 v163, v148, v10
	buffer_load_dword v227, off, s[0:3], 0 offset:328
	buffer_load_dword v228, off, s[0:3], 0 offset:332
	;; [unrolled: 1-line block ×6, first 2 shown]
	v_fmac_f32_e32 v164, v150, v9
	v_add_f32_e32 v35, v35, v163
	v_fmac_f32_e32 v165, v152, v8
	v_add_f32_e32 v35, v35, v164
	s_waitcnt vmcnt(37)
	v_fmac_f32_e32 v166, v154, v15
	v_add_f32_e32 v35, v35, v165
	s_waitcnt vmcnt(36) lgkmcnt(1)
	v_mul_f32_e32 v38, v155, v16
	v_add_f32_e32 v35, v35, v166
	v_fmac_f32_e32 v38, v156, v14
	v_add_f32_e32 v35, v35, v38
	s_waitcnt vmcnt(35)
	v_mul_f32_e32 v38, v157, v17
	buffer_load_dword v233, off, s[0:3], 0 offset:352
	buffer_load_dword v234, off, s[0:3], 0 offset:356
	v_fmac_f32_e32 v38, v158, v13
	v_add_f32_e32 v35, v35, v38
	s_waitcnt vmcnt(36) lgkmcnt(0)
	v_mul_f32_e32 v38, v159, v18
	v_fmac_f32_e32 v38, v160, v12
	v_add_f32_e32 v35, v35, v38
	s_waitcnt vmcnt(32)
	v_mul_f32_e32 v38, v161, v20
	v_fmac_f32_e32 v38, v162, v19
	ds_read2_b64 v[163:166], v116 offset0:87 offset1:88
	v_add_f32_e32 v35, v35, v38
	buffer_load_dword v38, off, s[0:3], 0 offset:360
	buffer_load_dword v235, off, s[0:3], 0 offset:364
	;; [unrolled: 1-line block ×6, first 2 shown]
	ds_read2_b64 v[167:170], v116 offset0:89 offset1:90
	buffer_load_dword v240, off, s[0:3], 0 offset:384
	buffer_load_dword v241, off, s[0:3], 0 offset:388
	;; [unrolled: 1-line block ×10, first 2 shown]
	s_waitcnt vmcnt(46) lgkmcnt(1)
	v_mul_f32_e32 v171, v163, v22
	v_fmac_f32_e32 v171, v164, v21
	v_add_f32_e32 v35, v35, v171
	s_waitcnt vmcnt(44)
	v_mul_f32_e32 v171, v165, v24
	v_fmac_f32_e32 v171, v166, v23
	v_add_f32_e32 v35, v35, v171
	s_waitcnt vmcnt(42) lgkmcnt(0)
	v_mul_f32_e32 v171, v167, v26
	buffer_load_dword v250, off, s[0:3], 0 offset:424
	buffer_load_dword v251, off, s[0:3], 0 offset:428
	;; [unrolled: 1-line block ×6, first 2 shown]
	v_fmac_f32_e32 v171, v168, v25
	s_waitcnt vmcnt(46)
	v_mul_f32_e32 v175, v169, v28
	v_add_f32_e32 v35, v35, v171
	v_fmac_f32_e32 v175, v170, v27
	ds_read2_b64 v[171:174], v116 offset0:91 offset1:92
	v_add_f32_e32 v35, v35, v175
	ds_read2_b64 v[175:178], v116 offset0:93 offset1:94
	buffer_load_dword v39, off, s[0:3], 0 offset:448
	buffer_load_dword v40, off, s[0:3], 0 offset:452
	s_waitcnt vmcnt(46) lgkmcnt(1)
	v_mul_f32_e32 v179, v171, v30
	v_fmac_f32_e32 v179, v172, v29
	v_add_f32_e32 v35, v35, v179
	s_waitcnt vmcnt(44)
	v_mul_f32_e32 v179, v173, v32
	v_fmac_f32_e32 v179, v174, v31
	v_add_f32_e32 v35, v35, v179
	s_waitcnt vmcnt(42) lgkmcnt(0)
	v_mul_f32_e32 v179, v175, v34
	v_fmac_f32_e32 v179, v176, v33
	v_add_f32_e32 v35, v35, v179
	ds_read2_b64 v[179:182], v116 offset0:95 offset1:96
	s_waitcnt vmcnt(40)
	v_mul_f32_e32 v183, v177, v37
	v_fmac_f32_e32 v183, v178, v36
	v_add_f32_e32 v35, v35, v183
	ds_read2_b64 v[183:186], v116 offset0:97 offset1:98
	s_waitcnt vmcnt(38) lgkmcnt(1)
	v_mul_f32_e32 v187, v179, v220
	v_fmac_f32_e32 v187, v180, v219
	v_add_f32_e32 v35, v35, v187
	s_waitcnt vmcnt(37)
	v_mul_f32_e32 v187, v181, v221
	s_waitcnt vmcnt(34)
	v_fmac_f32_e32 v187, v182, v224
	v_add_f32_e32 v35, v35, v187
	s_waitcnt lgkmcnt(0)
	v_mul_f32_e32 v187, v183, v223
	v_fmac_f32_e32 v187, v184, v222
	v_add_f32_e32 v35, v35, v187
	ds_read2_b64 v[187:190], v116 offset0:99 offset1:100
	s_waitcnt vmcnt(32)
	v_mul_f32_e32 v191, v185, v226
	v_fmac_f32_e32 v191, v186, v225
	v_add_f32_e32 v35, v35, v191
	ds_read2_b64 v[191:194], v116 offset0:101 offset1:102
	s_waitcnt vmcnt(30) lgkmcnt(1)
	v_mul_f32_e32 v195, v187, v228
	v_fmac_f32_e32 v195, v188, v227
	v_add_f32_e32 v35, v35, v195
	s_waitcnt vmcnt(29)
	v_mul_f32_e32 v195, v189, v229
	s_waitcnt vmcnt(26)
	v_fmac_f32_e32 v195, v190, v232
	v_add_f32_e32 v35, v35, v195
	s_waitcnt lgkmcnt(0)
	;; [unrolled: 19-line block ×5, first 2 shown]
	v_mul_f32_e32 v116, v215, v254
	v_fmac_f32_e32 v116, v216, v253
	v_add_f32_e32 v35, v35, v116
	s_waitcnt vmcnt(0)
	v_mul_f32_e32 v116, v217, v40
	v_fmac_f32_e32 v116, v218, v39
	v_add_f32_e32 v35, v35, v116
	v_mul_f32_e32 v116, v132, v125
	v_fma_f32 v3, v131, v3, -v116
	v_mul_f32_e32 v116, v134, v124
	v_add_f32_e32 v3, 0, v3
	v_fma_f32 v2, v133, v2, -v116
	v_add_f32_e32 v2, v3, v2
	v_mul_f32_e32 v3, v136, v123
	v_fma_f32 v1, v135, v1, -v3
	v_add_f32_e32 v1, v2, v1
	v_mul_f32_e32 v2, v138, v122
	;; [unrolled: 3-line block ×42, first 2 shown]
	v_fma_f32 v2, v217, v39, -v2
	v_add_f32_e32 v1, v1, v2
	v_sub_f32_e32 v1, v117, v1
	v_sub_f32_e32 v2, v118, v35
	buffer_store_dword v1, off, s[0:3], 0 offset:96
	buffer_store_dword v2, off, s[0:3], 0 offset:100
	s_and_saveexec_b64 s[4:5], vcc
	s_cbranch_execz .LBB56_333
; %bb.332:
	buffer_load_dword v1, off, s[0:3], 0 offset:88
	buffer_load_dword v2, off, s[0:3], 0 offset:92
	v_mov_b32_e32 v3, 0
	buffer_store_dword v3, off, s[0:3], 0 offset:88
	buffer_store_dword v3, off, s[0:3], 0 offset:92
	s_waitcnt vmcnt(2)
	ds_write_b64 v115, v[1:2]
.LBB56_333:
	s_or_b64 exec, exec, s[4:5]
	s_waitcnt lgkmcnt(0)
	; wave barrier
	buffer_load_dword v3, off, s[0:3], 0 offset:100
	buffer_load_dword v4, off, s[0:3], 0 offset:108
	buffer_load_dword v5, off, s[0:3], 0 offset:116
	buffer_load_dword v6, off, s[0:3], 0 offset:124
	buffer_load_dword v7, off, s[0:3], 0 offset:132
	buffer_load_dword v8, off, s[0:3], 0 offset:140
	buffer_load_dword v9, off, s[0:3], 0 offset:148
	buffer_load_dword v10, off, s[0:3], 0 offset:156
	buffer_load_dword v11, off, s[0:3], 0 offset:164
	buffer_load_dword v12, off, s[0:3], 0 offset:172
	buffer_load_dword v13, off, s[0:3], 0 offset:180
	buffer_load_dword v14, off, s[0:3], 0 offset:188
	buffer_load_dword v15, off, s[0:3], 0 offset:112
	buffer_load_dword v16, off, s[0:3], 0 offset:104
	buffer_load_dword v17, off, s[0:3], 0 offset:96
	buffer_load_dword v18, off, s[0:3], 0 offset:144
	buffer_load_dword v19, off, s[0:3], 0 offset:136
	buffer_load_dword v20, off, s[0:3], 0 offset:128
	buffer_load_dword v21, off, s[0:3], 0 offset:120
	buffer_load_dword v22, off, s[0:3], 0 offset:176
	buffer_load_dword v23, off, s[0:3], 0 offset:168
	buffer_load_dword v24, off, s[0:3], 0 offset:160
	buffer_load_dword v25, off, s[0:3], 0 offset:152
	buffer_load_dword v26, off, s[0:3], 0 offset:208
	buffer_load_dword v27, off, s[0:3], 0 offset:200
	buffer_load_dword v28, off, s[0:3], 0 offset:192
	buffer_load_dword v29, off, s[0:3], 0 offset:184
	buffer_load_dword v30, off, s[0:3], 0 offset:196
	buffer_load_dword v31, off, s[0:3], 0 offset:204
	buffer_load_dword v32, off, s[0:3], 0 offset:212
	buffer_load_dword v117, off, s[0:3], 0 offset:88
	buffer_load_dword v118, off, s[0:3], 0 offset:92
	v_mov_b32_e32 v116, 0
	buffer_load_dword v33, off, s[0:3], 0 offset:216
	buffer_load_dword v34, off, s[0:3], 0 offset:220
	;; [unrolled: 1-line block ×16, first 2 shown]
	ds_read_b128 v[119:122], v116 offset:560
	ds_read_b128 v[123:126], v116 offset:576
	;; [unrolled: 1-line block ×7, first 2 shown]
	v_cmp_lt_u32_e32 vcc, 10, v0
	s_waitcnt vmcnt(47) lgkmcnt(6)
	v_mul_f32_e32 v1, v119, v3
	s_waitcnt vmcnt(46)
	v_mul_f32_e32 v2, v121, v4
	s_waitcnt vmcnt(45) lgkmcnt(5)
	v_mul_f32_e32 v147, v123, v5
	s_waitcnt vmcnt(44)
	v_mul_f32_e32 v148, v125, v6
	;; [unrolled: 4-line block ×6, first 2 shown]
	s_waitcnt vmcnt(35)
	v_fmac_f32_e32 v147, v124, v15
	s_waitcnt vmcnt(34)
	v_fmac_f32_e32 v2, v122, v16
	;; [unrolled: 2-line block ×3, first 2 shown]
	v_add_f32_e32 v1, 0, v1
	v_add_f32_e32 v1, v1, v2
	v_add_f32_e32 v1, v1, v147
	s_waitcnt vmcnt(29)
	v_fmac_f32_e32 v148, v126, v21
	v_fmac_f32_e32 v149, v128, v20
	v_add_f32_e32 v1, v1, v148
	v_fmac_f32_e32 v150, v130, v19
	v_add_f32_e32 v1, v1, v149
	v_add_f32_e32 v1, v1, v150
	ds_read_b128 v[147:150], v116 offset:672
	buffer_load_dword v215, off, s[0:3], 0 offset:280
	buffer_load_dword v216, off, s[0:3], 0 offset:284
	;; [unrolled: 1-line block ×10, first 2 shown]
	v_fmac_f32_e32 v151, v132, v18
	s_waitcnt vmcnt(35)
	v_fmac_f32_e32 v152, v134, v25
	v_add_f32_e32 v1, v1, v151
	buffer_load_dword v225, off, s[0:3], 0 offset:320
	buffer_load_dword v226, off, s[0:3], 0 offset:324
	;; [unrolled: 1-line block ×6, first 2 shown]
	v_fmac_f32_e32 v153, v136, v24
	v_add_f32_e32 v1, v1, v152
	v_fmac_f32_e32 v154, v138, v23
	v_add_f32_e32 v1, v1, v153
	v_add_f32_e32 v1, v1, v154
	ds_read_b128 v[151:154], v116 offset:688
	buffer_load_dword v231, off, s[0:3], 0 offset:344
	buffer_load_dword v232, off, s[0:3], 0 offset:348
	v_fmac_f32_e32 v155, v140, v22
	s_waitcnt vmcnt(39)
	v_fmac_f32_e32 v156, v142, v29
	v_add_f32_e32 v1, v1, v155
	v_add_f32_e32 v1, v1, v156
	ds_read_b128 v[155:158], v116 offset:704
	buffer_load_dword v233, off, s[0:3], 0 offset:352
	buffer_load_dword v234, off, s[0:3], 0 offset:356
	;; [unrolled: 1-line block ×16, first 2 shown]
	ds_read_b128 v[159:162], v116 offset:720
	buffer_load_dword v249, off, s[0:3], 0 offset:416
	buffer_load_dword v250, off, s[0:3], 0 offset:420
	;; [unrolled: 1-line block ×6, first 2 shown]
	v_mul_f32_e32 v3, v120, v3
	v_fma_f32 v3, v119, v17, -v3
	v_mul_f32_e32 v4, v122, v4
	v_add_f32_e32 v3, 0, v3
	v_fma_f32 v4, v121, v16, -v4
	v_add_f32_e32 v3, v3, v4
	v_mul_f32_e32 v4, v124, v5
	ds_read_b128 v[163:166], v116 offset:736
	buffer_load_dword v255, off, s[0:3], 0 offset:444
	buffer_load_dword v41, off, s[0:3], 0 offset:448
	;; [unrolled: 1-line block ×4, first 2 shown]
	v_fma_f32 v4, v123, v15, -v4
	v_add_f32_e32 v3, v3, v4
	v_mul_f32_e32 v4, v126, v6
	v_fma_f32 v4, v125, v21, -v4
	v_add_f32_e32 v3, v3, v4
	v_mul_f32_e32 v4, v128, v7
	;; [unrolled: 3-line block ×8, first 2 shown]
	s_waitcnt vmcnt(62) lgkmcnt(5)
	v_mul_f32_e32 v2, v143, v30
	v_fma_f32 v4, v139, v22, -v4
	v_fmac_f32_e32 v2, v144, v28
	v_add_f32_e32 v3, v3, v4
	v_mul_f32_e32 v4, v142, v14
	v_add_f32_e32 v1, v1, v2
	v_mul_f32_e32 v2, v145, v31
	v_fma_f32 v4, v141, v29, -v4
	v_fmac_f32_e32 v2, v146, v27
	v_add_f32_e32 v3, v3, v4
	v_mul_f32_e32 v4, v144, v30
	v_add_f32_e32 v1, v1, v2
	s_waitcnt lgkmcnt(4)
	v_mul_f32_e32 v2, v147, v32
	v_fma_f32 v4, v143, v28, -v4
	v_fmac_f32_e32 v2, v148, v26
	v_add_f32_e32 v3, v3, v4
	v_mul_f32_e32 v4, v146, v31
	v_add_f32_e32 v1, v1, v2
	s_waitcnt vmcnt(58)
	v_mul_f32_e32 v2, v149, v34
	v_fma_f32 v4, v145, v27, -v4
	v_fmac_f32_e32 v2, v150, v33
	v_add_f32_e32 v3, v3, v4
	v_mul_f32_e32 v4, v148, v32
	v_add_f32_e32 v1, v1, v2
	s_waitcnt vmcnt(56) lgkmcnt(3)
	v_mul_f32_e32 v2, v151, v36
	v_fma_f32 v4, v147, v26, -v4
	v_fmac_f32_e32 v2, v152, v35
	v_add_f32_e32 v3, v3, v4
	v_mul_f32_e32 v4, v150, v34
	v_add_f32_e32 v1, v1, v2
	s_waitcnt vmcnt(54)
	v_mul_f32_e32 v2, v153, v38
	v_fma_f32 v4, v149, v33, -v4
	v_fmac_f32_e32 v2, v154, v37
	v_add_f32_e32 v3, v3, v4
	v_mul_f32_e32 v4, v152, v36
	v_add_f32_e32 v1, v1, v2
	s_waitcnt vmcnt(52) lgkmcnt(2)
	;; [unrolled: 14-line block ×3, first 2 shown]
	v_mul_f32_e32 v2, v159, v210
	v_fma_f32 v4, v155, v39, -v4
	v_fmac_f32_e32 v2, v160, v209
	v_add_f32_e32 v3, v3, v4
	v_mul_f32_e32 v4, v158, v208
	v_add_f32_e32 v1, v1, v2
	s_waitcnt vmcnt(46)
	v_mul_f32_e32 v2, v161, v212
	v_fma_f32 v4, v157, v207, -v4
	v_fmac_f32_e32 v2, v162, v211
	ds_read_b128 v[167:170], v116 offset:752
	ds_read_b128 v[171:174], v116 offset:768
	v_add_f32_e32 v3, v3, v4
	v_mul_f32_e32 v4, v160, v210
	v_add_f32_e32 v1, v1, v2
	s_waitcnt vmcnt(44) lgkmcnt(2)
	v_mul_f32_e32 v2, v163, v214
	v_fma_f32 v4, v159, v209, -v4
	v_fmac_f32_e32 v2, v164, v213
	v_add_f32_e32 v3, v3, v4
	v_mul_f32_e32 v4, v162, v212
	v_add_f32_e32 v1, v1, v2
	s_waitcnt vmcnt(42)
	v_mul_f32_e32 v2, v165, v216
	v_fma_f32 v4, v161, v211, -v4
	v_fmac_f32_e32 v2, v166, v215
	v_add_f32_e32 v3, v3, v4
	v_mul_f32_e32 v4, v164, v214
	v_add_f32_e32 v1, v1, v2
	s_waitcnt vmcnt(40) lgkmcnt(1)
	v_mul_f32_e32 v2, v167, v218
	v_fma_f32 v4, v163, v213, -v4
	v_fmac_f32_e32 v2, v168, v217
	v_add_f32_e32 v3, v3, v4
	v_mul_f32_e32 v4, v166, v216
	v_add_f32_e32 v1, v1, v2
	s_waitcnt vmcnt(39)
	v_mul_f32_e32 v2, v169, v219
	v_fma_f32 v4, v165, v215, -v4
	s_waitcnt vmcnt(36)
	v_fmac_f32_e32 v2, v170, v222
	ds_read_b128 v[175:178], v116 offset:784
	ds_read_b128 v[179:182], v116 offset:800
	v_add_f32_e32 v3, v3, v4
	v_mul_f32_e32 v4, v168, v218
	v_add_f32_e32 v1, v1, v2
	s_waitcnt lgkmcnt(2)
	v_mul_f32_e32 v2, v171, v221
	v_fma_f32 v4, v167, v217, -v4
	v_fmac_f32_e32 v2, v172, v220
	v_add_f32_e32 v3, v3, v4
	v_mul_f32_e32 v4, v170, v219
	v_add_f32_e32 v1, v1, v2
	s_waitcnt vmcnt(34)
	v_mul_f32_e32 v2, v173, v224
	v_fma_f32 v4, v169, v222, -v4
	v_fmac_f32_e32 v2, v174, v223
	v_add_f32_e32 v3, v3, v4
	v_mul_f32_e32 v4, v172, v221
	v_add_f32_e32 v1, v1, v2
	s_waitcnt vmcnt(32) lgkmcnt(1)
	v_mul_f32_e32 v2, v175, v226
	v_fma_f32 v4, v171, v220, -v4
	v_fmac_f32_e32 v2, v176, v225
	v_add_f32_e32 v3, v3, v4
	v_mul_f32_e32 v4, v174, v224
	v_add_f32_e32 v1, v1, v2
	s_waitcnt vmcnt(31)
	v_mul_f32_e32 v2, v177, v227
	v_fma_f32 v4, v173, v223, -v4
	s_waitcnt vmcnt(28)
	v_fmac_f32_e32 v2, v178, v230
	ds_read_b128 v[183:186], v116 offset:816
	ds_read_b128 v[187:190], v116 offset:832
	v_add_f32_e32 v3, v3, v4
	v_mul_f32_e32 v4, v176, v226
	v_add_f32_e32 v1, v1, v2
	s_waitcnt lgkmcnt(2)
	;; [unrolled: 31-line block ×4, first 2 shown]
	v_mul_f32_e32 v2, v195, v245
	v_fma_f32 v4, v191, v241, -v4
	v_fmac_f32_e32 v2, v196, v244
	v_add_f32_e32 v3, v3, v4
	v_mul_f32_e32 v4, v194, v243
	v_add_f32_e32 v1, v1, v2
	s_waitcnt vmcnt(10)
	v_mul_f32_e32 v2, v197, v248
	v_fma_f32 v4, v193, v246, -v4
	v_fmac_f32_e32 v2, v198, v247
	v_add_f32_e32 v3, v3, v4
	v_mul_f32_e32 v4, v196, v245
	v_add_f32_e32 v1, v1, v2
	s_waitcnt vmcnt(8) lgkmcnt(1)
	v_mul_f32_e32 v2, v199, v250
	v_fma_f32 v4, v195, v244, -v4
	v_fmac_f32_e32 v2, v200, v249
	v_add_f32_e32 v3, v3, v4
	v_mul_f32_e32 v4, v198, v248
	v_add_f32_e32 v1, v1, v2
	s_waitcnt vmcnt(7)
	v_mul_f32_e32 v2, v201, v251
	v_fma_f32 v4, v197, v247, -v4
	s_waitcnt vmcnt(4)
	v_fmac_f32_e32 v2, v202, v254
	v_add_f32_e32 v3, v3, v4
	v_mul_f32_e32 v4, v200, v250
	v_add_f32_e32 v44, v1, v2
	ds_read_b64 v[1:2], v116 offset:912
	v_fma_f32 v4, v199, v249, -v4
	s_waitcnt lgkmcnt(1)
	v_mul_f32_e32 v45, v203, v253
	v_add_f32_e32 v3, v3, v4
	v_mul_f32_e32 v4, v202, v251
	v_fmac_f32_e32 v45, v204, v252
	v_fma_f32 v4, v201, v254, -v4
	v_add_f32_e32 v44, v44, v45
	s_waitcnt vmcnt(3)
	v_mul_f32_e32 v45, v205, v255
	v_add_f32_e32 v3, v3, v4
	v_mul_f32_e32 v4, v204, v253
	s_waitcnt vmcnt(0)
	v_fmac_f32_e32 v45, v206, v43
	v_fma_f32 v4, v203, v252, -v4
	v_add_f32_e32 v44, v44, v45
	s_waitcnt lgkmcnt(0)
	v_mul_f32_e32 v45, v1, v42
	v_add_f32_e32 v3, v3, v4
	v_mul_f32_e32 v4, v206, v255
	v_fmac_f32_e32 v45, v2, v41
	v_fma_f32 v4, v205, v43, -v4
	v_mul_f32_e32 v2, v2, v42
	v_add_f32_e32 v3, v3, v4
	v_fma_f32 v1, v1, v41, -v2
	v_add_f32_e32 v1, v3, v1
	v_add_f32_e32 v44, v44, v45
	v_sub_f32_e32 v1, v117, v1
	v_sub_f32_e32 v2, v118, v44
	buffer_store_dword v1, off, s[0:3], 0 offset:88
	buffer_store_dword v2, off, s[0:3], 0 offset:92
	s_and_saveexec_b64 s[4:5], vcc
	s_cbranch_execz .LBB56_335
; %bb.334:
	buffer_load_dword v1, off, s[0:3], 0 offset:80
	buffer_load_dword v2, off, s[0:3], 0 offset:84
	s_waitcnt vmcnt(0)
	ds_write_b64 v115, v[1:2]
	buffer_store_dword v116, off, s[0:3], 0 offset:80
	buffer_store_dword v116, off, s[0:3], 0 offset:84
.LBB56_335:
	s_or_b64 exec, exec, s[4:5]
	s_waitcnt lgkmcnt(0)
	; wave barrier
	buffer_load_dword v125, off, s[0:3], 0 offset:92
	buffer_load_dword v124, off, s[0:3], 0 offset:100
	;; [unrolled: 1-line block ×33, first 2 shown]
	ds_read2_b64 v[126:129], v116 offset0:69 offset1:70
	ds_read2_b64 v[130:133], v116 offset0:71 offset1:72
	;; [unrolled: 1-line block ×6, first 2 shown]
	buffer_load_dword v25, off, s[0:3], 0 offset:208
	buffer_load_dword v26, off, s[0:3], 0 offset:220
	;; [unrolled: 1-line block ×7, first 2 shown]
	ds_read2_b64 v[150:153], v116 offset0:81 offset1:82
	ds_read2_b64 v[154:157], v116 offset0:83 offset1:84
	buffer_load_dword v32, off, s[0:3], 0 offset:240
	buffer_load_dword v33, off, s[0:3], 0 offset:244
	buffer_load_dword v34, off, s[0:3], 0 offset:248
	buffer_load_dword v35, off, s[0:3], 0 offset:252
	buffer_load_dword v36, off, s[0:3], 0 offset:256
	buffer_load_dword v37, off, s[0:3], 0 offset:260
	buffer_load_dword v38, off, s[0:3], 0 offset:264
	buffer_load_dword v39, off, s[0:3], 0 offset:268
	v_cmp_lt_u32_e32 vcc, 9, v0
	s_waitcnt vmcnt(47) lgkmcnt(7)
	v_mul_f32_e32 v40, v126, v125
	s_waitcnt vmcnt(46)
	v_mul_f32_e32 v41, v128, v124
	s_waitcnt vmcnt(45) lgkmcnt(6)
	v_mul_f32_e32 v42, v130, v123
	s_waitcnt vmcnt(44)
	v_mul_f32_e32 v43, v132, v122
	;; [unrolled: 4-line block ×6, first 2 shown]
	s_waitcnt vmcnt(35)
	v_fmac_f32_e32 v42, v131, v6
	s_waitcnt vmcnt(34)
	v_fmac_f32_e32 v41, v129, v7
	;; [unrolled: 2-line block ×3, first 2 shown]
	v_add_f32_e32 v40, 0, v40
	v_add_f32_e32 v40, v40, v41
	;; [unrolled: 1-line block ×3, first 2 shown]
	s_waitcnt vmcnt(29)
	v_fmac_f32_e32 v43, v133, v12
	v_fmac_f32_e32 v44, v135, v11
	v_add_f32_e32 v40, v40, v43
	v_fmac_f32_e32 v45, v137, v10
	v_add_f32_e32 v40, v40, v44
	;; [unrolled: 2-line block ×3, first 2 shown]
	s_waitcnt vmcnt(25)
	v_fmac_f32_e32 v158, v141, v16
	v_add_f32_e32 v40, v40, v46
	v_fmac_f32_e32 v159, v143, v15
	v_add_f32_e32 v40, v40, v158
	;; [unrolled: 2-line block ×4, first 2 shown]
	s_waitcnt vmcnt(21)
	v_fmac_f32_e32 v162, v149, v20
	v_add_f32_e32 v40, v40, v161
	s_waitcnt vmcnt(20) lgkmcnt(1)
	v_mul_f32_e32 v41, v150, v21
	v_add_f32_e32 v40, v40, v162
	v_fmac_f32_e32 v41, v151, v19
	v_add_f32_e32 v40, v40, v41
	buffer_load_dword v41, off, s[0:3], 0 offset:272
	buffer_load_dword v42, off, s[0:3], 0 offset:276
	;; [unrolled: 1-line block ×8, first 2 shown]
	s_waitcnt vmcnt(27)
	v_mul_f32_e32 v43, v152, v22
	v_fmac_f32_e32 v43, v153, v18
	v_add_f32_e32 v40, v40, v43
	s_waitcnt vmcnt(26) lgkmcnt(0)
	v_mul_f32_e32 v43, v154, v23
	v_fmac_f32_e32 v43, v155, v17
	v_add_f32_e32 v40, v40, v43
	buffer_load_dword v43, off, s[0:3], 0 offset:304
	buffer_load_dword v221, off, s[0:3], 0 offset:308
	ds_read2_b64 v[158:161], v116 offset0:85 offset1:86
	buffer_load_dword v222, off, s[0:3], 0 offset:312
	buffer_load_dword v223, off, s[0:3], 0 offset:316
	;; [unrolled: 1-line block ×6, first 2 shown]
	s_waitcnt vmcnt(33)
	v_mul_f32_e32 v162, v156, v24
	s_waitcnt vmcnt(30)
	v_fmac_f32_e32 v162, v157, v25
	v_add_f32_e32 v40, v40, v162
	ds_read2_b64 v[162:165], v116 offset0:87 offset1:88
	buffer_load_dword v228, off, s[0:3], 0 offset:336
	buffer_load_dword v229, off, s[0:3], 0 offset:340
	;; [unrolled: 1-line block ×10, first 2 shown]
	s_waitcnt vmcnt(39) lgkmcnt(1)
	v_mul_f32_e32 v166, v158, v26
	buffer_load_dword v238, off, s[0:3], 0 offset:376
	buffer_load_dword v239, off, s[0:3], 0 offset:380
	;; [unrolled: 1-line block ×6, first 2 shown]
	s_waitcnt vmcnt(40)
	v_fmac_f32_e32 v166, v159, v31
	v_add_f32_e32 v40, v40, v166
	v_mul_f32_e32 v166, v160, v28
	v_fmac_f32_e32 v166, v161, v27
	v_add_f32_e32 v40, v40, v166
	s_waitcnt lgkmcnt(0)
	v_mul_f32_e32 v166, v162, v30
	v_fmac_f32_e32 v166, v163, v29
	v_add_f32_e32 v40, v40, v166
	ds_read2_b64 v[166:169], v116 offset0:89 offset1:90
	buffer_load_dword v244, off, s[0:3], 0 offset:400
	buffer_load_dword v245, off, s[0:3], 0 offset:404
	s_waitcnt vmcnt(40)
	v_mul_f32_e32 v170, v164, v33
	v_fmac_f32_e32 v170, v165, v32
	v_add_f32_e32 v40, v40, v170
	ds_read2_b64 v[170:173], v116 offset0:91 offset1:92
	buffer_load_dword v246, off, s[0:3], 0 offset:408
	buffer_load_dword v247, off, s[0:3], 0 offset:412
	buffer_load_dword v248, off, s[0:3], 0 offset:420
	buffer_load_dword v249, off, s[0:3], 0 offset:424
	buffer_load_dword v250, off, s[0:3], 0 offset:428
	buffer_load_dword v251, off, s[0:3], 0 offset:416
	buffer_load_dword v252, off, s[0:3], 0 offset:432
	buffer_load_dword v253, off, s[0:3], 0 offset:436
	buffer_load_dword v254, off, s[0:3], 0 offset:444
	buffer_load_dword v255, off, s[0:3], 0 offset:448
	buffer_load_dword v47, off, s[0:3], 0 offset:452
	buffer_load_dword v48, off, s[0:3], 0 offset:440
	s_waitcnt vmcnt(50) lgkmcnt(1)
	v_mul_f32_e32 v174, v166, v35
	v_fmac_f32_e32 v174, v167, v34
	v_add_f32_e32 v40, v40, v174
	s_waitcnt vmcnt(48)
	v_mul_f32_e32 v174, v168, v37
	v_fmac_f32_e32 v174, v169, v36
	v_add_f32_e32 v40, v40, v174
	s_waitcnt vmcnt(46) lgkmcnt(0)
	v_mul_f32_e32 v174, v170, v39
	v_fmac_f32_e32 v174, v171, v38
	v_add_f32_e32 v40, v40, v174
	ds_read2_b64 v[174:177], v116 offset0:93 offset1:94
	v_mul_f32_e32 v1, v141, v1
	v_fma_f32 v1, v140, v16, -v1
	v_mul_f32_e32 v2, v143, v2
	v_fma_f32 v2, v142, v15, -v2
	s_waitcnt vmcnt(44)
	v_mul_f32_e32 v178, v172, v42
	v_fmac_f32_e32 v178, v173, v41
	v_add_f32_e32 v40, v40, v178
	ds_read2_b64 v[178:181], v116 offset0:95 offset1:96
	s_waitcnt vmcnt(42) lgkmcnt(1)
	v_mul_f32_e32 v182, v174, v45
	v_fmac_f32_e32 v182, v175, v44
	v_add_f32_e32 v40, v40, v182
	s_waitcnt vmcnt(41)
	v_mul_f32_e32 v182, v176, v46
	s_waitcnt vmcnt(38)
	v_fmac_f32_e32 v182, v177, v220
	v_add_f32_e32 v40, v40, v182
	s_waitcnt lgkmcnt(0)
	v_mul_f32_e32 v182, v178, v219
	v_fmac_f32_e32 v182, v179, v218
	v_add_f32_e32 v40, v40, v182
	ds_read2_b64 v[182:185], v116 offset0:97 offset1:98
	s_waitcnt vmcnt(36)
	v_mul_f32_e32 v186, v180, v221
	v_fmac_f32_e32 v186, v181, v43
	v_add_f32_e32 v40, v40, v186
	ds_read2_b64 v[186:189], v116 offset0:99 offset1:100
	s_waitcnt vmcnt(34) lgkmcnt(1)
	v_mul_f32_e32 v190, v182, v223
	v_fmac_f32_e32 v190, v183, v222
	v_add_f32_e32 v40, v40, v190
	s_waitcnt vmcnt(33)
	v_mul_f32_e32 v190, v184, v224
	s_waitcnt vmcnt(30)
	v_fmac_f32_e32 v190, v185, v227
	v_add_f32_e32 v40, v40, v190
	s_waitcnt lgkmcnt(0)
	v_mul_f32_e32 v190, v186, v226
	v_fmac_f32_e32 v190, v187, v225
	v_add_f32_e32 v40, v40, v190
	ds_read2_b64 v[190:193], v116 offset0:101 offset1:102
	;; [unrolled: 19-line block ×4, first 2 shown]
	s_waitcnt vmcnt(12)
	v_mul_f32_e32 v210, v204, v245
	v_fmac_f32_e32 v210, v205, v244
	v_add_f32_e32 v40, v40, v210
	ds_read2_b64 v[210:213], v116 offset0:111 offset1:112
	s_waitcnt vmcnt(10) lgkmcnt(1)
	v_mul_f32_e32 v214, v206, v247
	v_fmac_f32_e32 v214, v207, v246
	v_add_f32_e32 v40, v40, v214
	s_waitcnt vmcnt(9)
	v_mul_f32_e32 v214, v208, v248
	s_waitcnt vmcnt(6)
	v_fmac_f32_e32 v214, v209, v251
	v_add_f32_e32 v40, v40, v214
	ds_read2_b64 v[214:217], v116 offset0:113 offset1:114
	s_waitcnt lgkmcnt(1)
	v_mul_f32_e32 v49, v210, v250
	v_fmac_f32_e32 v49, v211, v249
	v_add_f32_e32 v40, v40, v49
	s_waitcnt vmcnt(4)
	v_mul_f32_e32 v49, v212, v253
	v_fmac_f32_e32 v49, v213, v252
	v_add_f32_e32 v40, v40, v49
	s_waitcnt vmcnt(3) lgkmcnt(0)
	v_mul_f32_e32 v49, v214, v254
	s_waitcnt vmcnt(0)
	v_fmac_f32_e32 v49, v215, v48
	v_add_f32_e32 v40, v40, v49
	v_mul_f32_e32 v49, v216, v47
	v_fmac_f32_e32 v49, v217, v255
	v_add_f32_e32 v40, v40, v49
	v_mul_f32_e32 v49, v127, v125
	v_fma_f32 v8, v126, v8, -v49
	v_mul_f32_e32 v49, v129, v124
	v_add_f32_e32 v8, 0, v8
	v_fma_f32 v7, v128, v7, -v49
	v_add_f32_e32 v7, v8, v7
	v_mul_f32_e32 v8, v131, v123
	v_fma_f32 v6, v130, v6, -v8
	v_add_f32_e32 v6, v7, v6
	v_mul_f32_e32 v7, v133, v122
	;; [unrolled: 3-line block ×5, first 2 shown]
	v_fma_f32 v7, v138, v9, -v7
	v_add_f32_e32 v6, v6, v7
	v_add_f32_e32 v1, v6, v1
	v_add_f32_e32 v1, v1, v2
	v_mul_f32_e32 v2, v145, v3
	v_fma_f32 v2, v144, v14, -v2
	v_add_f32_e32 v1, v1, v2
	v_mul_f32_e32 v2, v147, v4
	v_fma_f32 v2, v146, v13, -v2
	v_add_f32_e32 v1, v1, v2
	;; [unrolled: 3-line block ×37, first 2 shown]
	v_sub_f32_e32 v1, v117, v1
	v_sub_f32_e32 v2, v118, v40
	buffer_store_dword v1, off, s[0:3], 0 offset:80
	buffer_store_dword v2, off, s[0:3], 0 offset:84
	s_and_saveexec_b64 s[4:5], vcc
	s_cbranch_execz .LBB56_337
; %bb.336:
	buffer_load_dword v1, off, s[0:3], 0 offset:72
	buffer_load_dword v2, off, s[0:3], 0 offset:76
	v_mov_b32_e32 v3, 0
	buffer_store_dword v3, off, s[0:3], 0 offset:72
	buffer_store_dword v3, off, s[0:3], 0 offset:76
	s_waitcnt vmcnt(2)
	ds_write_b64 v115, v[1:2]
.LBB56_337:
	s_or_b64 exec, exec, s[4:5]
	s_waitcnt lgkmcnt(0)
	; wave barrier
	buffer_load_dword v123, off, s[0:3], 0 offset:84
	buffer_load_dword v122, off, s[0:3], 0 offset:92
	;; [unrolled: 1-line block ×40, first 2 shown]
	v_mov_b32_e32 v116, 0
	buffer_load_dword v34, off, s[0:3], 0 offset:232
	buffer_load_dword v35, off, s[0:3], 0 offset:236
	;; [unrolled: 1-line block ×8, first 2 shown]
	ds_read_b128 v[126:129], v116 offset:544
	ds_read_b128 v[130:133], v116 offset:560
	;; [unrolled: 1-line block ×7, first 2 shown]
	v_cmp_lt_u32_e32 vcc, 8, v0
	s_waitcnt vmcnt(47) lgkmcnt(6)
	v_mul_f32_e32 v1, v126, v123
	s_waitcnt vmcnt(46)
	v_mul_f32_e32 v2, v128, v122
	s_waitcnt vmcnt(45) lgkmcnt(5)
	v_mul_f32_e32 v42, v130, v121
	s_waitcnt vmcnt(44)
	v_mul_f32_e32 v43, v132, v120
	;; [unrolled: 4-line block ×6, first 2 shown]
	s_waitcnt vmcnt(35)
	v_fmac_f32_e32 v42, v131, v8
	s_waitcnt vmcnt(34)
	v_fmac_f32_e32 v2, v129, v9
	;; [unrolled: 2-line block ×3, first 2 shown]
	v_add_f32_e32 v1, 0, v1
	v_add_f32_e32 v1, v1, v2
	;; [unrolled: 1-line block ×3, first 2 shown]
	s_waitcnt vmcnt(29)
	v_fmac_f32_e32 v43, v133, v14
	v_fmac_f32_e32 v44, v135, v13
	v_add_f32_e32 v1, v1, v43
	v_fmac_f32_e32 v45, v137, v12
	v_add_f32_e32 v1, v1, v44
	;; [unrolled: 2-line block ×3, first 2 shown]
	s_waitcnt vmcnt(25)
	v_fmac_f32_e32 v47, v141, v18
	v_add_f32_e32 v1, v1, v46
	v_fmac_f32_e32 v48, v143, v17
	v_add_f32_e32 v1, v1, v47
	;; [unrolled: 2-line block ×4, first 2 shown]
	s_waitcnt vmcnt(21)
	v_fmac_f32_e32 v154, v149, v22
	v_add_f32_e32 v1, v1, v50
	v_add_f32_e32 v1, v1, v154
	ds_read_b128 v[154:157], v116 offset:656
	buffer_load_dword v42, off, s[0:3], 0 offset:264
	buffer_load_dword v43, off, s[0:3], 0 offset:268
	buffer_load_dword v44, off, s[0:3], 0 offset:272
	buffer_load_dword v45, off, s[0:3], 0 offset:276
	buffer_load_dword v46, off, s[0:3], 0 offset:284
	buffer_load_dword v47, off, s[0:3], 0 offset:288
	buffer_load_dword v48, off, s[0:3], 0 offset:292
	buffer_load_dword v49, off, s[0:3], 0 offset:280
	buffer_load_dword v50, off, s[0:3], 0 offset:296
	buffer_load_dword v218, off, s[0:3], 0 offset:300
	ds_read_b128 v[158:161], v116 offset:672
	buffer_load_dword v219, off, s[0:3], 0 offset:304
	buffer_load_dword v220, off, s[0:3], 0 offset:308
	;; [unrolled: 1-line block ×6, first 2 shown]
	ds_read_b128 v[162:165], v116 offset:688
	buffer_load_dword v225, off, s[0:3], 0 offset:328
	buffer_load_dword v226, off, s[0:3], 0 offset:332
	;; [unrolled: 1-line block ×10, first 2 shown]
	ds_read_b128 v[166:169], v116 offset:704
	buffer_load_dword v235, off, s[0:3], 0 offset:368
	buffer_load_dword v236, off, s[0:3], 0 offset:372
	;; [unrolled: 1-line block ×6, first 2 shown]
	ds_read_b128 v[170:173], v116 offset:720
	buffer_load_dword v241, off, s[0:3], 0 offset:392
	buffer_load_dword v242, off, s[0:3], 0 offset:396
	;; [unrolled: 1-line block ×16, first 2 shown]
	s_waitcnt vmcnt(62) lgkmcnt(5)
	v_mul_f32_e32 v2, v150, v23
	v_fmac_f32_e32 v2, v151, v21
	v_add_f32_e32 v1, v1, v2
	v_mul_f32_e32 v2, v152, v24
	v_fmac_f32_e32 v2, v153, v20
	v_add_f32_e32 v1, v1, v2
	s_waitcnt lgkmcnt(4)
	v_mul_f32_e32 v2, v154, v25
	v_fmac_f32_e32 v2, v155, v19
	v_add_f32_e32 v1, v1, v2
	v_mul_f32_e32 v2, v156, v26
	s_waitcnt vmcnt(58)
	v_fmac_f32_e32 v2, v157, v33
	v_add_f32_e32 v1, v1, v2
	s_waitcnt lgkmcnt(3)
	v_mul_f32_e32 v2, v158, v28
	v_fmac_f32_e32 v2, v159, v27
	v_add_f32_e32 v1, v1, v2
	v_mul_f32_e32 v2, v160, v30
	v_fmac_f32_e32 v2, v161, v29
	v_add_f32_e32 v1, v1, v2
	s_waitcnt lgkmcnt(2)
	v_mul_f32_e32 v2, v162, v32
	v_fmac_f32_e32 v2, v163, v31
	v_add_f32_e32 v1, v1, v2
	s_waitcnt vmcnt(54)
	v_mul_f32_e32 v2, v164, v35
	v_fmac_f32_e32 v2, v165, v34
	v_add_f32_e32 v1, v1, v2
	s_waitcnt vmcnt(52) lgkmcnt(1)
	v_mul_f32_e32 v2, v166, v37
	v_fmac_f32_e32 v2, v167, v36
	v_add_f32_e32 v1, v1, v2
	s_waitcnt vmcnt(50)
	v_mul_f32_e32 v2, v168, v39
	v_fmac_f32_e32 v2, v169, v38
	ds_read_b128 v[174:177], v116 offset:736
	ds_read_b128 v[178:181], v116 offset:752
	v_add_f32_e32 v1, v1, v2
	s_waitcnt vmcnt(48) lgkmcnt(2)
	v_mul_f32_e32 v2, v170, v41
	v_fmac_f32_e32 v2, v171, v40
	v_add_f32_e32 v1, v1, v2
	ds_read_b128 v[182:185], v116 offset:768
	ds_read_b128 v[186:189], v116 offset:784
	;; [unrolled: 1-line block ×9, first 2 shown]
	v_mul_f32_e32 v3, v141, v3
	v_fma_f32 v3, v140, v18, -v3
	v_mul_f32_e32 v4, v143, v4
	v_fma_f32 v4, v142, v17, -v4
	s_waitcnt vmcnt(46)
	v_mul_f32_e32 v2, v172, v43
	v_fmac_f32_e32 v2, v173, v42
	v_add_f32_e32 v1, v1, v2
	s_waitcnt vmcnt(44) lgkmcnt(10)
	v_mul_f32_e32 v2, v174, v45
	v_fmac_f32_e32 v2, v175, v44
	v_add_f32_e32 v1, v1, v2
	s_waitcnt vmcnt(43)
	v_mul_f32_e32 v2, v176, v46
	s_waitcnt vmcnt(40)
	v_fmac_f32_e32 v2, v177, v49
	v_add_f32_e32 v1, v1, v2
	s_waitcnt lgkmcnt(9)
	v_mul_f32_e32 v2, v178, v48
	v_fmac_f32_e32 v2, v179, v47
	v_add_f32_e32 v1, v1, v2
	s_waitcnt vmcnt(38)
	v_mul_f32_e32 v2, v180, v218
	v_fmac_f32_e32 v2, v181, v50
	v_add_f32_e32 v1, v1, v2
	s_waitcnt vmcnt(36) lgkmcnt(8)
	v_mul_f32_e32 v2, v182, v220
	v_fmac_f32_e32 v2, v183, v219
	v_add_f32_e32 v1, v1, v2
	s_waitcnt vmcnt(35)
	v_mul_f32_e32 v2, v184, v221
	s_waitcnt vmcnt(32)
	v_fmac_f32_e32 v2, v185, v224
	v_add_f32_e32 v1, v1, v2
	s_waitcnt lgkmcnt(7)
	v_mul_f32_e32 v2, v186, v223
	v_fmac_f32_e32 v2, v187, v222
	v_add_f32_e32 v1, v1, v2
	;; [unrolled: 17-line block ×5, first 2 shown]
	s_waitcnt vmcnt(6)
	v_mul_f32_e32 v2, v212, v250
	v_fmac_f32_e32 v2, v213, v249
	v_add_f32_e32 v52, v1, v2
	ds_read_b64 v[1:2], v116 offset:912
	s_waitcnt vmcnt(4) lgkmcnt(1)
	v_mul_f32_e32 v53, v214, v252
	v_fmac_f32_e32 v53, v215, v251
	v_add_f32_e32 v52, v52, v53
	s_waitcnt vmcnt(3)
	v_mul_f32_e32 v53, v216, v253
	s_waitcnt vmcnt(0)
	v_fmac_f32_e32 v53, v217, v51
	v_add_f32_e32 v52, v52, v53
	s_waitcnt lgkmcnt(0)
	v_mul_f32_e32 v53, v1, v255
	v_fmac_f32_e32 v53, v2, v254
	v_add_f32_e32 v52, v52, v53
	v_mul_f32_e32 v53, v127, v123
	v_fma_f32 v10, v126, v10, -v53
	v_mul_f32_e32 v53, v129, v122
	v_add_f32_e32 v10, 0, v10
	v_fma_f32 v9, v128, v9, -v53
	v_add_f32_e32 v9, v10, v9
	v_mul_f32_e32 v10, v131, v121
	v_fma_f32 v8, v130, v8, -v10
	v_add_f32_e32 v8, v9, v8
	v_mul_f32_e32 v9, v133, v120
	;; [unrolled: 3-line block ×5, first 2 shown]
	v_fma_f32 v9, v138, v11, -v9
	v_add_f32_e32 v8, v8, v9
	v_add_f32_e32 v3, v8, v3
	;; [unrolled: 1-line block ×3, first 2 shown]
	v_mul_f32_e32 v4, v145, v5
	v_fma_f32 v4, v144, v16, -v4
	v_add_f32_e32 v3, v3, v4
	v_mul_f32_e32 v4, v147, v6
	v_fma_f32 v4, v146, v15, -v4
	v_add_f32_e32 v3, v3, v4
	;; [unrolled: 3-line block ×36, first 2 shown]
	v_mul_f32_e32 v4, v217, v253
	v_fma_f32 v4, v216, v51, -v4
	v_mul_f32_e32 v2, v2, v255
	v_add_f32_e32 v3, v3, v4
	v_fma_f32 v1, v1, v254, -v2
	v_add_f32_e32 v1, v3, v1
	v_sub_f32_e32 v1, v124, v1
	v_sub_f32_e32 v2, v125, v52
	buffer_store_dword v1, off, s[0:3], 0 offset:72
	buffer_store_dword v2, off, s[0:3], 0 offset:76
	s_and_saveexec_b64 s[4:5], vcc
	s_cbranch_execz .LBB56_339
; %bb.338:
	buffer_load_dword v1, off, s[0:3], 0 offset:64
	buffer_load_dword v2, off, s[0:3], 0 offset:68
	s_waitcnt vmcnt(0)
	ds_write_b64 v115, v[1:2]
	buffer_store_dword v116, off, s[0:3], 0 offset:64
	buffer_store_dword v116, off, s[0:3], 0 offset:68
.LBB56_339:
	s_or_b64 exec, exec, s[4:5]
	s_waitcnt lgkmcnt(0)
	; wave barrier
	buffer_load_dword v123, off, s[0:3], 0 offset:76
	buffer_load_dword v122, off, s[0:3], 0 offset:84
	;; [unrolled: 1-line block ×40, first 2 shown]
	ds_read2_b64 v[154:157], v116 offset0:67 offset1:68
	ds_read2_b64 v[158:161], v116 offset0:69 offset1:70
	;; [unrolled: 1-line block ×7, first 2 shown]
	buffer_load_dword v4, off, s[0:3], 0 offset:224
	buffer_load_dword v5, off, s[0:3], 0 offset:228
	;; [unrolled: 1-line block ×8, first 2 shown]
	v_cmp_lt_u32_e32 vcc, 7, v0
	s_waitcnt vmcnt(47) lgkmcnt(6)
	v_mul_f32_e32 v12, v154, v123
	s_waitcnt vmcnt(46)
	v_mul_f32_e32 v13, v156, v122
	s_waitcnt vmcnt(45) lgkmcnt(5)
	v_mul_f32_e32 v14, v158, v121
	s_waitcnt vmcnt(44)
	v_mul_f32_e32 v15, v160, v120
	;; [unrolled: 4-line block ×6, first 2 shown]
	s_waitcnt vmcnt(35)
	v_fmac_f32_e32 v14, v159, v136
	s_waitcnt vmcnt(34)
	v_fmac_f32_e32 v13, v157, v139
	;; [unrolled: 2-line block ×3, first 2 shown]
	v_add_f32_e32 v12, 0, v12
	v_add_f32_e32 v12, v12, v13
	;; [unrolled: 1-line block ×3, first 2 shown]
	buffer_load_dword v13, off, s[0:3], 0 offset:256
	buffer_load_dword v14, off, s[0:3], 0 offset:260
	s_waitcnt vmcnt(31)
	v_fmac_f32_e32 v15, v161, v141
	v_fmac_f32_e32 v16, v163, v138
	v_add_f32_e32 v12, v12, v15
	v_fmac_f32_e32 v17, v165, v135
	v_add_f32_e32 v12, v12, v16
	;; [unrolled: 2-line block ×3, first 2 shown]
	s_waitcnt vmcnt(27)
	v_fmac_f32_e32 v19, v169, v137
	v_add_f32_e32 v12, v12, v18
	v_fmac_f32_e32 v20, v171, v134
	v_add_f32_e32 v12, v12, v19
	v_fmac_f32_e32 v21, v173, v132
	v_add_f32_e32 v12, v12, v20
	v_fmac_f32_e32 v22, v175, v131
	v_add_f32_e32 v12, v12, v21
	ds_read2_b64 v[182:185], v116 offset0:81 offset1:82
	s_waitcnt vmcnt(23)
	v_fmac_f32_e32 v23, v177, v149
	v_add_f32_e32 v12, v12, v22
	s_waitcnt vmcnt(22) lgkmcnt(1)
	v_mul_f32_e32 v15, v178, v148
	v_add_f32_e32 v12, v12, v23
	v_fmac_f32_e32 v15, v179, v145
	v_add_f32_e32 v12, v12, v15
	s_waitcnt vmcnt(21)
	v_mul_f32_e32 v15, v180, v146
	v_fmac_f32_e32 v15, v181, v143
	v_add_f32_e32 v12, v12, v15
	s_waitcnt vmcnt(20) lgkmcnt(0)
	v_mul_f32_e32 v15, v182, v144
	v_fmac_f32_e32 v15, v183, v140
	v_add_f32_e32 v12, v12, v15
	buffer_load_dword v15, off, s[0:3], 0 offset:264
	buffer_load_dword v16, off, s[0:3], 0 offset:268
	;; [unrolled: 1-line block ×6, first 2 shown]
	s_waitcnt vmcnt(25)
	v_mul_f32_e32 v21, v184, v147
	s_waitcnt vmcnt(18)
	v_fmac_f32_e32 v21, v185, v3
	ds_read2_b64 v[186:189], v116 offset0:83 offset1:84
	v_add_f32_e32 v12, v12, v21
	buffer_load_dword v21, off, s[0:3], 0 offset:288
	buffer_load_dword v22, off, s[0:3], 0 offset:292
	ds_read2_b64 v[190:193], v116 offset0:85 offset1:86
	buffer_load_dword v24, off, s[0:3], 0 offset:296
	buffer_load_dword v25, off, s[0:3], 0 offset:300
	;; [unrolled: 1-line block ×14, first 2 shown]
	s_waitcnt lgkmcnt(1)
	v_mul_f32_e32 v23, v186, v151
	v_fmac_f32_e32 v23, v187, v150
	v_add_f32_e32 v12, v12, v23
	v_mul_f32_e32 v23, v188, v153
	buffer_load_dword v38, off, s[0:3], 0 offset:352
	buffer_load_dword v39, off, s[0:3], 0 offset:356
	v_fmac_f32_e32 v23, v189, v152
	v_add_f32_e32 v12, v12, v23
	s_waitcnt lgkmcnt(0)
	v_mul_f32_e32 v23, v190, v2
	v_fmac_f32_e32 v23, v191, v1
	v_add_f32_e32 v12, v12, v23
	s_waitcnt vmcnt(32)
	v_mul_f32_e32 v23, v192, v5
	ds_read2_b64 v[194:197], v116 offset0:87 offset1:88
	v_fmac_f32_e32 v23, v193, v4
	v_add_f32_e32 v12, v12, v23
	buffer_load_dword v23, off, s[0:3], 0 offset:360
	buffer_load_dword v40, off, s[0:3], 0 offset:364
	;; [unrolled: 1-line block ×6, first 2 shown]
	ds_read2_b64 v[198:201], v116 offset0:89 offset1:90
	s_waitcnt vmcnt(36) lgkmcnt(1)
	v_mul_f32_e32 v45, v194, v7
	v_fmac_f32_e32 v45, v195, v6
	v_add_f32_e32 v12, v12, v45
	buffer_load_dword v45, off, s[0:3], 0 offset:384
	buffer_load_dword v46, off, s[0:3], 0 offset:388
	;; [unrolled: 1-line block ×8, first 2 shown]
	s_waitcnt vmcnt(42)
	v_mul_f32_e32 v47, v196, v9
	v_fmac_f32_e32 v47, v197, v8
	v_add_f32_e32 v12, v12, v47
	s_waitcnt vmcnt(40) lgkmcnt(0)
	v_mul_f32_e32 v47, v198, v11
	v_fmac_f32_e32 v47, v199, v10
	v_add_f32_e32 v12, v12, v47
	buffer_load_dword v47, off, s[0:3], 0 offset:416
	buffer_load_dword v54, off, s[0:3], 0 offset:420
	buffer_load_dword v250, off, s[0:3], 0 offset:424
	buffer_load_dword v251, off, s[0:3], 0 offset:428
	buffer_load_dword v252, off, s[0:3], 0 offset:436
	buffer_load_dword v253, off, s[0:3], 0 offset:440
	buffer_load_dword v254, off, s[0:3], 0 offset:444
	buffer_load_dword v255, off, s[0:3], 0 offset:432
	ds_read2_b64 v[202:205], v116 offset0:91 offset1:92
	v_mul_f32_e32 v122, v157, v122
	v_fma_f32 v122, v156, v139, -v122
	v_mul_f32_e32 v121, v159, v121
	v_fma_f32 v121, v158, v136, -v121
	;; [unrolled: 2-line block ×5, first 2 shown]
	v_mul_f32_e32 v117, v167, v117
	s_waitcnt vmcnt(46)
	v_mul_f32_e32 v206, v200, v14
	v_fmac_f32_e32 v206, v201, v13
	v_add_f32_e32 v12, v12, v206
	ds_read2_b64 v[206:209], v116 offset0:93 offset1:94
	buffer_load_dword v55, off, s[0:3], 0 offset:448
	buffer_load_dword v56, off, s[0:3], 0 offset:452
	v_fma_f32 v117, v166, v133, -v117
	v_mul_f32_e32 v2, v191, v2
	v_fma_f32 v1, v190, v1, -v2
	v_mul_f32_e32 v2, v193, v5
	v_fma_f32 v2, v192, v4, -v2
	s_waitcnt vmcnt(46) lgkmcnt(1)
	v_mul_f32_e32 v210, v202, v16
	v_fmac_f32_e32 v210, v203, v15
	v_add_f32_e32 v12, v12, v210
	s_waitcnt vmcnt(45)
	v_mul_f32_e32 v210, v204, v17
	s_waitcnt vmcnt(42)
	v_fmac_f32_e32 v210, v205, v20
	v_add_f32_e32 v12, v12, v210
	s_waitcnt lgkmcnt(0)
	v_mul_f32_e32 v210, v206, v19
	v_fmac_f32_e32 v210, v207, v18
	v_add_f32_e32 v12, v12, v210
	ds_read2_b64 v[210:213], v116 offset0:95 offset1:96
	s_waitcnt vmcnt(40)
	v_mul_f32_e32 v214, v208, v22
	v_fmac_f32_e32 v214, v209, v21
	v_add_f32_e32 v12, v12, v214
	ds_read2_b64 v[214:217], v116 offset0:97 offset1:98
	s_waitcnt vmcnt(38) lgkmcnt(1)
	v_mul_f32_e32 v218, v210, v25
	v_fmac_f32_e32 v218, v211, v24
	v_add_f32_e32 v12, v12, v218
	s_waitcnt vmcnt(37)
	v_mul_f32_e32 v218, v212, v26
	s_waitcnt vmcnt(34)
	v_fmac_f32_e32 v218, v213, v29
	v_add_f32_e32 v12, v12, v218
	s_waitcnt lgkmcnt(0)
	v_mul_f32_e32 v218, v214, v28
	v_fmac_f32_e32 v218, v215, v27
	v_add_f32_e32 v12, v12, v218
	ds_read2_b64 v[218:221], v116 offset0:99 offset1:100
	s_waitcnt vmcnt(32)
	v_mul_f32_e32 v222, v216, v31
	v_fmac_f32_e32 v222, v217, v30
	v_add_f32_e32 v12, v12, v222
	ds_read2_b64 v[222:225], v116 offset0:101 offset1:102
	;; [unrolled: 19-line block ×5, first 2 shown]
	s_waitcnt vmcnt(6) lgkmcnt(1)
	v_mul_f32_e32 v116, v242, v251
	v_fmac_f32_e32 v116, v243, v250
	v_add_f32_e32 v12, v12, v116
	s_waitcnt vmcnt(5)
	v_mul_f32_e32 v116, v244, v252
	s_waitcnt vmcnt(2)
	v_fmac_f32_e32 v116, v245, v255
	v_add_f32_e32 v12, v12, v116
	s_waitcnt lgkmcnt(0)
	v_mul_f32_e32 v116, v246, v254
	v_fmac_f32_e32 v116, v247, v253
	v_add_f32_e32 v12, v12, v116
	s_waitcnt vmcnt(0)
	v_mul_f32_e32 v116, v248, v56
	v_fmac_f32_e32 v116, v249, v55
	v_add_f32_e32 v12, v12, v116
	v_mul_f32_e32 v116, v155, v123
	v_fma_f32 v116, v154, v142, -v116
	v_add_f32_e32 v116, 0, v116
	v_add_f32_e32 v116, v116, v122
	;; [unrolled: 1-line block ×7, first 2 shown]
	v_mul_f32_e32 v117, v169, v126
	v_fma_f32 v117, v168, v137, -v117
	v_add_f32_e32 v116, v116, v117
	v_mul_f32_e32 v117, v171, v127
	v_fma_f32 v117, v170, v134, -v117
	v_add_f32_e32 v116, v116, v117
	v_mul_f32_e32 v117, v173, v128
	v_fma_f32 v117, v172, v132, -v117
	v_add_f32_e32 v116, v116, v117
	v_mul_f32_e32 v117, v175, v129
	v_fma_f32 v117, v174, v131, -v117
	v_add_f32_e32 v116, v116, v117
	v_mul_f32_e32 v117, v177, v130
	v_fma_f32 v117, v176, v149, -v117
	v_add_f32_e32 v116, v116, v117
	v_mul_f32_e32 v117, v179, v148
	v_fma_f32 v117, v178, v145, -v117
	v_add_f32_e32 v116, v116, v117
	v_mul_f32_e32 v117, v181, v146
	v_fma_f32 v117, v180, v143, -v117
	v_add_f32_e32 v116, v116, v117
	v_mul_f32_e32 v117, v183, v144
	v_fma_f32 v117, v182, v140, -v117
	v_add_f32_e32 v116, v116, v117
	v_mul_f32_e32 v117, v185, v147
	v_fma_f32 v3, v184, v3, -v117
	v_add_f32_e32 v3, v116, v3
	v_mul_f32_e32 v116, v187, v151
	v_fma_f32 v116, v186, v150, -v116
	v_add_f32_e32 v3, v3, v116
	v_mul_f32_e32 v116, v189, v153
	v_fma_f32 v116, v188, v152, -v116
	v_add_f32_e32 v3, v3, v116
	v_add_f32_e32 v1, v3, v1
	v_add_f32_e32 v1, v1, v2
	v_mul_f32_e32 v2, v195, v7
	v_fma_f32 v2, v194, v6, -v2
	v_add_f32_e32 v1, v1, v2
	v_mul_f32_e32 v2, v197, v9
	v_fma_f32 v2, v196, v8, -v2
	;; [unrolled: 3-line block ×28, first 2 shown]
	v_add_f32_e32 v1, v1, v2
	v_sub_f32_e32 v1, v124, v1
	v_sub_f32_e32 v2, v125, v12
	buffer_store_dword v1, off, s[0:3], 0 offset:64
	buffer_store_dword v2, off, s[0:3], 0 offset:68
	s_and_saveexec_b64 s[4:5], vcc
	s_cbranch_execz .LBB56_341
; %bb.340:
	buffer_load_dword v1, off, s[0:3], 0 offset:56
	buffer_load_dword v2, off, s[0:3], 0 offset:60
	v_mov_b32_e32 v3, 0
	buffer_store_dword v3, off, s[0:3], 0 offset:56
	buffer_store_dword v3, off, s[0:3], 0 offset:60
	s_waitcnt vmcnt(2)
	ds_write_b64 v115, v[1:2]
.LBB56_341:
	s_or_b64 exec, exec, s[4:5]
	s_waitcnt lgkmcnt(0)
	; wave barrier
	buffer_load_dword v123, off, s[0:3], 0 offset:68
	buffer_load_dword v122, off, s[0:3], 0 offset:76
	buffer_load_dword v121, off, s[0:3], 0 offset:84
	buffer_load_dword v120, off, s[0:3], 0 offset:92
	buffer_load_dword v119, off, s[0:3], 0 offset:100
	buffer_load_dword v118, off, s[0:3], 0 offset:108
	buffer_load_dword v117, off, s[0:3], 0 offset:116
	buffer_load_dword v126, off, s[0:3], 0 offset:124
	buffer_load_dword v127, off, s[0:3], 0 offset:132
	buffer_load_dword v128, off, s[0:3], 0 offset:140
	buffer_load_dword v129, off, s[0:3], 0 offset:148
	buffer_load_dword v3, off, s[0:3], 0 offset:80
	buffer_load_dword v4, off, s[0:3], 0 offset:72
	buffer_load_dword v5, off, s[0:3], 0 offset:64
	buffer_load_dword v6, off, s[0:3], 0 offset:112
	buffer_load_dword v7, off, s[0:3], 0 offset:104
	buffer_load_dword v8, off, s[0:3], 0 offset:96
	buffer_load_dword v9, off, s[0:3], 0 offset:88
	buffer_load_dword v10, off, s[0:3], 0 offset:144
	buffer_load_dword v11, off, s[0:3], 0 offset:136
	buffer_load_dword v12, off, s[0:3], 0 offset:128
	buffer_load_dword v13, off, s[0:3], 0 offset:120
	buffer_load_dword v14, off, s[0:3], 0 offset:156
	buffer_load_dword v15, off, s[0:3], 0 offset:176
	buffer_load_dword v16, off, s[0:3], 0 offset:168
	buffer_load_dword v17, off, s[0:3], 0 offset:160
	buffer_load_dword v18, off, s[0:3], 0 offset:152
	buffer_load_dword v19, off, s[0:3], 0 offset:164
	buffer_load_dword v20, off, s[0:3], 0 offset:172
	buffer_load_dword v21, off, s[0:3], 0 offset:180
	buffer_load_dword v22, off, s[0:3], 0 offset:188
	buffer_load_dword v23, off, s[0:3], 0 offset:200
	buffer_load_dword v24, off, s[0:3], 0 offset:204
	buffer_load_dword v25, off, s[0:3], 0 offset:208
	buffer_load_dword v26, off, s[0:3], 0 offset:212
	buffer_load_dword v27, off, s[0:3], 0 offset:192
	buffer_load_dword v28, off, s[0:3], 0 offset:184
	buffer_load_dword v29, off, s[0:3], 0 offset:196
	buffer_load_dword v124, off, s[0:3], 0 offset:56
	buffer_load_dword v125, off, s[0:3], 0 offset:60
	v_mov_b32_e32 v116, 0
	buffer_load_dword v30, off, s[0:3], 0 offset:216
	buffer_load_dword v31, off, s[0:3], 0 offset:220
	;; [unrolled: 1-line block ×10, first 2 shown]
	ds_read_b128 v[130:133], v116 offset:528
	ds_read_b128 v[134:137], v116 offset:544
	;; [unrolled: 1-line block ×8, first 2 shown]
	v_cmp_lt_u32_e32 vcc, 6, v0
	s_waitcnt vmcnt(49) lgkmcnt(7)
	v_mul_f32_e32 v1, v130, v123
	s_waitcnt vmcnt(48)
	v_mul_f32_e32 v2, v132, v122
	s_waitcnt vmcnt(47) lgkmcnt(6)
	v_mul_f32_e32 v40, v134, v121
	s_waitcnt vmcnt(46)
	v_mul_f32_e32 v41, v136, v120
	;; [unrolled: 4-line block ×5, first 2 shown]
	s_waitcnt vmcnt(39) lgkmcnt(2)
	v_mul_f32_e32 v48, v150, v129
	s_waitcnt vmcnt(38)
	v_fmac_f32_e32 v40, v135, v3
	s_waitcnt vmcnt(37)
	v_fmac_f32_e32 v2, v133, v4
	;; [unrolled: 2-line block ×3, first 2 shown]
	v_add_f32_e32 v1, 0, v1
	v_add_f32_e32 v1, v1, v2
	;; [unrolled: 1-line block ×3, first 2 shown]
	s_waitcnt vmcnt(32)
	v_fmac_f32_e32 v41, v137, v9
	v_fmac_f32_e32 v42, v139, v8
	v_add_f32_e32 v1, v1, v41
	v_fmac_f32_e32 v43, v141, v7
	v_add_f32_e32 v1, v1, v42
	buffer_load_dword v40, off, s[0:3], 0 offset:256
	buffer_load_dword v41, off, s[0:3], 0 offset:260
	v_fmac_f32_e32 v44, v143, v6
	v_add_f32_e32 v1, v1, v43
	s_waitcnt vmcnt(30)
	v_fmac_f32_e32 v45, v145, v13
	v_add_f32_e32 v1, v1, v44
	v_add_f32_e32 v1, v1, v45
	ds_read_b128 v[162:165], v116 offset:656
	buffer_load_dword v42, off, s[0:3], 0 offset:268
	buffer_load_dword v43, off, s[0:3], 0 offset:272
	;; [unrolled: 1-line block ×4, first 2 shown]
	v_fmac_f32_e32 v46, v147, v12
	v_fmac_f32_e32 v47, v149, v11
	v_add_f32_e32 v1, v1, v46
	v_add_f32_e32 v1, v1, v47
	ds_read_b128 v[166:169], v116 offset:672
	buffer_load_dword v46, off, s[0:3], 0 offset:280
	buffer_load_dword v47, off, s[0:3], 0 offset:284
	v_fmac_f32_e32 v48, v151, v10
	v_add_f32_e32 v1, v1, v48
	buffer_load_dword v48, off, s[0:3], 0 offset:288
	buffer_load_dword v49, off, s[0:3], 0 offset:292
	;; [unrolled: 1-line block ×14, first 2 shown]
	ds_read_b128 v[170:173], v116 offset:688
	buffer_load_dword v231, off, s[0:3], 0 offset:344
	buffer_load_dword v232, off, s[0:3], 0 offset:348
	ds_read_b128 v[174:177], v116 offset:704
	buffer_load_dword v233, off, s[0:3], 0 offset:352
	buffer_load_dword v234, off, s[0:3], 0 offset:356
	;; [unrolled: 1-line block ×16, first 2 shown]
	ds_read_b128 v[178:181], v116 offset:720
	buffer_load_dword v249, off, s[0:3], 0 offset:416
	buffer_load_dword v250, off, s[0:3], 0 offset:420
	;; [unrolled: 1-line block ×6, first 2 shown]
	ds_read_b128 v[182:185], v116 offset:736
	buffer_load_dword v255, off, s[0:3], 0 offset:444
	buffer_load_dword v57, off, s[0:3], 0 offset:448
	;; [unrolled: 1-line block ×4, first 2 shown]
	s_waitcnt vmcnt(62)
	v_mul_f32_e32 v2, v152, v14
	v_fmac_f32_e32 v2, v153, v18
	v_add_f32_e32 v1, v1, v2
	s_waitcnt lgkmcnt(7)
	v_mul_f32_e32 v2, v154, v19
	v_fmac_f32_e32 v2, v155, v17
	v_add_f32_e32 v1, v1, v2
	v_mul_f32_e32 v2, v156, v20
	v_fmac_f32_e32 v2, v157, v16
	v_add_f32_e32 v1, v1, v2
	s_waitcnt lgkmcnt(6)
	v_mul_f32_e32 v2, v158, v21
	v_fmac_f32_e32 v2, v159, v15
	v_add_f32_e32 v1, v1, v2
	v_mul_f32_e32 v2, v160, v22
	v_fmac_f32_e32 v2, v161, v28
	v_add_f32_e32 v1, v1, v2
	s_waitcnt lgkmcnt(5)
	v_mul_f32_e32 v2, v162, v29
	v_fmac_f32_e32 v2, v163, v27
	v_add_f32_e32 v1, v1, v2
	v_mul_f32_e32 v2, v164, v24
	v_fmac_f32_e32 v2, v165, v23
	v_add_f32_e32 v1, v1, v2
	s_waitcnt lgkmcnt(4)
	v_mul_f32_e32 v2, v166, v26
	v_fmac_f32_e32 v2, v167, v25
	v_add_f32_e32 v1, v1, v2
	s_waitcnt vmcnt(58)
	v_mul_f32_e32 v2, v168, v31
	v_fmac_f32_e32 v2, v169, v30
	v_add_f32_e32 v1, v1, v2
	s_waitcnt vmcnt(56) lgkmcnt(3)
	v_mul_f32_e32 v2, v170, v33
	v_fmac_f32_e32 v2, v171, v32
	v_add_f32_e32 v1, v1, v2
	s_waitcnt vmcnt(54)
	v_mul_f32_e32 v2, v172, v35
	v_fmac_f32_e32 v2, v173, v34
	v_add_f32_e32 v1, v1, v2
	s_waitcnt vmcnt(52) lgkmcnt(2)
	v_mul_f32_e32 v2, v174, v37
	v_fmac_f32_e32 v2, v175, v36
	v_add_f32_e32 v1, v1, v2
	s_waitcnt vmcnt(50)
	v_mul_f32_e32 v2, v176, v39
	v_fmac_f32_e32 v2, v177, v38
	v_add_f32_e32 v1, v1, v2
	ds_read_b128 v[186:189], v116 offset:752
	ds_read_b128 v[190:193], v116 offset:768
	ds_read_b128 v[194:197], v116 offset:784
	ds_read_b128 v[198:201], v116 offset:800
	ds_read_b128 v[202:205], v116 offset:816
	ds_read_b128 v[206:209], v116 offset:832
	ds_read_b128 v[210:213], v116 offset:848
	ds_read_b128 v[214:217], v116 offset:864
	ds_read_b128 v[218:221], v116 offset:880
	ds_read_b128 v[222:225], v116 offset:896
	s_waitcnt vmcnt(48) lgkmcnt(11)
	v_mul_f32_e32 v2, v178, v41
	v_fmac_f32_e32 v2, v179, v40
	v_add_f32_e32 v1, v1, v2
	s_waitcnt vmcnt(47)
	v_mul_f32_e32 v2, v180, v42
	s_waitcnt vmcnt(44)
	v_fmac_f32_e32 v2, v181, v45
	v_add_f32_e32 v1, v1, v2
	s_waitcnt lgkmcnt(10)
	v_mul_f32_e32 v2, v182, v44
	v_fmac_f32_e32 v2, v183, v43
	v_add_f32_e32 v1, v1, v2
	s_waitcnt vmcnt(42)
	v_mul_f32_e32 v2, v184, v47
	v_fmac_f32_e32 v2, v185, v46
	v_add_f32_e32 v1, v1, v2
	s_waitcnt vmcnt(40) lgkmcnt(9)
	v_mul_f32_e32 v2, v186, v49
	v_fmac_f32_e32 v2, v187, v48
	v_add_f32_e32 v1, v1, v2
	s_waitcnt vmcnt(39)
	v_mul_f32_e32 v2, v188, v50
	s_waitcnt vmcnt(36)
	v_fmac_f32_e32 v2, v189, v53
	v_add_f32_e32 v1, v1, v2
	s_waitcnt lgkmcnt(8)
	v_mul_f32_e32 v2, v190, v52
	v_fmac_f32_e32 v2, v191, v51
	v_add_f32_e32 v1, v1, v2
	s_waitcnt vmcnt(34)
	v_mul_f32_e32 v2, v192, v55
	v_fmac_f32_e32 v2, v193, v54
	v_add_f32_e32 v1, v1, v2
	;; [unrolled: 17-line block ×5, first 2 shown]
	s_waitcnt vmcnt(8) lgkmcnt(1)
	v_mul_f32_e32 v2, v218, v250
	v_fmac_f32_e32 v2, v219, v249
	v_add_f32_e32 v1, v1, v2
	s_waitcnt vmcnt(7)
	v_mul_f32_e32 v2, v220, v251
	s_waitcnt vmcnt(4)
	v_fmac_f32_e32 v2, v221, v254
	v_add_f32_e32 v60, v1, v2
	ds_read_b64 v[1:2], v116 offset:912
	s_waitcnt lgkmcnt(1)
	v_mul_f32_e32 v61, v222, v253
	v_fmac_f32_e32 v61, v223, v252
	v_add_f32_e32 v60, v60, v61
	s_waitcnt vmcnt(3)
	v_mul_f32_e32 v61, v224, v255
	s_waitcnt vmcnt(0)
	v_fmac_f32_e32 v61, v225, v59
	v_add_f32_e32 v60, v60, v61
	s_waitcnt lgkmcnt(0)
	v_mul_f32_e32 v61, v1, v58
	v_fmac_f32_e32 v61, v2, v57
	v_add_f32_e32 v60, v60, v61
	v_mul_f32_e32 v61, v131, v123
	v_fma_f32 v5, v130, v5, -v61
	v_mul_f32_e32 v61, v133, v122
	v_add_f32_e32 v5, 0, v5
	v_fma_f32 v4, v132, v4, -v61
	v_add_f32_e32 v4, v5, v4
	v_mul_f32_e32 v5, v135, v121
	v_fma_f32 v3, v134, v3, -v5
	v_add_f32_e32 v3, v4, v3
	v_mul_f32_e32 v4, v137, v120
	;; [unrolled: 3-line block ×46, first 2 shown]
	v_fma_f32 v4, v224, v59, -v4
	v_mul_f32_e32 v2, v2, v58
	v_add_f32_e32 v3, v3, v4
	v_fma_f32 v1, v1, v57, -v2
	v_add_f32_e32 v1, v3, v1
	v_sub_f32_e32 v1, v124, v1
	v_sub_f32_e32 v2, v125, v60
	buffer_store_dword v1, off, s[0:3], 0 offset:56
	buffer_store_dword v2, off, s[0:3], 0 offset:60
	s_and_saveexec_b64 s[4:5], vcc
	s_cbranch_execz .LBB56_343
; %bb.342:
	buffer_load_dword v1, off, s[0:3], 0 offset:48
	buffer_load_dword v2, off, s[0:3], 0 offset:52
	s_waitcnt vmcnt(0)
	ds_write_b64 v115, v[1:2]
	buffer_store_dword v116, off, s[0:3], 0 offset:48
	buffer_store_dword v116, off, s[0:3], 0 offset:52
.LBB56_343:
	s_or_b64 exec, exec, s[4:5]
	s_waitcnt lgkmcnt(0)
	; wave barrier
	buffer_load_dword v123, off, s[0:3], 0 offset:60
	buffer_load_dword v122, off, s[0:3], 0 offset:68
	buffer_load_dword v121, off, s[0:3], 0 offset:76
	buffer_load_dword v120, off, s[0:3], 0 offset:84
	buffer_load_dword v119, off, s[0:3], 0 offset:92
	buffer_load_dword v118, off, s[0:3], 0 offset:100
	buffer_load_dword v117, off, s[0:3], 0 offset:108
	buffer_load_dword v126, off, s[0:3], 0 offset:116
	buffer_load_dword v127, off, s[0:3], 0 offset:124
	buffer_load_dword v128, off, s[0:3], 0 offset:132
	buffer_load_dword v129, off, s[0:3], 0 offset:140
	buffer_load_dword v130, off, s[0:3], 0 offset:148
	buffer_load_dword v1, off, s[0:3], 0 offset:72
	buffer_load_dword v2, off, s[0:3], 0 offset:64
	buffer_load_dword v3, off, s[0:3], 0 offset:56
	buffer_load_dword v4, off, s[0:3], 0 offset:104
	buffer_load_dword v5, off, s[0:3], 0 offset:96
	buffer_load_dword v6, off, s[0:3], 0 offset:88
	buffer_load_dword v7, off, s[0:3], 0 offset:80
	buffer_load_dword v8, off, s[0:3], 0 offset:136
	buffer_load_dword v9, off, s[0:3], 0 offset:128
	buffer_load_dword v10, off, s[0:3], 0 offset:120
	buffer_load_dword v11, off, s[0:3], 0 offset:112
	buffer_load_dword v12, off, s[0:3], 0 offset:168
	buffer_load_dword v13, off, s[0:3], 0 offset:160
	buffer_load_dword v14, off, s[0:3], 0 offset:152
	buffer_load_dword v15, off, s[0:3], 0 offset:144
	buffer_load_dword v16, off, s[0:3], 0 offset:156
	buffer_load_dword v17, off, s[0:3], 0 offset:164
	buffer_load_dword v18, off, s[0:3], 0 offset:172
	buffer_load_dword v19, off, s[0:3], 0 offset:180
	buffer_load_dword v20, off, s[0:3], 0 offset:192
	buffer_load_dword v21, off, s[0:3], 0 offset:196
	buffer_load_dword v22, off, s[0:3], 0 offset:200
	buffer_load_dword v23, off, s[0:3], 0 offset:204
	buffer_load_dword v24, off, s[0:3], 0 offset:184
	buffer_load_dword v25, off, s[0:3], 0 offset:176
	buffer_load_dword v26, off, s[0:3], 0 offset:188
	buffer_load_dword v124, off, s[0:3], 0 offset:48
	buffer_load_dword v125, off, s[0:3], 0 offset:52
	ds_read2_b64 v[131:134], v116 offset0:65 offset1:66
	ds_read2_b64 v[135:138], v116 offset0:67 offset1:68
	;; [unrolled: 1-line block ×7, first 2 shown]
	buffer_load_dword v27, off, s[0:3], 0 offset:208
	buffer_load_dword v28, off, s[0:3], 0 offset:212
	;; [unrolled: 1-line block ×10, first 2 shown]
	ds_read2_b64 v[159:162], v116 offset0:79 offset1:80
	v_cmp_lt_u32_e32 vcc, 5, v0
	s_waitcnt vmcnt(49) lgkmcnt(7)
	v_mul_f32_e32 v37, v131, v123
	s_waitcnt vmcnt(48)
	v_mul_f32_e32 v38, v133, v122
	s_waitcnt vmcnt(47) lgkmcnt(6)
	v_mul_f32_e32 v39, v135, v121
	s_waitcnt vmcnt(46)
	v_mul_f32_e32 v40, v137, v120
	;; [unrolled: 4-line block ×6, first 2 shown]
	s_waitcnt vmcnt(37)
	v_fmac_f32_e32 v39, v136, v1
	s_waitcnt vmcnt(36)
	v_fmac_f32_e32 v38, v134, v2
	;; [unrolled: 2-line block ×3, first 2 shown]
	v_add_f32_e32 v37, 0, v37
	v_add_f32_e32 v37, v37, v38
	v_add_f32_e32 v37, v37, v39
	s_waitcnt vmcnt(31)
	v_fmac_f32_e32 v40, v138, v7
	v_fmac_f32_e32 v41, v140, v6
	v_add_f32_e32 v37, v37, v40
	v_fmac_f32_e32 v42, v142, v5
	v_add_f32_e32 v37, v37, v41
	;; [unrolled: 2-line block ×3, first 2 shown]
	s_waitcnt vmcnt(27)
	v_fmac_f32_e32 v44, v146, v11
	v_add_f32_e32 v37, v37, v43
	v_fmac_f32_e32 v45, v148, v10
	v_add_f32_e32 v37, v37, v44
	;; [unrolled: 2-line block ×4, first 2 shown]
	v_add_f32_e32 v37, v37, v47
	s_waitcnt vmcnt(23)
	v_fmac_f32_e32 v48, v154, v15
	s_waitcnt vmcnt(22) lgkmcnt(1)
	v_mul_f32_e32 v38, v155, v16
	v_add_f32_e32 v37, v37, v48
	v_fmac_f32_e32 v38, v156, v14
	buffer_load_dword v39, off, s[0:3], 0 offset:252
	v_add_f32_e32 v37, v37, v38
	s_waitcnt vmcnt(22)
	v_mul_f32_e32 v38, v157, v17
	v_fmac_f32_e32 v38, v158, v13
	buffer_load_dword v40, off, s[0:3], 0 offset:248
	buffer_load_dword v41, off, s[0:3], 0 offset:256
	;; [unrolled: 1-line block ×3, first 2 shown]
	ds_read2_b64 v[163:166], v116 offset0:81 offset1:82
	v_add_f32_e32 v37, v37, v38
	s_waitcnt vmcnt(24) lgkmcnt(1)
	v_mul_f32_e32 v38, v159, v18
	v_fmac_f32_e32 v38, v160, v12
	v_add_f32_e32 v37, v37, v38
	s_waitcnt vmcnt(23)
	v_mul_f32_e32 v38, v161, v19
	buffer_load_dword v43, off, s[0:3], 0 offset:264
	buffer_load_dword v44, off, s[0:3], 0 offset:268
	s_waitcnt vmcnt(19)
	v_fmac_f32_e32 v38, v162, v25
	v_add_f32_e32 v37, v37, v38
	s_waitcnt vmcnt(18) lgkmcnt(0)
	v_mul_f32_e32 v38, v163, v26
	v_fmac_f32_e32 v38, v164, v24
	ds_read2_b64 v[167:170], v116 offset0:83 offset1:84
	v_add_f32_e32 v37, v37, v38
	buffer_load_dword v38, off, s[0:3], 0 offset:272
	buffer_load_dword v45, off, s[0:3], 0 offset:276
	;; [unrolled: 1-line block ×8, first 2 shown]
	v_mul_f32_e32 v46, v165, v21
	v_fmac_f32_e32 v46, v166, v20
	v_add_f32_e32 v37, v37, v46
	s_waitcnt lgkmcnt(0)
	v_mul_f32_e32 v46, v167, v23
	v_fmac_f32_e32 v46, v168, v22
	v_add_f32_e32 v37, v37, v46
	buffer_load_dword v46, off, s[0:3], 0 offset:304
	buffer_load_dword v53, off, s[0:3], 0 offset:308
	ds_read2_b64 v[171:174], v116 offset0:85 offset1:86
	buffer_load_dword v55, off, s[0:3], 0 offset:312
	buffer_load_dword v56, off, s[0:3], 0 offset:316
	;; [unrolled: 1-line block ×6, first 2 shown]
	ds_read2_b64 v[175:178], v116 offset0:87 offset1:88
	buffer_load_dword v61, off, s[0:3], 0 offset:336
	buffer_load_dword v62, off, s[0:3], 0 offset:340
	s_waitcnt vmcnt(32)
	v_mul_f32_e32 v54, v169, v28
	v_fmac_f32_e32 v54, v170, v27
	v_add_f32_e32 v37, v37, v54
	s_waitcnt vmcnt(30) lgkmcnt(1)
	v_mul_f32_e32 v54, v171, v30
	v_fmac_f32_e32 v54, v172, v29
	v_add_f32_e32 v37, v37, v54
	buffer_load_dword v54, off, s[0:3], 0 offset:344
	buffer_load_dword v231, off, s[0:3], 0 offset:348
	;; [unrolled: 1-line block ×14, first 2 shown]
	s_waitcnt vmcnt(42)
	v_mul_f32_e32 v179, v173, v32
	v_fmac_f32_e32 v179, v174, v31
	v_add_f32_e32 v37, v37, v179
	s_waitcnt vmcnt(40) lgkmcnt(0)
	v_mul_f32_e32 v179, v175, v34
	v_fmac_f32_e32 v179, v176, v33
	v_add_f32_e32 v37, v37, v179
	ds_read2_b64 v[179:182], v116 offset0:89 offset1:90
	buffer_load_dword v244, off, s[0:3], 0 offset:400
	buffer_load_dword v245, off, s[0:3], 0 offset:404
	s_waitcnt vmcnt(40)
	v_mul_f32_e32 v183, v177, v36
	v_fmac_f32_e32 v183, v178, v35
	v_add_f32_e32 v37, v37, v183
	ds_read2_b64 v[183:186], v116 offset0:91 offset1:92
	buffer_load_dword v246, off, s[0:3], 0 offset:408
	buffer_load_dword v247, off, s[0:3], 0 offset:412
	;; [unrolled: 1-line block ×12, first 2 shown]
	s_waitcnt vmcnt(51) lgkmcnt(1)
	v_mul_f32_e32 v187, v179, v39
	s_waitcnt vmcnt(50)
	v_fmac_f32_e32 v187, v180, v40
	v_add_f32_e32 v37, v37, v187
	s_waitcnt vmcnt(48)
	v_mul_f32_e32 v187, v181, v42
	v_fmac_f32_e32 v187, v182, v41
	v_add_f32_e32 v37, v37, v187
	s_waitcnt vmcnt(46) lgkmcnt(0)
	v_mul_f32_e32 v187, v183, v44
	v_fmac_f32_e32 v187, v184, v43
	v_add_f32_e32 v37, v37, v187
	ds_read2_b64 v[187:190], v116 offset0:93 offset1:94
	s_waitcnt vmcnt(44)
	v_mul_f32_e32 v191, v185, v45
	v_fmac_f32_e32 v191, v186, v38
	v_add_f32_e32 v37, v37, v191
	ds_read2_b64 v[191:194], v116 offset0:95 offset1:96
	s_waitcnt vmcnt(42) lgkmcnt(1)
	v_mul_f32_e32 v195, v187, v48
	v_fmac_f32_e32 v195, v188, v47
	v_add_f32_e32 v37, v37, v195
	s_waitcnt vmcnt(41)
	v_mul_f32_e32 v195, v189, v49
	s_waitcnt vmcnt(38)
	v_fmac_f32_e32 v195, v190, v52
	v_add_f32_e32 v37, v37, v195
	s_waitcnt lgkmcnt(0)
	v_mul_f32_e32 v195, v191, v51
	v_fmac_f32_e32 v195, v192, v50
	v_add_f32_e32 v37, v37, v195
	ds_read2_b64 v[195:198], v116 offset0:97 offset1:98
	s_waitcnt vmcnt(36)
	v_mul_f32_e32 v199, v193, v53
	v_fmac_f32_e32 v199, v194, v46
	v_add_f32_e32 v37, v37, v199
	ds_read2_b64 v[199:202], v116 offset0:99 offset1:100
	s_waitcnt vmcnt(34) lgkmcnt(1)
	v_mul_f32_e32 v203, v195, v56
	v_fmac_f32_e32 v203, v196, v55
	v_add_f32_e32 v37, v37, v203
	s_waitcnt vmcnt(33)
	v_mul_f32_e32 v203, v197, v57
	s_waitcnt vmcnt(30)
	v_fmac_f32_e32 v203, v198, v60
	v_add_f32_e32 v37, v37, v203
	s_waitcnt lgkmcnt(0)
	;; [unrolled: 19-line block ×4, first 2 shown]
	v_mul_f32_e32 v219, v215, v242
	v_fmac_f32_e32 v219, v216, v241
	v_add_f32_e32 v37, v37, v219
	ds_read2_b64 v[219:222], v116 offset0:109 offset1:110
	s_waitcnt vmcnt(12)
	v_mul_f32_e32 v223, v217, v245
	v_fmac_f32_e32 v223, v218, v244
	v_add_f32_e32 v37, v37, v223
	ds_read2_b64 v[223:226], v116 offset0:111 offset1:112
	s_waitcnt vmcnt(10) lgkmcnt(1)
	v_mul_f32_e32 v227, v219, v247
	v_fmac_f32_e32 v227, v220, v246
	v_add_f32_e32 v37, v37, v227
	s_waitcnt vmcnt(9)
	v_mul_f32_e32 v227, v221, v248
	s_waitcnt vmcnt(6)
	v_fmac_f32_e32 v227, v222, v251
	v_add_f32_e32 v37, v37, v227
	ds_read2_b64 v[227:230], v116 offset0:113 offset1:114
	s_waitcnt lgkmcnt(1)
	v_mul_f32_e32 v65, v223, v250
	v_fmac_f32_e32 v65, v224, v249
	v_add_f32_e32 v37, v37, v65
	s_waitcnt vmcnt(4)
	v_mul_f32_e32 v65, v225, v253
	v_fmac_f32_e32 v65, v226, v252
	v_add_f32_e32 v37, v37, v65
	s_waitcnt vmcnt(3) lgkmcnt(0)
	v_mul_f32_e32 v65, v227, v254
	s_waitcnt vmcnt(0)
	v_fmac_f32_e32 v65, v228, v64
	v_add_f32_e32 v37, v37, v65
	v_mul_f32_e32 v65, v229, v63
	v_fmac_f32_e32 v65, v230, v255
	v_add_f32_e32 v37, v37, v65
	v_mul_f32_e32 v65, v132, v123
	v_fma_f32 v3, v131, v3, -v65
	v_mul_f32_e32 v65, v134, v122
	v_add_f32_e32 v3, 0, v3
	v_fma_f32 v2, v133, v2, -v65
	v_add_f32_e32 v2, v3, v2
	v_mul_f32_e32 v3, v136, v121
	v_fma_f32 v1, v135, v1, -v3
	v_add_f32_e32 v1, v2, v1
	v_mul_f32_e32 v2, v138, v120
	;; [unrolled: 3-line block ×48, first 2 shown]
	v_fma_f32 v2, v229, v255, -v2
	v_add_f32_e32 v1, v1, v2
	v_sub_f32_e32 v1, v124, v1
	v_sub_f32_e32 v2, v125, v37
	buffer_store_dword v1, off, s[0:3], 0 offset:48
	buffer_store_dword v2, off, s[0:3], 0 offset:52
	s_and_saveexec_b64 s[4:5], vcc
	s_cbranch_execz .LBB56_345
; %bb.344:
	buffer_load_dword v1, off, s[0:3], 0 offset:40
	buffer_load_dword v2, off, s[0:3], 0 offset:44
	v_mov_b32_e32 v3, 0
	buffer_store_dword v3, off, s[0:3], 0 offset:40
	buffer_store_dword v3, off, s[0:3], 0 offset:44
	s_waitcnt vmcnt(2)
	ds_write_b64 v115, v[1:2]
.LBB56_345:
	s_or_b64 exec, exec, s[4:5]
	s_waitcnt lgkmcnt(0)
	; wave barrier
	buffer_load_dword v125, off, s[0:3], 0 offset:52
	buffer_load_dword v124, off, s[0:3], 0 offset:60
	;; [unrolled: 1-line block ×40, first 2 shown]
	v_mov_b32_e32 v116, 0
	buffer_load_dword v28, off, s[0:3], 0 offset:200
	buffer_load_dword v29, off, s[0:3], 0 offset:204
	;; [unrolled: 1-line block ×10, first 2 shown]
	ds_read_b128 v[132:135], v116 offset:512
	ds_read_b128 v[136:139], v116 offset:528
	;; [unrolled: 1-line block ×7, first 2 shown]
	v_cmp_lt_u32_e32 vcc, 4, v0
	s_waitcnt vmcnt(49) lgkmcnt(6)
	v_mul_f32_e32 v1, v132, v125
	s_waitcnt vmcnt(48)
	v_mul_f32_e32 v2, v134, v124
	s_waitcnt vmcnt(47) lgkmcnt(5)
	v_mul_f32_e32 v38, v136, v121
	s_waitcnt vmcnt(46)
	v_mul_f32_e32 v39, v138, v120
	;; [unrolled: 4-line block ×6, first 2 shown]
	s_waitcnt vmcnt(37)
	v_fmac_f32_e32 v38, v137, v3
	s_waitcnt vmcnt(36)
	v_fmac_f32_e32 v2, v135, v4
	;; [unrolled: 2-line block ×3, first 2 shown]
	v_add_f32_e32 v1, 0, v1
	v_add_f32_e32 v1, v1, v2
	;; [unrolled: 1-line block ×3, first 2 shown]
	s_waitcnt vmcnt(31)
	v_fmac_f32_e32 v39, v139, v9
	v_fmac_f32_e32 v40, v141, v8
	v_add_f32_e32 v1, v1, v39
	buffer_load_dword v38, off, s[0:3], 0 offset:240
	buffer_load_dword v39, off, s[0:3], 0 offset:244
	v_fmac_f32_e32 v41, v143, v7
	v_add_f32_e32 v1, v1, v40
	v_fmac_f32_e32 v42, v145, v6
	v_add_f32_e32 v1, v1, v41
	s_waitcnt vmcnt(29)
	v_fmac_f32_e32 v43, v147, v12
	v_add_f32_e32 v1, v1, v42
	v_fmac_f32_e32 v44, v149, v11
	v_add_f32_e32 v1, v1, v43
	ds_read_b128 v[160:163], v116 offset:624
	buffer_load_dword v40, off, s[0:3], 0 offset:252
	buffer_load_dword v41, off, s[0:3], 0 offset:248
	buffer_load_dword v42, off, s[0:3], 0 offset:256
	buffer_load_dword v43, off, s[0:3], 0 offset:260
	v_fmac_f32_e32 v45, v151, v10
	v_add_f32_e32 v1, v1, v44
	v_add_f32_e32 v1, v1, v45
	ds_read_b128 v[164:167], v116 offset:640
	ds_read_b128 v[168:171], v116 offset:656
	buffer_load_dword v44, off, s[0:3], 0 offset:264
	buffer_load_dword v45, off, s[0:3], 0 offset:268
	v_fmac_f32_e32 v46, v153, v131
	v_add_f32_e32 v1, v1, v46
	s_waitcnt vmcnt(31)
	v_fmac_f32_e32 v47, v155, v16
	v_add_f32_e32 v1, v1, v47
	buffer_load_dword v46, off, s[0:3], 0 offset:272
	buffer_load_dword v47, off, s[0:3], 0 offset:276
	;; [unrolled: 1-line block ×8, first 2 shown]
	ds_read_b128 v[172:175], v116 offset:672
	buffer_load_dword v54, off, s[0:3], 0 offset:304
	buffer_load_dword v55, off, s[0:3], 0 offset:308
	;; [unrolled: 1-line block ×6, first 2 shown]
	ds_read_b128 v[176:179], v116 offset:688
	buffer_load_dword v60, off, s[0:3], 0 offset:328
	buffer_load_dword v61, off, s[0:3], 0 offset:332
	;; [unrolled: 1-line block ×10, first 2 shown]
	ds_read_b128 v[180:183], v116 offset:704
	buffer_load_dword v235, off, s[0:3], 0 offset:368
	buffer_load_dword v236, off, s[0:3], 0 offset:372
	;; [unrolled: 1-line block ×6, first 2 shown]
	ds_read_b128 v[184:187], v116 offset:720
	buffer_load_dword v241, off, s[0:3], 0 offset:392
	buffer_load_dword v242, off, s[0:3], 0 offset:396
	;; [unrolled: 1-line block ×16, first 2 shown]
	s_waitcnt vmcnt(62) lgkmcnt(7)
	v_mul_f32_e32 v2, v156, v17
	v_fmac_f32_e32 v2, v157, v15
	v_add_f32_e32 v1, v1, v2
	v_mul_f32_e32 v2, v158, v18
	v_fmac_f32_e32 v2, v159, v14
	v_add_f32_e32 v1, v1, v2
	s_waitcnt lgkmcnt(6)
	v_mul_f32_e32 v2, v160, v19
	v_fmac_f32_e32 v2, v161, v13
	v_add_f32_e32 v1, v1, v2
	v_mul_f32_e32 v2, v162, v20
	v_fmac_f32_e32 v2, v163, v27
	v_add_f32_e32 v1, v1, v2
	s_waitcnt lgkmcnt(5)
	;; [unrolled: 7-line block ×3, first 2 shown]
	v_mul_f32_e32 v2, v168, v26
	v_fmac_f32_e32 v2, v169, v25
	v_add_f32_e32 v1, v1, v2
	v_mul_f32_e32 v2, v170, v29
	v_fmac_f32_e32 v2, v171, v28
	v_add_f32_e32 v1, v1, v2
	s_waitcnt vmcnt(60) lgkmcnt(3)
	v_mul_f32_e32 v2, v172, v31
	v_fmac_f32_e32 v2, v173, v30
	v_add_f32_e32 v1, v1, v2
	s_waitcnt vmcnt(58)
	v_mul_f32_e32 v2, v174, v33
	v_fmac_f32_e32 v2, v175, v32
	v_add_f32_e32 v1, v1, v2
	s_waitcnt vmcnt(56) lgkmcnt(2)
	v_mul_f32_e32 v2, v176, v35
	v_fmac_f32_e32 v2, v177, v34
	v_add_f32_e32 v1, v1, v2
	s_waitcnt vmcnt(54)
	v_mul_f32_e32 v2, v178, v37
	v_fmac_f32_e32 v2, v179, v36
	v_add_f32_e32 v1, v1, v2
	ds_read_b128 v[188:191], v116 offset:736
	ds_read_b128 v[192:195], v116 offset:752
	;; [unrolled: 1-line block ×8, first 2 shown]
	s_waitcnt vmcnt(52) lgkmcnt(9)
	v_mul_f32_e32 v2, v180, v39
	v_fmac_f32_e32 v2, v181, v38
	v_add_f32_e32 v1, v1, v2
	ds_read_b128 v[220:223], v116 offset:864
	ds_read_b128 v[224:227], v116 offset:880
	;; [unrolled: 1-line block ×3, first 2 shown]
	s_waitcnt vmcnt(51)
	v_mul_f32_e32 v2, v182, v40
	s_waitcnt vmcnt(50)
	v_fmac_f32_e32 v2, v183, v41
	v_add_f32_e32 v1, v1, v2
	s_waitcnt vmcnt(48) lgkmcnt(11)
	v_mul_f32_e32 v2, v184, v43
	v_fmac_f32_e32 v2, v185, v42
	v_add_f32_e32 v1, v1, v2
	s_waitcnt vmcnt(46)
	v_mul_f32_e32 v2, v186, v45
	v_fmac_f32_e32 v2, v187, v44
	v_add_f32_e32 v1, v1, v2
	s_waitcnt vmcnt(44) lgkmcnt(10)
	v_mul_f32_e32 v2, v188, v47
	v_fmac_f32_e32 v2, v189, v46
	v_add_f32_e32 v1, v1, v2
	s_waitcnt vmcnt(43)
	v_mul_f32_e32 v2, v190, v48
	s_waitcnt vmcnt(40)
	v_fmac_f32_e32 v2, v191, v51
	v_add_f32_e32 v1, v1, v2
	s_waitcnt lgkmcnt(9)
	v_mul_f32_e32 v2, v192, v50
	v_fmac_f32_e32 v2, v193, v49
	v_add_f32_e32 v1, v1, v2
	s_waitcnt vmcnt(38)
	v_mul_f32_e32 v2, v194, v53
	v_fmac_f32_e32 v2, v195, v52
	v_add_f32_e32 v1, v1, v2
	s_waitcnt vmcnt(36) lgkmcnt(8)
	v_mul_f32_e32 v2, v196, v55
	v_fmac_f32_e32 v2, v197, v54
	v_add_f32_e32 v1, v1, v2
	s_waitcnt vmcnt(35)
	v_mul_f32_e32 v2, v198, v56
	s_waitcnt vmcnt(32)
	v_fmac_f32_e32 v2, v199, v59
	v_add_f32_e32 v1, v1, v2
	s_waitcnt lgkmcnt(7)
	;; [unrolled: 17-line block ×5, first 2 shown]
	v_mul_f32_e32 v2, v224, v247
	v_fmac_f32_e32 v2, v225, v246
	v_add_f32_e32 v1, v1, v2
	s_waitcnt vmcnt(6)
	v_mul_f32_e32 v2, v226, v250
	v_fmac_f32_e32 v2, v227, v249
	v_add_f32_e32 v68, v1, v2
	ds_read_b64 v[1:2], v116 offset:912
	s_waitcnt vmcnt(4) lgkmcnt(1)
	v_mul_f32_e32 v69, v228, v252
	v_fmac_f32_e32 v69, v229, v251
	v_add_f32_e32 v68, v68, v69
	s_waitcnt vmcnt(3)
	v_mul_f32_e32 v69, v230, v253
	s_waitcnt vmcnt(0)
	v_fmac_f32_e32 v69, v231, v67
	v_add_f32_e32 v68, v68, v69
	s_waitcnt lgkmcnt(0)
	v_mul_f32_e32 v69, v1, v255
	v_fmac_f32_e32 v69, v2, v254
	v_add_f32_e32 v68, v68, v69
	v_mul_f32_e32 v69, v133, v125
	v_fma_f32 v5, v132, v5, -v69
	v_mul_f32_e32 v69, v135, v124
	v_add_f32_e32 v5, 0, v5
	v_fma_f32 v4, v134, v4, -v69
	v_add_f32_e32 v4, v5, v4
	v_mul_f32_e32 v5, v137, v121
	v_fma_f32 v3, v136, v3, -v5
	v_add_f32_e32 v3, v4, v3
	v_mul_f32_e32 v4, v139, v120
	;; [unrolled: 3-line block ×48, first 2 shown]
	v_fma_f32 v4, v230, v67, -v4
	v_mul_f32_e32 v2, v2, v255
	v_add_f32_e32 v3, v3, v4
	v_fma_f32 v1, v1, v254, -v2
	v_add_f32_e32 v1, v3, v1
	v_sub_f32_e32 v1, v122, v1
	v_sub_f32_e32 v2, v123, v68
	buffer_store_dword v1, off, s[0:3], 0 offset:40
	buffer_store_dword v2, off, s[0:3], 0 offset:44
	s_and_saveexec_b64 s[4:5], vcc
	s_cbranch_execz .LBB56_347
; %bb.346:
	buffer_load_dword v1, off, s[0:3], 0 offset:32
	buffer_load_dword v2, off, s[0:3], 0 offset:36
	s_waitcnt vmcnt(0)
	ds_write_b64 v115, v[1:2]
	buffer_store_dword v116, off, s[0:3], 0 offset:32
	buffer_store_dword v116, off, s[0:3], 0 offset:36
.LBB56_347:
	s_or_b64 exec, exec, s[4:5]
	s_waitcnt lgkmcnt(0)
	; wave barrier
	buffer_load_dword v125, off, s[0:3], 0 offset:44
	buffer_load_dword v122, off, s[0:3], 0 offset:52
	;; [unrolled: 1-line block ×40, first 2 shown]
	ds_read2_b64 v[140:143], v116 offset0:63 offset1:64
	ds_read2_b64 v[144:147], v116 offset0:65 offset1:66
	;; [unrolled: 1-line block ×6, first 2 shown]
	buffer_load_dword v18, off, s[0:3], 0 offset:192
	buffer_load_dword v19, off, s[0:3], 0 offset:196
	;; [unrolled: 1-line block ×12, first 2 shown]
	ds_read2_b64 v[164:167], v116 offset0:75 offset1:76
	ds_read2_b64 v[168:171], v116 offset0:77 offset1:78
	v_cmp_lt_u32_e32 vcc, 3, v0
	s_waitcnt vmcnt(51) lgkmcnt(7)
	v_mul_f32_e32 v30, v140, v125
	s_waitcnt vmcnt(50)
	v_mul_f32_e32 v31, v142, v122
	s_waitcnt vmcnt(49) lgkmcnt(6)
	v_mul_f32_e32 v32, v144, v121
	s_waitcnt vmcnt(48)
	v_mul_f32_e32 v33, v146, v120
	;; [unrolled: 4-line block ×5, first 2 shown]
	s_waitcnt vmcnt(41) lgkmcnt(2)
	v_mul_f32_e32 v40, v160, v129
	s_waitcnt vmcnt(40)
	v_fmac_f32_e32 v32, v145, v136
	s_waitcnt vmcnt(39)
	v_fmac_f32_e32 v31, v143, v139
	;; [unrolled: 2-line block ×3, first 2 shown]
	v_add_f32_e32 v30, 0, v30
	v_add_f32_e32 v30, v30, v31
	;; [unrolled: 1-line block ×3, first 2 shown]
	s_waitcnt vmcnt(34)
	v_fmac_f32_e32 v33, v147, v2
	v_fmac_f32_e32 v34, v149, v138
	v_add_f32_e32 v30, v30, v33
	buffer_load_dword v32, off, s[0:3], 0 offset:240
	buffer_load_dword v33, off, s[0:3], 0 offset:244
	v_fmac_f32_e32 v35, v151, v135
	v_add_f32_e32 v30, v30, v34
	v_add_f32_e32 v30, v30, v35
	buffer_load_dword v34, off, s[0:3], 0 offset:248
	buffer_load_dword v35, off, s[0:3], 0 offset:252
	v_fmac_f32_e32 v36, v153, v132
	s_waitcnt vmcnt(34)
	v_fmac_f32_e32 v37, v155, v137
	v_add_f32_e32 v30, v30, v36
	v_add_f32_e32 v30, v30, v37
	ds_read2_b64 v[172:175], v116 offset0:79 offset1:80
	buffer_load_dword v36, off, s[0:3], 0 offset:256
	buffer_load_dword v37, off, s[0:3], 0 offset:260
	v_fmac_f32_e32 v38, v157, v134
	v_fmac_f32_e32 v39, v159, v131
	v_add_f32_e32 v30, v30, v38
	v_fmac_f32_e32 v40, v161, v130
	v_add_f32_e32 v30, v30, v39
	s_waitcnt vmcnt(35)
	v_mul_f32_e32 v31, v162, v133
	v_add_f32_e32 v30, v30, v40
	s_waitcnt vmcnt(31)
	v_fmac_f32_e32 v31, v163, v6
	v_add_f32_e32 v30, v30, v31
	s_waitcnt vmcnt(30) lgkmcnt(2)
	v_mul_f32_e32 v31, v164, v7
	v_fmac_f32_e32 v31, v165, v5
	v_add_f32_e32 v30, v30, v31
	s_waitcnt vmcnt(29)
	v_mul_f32_e32 v31, v166, v8
	v_fmac_f32_e32 v31, v167, v4
	v_add_f32_e32 v30, v30, v31
	s_waitcnt vmcnt(28) lgkmcnt(1)
	v_mul_f32_e32 v31, v168, v9
	v_fmac_f32_e32 v31, v169, v3
	v_add_f32_e32 v30, v30, v31
	s_waitcnt vmcnt(27)
	v_mul_f32_e32 v31, v170, v10
	s_waitcnt vmcnt(21)
	v_fmac_f32_e32 v31, v171, v16
	ds_read2_b64 v[176:179], v116 offset0:81 offset1:82
	v_add_f32_e32 v30, v30, v31
	s_waitcnt vmcnt(20) lgkmcnt(1)
	v_mul_f32_e32 v31, v172, v17
	v_fmac_f32_e32 v31, v173, v15
	v_add_f32_e32 v30, v30, v31
	v_mul_f32_e32 v31, v174, v12
	v_fmac_f32_e32 v31, v175, v11
	v_add_f32_e32 v30, v30, v31
	s_waitcnt lgkmcnt(0)
	v_mul_f32_e32 v31, v176, v14
	v_fmac_f32_e32 v31, v177, v13
	v_add_f32_e32 v30, v30, v31
	buffer_load_dword v31, off, s[0:3], 0 offset:264
	buffer_load_dword v38, off, s[0:3], 0 offset:268
	;; [unrolled: 1-line block ×6, first 2 shown]
	s_waitcnt vmcnt(22)
	v_mul_f32_e32 v43, v178, v19
	v_fmac_f32_e32 v43, v179, v18
	ds_read2_b64 v[180:183], v116 offset0:83 offset1:84
	v_add_f32_e32 v30, v30, v43
	buffer_load_dword v43, off, s[0:3], 0 offset:288
	buffer_load_dword v44, off, s[0:3], 0 offset:292
	ds_read2_b64 v[184:187], v116 offset0:85 offset1:86
	buffer_load_dword v46, off, s[0:3], 0 offset:296
	buffer_load_dword v47, off, s[0:3], 0 offset:300
	buffer_load_dword v48, off, s[0:3], 0 offset:308
	buffer_load_dword v49, off, s[0:3], 0 offset:312
	buffer_load_dword v50, off, s[0:3], 0 offset:316
	buffer_load_dword v51, off, s[0:3], 0 offset:304
	buffer_load_dword v52, off, s[0:3], 0 offset:320
	buffer_load_dword v53, off, s[0:3], 0 offset:324
	buffer_load_dword v54, off, s[0:3], 0 offset:328
	buffer_load_dword v55, off, s[0:3], 0 offset:332
	buffer_load_dword v56, off, s[0:3], 0 offset:340
	buffer_load_dword v57, off, s[0:3], 0 offset:344
	buffer_load_dword v58, off, s[0:3], 0 offset:348
	buffer_load_dword v59, off, s[0:3], 0 offset:336
	s_waitcnt vmcnt(36) lgkmcnt(1)
	v_mul_f32_e32 v45, v180, v21
	v_fmac_f32_e32 v45, v181, v20
	v_add_f32_e32 v30, v30, v45
	s_waitcnt vmcnt(34)
	v_mul_f32_e32 v45, v182, v23
	buffer_load_dword v60, off, s[0:3], 0 offset:352
	buffer_load_dword v61, off, s[0:3], 0 offset:356
	v_fmac_f32_e32 v45, v183, v22
	v_add_f32_e32 v30, v30, v45
	s_waitcnt vmcnt(34) lgkmcnt(0)
	v_mul_f32_e32 v45, v184, v25
	v_fmac_f32_e32 v45, v185, v24
	v_add_f32_e32 v30, v30, v45
	s_waitcnt vmcnt(32)
	v_mul_f32_e32 v45, v186, v27
	ds_read2_b64 v[188:191], v116 offset0:87 offset1:88
	v_fmac_f32_e32 v45, v187, v26
	v_add_f32_e32 v30, v30, v45
	buffer_load_dword v45, off, s[0:3], 0 offset:360
	buffer_load_dword v62, off, s[0:3], 0 offset:364
	;; [unrolled: 1-line block ×6, first 2 shown]
	ds_read2_b64 v[192:195], v116 offset0:89 offset1:90
	s_waitcnt vmcnt(36) lgkmcnt(1)
	v_mul_f32_e32 v67, v188, v29
	v_fmac_f32_e32 v67, v189, v28
	v_add_f32_e32 v30, v30, v67
	buffer_load_dword v67, off, s[0:3], 0 offset:384
	buffer_load_dword v68, off, s[0:3], 0 offset:388
	buffer_load_dword v70, off, s[0:3], 0 offset:392
	buffer_load_dword v244, off, s[0:3], 0 offset:396
	buffer_load_dword v245, off, s[0:3], 0 offset:404
	buffer_load_dword v246, off, s[0:3], 0 offset:408
	buffer_load_dword v247, off, s[0:3], 0 offset:412
	buffer_load_dword v248, off, s[0:3], 0 offset:400
	s_waitcnt vmcnt(42)
	v_mul_f32_e32 v69, v190, v33
	v_fmac_f32_e32 v69, v191, v32
	v_add_f32_e32 v30, v30, v69
	s_waitcnt vmcnt(40) lgkmcnt(0)
	v_mul_f32_e32 v69, v192, v35
	v_fmac_f32_e32 v69, v193, v34
	v_add_f32_e32 v30, v30, v69
	buffer_load_dword v69, off, s[0:3], 0 offset:416
	buffer_load_dword v249, off, s[0:3], 0 offset:420
	;; [unrolled: 1-line block ×8, first 2 shown]
	ds_read2_b64 v[196:199], v116 offset0:91 offset1:92
	s_waitcnt vmcnt(46)
	v_mul_f32_e32 v200, v194, v37
	v_fmac_f32_e32 v200, v195, v36
	v_add_f32_e32 v30, v30, v200
	ds_read2_b64 v[200:203], v116 offset0:93 offset1:94
	buffer_load_dword v71, off, s[0:3], 0 offset:448
	buffer_load_dword v72, off, s[0:3], 0 offset:452
	s_waitcnt vmcnt(46) lgkmcnt(1)
	v_mul_f32_e32 v204, v196, v38
	v_fmac_f32_e32 v204, v197, v31
	v_add_f32_e32 v30, v30, v204
	s_waitcnt vmcnt(45)
	v_mul_f32_e32 v204, v198, v39
	s_waitcnt vmcnt(42)
	v_fmac_f32_e32 v204, v199, v42
	v_add_f32_e32 v30, v30, v204
	s_waitcnt lgkmcnt(0)
	v_mul_f32_e32 v204, v200, v41
	v_fmac_f32_e32 v204, v201, v40
	v_add_f32_e32 v30, v30, v204
	ds_read2_b64 v[204:207], v116 offset0:95 offset1:96
	s_waitcnt vmcnt(40)
	v_mul_f32_e32 v208, v202, v44
	v_fmac_f32_e32 v208, v203, v43
	v_add_f32_e32 v30, v30, v208
	ds_read2_b64 v[208:211], v116 offset0:97 offset1:98
	s_waitcnt vmcnt(38) lgkmcnt(1)
	v_mul_f32_e32 v212, v204, v47
	v_fmac_f32_e32 v212, v205, v46
	v_add_f32_e32 v30, v30, v212
	s_waitcnt vmcnt(37)
	v_mul_f32_e32 v212, v206, v48
	s_waitcnt vmcnt(34)
	v_fmac_f32_e32 v212, v207, v51
	v_add_f32_e32 v30, v30, v212
	s_waitcnt lgkmcnt(0)
	v_mul_f32_e32 v212, v208, v50
	v_fmac_f32_e32 v212, v209, v49
	v_add_f32_e32 v30, v30, v212
	ds_read2_b64 v[212:215], v116 offset0:99 offset1:100
	s_waitcnt vmcnt(32)
	v_mul_f32_e32 v216, v210, v53
	v_fmac_f32_e32 v216, v211, v52
	v_add_f32_e32 v30, v30, v216
	ds_read2_b64 v[216:219], v116 offset0:101 offset1:102
	;; [unrolled: 19-line block ×5, first 2 shown]
	s_waitcnt vmcnt(6) lgkmcnt(1)
	v_mul_f32_e32 v116, v236, v251
	v_fmac_f32_e32 v116, v237, v250
	v_add_f32_e32 v30, v30, v116
	s_waitcnt vmcnt(5)
	v_mul_f32_e32 v116, v238, v252
	s_waitcnt vmcnt(2)
	v_fmac_f32_e32 v116, v239, v255
	v_add_f32_e32 v30, v30, v116
	s_waitcnt lgkmcnt(0)
	v_mul_f32_e32 v116, v240, v254
	v_fmac_f32_e32 v116, v241, v253
	v_add_f32_e32 v30, v30, v116
	s_waitcnt vmcnt(0)
	v_mul_f32_e32 v116, v242, v72
	v_fmac_f32_e32 v116, v243, v71
	v_add_f32_e32 v30, v30, v116
	v_mul_f32_e32 v116, v141, v125
	v_fma_f32 v1, v140, v1, -v116
	v_mul_f32_e32 v116, v143, v122
	v_add_f32_e32 v1, 0, v1
	v_fma_f32 v116, v142, v139, -v116
	v_add_f32_e32 v1, v1, v116
	v_mul_f32_e32 v116, v145, v121
	v_fma_f32 v116, v144, v136, -v116
	v_add_f32_e32 v1, v1, v116
	v_mul_f32_e32 v116, v147, v120
	;; [unrolled: 3-line block ×50, first 2 shown]
	v_fma_f32 v2, v242, v71, -v2
	v_add_f32_e32 v1, v1, v2
	v_sub_f32_e32 v1, v123, v1
	v_sub_f32_e32 v2, v124, v30
	buffer_store_dword v1, off, s[0:3], 0 offset:32
	buffer_store_dword v2, off, s[0:3], 0 offset:36
	s_and_saveexec_b64 s[4:5], vcc
	s_cbranch_execz .LBB56_349
; %bb.348:
	buffer_load_dword v1, off, s[0:3], 0 offset:24
	buffer_load_dword v2, off, s[0:3], 0 offset:28
	v_mov_b32_e32 v3, 0
	buffer_store_dword v3, off, s[0:3], 0 offset:24
	buffer_store_dword v3, off, s[0:3], 0 offset:28
	s_waitcnt vmcnt(2)
	ds_write_b64 v115, v[1:2]
.LBB56_349:
	s_or_b64 exec, exec, s[4:5]
	s_waitcnt lgkmcnt(0)
	; wave barrier
	buffer_load_dword v125, off, s[0:3], 0 offset:36
	buffer_load_dword v124, off, s[0:3], 0 offset:44
	;; [unrolled: 1-line block ×40, first 2 shown]
	v_mov_b32_e32 v116, 0
	buffer_load_dword v11, off, s[0:3], 0 offset:184
	buffer_load_dword v12, off, s[0:3], 0 offset:188
	;; [unrolled: 1-line block ×11, first 2 shown]
	ds_read_b128 v[153:156], v116 offset:496
	ds_read_b128 v[157:160], v116 offset:512
	;; [unrolled: 1-line block ×8, first 2 shown]
	v_cmp_lt_u32_e32 vcc, 2, v0
	s_waitcnt vmcnt(50) lgkmcnt(7)
	v_mul_f32_e32 v1, v153, v125
	s_waitcnt vmcnt(49)
	v_mul_f32_e32 v2, v155, v124
	s_waitcnt vmcnt(48) lgkmcnt(6)
	v_mul_f32_e32 v3, v157, v123
	s_waitcnt vmcnt(47)
	v_mul_f32_e32 v4, v159, v122
	;; [unrolled: 4-line block ×5, first 2 shown]
	s_waitcnt vmcnt(40) lgkmcnt(2)
	v_mul_f32_e32 v26, v173, v129
	s_waitcnt vmcnt(39)
	v_fmac_f32_e32 v3, v158, v136
	s_waitcnt vmcnt(38)
	v_fmac_f32_e32 v2, v156, v139
	;; [unrolled: 2-line block ×3, first 2 shown]
	v_add_f32_e32 v1, 0, v1
	v_add_f32_e32 v1, v1, v2
	;; [unrolled: 1-line block ×3, first 2 shown]
	s_waitcnt vmcnt(33)
	v_fmac_f32_e32 v4, v160, v140
	v_fmac_f32_e32 v5, v162, v138
	v_add_f32_e32 v1, v1, v4
	v_fmac_f32_e32 v6, v164, v135
	v_add_f32_e32 v1, v1, v5
	;; [unrolled: 2-line block ×3, first 2 shown]
	s_waitcnt vmcnt(29)
	v_fmac_f32_e32 v23, v168, v137
	v_add_f32_e32 v1, v1, v22
	v_fmac_f32_e32 v24, v170, v134
	v_add_f32_e32 v1, v1, v23
	;; [unrolled: 2-line block ×3, first 2 shown]
	buffer_load_dword v22, off, s[0:3], 0 offset:224
	buffer_load_dword v23, off, s[0:3], 0 offset:232
	buffer_load_dword v24, off, s[0:3], 0 offset:236
	v_fmac_f32_e32 v26, v174, v130
	v_add_f32_e32 v1, v1, v25
	v_add_f32_e32 v1, v1, v26
	buffer_load_dword v25, off, s[0:3], 0 offset:240
	buffer_load_dword v26, off, s[0:3], 0 offset:244
	ds_read_b128 v[185:188], v116 offset:624
	buffer_load_dword v27, off, s[0:3], 0 offset:248
	buffer_load_dword v28, off, s[0:3], 0 offset:252
	ds_read_b128 v[189:192], v116 offset:640
	;; [unrolled: 3-line block ×3, first 2 shown]
	buffer_load_dword v31, off, s[0:3], 0 offset:268
	buffer_load_dword v32, off, s[0:3], 0 offset:272
	;; [unrolled: 1-line block ×4, first 2 shown]
	ds_read_b128 v[197:200], v116 offset:672
	buffer_load_dword v35, off, s[0:3], 0 offset:280
	buffer_load_dword v36, off, s[0:3], 0 offset:284
	;; [unrolled: 1-line block ×16, first 2 shown]
	ds_read_b128 v[201:204], v116 offset:688
	buffer_load_dword v51, off, s[0:3], 0 offset:344
	buffer_load_dword v52, off, s[0:3], 0 offset:348
	ds_read_b128 v[205:208], v116 offset:704
	buffer_load_dword v53, off, s[0:3], 0 offset:352
	buffer_load_dword v54, off, s[0:3], 0 offset:356
	;; [unrolled: 1-line block ×16, first 2 shown]
	ds_read_b128 v[209:212], v116 offset:720
	buffer_load_dword v69, off, s[0:3], 0 offset:416
	buffer_load_dword v70, off, s[0:3], 0 offset:420
	;; [unrolled: 1-line block ×6, first 2 shown]
	s_waitcnt vmcnt(62)
	v_mul_f32_e32 v2, v175, v133
	v_fmac_f32_e32 v2, v176, v148
	v_add_f32_e32 v1, v1, v2
	s_waitcnt lgkmcnt(8)
	v_mul_f32_e32 v2, v177, v147
	ds_read_b128 v[213:216], v116 offset:736
	buffer_load_dword v255, off, s[0:3], 0 offset:444
	buffer_load_dword v73, off, s[0:3], 0 offset:448
	;; [unrolled: 1-line block ×4, first 2 shown]
	v_fmac_f32_e32 v2, v178, v145
	v_add_f32_e32 v1, v1, v2
	v_mul_f32_e32 v2, v179, v146
	v_fmac_f32_e32 v2, v180, v143
	v_add_f32_e32 v1, v1, v2
	s_waitcnt lgkmcnt(8)
	v_mul_f32_e32 v2, v181, v144
	v_fmac_f32_e32 v2, v182, v142
	v_add_f32_e32 v1, v1, v2
	v_mul_f32_e32 v2, v183, v149
	v_fmac_f32_e32 v2, v184, v10
	v_add_f32_e32 v1, v1, v2
	s_waitcnt lgkmcnt(7)
	v_mul_f32_e32 v2, v185, v151
	;; [unrolled: 7-line block ×3, first 2 shown]
	v_fmac_f32_e32 v2, v190, v8
	v_add_f32_e32 v1, v1, v2
	v_mul_f32_e32 v2, v191, v12
	v_fmac_f32_e32 v2, v192, v11
	v_add_f32_e32 v1, v1, v2
	s_waitcnt vmcnt(62) lgkmcnt(5)
	v_mul_f32_e32 v2, v193, v14
	v_fmac_f32_e32 v2, v194, v13
	v_add_f32_e32 v1, v1, v2
	v_mul_f32_e32 v2, v195, v16
	v_fmac_f32_e32 v2, v196, v15
	v_add_f32_e32 v1, v1, v2
	s_waitcnt vmcnt(60) lgkmcnt(4)
	v_mul_f32_e32 v2, v197, v18
	v_fmac_f32_e32 v2, v198, v17
	v_add_f32_e32 v1, v1, v2
	s_waitcnt vmcnt(58)
	v_mul_f32_e32 v2, v199, v20
	v_fmac_f32_e32 v2, v200, v19
	v_add_f32_e32 v1, v1, v2
	s_waitcnt vmcnt(57) lgkmcnt(3)
	v_mul_f32_e32 v2, v201, v21
	ds_read_b128 v[217:220], v116 offset:752
	ds_read_b128 v[221:224], v116 offset:768
	;; [unrolled: 1-line block ×9, first 2 shown]
	v_mul_f32_e32 v78, v156, v124
	v_fma_f32 v78, v155, v139, -v78
	s_waitcnt vmcnt(56)
	v_fmac_f32_e32 v2, v202, v22
	v_add_f32_e32 v1, v1, v2
	s_waitcnt vmcnt(54)
	v_mul_f32_e32 v2, v203, v24
	v_fmac_f32_e32 v2, v204, v23
	v_add_f32_e32 v1, v1, v2
	v_mul_f32_e32 v7, v188, v7
	s_waitcnt vmcnt(52) lgkmcnt(11)
	v_mul_f32_e32 v2, v205, v26
	v_fmac_f32_e32 v2, v206, v25
	v_add_f32_e32 v1, v1, v2
	s_waitcnt vmcnt(50)
	v_mul_f32_e32 v2, v207, v28
	v_fmac_f32_e32 v2, v208, v27
	v_add_f32_e32 v1, v1, v2
	s_waitcnt vmcnt(48) lgkmcnt(10)
	v_mul_f32_e32 v2, v209, v30
	v_fmac_f32_e32 v2, v210, v29
	v_add_f32_e32 v1, v1, v2
	s_waitcnt vmcnt(47)
	v_mul_f32_e32 v2, v211, v31
	s_waitcnt vmcnt(44)
	v_fmac_f32_e32 v2, v212, v34
	v_add_f32_e32 v1, v1, v2
	s_waitcnt lgkmcnt(9)
	v_mul_f32_e32 v2, v213, v33
	v_fmac_f32_e32 v2, v214, v32
	v_add_f32_e32 v1, v1, v2
	s_waitcnt vmcnt(42)
	v_mul_f32_e32 v2, v215, v36
	v_fmac_f32_e32 v2, v216, v35
	v_add_f32_e32 v1, v1, v2
	s_waitcnt vmcnt(40) lgkmcnt(8)
	v_mul_f32_e32 v2, v217, v38
	v_fmac_f32_e32 v2, v218, v37
	v_add_f32_e32 v1, v1, v2
	s_waitcnt vmcnt(39)
	v_mul_f32_e32 v2, v219, v39
	s_waitcnt vmcnt(36)
	v_fmac_f32_e32 v2, v220, v42
	v_add_f32_e32 v1, v1, v2
	s_waitcnt lgkmcnt(7)
	;; [unrolled: 17-line block ×5, first 2 shown]
	v_mul_f32_e32 v2, v245, v65
	v_fmac_f32_e32 v2, v246, v64
	v_add_f32_e32 v1, v1, v2
	s_waitcnt vmcnt(10)
	v_mul_f32_e32 v2, v247, v68
	v_fmac_f32_e32 v2, v248, v67
	v_add_f32_e32 v5, v1, v2
	ds_read_b128 v[1:4], v116 offset:896
	s_waitcnt vmcnt(8) lgkmcnt(1)
	v_mul_f32_e32 v6, v249, v70
	v_fmac_f32_e32 v6, v250, v69
	v_add_f32_e32 v5, v5, v6
	s_waitcnt vmcnt(7)
	v_mul_f32_e32 v6, v251, v71
	s_waitcnt vmcnt(4)
	v_fmac_f32_e32 v6, v252, v254
	v_add_f32_e32 v76, v5, v6
	ds_read_b64 v[5:6], v116 offset:912
	s_waitcnt lgkmcnt(1)
	v_mul_f32_e32 v77, v1, v253
	v_fmac_f32_e32 v77, v2, v72
	v_add_f32_e32 v76, v76, v77
	s_waitcnt vmcnt(3)
	v_mul_f32_e32 v77, v3, v255
	s_waitcnt vmcnt(0)
	v_fmac_f32_e32 v77, v4, v75
	v_add_f32_e32 v76, v76, v77
	s_waitcnt lgkmcnt(0)
	v_mul_f32_e32 v77, v5, v74
	v_fmac_f32_e32 v77, v6, v73
	v_add_f32_e32 v76, v76, v77
	v_mul_f32_e32 v77, v154, v125
	v_fma_f32 v77, v153, v141, -v77
	v_add_f32_e32 v77, 0, v77
	v_add_f32_e32 v77, v77, v78
	v_mul_f32_e32 v78, v158, v123
	v_fma_f32 v78, v157, v136, -v78
	v_add_f32_e32 v77, v77, v78
	v_mul_f32_e32 v78, v160, v122
	v_fma_f32 v78, v159, v140, -v78
	;; [unrolled: 3-line block ×15, first 2 shown]
	v_add_f32_e32 v10, v10, v77
	v_fma_f32 v7, v187, v152, -v7
	v_mul_f32_e32 v9, v190, v9
	v_add_f32_e32 v7, v10, v7
	v_fma_f32 v8, v189, v8, -v9
	v_add_f32_e32 v7, v7, v8
	v_mul_f32_e32 v8, v192, v12
	v_fma_f32 v8, v191, v11, -v8
	v_add_f32_e32 v7, v7, v8
	v_mul_f32_e32 v8, v194, v14
	;; [unrolled: 3-line block ×31, first 2 shown]
	v_fma_f32 v8, v251, v254, -v8
	v_mul_f32_e32 v2, v2, v253
	v_add_f32_e32 v7, v7, v8
	v_fma_f32 v1, v1, v72, -v2
	v_mul_f32_e32 v2, v4, v255
	v_add_f32_e32 v1, v7, v1
	v_fma_f32 v2, v3, v75, -v2
	v_add_f32_e32 v1, v1, v2
	v_mul_f32_e32 v2, v6, v74
	v_fma_f32 v2, v5, v73, -v2
	v_add_f32_e32 v1, v1, v2
	v_sub_f32_e32 v1, v117, v1
	v_sub_f32_e32 v2, v118, v76
	buffer_store_dword v1, off, s[0:3], 0 offset:24
	buffer_store_dword v2, off, s[0:3], 0 offset:28
	s_and_saveexec_b64 s[4:5], vcc
	s_cbranch_execz .LBB56_351
; %bb.350:
	buffer_load_dword v1, off, s[0:3], 0 offset:16
	buffer_load_dword v2, off, s[0:3], 0 offset:20
	s_waitcnt vmcnt(0)
	ds_write_b64 v115, v[1:2]
	buffer_store_dword v116, off, s[0:3], 0 offset:16
	buffer_store_dword v116, off, s[0:3], 0 offset:20
.LBB56_351:
	s_or_b64 exec, exec, s[4:5]
	s_waitcnt lgkmcnt(0)
	; wave barrier
	buffer_load_dword v125, off, s[0:3], 0 offset:28
	buffer_load_dword v124, off, s[0:3], 0 offset:36
	;; [unrolled: 1-line block ×40, first 2 shown]
	ds_read2_b64 v[1:4], v116 offset0:61 offset1:62
	ds_read2_b64 v[150:153], v116 offset0:63 offset1:64
	;; [unrolled: 1-line block ×6, first 2 shown]
	buffer_load_dword v12, off, s[0:3], 0 offset:176
	buffer_load_dword v13, off, s[0:3], 0 offset:180
	;; [unrolled: 1-line block ×12, first 2 shown]
	ds_read2_b64 v[170:173], v116 offset0:73 offset1:74
	ds_read2_b64 v[174:177], v116 offset0:75 offset1:76
	v_cmp_lt_u32_e32 vcc, 1, v0
	s_waitcnt vmcnt(51) lgkmcnt(7)
	v_mul_f32_e32 v24, v1, v125
	s_waitcnt vmcnt(50)
	v_mul_f32_e32 v25, v3, v124
	s_waitcnt vmcnt(49) lgkmcnt(6)
	v_mul_f32_e32 v26, v150, v123
	s_waitcnt vmcnt(48)
	v_mul_f32_e32 v27, v152, v122
	;; [unrolled: 4-line block ×5, first 2 shown]
	s_waitcnt vmcnt(41) lgkmcnt(2)
	v_mul_f32_e32 v34, v166, v129
	s_waitcnt vmcnt(40)
	v_fmac_f32_e32 v26, v151, v136
	s_waitcnt vmcnt(39)
	v_fmac_f32_e32 v25, v4, v139
	;; [unrolled: 2-line block ×3, first 2 shown]
	v_add_f32_e32 v24, 0, v24
	v_add_f32_e32 v24, v24, v25
	;; [unrolled: 1-line block ×3, first 2 shown]
	s_waitcnt vmcnt(34)
	v_fmac_f32_e32 v27, v153, v140
	v_fmac_f32_e32 v28, v155, v138
	v_add_f32_e32 v24, v24, v27
	v_fmac_f32_e32 v29, v157, v135
	v_add_f32_e32 v24, v24, v28
	;; [unrolled: 2-line block ×3, first 2 shown]
	s_waitcnt vmcnt(30)
	v_fmac_f32_e32 v31, v161, v137
	v_add_f32_e32 v24, v24, v30
	v_fmac_f32_e32 v32, v163, v134
	v_add_f32_e32 v24, v24, v31
	v_fmac_f32_e32 v33, v165, v131
	v_add_f32_e32 v24, v24, v32
	v_fmac_f32_e32 v34, v167, v130
	v_add_f32_e32 v24, v24, v33
	s_waitcnt vmcnt(29)
	v_mul_f32_e32 v25, v168, v133
	v_add_f32_e32 v24, v24, v34
	s_waitcnt vmcnt(25)
	v_fmac_f32_e32 v25, v169, v148
	v_add_f32_e32 v24, v24, v25
	s_waitcnt vmcnt(24) lgkmcnt(1)
	v_mul_f32_e32 v25, v170, v147
	buffer_load_dword v26, off, s[0:3], 0 offset:228
	buffer_load_dword v27, off, s[0:3], 0 offset:224
	;; [unrolled: 1-line block ×4, first 2 shown]
	v_fmac_f32_e32 v25, v171, v145
	v_add_f32_e32 v24, v24, v25
	s_waitcnt vmcnt(27)
	v_mul_f32_e32 v25, v172, v146
	v_fmac_f32_e32 v25, v173, v143
	v_add_f32_e32 v24, v24, v25
	buffer_load_dword v25, off, s[0:3], 0 offset:240
	buffer_load_dword v30, off, s[0:3], 0 offset:244
	ds_read2_b64 v[178:181], v116 offset0:77 offset1:78
	ds_read2_b64 v[182:185], v116 offset0:79 offset1:80
	s_waitcnt vmcnt(28) lgkmcnt(2)
	v_mul_f32_e32 v31, v174, v144
	v_fmac_f32_e32 v31, v175, v142
	v_add_f32_e32 v24, v24, v31
	s_waitcnt vmcnt(27)
	v_mul_f32_e32 v31, v176, v149
	s_waitcnt vmcnt(21)
	v_fmac_f32_e32 v31, v177, v10
	v_add_f32_e32 v24, v24, v31
	s_waitcnt vmcnt(20) lgkmcnt(1)
	v_mul_f32_e32 v31, v178, v11
	v_fmac_f32_e32 v31, v179, v9
	v_add_f32_e32 v24, v24, v31
	v_mul_f32_e32 v31, v180, v6
	buffer_load_dword v32, off, s[0:3], 0 offset:252
	v_fmac_f32_e32 v31, v181, v5
	buffer_load_dword v33, off, s[0:3], 0 offset:248
	buffer_load_dword v34, off, s[0:3], 0 offset:256
	;; [unrolled: 1-line block ×3, first 2 shown]
	ds_read2_b64 v[186:189], v116 offset0:81 offset1:82
	v_add_f32_e32 v24, v24, v31
	s_waitcnt lgkmcnt(1)
	v_mul_f32_e32 v31, v182, v8
	v_fmac_f32_e32 v31, v183, v7
	v_add_f32_e32 v24, v24, v31
	s_waitcnt vmcnt(20)
	v_mul_f32_e32 v31, v184, v13
	v_fmac_f32_e32 v31, v185, v12
	buffer_load_dword v36, off, s[0:3], 0 offset:264
	buffer_load_dword v37, off, s[0:3], 0 offset:268
	v_add_f32_e32 v24, v24, v31
	s_waitcnt vmcnt(20) lgkmcnt(0)
	v_mul_f32_e32 v31, v186, v15
	v_fmac_f32_e32 v31, v187, v14
	ds_read2_b64 v[190:193], v116 offset0:83 offset1:84
	v_add_f32_e32 v24, v24, v31
	buffer_load_dword v31, off, s[0:3], 0 offset:272
	buffer_load_dword v38, off, s[0:3], 0 offset:276
	s_waitcnt vmcnt(20)
	v_mul_f32_e32 v39, v188, v17
	v_fmac_f32_e32 v39, v189, v16
	buffer_load_dword v40, off, s[0:3], 0 offset:280
	buffer_load_dword v41, off, s[0:3], 0 offset:284
	;; [unrolled: 1-line block ×6, first 2 shown]
	v_add_f32_e32 v24, v24, v39
	s_waitcnt vmcnt(24) lgkmcnt(0)
	v_mul_f32_e32 v39, v190, v19
	v_fmac_f32_e32 v39, v191, v18
	v_add_f32_e32 v24, v24, v39
	buffer_load_dword v39, off, s[0:3], 0 offset:304
	buffer_load_dword v46, off, s[0:3], 0 offset:308
	ds_read2_b64 v[194:197], v116 offset0:85 offset1:86
	buffer_load_dword v48, off, s[0:3], 0 offset:312
	buffer_load_dword v49, off, s[0:3], 0 offset:316
	;; [unrolled: 1-line block ×6, first 2 shown]
	ds_read2_b64 v[198:201], v116 offset0:87 offset1:88
	buffer_load_dword v54, off, s[0:3], 0 offset:336
	buffer_load_dword v55, off, s[0:3], 0 offset:340
	s_waitcnt vmcnt(32)
	v_mul_f32_e32 v47, v192, v21
	v_fmac_f32_e32 v47, v193, v20
	v_add_f32_e32 v24, v24, v47
	s_waitcnt vmcnt(30) lgkmcnt(1)
	v_mul_f32_e32 v47, v194, v23
	v_mul_f32_e32 v2, v2, v125
	v_fmac_f32_e32 v47, v195, v22
	v_fma_f32 v1, v1, v141, -v2
	v_mul_f32_e32 v2, v4, v124
	v_add_f32_e32 v24, v24, v47
	buffer_load_dword v47, off, s[0:3], 0 offset:344
	buffer_load_dword v56, off, s[0:3], 0 offset:348
	;; [unrolled: 1-line block ×6, first 2 shown]
	v_add_f32_e32 v1, 0, v1
	v_fma_f32 v2, v3, v139, -v2
	v_add_f32_e32 v1, v1, v2
	v_mul_f32_e32 v2, v151, v123
	v_fma_f32 v2, v150, v136, -v2
	buffer_load_dword v62, off, s[0:3], 0 offset:368
	buffer_load_dword v63, off, s[0:3], 0 offset:372
	v_add_f32_e32 v1, v1, v2
	v_mul_f32_e32 v2, v153, v122
	v_fma_f32 v2, v152, v140, -v2
	v_add_f32_e32 v1, v1, v2
	v_mul_f32_e32 v2, v155, v121
	v_fma_f32 v2, v154, v138, -v2
	;; [unrolled: 3-line block ×4, first 2 shown]
	v_add_f32_e32 v1, v1, v2
	s_waitcnt vmcnt(37)
	v_mul_f32_e32 v61, v196, v26
	s_waitcnt vmcnt(36)
	v_fmac_f32_e32 v61, v197, v27
	v_add_f32_e32 v24, v24, v61
	s_waitcnt vmcnt(34) lgkmcnt(0)
	v_mul_f32_e32 v61, v198, v29
	v_fmac_f32_e32 v61, v199, v28
	v_add_f32_e32 v24, v24, v61
	buffer_load_dword v61, off, s[0:3], 0 offset:376
	buffer_load_dword v64, off, s[0:3], 0 offset:380
	;; [unrolled: 1-line block ×6, first 2 shown]
	ds_read2_b64 v[202:205], v116 offset0:89 offset1:90
	v_mul_f32_e32 v2, v161, v126
	s_waitcnt vmcnt(38)
	v_mul_f32_e32 v69, v200, v30
	v_fmac_f32_e32 v69, v201, v25
	v_add_f32_e32 v24, v24, v69
	buffer_load_dword v69, off, s[0:3], 0 offset:400
	buffer_load_dword v70, off, s[0:3], 0 offset:404
	v_fma_f32 v2, v160, v137, -v2
	v_add_f32_e32 v1, v1, v2
	v_mul_f32_e32 v2, v163, v127
	v_fma_f32 v2, v162, v134, -v2
	v_add_f32_e32 v1, v1, v2
	v_mul_f32_e32 v2, v165, v128
	ds_read2_b64 v[206:209], v116 offset0:91 offset1:92
	buffer_load_dword v72, off, s[0:3], 0 offset:408
	buffer_load_dword v73, off, s[0:3], 0 offset:412
	;; [unrolled: 1-line block ×6, first 2 shown]
	v_fma_f32 v2, v164, v131, -v2
	v_add_f32_e32 v1, v1, v2
	v_mul_f32_e32 v2, v167, v129
	v_fma_f32 v2, v166, v130, -v2
	v_add_f32_e32 v1, v1, v2
	v_mul_f32_e32 v2, v169, v133
	;; [unrolled: 3-line block ×3, first 2 shown]
	buffer_load_dword v78, off, s[0:3], 0 offset:432
	buffer_load_dword v254, off, s[0:3], 0 offset:436
	;; [unrolled: 1-line block ×6, first 2 shown]
	v_fma_f32 v2, v170, v145, -v2
	v_add_f32_e32 v1, v1, v2
	v_mul_f32_e32 v2, v173, v146
	v_fma_f32 v2, v172, v143, -v2
	v_add_f32_e32 v1, v1, v2
	v_mul_f32_e32 v2, v175, v144
	;; [unrolled: 3-line block ×15, first 2 shown]
	v_fma_f32 v2, v200, v25, -v2
	v_add_f32_e32 v1, v1, v2
	s_waitcnt vmcnt(51) lgkmcnt(1)
	v_mul_f32_e32 v2, v203, v32
	v_mul_f32_e32 v71, v202, v32
	s_waitcnt vmcnt(50)
	v_fma_f32 v2, v202, v33, -v2
	v_fmac_f32_e32 v71, v203, v33
	v_add_f32_e32 v1, v1, v2
	s_waitcnt vmcnt(48)
	v_mul_f32_e32 v2, v205, v35
	v_add_f32_e32 v24, v24, v71
	v_mul_f32_e32 v71, v204, v35
	ds_read2_b64 v[210:213], v116 offset0:93 offset1:94
	ds_read2_b64 v[214:217], v116 offset0:95 offset1:96
	v_fma_f32 v2, v204, v34, -v2
	v_fmac_f32_e32 v71, v205, v34
	v_add_f32_e32 v1, v1, v2
	s_waitcnt vmcnt(46) lgkmcnt(2)
	v_mul_f32_e32 v2, v207, v37
	v_add_f32_e32 v24, v24, v71
	v_mul_f32_e32 v71, v206, v37
	v_fma_f32 v2, v206, v36, -v2
	v_fmac_f32_e32 v71, v207, v36
	v_add_f32_e32 v1, v1, v2
	s_waitcnt vmcnt(44)
	v_mul_f32_e32 v2, v209, v38
	v_add_f32_e32 v24, v24, v71
	v_mul_f32_e32 v71, v208, v38
	v_fma_f32 v2, v208, v31, -v2
	v_fmac_f32_e32 v71, v209, v31
	v_add_f32_e32 v1, v1, v2
	s_waitcnt vmcnt(42) lgkmcnt(1)
	v_mul_f32_e32 v2, v211, v41
	v_add_f32_e32 v24, v24, v71
	v_mul_f32_e32 v71, v210, v41
	v_fma_f32 v2, v210, v40, -v2
	v_fmac_f32_e32 v71, v211, v40
	v_add_f32_e32 v1, v1, v2
	s_waitcnt vmcnt(41)
	v_mul_f32_e32 v2, v213, v42
	v_add_f32_e32 v24, v24, v71
	v_mul_f32_e32 v71, v212, v42
	ds_read2_b64 v[218:221], v116 offset0:97 offset1:98
	ds_read2_b64 v[222:225], v116 offset0:99 offset1:100
	s_waitcnt vmcnt(38)
	v_fma_f32 v2, v212, v45, -v2
	v_fmac_f32_e32 v71, v213, v45
	v_add_f32_e32 v1, v1, v2
	s_waitcnt lgkmcnt(2)
	v_mul_f32_e32 v2, v215, v44
	v_add_f32_e32 v24, v24, v71
	v_mul_f32_e32 v71, v214, v44
	v_fma_f32 v2, v214, v43, -v2
	v_fmac_f32_e32 v71, v215, v43
	v_add_f32_e32 v1, v1, v2
	s_waitcnt vmcnt(36)
	v_mul_f32_e32 v2, v217, v46
	v_add_f32_e32 v24, v24, v71
	v_mul_f32_e32 v71, v216, v46
	v_fma_f32 v2, v216, v39, -v2
	v_fmac_f32_e32 v71, v217, v39
	v_add_f32_e32 v1, v1, v2
	s_waitcnt vmcnt(34) lgkmcnt(1)
	v_mul_f32_e32 v2, v219, v49
	v_add_f32_e32 v24, v24, v71
	v_mul_f32_e32 v71, v218, v49
	v_fma_f32 v2, v218, v48, -v2
	v_fmac_f32_e32 v71, v219, v48
	v_add_f32_e32 v1, v1, v2
	s_waitcnt vmcnt(33)
	v_mul_f32_e32 v2, v221, v50
	v_add_f32_e32 v24, v24, v71
	v_mul_f32_e32 v71, v220, v50
	ds_read2_b64 v[226:229], v116 offset0:101 offset1:102
	ds_read2_b64 v[230:233], v116 offset0:103 offset1:104
	s_waitcnt vmcnt(30)
	v_fma_f32 v2, v220, v53, -v2
	v_fmac_f32_e32 v71, v221, v53
	v_add_f32_e32 v1, v1, v2
	s_waitcnt lgkmcnt(2)
	;; [unrolled: 31-line block ×4, first 2 shown]
	v_mul_f32_e32 v2, v239, v67
	v_add_f32_e32 v24, v24, v71
	v_mul_f32_e32 v71, v238, v67
	v_fma_f32 v2, v238, v66, -v2
	v_fmac_f32_e32 v71, v239, v66
	v_add_f32_e32 v1, v1, v2
	s_waitcnt vmcnt(12)
	v_mul_f32_e32 v2, v241, v70
	v_add_f32_e32 v24, v24, v71
	v_mul_f32_e32 v71, v240, v70
	v_fma_f32 v2, v240, v69, -v2
	v_fmac_f32_e32 v71, v241, v69
	v_add_f32_e32 v1, v1, v2
	s_waitcnt vmcnt(10) lgkmcnt(1)
	v_mul_f32_e32 v2, v243, v73
	v_add_f32_e32 v24, v24, v71
	v_mul_f32_e32 v71, v242, v73
	v_fma_f32 v2, v242, v72, -v2
	v_fmac_f32_e32 v71, v243, v72
	v_add_f32_e32 v1, v1, v2
	s_waitcnt vmcnt(9)
	v_mul_f32_e32 v2, v245, v74
	v_add_f32_e32 v24, v24, v71
	v_mul_f32_e32 v71, v244, v74
	ds_read2_b64 v[250:253], v116 offset0:113 offset1:114
	s_waitcnt vmcnt(6)
	v_fma_f32 v2, v244, v77, -v2
	v_fmac_f32_e32 v71, v245, v77
	v_add_f32_e32 v1, v1, v2
	s_waitcnt lgkmcnt(1)
	v_mul_f32_e32 v2, v247, v76
	v_add_f32_e32 v24, v24, v71
	v_mul_f32_e32 v71, v246, v76
	v_fma_f32 v2, v246, v75, -v2
	v_fmac_f32_e32 v71, v247, v75
	v_add_f32_e32 v1, v1, v2
	s_waitcnt vmcnt(4)
	v_mul_f32_e32 v2, v249, v254
	v_add_f32_e32 v24, v24, v71
	v_mul_f32_e32 v71, v248, v254
	v_fma_f32 v2, v248, v78, -v2
	v_fmac_f32_e32 v71, v249, v78
	v_add_f32_e32 v1, v1, v2
	s_waitcnt vmcnt(3) lgkmcnt(0)
	v_mul_f32_e32 v2, v251, v255
	v_add_f32_e32 v24, v24, v71
	v_mul_f32_e32 v71, v250, v255
	s_waitcnt vmcnt(0)
	v_fma_f32 v2, v250, v81, -v2
	v_fmac_f32_e32 v71, v251, v81
	v_add_f32_e32 v1, v1, v2
	v_mul_f32_e32 v2, v253, v80
	v_add_f32_e32 v24, v24, v71
	v_mul_f32_e32 v71, v252, v80
	v_fma_f32 v2, v252, v79, -v2
	v_fmac_f32_e32 v71, v253, v79
	v_add_f32_e32 v1, v1, v2
	v_add_f32_e32 v24, v24, v71
	v_sub_f32_e32 v1, v119, v1
	v_sub_f32_e32 v2, v120, v24
	buffer_store_dword v1, off, s[0:3], 0 offset:16
	buffer_store_dword v2, off, s[0:3], 0 offset:20
	s_and_saveexec_b64 s[4:5], vcc
	s_cbranch_execz .LBB56_353
; %bb.352:
	buffer_load_dword v1, off, s[0:3], 0 offset:8
	buffer_load_dword v2, off, s[0:3], 0 offset:12
	v_mov_b32_e32 v3, 0
	buffer_store_dword v3, off, s[0:3], 0 offset:8
	buffer_store_dword v3, off, s[0:3], 0 offset:12
	s_waitcnt vmcnt(2)
	ds_write_b64 v115, v[1:2]
.LBB56_353:
	s_or_b64 exec, exec, s[4:5]
	s_waitcnt lgkmcnt(0)
	; wave barrier
	buffer_load_dword v125, off, s[0:3], 0 offset:20
	buffer_load_dword v124, off, s[0:3], 0 offset:28
	;; [unrolled: 1-line block ×40, first 2 shown]
	v_mov_b32_e32 v116, 0
	buffer_load_dword v12, off, s[0:3], 0 offset:168
	buffer_load_dword v13, off, s[0:3], 0 offset:172
	;; [unrolled: 1-line block ×12, first 2 shown]
	ds_read_b128 v[1:4], v116 offset:480
	ds_read_b128 v[156:159], v116 offset:496
	;; [unrolled: 1-line block ×6, first 2 shown]
	v_cmp_ne_u32_e32 vcc, 0, v0
	s_waitcnt vmcnt(51) lgkmcnt(5)
	v_mul_f32_e32 v5, v1, v125
	s_waitcnt vmcnt(50)
	v_mul_f32_e32 v6, v3, v124
	s_waitcnt vmcnt(49) lgkmcnt(4)
	v_mul_f32_e32 v7, v156, v123
	s_waitcnt vmcnt(48)
	v_mul_f32_e32 v8, v158, v122
	;; [unrolled: 4-line block ×5, first 2 shown]
	s_waitcnt vmcnt(41) lgkmcnt(0)
	v_mul_f32_e32 v28, v172, v129
	s_waitcnt vmcnt(40)
	v_fmac_f32_e32 v7, v157, v136
	s_waitcnt vmcnt(39)
	v_fmac_f32_e32 v6, v4, v139
	;; [unrolled: 2-line block ×3, first 2 shown]
	v_add_f32_e32 v5, 0, v5
	v_add_f32_e32 v5, v5, v6
	;; [unrolled: 1-line block ×3, first 2 shown]
	s_waitcnt vmcnt(34)
	v_fmac_f32_e32 v8, v159, v140
	v_fmac_f32_e32 v9, v161, v138
	v_add_f32_e32 v5, v5, v8
	v_fmac_f32_e32 v10, v163, v135
	v_add_f32_e32 v5, v5, v9
	;; [unrolled: 2-line block ×3, first 2 shown]
	s_waitcnt vmcnt(30)
	v_fmac_f32_e32 v25, v167, v137
	v_add_f32_e32 v5, v5, v24
	v_fmac_f32_e32 v26, v169, v134
	v_add_f32_e32 v5, v5, v25
	buffer_load_dword v24, off, s[0:3], 0 offset:216
	buffer_load_dword v25, off, s[0:3], 0 offset:220
	v_fmac_f32_e32 v27, v171, v131
	v_add_f32_e32 v5, v5, v26
	v_add_f32_e32 v5, v5, v27
	ds_read_b128 v[176:179], v116 offset:576
	buffer_load_dword v26, off, s[0:3], 0 offset:224
	buffer_load_dword v27, off, s[0:3], 0 offset:228
	v_fmac_f32_e32 v28, v173, v130
	v_add_f32_e32 v5, v5, v28
	ds_read_b128 v[180:183], v116 offset:592
	buffer_load_dword v28, off, s[0:3], 0 offset:232
	buffer_load_dword v29, off, s[0:3], 0 offset:236
	ds_read_b128 v[184:187], v116 offset:608
	buffer_load_dword v30, off, s[0:3], 0 offset:240
	buffer_load_dword v31, off, s[0:3], 0 offset:244
	ds_read_b128 v[188:191], v116 offset:624
	buffer_load_dword v32, off, s[0:3], 0 offset:252
	buffer_load_dword v33, off, s[0:3], 0 offset:248
	buffer_load_dword v34, off, s[0:3], 0 offset:256
	buffer_load_dword v35, off, s[0:3], 0 offset:260
	ds_read_b128 v[192:195], v116 offset:640
	ds_read_b128 v[196:199], v116 offset:656
	buffer_load_dword v36, off, s[0:3], 0 offset:264
	buffer_load_dword v37, off, s[0:3], 0 offset:268
	;; [unrolled: 1-line block ×10, first 2 shown]
	ds_read_b128 v[200:203], v116 offset:672
	buffer_load_dword v46, off, s[0:3], 0 offset:304
	buffer_load_dword v47, off, s[0:3], 0 offset:308
	;; [unrolled: 1-line block ×6, first 2 shown]
	ds_read_b128 v[204:207], v116 offset:688
	buffer_load_dword v52, off, s[0:3], 0 offset:328
	buffer_load_dword v53, off, s[0:3], 0 offset:332
	;; [unrolled: 1-line block ×8, first 2 shown]
	v_mul_f32_e32 v2, v2, v125
	v_fma_f32 v1, v1, v141, -v2
	v_mul_f32_e32 v2, v4, v124
	buffer_load_dword v60, off, s[0:3], 0 offset:360
	buffer_load_dword v61, off, s[0:3], 0 offset:364
	v_add_f32_e32 v1, 0, v1
	v_fma_f32 v2, v3, v139, -v2
	v_add_f32_e32 v1, v1, v2
	v_mul_f32_e32 v2, v157, v123
	v_fma_f32 v2, v156, v136, -v2
	v_add_f32_e32 v1, v1, v2
	v_mul_f32_e32 v2, v159, v122
	v_fma_f32 v2, v158, v140, -v2
	ds_read_b128 v[208:211], v116 offset:704
	buffer_load_dword v62, off, s[0:3], 0 offset:368
	buffer_load_dword v63, off, s[0:3], 0 offset:372
	;; [unrolled: 1-line block ×6, first 2 shown]
	v_add_f32_e32 v1, v1, v2
	v_mul_f32_e32 v2, v161, v121
	v_fma_f32 v2, v160, v138, -v2
	v_add_f32_e32 v1, v1, v2
	v_mul_f32_e32 v2, v163, v120
	ds_read_b128 v[212:215], v116 offset:720
	buffer_load_dword v68, off, s[0:3], 0 offset:392
	buffer_load_dword v69, off, s[0:3], 0 offset:396
	v_fma_f32 v2, v162, v135, -v2
	v_add_f32_e32 v1, v1, v2
	v_mul_f32_e32 v2, v165, v119
	v_fma_f32 v2, v164, v132, -v2
	v_add_f32_e32 v1, v1, v2
	v_mul_f32_e32 v2, v167, v126
	v_fma_f32 v2, v166, v137, -v2
	buffer_load_dword v70, off, s[0:3], 0 offset:400
	buffer_load_dword v71, off, s[0:3], 0 offset:404
	;; [unrolled: 1-line block ×6, first 2 shown]
	v_add_f32_e32 v1, v1, v2
	v_mul_f32_e32 v2, v169, v127
	v_fma_f32 v2, v168, v134, -v2
	v_add_f32_e32 v1, v1, v2
	v_mul_f32_e32 v2, v171, v128
	s_waitcnt vmcnt(62)
	v_mul_f32_e32 v6, v174, v133
	v_fma_f32 v2, v170, v131, -v2
	v_fmac_f32_e32 v6, v175, v149
	v_add_f32_e32 v1, v1, v2
	v_mul_f32_e32 v2, v173, v129
	v_add_f32_e32 v5, v5, v6
	s_waitcnt lgkmcnt(9)
	v_mul_f32_e32 v6, v176, v147
	buffer_load_dword v76, off, s[0:3], 0 offset:424
	buffer_load_dword v77, off, s[0:3], 0 offset:428
	v_fma_f32 v2, v172, v130, -v2
	v_fmac_f32_e32 v6, v177, v145
	v_add_f32_e32 v1, v1, v2
	v_mul_f32_e32 v2, v175, v133
	v_add_f32_e32 v5, v5, v6
	v_mul_f32_e32 v6, v178, v146
	v_fma_f32 v2, v174, v149, -v2
	v_fmac_f32_e32 v6, v179, v144
	v_add_f32_e32 v1, v1, v2
	v_mul_f32_e32 v2, v177, v147
	v_add_f32_e32 v5, v5, v6
	s_waitcnt lgkmcnt(8)
	v_mul_f32_e32 v6, v180, v143
	v_fma_f32 v2, v176, v145, -v2
	v_fmac_f32_e32 v6, v181, v142
	v_add_f32_e32 v1, v1, v2
	v_mul_f32_e32 v2, v179, v146
	v_add_f32_e32 v5, v5, v6
	v_mul_f32_e32 v6, v182, v148
	buffer_load_dword v78, off, s[0:3], 0 offset:432
	buffer_load_dword v79, off, s[0:3], 0 offset:436
	;; [unrolled: 1-line block ×6, first 2 shown]
	v_fma_f32 v2, v178, v144, -v2
	v_fmac_f32_e32 v6, v183, v11
	v_add_f32_e32 v1, v1, v2
	v_mul_f32_e32 v2, v181, v143
	v_add_f32_e32 v5, v5, v6
	s_waitcnt lgkmcnt(7)
	v_mul_f32_e32 v6, v184, v151
	v_fma_f32 v2, v180, v142, -v2
	v_fmac_f32_e32 v6, v185, v150
	v_add_f32_e32 v1, v1, v2
	v_mul_f32_e32 v2, v183, v148
	v_add_f32_e32 v5, v5, v6
	v_mul_f32_e32 v6, v186, v153
	v_fma_f32 v2, v182, v11, -v2
	v_fmac_f32_e32 v6, v187, v152
	v_add_f32_e32 v1, v1, v2
	v_mul_f32_e32 v2, v185, v151
	v_add_f32_e32 v5, v5, v6
	s_waitcnt lgkmcnt(6)
	v_mul_f32_e32 v6, v188, v155
	v_fma_f32 v2, v184, v150, -v2
	v_fmac_f32_e32 v6, v189, v154
	v_add_f32_e32 v1, v1, v2
	v_mul_f32_e32 v2, v187, v153
	v_add_f32_e32 v5, v5, v6
	v_mul_f32_e32 v6, v190, v13
	v_fma_f32 v2, v186, v152, -v2
	v_fmac_f32_e32 v6, v191, v12
	v_add_f32_e32 v1, v1, v2
	v_mul_f32_e32 v2, v189, v155
	v_add_f32_e32 v5, v5, v6
	s_waitcnt vmcnt(62) lgkmcnt(5)
	v_mul_f32_e32 v6, v192, v15
	v_fma_f32 v2, v188, v154, -v2
	v_fmac_f32_e32 v6, v193, v14
	v_add_f32_e32 v1, v1, v2
	v_mul_f32_e32 v2, v191, v13
	v_add_f32_e32 v5, v5, v6
	v_mul_f32_e32 v6, v194, v17
	v_fma_f32 v2, v190, v12, -v2
	v_fmac_f32_e32 v6, v195, v16
	v_add_f32_e32 v1, v1, v2
	v_mul_f32_e32 v2, v193, v15
	v_add_f32_e32 v5, v5, v6
	s_waitcnt lgkmcnt(4)
	v_mul_f32_e32 v6, v196, v19
	v_fma_f32 v2, v192, v14, -v2
	v_fmac_f32_e32 v6, v197, v18
	v_add_f32_e32 v1, v1, v2
	v_mul_f32_e32 v2, v195, v17
	v_add_f32_e32 v5, v5, v6
	v_mul_f32_e32 v6, v198, v21
	v_fma_f32 v2, v194, v16, -v2
	v_fmac_f32_e32 v6, v199, v20
	v_add_f32_e32 v1, v1, v2
	v_mul_f32_e32 v2, v197, v19
	v_add_f32_e32 v5, v5, v6
	s_waitcnt vmcnt(60) lgkmcnt(3)
	v_mul_f32_e32 v6, v200, v23
	v_fma_f32 v2, v196, v18, -v2
	v_fmac_f32_e32 v6, v201, v22
	v_add_f32_e32 v1, v1, v2
	v_mul_f32_e32 v2, v199, v21
	v_add_f32_e32 v5, v5, v6
	s_waitcnt vmcnt(58)
	v_mul_f32_e32 v6, v202, v25
	v_fma_f32 v2, v198, v20, -v2
	v_fmac_f32_e32 v6, v203, v24
	v_add_f32_e32 v1, v1, v2
	v_mul_f32_e32 v2, v201, v23
	v_add_f32_e32 v5, v5, v6
	s_waitcnt vmcnt(56) lgkmcnt(2)
	v_mul_f32_e32 v6, v204, v27
	v_fma_f32 v2, v200, v22, -v2
	v_fmac_f32_e32 v6, v205, v26
	v_add_f32_e32 v1, v1, v2
	v_mul_f32_e32 v2, v203, v25
	v_add_f32_e32 v5, v5, v6
	s_waitcnt vmcnt(54)
	;; [unrolled: 14-line block ×3, first 2 shown]
	v_mul_f32_e32 v6, v210, v32
	v_fma_f32 v2, v206, v28, -v2
	s_waitcnt vmcnt(50)
	v_fmac_f32_e32 v6, v211, v33
	ds_read_b128 v[216:219], v116 offset:736
	ds_read_b128 v[220:223], v116 offset:752
	v_add_f32_e32 v1, v1, v2
	v_mul_f32_e32 v2, v209, v31
	v_add_f32_e32 v5, v5, v6
	s_waitcnt vmcnt(48) lgkmcnt(2)
	v_mul_f32_e32 v6, v212, v35
	v_fma_f32 v2, v208, v30, -v2
	v_fmac_f32_e32 v6, v213, v34
	v_add_f32_e32 v1, v1, v2
	v_mul_f32_e32 v2, v211, v32
	v_add_f32_e32 v5, v5, v6
	s_waitcnt vmcnt(46)
	v_mul_f32_e32 v6, v214, v37
	v_fma_f32 v2, v210, v33, -v2
	v_fmac_f32_e32 v6, v215, v36
	v_add_f32_e32 v1, v1, v2
	v_mul_f32_e32 v2, v213, v35
	v_add_f32_e32 v5, v5, v6
	s_waitcnt vmcnt(44) lgkmcnt(1)
	v_mul_f32_e32 v6, v216, v39
	v_fma_f32 v2, v212, v34, -v2
	v_fmac_f32_e32 v6, v217, v38
	v_add_f32_e32 v1, v1, v2
	v_mul_f32_e32 v2, v215, v37
	v_add_f32_e32 v5, v5, v6
	s_waitcnt vmcnt(43)
	v_mul_f32_e32 v6, v218, v40
	v_fma_f32 v2, v214, v36, -v2
	s_waitcnt vmcnt(40)
	v_fmac_f32_e32 v6, v219, v43
	ds_read_b128 v[224:227], v116 offset:768
	ds_read_b128 v[228:231], v116 offset:784
	v_add_f32_e32 v1, v1, v2
	v_mul_f32_e32 v2, v217, v39
	v_add_f32_e32 v5, v5, v6
	s_waitcnt lgkmcnt(2)
	v_mul_f32_e32 v6, v220, v42
	v_fma_f32 v2, v216, v38, -v2
	v_fmac_f32_e32 v6, v221, v41
	v_add_f32_e32 v1, v1, v2
	v_mul_f32_e32 v2, v219, v40
	v_add_f32_e32 v5, v5, v6
	s_waitcnt vmcnt(38)
	v_mul_f32_e32 v6, v222, v45
	v_fma_f32 v2, v218, v43, -v2
	v_fmac_f32_e32 v6, v223, v44
	v_add_f32_e32 v1, v1, v2
	v_mul_f32_e32 v2, v221, v42
	v_add_f32_e32 v5, v5, v6
	s_waitcnt vmcnt(36) lgkmcnt(1)
	v_mul_f32_e32 v6, v224, v47
	v_fma_f32 v2, v220, v41, -v2
	v_fmac_f32_e32 v6, v225, v46
	v_add_f32_e32 v1, v1, v2
	v_mul_f32_e32 v2, v223, v45
	v_add_f32_e32 v5, v5, v6
	s_waitcnt vmcnt(35)
	v_mul_f32_e32 v6, v226, v48
	v_fma_f32 v2, v222, v44, -v2
	s_waitcnt vmcnt(32)
	v_fmac_f32_e32 v6, v227, v51
	ds_read_b128 v[232:235], v116 offset:800
	ds_read_b128 v[236:239], v116 offset:816
	v_add_f32_e32 v1, v1, v2
	v_mul_f32_e32 v2, v225, v47
	v_add_f32_e32 v5, v5, v6
	s_waitcnt lgkmcnt(2)
	;; [unrolled: 31-line block ×4, first 2 shown]
	v_mul_f32_e32 v6, v244, v66
	v_fma_f32 v2, v240, v62, -v2
	v_fmac_f32_e32 v6, v245, v65
	v_add_f32_e32 v1, v1, v2
	v_mul_f32_e32 v2, v243, v64
	v_add_f32_e32 v5, v5, v6
	s_waitcnt vmcnt(14)
	v_mul_f32_e32 v6, v246, v69
	v_fma_f32 v2, v242, v67, -v2
	v_fmac_f32_e32 v6, v247, v68
	v_add_f32_e32 v1, v1, v2
	v_mul_f32_e32 v2, v245, v66
	v_add_f32_e32 v5, v5, v6
	s_waitcnt vmcnt(12) lgkmcnt(1)
	v_mul_f32_e32 v6, v248, v71
	v_fma_f32 v2, v244, v65, -v2
	v_fmac_f32_e32 v6, v249, v70
	v_add_f32_e32 v1, v1, v2
	v_mul_f32_e32 v2, v247, v69
	v_add_f32_e32 v5, v5, v6
	s_waitcnt vmcnt(11)
	v_mul_f32_e32 v6, v250, v72
	v_fma_f32 v2, v246, v68, -v2
	s_waitcnt vmcnt(8)
	v_fmac_f32_e32 v6, v251, v75
	v_add_f32_e32 v1, v1, v2
	v_mul_f32_e32 v2, v249, v71
	v_add_f32_e32 v5, v5, v6
	s_waitcnt lgkmcnt(0)
	v_mul_f32_e32 v6, v252, v74
	v_fma_f32 v2, v248, v70, -v2
	v_fmac_f32_e32 v6, v253, v73
	v_add_f32_e32 v1, v1, v2
	v_mul_f32_e32 v2, v251, v72
	v_add_f32_e32 v9, v5, v6
	ds_read_b128 v[5:8], v116 offset:896
	v_fma_f32 v2, v250, v75, -v2
	v_add_f32_e32 v1, v1, v2
	v_mul_f32_e32 v2, v253, v74
	s_waitcnt vmcnt(6)
	v_mul_f32_e32 v10, v254, v77
	v_fma_f32 v2, v252, v73, -v2
	v_fmac_f32_e32 v10, v255, v76
	v_add_f32_e32 v1, v1, v2
	v_mul_f32_e32 v2, v255, v77
	v_add_f32_e32 v84, v9, v10
	ds_read_b64 v[9:10], v116 offset:912
	v_fma_f32 v2, v254, v76, -v2
	v_add_f32_e32 v1, v1, v2
	s_waitcnt vmcnt(4) lgkmcnt(1)
	v_mul_f32_e32 v2, v6, v79
	v_mul_f32_e32 v85, v5, v79
	v_fma_f32 v2, v5, v78, -v2
	v_fmac_f32_e32 v85, v6, v78
	v_add_f32_e32 v1, v1, v2
	s_waitcnt vmcnt(3)
	v_mul_f32_e32 v2, v8, v80
	v_add_f32_e32 v84, v84, v85
	v_mul_f32_e32 v85, v7, v80
	s_waitcnt vmcnt(0)
	v_fma_f32 v2, v7, v83, -v2
	v_fmac_f32_e32 v85, v8, v83
	v_add_f32_e32 v1, v1, v2
	s_waitcnt lgkmcnt(0)
	v_mul_f32_e32 v2, v10, v82
	v_add_f32_e32 v84, v84, v85
	v_mul_f32_e32 v85, v9, v82
	v_fma_f32 v2, v9, v81, -v2
	v_fmac_f32_e32 v85, v10, v81
	v_add_f32_e32 v1, v1, v2
	v_add_f32_e32 v84, v84, v85
	v_sub_f32_e32 v1, v117, v1
	v_sub_f32_e32 v2, v118, v84
	buffer_store_dword v1, off, s[0:3], 0 offset:8
	buffer_store_dword v2, off, s[0:3], 0 offset:12
	s_and_saveexec_b64 s[4:5], vcc
	s_cbranch_execz .LBB56_355
; %bb.354:
	buffer_load_dword v0, off, s[0:3], 0
	buffer_load_dword v1, off, s[0:3], 0 offset:4
	s_waitcnt vmcnt(0)
	ds_write_b64 v115, v[0:1]
	buffer_store_dword v116, off, s[0:3], 0
	buffer_store_dword v116, off, s[0:3], 0 offset:4
.LBB56_355:
	s_or_b64 exec, exec, s[4:5]
	s_waitcnt lgkmcnt(0)
	; wave barrier
	buffer_load_dword v123, off, s[0:3], 0 offset:12
	buffer_load_dword v122, off, s[0:3], 0 offset:20
	;; [unrolled: 1-line block ×38, first 2 shown]
	buffer_load_dword v0, off, s[0:3], 0
	buffer_load_dword v115, off, s[0:3], 0 offset:4
	ds_read2_b64 v[1:4], v116 offset0:59 offset1:60
	ds_read2_b64 v[5:8], v116 offset0:61 offset1:62
	;; [unrolled: 1-line block ×6, first 2 shown]
	buffer_load_dword v14, off, s[0:3], 0 offset:160
	buffer_load_dword v15, off, s[0:3], 0 offset:164
	;; [unrolled: 1-line block ×14, first 2 shown]
	s_and_b64 vcc, exec, s[22:23]
	s_waitcnt vmcnt(53) lgkmcnt(5)
	v_mul_f32_e32 v9, v1, v123
	s_waitcnt vmcnt(52)
	v_mul_f32_e32 v10, v3, v122
	s_waitcnt vmcnt(51) lgkmcnt(4)
	v_mul_f32_e32 v11, v5, v121
	s_waitcnt vmcnt(50)
	v_mul_f32_e32 v12, v7, v120
	;; [unrolled: 4-line block ×5, first 2 shown]
	s_waitcnt vmcnt(43)
	v_fmac_f32_e32 v11, v6, v130
	s_waitcnt vmcnt(42)
	v_fmac_f32_e32 v10, v4, v134
	;; [unrolled: 2-line block ×3, first 2 shown]
	v_add_f32_e32 v9, 0, v9
	v_add_f32_e32 v9, v9, v10
	;; [unrolled: 1-line block ×3, first 2 shown]
	s_waitcnt vmcnt(37)
	v_fmac_f32_e32 v12, v8, v137
	v_fmac_f32_e32 v28, v155, v133
	v_add_f32_e32 v9, v9, v12
	v_fmac_f32_e32 v29, v157, v129
	v_add_f32_e32 v9, v9, v28
	;; [unrolled: 2-line block ×3, first 2 shown]
	buffer_load_dword v28, off, s[0:3], 0 offset:216
	buffer_load_dword v29, off, s[0:3], 0 offset:220
	s_waitcnt vmcnt(35)
	v_fmac_f32_e32 v31, v161, v139
	v_add_f32_e32 v9, v9, v30
	v_fmac_f32_e32 v32, v163, v135
	v_add_f32_e32 v9, v9, v31
	ds_read2_b64 v[170:173], v116 offset0:71 offset1:72
	ds_read2_b64 v[174:177], v116 offset0:73 offset1:74
	buffer_load_dword v30, off, s[0:3], 0 offset:224
	buffer_load_dword v31, off, s[0:3], 0 offset:228
	v_fmac_f32_e32 v33, v165, v131
	v_add_f32_e32 v9, v9, v32
	v_add_f32_e32 v9, v9, v33
	buffer_load_dword v32, off, s[0:3], 0 offset:232
	buffer_load_dword v33, off, s[0:3], 0 offset:236
	ds_read2_b64 v[178:181], v116 offset0:75 offset1:76
	ds_read2_b64 v[182:185], v116 offset0:77 offset1:78
	buffer_load_dword v34, off, s[0:3], 0 offset:240
	buffer_load_dword v35, off, s[0:3], 0 offset:244
	;; [unrolled: 1-line block ×4, first 2 shown]
	ds_read2_b64 v[186:189], v116 offset0:79 offset1:80
	buffer_load_dword v38, off, s[0:3], 0 offset:256
	buffer_load_dword v39, off, s[0:3], 0 offset:260
	ds_read2_b64 v[190:193], v116 offset0:81 offset1:82
	buffer_load_dword v40, off, s[0:3], 0 offset:264
	buffer_load_dword v41, off, s[0:3], 0 offset:268
	;; [unrolled: 1-line block ×6, first 2 shown]
	ds_read2_b64 v[194:197], v116 offset0:83 offset1:84
	buffer_load_dword v46, off, s[0:3], 0 offset:288
	buffer_load_dword v47, off, s[0:3], 0 offset:292
	ds_read2_b64 v[198:201], v116 offset0:85 offset1:86
	buffer_load_dword v48, off, s[0:3], 0 offset:296
	buffer_load_dword v49, off, s[0:3], 0 offset:300
	;; [unrolled: 1-line block ×8, first 2 shown]
	v_mul_f32_e32 v2, v2, v123
	buffer_load_dword v56, off, s[0:3], 0 offset:328
	buffer_load_dword v57, off, s[0:3], 0 offset:332
	;; [unrolled: 1-line block ×6, first 2 shown]
	v_fma_f32 v1, v1, v138, -v2
	v_mul_f32_e32 v2, v4, v122
	v_add_f32_e32 v1, 0, v1
	v_fma_f32 v2, v3, v134, -v2
	v_add_f32_e32 v1, v1, v2
	v_mul_f32_e32 v2, v6, v121
	buffer_load_dword v62, off, s[0:3], 0 offset:352
	buffer_load_dword v63, off, s[0:3], 0 offset:356
	v_fma_f32 v2, v5, v130, -v2
	v_add_f32_e32 v1, v1, v2
	v_mul_f32_e32 v2, v8, v120
	v_fma_f32 v2, v7, v137, -v2
	v_add_f32_e32 v1, v1, v2
	v_mul_f32_e32 v2, v155, v119
	v_fma_f32 v2, v154, v133, -v2
	ds_read2_b64 v[202:205], v116 offset0:87 offset1:88
	buffer_load_dword v64, off, s[0:3], 0 offset:360
	buffer_load_dword v65, off, s[0:3], 0 offset:364
	;; [unrolled: 1-line block ×6, first 2 shown]
	v_add_f32_e32 v1, v1, v2
	v_mul_f32_e32 v2, v157, v118
	v_fma_f32 v2, v156, v129, -v2
	v_add_f32_e32 v1, v1, v2
	v_mul_f32_e32 v2, v159, v117
	ds_read2_b64 v[206:209], v116 offset0:89 offset1:90
	buffer_load_dword v70, off, s[0:3], 0 offset:384
	buffer_load_dword v71, off, s[0:3], 0 offset:388
	v_fma_f32 v2, v158, v127, -v2
	v_add_f32_e32 v1, v1, v2
	v_mul_f32_e32 v2, v161, v124
	v_fma_f32 v2, v160, v139, -v2
	v_add_f32_e32 v1, v1, v2
	v_mul_f32_e32 v2, v163, v125
	v_fma_f32 v2, v162, v135, -v2
	buffer_load_dword v72, off, s[0:3], 0 offset:392
	buffer_load_dword v73, off, s[0:3], 0 offset:396
	;; [unrolled: 1-line block ×6, first 2 shown]
	v_add_f32_e32 v1, v1, v2
	v_mul_f32_e32 v2, v165, v126
	s_waitcnt vmcnt(62) lgkmcnt(10)
	v_mul_f32_e32 v10, v166, v132
	v_fma_f32 v2, v164, v131, -v2
	v_fmac_f32_e32 v10, v167, v128
	v_add_f32_e32 v1, v1, v2
	v_mul_f32_e32 v2, v167, v132
	v_add_f32_e32 v9, v9, v10
	v_mul_f32_e32 v10, v168, v136
	buffer_load_dword v78, off, s[0:3], 0 offset:416
	buffer_load_dword v79, off, s[0:3], 0 offset:420
	v_fma_f32 v2, v166, v128, -v2
	v_fmac_f32_e32 v10, v169, v146
	v_add_f32_e32 v1, v1, v2
	v_mul_f32_e32 v2, v169, v136
	v_add_f32_e32 v9, v9, v10
	s_waitcnt lgkmcnt(9)
	v_mul_f32_e32 v10, v170, v145
	v_fma_f32 v2, v168, v146, -v2
	v_fmac_f32_e32 v10, v171, v143
	v_add_f32_e32 v1, v1, v2
	v_mul_f32_e32 v2, v171, v145
	v_add_f32_e32 v9, v9, v10
	v_mul_f32_e32 v10, v172, v144
	v_fma_f32 v2, v170, v143, -v2
	v_fmac_f32_e32 v10, v173, v141
	v_add_f32_e32 v1, v1, v2
	v_mul_f32_e32 v2, v173, v144
	v_add_f32_e32 v9, v9, v10
	s_waitcnt lgkmcnt(8)
	v_mul_f32_e32 v10, v174, v142
	buffer_load_dword v80, off, s[0:3], 0 offset:424
	buffer_load_dword v81, off, s[0:3], 0 offset:428
	;; [unrolled: 1-line block ×6, first 2 shown]
	v_fma_f32 v2, v172, v141, -v2
	v_fmac_f32_e32 v10, v175, v140
	v_add_f32_e32 v1, v1, v2
	v_mul_f32_e32 v2, v175, v142
	v_add_f32_e32 v9, v9, v10
	v_mul_f32_e32 v10, v176, v147
	v_fma_f32 v2, v174, v140, -v2
	v_fmac_f32_e32 v10, v177, v13
	ds_read2_b64 v[210:213], v116 offset0:91 offset1:92
	ds_read2_b64 v[214:217], v116 offset0:93 offset1:94
	buffer_load_dword v86, off, s[0:3], 0 offset:448
	buffer_load_dword v254, off, s[0:3], 0 offset:452
	v_add_f32_e32 v1, v1, v2
	v_mul_f32_e32 v2, v177, v147
	v_add_f32_e32 v9, v9, v10
	s_waitcnt lgkmcnt(9)
	v_mul_f32_e32 v10, v178, v149
	v_fma_f32 v2, v176, v13, -v2
	v_fmac_f32_e32 v10, v179, v148
	v_add_f32_e32 v1, v1, v2
	v_mul_f32_e32 v2, v179, v149
	v_add_f32_e32 v9, v9, v10
	v_mul_f32_e32 v10, v180, v151
	v_fma_f32 v2, v178, v148, -v2
	v_fmac_f32_e32 v10, v181, v150
	v_add_f32_e32 v1, v1, v2
	v_mul_f32_e32 v2, v181, v151
	v_add_f32_e32 v9, v9, v10
	s_waitcnt lgkmcnt(8)
	v_mul_f32_e32 v10, v182, v153
	v_fma_f32 v2, v180, v150, -v2
	v_fmac_f32_e32 v10, v183, v152
	v_add_f32_e32 v1, v1, v2
	v_mul_f32_e32 v2, v183, v153
	v_add_f32_e32 v9, v9, v10
	v_mul_f32_e32 v10, v184, v15
	v_fma_f32 v2, v182, v152, -v2
	v_fmac_f32_e32 v10, v185, v14
	v_add_f32_e32 v1, v1, v2
	v_mul_f32_e32 v2, v185, v15
	v_add_f32_e32 v9, v9, v10
	s_waitcnt vmcnt(62) lgkmcnt(7)
	v_mul_f32_e32 v10, v186, v17
	v_fma_f32 v2, v184, v14, -v2
	v_fmac_f32_e32 v10, v187, v16
	v_add_f32_e32 v1, v1, v2
	v_mul_f32_e32 v2, v187, v17
	v_add_f32_e32 v9, v9, v10
	v_mul_f32_e32 v10, v188, v19
	v_fma_f32 v2, v186, v16, -v2
	v_fmac_f32_e32 v10, v189, v18
	v_add_f32_e32 v1, v1, v2
	v_mul_f32_e32 v2, v189, v19
	v_add_f32_e32 v9, v9, v10
	s_waitcnt lgkmcnt(6)
	v_mul_f32_e32 v10, v190, v21
	v_fma_f32 v2, v188, v18, -v2
	v_fmac_f32_e32 v10, v191, v20
	v_add_f32_e32 v1, v1, v2
	v_mul_f32_e32 v2, v191, v21
	v_add_f32_e32 v9, v9, v10
	v_mul_f32_e32 v10, v192, v23
	v_fma_f32 v2, v190, v20, -v2
	v_fmac_f32_e32 v10, v193, v22
	v_add_f32_e32 v1, v1, v2
	v_mul_f32_e32 v2, v193, v23
	v_add_f32_e32 v9, v9, v10
	s_waitcnt lgkmcnt(5)
	v_mul_f32_e32 v10, v194, v25
	v_fma_f32 v2, v192, v22, -v2
	v_fmac_f32_e32 v10, v195, v24
	v_add_f32_e32 v1, v1, v2
	v_mul_f32_e32 v2, v195, v25
	v_add_f32_e32 v9, v9, v10
	s_waitcnt vmcnt(60)
	v_mul_f32_e32 v10, v196, v27
	v_fma_f32 v2, v194, v24, -v2
	v_fmac_f32_e32 v10, v197, v26
	v_add_f32_e32 v1, v1, v2
	v_mul_f32_e32 v2, v197, v27
	v_add_f32_e32 v9, v9, v10
	s_waitcnt vmcnt(58) lgkmcnt(4)
	v_mul_f32_e32 v10, v198, v29
	v_fma_f32 v2, v196, v26, -v2
	v_fmac_f32_e32 v10, v199, v28
	v_add_f32_e32 v1, v1, v2
	v_mul_f32_e32 v2, v199, v29
	v_add_f32_e32 v9, v9, v10
	s_waitcnt vmcnt(56)
	v_mul_f32_e32 v10, v200, v31
	v_fma_f32 v2, v198, v28, -v2
	v_fmac_f32_e32 v10, v201, v30
	v_add_f32_e32 v1, v1, v2
	v_mul_f32_e32 v2, v201, v31
	v_add_f32_e32 v9, v9, v10
	s_waitcnt vmcnt(54) lgkmcnt(3)
	;; [unrolled: 14-line block ×4, first 2 shown]
	v_mul_f32_e32 v10, v210, v41
	v_fma_f32 v2, v208, v38, -v2
	v_fmac_f32_e32 v10, v211, v40
	v_add_f32_e32 v1, v1, v2
	v_mul_f32_e32 v2, v211, v41
	v_add_f32_e32 v9, v9, v10
	s_waitcnt vmcnt(45)
	v_mul_f32_e32 v10, v212, v42
	v_fma_f32 v2, v210, v40, -v2
	s_waitcnt vmcnt(42)
	v_fmac_f32_e32 v10, v213, v45
	ds_read2_b64 v[218:221], v116 offset0:95 offset1:96
	ds_read2_b64 v[222:225], v116 offset0:97 offset1:98
	v_add_f32_e32 v1, v1, v2
	v_mul_f32_e32 v2, v213, v42
	v_add_f32_e32 v9, v9, v10
	s_waitcnt lgkmcnt(2)
	v_mul_f32_e32 v10, v214, v44
	v_fma_f32 v2, v212, v45, -v2
	v_fmac_f32_e32 v10, v215, v43
	v_add_f32_e32 v1, v1, v2
	v_mul_f32_e32 v2, v215, v44
	v_add_f32_e32 v9, v9, v10
	s_waitcnt vmcnt(40)
	v_mul_f32_e32 v10, v216, v47
	v_fma_f32 v2, v214, v43, -v2
	v_fmac_f32_e32 v10, v217, v46
	v_add_f32_e32 v1, v1, v2
	v_mul_f32_e32 v2, v217, v47
	v_add_f32_e32 v9, v9, v10
	s_waitcnt vmcnt(38) lgkmcnt(1)
	v_mul_f32_e32 v10, v218, v49
	v_fma_f32 v2, v216, v46, -v2
	v_fmac_f32_e32 v10, v219, v48
	v_add_f32_e32 v1, v1, v2
	v_mul_f32_e32 v2, v219, v49
	v_add_f32_e32 v9, v9, v10
	s_waitcnt vmcnt(37)
	v_mul_f32_e32 v10, v220, v50
	v_fma_f32 v2, v218, v48, -v2
	s_waitcnt vmcnt(34)
	v_fmac_f32_e32 v10, v221, v53
	ds_read2_b64 v[226:229], v116 offset0:99 offset1:100
	ds_read2_b64 v[230:233], v116 offset0:101 offset1:102
	v_add_f32_e32 v1, v1, v2
	v_mul_f32_e32 v2, v221, v50
	v_add_f32_e32 v9, v9, v10
	s_waitcnt lgkmcnt(2)
	v_mul_f32_e32 v10, v222, v52
	v_fma_f32 v2, v220, v53, -v2
	v_fmac_f32_e32 v10, v223, v51
	v_add_f32_e32 v1, v1, v2
	v_mul_f32_e32 v2, v223, v52
	v_add_f32_e32 v9, v9, v10
	s_waitcnt vmcnt(32)
	v_mul_f32_e32 v10, v224, v55
	v_fma_f32 v2, v222, v51, -v2
	v_fmac_f32_e32 v10, v225, v54
	v_add_f32_e32 v1, v1, v2
	v_mul_f32_e32 v2, v225, v55
	v_add_f32_e32 v9, v9, v10
	s_waitcnt vmcnt(30) lgkmcnt(1)
	;; [unrolled: 31-line block ×4, first 2 shown]
	v_mul_f32_e32 v10, v242, v73
	v_fma_f32 v2, v240, v70, -v2
	v_fmac_f32_e32 v10, v243, v72
	v_add_f32_e32 v1, v1, v2
	v_mul_f32_e32 v2, v243, v73
	v_add_f32_e32 v9, v9, v10
	s_waitcnt vmcnt(13)
	v_mul_f32_e32 v10, v244, v74
	v_fma_f32 v2, v242, v72, -v2
	s_waitcnt vmcnt(10)
	v_fmac_f32_e32 v10, v245, v77
	v_add_f32_e32 v1, v1, v2
	v_mul_f32_e32 v2, v245, v74
	v_add_f32_e32 v9, v9, v10
	s_waitcnt lgkmcnt(0)
	v_mul_f32_e32 v10, v246, v76
	ds_read2_b64 v[250:253], v116 offset0:111 offset1:112
	v_fma_f32 v2, v244, v77, -v2
	v_fmac_f32_e32 v10, v247, v75
	v_add_f32_e32 v1, v1, v2
	v_mul_f32_e32 v2, v247, v76
	v_add_f32_e32 v9, v9, v10
	s_waitcnt vmcnt(8)
	v_mul_f32_e32 v10, v248, v79
	v_fma_f32 v2, v246, v75, -v2
	v_fmac_f32_e32 v10, v249, v78
	v_add_f32_e32 v1, v1, v2
	v_mul_f32_e32 v2, v249, v79
	v_add_f32_e32 v255, v9, v10
	ds_read2_b64 v[9:12], v116 offset0:113 offset1:114
	v_fma_f32 v2, v248, v78, -v2
	v_add_f32_e32 v1, v1, v2
	s_waitcnt vmcnt(6) lgkmcnt(1)
	v_mul_f32_e32 v2, v251, v81
	v_mul_f32_e32 v116, v250, v81
	v_fma_f32 v2, v250, v80, -v2
	v_fmac_f32_e32 v116, v251, v80
	v_add_f32_e32 v1, v1, v2
	s_waitcnt vmcnt(5)
	v_mul_f32_e32 v2, v253, v82
	v_add_f32_e32 v116, v255, v116
	v_mul_f32_e32 v255, v252, v82
	s_waitcnt vmcnt(2)
	v_fma_f32 v2, v252, v85, -v2
	v_fmac_f32_e32 v255, v253, v85
	v_add_f32_e32 v1, v1, v2
	s_waitcnt lgkmcnt(0)
	v_mul_f32_e32 v2, v10, v84
	v_add_f32_e32 v116, v116, v255
	v_mul_f32_e32 v255, v9, v84
	v_fma_f32 v2, v9, v83, -v2
	v_fmac_f32_e32 v255, v10, v83
	v_add_f32_e32 v1, v1, v2
	s_waitcnt vmcnt(0)
	v_mul_f32_e32 v2, v12, v254
	v_add_f32_e32 v116, v116, v255
	v_mul_f32_e32 v255, v11, v254
	v_fma_f32 v2, v11, v86, -v2
	v_fmac_f32_e32 v255, v12, v86
	v_add_f32_e32 v1, v1, v2
	v_add_f32_e32 v116, v116, v255
	v_sub_f32_e32 v0, v0, v1
	v_sub_f32_e32 v1, v115, v116
	buffer_store_dword v0, off, s[0:3], 0
	buffer_store_dword v1, off, s[0:3], 0 offset:4
	s_cbranch_vccz .LBB56_468
; %bb.356:
	v_mov_b32_e32 v0, 0
	global_load_dword v1, v0, s[20:21] offset:220
	s_waitcnt vmcnt(0)
	v_add_u32_e32 v115, -1, v1
	v_cmp_ne_u32_e32 vcc, 55, v115
	s_cbranch_vccz .LBB56_358
; %bb.357:
	v_lshlrev_b32_e32 v1, 3, v115
	buffer_load_dword v2, v1, s[0:3], 0 offen
	buffer_load_dword v3, v1, s[0:3], 0 offen offset:4
	buffer_load_dword v4, off, s[0:3], 0 offset:440
	buffer_load_dword v5, off, s[0:3], 0 offset:444
	s_waitcnt vmcnt(3)
	buffer_store_dword v2, off, s[0:3], 0 offset:440
	s_waitcnt vmcnt(3)
	buffer_store_dword v3, off, s[0:3], 0 offset:444
	s_waitcnt vmcnt(3)
	buffer_store_dword v4, v1, s[0:3], 0 offen
	s_waitcnt vmcnt(3)
	buffer_store_dword v5, v1, s[0:3], 0 offen offset:4
.LBB56_358:
	global_load_dword v0, v0, s[20:21] offset:216
	s_waitcnt vmcnt(0)
	v_add_u32_e32 v0, -1, v0
	v_cmp_eq_u32_e32 vcc, 54, v0
	s_cbranch_vccnz .LBB56_360
; %bb.359:
	v_lshlrev_b32_e32 v0, 3, v0
	buffer_load_dword v1, v0, s[0:3], 0 offen
	buffer_load_dword v2, v0, s[0:3], 0 offen offset:4
	buffer_load_dword v3, off, s[0:3], 0 offset:436
	buffer_load_dword v4, off, s[0:3], 0 offset:432
	s_waitcnt vmcnt(3)
	buffer_store_dword v1, off, s[0:3], 0 offset:432
	s_waitcnt vmcnt(3)
	buffer_store_dword v2, off, s[0:3], 0 offset:436
	s_waitcnt vmcnt(3)
	buffer_store_dword v3, v0, s[0:3], 0 offen offset:4
	s_waitcnt vmcnt(3)
	buffer_store_dword v4, v0, s[0:3], 0 offen
.LBB56_360:
	v_mov_b32_e32 v0, 0
	global_load_dword v1, v0, s[20:21] offset:212
	s_waitcnt vmcnt(0)
	v_add_u32_e32 v115, -1, v1
	v_cmp_eq_u32_e32 vcc, 53, v115
	s_cbranch_vccnz .LBB56_362
; %bb.361:
	v_lshlrev_b32_e32 v1, 3, v115
	buffer_load_dword v2, v1, s[0:3], 0 offen
	buffer_load_dword v3, v1, s[0:3], 0 offen offset:4
	buffer_load_dword v4, off, s[0:3], 0 offset:424
	buffer_load_dword v5, off, s[0:3], 0 offset:428
	s_waitcnt vmcnt(3)
	buffer_store_dword v2, off, s[0:3], 0 offset:424
	s_waitcnt vmcnt(3)
	buffer_store_dword v3, off, s[0:3], 0 offset:428
	s_waitcnt vmcnt(3)
	buffer_store_dword v4, v1, s[0:3], 0 offen
	s_waitcnt vmcnt(3)
	buffer_store_dword v5, v1, s[0:3], 0 offen offset:4
.LBB56_362:
	global_load_dword v0, v0, s[20:21] offset:208
	s_waitcnt vmcnt(0)
	v_add_u32_e32 v0, -1, v0
	v_cmp_eq_u32_e32 vcc, 52, v0
	s_cbranch_vccnz .LBB56_364
; %bb.363:
	v_lshlrev_b32_e32 v0, 3, v0
	buffer_load_dword v1, v0, s[0:3], 0 offen
	buffer_load_dword v2, v0, s[0:3], 0 offen offset:4
	buffer_load_dword v3, off, s[0:3], 0 offset:420
	buffer_load_dword v4, off, s[0:3], 0 offset:416
	s_waitcnt vmcnt(3)
	buffer_store_dword v1, off, s[0:3], 0 offset:416
	s_waitcnt vmcnt(3)
	buffer_store_dword v2, off, s[0:3], 0 offset:420
	s_waitcnt vmcnt(3)
	buffer_store_dword v3, v0, s[0:3], 0 offen offset:4
	s_waitcnt vmcnt(3)
	buffer_store_dword v4, v0, s[0:3], 0 offen
.LBB56_364:
	v_mov_b32_e32 v0, 0
	global_load_dword v1, v0, s[20:21] offset:204
	s_waitcnt vmcnt(0)
	v_add_u32_e32 v115, -1, v1
	v_cmp_eq_u32_e32 vcc, 51, v115
	s_cbranch_vccnz .LBB56_366
; %bb.365:
	v_lshlrev_b32_e32 v1, 3, v115
	buffer_load_dword v2, v1, s[0:3], 0 offen
	buffer_load_dword v3, v1, s[0:3], 0 offen offset:4
	buffer_load_dword v4, off, s[0:3], 0 offset:408
	buffer_load_dword v5, off, s[0:3], 0 offset:412
	s_waitcnt vmcnt(3)
	buffer_store_dword v2, off, s[0:3], 0 offset:408
	s_waitcnt vmcnt(3)
	buffer_store_dword v3, off, s[0:3], 0 offset:412
	s_waitcnt vmcnt(3)
	buffer_store_dword v4, v1, s[0:3], 0 offen
	s_waitcnt vmcnt(3)
	buffer_store_dword v5, v1, s[0:3], 0 offen offset:4
.LBB56_366:
	global_load_dword v0, v0, s[20:21] offset:200
	s_waitcnt vmcnt(0)
	v_add_u32_e32 v0, -1, v0
	v_cmp_eq_u32_e32 vcc, 50, v0
	s_cbranch_vccnz .LBB56_368
; %bb.367:
	v_lshlrev_b32_e32 v0, 3, v0
	buffer_load_dword v1, v0, s[0:3], 0 offen
	buffer_load_dword v2, v0, s[0:3], 0 offen offset:4
	buffer_load_dword v3, off, s[0:3], 0 offset:404
	buffer_load_dword v4, off, s[0:3], 0 offset:400
	s_waitcnt vmcnt(3)
	buffer_store_dword v1, off, s[0:3], 0 offset:400
	s_waitcnt vmcnt(3)
	buffer_store_dword v2, off, s[0:3], 0 offset:404
	s_waitcnt vmcnt(3)
	buffer_store_dword v3, v0, s[0:3], 0 offen offset:4
	s_waitcnt vmcnt(3)
	buffer_store_dword v4, v0, s[0:3], 0 offen
.LBB56_368:
	v_mov_b32_e32 v0, 0
	global_load_dword v1, v0, s[20:21] offset:196
	s_waitcnt vmcnt(0)
	v_add_u32_e32 v115, -1, v1
	v_cmp_eq_u32_e32 vcc, 49, v115
	s_cbranch_vccnz .LBB56_370
; %bb.369:
	v_lshlrev_b32_e32 v1, 3, v115
	buffer_load_dword v2, v1, s[0:3], 0 offen
	buffer_load_dword v3, v1, s[0:3], 0 offen offset:4
	buffer_load_dword v4, off, s[0:3], 0 offset:392
	buffer_load_dword v5, off, s[0:3], 0 offset:396
	s_waitcnt vmcnt(3)
	buffer_store_dword v2, off, s[0:3], 0 offset:392
	s_waitcnt vmcnt(3)
	buffer_store_dword v3, off, s[0:3], 0 offset:396
	s_waitcnt vmcnt(3)
	buffer_store_dword v4, v1, s[0:3], 0 offen
	s_waitcnt vmcnt(3)
	buffer_store_dword v5, v1, s[0:3], 0 offen offset:4
.LBB56_370:
	global_load_dword v0, v0, s[20:21] offset:192
	s_waitcnt vmcnt(0)
	v_add_u32_e32 v0, -1, v0
	v_cmp_eq_u32_e32 vcc, 48, v0
	s_cbranch_vccnz .LBB56_372
; %bb.371:
	v_lshlrev_b32_e32 v0, 3, v0
	buffer_load_dword v1, v0, s[0:3], 0 offen
	buffer_load_dword v2, v0, s[0:3], 0 offen offset:4
	buffer_load_dword v3, off, s[0:3], 0 offset:388
	buffer_load_dword v4, off, s[0:3], 0 offset:384
	s_waitcnt vmcnt(3)
	buffer_store_dword v1, off, s[0:3], 0 offset:384
	s_waitcnt vmcnt(3)
	buffer_store_dword v2, off, s[0:3], 0 offset:388
	s_waitcnt vmcnt(3)
	buffer_store_dword v3, v0, s[0:3], 0 offen offset:4
	s_waitcnt vmcnt(3)
	buffer_store_dword v4, v0, s[0:3], 0 offen
.LBB56_372:
	v_mov_b32_e32 v0, 0
	global_load_dword v1, v0, s[20:21] offset:188
	s_waitcnt vmcnt(0)
	v_add_u32_e32 v115, -1, v1
	v_cmp_eq_u32_e32 vcc, 47, v115
	s_cbranch_vccnz .LBB56_374
; %bb.373:
	v_lshlrev_b32_e32 v1, 3, v115
	buffer_load_dword v2, v1, s[0:3], 0 offen
	buffer_load_dword v3, v1, s[0:3], 0 offen offset:4
	buffer_load_dword v4, off, s[0:3], 0 offset:376
	buffer_load_dword v5, off, s[0:3], 0 offset:380
	s_waitcnt vmcnt(3)
	buffer_store_dword v2, off, s[0:3], 0 offset:376
	s_waitcnt vmcnt(3)
	buffer_store_dword v3, off, s[0:3], 0 offset:380
	s_waitcnt vmcnt(3)
	buffer_store_dword v4, v1, s[0:3], 0 offen
	s_waitcnt vmcnt(3)
	buffer_store_dword v5, v1, s[0:3], 0 offen offset:4
.LBB56_374:
	global_load_dword v0, v0, s[20:21] offset:184
	s_waitcnt vmcnt(0)
	v_add_u32_e32 v0, -1, v0
	v_cmp_eq_u32_e32 vcc, 46, v0
	s_cbranch_vccnz .LBB56_376
; %bb.375:
	v_lshlrev_b32_e32 v0, 3, v0
	buffer_load_dword v1, v0, s[0:3], 0 offen
	buffer_load_dword v2, v0, s[0:3], 0 offen offset:4
	buffer_load_dword v3, off, s[0:3], 0 offset:372
	buffer_load_dword v4, off, s[0:3], 0 offset:368
	s_waitcnt vmcnt(3)
	buffer_store_dword v1, off, s[0:3], 0 offset:368
	s_waitcnt vmcnt(3)
	buffer_store_dword v2, off, s[0:3], 0 offset:372
	s_waitcnt vmcnt(3)
	buffer_store_dword v3, v0, s[0:3], 0 offen offset:4
	s_waitcnt vmcnt(3)
	buffer_store_dword v4, v0, s[0:3], 0 offen
.LBB56_376:
	v_mov_b32_e32 v0, 0
	global_load_dword v1, v0, s[20:21] offset:180
	s_waitcnt vmcnt(0)
	v_add_u32_e32 v115, -1, v1
	v_cmp_eq_u32_e32 vcc, 45, v115
	s_cbranch_vccnz .LBB56_378
; %bb.377:
	v_lshlrev_b32_e32 v1, 3, v115
	buffer_load_dword v2, v1, s[0:3], 0 offen
	buffer_load_dword v3, v1, s[0:3], 0 offen offset:4
	buffer_load_dword v4, off, s[0:3], 0 offset:360
	buffer_load_dword v5, off, s[0:3], 0 offset:364
	s_waitcnt vmcnt(3)
	buffer_store_dword v2, off, s[0:3], 0 offset:360
	s_waitcnt vmcnt(3)
	buffer_store_dword v3, off, s[0:3], 0 offset:364
	s_waitcnt vmcnt(3)
	buffer_store_dword v4, v1, s[0:3], 0 offen
	s_waitcnt vmcnt(3)
	buffer_store_dword v5, v1, s[0:3], 0 offen offset:4
.LBB56_378:
	global_load_dword v0, v0, s[20:21] offset:176
	s_waitcnt vmcnt(0)
	v_add_u32_e32 v0, -1, v0
	v_cmp_eq_u32_e32 vcc, 44, v0
	s_cbranch_vccnz .LBB56_380
; %bb.379:
	v_lshlrev_b32_e32 v0, 3, v0
	buffer_load_dword v1, v0, s[0:3], 0 offen
	buffer_load_dword v2, v0, s[0:3], 0 offen offset:4
	buffer_load_dword v3, off, s[0:3], 0 offset:356
	buffer_load_dword v4, off, s[0:3], 0 offset:352
	s_waitcnt vmcnt(3)
	buffer_store_dword v1, off, s[0:3], 0 offset:352
	s_waitcnt vmcnt(3)
	buffer_store_dword v2, off, s[0:3], 0 offset:356
	s_waitcnt vmcnt(3)
	buffer_store_dword v3, v0, s[0:3], 0 offen offset:4
	s_waitcnt vmcnt(3)
	buffer_store_dword v4, v0, s[0:3], 0 offen
.LBB56_380:
	v_mov_b32_e32 v0, 0
	global_load_dword v1, v0, s[20:21] offset:172
	s_waitcnt vmcnt(0)
	v_add_u32_e32 v115, -1, v1
	v_cmp_eq_u32_e32 vcc, 43, v115
	s_cbranch_vccnz .LBB56_382
; %bb.381:
	v_lshlrev_b32_e32 v1, 3, v115
	buffer_load_dword v2, v1, s[0:3], 0 offen
	buffer_load_dword v3, v1, s[0:3], 0 offen offset:4
	buffer_load_dword v4, off, s[0:3], 0 offset:344
	buffer_load_dword v5, off, s[0:3], 0 offset:348
	s_waitcnt vmcnt(3)
	buffer_store_dword v2, off, s[0:3], 0 offset:344
	s_waitcnt vmcnt(3)
	buffer_store_dword v3, off, s[0:3], 0 offset:348
	s_waitcnt vmcnt(3)
	buffer_store_dword v4, v1, s[0:3], 0 offen
	s_waitcnt vmcnt(3)
	buffer_store_dword v5, v1, s[0:3], 0 offen offset:4
.LBB56_382:
	global_load_dword v0, v0, s[20:21] offset:168
	s_waitcnt vmcnt(0)
	v_add_u32_e32 v0, -1, v0
	v_cmp_eq_u32_e32 vcc, 42, v0
	s_cbranch_vccnz .LBB56_384
; %bb.383:
	v_lshlrev_b32_e32 v0, 3, v0
	buffer_load_dword v1, v0, s[0:3], 0 offen
	buffer_load_dword v2, v0, s[0:3], 0 offen offset:4
	buffer_load_dword v3, off, s[0:3], 0 offset:340
	buffer_load_dword v4, off, s[0:3], 0 offset:336
	s_waitcnt vmcnt(3)
	buffer_store_dword v1, off, s[0:3], 0 offset:336
	s_waitcnt vmcnt(3)
	buffer_store_dword v2, off, s[0:3], 0 offset:340
	s_waitcnt vmcnt(3)
	buffer_store_dword v3, v0, s[0:3], 0 offen offset:4
	s_waitcnt vmcnt(3)
	buffer_store_dword v4, v0, s[0:3], 0 offen
.LBB56_384:
	v_mov_b32_e32 v0, 0
	global_load_dword v1, v0, s[20:21] offset:164
	s_waitcnt vmcnt(0)
	v_add_u32_e32 v115, -1, v1
	v_cmp_eq_u32_e32 vcc, 41, v115
	s_cbranch_vccnz .LBB56_386
; %bb.385:
	v_lshlrev_b32_e32 v1, 3, v115
	buffer_load_dword v2, v1, s[0:3], 0 offen
	buffer_load_dword v3, v1, s[0:3], 0 offen offset:4
	buffer_load_dword v4, off, s[0:3], 0 offset:328
	buffer_load_dword v5, off, s[0:3], 0 offset:332
	s_waitcnt vmcnt(3)
	buffer_store_dword v2, off, s[0:3], 0 offset:328
	s_waitcnt vmcnt(3)
	buffer_store_dword v3, off, s[0:3], 0 offset:332
	s_waitcnt vmcnt(3)
	buffer_store_dword v4, v1, s[0:3], 0 offen
	s_waitcnt vmcnt(3)
	buffer_store_dword v5, v1, s[0:3], 0 offen offset:4
.LBB56_386:
	global_load_dword v0, v0, s[20:21] offset:160
	s_waitcnt vmcnt(0)
	v_add_u32_e32 v0, -1, v0
	v_cmp_eq_u32_e32 vcc, 40, v0
	s_cbranch_vccnz .LBB56_388
; %bb.387:
	v_lshlrev_b32_e32 v0, 3, v0
	buffer_load_dword v1, v0, s[0:3], 0 offen
	buffer_load_dword v2, v0, s[0:3], 0 offen offset:4
	buffer_load_dword v3, off, s[0:3], 0 offset:324
	buffer_load_dword v4, off, s[0:3], 0 offset:320
	s_waitcnt vmcnt(3)
	buffer_store_dword v1, off, s[0:3], 0 offset:320
	s_waitcnt vmcnt(3)
	buffer_store_dword v2, off, s[0:3], 0 offset:324
	s_waitcnt vmcnt(3)
	buffer_store_dword v3, v0, s[0:3], 0 offen offset:4
	s_waitcnt vmcnt(3)
	buffer_store_dword v4, v0, s[0:3], 0 offen
.LBB56_388:
	v_mov_b32_e32 v0, 0
	global_load_dword v1, v0, s[20:21] offset:156
	s_waitcnt vmcnt(0)
	v_add_u32_e32 v115, -1, v1
	v_cmp_eq_u32_e32 vcc, 39, v115
	s_cbranch_vccnz .LBB56_390
; %bb.389:
	v_lshlrev_b32_e32 v1, 3, v115
	buffer_load_dword v2, v1, s[0:3], 0 offen
	buffer_load_dword v3, v1, s[0:3], 0 offen offset:4
	buffer_load_dword v4, off, s[0:3], 0 offset:312
	buffer_load_dword v5, off, s[0:3], 0 offset:316
	s_waitcnt vmcnt(3)
	buffer_store_dword v2, off, s[0:3], 0 offset:312
	s_waitcnt vmcnt(3)
	buffer_store_dword v3, off, s[0:3], 0 offset:316
	s_waitcnt vmcnt(3)
	buffer_store_dword v4, v1, s[0:3], 0 offen
	s_waitcnt vmcnt(3)
	buffer_store_dword v5, v1, s[0:3], 0 offen offset:4
.LBB56_390:
	global_load_dword v0, v0, s[20:21] offset:152
	s_waitcnt vmcnt(0)
	v_add_u32_e32 v0, -1, v0
	v_cmp_eq_u32_e32 vcc, 38, v0
	s_cbranch_vccnz .LBB56_392
; %bb.391:
	v_lshlrev_b32_e32 v0, 3, v0
	buffer_load_dword v1, v0, s[0:3], 0 offen
	buffer_load_dword v2, v0, s[0:3], 0 offen offset:4
	buffer_load_dword v3, off, s[0:3], 0 offset:308
	buffer_load_dword v4, off, s[0:3], 0 offset:304
	s_waitcnt vmcnt(3)
	buffer_store_dword v1, off, s[0:3], 0 offset:304
	s_waitcnt vmcnt(3)
	buffer_store_dword v2, off, s[0:3], 0 offset:308
	s_waitcnt vmcnt(3)
	buffer_store_dword v3, v0, s[0:3], 0 offen offset:4
	s_waitcnt vmcnt(3)
	buffer_store_dword v4, v0, s[0:3], 0 offen
.LBB56_392:
	v_mov_b32_e32 v0, 0
	global_load_dword v1, v0, s[20:21] offset:148
	s_waitcnt vmcnt(0)
	v_add_u32_e32 v115, -1, v1
	v_cmp_eq_u32_e32 vcc, 37, v115
	s_cbranch_vccnz .LBB56_394
; %bb.393:
	v_lshlrev_b32_e32 v1, 3, v115
	buffer_load_dword v2, v1, s[0:3], 0 offen
	buffer_load_dword v3, v1, s[0:3], 0 offen offset:4
	buffer_load_dword v4, off, s[0:3], 0 offset:296
	buffer_load_dword v5, off, s[0:3], 0 offset:300
	s_waitcnt vmcnt(3)
	buffer_store_dword v2, off, s[0:3], 0 offset:296
	s_waitcnt vmcnt(3)
	buffer_store_dword v3, off, s[0:3], 0 offset:300
	s_waitcnt vmcnt(3)
	buffer_store_dword v4, v1, s[0:3], 0 offen
	s_waitcnt vmcnt(3)
	buffer_store_dword v5, v1, s[0:3], 0 offen offset:4
.LBB56_394:
	global_load_dword v0, v0, s[20:21] offset:144
	s_waitcnt vmcnt(0)
	v_add_u32_e32 v0, -1, v0
	v_cmp_eq_u32_e32 vcc, 36, v0
	s_cbranch_vccnz .LBB56_396
; %bb.395:
	v_lshlrev_b32_e32 v0, 3, v0
	buffer_load_dword v1, v0, s[0:3], 0 offen
	buffer_load_dword v2, v0, s[0:3], 0 offen offset:4
	buffer_load_dword v3, off, s[0:3], 0 offset:292
	buffer_load_dword v4, off, s[0:3], 0 offset:288
	s_waitcnt vmcnt(3)
	buffer_store_dword v1, off, s[0:3], 0 offset:288
	s_waitcnt vmcnt(3)
	buffer_store_dword v2, off, s[0:3], 0 offset:292
	s_waitcnt vmcnt(3)
	buffer_store_dword v3, v0, s[0:3], 0 offen offset:4
	s_waitcnt vmcnt(3)
	buffer_store_dword v4, v0, s[0:3], 0 offen
.LBB56_396:
	v_mov_b32_e32 v0, 0
	global_load_dword v1, v0, s[20:21] offset:140
	s_waitcnt vmcnt(0)
	v_add_u32_e32 v115, -1, v1
	v_cmp_eq_u32_e32 vcc, 35, v115
	s_cbranch_vccnz .LBB56_398
; %bb.397:
	v_lshlrev_b32_e32 v1, 3, v115
	buffer_load_dword v2, v1, s[0:3], 0 offen
	buffer_load_dword v3, v1, s[0:3], 0 offen offset:4
	buffer_load_dword v4, off, s[0:3], 0 offset:280
	buffer_load_dword v5, off, s[0:3], 0 offset:284
	s_waitcnt vmcnt(3)
	buffer_store_dword v2, off, s[0:3], 0 offset:280
	s_waitcnt vmcnt(3)
	buffer_store_dword v3, off, s[0:3], 0 offset:284
	s_waitcnt vmcnt(3)
	buffer_store_dword v4, v1, s[0:3], 0 offen
	s_waitcnt vmcnt(3)
	buffer_store_dword v5, v1, s[0:3], 0 offen offset:4
.LBB56_398:
	global_load_dword v0, v0, s[20:21] offset:136
	s_waitcnt vmcnt(0)
	v_add_u32_e32 v0, -1, v0
	v_cmp_eq_u32_e32 vcc, 34, v0
	s_cbranch_vccnz .LBB56_400
; %bb.399:
	v_lshlrev_b32_e32 v0, 3, v0
	buffer_load_dword v1, v0, s[0:3], 0 offen
	buffer_load_dword v2, v0, s[0:3], 0 offen offset:4
	buffer_load_dword v3, off, s[0:3], 0 offset:276
	buffer_load_dword v4, off, s[0:3], 0 offset:272
	s_waitcnt vmcnt(3)
	buffer_store_dword v1, off, s[0:3], 0 offset:272
	s_waitcnt vmcnt(3)
	buffer_store_dword v2, off, s[0:3], 0 offset:276
	s_waitcnt vmcnt(3)
	buffer_store_dword v3, v0, s[0:3], 0 offen offset:4
	s_waitcnt vmcnt(3)
	buffer_store_dword v4, v0, s[0:3], 0 offen
.LBB56_400:
	v_mov_b32_e32 v0, 0
	global_load_dword v1, v0, s[20:21] offset:132
	s_waitcnt vmcnt(0)
	v_add_u32_e32 v115, -1, v1
	v_cmp_eq_u32_e32 vcc, 33, v115
	s_cbranch_vccnz .LBB56_402
; %bb.401:
	v_lshlrev_b32_e32 v1, 3, v115
	buffer_load_dword v2, v1, s[0:3], 0 offen
	buffer_load_dword v3, v1, s[0:3], 0 offen offset:4
	buffer_load_dword v4, off, s[0:3], 0 offset:264
	buffer_load_dword v5, off, s[0:3], 0 offset:268
	s_waitcnt vmcnt(3)
	buffer_store_dword v2, off, s[0:3], 0 offset:264
	s_waitcnt vmcnt(3)
	buffer_store_dword v3, off, s[0:3], 0 offset:268
	s_waitcnt vmcnt(3)
	buffer_store_dword v4, v1, s[0:3], 0 offen
	s_waitcnt vmcnt(3)
	buffer_store_dword v5, v1, s[0:3], 0 offen offset:4
.LBB56_402:
	global_load_dword v0, v0, s[20:21] offset:128
	s_waitcnt vmcnt(0)
	v_add_u32_e32 v0, -1, v0
	v_cmp_eq_u32_e32 vcc, 32, v0
	s_cbranch_vccnz .LBB56_404
; %bb.403:
	v_lshlrev_b32_e32 v0, 3, v0
	buffer_load_dword v1, v0, s[0:3], 0 offen
	buffer_load_dword v2, v0, s[0:3], 0 offen offset:4
	buffer_load_dword v3, off, s[0:3], 0 offset:260
	buffer_load_dword v4, off, s[0:3], 0 offset:256
	s_waitcnt vmcnt(3)
	buffer_store_dword v1, off, s[0:3], 0 offset:256
	s_waitcnt vmcnt(3)
	buffer_store_dword v2, off, s[0:3], 0 offset:260
	s_waitcnt vmcnt(3)
	buffer_store_dword v3, v0, s[0:3], 0 offen offset:4
	s_waitcnt vmcnt(3)
	buffer_store_dword v4, v0, s[0:3], 0 offen
.LBB56_404:
	v_mov_b32_e32 v0, 0
	global_load_dword v1, v0, s[20:21] offset:124
	s_waitcnt vmcnt(0)
	v_add_u32_e32 v115, -1, v1
	v_cmp_eq_u32_e32 vcc, 31, v115
	s_cbranch_vccnz .LBB56_406
; %bb.405:
	v_lshlrev_b32_e32 v1, 3, v115
	buffer_load_dword v2, v1, s[0:3], 0 offen
	buffer_load_dword v3, v1, s[0:3], 0 offen offset:4
	buffer_load_dword v4, off, s[0:3], 0 offset:248
	buffer_load_dword v5, off, s[0:3], 0 offset:252
	s_waitcnt vmcnt(3)
	buffer_store_dword v2, off, s[0:3], 0 offset:248
	s_waitcnt vmcnt(3)
	buffer_store_dword v3, off, s[0:3], 0 offset:252
	s_waitcnt vmcnt(3)
	buffer_store_dword v4, v1, s[0:3], 0 offen
	s_waitcnt vmcnt(3)
	buffer_store_dword v5, v1, s[0:3], 0 offen offset:4
.LBB56_406:
	global_load_dword v0, v0, s[20:21] offset:120
	s_waitcnt vmcnt(0)
	v_add_u32_e32 v0, -1, v0
	v_cmp_eq_u32_e32 vcc, 30, v0
	s_cbranch_vccnz .LBB56_408
; %bb.407:
	v_lshlrev_b32_e32 v0, 3, v0
	buffer_load_dword v1, v0, s[0:3], 0 offen
	buffer_load_dword v2, v0, s[0:3], 0 offen offset:4
	buffer_load_dword v3, off, s[0:3], 0 offset:244
	buffer_load_dword v4, off, s[0:3], 0 offset:240
	s_waitcnt vmcnt(3)
	buffer_store_dword v1, off, s[0:3], 0 offset:240
	s_waitcnt vmcnt(3)
	buffer_store_dword v2, off, s[0:3], 0 offset:244
	s_waitcnt vmcnt(3)
	buffer_store_dword v3, v0, s[0:3], 0 offen offset:4
	s_waitcnt vmcnt(3)
	buffer_store_dword v4, v0, s[0:3], 0 offen
.LBB56_408:
	v_mov_b32_e32 v0, 0
	global_load_dword v1, v0, s[20:21] offset:116
	s_waitcnt vmcnt(0)
	v_add_u32_e32 v115, -1, v1
	v_cmp_eq_u32_e32 vcc, 29, v115
	s_cbranch_vccnz .LBB56_410
; %bb.409:
	v_lshlrev_b32_e32 v1, 3, v115
	buffer_load_dword v2, v1, s[0:3], 0 offen
	buffer_load_dword v3, v1, s[0:3], 0 offen offset:4
	buffer_load_dword v4, off, s[0:3], 0 offset:232
	buffer_load_dword v5, off, s[0:3], 0 offset:236
	s_waitcnt vmcnt(3)
	buffer_store_dword v2, off, s[0:3], 0 offset:232
	s_waitcnt vmcnt(3)
	buffer_store_dword v3, off, s[0:3], 0 offset:236
	s_waitcnt vmcnt(3)
	buffer_store_dword v4, v1, s[0:3], 0 offen
	s_waitcnt vmcnt(3)
	buffer_store_dword v5, v1, s[0:3], 0 offen offset:4
.LBB56_410:
	global_load_dword v0, v0, s[20:21] offset:112
	s_waitcnt vmcnt(0)
	v_add_u32_e32 v0, -1, v0
	v_cmp_eq_u32_e32 vcc, 28, v0
	s_cbranch_vccnz .LBB56_412
; %bb.411:
	v_lshlrev_b32_e32 v0, 3, v0
	buffer_load_dword v1, v0, s[0:3], 0 offen
	buffer_load_dword v2, v0, s[0:3], 0 offen offset:4
	buffer_load_dword v3, off, s[0:3], 0 offset:228
	buffer_load_dword v4, off, s[0:3], 0 offset:224
	s_waitcnt vmcnt(3)
	buffer_store_dword v1, off, s[0:3], 0 offset:224
	s_waitcnt vmcnt(3)
	buffer_store_dword v2, off, s[0:3], 0 offset:228
	s_waitcnt vmcnt(3)
	buffer_store_dword v3, v0, s[0:3], 0 offen offset:4
	s_waitcnt vmcnt(3)
	buffer_store_dword v4, v0, s[0:3], 0 offen
.LBB56_412:
	v_mov_b32_e32 v0, 0
	global_load_dword v1, v0, s[20:21] offset:108
	s_waitcnt vmcnt(0)
	v_add_u32_e32 v115, -1, v1
	v_cmp_eq_u32_e32 vcc, 27, v115
	s_cbranch_vccnz .LBB56_414
; %bb.413:
	v_lshlrev_b32_e32 v1, 3, v115
	buffer_load_dword v2, v1, s[0:3], 0 offen
	buffer_load_dword v3, v1, s[0:3], 0 offen offset:4
	buffer_load_dword v4, off, s[0:3], 0 offset:216
	buffer_load_dword v5, off, s[0:3], 0 offset:220
	s_waitcnt vmcnt(3)
	buffer_store_dword v2, off, s[0:3], 0 offset:216
	s_waitcnt vmcnt(3)
	buffer_store_dword v3, off, s[0:3], 0 offset:220
	s_waitcnt vmcnt(3)
	buffer_store_dword v4, v1, s[0:3], 0 offen
	s_waitcnt vmcnt(3)
	buffer_store_dword v5, v1, s[0:3], 0 offen offset:4
.LBB56_414:
	global_load_dword v0, v0, s[20:21] offset:104
	s_waitcnt vmcnt(0)
	v_add_u32_e32 v0, -1, v0
	v_cmp_eq_u32_e32 vcc, 26, v0
	s_cbranch_vccnz .LBB56_416
; %bb.415:
	v_lshlrev_b32_e32 v0, 3, v0
	buffer_load_dword v1, v0, s[0:3], 0 offen
	buffer_load_dword v2, v0, s[0:3], 0 offen offset:4
	buffer_load_dword v3, off, s[0:3], 0 offset:212
	buffer_load_dword v4, off, s[0:3], 0 offset:208
	s_waitcnt vmcnt(3)
	buffer_store_dword v1, off, s[0:3], 0 offset:208
	s_waitcnt vmcnt(3)
	buffer_store_dword v2, off, s[0:3], 0 offset:212
	s_waitcnt vmcnt(3)
	buffer_store_dword v3, v0, s[0:3], 0 offen offset:4
	s_waitcnt vmcnt(3)
	buffer_store_dword v4, v0, s[0:3], 0 offen
.LBB56_416:
	v_mov_b32_e32 v0, 0
	global_load_dword v1, v0, s[20:21] offset:100
	s_waitcnt vmcnt(0)
	v_add_u32_e32 v115, -1, v1
	v_cmp_eq_u32_e32 vcc, 25, v115
	s_cbranch_vccnz .LBB56_418
; %bb.417:
	v_lshlrev_b32_e32 v1, 3, v115
	buffer_load_dword v2, v1, s[0:3], 0 offen
	buffer_load_dword v3, v1, s[0:3], 0 offen offset:4
	buffer_load_dword v4, off, s[0:3], 0 offset:200
	buffer_load_dword v5, off, s[0:3], 0 offset:204
	s_waitcnt vmcnt(3)
	buffer_store_dword v2, off, s[0:3], 0 offset:200
	s_waitcnt vmcnt(3)
	buffer_store_dword v3, off, s[0:3], 0 offset:204
	s_waitcnt vmcnt(3)
	buffer_store_dword v4, v1, s[0:3], 0 offen
	s_waitcnt vmcnt(3)
	buffer_store_dword v5, v1, s[0:3], 0 offen offset:4
.LBB56_418:
	global_load_dword v0, v0, s[20:21] offset:96
	s_waitcnt vmcnt(0)
	v_add_u32_e32 v0, -1, v0
	v_cmp_eq_u32_e32 vcc, 24, v0
	s_cbranch_vccnz .LBB56_420
; %bb.419:
	v_lshlrev_b32_e32 v0, 3, v0
	buffer_load_dword v1, v0, s[0:3], 0 offen
	buffer_load_dword v2, v0, s[0:3], 0 offen offset:4
	buffer_load_dword v3, off, s[0:3], 0 offset:196
	buffer_load_dword v4, off, s[0:3], 0 offset:192
	s_waitcnt vmcnt(3)
	buffer_store_dword v1, off, s[0:3], 0 offset:192
	s_waitcnt vmcnt(3)
	buffer_store_dword v2, off, s[0:3], 0 offset:196
	s_waitcnt vmcnt(3)
	buffer_store_dword v3, v0, s[0:3], 0 offen offset:4
	s_waitcnt vmcnt(3)
	buffer_store_dword v4, v0, s[0:3], 0 offen
.LBB56_420:
	v_mov_b32_e32 v0, 0
	global_load_dword v1, v0, s[20:21] offset:92
	s_waitcnt vmcnt(0)
	v_add_u32_e32 v115, -1, v1
	v_cmp_eq_u32_e32 vcc, 23, v115
	s_cbranch_vccnz .LBB56_422
; %bb.421:
	v_lshlrev_b32_e32 v1, 3, v115
	buffer_load_dword v2, v1, s[0:3], 0 offen
	buffer_load_dword v3, v1, s[0:3], 0 offen offset:4
	buffer_load_dword v4, off, s[0:3], 0 offset:184
	buffer_load_dword v5, off, s[0:3], 0 offset:188
	s_waitcnt vmcnt(3)
	buffer_store_dword v2, off, s[0:3], 0 offset:184
	s_waitcnt vmcnt(3)
	buffer_store_dword v3, off, s[0:3], 0 offset:188
	s_waitcnt vmcnt(3)
	buffer_store_dword v4, v1, s[0:3], 0 offen
	s_waitcnt vmcnt(3)
	buffer_store_dword v5, v1, s[0:3], 0 offen offset:4
.LBB56_422:
	global_load_dword v0, v0, s[20:21] offset:88
	s_waitcnt vmcnt(0)
	v_add_u32_e32 v0, -1, v0
	v_cmp_eq_u32_e32 vcc, 22, v0
	s_cbranch_vccnz .LBB56_424
; %bb.423:
	v_lshlrev_b32_e32 v0, 3, v0
	buffer_load_dword v1, v0, s[0:3], 0 offen
	buffer_load_dword v2, v0, s[0:3], 0 offen offset:4
	buffer_load_dword v3, off, s[0:3], 0 offset:180
	buffer_load_dword v4, off, s[0:3], 0 offset:176
	s_waitcnt vmcnt(3)
	buffer_store_dword v1, off, s[0:3], 0 offset:176
	s_waitcnt vmcnt(3)
	buffer_store_dword v2, off, s[0:3], 0 offset:180
	s_waitcnt vmcnt(3)
	buffer_store_dword v3, v0, s[0:3], 0 offen offset:4
	s_waitcnt vmcnt(3)
	buffer_store_dword v4, v0, s[0:3], 0 offen
.LBB56_424:
	v_mov_b32_e32 v0, 0
	global_load_dword v1, v0, s[20:21] offset:84
	s_waitcnt vmcnt(0)
	v_add_u32_e32 v115, -1, v1
	v_cmp_eq_u32_e32 vcc, 21, v115
	s_cbranch_vccnz .LBB56_426
; %bb.425:
	v_lshlrev_b32_e32 v1, 3, v115
	buffer_load_dword v2, v1, s[0:3], 0 offen
	buffer_load_dword v3, v1, s[0:3], 0 offen offset:4
	buffer_load_dword v4, off, s[0:3], 0 offset:168
	buffer_load_dword v5, off, s[0:3], 0 offset:172
	s_waitcnt vmcnt(3)
	buffer_store_dword v2, off, s[0:3], 0 offset:168
	s_waitcnt vmcnt(3)
	buffer_store_dword v3, off, s[0:3], 0 offset:172
	s_waitcnt vmcnt(3)
	buffer_store_dword v4, v1, s[0:3], 0 offen
	s_waitcnt vmcnt(3)
	buffer_store_dword v5, v1, s[0:3], 0 offen offset:4
.LBB56_426:
	global_load_dword v0, v0, s[20:21] offset:80
	s_waitcnt vmcnt(0)
	v_add_u32_e32 v0, -1, v0
	v_cmp_eq_u32_e32 vcc, 20, v0
	s_cbranch_vccnz .LBB56_428
; %bb.427:
	v_lshlrev_b32_e32 v0, 3, v0
	buffer_load_dword v1, v0, s[0:3], 0 offen
	buffer_load_dword v2, v0, s[0:3], 0 offen offset:4
	buffer_load_dword v3, off, s[0:3], 0 offset:164
	buffer_load_dword v4, off, s[0:3], 0 offset:160
	s_waitcnt vmcnt(3)
	buffer_store_dword v1, off, s[0:3], 0 offset:160
	s_waitcnt vmcnt(3)
	buffer_store_dword v2, off, s[0:3], 0 offset:164
	s_waitcnt vmcnt(3)
	buffer_store_dword v3, v0, s[0:3], 0 offen offset:4
	s_waitcnt vmcnt(3)
	buffer_store_dword v4, v0, s[0:3], 0 offen
.LBB56_428:
	v_mov_b32_e32 v0, 0
	global_load_dword v1, v0, s[20:21] offset:76
	s_waitcnt vmcnt(0)
	v_add_u32_e32 v115, -1, v1
	v_cmp_eq_u32_e32 vcc, 19, v115
	s_cbranch_vccnz .LBB56_430
; %bb.429:
	v_lshlrev_b32_e32 v1, 3, v115
	buffer_load_dword v2, v1, s[0:3], 0 offen
	buffer_load_dword v3, v1, s[0:3], 0 offen offset:4
	buffer_load_dword v4, off, s[0:3], 0 offset:152
	buffer_load_dword v5, off, s[0:3], 0 offset:156
	s_waitcnt vmcnt(3)
	buffer_store_dword v2, off, s[0:3], 0 offset:152
	s_waitcnt vmcnt(3)
	buffer_store_dword v3, off, s[0:3], 0 offset:156
	s_waitcnt vmcnt(3)
	buffer_store_dword v4, v1, s[0:3], 0 offen
	s_waitcnt vmcnt(3)
	buffer_store_dword v5, v1, s[0:3], 0 offen offset:4
.LBB56_430:
	global_load_dword v0, v0, s[20:21] offset:72
	s_waitcnt vmcnt(0)
	v_add_u32_e32 v0, -1, v0
	v_cmp_eq_u32_e32 vcc, 18, v0
	s_cbranch_vccnz .LBB56_432
; %bb.431:
	v_lshlrev_b32_e32 v0, 3, v0
	buffer_load_dword v1, v0, s[0:3], 0 offen
	buffer_load_dword v2, v0, s[0:3], 0 offen offset:4
	buffer_load_dword v3, off, s[0:3], 0 offset:148
	buffer_load_dword v4, off, s[0:3], 0 offset:144
	s_waitcnt vmcnt(3)
	buffer_store_dword v1, off, s[0:3], 0 offset:144
	s_waitcnt vmcnt(3)
	buffer_store_dword v2, off, s[0:3], 0 offset:148
	s_waitcnt vmcnt(3)
	buffer_store_dword v3, v0, s[0:3], 0 offen offset:4
	s_waitcnt vmcnt(3)
	buffer_store_dword v4, v0, s[0:3], 0 offen
.LBB56_432:
	v_mov_b32_e32 v0, 0
	global_load_dword v1, v0, s[20:21] offset:68
	s_waitcnt vmcnt(0)
	v_add_u32_e32 v115, -1, v1
	v_cmp_eq_u32_e32 vcc, 17, v115
	s_cbranch_vccnz .LBB56_434
; %bb.433:
	v_lshlrev_b32_e32 v1, 3, v115
	buffer_load_dword v2, v1, s[0:3], 0 offen
	buffer_load_dword v3, v1, s[0:3], 0 offen offset:4
	buffer_load_dword v4, off, s[0:3], 0 offset:136
	buffer_load_dword v5, off, s[0:3], 0 offset:140
	s_waitcnt vmcnt(3)
	buffer_store_dword v2, off, s[0:3], 0 offset:136
	s_waitcnt vmcnt(3)
	buffer_store_dword v3, off, s[0:3], 0 offset:140
	s_waitcnt vmcnt(3)
	buffer_store_dword v4, v1, s[0:3], 0 offen
	s_waitcnt vmcnt(3)
	buffer_store_dword v5, v1, s[0:3], 0 offen offset:4
.LBB56_434:
	global_load_dword v0, v0, s[20:21] offset:64
	s_waitcnt vmcnt(0)
	v_add_u32_e32 v0, -1, v0
	v_cmp_eq_u32_e32 vcc, 16, v0
	s_cbranch_vccnz .LBB56_436
; %bb.435:
	v_lshlrev_b32_e32 v0, 3, v0
	buffer_load_dword v1, v0, s[0:3], 0 offen
	buffer_load_dword v2, v0, s[0:3], 0 offen offset:4
	buffer_load_dword v3, off, s[0:3], 0 offset:132
	buffer_load_dword v4, off, s[0:3], 0 offset:128
	s_waitcnt vmcnt(3)
	buffer_store_dword v1, off, s[0:3], 0 offset:128
	s_waitcnt vmcnt(3)
	buffer_store_dword v2, off, s[0:3], 0 offset:132
	s_waitcnt vmcnt(3)
	buffer_store_dword v3, v0, s[0:3], 0 offen offset:4
	s_waitcnt vmcnt(3)
	buffer_store_dword v4, v0, s[0:3], 0 offen
.LBB56_436:
	v_mov_b32_e32 v0, 0
	global_load_dword v1, v0, s[20:21] offset:60
	s_waitcnt vmcnt(0)
	v_add_u32_e32 v115, -1, v1
	v_cmp_eq_u32_e32 vcc, 15, v115
	s_cbranch_vccnz .LBB56_438
; %bb.437:
	v_lshlrev_b32_e32 v1, 3, v115
	buffer_load_dword v2, v1, s[0:3], 0 offen
	buffer_load_dword v3, v1, s[0:3], 0 offen offset:4
	buffer_load_dword v4, off, s[0:3], 0 offset:120
	buffer_load_dword v5, off, s[0:3], 0 offset:124
	s_waitcnt vmcnt(3)
	buffer_store_dword v2, off, s[0:3], 0 offset:120
	s_waitcnt vmcnt(3)
	buffer_store_dword v3, off, s[0:3], 0 offset:124
	s_waitcnt vmcnt(3)
	buffer_store_dword v4, v1, s[0:3], 0 offen
	s_waitcnt vmcnt(3)
	buffer_store_dword v5, v1, s[0:3], 0 offen offset:4
.LBB56_438:
	global_load_dword v0, v0, s[20:21] offset:56
	s_waitcnt vmcnt(0)
	v_add_u32_e32 v0, -1, v0
	v_cmp_eq_u32_e32 vcc, 14, v0
	s_cbranch_vccnz .LBB56_440
; %bb.439:
	v_lshlrev_b32_e32 v0, 3, v0
	buffer_load_dword v1, v0, s[0:3], 0 offen
	buffer_load_dword v2, v0, s[0:3], 0 offen offset:4
	buffer_load_dword v3, off, s[0:3], 0 offset:116
	buffer_load_dword v4, off, s[0:3], 0 offset:112
	s_waitcnt vmcnt(3)
	buffer_store_dword v1, off, s[0:3], 0 offset:112
	s_waitcnt vmcnt(3)
	buffer_store_dword v2, off, s[0:3], 0 offset:116
	s_waitcnt vmcnt(3)
	buffer_store_dword v3, v0, s[0:3], 0 offen offset:4
	s_waitcnt vmcnt(3)
	buffer_store_dword v4, v0, s[0:3], 0 offen
.LBB56_440:
	v_mov_b32_e32 v0, 0
	global_load_dword v1, v0, s[20:21] offset:52
	s_waitcnt vmcnt(0)
	v_add_u32_e32 v115, -1, v1
	v_cmp_eq_u32_e32 vcc, 13, v115
	s_cbranch_vccnz .LBB56_442
; %bb.441:
	v_lshlrev_b32_e32 v1, 3, v115
	buffer_load_dword v2, v1, s[0:3], 0 offen
	buffer_load_dword v3, v1, s[0:3], 0 offen offset:4
	buffer_load_dword v4, off, s[0:3], 0 offset:104
	buffer_load_dword v5, off, s[0:3], 0 offset:108
	s_waitcnt vmcnt(3)
	buffer_store_dword v2, off, s[0:3], 0 offset:104
	s_waitcnt vmcnt(3)
	buffer_store_dword v3, off, s[0:3], 0 offset:108
	s_waitcnt vmcnt(3)
	buffer_store_dword v4, v1, s[0:3], 0 offen
	s_waitcnt vmcnt(3)
	buffer_store_dword v5, v1, s[0:3], 0 offen offset:4
.LBB56_442:
	global_load_dword v0, v0, s[20:21] offset:48
	s_waitcnt vmcnt(0)
	v_add_u32_e32 v0, -1, v0
	v_cmp_eq_u32_e32 vcc, 12, v0
	s_cbranch_vccnz .LBB56_444
; %bb.443:
	v_lshlrev_b32_e32 v0, 3, v0
	buffer_load_dword v1, v0, s[0:3], 0 offen
	buffer_load_dword v2, v0, s[0:3], 0 offen offset:4
	buffer_load_dword v3, off, s[0:3], 0 offset:100
	buffer_load_dword v4, off, s[0:3], 0 offset:96
	s_waitcnt vmcnt(3)
	buffer_store_dword v1, off, s[0:3], 0 offset:96
	s_waitcnt vmcnt(3)
	buffer_store_dword v2, off, s[0:3], 0 offset:100
	s_waitcnt vmcnt(3)
	buffer_store_dword v3, v0, s[0:3], 0 offen offset:4
	s_waitcnt vmcnt(3)
	buffer_store_dword v4, v0, s[0:3], 0 offen
.LBB56_444:
	v_mov_b32_e32 v0, 0
	global_load_dword v1, v0, s[20:21] offset:44
	s_waitcnt vmcnt(0)
	v_add_u32_e32 v115, -1, v1
	v_cmp_eq_u32_e32 vcc, 11, v115
	s_cbranch_vccnz .LBB56_446
; %bb.445:
	v_lshlrev_b32_e32 v1, 3, v115
	buffer_load_dword v2, v1, s[0:3], 0 offen
	buffer_load_dword v3, v1, s[0:3], 0 offen offset:4
	buffer_load_dword v4, off, s[0:3], 0 offset:88
	buffer_load_dword v5, off, s[0:3], 0 offset:92
	s_waitcnt vmcnt(3)
	buffer_store_dword v2, off, s[0:3], 0 offset:88
	s_waitcnt vmcnt(3)
	buffer_store_dword v3, off, s[0:3], 0 offset:92
	s_waitcnt vmcnt(3)
	buffer_store_dword v4, v1, s[0:3], 0 offen
	s_waitcnt vmcnt(3)
	buffer_store_dword v5, v1, s[0:3], 0 offen offset:4
.LBB56_446:
	global_load_dword v0, v0, s[20:21] offset:40
	s_waitcnt vmcnt(0)
	v_add_u32_e32 v0, -1, v0
	v_cmp_eq_u32_e32 vcc, 10, v0
	s_cbranch_vccnz .LBB56_448
; %bb.447:
	v_lshlrev_b32_e32 v0, 3, v0
	buffer_load_dword v1, v0, s[0:3], 0 offen
	buffer_load_dword v2, v0, s[0:3], 0 offen offset:4
	buffer_load_dword v3, off, s[0:3], 0 offset:84
	buffer_load_dword v4, off, s[0:3], 0 offset:80
	s_waitcnt vmcnt(3)
	buffer_store_dword v1, off, s[0:3], 0 offset:80
	s_waitcnt vmcnt(3)
	buffer_store_dword v2, off, s[0:3], 0 offset:84
	s_waitcnt vmcnt(3)
	buffer_store_dword v3, v0, s[0:3], 0 offen offset:4
	s_waitcnt vmcnt(3)
	buffer_store_dword v4, v0, s[0:3], 0 offen
.LBB56_448:
	v_mov_b32_e32 v0, 0
	global_load_dword v1, v0, s[20:21] offset:36
	s_waitcnt vmcnt(0)
	v_add_u32_e32 v115, -1, v1
	v_cmp_eq_u32_e32 vcc, 9, v115
	s_cbranch_vccnz .LBB56_450
; %bb.449:
	v_lshlrev_b32_e32 v1, 3, v115
	buffer_load_dword v2, v1, s[0:3], 0 offen
	buffer_load_dword v3, v1, s[0:3], 0 offen offset:4
	buffer_load_dword v4, off, s[0:3], 0 offset:72
	buffer_load_dword v5, off, s[0:3], 0 offset:76
	s_waitcnt vmcnt(3)
	buffer_store_dword v2, off, s[0:3], 0 offset:72
	s_waitcnt vmcnt(3)
	buffer_store_dword v3, off, s[0:3], 0 offset:76
	s_waitcnt vmcnt(3)
	buffer_store_dword v4, v1, s[0:3], 0 offen
	s_waitcnt vmcnt(3)
	buffer_store_dword v5, v1, s[0:3], 0 offen offset:4
.LBB56_450:
	global_load_dword v0, v0, s[20:21] offset:32
	s_waitcnt vmcnt(0)
	v_add_u32_e32 v0, -1, v0
	v_cmp_eq_u32_e32 vcc, 8, v0
	s_cbranch_vccnz .LBB56_452
; %bb.451:
	v_lshlrev_b32_e32 v0, 3, v0
	buffer_load_dword v1, v0, s[0:3], 0 offen
	buffer_load_dword v2, v0, s[0:3], 0 offen offset:4
	buffer_load_dword v3, off, s[0:3], 0 offset:68
	buffer_load_dword v4, off, s[0:3], 0 offset:64
	s_waitcnt vmcnt(3)
	buffer_store_dword v1, off, s[0:3], 0 offset:64
	s_waitcnt vmcnt(3)
	buffer_store_dword v2, off, s[0:3], 0 offset:68
	s_waitcnt vmcnt(3)
	buffer_store_dword v3, v0, s[0:3], 0 offen offset:4
	s_waitcnt vmcnt(3)
	buffer_store_dword v4, v0, s[0:3], 0 offen
.LBB56_452:
	v_mov_b32_e32 v0, 0
	global_load_dword v1, v0, s[20:21] offset:28
	s_waitcnt vmcnt(0)
	v_add_u32_e32 v115, -1, v1
	v_cmp_eq_u32_e32 vcc, 7, v115
	s_cbranch_vccnz .LBB56_454
; %bb.453:
	v_lshlrev_b32_e32 v1, 3, v115
	buffer_load_dword v2, v1, s[0:3], 0 offen
	buffer_load_dword v3, v1, s[0:3], 0 offen offset:4
	buffer_load_dword v4, off, s[0:3], 0 offset:56
	buffer_load_dword v5, off, s[0:3], 0 offset:60
	s_waitcnt vmcnt(3)
	buffer_store_dword v2, off, s[0:3], 0 offset:56
	s_waitcnt vmcnt(3)
	buffer_store_dword v3, off, s[0:3], 0 offset:60
	s_waitcnt vmcnt(3)
	buffer_store_dword v4, v1, s[0:3], 0 offen
	s_waitcnt vmcnt(3)
	buffer_store_dword v5, v1, s[0:3], 0 offen offset:4
.LBB56_454:
	global_load_dword v0, v0, s[20:21] offset:24
	s_waitcnt vmcnt(0)
	v_add_u32_e32 v0, -1, v0
	v_cmp_eq_u32_e32 vcc, 6, v0
	s_cbranch_vccnz .LBB56_456
; %bb.455:
	v_lshlrev_b32_e32 v0, 3, v0
	buffer_load_dword v1, v0, s[0:3], 0 offen
	buffer_load_dword v2, v0, s[0:3], 0 offen offset:4
	buffer_load_dword v3, off, s[0:3], 0 offset:52
	buffer_load_dword v4, off, s[0:3], 0 offset:48
	s_waitcnt vmcnt(3)
	buffer_store_dword v1, off, s[0:3], 0 offset:48
	s_waitcnt vmcnt(3)
	buffer_store_dword v2, off, s[0:3], 0 offset:52
	s_waitcnt vmcnt(3)
	buffer_store_dword v3, v0, s[0:3], 0 offen offset:4
	s_waitcnt vmcnt(3)
	buffer_store_dword v4, v0, s[0:3], 0 offen
.LBB56_456:
	v_mov_b32_e32 v0, 0
	global_load_dword v1, v0, s[20:21] offset:20
	s_waitcnt vmcnt(0)
	v_add_u32_e32 v115, -1, v1
	v_cmp_eq_u32_e32 vcc, 5, v115
	s_cbranch_vccnz .LBB56_458
; %bb.457:
	v_lshlrev_b32_e32 v1, 3, v115
	buffer_load_dword v2, v1, s[0:3], 0 offen
	buffer_load_dword v3, v1, s[0:3], 0 offen offset:4
	buffer_load_dword v4, off, s[0:3], 0 offset:40
	buffer_load_dword v5, off, s[0:3], 0 offset:44
	s_waitcnt vmcnt(3)
	buffer_store_dword v2, off, s[0:3], 0 offset:40
	s_waitcnt vmcnt(3)
	buffer_store_dword v3, off, s[0:3], 0 offset:44
	s_waitcnt vmcnt(3)
	buffer_store_dword v4, v1, s[0:3], 0 offen
	s_waitcnt vmcnt(3)
	buffer_store_dword v5, v1, s[0:3], 0 offen offset:4
.LBB56_458:
	global_load_dword v0, v0, s[20:21] offset:16
	s_waitcnt vmcnt(0)
	v_add_u32_e32 v0, -1, v0
	v_cmp_eq_u32_e32 vcc, 4, v0
	s_cbranch_vccnz .LBB56_460
; %bb.459:
	v_lshlrev_b32_e32 v0, 3, v0
	buffer_load_dword v1, v0, s[0:3], 0 offen
	buffer_load_dword v2, v0, s[0:3], 0 offen offset:4
	buffer_load_dword v3, off, s[0:3], 0 offset:36
	buffer_load_dword v4, off, s[0:3], 0 offset:32
	s_waitcnt vmcnt(3)
	buffer_store_dword v1, off, s[0:3], 0 offset:32
	s_waitcnt vmcnt(3)
	buffer_store_dword v2, off, s[0:3], 0 offset:36
	s_waitcnt vmcnt(3)
	buffer_store_dword v3, v0, s[0:3], 0 offen offset:4
	s_waitcnt vmcnt(3)
	buffer_store_dword v4, v0, s[0:3], 0 offen
.LBB56_460:
	v_mov_b32_e32 v0, 0
	global_load_dword v1, v0, s[20:21] offset:12
	s_waitcnt vmcnt(0)
	v_add_u32_e32 v115, -1, v1
	v_cmp_eq_u32_e32 vcc, 3, v115
	s_cbranch_vccnz .LBB56_462
; %bb.461:
	v_lshlrev_b32_e32 v1, 3, v115
	buffer_load_dword v2, v1, s[0:3], 0 offen
	buffer_load_dword v3, v1, s[0:3], 0 offen offset:4
	buffer_load_dword v4, off, s[0:3], 0 offset:24
	buffer_load_dword v5, off, s[0:3], 0 offset:28
	s_waitcnt vmcnt(3)
	buffer_store_dword v2, off, s[0:3], 0 offset:24
	s_waitcnt vmcnt(3)
	buffer_store_dword v3, off, s[0:3], 0 offset:28
	s_waitcnt vmcnt(3)
	buffer_store_dword v4, v1, s[0:3], 0 offen
	s_waitcnt vmcnt(3)
	buffer_store_dword v5, v1, s[0:3], 0 offen offset:4
.LBB56_462:
	global_load_dword v0, v0, s[20:21] offset:8
	s_waitcnt vmcnt(0)
	v_add_u32_e32 v0, -1, v0
	v_cmp_eq_u32_e32 vcc, 2, v0
	s_cbranch_vccnz .LBB56_464
; %bb.463:
	v_lshlrev_b32_e32 v0, 3, v0
	buffer_load_dword v1, v0, s[0:3], 0 offen
	buffer_load_dword v2, v0, s[0:3], 0 offen offset:4
	buffer_load_dword v3, off, s[0:3], 0 offset:20
	buffer_load_dword v4, off, s[0:3], 0 offset:16
	s_waitcnt vmcnt(3)
	buffer_store_dword v1, off, s[0:3], 0 offset:16
	s_waitcnt vmcnt(3)
	buffer_store_dword v2, off, s[0:3], 0 offset:20
	s_waitcnt vmcnt(3)
	buffer_store_dword v3, v0, s[0:3], 0 offen offset:4
	s_waitcnt vmcnt(3)
	buffer_store_dword v4, v0, s[0:3], 0 offen
.LBB56_464:
	v_mov_b32_e32 v0, 0
	global_load_dword v1, v0, s[20:21] offset:4
	s_waitcnt vmcnt(0)
	v_add_u32_e32 v115, -1, v1
	v_cmp_eq_u32_e32 vcc, 1, v115
	s_cbranch_vccnz .LBB56_466
; %bb.465:
	v_lshlrev_b32_e32 v1, 3, v115
	buffer_load_dword v2, v1, s[0:3], 0 offen
	buffer_load_dword v3, v1, s[0:3], 0 offen offset:4
	buffer_load_dword v4, off, s[0:3], 0 offset:8
	buffer_load_dword v5, off, s[0:3], 0 offset:12
	s_waitcnt vmcnt(3)
	buffer_store_dword v2, off, s[0:3], 0 offset:8
	s_waitcnt vmcnt(3)
	buffer_store_dword v3, off, s[0:3], 0 offset:12
	s_waitcnt vmcnt(3)
	buffer_store_dword v4, v1, s[0:3], 0 offen
	s_waitcnt vmcnt(3)
	buffer_store_dword v5, v1, s[0:3], 0 offen offset:4
.LBB56_466:
	global_load_dword v0, v0, s[20:21]
	s_waitcnt vmcnt(0)
	v_add_u32_e32 v0, -1, v0
	v_cmp_eq_u32_e32 vcc, 0, v0
	s_cbranch_vccnz .LBB56_468
; %bb.467:
	v_lshlrev_b32_e32 v0, 3, v0
	buffer_load_dword v1, v0, s[0:3], 0 offen
	buffer_load_dword v2, v0, s[0:3], 0 offen offset:4
	buffer_load_dword v3, off, s[0:3], 0 offset:4
	buffer_load_dword v4, off, s[0:3], 0
	s_waitcnt vmcnt(3)
	buffer_store_dword v1, off, s[0:3], 0
	s_waitcnt vmcnt(3)
	buffer_store_dword v2, off, s[0:3], 0 offset:4
	s_waitcnt vmcnt(3)
	buffer_store_dword v3, v0, s[0:3], 0 offen offset:4
	s_waitcnt vmcnt(3)
	buffer_store_dword v4, v0, s[0:3], 0 offen
.LBB56_468:
	buffer_load_dword v0, off, s[0:3], 0
	s_nop 0
	buffer_load_dword v1, off, s[0:3], 0 offset:4
	buffer_load_dword v2, off, s[0:3], 0 offset:8
	;; [unrolled: 1-line block ×113, first 2 shown]
	s_waitcnt vmcnt(62)
	global_store_dwordx2 v[103:104], v[0:1], off
	global_store_dwordx2 v[107:108], v[2:3], off
	buffer_load_dword v0, off, s[0:3], 0 offset:456 ; 4-byte Folded Reload
	s_nop 0
	buffer_load_dword v1, off, s[0:3], 0 offset:460 ; 4-byte Folded Reload
	s_waitcnt vmcnt(0)
	global_store_dwordx2 v[0:1], v[4:5], off
	buffer_load_dword v0, off, s[0:3], 0 offset:464 ; 4-byte Folded Reload
	s_nop 0
	buffer_load_dword v1, off, s[0:3], 0 offset:468 ; 4-byte Folded Reload
	s_waitcnt vmcnt(0)
	;; [unrolled: 5-line block ×43, first 2 shown]
	global_store_dwordx2 v[0:1], v[191:192], off
	global_store_dwordx2 v[87:88], v[193:194], off
	;; [unrolled: 1-line block ×13, first 2 shown]
	s_endpgm
	.section	.rodata,"a",@progbits
	.p2align	6, 0x0
	.amdhsa_kernel _ZN9rocsolver6v33100L18getri_kernel_smallILi57E19rocblas_complex_numIfEPS3_EEvT1_iilPiilS6_bb
		.amdhsa_group_segment_fixed_size 920
		.amdhsa_private_segment_fixed_size 816
		.amdhsa_kernarg_size 60
		.amdhsa_user_sgpr_count 6
		.amdhsa_user_sgpr_private_segment_buffer 1
		.amdhsa_user_sgpr_dispatch_ptr 0
		.amdhsa_user_sgpr_queue_ptr 0
		.amdhsa_user_sgpr_kernarg_segment_ptr 1
		.amdhsa_user_sgpr_dispatch_id 0
		.amdhsa_user_sgpr_flat_scratch_init 0
		.amdhsa_user_sgpr_private_segment_size 0
		.amdhsa_uses_dynamic_stack 0
		.amdhsa_system_sgpr_private_segment_wavefront_offset 1
		.amdhsa_system_sgpr_workgroup_id_x 1
		.amdhsa_system_sgpr_workgroup_id_y 0
		.amdhsa_system_sgpr_workgroup_id_z 0
		.amdhsa_system_sgpr_workgroup_info 0
		.amdhsa_system_vgpr_workitem_id 0
		.amdhsa_next_free_vgpr 256
		.amdhsa_next_free_sgpr 24
		.amdhsa_reserve_vcc 1
		.amdhsa_reserve_flat_scratch 0
		.amdhsa_float_round_mode_32 0
		.amdhsa_float_round_mode_16_64 0
		.amdhsa_float_denorm_mode_32 3
		.amdhsa_float_denorm_mode_16_64 3
		.amdhsa_dx10_clamp 1
		.amdhsa_ieee_mode 1
		.amdhsa_fp16_overflow 0
		.amdhsa_exception_fp_ieee_invalid_op 0
		.amdhsa_exception_fp_denorm_src 0
		.amdhsa_exception_fp_ieee_div_zero 0
		.amdhsa_exception_fp_ieee_overflow 0
		.amdhsa_exception_fp_ieee_underflow 0
		.amdhsa_exception_fp_ieee_inexact 0
		.amdhsa_exception_int_div_zero 0
	.end_amdhsa_kernel
	.section	.text._ZN9rocsolver6v33100L18getri_kernel_smallILi57E19rocblas_complex_numIfEPS3_EEvT1_iilPiilS6_bb,"axG",@progbits,_ZN9rocsolver6v33100L18getri_kernel_smallILi57E19rocblas_complex_numIfEPS3_EEvT1_iilPiilS6_bb,comdat
.Lfunc_end56:
	.size	_ZN9rocsolver6v33100L18getri_kernel_smallILi57E19rocblas_complex_numIfEPS3_EEvT1_iilPiilS6_bb, .Lfunc_end56-_ZN9rocsolver6v33100L18getri_kernel_smallILi57E19rocblas_complex_numIfEPS3_EEvT1_iilPiilS6_bb
                                        ; -- End function
	.set _ZN9rocsolver6v33100L18getri_kernel_smallILi57E19rocblas_complex_numIfEPS3_EEvT1_iilPiilS6_bb.num_vgpr, 256
	.set _ZN9rocsolver6v33100L18getri_kernel_smallILi57E19rocblas_complex_numIfEPS3_EEvT1_iilPiilS6_bb.num_agpr, 0
	.set _ZN9rocsolver6v33100L18getri_kernel_smallILi57E19rocblas_complex_numIfEPS3_EEvT1_iilPiilS6_bb.numbered_sgpr, 24
	.set _ZN9rocsolver6v33100L18getri_kernel_smallILi57E19rocblas_complex_numIfEPS3_EEvT1_iilPiilS6_bb.num_named_barrier, 0
	.set _ZN9rocsolver6v33100L18getri_kernel_smallILi57E19rocblas_complex_numIfEPS3_EEvT1_iilPiilS6_bb.private_seg_size, 816
	.set _ZN9rocsolver6v33100L18getri_kernel_smallILi57E19rocblas_complex_numIfEPS3_EEvT1_iilPiilS6_bb.uses_vcc, 1
	.set _ZN9rocsolver6v33100L18getri_kernel_smallILi57E19rocblas_complex_numIfEPS3_EEvT1_iilPiilS6_bb.uses_flat_scratch, 0
	.set _ZN9rocsolver6v33100L18getri_kernel_smallILi57E19rocblas_complex_numIfEPS3_EEvT1_iilPiilS6_bb.has_dyn_sized_stack, 0
	.set _ZN9rocsolver6v33100L18getri_kernel_smallILi57E19rocblas_complex_numIfEPS3_EEvT1_iilPiilS6_bb.has_recursion, 0
	.set _ZN9rocsolver6v33100L18getri_kernel_smallILi57E19rocblas_complex_numIfEPS3_EEvT1_iilPiilS6_bb.has_indirect_call, 0
	.section	.AMDGPU.csdata,"",@progbits
; Kernel info:
; codeLenInByte = 117220
; TotalNumSgprs: 28
; NumVgprs: 256
; ScratchSize: 816
; MemoryBound: 0
; FloatMode: 240
; IeeeMode: 1
; LDSByteSize: 920 bytes/workgroup (compile time only)
; SGPRBlocks: 3
; VGPRBlocks: 63
; NumSGPRsForWavesPerEU: 28
; NumVGPRsForWavesPerEU: 256
; Occupancy: 1
; WaveLimiterHint : 1
; COMPUTE_PGM_RSRC2:SCRATCH_EN: 1
; COMPUTE_PGM_RSRC2:USER_SGPR: 6
; COMPUTE_PGM_RSRC2:TRAP_HANDLER: 0
; COMPUTE_PGM_RSRC2:TGID_X_EN: 1
; COMPUTE_PGM_RSRC2:TGID_Y_EN: 0
; COMPUTE_PGM_RSRC2:TGID_Z_EN: 0
; COMPUTE_PGM_RSRC2:TIDIG_COMP_CNT: 0
	.section	.text._ZN9rocsolver6v33100L18getri_kernel_smallILi58E19rocblas_complex_numIfEPS3_EEvT1_iilPiilS6_bb,"axG",@progbits,_ZN9rocsolver6v33100L18getri_kernel_smallILi58E19rocblas_complex_numIfEPS3_EEvT1_iilPiilS6_bb,comdat
	.globl	_ZN9rocsolver6v33100L18getri_kernel_smallILi58E19rocblas_complex_numIfEPS3_EEvT1_iilPiilS6_bb ; -- Begin function _ZN9rocsolver6v33100L18getri_kernel_smallILi58E19rocblas_complex_numIfEPS3_EEvT1_iilPiilS6_bb
	.p2align	8
	.type	_ZN9rocsolver6v33100L18getri_kernel_smallILi58E19rocblas_complex_numIfEPS3_EEvT1_iilPiilS6_bb,@function
_ZN9rocsolver6v33100L18getri_kernel_smallILi58E19rocblas_complex_numIfEPS3_EEvT1_iilPiilS6_bb: ; @_ZN9rocsolver6v33100L18getri_kernel_smallILi58E19rocblas_complex_numIfEPS3_EEvT1_iilPiilS6_bb
; %bb.0:
	s_add_u32 s0, s0, s7
	s_addc_u32 s1, s1, 0
	v_cmp_gt_u32_e32 vcc, 58, v0
	s_and_saveexec_b64 s[8:9], vcc
	s_cbranch_execz .LBB57_246
; %bb.1:
	s_load_dword s12, s[4:5], 0x38
	s_load_dwordx4 s[16:19], s[4:5], 0x10
	s_load_dwordx4 s[8:11], s[4:5], 0x28
                                        ; implicit-def: $sgpr20_sgpr21
	s_waitcnt lgkmcnt(0)
	s_bitcmp1_b32 s12, 8
	s_cselect_b64 s[22:23], -1, 0
	s_ashr_i32 s7, s6, 31
	s_bfe_u32 s12, s12, 0x10008
	s_cmp_eq_u32 s12, 0
	s_cbranch_scc1 .LBB57_3
; %bb.2:
	s_load_dword s12, s[4:5], 0x20
	s_mul_i32 s13, s8, s7
	s_mul_hi_u32 s14, s8, s6
	s_mul_i32 s9, s9, s6
	s_add_i32 s14, s14, s13
	s_add_i32 s9, s14, s9
	s_mul_i32 s8, s8, s6
	s_waitcnt lgkmcnt(0)
	s_ashr_i32 s13, s12, 31
	s_lshl_b64 s[8:9], s[8:9], 2
	s_add_u32 s14, s18, s8
	s_addc_u32 s15, s19, s9
	s_lshl_b64 s[8:9], s[12:13], 2
	s_add_u32 s20, s14, s8
	s_addc_u32 s21, s15, s9
.LBB57_3:
	s_load_dwordx4 s[12:15], s[4:5], 0x0
	s_load_dword s8, s[4:5], 0x38
	s_mul_i32 s9, s16, s7
	s_mul_hi_u32 s18, s16, s6
	s_add_i32 s9, s18, s9
	s_waitcnt lgkmcnt(0)
	s_ashr_i32 s5, s14, 31
	s_mov_b32 s4, s14
	s_mul_i32 s14, s17, s6
	s_add_i32 s17, s9, s14
	s_mul_i32 s16, s16, s6
	s_lshl_b64 s[16:17], s[16:17], 3
	s_add_u32 s9, s12, s16
	s_addc_u32 s12, s13, s17
	s_lshl_b64 s[4:5], s[4:5], 3
	s_add_u32 s4, s9, s4
	s_addc_u32 s5, s12, s5
	s_add_i32 s9, s15, s15
	v_add_u32_e32 v1, s9, v0
	v_ashrrev_i32_e32 v2, 31, v1
	v_lshlrev_b64 v[2:3], 3, v[1:2]
	v_add_u32_e32 v1, s15, v1
	v_mov_b32_e32 v4, s5
	v_add_co_u32_e32 v9, vcc, s4, v2
	v_ashrrev_i32_e32 v2, 31, v1
	v_addc_co_u32_e32 v10, vcc, v4, v3, vcc
	v_lshlrev_b64 v[2:3], 3, v[1:2]
	v_add_u32_e32 v1, s15, v1
	v_add_co_u32_e32 v12, vcc, s4, v2
	v_ashrrev_i32_e32 v2, 31, v1
	v_addc_co_u32_e32 v13, vcc, v4, v3, vcc
	v_lshlrev_b64 v[2:3], 3, v[1:2]
	v_add_u32_e32 v1, s15, v1
	;; [unrolled: 5-line block ×47, first 2 shown]
	v_add_co_u32_e32 v95, vcc, s4, v2
	v_ashrrev_i32_e32 v2, 31, v1
	v_addc_co_u32_e32 v96, vcc, v4, v3, vcc
	v_lshlrev_b64 v[2:3], 3, v[1:2]
	v_lshlrev_b32_e32 v119, 3, v0
	v_add_co_u32_e32 v97, vcc, s4, v2
	v_addc_co_u32_e32 v98, vcc, v4, v3, vcc
	v_mov_b32_e32 v5, s5
	v_add_co_u32_e32 v105, vcc, s4, v119
	s_ashr_i32 s13, s15, 31
	s_mov_b32 s12, s15
	v_addc_co_u32_e32 v106, vcc, 0, v5, vcc
	s_lshl_b64 s[12:13], s[12:13], 3
	v_mov_b32_e32 v5, s13
	v_add_co_u32_e32 v109, vcc, s12, v105
	v_addc_co_u32_e32 v110, vcc, v106, v5, vcc
	global_load_dwordx2 v[3:4], v119, s[4:5]
	global_load_dwordx2 v[5:6], v[109:110], off
	s_nop 0
	buffer_store_dword v9, off, s[0:3], 0 offset:464 ; 4-byte Folded Spill
	s_nop 0
	buffer_store_dword v10, off, s[0:3], 0 offset:468 ; 4-byte Folded Spill
	v_add_u32_e32 v1, s15, v1
	v_ashrrev_i32_e32 v2, 31, v1
	v_lshlrev_b64 v[7:8], 3, v[1:2]
	v_mov_b32_e32 v11, s5
	v_add_co_u32_e32 v99, vcc, s4, v7
	v_addc_co_u32_e32 v100, vcc, v11, v8, vcc
	v_add_u32_e32 v1, s15, v1
	v_ashrrev_i32_e32 v2, 31, v1
	v_mov_b32_e32 v17, s5
	v_mov_b32_e32 v23, s5
	;; [unrolled: 1-line block ×5, first 2 shown]
	s_bitcmp0_b32 s8, 0
	s_mov_b64 s[8:9], -1
	global_load_dwordx2 v[9:10], v[9:10], off
	s_nop 0
	buffer_store_dword v12, off, s[0:3], 0 offset:472 ; 4-byte Folded Spill
	s_nop 0
	buffer_store_dword v13, off, s[0:3], 0 offset:476 ; 4-byte Folded Spill
	global_load_dwordx2 v[7:8], v[12:13], off
	s_nop 0
	buffer_store_dword v14, off, s[0:3], 0 offset:480 ; 4-byte Folded Spill
	s_nop 0
	buffer_store_dword v15, off, s[0:3], 0 offset:484 ; 4-byte Folded Spill
	;; [unrolled: 5-line block ×3, first 2 shown]
	v_lshlrev_b64 v[13:14], 3, v[1:2]
	v_add_u32_e32 v1, s15, v1
	v_add_co_u32_e32 v101, vcc, s4, v13
	v_addc_co_u32_e32 v102, vcc, v17, v14, vcc
	v_ashrrev_i32_e32 v2, 31, v1
	global_load_dwordx2 v[15:16], v[18:19], off
	s_nop 0
	buffer_store_dword v20, off, s[0:3], 0 offset:496 ; 4-byte Folded Spill
	s_nop 0
	buffer_store_dword v21, off, s[0:3], 0 offset:500 ; 4-byte Folded Spill
	v_lshlrev_b64 v[17:18], 3, v[1:2]
	v_add_u32_e32 v1, s15, v1
	v_add_co_u32_e32 v103, vcc, s4, v17
	v_addc_co_u32_e32 v104, vcc, v23, v18, vcc
	v_ashrrev_i32_e32 v2, 31, v1
	global_load_dwordx2 v[13:14], v[20:21], off
	s_nop 0
	buffer_store_dword v24, off, s[0:3], 0 offset:504 ; 4-byte Folded Spill
	s_nop 0
	buffer_store_dword v25, off, s[0:3], 0 offset:508 ; 4-byte Folded Spill
	global_load_dwordx2 v[19:20], v[24:25], off
	s_nop 0
	buffer_store_dword v26, off, s[0:3], 0 offset:512 ; 4-byte Folded Spill
	s_nop 0
	buffer_store_dword v27, off, s[0:3], 0 offset:516 ; 4-byte Folded Spill
	v_lshlrev_b64 v[23:24], 3, v[1:2]
	v_add_u32_e32 v1, s15, v1
	v_add_co_u32_e32 v107, vcc, s4, v23
	v_ashrrev_i32_e32 v2, 31, v1
	v_lshlrev_b64 v[111:112], 3, v[1:2]
	v_add_u32_e32 v1, s15, v1
	v_ashrrev_i32_e32 v2, 31, v1
	global_load_dwordx2 v[21:22], v[26:27], off
	s_nop 0
	buffer_store_dword v28, off, s[0:3], 0 offset:520 ; 4-byte Folded Spill
	s_nop 0
	buffer_store_dword v29, off, s[0:3], 0 offset:524 ; 4-byte Folded Spill
	v_mov_b32_e32 v27, s5
	v_addc_co_u32_e32 v108, vcc, v27, v24, vcc
	v_add_co_u32_e32 v111, vcc, s4, v111
	v_addc_co_u32_e32 v112, vcc, v113, v112, vcc
	v_lshlrev_b64 v[113:114], 3, v[1:2]
	v_add_u32_e32 v1, s15, v1
	v_ashrrev_i32_e32 v2, 31, v1
	v_add_co_u32_e32 v113, vcc, s4, v113
	v_lshlrev_b64 v[1:2], 3, v[1:2]
	v_addc_co_u32_e32 v114, vcc, v115, v114, vcc
	v_add_co_u32_e32 v115, vcc, s4, v1
	v_addc_co_u32_e32 v116, vcc, v116, v2, vcc
	global_load_dwordx2 v[17:18], v[28:29], off
	s_nop 0
	buffer_store_dword v30, off, s[0:3], 0 offset:528 ; 4-byte Folded Spill
	s_nop 0
	buffer_store_dword v31, off, s[0:3], 0 offset:532 ; 4-byte Folded Spill
	global_load_dwordx2 v[25:26], v[30:31], off
	s_nop 0
	buffer_store_dword v32, off, s[0:3], 0 offset:536 ; 4-byte Folded Spill
	s_nop 0
	buffer_store_dword v33, off, s[0:3], 0 offset:540 ; 4-byte Folded Spill
	;; [unrolled: 5-line block ×13, first 2 shown]
	global_load_dwordx2 v[1:2], v[54:55], off
	s_waitcnt vmcnt(62)
	buffer_store_dword v4, off, s[0:3], 0 offset:4
	buffer_store_dword v56, off, s[0:3], 0 offset:632 ; 4-byte Folded Spill
	s_nop 0
	buffer_store_dword v57, off, s[0:3], 0 offset:636 ; 4-byte Folded Spill
	global_load_dwordx2 v[136:137], v[56:57], off
	s_nop 0
	buffer_store_dword v3, off, s[0:3], 0
	buffer_store_dword v58, off, s[0:3], 0 offset:640 ; 4-byte Folded Spill
	s_nop 0
	buffer_store_dword v59, off, s[0:3], 0 offset:644 ; 4-byte Folded Spill
	global_load_dwordx2 v[3:4], v[58:59], off
	s_nop 0
	buffer_store_dword v6, off, s[0:3], 0 offset:12
	buffer_store_dword v60, off, s[0:3], 0 offset:648 ; 4-byte Folded Spill
	s_nop 0
	buffer_store_dword v61, off, s[0:3], 0 offset:652 ; 4-byte Folded Spill
	global_load_dwordx2 v[138:139], v[60:61], off
	s_nop 0
	buffer_store_dword v5, off, s[0:3], 0 offset:8
	buffer_store_dword v62, off, s[0:3], 0 offset:656 ; 4-byte Folded Spill
	s_nop 0
	buffer_store_dword v63, off, s[0:3], 0 offset:660 ; 4-byte Folded Spill
	global_load_dwordx2 v[5:6], v[62:63], off
	s_waitcnt vmcnt(62)
	buffer_store_dword v10, off, s[0:3], 0 offset:20
	buffer_store_dword v64, off, s[0:3], 0 offset:664 ; 4-byte Folded Spill
	s_nop 0
	buffer_store_dword v65, off, s[0:3], 0 offset:668 ; 4-byte Folded Spill
	global_load_dwordx2 v[140:141], v[64:65], off
	s_nop 0
	buffer_store_dword v9, off, s[0:3], 0 offset:16
	buffer_store_dword v66, off, s[0:3], 0 offset:672 ; 4-byte Folded Spill
	s_nop 0
	buffer_store_dword v67, off, s[0:3], 0 offset:676 ; 4-byte Folded Spill
	global_load_dwordx2 v[9:10], v[66:67], off
	s_nop 0
	;; [unrolled: 6-line block ×9, first 2 shown]
	buffer_store_dword v13, off, s[0:3], 0 offset:48
	buffer_store_dword v82, off, s[0:3], 0 offset:736 ; 4-byte Folded Spill
	s_nop 0
	buffer_store_dword v83, off, s[0:3], 0 offset:740 ; 4-byte Folded Spill
	global_load_dwordx2 v[13:14], v[82:83], off
	s_waitcnt vmcnt(62)
	buffer_store_dword v20, off, s[0:3], 0 offset:60
	buffer_store_dword v84, off, s[0:3], 0 offset:744 ; 4-byte Folded Spill
	s_nop 0
	buffer_store_dword v85, off, s[0:3], 0 offset:748 ; 4-byte Folded Spill
	global_load_dwordx2 v[150:151], v[84:85], off
	s_nop 0
	buffer_store_dword v19, off, s[0:3], 0 offset:56
	buffer_store_dword v86, off, s[0:3], 0 offset:752 ; 4-byte Folded Spill
	s_nop 0
	buffer_store_dword v87, off, s[0:3], 0 offset:756 ; 4-byte Folded Spill
	global_load_dwordx2 v[19:20], v[86:87], off
	s_nop 0
	;; [unrolled: 6-line block ×11, first 2 shown]
	buffer_store_dword v28, off, s[0:3], 0 offset:100
	buffer_store_dword v168, off, s[0:3], 0 offset:832 ; 4-byte Folded Spill
	s_nop 0
	buffer_store_dword v169, off, s[0:3], 0 offset:836 ; 4-byte Folded Spill
	global_load_dwordx2 v[162:163], v[95:96], off
	global_load_dwordx2 v[164:165], v[99:100], off
	;; [unrolled: 1-line block ×5, first 2 shown]
	s_nop 0
	buffer_store_dword v117, off, s[0:3], 0 offset:104
	buffer_store_dword v118, off, s[0:3], 0 offset:108
	global_load_dwordx2 v[117:118], v[97:98], off
	s_nop 0
	buffer_store_dword v121, off, s[0:3], 0 offset:116
	buffer_store_dword v120, off, s[0:3], 0 offset:112
	global_load_dwordx2 v[120:121], v[101:102], off
	;; [unrolled: 4-line block ×3, first 2 shown]
	s_nop 0
	global_load_dwordx2 v[168:169], v[111:112], off
	s_nop 0
	buffer_store_dword v124, off, s[0:3], 0 offset:128
	buffer_store_dword v125, off, s[0:3], 0 offset:132
	global_load_dwordx2 v[124:125], v[113:114], off
	s_nop 0
	buffer_store_dword v126, off, s[0:3], 0 offset:136
	buffer_store_dword v127, off, s[0:3], 0 offset:140
	;; [unrolled: 1-line block ×8, first 2 shown]
	s_waitcnt vmcnt(62)
	buffer_store_dword v134, off, s[0:3], 0 offset:168
	buffer_store_dword v135, off, s[0:3], 0 offset:172
	;; [unrolled: 1-line block ×36, first 2 shown]
	s_waitcnt vmcnt(62)
	buffer_store_dword v152, off, s[0:3], 0 offset:312
	buffer_store_dword v153, off, s[0:3], 0 offset:316
	buffer_store_dword v21, off, s[0:3], 0 offset:320
	buffer_store_dword v22, off, s[0:3], 0 offset:324
	buffer_store_dword v154, off, s[0:3], 0 offset:328
	buffer_store_dword v155, off, s[0:3], 0 offset:332
	buffer_store_dword v17, off, s[0:3], 0 offset:336
	buffer_store_dword v18, off, s[0:3], 0 offset:340
	buffer_store_dword v157, off, s[0:3], 0 offset:348
	buffer_store_dword v156, off, s[0:3], 0 offset:344
	buffer_store_dword v26, off, s[0:3], 0 offset:356
	buffer_store_dword v25, off, s[0:3], 0 offset:352
	buffer_store_dword v158, off, s[0:3], 0 offset:360
	buffer_store_dword v159, off, s[0:3], 0 offset:364
	buffer_store_dword v23, off, s[0:3], 0 offset:368
	buffer_store_dword v24, off, s[0:3], 0 offset:372
	buffer_store_dword v160, off, s[0:3], 0 offset:376
	buffer_store_dword v161, off, s[0:3], 0 offset:380
	s_waitcnt vmcnt(62)
	buffer_store_dword v27, off, s[0:3], 0 offset:384
	buffer_store_dword v28, off, s[0:3], 0 offset:388
	;; [unrolled: 1-line block ×20, first 2 shown]
	s_cbranch_scc1 .LBB57_244
; %bb.4:
	v_cmp_eq_u32_e64 s[4:5], 0, v0
	s_and_saveexec_b64 s[8:9], s[4:5]
; %bb.5:
	v_mov_b32_e32 v1, 0
	ds_write_b32 v1, v1 offset:928
; %bb.6:
	s_or_b64 exec, exec, s[8:9]
	v_mov_b32_e32 v1, 0
	v_lshl_add_u32 v121, v0, 3, v1
	s_waitcnt lgkmcnt(0)
	; wave barrier
	buffer_load_dword v1, v121, s[0:3], 0 offen
	buffer_load_dword v2, v121, s[0:3], 0 offen offset:4
	s_waitcnt vmcnt(1)
	v_cmp_eq_f32_e32 vcc, 0, v1
	s_waitcnt vmcnt(0)
	v_cmp_eq_f32_e64 s[8:9], 0, v2
	s_and_b64 s[8:9], vcc, s[8:9]
	s_and_saveexec_b64 s[12:13], s[8:9]
	s_cbranch_execz .LBB57_10
; %bb.7:
	v_mov_b32_e32 v117, 0
	ds_read_b32 v1, v117 offset:928
	v_add_u32_e32 v118, 1, v0
	s_waitcnt lgkmcnt(0)
	v_readfirstlane_b32 s8, v1
	s_cmp_eq_u32 s8, 0
	s_cselect_b64 s[14:15], -1, 0
	v_cmp_gt_i32_e32 vcc, s8, v118
	s_or_b64 s[14:15], s[14:15], vcc
	s_and_b64 exec, exec, s[14:15]
	s_cbranch_execz .LBB57_10
; %bb.8:
	s_mov_b64 s[14:15], 0
	v_mov_b32_e32 v120, s8
.LBB57_9:                               ; =>This Inner Loop Header: Depth=1
	ds_cmpst_rtn_b32 v120, v117, v120, v118 offset:928
	s_waitcnt lgkmcnt(0)
	v_cmp_ne_u32_e32 vcc, 0, v120
	v_cmp_le_i32_e64 s[8:9], v120, v118
	s_and_b64 s[8:9], vcc, s[8:9]
	s_and_b64 s[8:9], exec, s[8:9]
	s_or_b64 s[14:15], s[8:9], s[14:15]
	s_andn2_b64 exec, exec, s[14:15]
	s_cbranch_execnz .LBB57_9
.LBB57_10:
	s_or_b64 exec, exec, s[12:13]
	v_mov_b32_e32 v118, 0
	; wave barrier
	ds_read_b32 v117, v118 offset:928
	s_and_saveexec_b64 s[8:9], s[4:5]
	s_cbranch_execz .LBB57_12
; %bb.11:
	s_lshl_b64 s[12:13], s[6:7], 2
	s_add_u32 s12, s10, s12
	s_addc_u32 s13, s11, s13
	s_waitcnt lgkmcnt(0)
	global_store_dword v118, v117, s[12:13]
.LBB57_12:
	s_or_b64 exec, exec, s[8:9]
	s_waitcnt lgkmcnt(0)
	v_cmp_ne_u32_e32 vcc, 0, v117
	s_mov_b64 s[8:9], 0
	s_cbranch_vccnz .LBB57_244
; %bb.13:
	buffer_load_dword v118, v121, s[0:3], 0 offen
	buffer_load_dword v120, v121, s[0:3], 0 offen offset:4
                                        ; implicit-def: $vgpr123
                                        ; implicit-def: $vgpr122
                                        ; implicit-def: $vgpr117
	s_waitcnt vmcnt(0)
	v_cmp_ngt_f32_e64 s[8:9], |v118|, |v120|
	s_and_saveexec_b64 s[12:13], s[8:9]
	s_xor_b64 s[8:9], exec, s[12:13]
	s_cbranch_execz .LBB57_15
; %bb.14:
	v_div_scale_f32 v1, s[12:13], v120, v120, v118
	v_div_scale_f32 v2, vcc, v118, v120, v118
	v_rcp_f32_e32 v3, v1
	v_fma_f32 v4, -v1, v3, 1.0
	v_fmac_f32_e32 v3, v4, v3
	v_mul_f32_e32 v4, v2, v3
	v_fma_f32 v5, -v1, v4, v2
	v_fmac_f32_e32 v4, v5, v3
	v_fma_f32 v1, -v1, v4, v2
	v_div_fmas_f32 v1, v1, v3, v4
	v_div_fixup_f32 v1, v1, v120, v118
	v_fmac_f32_e32 v120, v118, v1
	v_div_scale_f32 v2, s[12:13], v120, v120, 1.0
	v_div_scale_f32 v3, vcc, 1.0, v120, 1.0
                                        ; implicit-def: $vgpr118
	v_rcp_f32_e32 v4, v2
	v_fma_f32 v5, -v2, v4, 1.0
	v_fmac_f32_e32 v4, v5, v4
	v_mul_f32_e32 v5, v3, v4
	v_fma_f32 v6, -v2, v5, v3
	v_fmac_f32_e32 v5, v6, v4
	v_fma_f32 v2, -v2, v5, v3
	v_div_fmas_f32 v2, v2, v4, v5
	v_div_fixup_f32 v2, v2, v120, 1.0
	v_mul_f32_e32 v123, v1, v2
	v_xor_b32_e32 v122, 0x80000000, v2
	v_xor_b32_e32 v117, 0x80000000, v123
                                        ; implicit-def: $vgpr120
.LBB57_15:
	s_andn2_saveexec_b64 s[8:9], s[8:9]
	s_cbranch_execz .LBB57_17
; %bb.16:
	v_div_scale_f32 v1, s[12:13], v118, v118, v120
	v_div_scale_f32 v2, vcc, v120, v118, v120
	v_rcp_f32_e32 v3, v1
	v_fma_f32 v4, -v1, v3, 1.0
	v_fmac_f32_e32 v3, v4, v3
	v_mul_f32_e32 v4, v2, v3
	v_fma_f32 v5, -v1, v4, v2
	v_fmac_f32_e32 v4, v5, v3
	v_fma_f32 v1, -v1, v4, v2
	v_div_fmas_f32 v1, v1, v3, v4
	v_div_fixup_f32 v1, v1, v118, v120
	v_fmac_f32_e32 v118, v120, v1
	v_div_scale_f32 v2, s[12:13], v118, v118, 1.0
	v_div_scale_f32 v3, vcc, 1.0, v118, 1.0
	v_rcp_f32_e32 v4, v2
	v_fma_f32 v5, -v2, v4, 1.0
	v_fmac_f32_e32 v4, v5, v4
	v_mul_f32_e32 v5, v3, v4
	v_fma_f32 v6, -v2, v5, v3
	v_fmac_f32_e32 v5, v6, v4
	v_fma_f32 v2, -v2, v5, v3
	v_div_fmas_f32 v2, v2, v4, v5
	v_div_fixup_f32 v123, v2, v118, 1.0
	v_xor_b32_e32 v117, 0x80000000, v123
	v_mul_f32_e64 v122, v1, -v123
.LBB57_17:
	s_or_b64 exec, exec, s[8:9]
	buffer_store_dword v123, v121, s[0:3], 0 offen
	buffer_store_dword v122, v121, s[0:3], 0 offen offset:4
	buffer_load_dword v2, off, s[0:3], 0 offset:12
	buffer_load_dword v1, off, s[0:3], 0 offset:8
	v_xor_b32_e32 v118, 0x80000000, v122
	v_add_u32_e32 v120, 0x1d0, v119
	s_waitcnt vmcnt(0)
	ds_write2_b64 v119, v[117:118], v[1:2] offset1:58
	s_waitcnt lgkmcnt(0)
	; wave barrier
	s_and_saveexec_b64 s[8:9], s[4:5]
	s_cbranch_execz .LBB57_19
; %bb.18:
	buffer_load_dword v5, v121, s[0:3], 0 offen offset:4
	buffer_load_dword v6, v121, s[0:3], 0 offen
	ds_read_b64 v[1:2], v120
	v_mov_b32_e32 v3, 0
	ds_read_b64 v[3:4], v3 offset:8
	s_waitcnt vmcnt(1) lgkmcnt(1)
	v_mul_f32_e32 v7, v2, v5
	v_mul_f32_e32 v5, v1, v5
	s_waitcnt vmcnt(0)
	v_fmac_f32_e32 v5, v2, v6
	v_fma_f32 v1, v1, v6, -v7
	v_add_f32_e32 v2, 0, v5
	v_add_f32_e32 v1, 0, v1
	s_waitcnt lgkmcnt(0)
	v_mul_f32_e32 v5, v2, v4
	v_mul_f32_e32 v4, v1, v4
	v_fma_f32 v1, v1, v3, -v5
	v_fmac_f32_e32 v4, v2, v3
	buffer_store_dword v1, off, s[0:3], 0 offset:8
	buffer_store_dword v4, off, s[0:3], 0 offset:12
.LBB57_19:
	s_or_b64 exec, exec, s[8:9]
	; wave barrier
	buffer_load_dword v1, off, s[0:3], 0 offset:16
	buffer_load_dword v2, off, s[0:3], 0 offset:20
	v_cmp_gt_u32_e32 vcc, 2, v0
	s_waitcnt vmcnt(0)
	ds_write_b64 v120, v[1:2]
	s_waitcnt lgkmcnt(0)
	; wave barrier
	s_and_saveexec_b64 s[8:9], vcc
	s_cbranch_execz .LBB57_23
; %bb.20:
	buffer_load_dword v3, v121, s[0:3], 0 offen offset:4
	buffer_load_dword v4, v121, s[0:3], 0 offen
	ds_read_b64 v[1:2], v120
	s_waitcnt vmcnt(1) lgkmcnt(0)
	v_mul_f32_e32 v5, v2, v3
	v_mul_f32_e32 v3, v1, v3
	s_waitcnt vmcnt(0)
	v_fma_f32 v1, v1, v4, -v5
	v_fmac_f32_e32 v3, v2, v4
	v_add_f32_e32 v118, 0, v1
	v_add_f32_e32 v117, 0, v3
	s_and_saveexec_b64 s[12:13], s[4:5]
	s_cbranch_execz .LBB57_22
; %bb.21:
	buffer_load_dword v3, off, s[0:3], 0 offset:12
	buffer_load_dword v4, off, s[0:3], 0 offset:8
	v_mov_b32_e32 v1, 0
	ds_read_b64 v[1:2], v1 offset:472
	s_waitcnt vmcnt(1) lgkmcnt(0)
	v_mul_f32_e32 v5, v1, v3
	v_mul_f32_e32 v3, v2, v3
	s_waitcnt vmcnt(0)
	v_fmac_f32_e32 v5, v2, v4
	v_fma_f32 v1, v1, v4, -v3
	v_add_f32_e32 v117, v117, v5
	v_add_f32_e32 v118, v118, v1
.LBB57_22:
	s_or_b64 exec, exec, s[12:13]
	v_mov_b32_e32 v1, 0
	ds_read_b64 v[1:2], v1 offset:16
	s_waitcnt lgkmcnt(0)
	v_mul_f32_e32 v3, v117, v2
	v_mul_f32_e32 v2, v118, v2
	v_fma_f32 v3, v118, v1, -v3
	v_fmac_f32_e32 v2, v117, v1
	buffer_store_dword v3, off, s[0:3], 0 offset:16
	buffer_store_dword v2, off, s[0:3], 0 offset:20
.LBB57_23:
	s_or_b64 exec, exec, s[8:9]
	; wave barrier
	buffer_load_dword v1, off, s[0:3], 0 offset:24
	buffer_load_dword v2, off, s[0:3], 0 offset:28
	v_cmp_gt_u32_e32 vcc, 3, v0
	v_add_u32_e32 v117, -1, v0
	s_waitcnt vmcnt(0)
	ds_write_b64 v120, v[1:2]
	s_waitcnt lgkmcnt(0)
	; wave barrier
	s_and_saveexec_b64 s[4:5], vcc
	s_cbranch_execz .LBB57_27
; %bb.24:
	v_add_u32_e32 v121, -1, v0
	v_add_u32_e32 v122, 0x1d0, v119
	v_mov_b32_e32 v123, v119
	v_mov_b32_e32 v118, 0
	s_mov_b64 s[8:9], 0
	v_mov_b32_e32 v124, 0
.LBB57_25:                              ; =>This Inner Loop Header: Depth=1
	buffer_load_dword v3, v123, s[0:3], 0 offen offset:4
	buffer_load_dword v4, v123, s[0:3], 0 offen
	ds_read_b64 v[1:2], v122
	v_add_u32_e32 v121, 1, v121
	v_cmp_lt_u32_e32 vcc, 1, v121
	v_add_u32_e32 v122, 8, v122
	v_add_u32_e32 v123, 8, v123
	s_or_b64 s[8:9], vcc, s[8:9]
	s_waitcnt vmcnt(1) lgkmcnt(0)
	v_mul_f32_e32 v5, v2, v3
	v_mul_f32_e32 v3, v1, v3
	s_waitcnt vmcnt(0)
	v_fma_f32 v1, v1, v4, -v5
	v_fmac_f32_e32 v3, v2, v4
	v_add_f32_e32 v124, v124, v1
	v_add_f32_e32 v118, v118, v3
	s_andn2_b64 exec, exec, s[8:9]
	s_cbranch_execnz .LBB57_25
; %bb.26:
	s_or_b64 exec, exec, s[8:9]
	v_mov_b32_e32 v1, 0
	ds_read_b64 v[1:2], v1 offset:24
	s_waitcnt lgkmcnt(0)
	v_mul_f32_e32 v3, v118, v2
	v_mul_f32_e32 v2, v124, v2
	v_fma_f32 v3, v124, v1, -v3
	v_fmac_f32_e32 v2, v118, v1
	buffer_store_dword v3, off, s[0:3], 0 offset:24
	buffer_store_dword v2, off, s[0:3], 0 offset:28
.LBB57_27:
	s_or_b64 exec, exec, s[4:5]
	; wave barrier
	buffer_load_dword v1, off, s[0:3], 0 offset:32
	buffer_load_dword v2, off, s[0:3], 0 offset:36
	v_cmp_gt_u32_e32 vcc, 4, v0
	s_waitcnt vmcnt(0)
	ds_write_b64 v120, v[1:2]
	s_waitcnt lgkmcnt(0)
	; wave barrier
	s_and_saveexec_b64 s[4:5], vcc
	s_cbranch_execz .LBB57_31
; %bb.28:
	v_add_u32_e32 v121, -1, v0
	v_add_u32_e32 v122, 0x1d0, v119
	v_mov_b32_e32 v123, v119
	v_mov_b32_e32 v118, 0
	s_mov_b64 s[8:9], 0
	v_mov_b32_e32 v124, 0
.LBB57_29:                              ; =>This Inner Loop Header: Depth=1
	buffer_load_dword v3, v123, s[0:3], 0 offen offset:4
	buffer_load_dword v4, v123, s[0:3], 0 offen
	ds_read_b64 v[1:2], v122
	v_add_u32_e32 v121, 1, v121
	v_cmp_lt_u32_e32 vcc, 2, v121
	v_add_u32_e32 v122, 8, v122
	v_add_u32_e32 v123, 8, v123
	s_or_b64 s[8:9], vcc, s[8:9]
	s_waitcnt vmcnt(1) lgkmcnt(0)
	v_mul_f32_e32 v5, v2, v3
	v_mul_f32_e32 v3, v1, v3
	s_waitcnt vmcnt(0)
	v_fma_f32 v1, v1, v4, -v5
	v_fmac_f32_e32 v3, v2, v4
	v_add_f32_e32 v124, v124, v1
	v_add_f32_e32 v118, v118, v3
	s_andn2_b64 exec, exec, s[8:9]
	s_cbranch_execnz .LBB57_29
; %bb.30:
	s_or_b64 exec, exec, s[8:9]
	v_mov_b32_e32 v1, 0
	ds_read_b64 v[1:2], v1 offset:32
	s_waitcnt lgkmcnt(0)
	v_mul_f32_e32 v3, v118, v2
	v_mul_f32_e32 v2, v124, v2
	v_fma_f32 v3, v124, v1, -v3
	v_fmac_f32_e32 v2, v118, v1
	buffer_store_dword v3, off, s[0:3], 0 offset:32
	buffer_store_dword v2, off, s[0:3], 0 offset:36
.LBB57_31:
	s_or_b64 exec, exec, s[4:5]
	; wave barrier
	buffer_load_dword v1, off, s[0:3], 0 offset:40
	buffer_load_dword v2, off, s[0:3], 0 offset:44
	v_cmp_gt_u32_e32 vcc, 5, v0
	s_waitcnt vmcnt(0)
	ds_write_b64 v120, v[1:2]
	s_waitcnt lgkmcnt(0)
	; wave barrier
	s_and_saveexec_b64 s[4:5], vcc
	s_cbranch_execz .LBB57_35
; %bb.32:
	v_add_u32_e32 v121, -1, v0
	v_add_u32_e32 v122, 0x1d0, v119
	v_mov_b32_e32 v123, v119
	v_mov_b32_e32 v118, 0
	s_mov_b64 s[8:9], 0
	v_mov_b32_e32 v124, 0
.LBB57_33:                              ; =>This Inner Loop Header: Depth=1
	buffer_load_dword v3, v123, s[0:3], 0 offen offset:4
	buffer_load_dword v4, v123, s[0:3], 0 offen
	ds_read_b64 v[1:2], v122
	v_add_u32_e32 v121, 1, v121
	v_cmp_lt_u32_e32 vcc, 3, v121
	v_add_u32_e32 v122, 8, v122
	v_add_u32_e32 v123, 8, v123
	s_or_b64 s[8:9], vcc, s[8:9]
	s_waitcnt vmcnt(1) lgkmcnt(0)
	v_mul_f32_e32 v5, v2, v3
	v_mul_f32_e32 v3, v1, v3
	s_waitcnt vmcnt(0)
	v_fma_f32 v1, v1, v4, -v5
	v_fmac_f32_e32 v3, v2, v4
	v_add_f32_e32 v124, v124, v1
	v_add_f32_e32 v118, v118, v3
	s_andn2_b64 exec, exec, s[8:9]
	s_cbranch_execnz .LBB57_33
; %bb.34:
	s_or_b64 exec, exec, s[8:9]
	v_mov_b32_e32 v1, 0
	ds_read_b64 v[1:2], v1 offset:40
	s_waitcnt lgkmcnt(0)
	v_mul_f32_e32 v3, v118, v2
	v_mul_f32_e32 v2, v124, v2
	v_fma_f32 v3, v124, v1, -v3
	v_fmac_f32_e32 v2, v118, v1
	buffer_store_dword v3, off, s[0:3], 0 offset:40
	buffer_store_dword v2, off, s[0:3], 0 offset:44
.LBB57_35:
	s_or_b64 exec, exec, s[4:5]
	; wave barrier
	buffer_load_dword v1, off, s[0:3], 0 offset:48
	buffer_load_dword v2, off, s[0:3], 0 offset:52
	v_cmp_gt_u32_e32 vcc, 6, v0
	s_waitcnt vmcnt(0)
	ds_write_b64 v120, v[1:2]
	s_waitcnt lgkmcnt(0)
	; wave barrier
	s_and_saveexec_b64 s[4:5], vcc
	s_cbranch_execz .LBB57_39
; %bb.36:
	v_add_u32_e32 v121, -1, v0
	v_add_u32_e32 v122, 0x1d0, v119
	v_mov_b32_e32 v123, v119
	v_mov_b32_e32 v118, 0
	s_mov_b64 s[8:9], 0
	v_mov_b32_e32 v124, 0
.LBB57_37:                              ; =>This Inner Loop Header: Depth=1
	buffer_load_dword v3, v123, s[0:3], 0 offen offset:4
	buffer_load_dword v4, v123, s[0:3], 0 offen
	ds_read_b64 v[1:2], v122
	v_add_u32_e32 v121, 1, v121
	v_cmp_lt_u32_e32 vcc, 4, v121
	v_add_u32_e32 v122, 8, v122
	v_add_u32_e32 v123, 8, v123
	s_or_b64 s[8:9], vcc, s[8:9]
	s_waitcnt vmcnt(1) lgkmcnt(0)
	v_mul_f32_e32 v5, v2, v3
	v_mul_f32_e32 v3, v1, v3
	s_waitcnt vmcnt(0)
	v_fma_f32 v1, v1, v4, -v5
	v_fmac_f32_e32 v3, v2, v4
	v_add_f32_e32 v124, v124, v1
	v_add_f32_e32 v118, v118, v3
	s_andn2_b64 exec, exec, s[8:9]
	s_cbranch_execnz .LBB57_37
; %bb.38:
	s_or_b64 exec, exec, s[8:9]
	v_mov_b32_e32 v1, 0
	ds_read_b64 v[1:2], v1 offset:48
	s_waitcnt lgkmcnt(0)
	v_mul_f32_e32 v3, v118, v2
	v_mul_f32_e32 v2, v124, v2
	v_fma_f32 v3, v124, v1, -v3
	v_fmac_f32_e32 v2, v118, v1
	buffer_store_dword v3, off, s[0:3], 0 offset:48
	buffer_store_dword v2, off, s[0:3], 0 offset:52
.LBB57_39:
	s_or_b64 exec, exec, s[4:5]
	; wave barrier
	buffer_load_dword v1, off, s[0:3], 0 offset:56
	buffer_load_dword v2, off, s[0:3], 0 offset:60
	v_cmp_gt_u32_e32 vcc, 7, v0
	s_waitcnt vmcnt(0)
	ds_write_b64 v120, v[1:2]
	s_waitcnt lgkmcnt(0)
	; wave barrier
	s_and_saveexec_b64 s[4:5], vcc
	s_cbranch_execz .LBB57_43
; %bb.40:
	v_add_u32_e32 v121, -1, v0
	v_add_u32_e32 v122, 0x1d0, v119
	v_mov_b32_e32 v123, v119
	v_mov_b32_e32 v118, 0
	s_mov_b64 s[8:9], 0
	v_mov_b32_e32 v124, 0
.LBB57_41:                              ; =>This Inner Loop Header: Depth=1
	buffer_load_dword v3, v123, s[0:3], 0 offen offset:4
	buffer_load_dword v4, v123, s[0:3], 0 offen
	ds_read_b64 v[1:2], v122
	v_add_u32_e32 v121, 1, v121
	v_cmp_lt_u32_e32 vcc, 5, v121
	v_add_u32_e32 v122, 8, v122
	v_add_u32_e32 v123, 8, v123
	s_or_b64 s[8:9], vcc, s[8:9]
	s_waitcnt vmcnt(1) lgkmcnt(0)
	v_mul_f32_e32 v5, v2, v3
	v_mul_f32_e32 v3, v1, v3
	s_waitcnt vmcnt(0)
	v_fma_f32 v1, v1, v4, -v5
	v_fmac_f32_e32 v3, v2, v4
	v_add_f32_e32 v124, v124, v1
	v_add_f32_e32 v118, v118, v3
	s_andn2_b64 exec, exec, s[8:9]
	s_cbranch_execnz .LBB57_41
; %bb.42:
	s_or_b64 exec, exec, s[8:9]
	v_mov_b32_e32 v1, 0
	ds_read_b64 v[1:2], v1 offset:56
	s_waitcnt lgkmcnt(0)
	v_mul_f32_e32 v3, v118, v2
	v_mul_f32_e32 v2, v124, v2
	v_fma_f32 v3, v124, v1, -v3
	v_fmac_f32_e32 v2, v118, v1
	buffer_store_dword v3, off, s[0:3], 0 offset:56
	buffer_store_dword v2, off, s[0:3], 0 offset:60
.LBB57_43:
	s_or_b64 exec, exec, s[4:5]
	; wave barrier
	buffer_load_dword v1, off, s[0:3], 0 offset:64
	buffer_load_dword v2, off, s[0:3], 0 offset:68
	v_cmp_gt_u32_e32 vcc, 8, v0
	s_waitcnt vmcnt(0)
	ds_write_b64 v120, v[1:2]
	s_waitcnt lgkmcnt(0)
	; wave barrier
	s_and_saveexec_b64 s[4:5], vcc
	s_cbranch_execz .LBB57_47
; %bb.44:
	v_add_u32_e32 v121, -1, v0
	v_add_u32_e32 v122, 0x1d0, v119
	v_mov_b32_e32 v123, v119
	v_mov_b32_e32 v118, 0
	s_mov_b64 s[8:9], 0
	v_mov_b32_e32 v124, 0
.LBB57_45:                              ; =>This Inner Loop Header: Depth=1
	buffer_load_dword v3, v123, s[0:3], 0 offen offset:4
	buffer_load_dword v4, v123, s[0:3], 0 offen
	ds_read_b64 v[1:2], v122
	v_add_u32_e32 v121, 1, v121
	v_cmp_lt_u32_e32 vcc, 6, v121
	v_add_u32_e32 v122, 8, v122
	v_add_u32_e32 v123, 8, v123
	s_or_b64 s[8:9], vcc, s[8:9]
	s_waitcnt vmcnt(1) lgkmcnt(0)
	v_mul_f32_e32 v5, v2, v3
	v_mul_f32_e32 v3, v1, v3
	s_waitcnt vmcnt(0)
	v_fma_f32 v1, v1, v4, -v5
	v_fmac_f32_e32 v3, v2, v4
	v_add_f32_e32 v124, v124, v1
	v_add_f32_e32 v118, v118, v3
	s_andn2_b64 exec, exec, s[8:9]
	s_cbranch_execnz .LBB57_45
; %bb.46:
	s_or_b64 exec, exec, s[8:9]
	v_mov_b32_e32 v1, 0
	ds_read_b64 v[1:2], v1 offset:64
	s_waitcnt lgkmcnt(0)
	v_mul_f32_e32 v3, v118, v2
	v_mul_f32_e32 v2, v124, v2
	v_fma_f32 v3, v124, v1, -v3
	v_fmac_f32_e32 v2, v118, v1
	buffer_store_dword v3, off, s[0:3], 0 offset:64
	buffer_store_dword v2, off, s[0:3], 0 offset:68
.LBB57_47:
	s_or_b64 exec, exec, s[4:5]
	; wave barrier
	buffer_load_dword v1, off, s[0:3], 0 offset:72
	buffer_load_dword v2, off, s[0:3], 0 offset:76
	v_cmp_gt_u32_e32 vcc, 9, v0
	s_waitcnt vmcnt(0)
	ds_write_b64 v120, v[1:2]
	s_waitcnt lgkmcnt(0)
	; wave barrier
	s_and_saveexec_b64 s[4:5], vcc
	s_cbranch_execz .LBB57_51
; %bb.48:
	v_add_u32_e32 v121, -1, v0
	v_add_u32_e32 v122, 0x1d0, v119
	v_mov_b32_e32 v123, v119
	v_mov_b32_e32 v118, 0
	s_mov_b64 s[8:9], 0
	v_mov_b32_e32 v124, 0
.LBB57_49:                              ; =>This Inner Loop Header: Depth=1
	buffer_load_dword v3, v123, s[0:3], 0 offen offset:4
	buffer_load_dword v4, v123, s[0:3], 0 offen
	ds_read_b64 v[1:2], v122
	v_add_u32_e32 v121, 1, v121
	v_cmp_lt_u32_e32 vcc, 7, v121
	v_add_u32_e32 v122, 8, v122
	v_add_u32_e32 v123, 8, v123
	s_or_b64 s[8:9], vcc, s[8:9]
	s_waitcnt vmcnt(1) lgkmcnt(0)
	v_mul_f32_e32 v5, v2, v3
	v_mul_f32_e32 v3, v1, v3
	s_waitcnt vmcnt(0)
	v_fma_f32 v1, v1, v4, -v5
	v_fmac_f32_e32 v3, v2, v4
	v_add_f32_e32 v124, v124, v1
	v_add_f32_e32 v118, v118, v3
	s_andn2_b64 exec, exec, s[8:9]
	s_cbranch_execnz .LBB57_49
; %bb.50:
	s_or_b64 exec, exec, s[8:9]
	v_mov_b32_e32 v1, 0
	ds_read_b64 v[1:2], v1 offset:72
	s_waitcnt lgkmcnt(0)
	v_mul_f32_e32 v3, v118, v2
	v_mul_f32_e32 v2, v124, v2
	v_fma_f32 v3, v124, v1, -v3
	v_fmac_f32_e32 v2, v118, v1
	buffer_store_dword v3, off, s[0:3], 0 offset:72
	buffer_store_dword v2, off, s[0:3], 0 offset:76
.LBB57_51:
	s_or_b64 exec, exec, s[4:5]
	; wave barrier
	buffer_load_dword v1, off, s[0:3], 0 offset:80
	buffer_load_dword v2, off, s[0:3], 0 offset:84
	v_cmp_gt_u32_e32 vcc, 10, v0
	s_waitcnt vmcnt(0)
	ds_write_b64 v120, v[1:2]
	s_waitcnt lgkmcnt(0)
	; wave barrier
	s_and_saveexec_b64 s[4:5], vcc
	s_cbranch_execz .LBB57_55
; %bb.52:
	v_add_u32_e32 v121, -1, v0
	v_add_u32_e32 v122, 0x1d0, v119
	v_mov_b32_e32 v123, v119
	v_mov_b32_e32 v118, 0
	s_mov_b64 s[8:9], 0
	v_mov_b32_e32 v124, 0
.LBB57_53:                              ; =>This Inner Loop Header: Depth=1
	buffer_load_dword v3, v123, s[0:3], 0 offen offset:4
	buffer_load_dword v4, v123, s[0:3], 0 offen
	ds_read_b64 v[1:2], v122
	v_add_u32_e32 v121, 1, v121
	v_cmp_lt_u32_e32 vcc, 8, v121
	v_add_u32_e32 v122, 8, v122
	v_add_u32_e32 v123, 8, v123
	s_or_b64 s[8:9], vcc, s[8:9]
	s_waitcnt vmcnt(1) lgkmcnt(0)
	v_mul_f32_e32 v5, v2, v3
	v_mul_f32_e32 v3, v1, v3
	s_waitcnt vmcnt(0)
	v_fma_f32 v1, v1, v4, -v5
	v_fmac_f32_e32 v3, v2, v4
	v_add_f32_e32 v124, v124, v1
	v_add_f32_e32 v118, v118, v3
	s_andn2_b64 exec, exec, s[8:9]
	s_cbranch_execnz .LBB57_53
; %bb.54:
	s_or_b64 exec, exec, s[8:9]
	v_mov_b32_e32 v1, 0
	ds_read_b64 v[1:2], v1 offset:80
	s_waitcnt lgkmcnt(0)
	v_mul_f32_e32 v3, v118, v2
	v_mul_f32_e32 v2, v124, v2
	v_fma_f32 v3, v124, v1, -v3
	v_fmac_f32_e32 v2, v118, v1
	buffer_store_dword v3, off, s[0:3], 0 offset:80
	buffer_store_dword v2, off, s[0:3], 0 offset:84
.LBB57_55:
	s_or_b64 exec, exec, s[4:5]
	; wave barrier
	buffer_load_dword v1, off, s[0:3], 0 offset:88
	buffer_load_dword v2, off, s[0:3], 0 offset:92
	v_cmp_gt_u32_e32 vcc, 11, v0
	s_waitcnt vmcnt(0)
	ds_write_b64 v120, v[1:2]
	s_waitcnt lgkmcnt(0)
	; wave barrier
	s_and_saveexec_b64 s[4:5], vcc
	s_cbranch_execz .LBB57_59
; %bb.56:
	v_add_u32_e32 v121, -1, v0
	v_add_u32_e32 v122, 0x1d0, v119
	v_mov_b32_e32 v123, v119
	v_mov_b32_e32 v118, 0
	s_mov_b64 s[8:9], 0
	v_mov_b32_e32 v124, 0
.LBB57_57:                              ; =>This Inner Loop Header: Depth=1
	buffer_load_dword v3, v123, s[0:3], 0 offen offset:4
	buffer_load_dword v4, v123, s[0:3], 0 offen
	ds_read_b64 v[1:2], v122
	v_add_u32_e32 v121, 1, v121
	v_cmp_lt_u32_e32 vcc, 9, v121
	v_add_u32_e32 v122, 8, v122
	v_add_u32_e32 v123, 8, v123
	s_or_b64 s[8:9], vcc, s[8:9]
	s_waitcnt vmcnt(1) lgkmcnt(0)
	v_mul_f32_e32 v5, v2, v3
	v_mul_f32_e32 v3, v1, v3
	s_waitcnt vmcnt(0)
	v_fma_f32 v1, v1, v4, -v5
	v_fmac_f32_e32 v3, v2, v4
	v_add_f32_e32 v124, v124, v1
	v_add_f32_e32 v118, v118, v3
	s_andn2_b64 exec, exec, s[8:9]
	s_cbranch_execnz .LBB57_57
; %bb.58:
	s_or_b64 exec, exec, s[8:9]
	v_mov_b32_e32 v1, 0
	ds_read_b64 v[1:2], v1 offset:88
	s_waitcnt lgkmcnt(0)
	v_mul_f32_e32 v3, v118, v2
	v_mul_f32_e32 v2, v124, v2
	v_fma_f32 v3, v124, v1, -v3
	v_fmac_f32_e32 v2, v118, v1
	buffer_store_dword v3, off, s[0:3], 0 offset:88
	buffer_store_dword v2, off, s[0:3], 0 offset:92
.LBB57_59:
	s_or_b64 exec, exec, s[4:5]
	; wave barrier
	buffer_load_dword v1, off, s[0:3], 0 offset:96
	buffer_load_dword v2, off, s[0:3], 0 offset:100
	v_cmp_gt_u32_e32 vcc, 12, v0
	s_waitcnt vmcnt(0)
	ds_write_b64 v120, v[1:2]
	s_waitcnt lgkmcnt(0)
	; wave barrier
	s_and_saveexec_b64 s[4:5], vcc
	s_cbranch_execz .LBB57_63
; %bb.60:
	v_add_u32_e32 v121, -1, v0
	v_add_u32_e32 v122, 0x1d0, v119
	v_mov_b32_e32 v123, v119
	v_mov_b32_e32 v118, 0
	s_mov_b64 s[8:9], 0
	v_mov_b32_e32 v124, 0
.LBB57_61:                              ; =>This Inner Loop Header: Depth=1
	buffer_load_dword v3, v123, s[0:3], 0 offen offset:4
	buffer_load_dword v4, v123, s[0:3], 0 offen
	ds_read_b64 v[1:2], v122
	v_add_u32_e32 v121, 1, v121
	v_cmp_lt_u32_e32 vcc, 10, v121
	v_add_u32_e32 v122, 8, v122
	v_add_u32_e32 v123, 8, v123
	s_or_b64 s[8:9], vcc, s[8:9]
	s_waitcnt vmcnt(1) lgkmcnt(0)
	v_mul_f32_e32 v5, v2, v3
	v_mul_f32_e32 v3, v1, v3
	s_waitcnt vmcnt(0)
	v_fma_f32 v1, v1, v4, -v5
	v_fmac_f32_e32 v3, v2, v4
	v_add_f32_e32 v124, v124, v1
	v_add_f32_e32 v118, v118, v3
	s_andn2_b64 exec, exec, s[8:9]
	s_cbranch_execnz .LBB57_61
; %bb.62:
	s_or_b64 exec, exec, s[8:9]
	v_mov_b32_e32 v1, 0
	ds_read_b64 v[1:2], v1 offset:96
	s_waitcnt lgkmcnt(0)
	v_mul_f32_e32 v3, v118, v2
	v_mul_f32_e32 v2, v124, v2
	v_fma_f32 v3, v124, v1, -v3
	v_fmac_f32_e32 v2, v118, v1
	buffer_store_dword v3, off, s[0:3], 0 offset:96
	buffer_store_dword v2, off, s[0:3], 0 offset:100
.LBB57_63:
	s_or_b64 exec, exec, s[4:5]
	; wave barrier
	buffer_load_dword v1, off, s[0:3], 0 offset:104
	buffer_load_dword v2, off, s[0:3], 0 offset:108
	v_cmp_gt_u32_e32 vcc, 13, v0
	s_waitcnt vmcnt(0)
	ds_write_b64 v120, v[1:2]
	s_waitcnt lgkmcnt(0)
	; wave barrier
	s_and_saveexec_b64 s[4:5], vcc
	s_cbranch_execz .LBB57_67
; %bb.64:
	v_add_u32_e32 v121, -1, v0
	v_add_u32_e32 v122, 0x1d0, v119
	v_mov_b32_e32 v123, v119
	v_mov_b32_e32 v118, 0
	s_mov_b64 s[8:9], 0
	v_mov_b32_e32 v124, 0
.LBB57_65:                              ; =>This Inner Loop Header: Depth=1
	buffer_load_dword v3, v123, s[0:3], 0 offen offset:4
	buffer_load_dword v4, v123, s[0:3], 0 offen
	ds_read_b64 v[1:2], v122
	v_add_u32_e32 v121, 1, v121
	v_cmp_lt_u32_e32 vcc, 11, v121
	v_add_u32_e32 v122, 8, v122
	v_add_u32_e32 v123, 8, v123
	s_or_b64 s[8:9], vcc, s[8:9]
	s_waitcnt vmcnt(1) lgkmcnt(0)
	v_mul_f32_e32 v5, v2, v3
	v_mul_f32_e32 v3, v1, v3
	s_waitcnt vmcnt(0)
	v_fma_f32 v1, v1, v4, -v5
	v_fmac_f32_e32 v3, v2, v4
	v_add_f32_e32 v124, v124, v1
	v_add_f32_e32 v118, v118, v3
	s_andn2_b64 exec, exec, s[8:9]
	s_cbranch_execnz .LBB57_65
; %bb.66:
	s_or_b64 exec, exec, s[8:9]
	v_mov_b32_e32 v1, 0
	ds_read_b64 v[1:2], v1 offset:104
	s_waitcnt lgkmcnt(0)
	v_mul_f32_e32 v3, v118, v2
	v_mul_f32_e32 v2, v124, v2
	v_fma_f32 v3, v124, v1, -v3
	v_fmac_f32_e32 v2, v118, v1
	buffer_store_dword v3, off, s[0:3], 0 offset:104
	buffer_store_dword v2, off, s[0:3], 0 offset:108
.LBB57_67:
	s_or_b64 exec, exec, s[4:5]
	; wave barrier
	buffer_load_dword v1, off, s[0:3], 0 offset:112
	buffer_load_dword v2, off, s[0:3], 0 offset:116
	v_cmp_gt_u32_e32 vcc, 14, v0
	s_waitcnt vmcnt(0)
	ds_write_b64 v120, v[1:2]
	s_waitcnt lgkmcnt(0)
	; wave barrier
	s_and_saveexec_b64 s[4:5], vcc
	s_cbranch_execz .LBB57_71
; %bb.68:
	v_add_u32_e32 v121, -1, v0
	v_add_u32_e32 v122, 0x1d0, v119
	v_mov_b32_e32 v123, v119
	v_mov_b32_e32 v118, 0
	s_mov_b64 s[8:9], 0
	v_mov_b32_e32 v124, 0
.LBB57_69:                              ; =>This Inner Loop Header: Depth=1
	buffer_load_dword v3, v123, s[0:3], 0 offen offset:4
	buffer_load_dword v4, v123, s[0:3], 0 offen
	ds_read_b64 v[1:2], v122
	v_add_u32_e32 v121, 1, v121
	v_cmp_lt_u32_e32 vcc, 12, v121
	v_add_u32_e32 v122, 8, v122
	v_add_u32_e32 v123, 8, v123
	s_or_b64 s[8:9], vcc, s[8:9]
	s_waitcnt vmcnt(1) lgkmcnt(0)
	v_mul_f32_e32 v5, v2, v3
	v_mul_f32_e32 v3, v1, v3
	s_waitcnt vmcnt(0)
	v_fma_f32 v1, v1, v4, -v5
	v_fmac_f32_e32 v3, v2, v4
	v_add_f32_e32 v124, v124, v1
	v_add_f32_e32 v118, v118, v3
	s_andn2_b64 exec, exec, s[8:9]
	s_cbranch_execnz .LBB57_69
; %bb.70:
	s_or_b64 exec, exec, s[8:9]
	v_mov_b32_e32 v1, 0
	ds_read_b64 v[1:2], v1 offset:112
	s_waitcnt lgkmcnt(0)
	v_mul_f32_e32 v3, v118, v2
	v_mul_f32_e32 v2, v124, v2
	v_fma_f32 v3, v124, v1, -v3
	v_fmac_f32_e32 v2, v118, v1
	buffer_store_dword v3, off, s[0:3], 0 offset:112
	buffer_store_dword v2, off, s[0:3], 0 offset:116
.LBB57_71:
	s_or_b64 exec, exec, s[4:5]
	; wave barrier
	buffer_load_dword v1, off, s[0:3], 0 offset:120
	buffer_load_dword v2, off, s[0:3], 0 offset:124
	v_cmp_gt_u32_e32 vcc, 15, v0
	s_waitcnt vmcnt(0)
	ds_write_b64 v120, v[1:2]
	s_waitcnt lgkmcnt(0)
	; wave barrier
	s_and_saveexec_b64 s[4:5], vcc
	s_cbranch_execz .LBB57_75
; %bb.72:
	v_add_u32_e32 v121, -1, v0
	v_add_u32_e32 v122, 0x1d0, v119
	v_mov_b32_e32 v123, v119
	v_mov_b32_e32 v118, 0
	s_mov_b64 s[8:9], 0
	v_mov_b32_e32 v124, 0
.LBB57_73:                              ; =>This Inner Loop Header: Depth=1
	buffer_load_dword v3, v123, s[0:3], 0 offen offset:4
	buffer_load_dword v4, v123, s[0:3], 0 offen
	ds_read_b64 v[1:2], v122
	v_add_u32_e32 v121, 1, v121
	v_cmp_lt_u32_e32 vcc, 13, v121
	v_add_u32_e32 v122, 8, v122
	v_add_u32_e32 v123, 8, v123
	s_or_b64 s[8:9], vcc, s[8:9]
	s_waitcnt vmcnt(1) lgkmcnt(0)
	v_mul_f32_e32 v5, v2, v3
	v_mul_f32_e32 v3, v1, v3
	s_waitcnt vmcnt(0)
	v_fma_f32 v1, v1, v4, -v5
	v_fmac_f32_e32 v3, v2, v4
	v_add_f32_e32 v124, v124, v1
	v_add_f32_e32 v118, v118, v3
	s_andn2_b64 exec, exec, s[8:9]
	s_cbranch_execnz .LBB57_73
; %bb.74:
	s_or_b64 exec, exec, s[8:9]
	v_mov_b32_e32 v1, 0
	ds_read_b64 v[1:2], v1 offset:120
	s_waitcnt lgkmcnt(0)
	v_mul_f32_e32 v3, v118, v2
	v_mul_f32_e32 v2, v124, v2
	v_fma_f32 v3, v124, v1, -v3
	v_fmac_f32_e32 v2, v118, v1
	buffer_store_dword v3, off, s[0:3], 0 offset:120
	buffer_store_dword v2, off, s[0:3], 0 offset:124
.LBB57_75:
	s_or_b64 exec, exec, s[4:5]
	; wave barrier
	buffer_load_dword v1, off, s[0:3], 0 offset:128
	buffer_load_dword v2, off, s[0:3], 0 offset:132
	v_cmp_gt_u32_e32 vcc, 16, v0
	s_waitcnt vmcnt(0)
	ds_write_b64 v120, v[1:2]
	s_waitcnt lgkmcnt(0)
	; wave barrier
	s_and_saveexec_b64 s[4:5], vcc
	s_cbranch_execz .LBB57_79
; %bb.76:
	v_add_u32_e32 v121, -1, v0
	v_add_u32_e32 v122, 0x1d0, v119
	v_mov_b32_e32 v123, v119
	v_mov_b32_e32 v118, 0
	s_mov_b64 s[8:9], 0
	v_mov_b32_e32 v124, 0
.LBB57_77:                              ; =>This Inner Loop Header: Depth=1
	buffer_load_dword v3, v123, s[0:3], 0 offen offset:4
	buffer_load_dword v4, v123, s[0:3], 0 offen
	ds_read_b64 v[1:2], v122
	v_add_u32_e32 v121, 1, v121
	v_cmp_lt_u32_e32 vcc, 14, v121
	v_add_u32_e32 v122, 8, v122
	v_add_u32_e32 v123, 8, v123
	s_or_b64 s[8:9], vcc, s[8:9]
	s_waitcnt vmcnt(1) lgkmcnt(0)
	v_mul_f32_e32 v5, v2, v3
	v_mul_f32_e32 v3, v1, v3
	s_waitcnt vmcnt(0)
	v_fma_f32 v1, v1, v4, -v5
	v_fmac_f32_e32 v3, v2, v4
	v_add_f32_e32 v124, v124, v1
	v_add_f32_e32 v118, v118, v3
	s_andn2_b64 exec, exec, s[8:9]
	s_cbranch_execnz .LBB57_77
; %bb.78:
	s_or_b64 exec, exec, s[8:9]
	v_mov_b32_e32 v1, 0
	ds_read_b64 v[1:2], v1 offset:128
	s_waitcnt lgkmcnt(0)
	v_mul_f32_e32 v3, v118, v2
	v_mul_f32_e32 v2, v124, v2
	v_fma_f32 v3, v124, v1, -v3
	v_fmac_f32_e32 v2, v118, v1
	buffer_store_dword v3, off, s[0:3], 0 offset:128
	buffer_store_dword v2, off, s[0:3], 0 offset:132
.LBB57_79:
	s_or_b64 exec, exec, s[4:5]
	; wave barrier
	buffer_load_dword v1, off, s[0:3], 0 offset:136
	buffer_load_dword v2, off, s[0:3], 0 offset:140
	v_cmp_gt_u32_e32 vcc, 17, v0
	s_waitcnt vmcnt(0)
	ds_write_b64 v120, v[1:2]
	s_waitcnt lgkmcnt(0)
	; wave barrier
	s_and_saveexec_b64 s[4:5], vcc
	s_cbranch_execz .LBB57_83
; %bb.80:
	v_add_u32_e32 v121, -1, v0
	v_add_u32_e32 v122, 0x1d0, v119
	v_mov_b32_e32 v123, v119
	v_mov_b32_e32 v118, 0
	s_mov_b64 s[8:9], 0
	v_mov_b32_e32 v124, 0
.LBB57_81:                              ; =>This Inner Loop Header: Depth=1
	buffer_load_dword v3, v123, s[0:3], 0 offen offset:4
	buffer_load_dword v4, v123, s[0:3], 0 offen
	ds_read_b64 v[1:2], v122
	v_add_u32_e32 v121, 1, v121
	v_cmp_lt_u32_e32 vcc, 15, v121
	v_add_u32_e32 v122, 8, v122
	v_add_u32_e32 v123, 8, v123
	s_or_b64 s[8:9], vcc, s[8:9]
	s_waitcnt vmcnt(1) lgkmcnt(0)
	v_mul_f32_e32 v5, v2, v3
	v_mul_f32_e32 v3, v1, v3
	s_waitcnt vmcnt(0)
	v_fma_f32 v1, v1, v4, -v5
	v_fmac_f32_e32 v3, v2, v4
	v_add_f32_e32 v124, v124, v1
	v_add_f32_e32 v118, v118, v3
	s_andn2_b64 exec, exec, s[8:9]
	s_cbranch_execnz .LBB57_81
; %bb.82:
	s_or_b64 exec, exec, s[8:9]
	v_mov_b32_e32 v1, 0
	ds_read_b64 v[1:2], v1 offset:136
	s_waitcnt lgkmcnt(0)
	v_mul_f32_e32 v3, v118, v2
	v_mul_f32_e32 v2, v124, v2
	v_fma_f32 v3, v124, v1, -v3
	v_fmac_f32_e32 v2, v118, v1
	buffer_store_dword v3, off, s[0:3], 0 offset:136
	buffer_store_dword v2, off, s[0:3], 0 offset:140
.LBB57_83:
	s_or_b64 exec, exec, s[4:5]
	; wave barrier
	buffer_load_dword v1, off, s[0:3], 0 offset:144
	buffer_load_dword v2, off, s[0:3], 0 offset:148
	v_cmp_gt_u32_e32 vcc, 18, v0
	s_waitcnt vmcnt(0)
	ds_write_b64 v120, v[1:2]
	s_waitcnt lgkmcnt(0)
	; wave barrier
	s_and_saveexec_b64 s[4:5], vcc
	s_cbranch_execz .LBB57_87
; %bb.84:
	v_add_u32_e32 v121, -1, v0
	v_add_u32_e32 v122, 0x1d0, v119
	v_mov_b32_e32 v123, v119
	v_mov_b32_e32 v118, 0
	s_mov_b64 s[8:9], 0
	v_mov_b32_e32 v124, 0
.LBB57_85:                              ; =>This Inner Loop Header: Depth=1
	buffer_load_dword v3, v123, s[0:3], 0 offen offset:4
	buffer_load_dword v4, v123, s[0:3], 0 offen
	ds_read_b64 v[1:2], v122
	v_add_u32_e32 v121, 1, v121
	v_cmp_lt_u32_e32 vcc, 16, v121
	v_add_u32_e32 v122, 8, v122
	v_add_u32_e32 v123, 8, v123
	s_or_b64 s[8:9], vcc, s[8:9]
	s_waitcnt vmcnt(1) lgkmcnt(0)
	v_mul_f32_e32 v5, v2, v3
	v_mul_f32_e32 v3, v1, v3
	s_waitcnt vmcnt(0)
	v_fma_f32 v1, v1, v4, -v5
	v_fmac_f32_e32 v3, v2, v4
	v_add_f32_e32 v124, v124, v1
	v_add_f32_e32 v118, v118, v3
	s_andn2_b64 exec, exec, s[8:9]
	s_cbranch_execnz .LBB57_85
; %bb.86:
	s_or_b64 exec, exec, s[8:9]
	v_mov_b32_e32 v1, 0
	ds_read_b64 v[1:2], v1 offset:144
	s_waitcnt lgkmcnt(0)
	v_mul_f32_e32 v3, v118, v2
	v_mul_f32_e32 v2, v124, v2
	v_fma_f32 v3, v124, v1, -v3
	v_fmac_f32_e32 v2, v118, v1
	buffer_store_dword v3, off, s[0:3], 0 offset:144
	buffer_store_dword v2, off, s[0:3], 0 offset:148
.LBB57_87:
	s_or_b64 exec, exec, s[4:5]
	; wave barrier
	buffer_load_dword v1, off, s[0:3], 0 offset:152
	buffer_load_dword v2, off, s[0:3], 0 offset:156
	v_cmp_gt_u32_e32 vcc, 19, v0
	s_waitcnt vmcnt(0)
	ds_write_b64 v120, v[1:2]
	s_waitcnt lgkmcnt(0)
	; wave barrier
	s_and_saveexec_b64 s[4:5], vcc
	s_cbranch_execz .LBB57_91
; %bb.88:
	v_add_u32_e32 v121, -1, v0
	v_add_u32_e32 v122, 0x1d0, v119
	v_mov_b32_e32 v123, v119
	v_mov_b32_e32 v118, 0
	s_mov_b64 s[8:9], 0
	v_mov_b32_e32 v124, 0
.LBB57_89:                              ; =>This Inner Loop Header: Depth=1
	buffer_load_dword v3, v123, s[0:3], 0 offen offset:4
	buffer_load_dword v4, v123, s[0:3], 0 offen
	ds_read_b64 v[1:2], v122
	v_add_u32_e32 v121, 1, v121
	v_cmp_lt_u32_e32 vcc, 17, v121
	v_add_u32_e32 v122, 8, v122
	v_add_u32_e32 v123, 8, v123
	s_or_b64 s[8:9], vcc, s[8:9]
	s_waitcnt vmcnt(1) lgkmcnt(0)
	v_mul_f32_e32 v5, v2, v3
	v_mul_f32_e32 v3, v1, v3
	s_waitcnt vmcnt(0)
	v_fma_f32 v1, v1, v4, -v5
	v_fmac_f32_e32 v3, v2, v4
	v_add_f32_e32 v124, v124, v1
	v_add_f32_e32 v118, v118, v3
	s_andn2_b64 exec, exec, s[8:9]
	s_cbranch_execnz .LBB57_89
; %bb.90:
	s_or_b64 exec, exec, s[8:9]
	v_mov_b32_e32 v1, 0
	ds_read_b64 v[1:2], v1 offset:152
	s_waitcnt lgkmcnt(0)
	v_mul_f32_e32 v3, v118, v2
	v_mul_f32_e32 v2, v124, v2
	v_fma_f32 v3, v124, v1, -v3
	v_fmac_f32_e32 v2, v118, v1
	buffer_store_dword v3, off, s[0:3], 0 offset:152
	buffer_store_dword v2, off, s[0:3], 0 offset:156
.LBB57_91:
	s_or_b64 exec, exec, s[4:5]
	; wave barrier
	buffer_load_dword v1, off, s[0:3], 0 offset:160
	buffer_load_dword v2, off, s[0:3], 0 offset:164
	v_cmp_gt_u32_e32 vcc, 20, v0
	s_waitcnt vmcnt(0)
	ds_write_b64 v120, v[1:2]
	s_waitcnt lgkmcnt(0)
	; wave barrier
	s_and_saveexec_b64 s[4:5], vcc
	s_cbranch_execz .LBB57_95
; %bb.92:
	v_add_u32_e32 v121, -1, v0
	v_add_u32_e32 v122, 0x1d0, v119
	v_mov_b32_e32 v123, v119
	v_mov_b32_e32 v118, 0
	s_mov_b64 s[8:9], 0
	v_mov_b32_e32 v124, 0
.LBB57_93:                              ; =>This Inner Loop Header: Depth=1
	buffer_load_dword v3, v123, s[0:3], 0 offen offset:4
	buffer_load_dword v4, v123, s[0:3], 0 offen
	ds_read_b64 v[1:2], v122
	v_add_u32_e32 v121, 1, v121
	v_cmp_lt_u32_e32 vcc, 18, v121
	v_add_u32_e32 v122, 8, v122
	v_add_u32_e32 v123, 8, v123
	s_or_b64 s[8:9], vcc, s[8:9]
	s_waitcnt vmcnt(1) lgkmcnt(0)
	v_mul_f32_e32 v5, v2, v3
	v_mul_f32_e32 v3, v1, v3
	s_waitcnt vmcnt(0)
	v_fma_f32 v1, v1, v4, -v5
	v_fmac_f32_e32 v3, v2, v4
	v_add_f32_e32 v124, v124, v1
	v_add_f32_e32 v118, v118, v3
	s_andn2_b64 exec, exec, s[8:9]
	s_cbranch_execnz .LBB57_93
; %bb.94:
	s_or_b64 exec, exec, s[8:9]
	v_mov_b32_e32 v1, 0
	ds_read_b64 v[1:2], v1 offset:160
	s_waitcnt lgkmcnt(0)
	v_mul_f32_e32 v3, v118, v2
	v_mul_f32_e32 v2, v124, v2
	v_fma_f32 v3, v124, v1, -v3
	v_fmac_f32_e32 v2, v118, v1
	buffer_store_dword v3, off, s[0:3], 0 offset:160
	buffer_store_dword v2, off, s[0:3], 0 offset:164
.LBB57_95:
	s_or_b64 exec, exec, s[4:5]
	; wave barrier
	buffer_load_dword v1, off, s[0:3], 0 offset:168
	buffer_load_dword v2, off, s[0:3], 0 offset:172
	v_cmp_gt_u32_e32 vcc, 21, v0
	s_waitcnt vmcnt(0)
	ds_write_b64 v120, v[1:2]
	s_waitcnt lgkmcnt(0)
	; wave barrier
	s_and_saveexec_b64 s[4:5], vcc
	s_cbranch_execz .LBB57_99
; %bb.96:
	v_add_u32_e32 v121, -1, v0
	v_add_u32_e32 v122, 0x1d0, v119
	v_mov_b32_e32 v123, v119
	v_mov_b32_e32 v118, 0
	s_mov_b64 s[8:9], 0
	v_mov_b32_e32 v124, 0
.LBB57_97:                              ; =>This Inner Loop Header: Depth=1
	buffer_load_dword v3, v123, s[0:3], 0 offen offset:4
	buffer_load_dword v4, v123, s[0:3], 0 offen
	ds_read_b64 v[1:2], v122
	v_add_u32_e32 v121, 1, v121
	v_cmp_lt_u32_e32 vcc, 19, v121
	v_add_u32_e32 v122, 8, v122
	v_add_u32_e32 v123, 8, v123
	s_or_b64 s[8:9], vcc, s[8:9]
	s_waitcnt vmcnt(1) lgkmcnt(0)
	v_mul_f32_e32 v5, v2, v3
	v_mul_f32_e32 v3, v1, v3
	s_waitcnt vmcnt(0)
	v_fma_f32 v1, v1, v4, -v5
	v_fmac_f32_e32 v3, v2, v4
	v_add_f32_e32 v124, v124, v1
	v_add_f32_e32 v118, v118, v3
	s_andn2_b64 exec, exec, s[8:9]
	s_cbranch_execnz .LBB57_97
; %bb.98:
	s_or_b64 exec, exec, s[8:9]
	v_mov_b32_e32 v1, 0
	ds_read_b64 v[1:2], v1 offset:168
	s_waitcnt lgkmcnt(0)
	v_mul_f32_e32 v3, v118, v2
	v_mul_f32_e32 v2, v124, v2
	v_fma_f32 v3, v124, v1, -v3
	v_fmac_f32_e32 v2, v118, v1
	buffer_store_dword v3, off, s[0:3], 0 offset:168
	buffer_store_dword v2, off, s[0:3], 0 offset:172
.LBB57_99:
	s_or_b64 exec, exec, s[4:5]
	; wave barrier
	buffer_load_dword v1, off, s[0:3], 0 offset:176
	buffer_load_dword v2, off, s[0:3], 0 offset:180
	v_cmp_gt_u32_e32 vcc, 22, v0
	s_waitcnt vmcnt(0)
	ds_write_b64 v120, v[1:2]
	s_waitcnt lgkmcnt(0)
	; wave barrier
	s_and_saveexec_b64 s[4:5], vcc
	s_cbranch_execz .LBB57_103
; %bb.100:
	v_add_u32_e32 v121, -1, v0
	v_add_u32_e32 v122, 0x1d0, v119
	v_mov_b32_e32 v123, v119
	v_mov_b32_e32 v118, 0
	s_mov_b64 s[8:9], 0
	v_mov_b32_e32 v124, 0
.LBB57_101:                             ; =>This Inner Loop Header: Depth=1
	buffer_load_dword v3, v123, s[0:3], 0 offen offset:4
	buffer_load_dword v4, v123, s[0:3], 0 offen
	ds_read_b64 v[1:2], v122
	v_add_u32_e32 v121, 1, v121
	v_cmp_lt_u32_e32 vcc, 20, v121
	v_add_u32_e32 v122, 8, v122
	v_add_u32_e32 v123, 8, v123
	s_or_b64 s[8:9], vcc, s[8:9]
	s_waitcnt vmcnt(1) lgkmcnt(0)
	v_mul_f32_e32 v5, v2, v3
	v_mul_f32_e32 v3, v1, v3
	s_waitcnt vmcnt(0)
	v_fma_f32 v1, v1, v4, -v5
	v_fmac_f32_e32 v3, v2, v4
	v_add_f32_e32 v124, v124, v1
	v_add_f32_e32 v118, v118, v3
	s_andn2_b64 exec, exec, s[8:9]
	s_cbranch_execnz .LBB57_101
; %bb.102:
	s_or_b64 exec, exec, s[8:9]
	v_mov_b32_e32 v1, 0
	ds_read_b64 v[1:2], v1 offset:176
	s_waitcnt lgkmcnt(0)
	v_mul_f32_e32 v3, v118, v2
	v_mul_f32_e32 v2, v124, v2
	v_fma_f32 v3, v124, v1, -v3
	v_fmac_f32_e32 v2, v118, v1
	buffer_store_dword v3, off, s[0:3], 0 offset:176
	buffer_store_dword v2, off, s[0:3], 0 offset:180
.LBB57_103:
	s_or_b64 exec, exec, s[4:5]
	; wave barrier
	buffer_load_dword v1, off, s[0:3], 0 offset:184
	buffer_load_dword v2, off, s[0:3], 0 offset:188
	v_cmp_gt_u32_e32 vcc, 23, v0
	s_waitcnt vmcnt(0)
	ds_write_b64 v120, v[1:2]
	s_waitcnt lgkmcnt(0)
	; wave barrier
	s_and_saveexec_b64 s[4:5], vcc
	s_cbranch_execz .LBB57_107
; %bb.104:
	v_add_u32_e32 v121, -1, v0
	v_add_u32_e32 v122, 0x1d0, v119
	v_mov_b32_e32 v123, v119
	v_mov_b32_e32 v118, 0
	s_mov_b64 s[8:9], 0
	v_mov_b32_e32 v124, 0
.LBB57_105:                             ; =>This Inner Loop Header: Depth=1
	buffer_load_dword v3, v123, s[0:3], 0 offen offset:4
	buffer_load_dword v4, v123, s[0:3], 0 offen
	ds_read_b64 v[1:2], v122
	v_add_u32_e32 v121, 1, v121
	v_cmp_lt_u32_e32 vcc, 21, v121
	v_add_u32_e32 v122, 8, v122
	v_add_u32_e32 v123, 8, v123
	s_or_b64 s[8:9], vcc, s[8:9]
	s_waitcnt vmcnt(1) lgkmcnt(0)
	v_mul_f32_e32 v5, v2, v3
	v_mul_f32_e32 v3, v1, v3
	s_waitcnt vmcnt(0)
	v_fma_f32 v1, v1, v4, -v5
	v_fmac_f32_e32 v3, v2, v4
	v_add_f32_e32 v124, v124, v1
	v_add_f32_e32 v118, v118, v3
	s_andn2_b64 exec, exec, s[8:9]
	s_cbranch_execnz .LBB57_105
; %bb.106:
	s_or_b64 exec, exec, s[8:9]
	v_mov_b32_e32 v1, 0
	ds_read_b64 v[1:2], v1 offset:184
	s_waitcnt lgkmcnt(0)
	v_mul_f32_e32 v3, v118, v2
	v_mul_f32_e32 v2, v124, v2
	v_fma_f32 v3, v124, v1, -v3
	v_fmac_f32_e32 v2, v118, v1
	buffer_store_dword v3, off, s[0:3], 0 offset:184
	buffer_store_dword v2, off, s[0:3], 0 offset:188
.LBB57_107:
	s_or_b64 exec, exec, s[4:5]
	; wave barrier
	buffer_load_dword v1, off, s[0:3], 0 offset:192
	buffer_load_dword v2, off, s[0:3], 0 offset:196
	v_cmp_gt_u32_e32 vcc, 24, v0
	;; [unrolled: 49-line block ×34, first 2 shown]
	s_waitcnt vmcnt(0)
	ds_write_b64 v120, v[1:2]
	s_waitcnt lgkmcnt(0)
	; wave barrier
	s_and_saveexec_b64 s[4:5], vcc
	s_cbranch_execz .LBB57_239
; %bb.236:
	v_add_u32_e32 v121, -1, v0
	v_add_u32_e32 v122, 0x1d0, v119
	v_mov_b32_e32 v123, v119
	v_mov_b32_e32 v118, 0
	s_mov_b64 s[8:9], 0
	v_mov_b32_e32 v124, 0
.LBB57_237:                             ; =>This Inner Loop Header: Depth=1
	buffer_load_dword v3, v123, s[0:3], 0 offen offset:4
	buffer_load_dword v4, v123, s[0:3], 0 offen
	ds_read_b64 v[1:2], v122
	v_add_u32_e32 v121, 1, v121
	v_cmp_lt_u32_e32 vcc, 54, v121
	v_add_u32_e32 v122, 8, v122
	v_add_u32_e32 v123, 8, v123
	s_or_b64 s[8:9], vcc, s[8:9]
	s_waitcnt vmcnt(1) lgkmcnt(0)
	v_mul_f32_e32 v5, v2, v3
	v_mul_f32_e32 v3, v1, v3
	s_waitcnt vmcnt(0)
	v_fma_f32 v1, v1, v4, -v5
	v_fmac_f32_e32 v3, v2, v4
	v_add_f32_e32 v124, v124, v1
	v_add_f32_e32 v118, v118, v3
	s_andn2_b64 exec, exec, s[8:9]
	s_cbranch_execnz .LBB57_237
; %bb.238:
	s_or_b64 exec, exec, s[8:9]
	v_mov_b32_e32 v1, 0
	ds_read_b64 v[1:2], v1 offset:448
	s_waitcnt lgkmcnt(0)
	v_mul_f32_e32 v3, v118, v2
	v_mul_f32_e32 v2, v124, v2
	v_fma_f32 v3, v124, v1, -v3
	v_fmac_f32_e32 v2, v118, v1
	buffer_store_dword v3, off, s[0:3], 0 offset:448
	buffer_store_dword v2, off, s[0:3], 0 offset:452
.LBB57_239:
	s_or_b64 exec, exec, s[4:5]
	; wave barrier
	buffer_load_dword v1, off, s[0:3], 0 offset:456
	buffer_load_dword v2, off, s[0:3], 0 offset:460
	v_cmp_ne_u32_e32 vcc, 57, v0
	s_waitcnt vmcnt(0)
	ds_write_b64 v120, v[1:2]
	s_waitcnt lgkmcnt(0)
	; wave barrier
	s_and_saveexec_b64 s[4:5], vcc
	s_cbranch_execz .LBB57_243
; %bb.240:
	v_add_u32_e32 v120, 0x1d0, v119
	v_mov_b32_e32 v118, 0
	s_mov_b64 s[8:9], 0
	v_mov_b32_e32 v121, 0
.LBB57_241:                             ; =>This Inner Loop Header: Depth=1
	buffer_load_dword v3, v119, s[0:3], 0 offen offset:4
	buffer_load_dword v4, v119, s[0:3], 0 offen
	ds_read_b64 v[1:2], v120
	v_add_u32_e32 v117, 1, v117
	v_cmp_lt_u32_e32 vcc, 55, v117
	v_add_u32_e32 v120, 8, v120
	v_add_u32_e32 v119, 8, v119
	s_or_b64 s[8:9], vcc, s[8:9]
	s_waitcnt vmcnt(1) lgkmcnt(0)
	v_mul_f32_e32 v5, v2, v3
	v_mul_f32_e32 v3, v1, v3
	s_waitcnt vmcnt(0)
	v_fma_f32 v1, v1, v4, -v5
	v_fmac_f32_e32 v3, v2, v4
	v_add_f32_e32 v121, v121, v1
	v_add_f32_e32 v118, v118, v3
	s_andn2_b64 exec, exec, s[8:9]
	s_cbranch_execnz .LBB57_241
; %bb.242:
	s_or_b64 exec, exec, s[8:9]
	v_mov_b32_e32 v1, 0
	ds_read_b64 v[1:2], v1 offset:456
	s_waitcnt lgkmcnt(0)
	v_mul_f32_e32 v3, v118, v2
	v_mul_f32_e32 v2, v121, v2
	v_fma_f32 v3, v121, v1, -v3
	v_fmac_f32_e32 v2, v118, v1
	buffer_store_dword v3, off, s[0:3], 0 offset:456
	buffer_store_dword v2, off, s[0:3], 0 offset:460
.LBB57_243:
	s_or_b64 exec, exec, s[4:5]
	s_mov_b64 s[8:9], -1
	; wave barrier
.LBB57_244:
	s_and_b64 vcc, exec, s[8:9]
	s_cbranch_vccz .LBB57_246
; %bb.245:
	s_lshl_b64 s[4:5], s[6:7], 2
	s_add_u32 s4, s10, s4
	s_addc_u32 s5, s11, s5
	v_mov_b32_e32 v1, 0
	global_load_dword v1, v1, s[4:5]
	s_waitcnt vmcnt(0)
	v_cmp_ne_u32_e32 vcc, 0, v1
	s_cbranch_vccz .LBB57_247
.LBB57_246:
	s_endpgm
.LBB57_247:
	v_mov_b32_e32 v1, 0x1d0
	v_lshl_add_u32 v117, v0, 3, v1
	v_cmp_eq_u32_e32 vcc, 57, v0
	s_and_saveexec_b64 s[4:5], vcc
	s_cbranch_execz .LBB57_249
; %bb.248:
	buffer_load_dword v1, off, s[0:3], 0 offset:448
	buffer_load_dword v2, off, s[0:3], 0 offset:452
	v_mov_b32_e32 v3, 0
	buffer_store_dword v3, off, s[0:3], 0 offset:448
	buffer_store_dword v3, off, s[0:3], 0 offset:452
	s_waitcnt vmcnt(2)
	ds_write_b64 v117, v[1:2]
.LBB57_249:
	s_or_b64 exec, exec, s[4:5]
	s_waitcnt lgkmcnt(0)
	; wave barrier
	buffer_load_dword v3, off, s[0:3], 0 offset:460
	buffer_load_dword v4, off, s[0:3], 0 offset:456
	;; [unrolled: 1-line block ×4, first 2 shown]
	v_mov_b32_e32 v118, 0
	ds_read_b64 v[1:2], v118 offset:920
	v_cmp_lt_u32_e32 vcc, 55, v0
	s_waitcnt vmcnt(3) lgkmcnt(0)
	v_mul_f32_e32 v7, v1, v3
	v_mul_f32_e32 v3, v2, v3
	s_waitcnt vmcnt(2)
	v_fma_f32 v1, v1, v4, -v3
	v_fmac_f32_e32 v7, v2, v4
	v_add_f32_e32 v1, 0, v1
	v_add_f32_e32 v2, 0, v7
	s_waitcnt vmcnt(1)
	v_sub_f32_e32 v1, v5, v1
	s_waitcnt vmcnt(0)
	v_sub_f32_e32 v2, v6, v2
	buffer_store_dword v1, off, s[0:3], 0 offset:448
	buffer_store_dword v2, off, s[0:3], 0 offset:452
	s_and_saveexec_b64 s[4:5], vcc
	s_cbranch_execz .LBB57_251
; %bb.250:
	buffer_load_dword v1, off, s[0:3], 0 offset:440
	buffer_load_dword v2, off, s[0:3], 0 offset:444
	s_waitcnt vmcnt(0)
	ds_write_b64 v117, v[1:2]
	buffer_store_dword v118, off, s[0:3], 0 offset:440
	buffer_store_dword v118, off, s[0:3], 0 offset:444
.LBB57_251:
	s_or_b64 exec, exec, s[4:5]
	s_waitcnt lgkmcnt(0)
	; wave barrier
	buffer_load_dword v1, off, s[0:3], 0 offset:452
	buffer_load_dword v2, off, s[0:3], 0 offset:460
	;; [unrolled: 1-line block ×6, first 2 shown]
	ds_read_b128 v[118:121], v118 offset:912
	v_cmp_lt_u32_e32 vcc, 54, v0
	s_waitcnt vmcnt(5) lgkmcnt(0)
	v_mul_f32_e32 v7, v118, v1
	v_mul_f32_e32 v1, v119, v1
	s_waitcnt vmcnt(4)
	v_mul_f32_e32 v8, v120, v2
	v_mul_f32_e32 v2, v121, v2
	s_waitcnt vmcnt(3)
	v_fma_f32 v1, v118, v3, -v1
	v_fmac_f32_e32 v7, v119, v3
	s_waitcnt vmcnt(2)
	v_fma_f32 v2, v120, v4, -v2
	v_add_f32_e32 v1, 0, v1
	v_fmac_f32_e32 v8, v121, v4
	v_add_f32_e32 v3, 0, v7
	v_add_f32_e32 v1, v1, v2
	;; [unrolled: 1-line block ×3, first 2 shown]
	s_waitcnt vmcnt(1)
	v_sub_f32_e32 v1, v5, v1
	s_waitcnt vmcnt(0)
	v_sub_f32_e32 v2, v6, v3
	buffer_store_dword v1, off, s[0:3], 0 offset:440
	buffer_store_dword v2, off, s[0:3], 0 offset:444
	s_and_saveexec_b64 s[4:5], vcc
	s_cbranch_execz .LBB57_253
; %bb.252:
	buffer_load_dword v1, off, s[0:3], 0 offset:432
	buffer_load_dword v2, off, s[0:3], 0 offset:436
	v_mov_b32_e32 v3, 0
	buffer_store_dword v3, off, s[0:3], 0 offset:432
	buffer_store_dword v3, off, s[0:3], 0 offset:436
	s_waitcnt vmcnt(2)
	ds_write_b64 v117, v[1:2]
.LBB57_253:
	s_or_b64 exec, exec, s[4:5]
	s_waitcnt lgkmcnt(0)
	; wave barrier
	buffer_load_dword v3, off, s[0:3], 0 offset:444
	buffer_load_dword v4, off, s[0:3], 0 offset:452
	;; [unrolled: 1-line block ×8, first 2 shown]
	v_mov_b32_e32 v118, 0
	ds_read2_b64 v[119:122], v118 offset0:113 offset1:114
	ds_read_b64 v[1:2], v118 offset:920
	v_cmp_lt_u32_e32 vcc, 53, v0
	s_waitcnt vmcnt(7) lgkmcnt(1)
	v_mul_f32_e32 v11, v119, v3
	v_mul_f32_e32 v3, v120, v3
	s_waitcnt vmcnt(5) lgkmcnt(0)
	v_mul_f32_e32 v13, v1, v5
	v_mul_f32_e32 v12, v121, v4
	;; [unrolled: 1-line block ×4, first 2 shown]
	s_waitcnt vmcnt(2)
	v_fmac_f32_e32 v13, v2, v8
	v_fma_f32 v2, v119, v6, -v3
	v_fmac_f32_e32 v11, v120, v6
	v_fma_f32 v3, v121, v7, -v4
	v_add_f32_e32 v2, 0, v2
	v_fmac_f32_e32 v12, v122, v7
	v_fma_f32 v1, v1, v8, -v5
	v_add_f32_e32 v4, 0, v11
	v_add_f32_e32 v2, v2, v3
	;; [unrolled: 1-line block ×5, first 2 shown]
	s_waitcnt vmcnt(1)
	v_sub_f32_e32 v1, v9, v1
	s_waitcnt vmcnt(0)
	v_sub_f32_e32 v2, v10, v3
	buffer_store_dword v1, off, s[0:3], 0 offset:432
	buffer_store_dword v2, off, s[0:3], 0 offset:436
	s_and_saveexec_b64 s[4:5], vcc
	s_cbranch_execz .LBB57_255
; %bb.254:
	buffer_load_dword v1, off, s[0:3], 0 offset:424
	buffer_load_dword v2, off, s[0:3], 0 offset:428
	s_waitcnt vmcnt(0)
	ds_write_b64 v117, v[1:2]
	buffer_store_dword v118, off, s[0:3], 0 offset:424
	buffer_store_dword v118, off, s[0:3], 0 offset:428
.LBB57_255:
	s_or_b64 exec, exec, s[4:5]
	s_waitcnt lgkmcnt(0)
	; wave barrier
	buffer_load_dword v1, off, s[0:3], 0 offset:436
	buffer_load_dword v2, off, s[0:3], 0 offset:444
	;; [unrolled: 1-line block ×10, first 2 shown]
	ds_read_b128 v[119:122], v118 offset:896
	ds_read_b128 v[123:126], v118 offset:912
	v_cmp_lt_u32_e32 vcc, 52, v0
	s_waitcnt vmcnt(9) lgkmcnt(1)
	v_mul_f32_e32 v11, v119, v1
	v_mul_f32_e32 v1, v120, v1
	s_waitcnt vmcnt(8)
	v_mul_f32_e32 v12, v121, v2
	v_mul_f32_e32 v2, v122, v2
	s_waitcnt vmcnt(5)
	v_fma_f32 v1, v119, v5, -v1
	s_waitcnt lgkmcnt(0)
	v_mul_f32_e32 v13, v123, v3
	v_mul_f32_e32 v3, v124, v3
	v_fmac_f32_e32 v11, v120, v5
	s_waitcnt vmcnt(4)
	v_fma_f32 v2, v121, v6, -v2
	v_add_f32_e32 v1, 0, v1
	v_mul_f32_e32 v14, v125, v4
	v_mul_f32_e32 v4, v126, v4
	v_fmac_f32_e32 v12, v122, v6
	s_waitcnt vmcnt(3)
	v_fma_f32 v3, v123, v7, -v3
	v_add_f32_e32 v5, 0, v11
	v_add_f32_e32 v1, v1, v2
	v_fmac_f32_e32 v13, v124, v7
	s_waitcnt vmcnt(2)
	v_fma_f32 v4, v125, v8, -v4
	v_add_f32_e32 v5, v5, v12
	v_add_f32_e32 v1, v1, v3
	v_fmac_f32_e32 v14, v126, v8
	v_add_f32_e32 v2, v5, v13
	v_add_f32_e32 v1, v1, v4
	;; [unrolled: 1-line block ×3, first 2 shown]
	s_waitcnt vmcnt(1)
	v_sub_f32_e32 v1, v9, v1
	s_waitcnt vmcnt(0)
	v_sub_f32_e32 v2, v10, v2
	buffer_store_dword v1, off, s[0:3], 0 offset:424
	buffer_store_dword v2, off, s[0:3], 0 offset:428
	s_and_saveexec_b64 s[4:5], vcc
	s_cbranch_execz .LBB57_257
; %bb.256:
	buffer_load_dword v1, off, s[0:3], 0 offset:416
	buffer_load_dword v2, off, s[0:3], 0 offset:420
	v_mov_b32_e32 v3, 0
	buffer_store_dword v3, off, s[0:3], 0 offset:416
	buffer_store_dword v3, off, s[0:3], 0 offset:420
	s_waitcnt vmcnt(2)
	ds_write_b64 v117, v[1:2]
.LBB57_257:
	s_or_b64 exec, exec, s[4:5]
	s_waitcnt lgkmcnt(0)
	; wave barrier
	buffer_load_dword v3, off, s[0:3], 0 offset:428
	buffer_load_dword v4, off, s[0:3], 0 offset:436
	;; [unrolled: 1-line block ×12, first 2 shown]
	v_mov_b32_e32 v118, 0
	ds_read2_b64 v[119:122], v118 offset0:111 offset1:112
	ds_read2_b64 v[123:126], v118 offset0:113 offset1:114
	ds_read_b64 v[1:2], v118 offset:920
	v_cmp_lt_u32_e32 vcc, 51, v0
	s_waitcnt vmcnt(11) lgkmcnt(2)
	v_mul_f32_e32 v15, v119, v3
	v_mul_f32_e32 v3, v120, v3
	s_waitcnt vmcnt(10)
	v_mul_f32_e32 v16, v121, v4
	v_mul_f32_e32 v4, v122, v4
	s_waitcnt vmcnt(7) lgkmcnt(0)
	v_mul_f32_e32 v19, v1, v7
	v_mul_f32_e32 v7, v2, v7
	;; [unrolled: 1-line block ×5, first 2 shown]
	s_waitcnt vmcnt(2)
	v_fmac_f32_e32 v19, v2, v12
	v_fma_f32 v2, v119, v8, -v3
	v_mul_f32_e32 v6, v126, v6
	v_fmac_f32_e32 v15, v120, v8
	v_fma_f32 v3, v121, v9, -v4
	v_add_f32_e32 v2, 0, v2
	v_fmac_f32_e32 v16, v122, v9
	v_fma_f32 v4, v123, v10, -v5
	v_fma_f32 v5, v125, v11, -v6
	v_add_f32_e32 v6, 0, v15
	v_add_f32_e32 v2, v2, v3
	v_fmac_f32_e32 v17, v124, v10
	v_add_f32_e32 v6, v6, v16
	v_add_f32_e32 v2, v2, v4
	v_fmac_f32_e32 v18, v126, v11
	v_fma_f32 v1, v1, v12, -v7
	v_add_f32_e32 v3, v6, v17
	v_add_f32_e32 v2, v2, v5
	;; [unrolled: 1-line block ×5, first 2 shown]
	s_waitcnt vmcnt(1)
	v_sub_f32_e32 v1, v13, v1
	s_waitcnt vmcnt(0)
	v_sub_f32_e32 v2, v14, v3
	buffer_store_dword v1, off, s[0:3], 0 offset:416
	buffer_store_dword v2, off, s[0:3], 0 offset:420
	s_and_saveexec_b64 s[4:5], vcc
	s_cbranch_execz .LBB57_259
; %bb.258:
	buffer_load_dword v1, off, s[0:3], 0 offset:408
	buffer_load_dword v2, off, s[0:3], 0 offset:412
	s_waitcnt vmcnt(0)
	ds_write_b64 v117, v[1:2]
	buffer_store_dword v118, off, s[0:3], 0 offset:408
	buffer_store_dword v118, off, s[0:3], 0 offset:412
.LBB57_259:
	s_or_b64 exec, exec, s[4:5]
	s_waitcnt lgkmcnt(0)
	; wave barrier
	buffer_load_dword v1, off, s[0:3], 0 offset:420
	buffer_load_dword v2, off, s[0:3], 0 offset:428
	;; [unrolled: 1-line block ×14, first 2 shown]
	ds_read_b128 v[119:122], v118 offset:880
	ds_read_b128 v[123:126], v118 offset:896
	;; [unrolled: 1-line block ×3, first 2 shown]
	v_cmp_lt_u32_e32 vcc, 50, v0
	s_waitcnt vmcnt(13) lgkmcnt(2)
	v_mul_f32_e32 v15, v119, v1
	v_mul_f32_e32 v1, v120, v1
	s_waitcnt vmcnt(12)
	v_mul_f32_e32 v16, v121, v2
	v_mul_f32_e32 v2, v122, v2
	s_waitcnt vmcnt(11) lgkmcnt(1)
	v_mul_f32_e32 v17, v123, v3
	v_mul_f32_e32 v3, v124, v3
	s_waitcnt vmcnt(7)
	v_fma_f32 v1, v119, v7, -v1
	v_fmac_f32_e32 v15, v120, v7
	s_waitcnt vmcnt(6)
	v_fma_f32 v2, v121, v8, -v2
	v_add_f32_e32 v1, 0, v1
	v_mul_f32_e32 v18, v125, v4
	v_mul_f32_e32 v4, v126, v4
	v_fmac_f32_e32 v16, v122, v8
	s_waitcnt vmcnt(5)
	v_fma_f32 v3, v123, v9, -v3
	v_add_f32_e32 v7, 0, v15
	v_add_f32_e32 v1, v1, v2
	s_waitcnt lgkmcnt(0)
	v_mul_f32_e32 v19, v127, v5
	v_mul_f32_e32 v5, v128, v5
	v_fmac_f32_e32 v17, v124, v9
	s_waitcnt vmcnt(4)
	v_fma_f32 v4, v125, v10, -v4
	v_add_f32_e32 v7, v7, v16
	v_add_f32_e32 v1, v1, v3
	v_mul_f32_e32 v20, v129, v6
	v_mul_f32_e32 v6, v130, v6
	v_fmac_f32_e32 v18, v126, v10
	s_waitcnt vmcnt(3)
	v_fma_f32 v5, v127, v11, -v5
	v_add_f32_e32 v2, v7, v17
	v_add_f32_e32 v1, v1, v4
	v_fmac_f32_e32 v19, v128, v11
	s_waitcnt vmcnt(2)
	v_fma_f32 v6, v129, v12, -v6
	v_add_f32_e32 v2, v2, v18
	v_add_f32_e32 v1, v1, v5
	v_fmac_f32_e32 v20, v130, v12
	v_add_f32_e32 v2, v2, v19
	v_add_f32_e32 v1, v1, v6
	;; [unrolled: 1-line block ×3, first 2 shown]
	s_waitcnt vmcnt(1)
	v_sub_f32_e32 v1, v13, v1
	s_waitcnt vmcnt(0)
	v_sub_f32_e32 v2, v14, v2
	buffer_store_dword v1, off, s[0:3], 0 offset:408
	buffer_store_dword v2, off, s[0:3], 0 offset:412
	s_and_saveexec_b64 s[4:5], vcc
	s_cbranch_execz .LBB57_261
; %bb.260:
	buffer_load_dword v1, off, s[0:3], 0 offset:400
	buffer_load_dword v2, off, s[0:3], 0 offset:404
	v_mov_b32_e32 v3, 0
	buffer_store_dword v3, off, s[0:3], 0 offset:400
	buffer_store_dword v3, off, s[0:3], 0 offset:404
	s_waitcnt vmcnt(2)
	ds_write_b64 v117, v[1:2]
.LBB57_261:
	s_or_b64 exec, exec, s[4:5]
	s_waitcnt lgkmcnt(0)
	; wave barrier
	buffer_load_dword v3, off, s[0:3], 0 offset:412
	buffer_load_dword v4, off, s[0:3], 0 offset:420
	;; [unrolled: 1-line block ×16, first 2 shown]
	v_mov_b32_e32 v118, 0
	ds_read2_b64 v[119:122], v118 offset0:109 offset1:110
	ds_read2_b64 v[123:126], v118 offset0:111 offset1:112
	;; [unrolled: 1-line block ×3, first 2 shown]
	ds_read_b64 v[1:2], v118 offset:920
	v_cmp_lt_u32_e32 vcc, 49, v0
	s_waitcnt vmcnt(15) lgkmcnt(3)
	v_mul_f32_e32 v19, v119, v3
	v_mul_f32_e32 v3, v120, v3
	s_waitcnt vmcnt(14)
	v_mul_f32_e32 v20, v121, v4
	v_mul_f32_e32 v4, v122, v4
	s_waitcnt vmcnt(13) lgkmcnt(2)
	v_mul_f32_e32 v21, v123, v5
	s_waitcnt vmcnt(12)
	v_mul_f32_e32 v22, v125, v6
	s_waitcnt vmcnt(9) lgkmcnt(0)
	v_mul_f32_e32 v25, v1, v9
	v_mul_f32_e32 v9, v2, v9
	;; [unrolled: 1-line block ×7, first 2 shown]
	s_waitcnt vmcnt(2)
	v_fmac_f32_e32 v25, v2, v16
	v_fma_f32 v2, v119, v10, -v3
	v_mul_f32_e32 v8, v130, v8
	v_fmac_f32_e32 v19, v120, v10
	v_fma_f32 v3, v121, v11, -v4
	v_add_f32_e32 v2, 0, v2
	v_fmac_f32_e32 v20, v122, v11
	v_fma_f32 v4, v123, v12, -v5
	v_fma_f32 v5, v125, v13, -v6
	;; [unrolled: 1-line block ×4, first 2 shown]
	v_add_f32_e32 v8, 0, v19
	v_add_f32_e32 v2, v2, v3
	v_fmac_f32_e32 v21, v124, v12
	v_add_f32_e32 v8, v8, v20
	v_add_f32_e32 v2, v2, v4
	v_fmac_f32_e32 v22, v126, v13
	;; [unrolled: 3-line block ×4, first 2 shown]
	v_fma_f32 v1, v1, v16, -v9
	v_add_f32_e32 v3, v3, v23
	v_add_f32_e32 v2, v2, v7
	v_add_f32_e32 v3, v3, v24
	v_add_f32_e32 v1, v2, v1
	v_add_f32_e32 v3, v3, v25
	s_waitcnt vmcnt(1)
	v_sub_f32_e32 v1, v17, v1
	s_waitcnt vmcnt(0)
	v_sub_f32_e32 v2, v18, v3
	buffer_store_dword v1, off, s[0:3], 0 offset:400
	buffer_store_dword v2, off, s[0:3], 0 offset:404
	s_and_saveexec_b64 s[4:5], vcc
	s_cbranch_execz .LBB57_263
; %bb.262:
	buffer_load_dword v1, off, s[0:3], 0 offset:392
	buffer_load_dword v2, off, s[0:3], 0 offset:396
	s_waitcnt vmcnt(0)
	ds_write_b64 v117, v[1:2]
	buffer_store_dword v118, off, s[0:3], 0 offset:392
	buffer_store_dword v118, off, s[0:3], 0 offset:396
.LBB57_263:
	s_or_b64 exec, exec, s[4:5]
	s_waitcnt lgkmcnt(0)
	; wave barrier
	buffer_load_dword v1, off, s[0:3], 0 offset:404
	buffer_load_dword v2, off, s[0:3], 0 offset:412
	;; [unrolled: 1-line block ×18, first 2 shown]
	ds_read_b128 v[119:122], v118 offset:864
	ds_read_b128 v[123:126], v118 offset:880
	;; [unrolled: 1-line block ×4, first 2 shown]
	v_cmp_lt_u32_e32 vcc, 48, v0
	s_waitcnt vmcnt(17) lgkmcnt(3)
	v_mul_f32_e32 v19, v119, v1
	v_mul_f32_e32 v1, v120, v1
	s_waitcnt vmcnt(16)
	v_mul_f32_e32 v20, v121, v2
	v_mul_f32_e32 v2, v122, v2
	s_waitcnt vmcnt(15) lgkmcnt(2)
	v_mul_f32_e32 v21, v123, v3
	v_mul_f32_e32 v3, v124, v3
	s_waitcnt vmcnt(14)
	v_mul_f32_e32 v22, v125, v4
	v_mul_f32_e32 v4, v126, v4
	s_waitcnt vmcnt(9)
	v_fma_f32 v1, v119, v9, -v1
	v_fmac_f32_e32 v19, v120, v9
	s_waitcnt vmcnt(8)
	v_fma_f32 v2, v121, v10, -v2
	v_add_f32_e32 v1, 0, v1
	v_fmac_f32_e32 v20, v122, v10
	s_waitcnt vmcnt(7)
	v_fma_f32 v3, v123, v11, -v3
	v_add_f32_e32 v9, 0, v19
	v_add_f32_e32 v1, v1, v2
	s_waitcnt lgkmcnt(1)
	v_mul_f32_e32 v23, v127, v5
	v_mul_f32_e32 v5, v128, v5
	v_fmac_f32_e32 v21, v124, v11
	s_waitcnt vmcnt(6)
	v_fma_f32 v4, v125, v12, -v4
	v_add_f32_e32 v9, v9, v20
	v_add_f32_e32 v1, v1, v3
	v_mul_f32_e32 v24, v129, v6
	v_mul_f32_e32 v6, v130, v6
	v_fmac_f32_e32 v22, v126, v12
	s_waitcnt vmcnt(5)
	v_fma_f32 v5, v127, v13, -v5
	v_add_f32_e32 v2, v9, v21
	v_add_f32_e32 v1, v1, v4
	s_waitcnt lgkmcnt(0)
	v_mul_f32_e32 v25, v131, v7
	v_mul_f32_e32 v7, v132, v7
	v_fmac_f32_e32 v23, v128, v13
	s_waitcnt vmcnt(4)
	v_fma_f32 v6, v129, v14, -v6
	v_add_f32_e32 v2, v2, v22
	v_add_f32_e32 v1, v1, v5
	v_mul_f32_e32 v26, v133, v8
	v_mul_f32_e32 v8, v134, v8
	v_fmac_f32_e32 v24, v130, v14
	s_waitcnt vmcnt(3)
	v_fma_f32 v7, v131, v15, -v7
	v_add_f32_e32 v2, v2, v23
	v_add_f32_e32 v1, v1, v6
	v_fmac_f32_e32 v25, v132, v15
	s_waitcnt vmcnt(2)
	v_fma_f32 v8, v133, v16, -v8
	v_add_f32_e32 v2, v2, v24
	v_add_f32_e32 v1, v1, v7
	v_fmac_f32_e32 v26, v134, v16
	v_add_f32_e32 v2, v2, v25
	v_add_f32_e32 v1, v1, v8
	;; [unrolled: 1-line block ×3, first 2 shown]
	s_waitcnt vmcnt(1)
	v_sub_f32_e32 v1, v17, v1
	s_waitcnt vmcnt(0)
	v_sub_f32_e32 v2, v18, v2
	buffer_store_dword v1, off, s[0:3], 0 offset:392
	buffer_store_dword v2, off, s[0:3], 0 offset:396
	s_and_saveexec_b64 s[4:5], vcc
	s_cbranch_execz .LBB57_265
; %bb.264:
	buffer_load_dword v1, off, s[0:3], 0 offset:384
	buffer_load_dword v2, off, s[0:3], 0 offset:388
	v_mov_b32_e32 v3, 0
	buffer_store_dword v3, off, s[0:3], 0 offset:384
	buffer_store_dword v3, off, s[0:3], 0 offset:388
	s_waitcnt vmcnt(2)
	ds_write_b64 v117, v[1:2]
.LBB57_265:
	s_or_b64 exec, exec, s[4:5]
	s_waitcnt lgkmcnt(0)
	; wave barrier
	buffer_load_dword v3, off, s[0:3], 0 offset:396
	buffer_load_dword v4, off, s[0:3], 0 offset:404
	;; [unrolled: 1-line block ×20, first 2 shown]
	v_mov_b32_e32 v118, 0
	ds_read2_b64 v[119:122], v118 offset0:107 offset1:108
	ds_read2_b64 v[123:126], v118 offset0:109 offset1:110
	;; [unrolled: 1-line block ×4, first 2 shown]
	ds_read_b64 v[1:2], v118 offset:920
	v_cmp_lt_u32_e32 vcc, 47, v0
	s_waitcnt vmcnt(19) lgkmcnt(4)
	v_mul_f32_e32 v23, v119, v3
	v_mul_f32_e32 v3, v120, v3
	s_waitcnt vmcnt(18)
	v_mul_f32_e32 v24, v121, v4
	v_mul_f32_e32 v4, v122, v4
	s_waitcnt vmcnt(17) lgkmcnt(3)
	v_mul_f32_e32 v25, v123, v5
	s_waitcnt vmcnt(16)
	v_mul_f32_e32 v26, v125, v6
	s_waitcnt vmcnt(15) lgkmcnt(2)
	v_mul_f32_e32 v27, v127, v7
	s_waitcnt vmcnt(14)
	v_mul_f32_e32 v28, v129, v8
	s_waitcnt vmcnt(11) lgkmcnt(0)
	v_mul_f32_e32 v137, v1, v11
	v_mul_f32_e32 v11, v2, v11
	;; [unrolled: 1-line block ×9, first 2 shown]
	s_waitcnt vmcnt(2)
	v_fmac_f32_e32 v137, v2, v20
	v_fma_f32 v2, v119, v12, -v3
	v_mul_f32_e32 v10, v134, v10
	v_fmac_f32_e32 v23, v120, v12
	v_fma_f32 v3, v121, v13, -v4
	v_add_f32_e32 v2, 0, v2
	v_fmac_f32_e32 v24, v122, v13
	v_fma_f32 v4, v123, v14, -v5
	v_fma_f32 v5, v125, v15, -v6
	;; [unrolled: 1-line block ×6, first 2 shown]
	v_add_f32_e32 v10, 0, v23
	v_add_f32_e32 v2, v2, v3
	v_fmac_f32_e32 v25, v124, v14
	v_add_f32_e32 v10, v10, v24
	v_add_f32_e32 v2, v2, v4
	v_fmac_f32_e32 v26, v126, v15
	;; [unrolled: 3-line block ×6, first 2 shown]
	v_fma_f32 v1, v1, v20, -v11
	v_add_f32_e32 v3, v3, v135
	v_add_f32_e32 v2, v2, v9
	;; [unrolled: 1-line block ×5, first 2 shown]
	s_waitcnt vmcnt(1)
	v_sub_f32_e32 v1, v21, v1
	s_waitcnt vmcnt(0)
	v_sub_f32_e32 v2, v22, v3
	buffer_store_dword v1, off, s[0:3], 0 offset:384
	buffer_store_dword v2, off, s[0:3], 0 offset:388
	s_and_saveexec_b64 s[4:5], vcc
	s_cbranch_execz .LBB57_267
; %bb.266:
	buffer_load_dword v1, off, s[0:3], 0 offset:376
	buffer_load_dword v2, off, s[0:3], 0 offset:380
	s_waitcnt vmcnt(0)
	ds_write_b64 v117, v[1:2]
	buffer_store_dword v118, off, s[0:3], 0 offset:376
	buffer_store_dword v118, off, s[0:3], 0 offset:380
.LBB57_267:
	s_or_b64 exec, exec, s[4:5]
	s_waitcnt lgkmcnt(0)
	; wave barrier
	buffer_load_dword v1, off, s[0:3], 0 offset:388
	buffer_load_dword v2, off, s[0:3], 0 offset:396
	;; [unrolled: 1-line block ×22, first 2 shown]
	ds_read_b128 v[119:122], v118 offset:848
	ds_read_b128 v[123:126], v118 offset:864
	;; [unrolled: 1-line block ×5, first 2 shown]
	v_cmp_lt_u32_e32 vcc, 46, v0
	s_waitcnt vmcnt(21) lgkmcnt(4)
	v_mul_f32_e32 v23, v119, v1
	v_mul_f32_e32 v1, v120, v1
	s_waitcnt vmcnt(20)
	v_mul_f32_e32 v24, v121, v2
	v_mul_f32_e32 v2, v122, v2
	s_waitcnt vmcnt(19) lgkmcnt(3)
	v_mul_f32_e32 v25, v123, v3
	v_mul_f32_e32 v3, v124, v3
	s_waitcnt vmcnt(18)
	v_mul_f32_e32 v26, v125, v4
	v_mul_f32_e32 v4, v126, v4
	s_waitcnt vmcnt(17) lgkmcnt(2)
	v_mul_f32_e32 v27, v127, v5
	v_mul_f32_e32 v5, v128, v5
	s_waitcnt vmcnt(11)
	v_fma_f32 v1, v119, v11, -v1
	v_fmac_f32_e32 v23, v120, v11
	s_waitcnt vmcnt(10)
	v_fma_f32 v2, v121, v12, -v2
	v_add_f32_e32 v1, 0, v1
	v_fmac_f32_e32 v24, v122, v12
	s_waitcnt vmcnt(9)
	v_fma_f32 v3, v123, v13, -v3
	v_add_f32_e32 v11, 0, v23
	v_add_f32_e32 v1, v1, v2
	v_fmac_f32_e32 v25, v124, v13
	s_waitcnt vmcnt(8)
	v_fma_f32 v4, v125, v14, -v4
	v_add_f32_e32 v11, v11, v24
	v_add_f32_e32 v1, v1, v3
	v_mul_f32_e32 v28, v129, v6
	v_mul_f32_e32 v6, v130, v6
	v_fmac_f32_e32 v26, v126, v14
	s_waitcnt vmcnt(7)
	v_fma_f32 v5, v127, v15, -v5
	v_add_f32_e32 v2, v11, v25
	v_add_f32_e32 v1, v1, v4
	s_waitcnt lgkmcnt(1)
	v_mul_f32_e32 v118, v131, v7
	v_mul_f32_e32 v7, v132, v7
	v_fmac_f32_e32 v27, v128, v15
	s_waitcnt vmcnt(6)
	v_fma_f32 v6, v129, v16, -v6
	v_add_f32_e32 v2, v2, v26
	v_add_f32_e32 v1, v1, v5
	v_mul_f32_e32 v139, v133, v8
	v_mul_f32_e32 v8, v134, v8
	v_fmac_f32_e32 v28, v130, v16
	s_waitcnt vmcnt(5)
	v_fma_f32 v7, v131, v17, -v7
	v_add_f32_e32 v2, v2, v27
	v_add_f32_e32 v1, v1, v6
	s_waitcnt lgkmcnt(0)
	v_mul_f32_e32 v140, v135, v9
	v_mul_f32_e32 v9, v136, v9
	v_fmac_f32_e32 v118, v132, v17
	s_waitcnt vmcnt(4)
	v_fma_f32 v8, v133, v18, -v8
	v_add_f32_e32 v2, v2, v28
	v_add_f32_e32 v1, v1, v7
	v_mul_f32_e32 v141, v137, v10
	v_mul_f32_e32 v10, v138, v10
	v_fmac_f32_e32 v139, v134, v18
	s_waitcnt vmcnt(3)
	v_fma_f32 v9, v135, v19, -v9
	v_add_f32_e32 v2, v2, v118
	v_add_f32_e32 v1, v1, v8
	v_fmac_f32_e32 v140, v136, v19
	s_waitcnt vmcnt(2)
	v_fma_f32 v10, v137, v20, -v10
	v_add_f32_e32 v2, v2, v139
	v_add_f32_e32 v1, v1, v9
	v_fmac_f32_e32 v141, v138, v20
	v_add_f32_e32 v2, v2, v140
	v_add_f32_e32 v1, v1, v10
	;; [unrolled: 1-line block ×3, first 2 shown]
	s_waitcnt vmcnt(1)
	v_sub_f32_e32 v1, v21, v1
	s_waitcnt vmcnt(0)
	v_sub_f32_e32 v2, v22, v2
	buffer_store_dword v1, off, s[0:3], 0 offset:376
	buffer_store_dword v2, off, s[0:3], 0 offset:380
	s_and_saveexec_b64 s[4:5], vcc
	s_cbranch_execz .LBB57_269
; %bb.268:
	buffer_load_dword v1, off, s[0:3], 0 offset:368
	buffer_load_dword v2, off, s[0:3], 0 offset:372
	v_mov_b32_e32 v3, 0
	buffer_store_dword v3, off, s[0:3], 0 offset:368
	buffer_store_dword v3, off, s[0:3], 0 offset:372
	s_waitcnt vmcnt(2)
	ds_write_b64 v117, v[1:2]
.LBB57_269:
	s_or_b64 exec, exec, s[4:5]
	s_waitcnt lgkmcnt(0)
	; wave barrier
	buffer_load_dword v3, off, s[0:3], 0 offset:380
	buffer_load_dword v4, off, s[0:3], 0 offset:388
	;; [unrolled: 1-line block ×24, first 2 shown]
	v_mov_b32_e32 v118, 0
	ds_read2_b64 v[119:122], v118 offset0:105 offset1:106
	ds_read2_b64 v[123:126], v118 offset0:107 offset1:108
	;; [unrolled: 1-line block ×5, first 2 shown]
	ds_read_b64 v[1:2], v118 offset:920
	v_cmp_lt_u32_e32 vcc, 45, v0
	s_waitcnt vmcnt(23) lgkmcnt(5)
	v_mul_f32_e32 v27, v119, v3
	v_mul_f32_e32 v3, v120, v3
	s_waitcnt vmcnt(22)
	v_mul_f32_e32 v28, v121, v4
	v_mul_f32_e32 v4, v122, v4
	s_waitcnt vmcnt(21) lgkmcnt(4)
	v_mul_f32_e32 v139, v123, v5
	v_mul_f32_e32 v5, v124, v5
	s_waitcnt vmcnt(20)
	v_mul_f32_e32 v140, v125, v6
	v_mul_f32_e32 v6, v126, v6
	s_waitcnt vmcnt(19) lgkmcnt(3)
	v_mul_f32_e32 v141, v127, v7
	v_mul_f32_e32 v7, v128, v7
	s_waitcnt vmcnt(18)
	v_mul_f32_e32 v142, v129, v8
	s_waitcnt vmcnt(12)
	v_fma_f32 v3, v119, v14, -v3
	v_fmac_f32_e32 v27, v120, v14
	s_waitcnt vmcnt(11)
	v_fma_f32 v4, v121, v15, -v4
	v_add_f32_e32 v3, 0, v3
	v_fmac_f32_e32 v28, v122, v15
	s_waitcnt vmcnt(10)
	v_fma_f32 v5, v123, v16, -v5
	v_add_f32_e32 v14, 0, v27
	v_add_f32_e32 v3, v3, v4
	v_fmac_f32_e32 v139, v124, v16
	s_waitcnt vmcnt(9)
	v_fma_f32 v6, v125, v17, -v6
	v_add_f32_e32 v14, v14, v28
	v_add_f32_e32 v3, v3, v5
	v_mul_f32_e32 v8, v130, v8
	v_fmac_f32_e32 v140, v126, v17
	s_waitcnt vmcnt(8)
	v_fma_f32 v7, v127, v18, -v7
	v_add_f32_e32 v4, v14, v139
	v_add_f32_e32 v3, v3, v6
	s_waitcnt lgkmcnt(2)
	v_mul_f32_e32 v143, v131, v9
	v_mul_f32_e32 v9, v132, v9
	v_fmac_f32_e32 v141, v128, v18
	s_waitcnt vmcnt(7)
	v_fma_f32 v8, v129, v19, -v8
	v_add_f32_e32 v4, v4, v140
	v_add_f32_e32 v3, v3, v7
	v_mul_f32_e32 v144, v133, v10
	v_mul_f32_e32 v10, v134, v10
	v_fmac_f32_e32 v142, v130, v19
	s_waitcnt vmcnt(6)
	v_fma_f32 v9, v131, v20, -v9
	v_add_f32_e32 v4, v4, v141
	v_add_f32_e32 v3, v3, v8
	s_waitcnt lgkmcnt(1)
	v_mul_f32_e32 v145, v135, v11
	v_mul_f32_e32 v11, v136, v11
	v_fmac_f32_e32 v143, v132, v20
	s_waitcnt vmcnt(5)
	v_fma_f32 v10, v133, v21, -v10
	v_add_f32_e32 v4, v4, v142
	v_add_f32_e32 v3, v3, v9
	s_waitcnt lgkmcnt(0)
	v_mul_f32_e32 v147, v1, v13
	v_fmac_f32_e32 v144, v134, v21
	s_waitcnt vmcnt(4)
	v_fma_f32 v11, v135, v22, -v11
	v_add_f32_e32 v4, v4, v143
	v_add_f32_e32 v3, v3, v10
	v_mul_f32_e32 v5, v138, v12
	v_mul_f32_e32 v146, v137, v12
	v_fmac_f32_e32 v145, v136, v22
	s_waitcnt vmcnt(2)
	v_fmac_f32_e32 v147, v2, v24
	v_add_f32_e32 v4, v4, v144
	v_add_f32_e32 v3, v3, v11
	v_fma_f32 v5, v137, v23, -v5
	v_mul_f32_e32 v2, v2, v13
	v_fmac_f32_e32 v146, v138, v23
	v_add_f32_e32 v4, v4, v145
	v_add_f32_e32 v3, v3, v5
	v_fma_f32 v1, v1, v24, -v2
	v_add_f32_e32 v4, v4, v146
	v_add_f32_e32 v1, v3, v1
	;; [unrolled: 1-line block ×3, first 2 shown]
	s_waitcnt vmcnt(1)
	v_sub_f32_e32 v1, v25, v1
	s_waitcnt vmcnt(0)
	v_sub_f32_e32 v2, v26, v4
	buffer_store_dword v1, off, s[0:3], 0 offset:368
	buffer_store_dword v2, off, s[0:3], 0 offset:372
	s_and_saveexec_b64 s[4:5], vcc
	s_cbranch_execz .LBB57_271
; %bb.270:
	buffer_load_dword v1, off, s[0:3], 0 offset:360
	buffer_load_dword v2, off, s[0:3], 0 offset:364
	s_waitcnt vmcnt(0)
	ds_write_b64 v117, v[1:2]
	buffer_store_dword v118, off, s[0:3], 0 offset:360
	buffer_store_dword v118, off, s[0:3], 0 offset:364
.LBB57_271:
	s_or_b64 exec, exec, s[4:5]
	s_waitcnt lgkmcnt(0)
	; wave barrier
	buffer_load_dword v1, off, s[0:3], 0 offset:372
	buffer_load_dword v2, off, s[0:3], 0 offset:380
	buffer_load_dword v3, off, s[0:3], 0 offset:388
	buffer_load_dword v4, off, s[0:3], 0 offset:396
	buffer_load_dword v5, off, s[0:3], 0 offset:404
	buffer_load_dword v6, off, s[0:3], 0 offset:412
	buffer_load_dword v7, off, s[0:3], 0 offset:420
	buffer_load_dword v8, off, s[0:3], 0 offset:428
	buffer_load_dword v9, off, s[0:3], 0 offset:436
	buffer_load_dword v10, off, s[0:3], 0 offset:444
	buffer_load_dword v11, off, s[0:3], 0 offset:452
	buffer_load_dword v12, off, s[0:3], 0 offset:460
	buffer_load_dword v13, off, s[0:3], 0 offset:368
	buffer_load_dword v14, off, s[0:3], 0 offset:376
	buffer_load_dword v15, off, s[0:3], 0 offset:384
	buffer_load_dword v16, off, s[0:3], 0 offset:392
	buffer_load_dword v17, off, s[0:3], 0 offset:400
	buffer_load_dword v18, off, s[0:3], 0 offset:408
	buffer_load_dword v19, off, s[0:3], 0 offset:416
	buffer_load_dword v20, off, s[0:3], 0 offset:424
	buffer_load_dword v21, off, s[0:3], 0 offset:432
	buffer_load_dword v22, off, s[0:3], 0 offset:440
	buffer_load_dword v23, off, s[0:3], 0 offset:448
	buffer_load_dword v24, off, s[0:3], 0 offset:456
	buffer_load_dword v25, off, s[0:3], 0 offset:360
	buffer_load_dword v26, off, s[0:3], 0 offset:364
	ds_read_b128 v[119:122], v118 offset:832
	ds_read_b128 v[123:126], v118 offset:848
	;; [unrolled: 1-line block ×6, first 2 shown]
	v_cmp_lt_u32_e32 vcc, 44, v0
	s_waitcnt vmcnt(25) lgkmcnt(5)
	v_mul_f32_e32 v27, v119, v1
	v_mul_f32_e32 v1, v120, v1
	s_waitcnt vmcnt(24)
	v_mul_f32_e32 v28, v121, v2
	v_mul_f32_e32 v2, v122, v2
	s_waitcnt vmcnt(23) lgkmcnt(4)
	v_mul_f32_e32 v118, v123, v3
	v_mul_f32_e32 v3, v124, v3
	s_waitcnt vmcnt(22)
	v_mul_f32_e32 v143, v125, v4
	v_mul_f32_e32 v4, v126, v4
	;; [unrolled: 6-line block ×3, first 2 shown]
	s_waitcnt vmcnt(13)
	v_fma_f32 v1, v119, v13, -v1
	s_waitcnt vmcnt(12)
	v_fma_f32 v2, v121, v14, -v2
	v_add_f32_e32 v1, 0, v1
	s_waitcnt vmcnt(11)
	v_fma_f32 v3, v123, v15, -v3
	v_add_f32_e32 v1, v1, v2
	;; [unrolled: 3-line block ×3, first 2 shown]
	v_fmac_f32_e32 v27, v120, v13
	s_waitcnt vmcnt(9)
	v_fma_f32 v5, v127, v17, -v5
	v_add_f32_e32 v1, v1, v4
	s_waitcnt lgkmcnt(2)
	v_mul_f32_e32 v146, v131, v7
	v_mul_f32_e32 v7, v132, v7
	v_fmac_f32_e32 v28, v122, v14
	s_waitcnt vmcnt(8)
	v_fma_f32 v6, v129, v18, -v6
	v_add_f32_e32 v13, 0, v27
	v_add_f32_e32 v1, v1, v5
	v_mul_f32_e32 v147, v133, v8
	v_mul_f32_e32 v8, v134, v8
	v_fmac_f32_e32 v118, v124, v15
	s_waitcnt vmcnt(7)
	v_fma_f32 v7, v131, v19, -v7
	v_add_f32_e32 v13, v13, v28
	v_add_f32_e32 v1, v1, v6
	v_fmac_f32_e32 v143, v126, v16
	s_waitcnt vmcnt(6)
	v_fma_f32 v8, v133, v20, -v8
	v_add_f32_e32 v2, v13, v118
	v_add_f32_e32 v1, v1, v7
	s_waitcnt lgkmcnt(1)
	v_mul_f32_e32 v3, v136, v9
	v_fmac_f32_e32 v144, v128, v17
	v_add_f32_e32 v2, v2, v143
	v_add_f32_e32 v1, v1, v8
	s_waitcnt vmcnt(5)
	v_fma_f32 v3, v135, v21, -v3
	v_fmac_f32_e32 v145, v130, v18
	v_add_f32_e32 v2, v2, v144
	v_add_f32_e32 v1, v1, v3
	v_mul_f32_e32 v3, v138, v10
	v_fmac_f32_e32 v146, v132, v19
	v_add_f32_e32 v2, v2, v145
	s_waitcnt vmcnt(4)
	v_fma_f32 v3, v137, v22, -v3
	v_mul_f32_e32 v148, v135, v9
	v_fmac_f32_e32 v147, v134, v20
	v_add_f32_e32 v2, v2, v146
	v_add_f32_e32 v1, v1, v3
	s_waitcnt lgkmcnt(0)
	v_mul_f32_e32 v3, v140, v11
	v_mul_f32_e32 v149, v137, v10
	v_fmac_f32_e32 v148, v136, v21
	v_add_f32_e32 v2, v2, v147
	s_waitcnt vmcnt(3)
	v_fma_f32 v3, v139, v23, -v3
	v_mul_f32_e32 v150, v139, v11
	v_fmac_f32_e32 v149, v138, v22
	v_add_f32_e32 v2, v2, v148
	v_add_f32_e32 v1, v1, v3
	v_mul_f32_e32 v3, v142, v12
	v_mul_f32_e32 v151, v141, v12
	v_fmac_f32_e32 v150, v140, v23
	v_add_f32_e32 v2, v2, v149
	s_waitcnt vmcnt(2)
	v_fma_f32 v3, v141, v24, -v3
	v_fmac_f32_e32 v151, v142, v24
	v_add_f32_e32 v2, v2, v150
	v_add_f32_e32 v1, v1, v3
	;; [unrolled: 1-line block ×3, first 2 shown]
	s_waitcnt vmcnt(1)
	v_sub_f32_e32 v1, v25, v1
	s_waitcnt vmcnt(0)
	v_sub_f32_e32 v2, v26, v2
	buffer_store_dword v1, off, s[0:3], 0 offset:360
	buffer_store_dword v2, off, s[0:3], 0 offset:364
	s_and_saveexec_b64 s[4:5], vcc
	s_cbranch_execz .LBB57_273
; %bb.272:
	buffer_load_dword v1, off, s[0:3], 0 offset:352
	buffer_load_dword v2, off, s[0:3], 0 offset:356
	v_mov_b32_e32 v3, 0
	buffer_store_dword v3, off, s[0:3], 0 offset:352
	buffer_store_dword v3, off, s[0:3], 0 offset:356
	s_waitcnt vmcnt(2)
	ds_write_b64 v117, v[1:2]
.LBB57_273:
	s_or_b64 exec, exec, s[4:5]
	s_waitcnt lgkmcnt(0)
	; wave barrier
	buffer_load_dword v3, off, s[0:3], 0 offset:364
	buffer_load_dword v4, off, s[0:3], 0 offset:372
	;; [unrolled: 1-line block ×28, first 2 shown]
	v_mov_b32_e32 v118, 0
	ds_read2_b64 v[119:122], v118 offset0:103 offset1:104
	ds_read2_b64 v[123:126], v118 offset0:105 offset1:106
	;; [unrolled: 1-line block ×6, first 2 shown]
	ds_read_b64 v[1:2], v118 offset:920
	v_cmp_lt_u32_e32 vcc, 43, v0
	s_waitcnt vmcnt(27) lgkmcnt(6)
	v_mul_f32_e32 v145, v119, v3
	v_mul_f32_e32 v3, v120, v3
	s_waitcnt vmcnt(26)
	v_mul_f32_e32 v146, v121, v4
	v_mul_f32_e32 v4, v122, v4
	s_waitcnt vmcnt(25) lgkmcnt(5)
	v_mul_f32_e32 v147, v123, v5
	v_mul_f32_e32 v5, v124, v5
	s_waitcnt vmcnt(24)
	v_mul_f32_e32 v148, v125, v6
	v_mul_f32_e32 v6, v126, v6
	;; [unrolled: 6-line block ×3, first 2 shown]
	s_waitcnt vmcnt(21) lgkmcnt(3)
	v_mul_f32_e32 v151, v131, v9
	s_waitcnt vmcnt(14)
	v_fma_f32 v3, v119, v16, -v3
	s_waitcnt vmcnt(13)
	v_fma_f32 v4, v121, v17, -v4
	v_add_f32_e32 v3, 0, v3
	s_waitcnt vmcnt(12)
	v_fma_f32 v5, v123, v18, -v5
	v_add_f32_e32 v3, v3, v4
	;; [unrolled: 3-line block ×5, first 2 shown]
	v_mul_f32_e32 v5, v132, v9
	v_fmac_f32_e32 v145, v120, v16
	v_add_f32_e32 v3, v3, v8
	s_waitcnt vmcnt(8)
	v_fma_f32 v5, v131, v22, -v5
	v_fmac_f32_e32 v146, v122, v17
	v_add_f32_e32 v16, 0, v145
	v_add_f32_e32 v3, v3, v5
	v_mul_f32_e32 v5, v134, v10
	v_fmac_f32_e32 v147, v124, v18
	v_add_f32_e32 v16, v16, v146
	s_waitcnt vmcnt(7)
	v_fma_f32 v5, v133, v23, -v5
	v_fmac_f32_e32 v148, v126, v19
	v_add_f32_e32 v4, v16, v147
	v_add_f32_e32 v3, v3, v5
	s_waitcnt lgkmcnt(2)
	v_mul_f32_e32 v5, v136, v11
	v_fmac_f32_e32 v149, v128, v20
	v_add_f32_e32 v4, v4, v148
	s_waitcnt vmcnt(6)
	v_fma_f32 v5, v135, v24, -v5
	v_fmac_f32_e32 v150, v130, v21
	v_add_f32_e32 v4, v4, v149
	v_add_f32_e32 v3, v3, v5
	v_mul_f32_e32 v5, v138, v12
	v_mul_f32_e32 v152, v133, v10
	v_fmac_f32_e32 v151, v132, v22
	v_add_f32_e32 v4, v4, v150
	s_waitcnt vmcnt(5)
	v_fma_f32 v5, v137, v25, -v5
	v_mul_f32_e32 v153, v135, v11
	v_fmac_f32_e32 v152, v134, v23
	v_add_f32_e32 v4, v4, v151
	v_add_f32_e32 v3, v3, v5
	s_waitcnt lgkmcnt(1)
	v_mul_f32_e32 v5, v140, v13
	v_mul_f32_e32 v154, v137, v12
	v_fmac_f32_e32 v153, v136, v24
	v_add_f32_e32 v4, v4, v152
	s_waitcnt vmcnt(4)
	v_fma_f32 v5, v139, v26, -v5
	v_mul_f32_e32 v155, v139, v13
	s_waitcnt lgkmcnt(0)
	v_mul_f32_e32 v157, v1, v15
	v_fmac_f32_e32 v154, v138, v25
	v_add_f32_e32 v4, v4, v153
	v_add_f32_e32 v3, v3, v5
	v_mul_f32_e32 v5, v142, v14
	v_mul_f32_e32 v156, v141, v14
	v_fmac_f32_e32 v155, v140, v26
	s_waitcnt vmcnt(2)
	v_fmac_f32_e32 v157, v2, v28
	v_add_f32_e32 v4, v4, v154
	v_fma_f32 v5, v141, v27, -v5
	v_mul_f32_e32 v2, v2, v15
	v_fmac_f32_e32 v156, v142, v27
	v_add_f32_e32 v4, v4, v155
	v_add_f32_e32 v3, v3, v5
	v_fma_f32 v1, v1, v28, -v2
	v_add_f32_e32 v4, v4, v156
	v_add_f32_e32 v1, v3, v1
	;; [unrolled: 1-line block ×3, first 2 shown]
	s_waitcnt vmcnt(1)
	v_sub_f32_e32 v1, v143, v1
	s_waitcnt vmcnt(0)
	v_sub_f32_e32 v2, v144, v4
	buffer_store_dword v1, off, s[0:3], 0 offset:352
	buffer_store_dword v2, off, s[0:3], 0 offset:356
	s_and_saveexec_b64 s[4:5], vcc
	s_cbranch_execz .LBB57_275
; %bb.274:
	buffer_load_dword v1, off, s[0:3], 0 offset:344
	buffer_load_dword v2, off, s[0:3], 0 offset:348
	s_waitcnt vmcnt(0)
	ds_write_b64 v117, v[1:2]
	buffer_store_dword v118, off, s[0:3], 0 offset:344
	buffer_store_dword v118, off, s[0:3], 0 offset:348
.LBB57_275:
	s_or_b64 exec, exec, s[4:5]
	s_waitcnt lgkmcnt(0)
	; wave barrier
	buffer_load_dword v1, off, s[0:3], 0 offset:356
	buffer_load_dword v2, off, s[0:3], 0 offset:364
	;; [unrolled: 1-line block ×30, first 2 shown]
	ds_read_b128 v[119:122], v118 offset:816
	ds_read_b128 v[123:126], v118 offset:832
	;; [unrolled: 1-line block ×7, first 2 shown]
	v_cmp_lt_u32_e32 vcc, 42, v0
	s_waitcnt vmcnt(29) lgkmcnt(6)
	v_mul_f32_e32 v118, v119, v1
	v_mul_f32_e32 v1, v120, v1
	s_waitcnt vmcnt(28)
	v_mul_f32_e32 v149, v121, v2
	v_mul_f32_e32 v2, v122, v2
	s_waitcnt vmcnt(27) lgkmcnt(5)
	v_mul_f32_e32 v150, v123, v3
	v_mul_f32_e32 v3, v124, v3
	s_waitcnt vmcnt(26)
	v_mul_f32_e32 v151, v125, v4
	v_mul_f32_e32 v4, v126, v4
	s_waitcnt vmcnt(25) lgkmcnt(4)
	v_mul_f32_e32 v152, v127, v5
	v_mul_f32_e32 v5, v128, v5
	s_waitcnt vmcnt(24)
	v_mul_f32_e32 v153, v129, v6
	s_waitcnt vmcnt(23) lgkmcnt(3)
	v_mul_f32_e32 v154, v131, v7
	s_waitcnt vmcnt(22)
	v_mul_f32_e32 v155, v133, v8
	s_waitcnt vmcnt(21) lgkmcnt(2)
	v_mul_f32_e32 v156, v135, v9
	s_waitcnt vmcnt(15)
	v_fma_f32 v1, v119, v15, -v1
	s_waitcnt vmcnt(14)
	v_fma_f32 v2, v121, v16, -v2
	v_add_f32_e32 v1, 0, v1
	s_waitcnt vmcnt(13)
	v_fma_f32 v3, v123, v17, -v3
	v_add_f32_e32 v1, v1, v2
	;; [unrolled: 3-line block ×4, first 2 shown]
	v_mul_f32_e32 v3, v130, v6
	v_add_f32_e32 v1, v1, v5
	s_waitcnt vmcnt(10)
	v_fma_f32 v3, v129, v20, -v3
	v_add_f32_e32 v1, v1, v3
	v_mul_f32_e32 v3, v132, v7
	s_waitcnt vmcnt(9)
	v_fma_f32 v3, v131, v21, -v3
	v_add_f32_e32 v1, v1, v3
	v_mul_f32_e32 v3, v134, v8
	v_fmac_f32_e32 v118, v120, v15
	s_waitcnt vmcnt(8)
	v_fma_f32 v3, v133, v22, -v3
	v_fmac_f32_e32 v149, v122, v16
	v_add_f32_e32 v15, 0, v118
	v_add_f32_e32 v1, v1, v3
	v_mul_f32_e32 v3, v136, v9
	v_fmac_f32_e32 v150, v124, v17
	v_add_f32_e32 v15, v15, v149
	s_waitcnt vmcnt(7)
	v_fma_f32 v3, v135, v23, -v3
	v_fmac_f32_e32 v151, v126, v18
	v_add_f32_e32 v2, v15, v150
	v_add_f32_e32 v1, v1, v3
	v_mul_f32_e32 v3, v138, v10
	v_fmac_f32_e32 v152, v128, v19
	v_add_f32_e32 v2, v2, v151
	s_waitcnt vmcnt(6)
	v_fma_f32 v3, v137, v24, -v3
	v_fmac_f32_e32 v153, v130, v20
	v_add_f32_e32 v2, v2, v152
	v_add_f32_e32 v1, v1, v3
	s_waitcnt lgkmcnt(1)
	v_mul_f32_e32 v3, v140, v11
	v_fmac_f32_e32 v154, v132, v21
	v_add_f32_e32 v2, v2, v153
	s_waitcnt vmcnt(5)
	v_fma_f32 v3, v139, v25, -v3
	v_fmac_f32_e32 v155, v134, v22
	v_add_f32_e32 v2, v2, v154
	v_add_f32_e32 v1, v1, v3
	v_mul_f32_e32 v3, v142, v12
	v_mul_f32_e32 v157, v137, v10
	v_fmac_f32_e32 v156, v136, v23
	v_add_f32_e32 v2, v2, v155
	s_waitcnt vmcnt(4)
	v_fma_f32 v3, v141, v26, -v3
	v_mul_f32_e32 v158, v139, v11
	v_fmac_f32_e32 v157, v138, v24
	v_add_f32_e32 v2, v2, v156
	v_add_f32_e32 v1, v1, v3
	s_waitcnt lgkmcnt(0)
	v_mul_f32_e32 v3, v144, v13
	v_mul_f32_e32 v159, v141, v12
	v_fmac_f32_e32 v158, v140, v25
	v_add_f32_e32 v2, v2, v157
	s_waitcnt vmcnt(3)
	v_fma_f32 v3, v143, v27, -v3
	v_mul_f32_e32 v160, v143, v13
	v_fmac_f32_e32 v159, v142, v26
	v_add_f32_e32 v2, v2, v158
	v_add_f32_e32 v1, v1, v3
	v_mul_f32_e32 v3, v146, v14
	v_mul_f32_e32 v161, v145, v14
	v_fmac_f32_e32 v160, v144, v27
	v_add_f32_e32 v2, v2, v159
	s_waitcnt vmcnt(2)
	v_fma_f32 v3, v145, v28, -v3
	v_fmac_f32_e32 v161, v146, v28
	v_add_f32_e32 v2, v2, v160
	v_add_f32_e32 v1, v1, v3
	;; [unrolled: 1-line block ×3, first 2 shown]
	s_waitcnt vmcnt(1)
	v_sub_f32_e32 v1, v147, v1
	s_waitcnt vmcnt(0)
	v_sub_f32_e32 v2, v148, v2
	buffer_store_dword v1, off, s[0:3], 0 offset:344
	buffer_store_dword v2, off, s[0:3], 0 offset:348
	s_and_saveexec_b64 s[4:5], vcc
	s_cbranch_execz .LBB57_277
; %bb.276:
	buffer_load_dword v1, off, s[0:3], 0 offset:336
	buffer_load_dword v2, off, s[0:3], 0 offset:340
	v_mov_b32_e32 v3, 0
	buffer_store_dword v3, off, s[0:3], 0 offset:336
	buffer_store_dword v3, off, s[0:3], 0 offset:340
	s_waitcnt vmcnt(2)
	ds_write_b64 v117, v[1:2]
.LBB57_277:
	s_or_b64 exec, exec, s[4:5]
	s_waitcnt lgkmcnt(0)
	; wave barrier
	buffer_load_dword v3, off, s[0:3], 0 offset:348
	buffer_load_dword v4, off, s[0:3], 0 offset:356
	;; [unrolled: 1-line block ×32, first 2 shown]
	v_mov_b32_e32 v118, 0
	ds_read2_b64 v[119:122], v118 offset0:101 offset1:102
	ds_read2_b64 v[123:126], v118 offset0:103 offset1:104
	;; [unrolled: 1-line block ×7, first 2 shown]
	ds_read_b64 v[1:2], v118 offset:920
	v_cmp_lt_u32_e32 vcc, 41, v0
	s_waitcnt vmcnt(31) lgkmcnt(7)
	v_mul_f32_e32 v153, v119, v3
	v_mul_f32_e32 v3, v120, v3
	s_waitcnt vmcnt(30)
	v_mul_f32_e32 v154, v121, v4
	v_mul_f32_e32 v4, v122, v4
	s_waitcnt vmcnt(29) lgkmcnt(6)
	v_mul_f32_e32 v155, v123, v5
	v_mul_f32_e32 v5, v124, v5
	s_waitcnt vmcnt(28)
	v_mul_f32_e32 v156, v125, v6
	s_waitcnt vmcnt(27) lgkmcnt(5)
	v_mul_f32_e32 v157, v127, v7
	s_waitcnt vmcnt(26)
	v_mul_f32_e32 v158, v129, v8
	s_waitcnt vmcnt(25) lgkmcnt(4)
	;; [unrolled: 4-line block ×4, first 2 shown]
	v_mul_f32_e32 v163, v139, v13
	s_waitcnt vmcnt(20)
	v_mul_f32_e32 v164, v141, v14
	s_waitcnt vmcnt(16)
	v_fma_f32 v3, v119, v18, -v3
	s_waitcnt vmcnt(15)
	v_fma_f32 v4, v121, v19, -v4
	v_add_f32_e32 v3, 0, v3
	s_waitcnt vmcnt(14)
	v_fma_f32 v5, v123, v20, -v5
	v_add_f32_e32 v3, v3, v4
	v_add_f32_e32 v3, v3, v5
	v_mul_f32_e32 v5, v126, v6
	s_waitcnt vmcnt(13)
	v_fma_f32 v5, v125, v21, -v5
	v_add_f32_e32 v3, v3, v5
	v_mul_f32_e32 v5, v128, v7
	s_waitcnt vmcnt(12)
	v_fma_f32 v5, v127, v22, -v5
	;; [unrolled: 4-line block ×4, first 2 shown]
	v_add_f32_e32 v3, v3, v5
	v_mul_f32_e32 v5, v134, v10
	v_fmac_f32_e32 v153, v120, v18
	s_waitcnt vmcnt(9)
	v_fma_f32 v5, v133, v25, -v5
	v_fmac_f32_e32 v154, v122, v19
	v_add_f32_e32 v18, 0, v153
	v_add_f32_e32 v3, v3, v5
	v_mul_f32_e32 v5, v136, v11
	v_fmac_f32_e32 v155, v124, v20
	v_add_f32_e32 v18, v18, v154
	s_waitcnt vmcnt(8)
	v_fma_f32 v5, v135, v26, -v5
	v_fmac_f32_e32 v156, v126, v21
	v_add_f32_e32 v4, v18, v155
	v_add_f32_e32 v3, v3, v5
	v_mul_f32_e32 v5, v138, v12
	v_fmac_f32_e32 v157, v128, v22
	v_add_f32_e32 v4, v4, v156
	;; [unrolled: 8-line block ×4, first 2 shown]
	s_waitcnt vmcnt(5)
	v_fma_f32 v5, v141, v147, -v5
	v_fmac_f32_e32 v162, v138, v27
	v_add_f32_e32 v4, v4, v161
	v_add_f32_e32 v3, v3, v5
	s_waitcnt lgkmcnt(1)
	v_mul_f32_e32 v5, v144, v15
	v_fmac_f32_e32 v163, v140, v28
	v_add_f32_e32 v4, v4, v162
	s_waitcnt vmcnt(4)
	v_fma_f32 v5, v143, v148, -v5
	v_mul_f32_e32 v165, v143, v15
	s_waitcnt lgkmcnt(0)
	v_mul_f32_e32 v167, v1, v17
	v_fmac_f32_e32 v164, v142, v147
	v_add_f32_e32 v4, v4, v163
	v_add_f32_e32 v3, v3, v5
	v_mul_f32_e32 v5, v146, v16
	v_mul_f32_e32 v166, v145, v16
	v_fmac_f32_e32 v165, v144, v148
	s_waitcnt vmcnt(2)
	v_fmac_f32_e32 v167, v2, v150
	v_add_f32_e32 v4, v4, v164
	v_fma_f32 v5, v145, v149, -v5
	v_mul_f32_e32 v2, v2, v17
	v_fmac_f32_e32 v166, v146, v149
	v_add_f32_e32 v4, v4, v165
	v_add_f32_e32 v3, v3, v5
	v_fma_f32 v1, v1, v150, -v2
	v_add_f32_e32 v4, v4, v166
	v_add_f32_e32 v1, v3, v1
	;; [unrolled: 1-line block ×3, first 2 shown]
	s_waitcnt vmcnt(1)
	v_sub_f32_e32 v1, v151, v1
	s_waitcnt vmcnt(0)
	v_sub_f32_e32 v2, v152, v4
	buffer_store_dword v1, off, s[0:3], 0 offset:336
	buffer_store_dword v2, off, s[0:3], 0 offset:340
	s_and_saveexec_b64 s[4:5], vcc
	s_cbranch_execz .LBB57_279
; %bb.278:
	buffer_load_dword v1, off, s[0:3], 0 offset:328
	buffer_load_dword v2, off, s[0:3], 0 offset:332
	s_waitcnt vmcnt(0)
	ds_write_b64 v117, v[1:2]
	buffer_store_dword v118, off, s[0:3], 0 offset:328
	buffer_store_dword v118, off, s[0:3], 0 offset:332
.LBB57_279:
	s_or_b64 exec, exec, s[4:5]
	s_waitcnt lgkmcnt(0)
	; wave barrier
	buffer_load_dword v1, off, s[0:3], 0 offset:340
	buffer_load_dword v2, off, s[0:3], 0 offset:348
	;; [unrolled: 1-line block ×34, first 2 shown]
	ds_read_b128 v[119:122], v118 offset:800
	ds_read_b128 v[123:126], v118 offset:816
	;; [unrolled: 1-line block ×8, first 2 shown]
	v_cmp_lt_u32_e32 vcc, 40, v0
	s_waitcnt vmcnt(33) lgkmcnt(7)
	v_mul_f32_e32 v118, v119, v1
	v_mul_f32_e32 v1, v120, v1
	s_waitcnt vmcnt(32)
	v_mul_f32_e32 v157, v121, v2
	v_mul_f32_e32 v2, v122, v2
	s_waitcnt vmcnt(31) lgkmcnt(6)
	v_mul_f32_e32 v158, v123, v3
	v_mul_f32_e32 v3, v124, v3
	s_waitcnt vmcnt(30)
	v_mul_f32_e32 v159, v125, v4
	s_waitcnt vmcnt(29) lgkmcnt(5)
	v_mul_f32_e32 v160, v127, v5
	s_waitcnt vmcnt(28)
	v_mul_f32_e32 v161, v129, v6
	s_waitcnt vmcnt(27) lgkmcnt(4)
	;; [unrolled: 4-line block ×5, first 2 shown]
	v_mul_f32_e32 v168, v143, v13
	s_waitcnt vmcnt(17)
	v_fma_f32 v1, v119, v17, -v1
	s_waitcnt vmcnt(16)
	v_fma_f32 v2, v121, v18, -v2
	v_add_f32_e32 v1, 0, v1
	v_add_f32_e32 v1, v1, v2
	s_waitcnt vmcnt(15)
	v_fma_f32 v3, v123, v19, -v3
	v_add_f32_e32 v1, v1, v3
	v_mul_f32_e32 v3, v126, v4
	s_waitcnt vmcnt(14)
	v_fma_f32 v3, v125, v20, -v3
	v_add_f32_e32 v1, v1, v3
	v_mul_f32_e32 v3, v128, v5
	;; [unrolled: 4-line block ×6, first 2 shown]
	v_fmac_f32_e32 v118, v120, v17
	s_waitcnt vmcnt(9)
	v_fma_f32 v3, v135, v25, -v3
	v_fmac_f32_e32 v157, v122, v18
	v_add_f32_e32 v17, 0, v118
	v_add_f32_e32 v1, v1, v3
	v_mul_f32_e32 v3, v138, v10
	v_fmac_f32_e32 v158, v124, v19
	v_add_f32_e32 v17, v17, v157
	s_waitcnt vmcnt(8)
	v_fma_f32 v3, v137, v26, -v3
	v_fmac_f32_e32 v159, v126, v20
	v_add_f32_e32 v2, v17, v158
	v_add_f32_e32 v1, v1, v3
	v_mul_f32_e32 v3, v140, v11
	v_fmac_f32_e32 v160, v128, v21
	v_add_f32_e32 v2, v2, v159
	;; [unrolled: 8-line block ×5, first 2 shown]
	s_waitcnt vmcnt(4)
	v_fma_f32 v3, v145, v152, -v3
	v_fmac_f32_e32 v167, v142, v28
	v_add_f32_e32 v2, v2, v166
	v_add_f32_e32 v1, v1, v3
	s_waitcnt lgkmcnt(0)
	v_mul_f32_e32 v3, v148, v15
	v_mul_f32_e32 v169, v145, v14
	v_fmac_f32_e32 v168, v144, v151
	v_add_f32_e32 v2, v2, v167
	s_waitcnt vmcnt(3)
	v_fma_f32 v3, v147, v153, -v3
	v_mul_f32_e32 v170, v147, v15
	v_fmac_f32_e32 v169, v146, v152
	v_add_f32_e32 v2, v2, v168
	v_add_f32_e32 v1, v1, v3
	v_mul_f32_e32 v3, v150, v16
	v_mul_f32_e32 v171, v149, v16
	v_fmac_f32_e32 v170, v148, v153
	v_add_f32_e32 v2, v2, v169
	s_waitcnt vmcnt(2)
	v_fma_f32 v3, v149, v154, -v3
	v_fmac_f32_e32 v171, v150, v154
	v_add_f32_e32 v2, v2, v170
	v_add_f32_e32 v1, v1, v3
	;; [unrolled: 1-line block ×3, first 2 shown]
	s_waitcnt vmcnt(1)
	v_sub_f32_e32 v1, v155, v1
	s_waitcnt vmcnt(0)
	v_sub_f32_e32 v2, v156, v2
	buffer_store_dword v1, off, s[0:3], 0 offset:328
	buffer_store_dword v2, off, s[0:3], 0 offset:332
	s_and_saveexec_b64 s[4:5], vcc
	s_cbranch_execz .LBB57_281
; %bb.280:
	buffer_load_dword v1, off, s[0:3], 0 offset:320
	buffer_load_dword v2, off, s[0:3], 0 offset:324
	v_mov_b32_e32 v3, 0
	buffer_store_dword v3, off, s[0:3], 0 offset:320
	buffer_store_dword v3, off, s[0:3], 0 offset:324
	s_waitcnt vmcnt(2)
	ds_write_b64 v117, v[1:2]
.LBB57_281:
	s_or_b64 exec, exec, s[4:5]
	s_waitcnt lgkmcnt(0)
	; wave barrier
	buffer_load_dword v3, off, s[0:3], 0 offset:332
	buffer_load_dword v4, off, s[0:3], 0 offset:340
	;; [unrolled: 1-line block ×36, first 2 shown]
	v_mov_b32_e32 v118, 0
	ds_read2_b64 v[119:122], v118 offset0:99 offset1:100
	ds_read2_b64 v[123:126], v118 offset0:101 offset1:102
	;; [unrolled: 1-line block ×8, first 2 shown]
	ds_read_b64 v[1:2], v118 offset:920
	v_cmp_lt_u32_e32 vcc, 39, v0
	s_waitcnt vmcnt(35) lgkmcnt(8)
	v_mul_f32_e32 v161, v119, v3
	v_mul_f32_e32 v3, v120, v3
	s_waitcnt vmcnt(34)
	v_mul_f32_e32 v162, v121, v4
	v_mul_f32_e32 v4, v122, v4
	s_waitcnt vmcnt(33) lgkmcnt(7)
	v_mul_f32_e32 v163, v123, v5
	s_waitcnt vmcnt(32)
	v_mul_f32_e32 v164, v125, v6
	s_waitcnt vmcnt(31) lgkmcnt(6)
	v_mul_f32_e32 v165, v127, v7
	s_waitcnt vmcnt(30)
	;; [unrolled: 4-line block ×7, first 2 shown]
	v_fma_f32 v3, v119, v20, -v3
	v_add_f32_e32 v3, 0, v3
	s_waitcnt vmcnt(17)
	v_fma_f32 v4, v121, v21, -v4
	v_add_f32_e32 v3, v3, v4
	v_mul_f32_e32 v4, v124, v5
	s_waitcnt vmcnt(16)
	v_fma_f32 v4, v123, v22, -v4
	v_add_f32_e32 v3, v3, v4
	v_mul_f32_e32 v4, v126, v6
	;; [unrolled: 4-line block ×7, first 2 shown]
	v_fmac_f32_e32 v161, v120, v20
	s_waitcnt vmcnt(10)
	v_fma_f32 v4, v135, v28, -v4
	v_fmac_f32_e32 v162, v122, v21
	v_add_f32_e32 v161, 0, v161
	v_add_f32_e32 v3, v3, v4
	v_mul_f32_e32 v4, v138, v12
	v_fmac_f32_e32 v163, v124, v22
	v_add_f32_e32 v161, v161, v162
	s_waitcnt vmcnt(9)
	v_fma_f32 v4, v137, v151, -v4
	v_fmac_f32_e32 v164, v126, v23
	v_add_f32_e32 v161, v161, v163
	v_add_f32_e32 v3, v3, v4
	v_mul_f32_e32 v4, v140, v13
	v_fmac_f32_e32 v165, v128, v24
	v_add_f32_e32 v161, v161, v164
	;; [unrolled: 8-line block ×6, first 2 shown]
	s_waitcnt vmcnt(4)
	v_fma_f32 v4, v147, v156, -v4
	s_waitcnt lgkmcnt(0)
	v_mul_f32_e32 v177, v1, v19
	v_fmac_f32_e32 v174, v146, v155
	v_add_f32_e32 v161, v161, v173
	v_add_f32_e32 v3, v3, v4
	v_mul_f32_e32 v4, v150, v18
	v_mul_f32_e32 v176, v149, v18
	v_fmac_f32_e32 v175, v148, v156
	s_waitcnt vmcnt(2)
	v_fmac_f32_e32 v177, v2, v158
	v_add_f32_e32 v161, v161, v174
	v_fma_f32 v4, v149, v157, -v4
	v_mul_f32_e32 v2, v2, v19
	v_fmac_f32_e32 v176, v150, v157
	v_add_f32_e32 v161, v161, v175
	v_add_f32_e32 v3, v3, v4
	v_fma_f32 v1, v1, v158, -v2
	v_add_f32_e32 v161, v161, v176
	v_add_f32_e32 v1, v3, v1
	v_add_f32_e32 v161, v161, v177
	s_waitcnt vmcnt(1)
	v_sub_f32_e32 v1, v159, v1
	s_waitcnt vmcnt(0)
	v_sub_f32_e32 v2, v160, v161
	buffer_store_dword v1, off, s[0:3], 0 offset:320
	buffer_store_dword v2, off, s[0:3], 0 offset:324
	s_and_saveexec_b64 s[4:5], vcc
	s_cbranch_execz .LBB57_283
; %bb.282:
	buffer_load_dword v1, off, s[0:3], 0 offset:312
	buffer_load_dword v2, off, s[0:3], 0 offset:316
	s_waitcnt vmcnt(0)
	ds_write_b64 v117, v[1:2]
	buffer_store_dword v118, off, s[0:3], 0 offset:312
	buffer_store_dword v118, off, s[0:3], 0 offset:316
.LBB57_283:
	s_or_b64 exec, exec, s[4:5]
	s_waitcnt lgkmcnt(0)
	; wave barrier
	buffer_load_dword v1, off, s[0:3], 0 offset:324
	buffer_load_dword v2, off, s[0:3], 0 offset:332
	;; [unrolled: 1-line block ×38, first 2 shown]
	ds_read_b128 v[119:122], v118 offset:784
	ds_read_b128 v[123:126], v118 offset:800
	;; [unrolled: 1-line block ×9, first 2 shown]
	v_cmp_lt_u32_e32 vcc, 38, v0
	s_waitcnt vmcnt(37) lgkmcnt(8)
	v_mul_f32_e32 v118, v119, v1
	v_mul_f32_e32 v1, v120, v1
	s_waitcnt vmcnt(36)
	v_mul_f32_e32 v165, v121, v2
	v_mul_f32_e32 v2, v122, v2
	s_waitcnt vmcnt(35) lgkmcnt(7)
	v_mul_f32_e32 v166, v123, v3
	s_waitcnt vmcnt(34)
	v_mul_f32_e32 v167, v125, v4
	s_waitcnt vmcnt(33) lgkmcnt(6)
	v_mul_f32_e32 v168, v127, v5
	s_waitcnt vmcnt(32)
	;; [unrolled: 4-line block ×7, first 2 shown]
	v_fma_f32 v1, v119, v18, -v1
	v_add_f32_e32 v1, 0, v1
	s_waitcnt vmcnt(19)
	v_fma_f32 v2, v121, v19, -v2
	v_add_f32_e32 v1, v1, v2
	v_mul_f32_e32 v2, v124, v3
	s_waitcnt vmcnt(18)
	v_fma_f32 v2, v123, v20, -v2
	v_add_f32_e32 v1, v1, v2
	v_mul_f32_e32 v2, v126, v4
	;; [unrolled: 4-line block ×8, first 2 shown]
	v_fmac_f32_e32 v118, v120, v18
	s_waitcnt vmcnt(11)
	v_fma_f32 v2, v137, v27, -v2
	v_fmac_f32_e32 v165, v122, v19
	v_add_f32_e32 v118, 0, v118
	v_add_f32_e32 v1, v1, v2
	v_mul_f32_e32 v2, v140, v11
	v_fmac_f32_e32 v166, v124, v20
	v_add_f32_e32 v118, v118, v165
	s_waitcnt vmcnt(10)
	v_fma_f32 v2, v139, v28, -v2
	v_fmac_f32_e32 v167, v126, v21
	v_add_f32_e32 v118, v118, v166
	v_add_f32_e32 v1, v1, v2
	v_mul_f32_e32 v2, v142, v12
	v_fmac_f32_e32 v168, v128, v22
	v_add_f32_e32 v118, v118, v167
	;; [unrolled: 8-line block ×6, first 2 shown]
	s_waitcnt vmcnt(5)
	v_fma_f32 v2, v149, v159, -v2
	v_fmac_f32_e32 v177, v146, v157
	v_add_f32_e32 v118, v118, v176
	v_add_f32_e32 v1, v1, v2
	s_waitcnt lgkmcnt(0)
	v_mul_f32_e32 v2, v152, v17
	v_mul_f32_e32 v179, v149, v16
	v_fmac_f32_e32 v178, v148, v158
	v_add_f32_e32 v118, v118, v177
	s_waitcnt vmcnt(4)
	v_fma_f32 v2, v151, v160, -v2
	v_mul_f32_e32 v180, v151, v17
	v_fmac_f32_e32 v179, v150, v159
	v_add_f32_e32 v118, v118, v178
	v_add_f32_e32 v1, v1, v2
	s_waitcnt vmcnt(3)
	v_mul_f32_e32 v2, v154, v161
	v_add_f32_e32 v118, v118, v179
	v_fmac_f32_e32 v180, v152, v160
	v_mul_f32_e32 v165, v153, v161
	s_waitcnt vmcnt(2)
	v_fma_f32 v2, v153, v162, -v2
	v_add_f32_e32 v118, v118, v180
	v_fmac_f32_e32 v165, v154, v162
	v_add_f32_e32 v1, v1, v2
	v_add_f32_e32 v118, v118, v165
	s_waitcnt vmcnt(1)
	v_sub_f32_e32 v1, v163, v1
	s_waitcnt vmcnt(0)
	v_sub_f32_e32 v2, v164, v118
	buffer_store_dword v1, off, s[0:3], 0 offset:312
	buffer_store_dword v2, off, s[0:3], 0 offset:316
	s_and_saveexec_b64 s[4:5], vcc
	s_cbranch_execz .LBB57_285
; %bb.284:
	buffer_load_dword v1, off, s[0:3], 0 offset:304
	buffer_load_dword v2, off, s[0:3], 0 offset:308
	v_mov_b32_e32 v3, 0
	buffer_store_dword v3, off, s[0:3], 0 offset:304
	buffer_store_dword v3, off, s[0:3], 0 offset:308
	s_waitcnt vmcnt(2)
	ds_write_b64 v117, v[1:2]
.LBB57_285:
	s_or_b64 exec, exec, s[4:5]
	s_waitcnt lgkmcnt(0)
	; wave barrier
	buffer_load_dword v3, off, s[0:3], 0 offset:316
	buffer_load_dword v4, off, s[0:3], 0 offset:324
	;; [unrolled: 1-line block ×40, first 2 shown]
	v_mov_b32_e32 v118, 0
	ds_read2_b64 v[119:122], v118 offset0:97 offset1:98
	ds_read2_b64 v[123:126], v118 offset0:99 offset1:100
	;; [unrolled: 1-line block ×9, first 2 shown]
	v_cmp_lt_u32_e32 vcc, 37, v0
	s_waitcnt vmcnt(39) lgkmcnt(8)
	v_mul_f32_e32 v1, v119, v3
	v_mul_f32_e32 v3, v120, v3
	s_waitcnt vmcnt(38)
	v_mul_f32_e32 v2, v121, v4
	v_mul_f32_e32 v4, v122, v4
	s_waitcnt vmcnt(37) lgkmcnt(7)
	v_mul_f32_e32 v169, v123, v5
	s_waitcnt vmcnt(36)
	v_mul_f32_e32 v170, v125, v6
	s_waitcnt vmcnt(35) lgkmcnt(6)
	v_mul_f32_e32 v171, v127, v7
	s_waitcnt vmcnt(34)
	;; [unrolled: 4-line block ×6, first 2 shown]
	v_fma_f32 v3, v119, v18, -v3
	v_add_f32_e32 v3, 0, v3
	s_waitcnt vmcnt(23)
	v_fma_f32 v4, v121, v19, -v4
	v_add_f32_e32 v3, v3, v4
	v_mul_f32_e32 v4, v124, v5
	s_waitcnt vmcnt(22)
	v_fma_f32 v4, v123, v20, -v4
	v_add_f32_e32 v3, v3, v4
	v_mul_f32_e32 v4, v126, v6
	;; [unrolled: 4-line block ×5, first 2 shown]
	v_fmac_f32_e32 v1, v120, v18
	s_waitcnt vmcnt(18)
	v_fma_f32 v4, v131, v24, -v4
	v_fmac_f32_e32 v2, v122, v19
	v_add_f32_e32 v1, 0, v1
	v_add_f32_e32 v3, v3, v4
	v_mul_f32_e32 v4, v134, v10
	v_fmac_f32_e32 v169, v124, v20
	v_add_f32_e32 v1, v1, v2
	s_waitcnt vmcnt(17)
	v_fma_f32 v4, v133, v25, -v4
	v_fmac_f32_e32 v170, v126, v21
	v_add_f32_e32 v1, v1, v169
	v_add_f32_e32 v3, v3, v4
	v_mul_f32_e32 v4, v136, v11
	v_fmac_f32_e32 v171, v128, v22
	v_add_f32_e32 v1, v1, v170
	;; [unrolled: 8-line block ×5, first 2 shown]
	s_waitcnt vmcnt(13)
	v_fma_f32 v4, v141, v155, -v4
	v_fmac_f32_e32 v178, v142, v155
	v_add_f32_e32 v1, v1, v177
	v_add_f32_e32 v3, v3, v4
	v_mul_f32_e32 v4, v144, v15
	v_mul_f32_e32 v180, v145, v16
	s_waitcnt vmcnt(12)
	v_fmac_f32_e32 v179, v144, v156
	v_add_f32_e32 v1, v1, v178
	v_fma_f32 v4, v143, v156, -v4
	s_waitcnt lgkmcnt(1)
	v_mul_f32_e32 v181, v147, v17
	s_waitcnt vmcnt(11)
	v_fmac_f32_e32 v180, v146, v157
	v_add_f32_e32 v1, v1, v179
	v_add_f32_e32 v3, v3, v4
	v_mul_f32_e32 v4, v146, v16
	s_waitcnt vmcnt(10)
	v_fmac_f32_e32 v181, v148, v158
	v_add_f32_e32 v1, v1, v180
	s_waitcnt vmcnt(9)
	v_mul_f32_e32 v2, v149, v159
	v_fma_f32 v4, v145, v157, -v4
	v_add_f32_e32 v1, v1, v181
	s_waitcnt vmcnt(8)
	v_fmac_f32_e32 v2, v150, v160
	v_add_f32_e32 v3, v3, v4
	v_mul_f32_e32 v4, v148, v17
	v_add_f32_e32 v169, v1, v2
	ds_read_b64 v[1:2], v118 offset:920
	v_fma_f32 v4, v147, v158, -v4
	s_waitcnt vmcnt(7) lgkmcnt(1)
	v_mul_f32_e32 v170, v151, v161
	v_add_f32_e32 v3, v3, v4
	v_mul_f32_e32 v4, v150, v159
	s_waitcnt vmcnt(6)
	v_fmac_f32_e32 v170, v152, v162
	v_fma_f32 v4, v149, v160, -v4
	v_add_f32_e32 v169, v169, v170
	s_waitcnt vmcnt(5)
	v_mul_f32_e32 v170, v153, v163
	v_add_f32_e32 v3, v3, v4
	v_mul_f32_e32 v4, v152, v161
	s_waitcnt vmcnt(4)
	v_fmac_f32_e32 v170, v154, v164
	v_fma_f32 v4, v151, v162, -v4
	v_add_f32_e32 v169, v169, v170
	s_waitcnt vmcnt(3) lgkmcnt(0)
	v_mul_f32_e32 v170, v1, v165
	v_add_f32_e32 v3, v3, v4
	v_mul_f32_e32 v4, v154, v163
	s_waitcnt vmcnt(2)
	v_fmac_f32_e32 v170, v2, v166
	v_fma_f32 v4, v153, v164, -v4
	v_mul_f32_e32 v2, v2, v165
	v_add_f32_e32 v3, v3, v4
	v_fma_f32 v1, v1, v166, -v2
	v_add_f32_e32 v1, v3, v1
	v_add_f32_e32 v169, v169, v170
	s_waitcnt vmcnt(1)
	v_sub_f32_e32 v1, v167, v1
	s_waitcnt vmcnt(0)
	v_sub_f32_e32 v2, v168, v169
	buffer_store_dword v1, off, s[0:3], 0 offset:304
	buffer_store_dword v2, off, s[0:3], 0 offset:308
	s_and_saveexec_b64 s[4:5], vcc
	s_cbranch_execz .LBB57_287
; %bb.286:
	buffer_load_dword v1, off, s[0:3], 0 offset:296
	buffer_load_dword v2, off, s[0:3], 0 offset:300
	s_waitcnt vmcnt(0)
	ds_write_b64 v117, v[1:2]
	buffer_store_dword v118, off, s[0:3], 0 offset:296
	buffer_store_dword v118, off, s[0:3], 0 offset:300
.LBB57_287:
	s_or_b64 exec, exec, s[4:5]
	s_waitcnt lgkmcnt(0)
	; wave barrier
	buffer_load_dword v1, off, s[0:3], 0 offset:308
	buffer_load_dword v2, off, s[0:3], 0 offset:316
	;; [unrolled: 1-line block ×42, first 2 shown]
	ds_read_b128 v[119:122], v118 offset:768
	ds_read_b128 v[123:126], v118 offset:784
	;; [unrolled: 1-line block ×8, first 2 shown]
	v_cmp_lt_u32_e32 vcc, 36, v0
	s_waitcnt vmcnt(41) lgkmcnt(7)
	v_mul_f32_e32 v151, v119, v1
	v_mul_f32_e32 v1, v120, v1
	s_waitcnt vmcnt(40)
	v_mul_f32_e32 v152, v121, v2
	v_mul_f32_e32 v2, v122, v2
	s_waitcnt vmcnt(39) lgkmcnt(6)
	v_mul_f32_e32 v153, v123, v3
	s_waitcnt vmcnt(38)
	v_mul_f32_e32 v154, v125, v4
	s_waitcnt vmcnt(37) lgkmcnt(5)
	v_mul_f32_e32 v155, v127, v5
	s_waitcnt vmcnt(36)
	;; [unrolled: 4-line block ×6, first 2 shown]
	v_fma_f32 v1, v119, v16, -v1
	v_add_f32_e32 v1, 0, v1
	s_waitcnt vmcnt(25)
	v_fma_f32 v2, v121, v17, -v2
	v_add_f32_e32 v1, v1, v2
	v_mul_f32_e32 v2, v124, v3
	s_waitcnt vmcnt(24)
	v_fma_f32 v2, v123, v18, -v2
	v_add_f32_e32 v1, v1, v2
	v_mul_f32_e32 v2, v126, v4
	;; [unrolled: 4-line block ×4, first 2 shown]
	s_waitcnt vmcnt(21)
	v_fma_f32 v2, v129, v21, -v2
	v_fmac_f32_e32 v151, v120, v16
	v_add_f32_e32 v1, v1, v2
	v_mul_f32_e32 v2, v132, v7
	v_fmac_f32_e32 v152, v122, v17
	v_add_f32_e32 v151, 0, v151
	s_waitcnt vmcnt(20)
	v_fma_f32 v2, v131, v22, -v2
	v_fmac_f32_e32 v153, v124, v18
	v_add_f32_e32 v151, v151, v152
	v_add_f32_e32 v1, v1, v2
	v_mul_f32_e32 v2, v134, v8
	v_fmac_f32_e32 v154, v126, v19
	v_add_f32_e32 v151, v151, v153
	s_waitcnt vmcnt(19)
	v_fma_f32 v2, v133, v23, -v2
	v_fmac_f32_e32 v155, v128, v20
	v_add_f32_e32 v151, v151, v154
	;; [unrolled: 8-line block ×5, first 2 shown]
	v_add_f32_e32 v1, v1, v2
	v_mul_f32_e32 v2, v142, v12
	s_waitcnt vmcnt(15)
	v_fmac_f32_e32 v176, v142, v27
	v_add_f32_e32 v151, v151, v175
	v_fma_f32 v2, v141, v27, -v2
	v_mul_f32_e32 v178, v145, v14
	s_waitcnt vmcnt(14)
	v_fmac_f32_e32 v177, v144, v28
	v_add_f32_e32 v151, v151, v176
	v_add_f32_e32 v1, v1, v2
	v_mul_f32_e32 v2, v144, v13
	s_waitcnt lgkmcnt(0)
	v_mul_f32_e32 v179, v147, v15
	s_waitcnt vmcnt(13)
	v_fmac_f32_e32 v178, v146, v159
	v_add_f32_e32 v151, v151, v177
	v_fma_f32 v2, v143, v28, -v2
	s_waitcnt vmcnt(12)
	v_fmac_f32_e32 v179, v148, v160
	v_add_f32_e32 v151, v151, v178
	v_add_f32_e32 v1, v1, v2
	v_mul_f32_e32 v2, v146, v14
	v_add_f32_e32 v155, v151, v179
	ds_read_b128 v[151:154], v118 offset:896
	v_fma_f32 v2, v145, v159, -v2
	v_add_f32_e32 v1, v1, v2
	v_mul_f32_e32 v2, v148, v15
	s_waitcnt vmcnt(11)
	v_mul_f32_e32 v156, v149, v161
	v_fma_f32 v2, v147, v160, -v2
	s_waitcnt vmcnt(10)
	v_fmac_f32_e32 v156, v150, v162
	v_add_f32_e32 v1, v1, v2
	v_mul_f32_e32 v2, v150, v161
	v_add_f32_e32 v173, v155, v156
	ds_read_b128 v[155:158], v118 offset:912
	v_fma_f32 v2, v149, v162, -v2
	v_add_f32_e32 v1, v1, v2
	s_waitcnt vmcnt(9) lgkmcnt(1)
	v_mul_f32_e32 v2, v152, v163
	v_mul_f32_e32 v118, v151, v163
	s_waitcnt vmcnt(8)
	v_fma_f32 v2, v151, v164, -v2
	v_fmac_f32_e32 v118, v152, v164
	v_add_f32_e32 v1, v1, v2
	s_waitcnt vmcnt(7)
	v_mul_f32_e32 v2, v154, v165
	v_add_f32_e32 v118, v173, v118
	v_mul_f32_e32 v173, v153, v165
	s_waitcnt vmcnt(6)
	v_fma_f32 v2, v153, v166, -v2
	v_fmac_f32_e32 v173, v154, v166
	v_add_f32_e32 v1, v1, v2
	s_waitcnt vmcnt(5) lgkmcnt(0)
	v_mul_f32_e32 v2, v156, v167
	v_add_f32_e32 v118, v118, v173
	v_mul_f32_e32 v173, v155, v167
	s_waitcnt vmcnt(4)
	v_fma_f32 v2, v155, v168, -v2
	v_fmac_f32_e32 v173, v156, v168
	v_add_f32_e32 v1, v1, v2
	s_waitcnt vmcnt(3)
	v_mul_f32_e32 v2, v158, v169
	v_add_f32_e32 v118, v118, v173
	v_mul_f32_e32 v173, v157, v169
	s_waitcnt vmcnt(2)
	v_fma_f32 v2, v157, v170, -v2
	v_fmac_f32_e32 v173, v158, v170
	v_add_f32_e32 v1, v1, v2
	v_add_f32_e32 v118, v118, v173
	s_waitcnt vmcnt(1)
	v_sub_f32_e32 v1, v171, v1
	s_waitcnt vmcnt(0)
	v_sub_f32_e32 v2, v172, v118
	buffer_store_dword v1, off, s[0:3], 0 offset:296
	buffer_store_dword v2, off, s[0:3], 0 offset:300
	s_and_saveexec_b64 s[4:5], vcc
	s_cbranch_execz .LBB57_289
; %bb.288:
	buffer_load_dword v1, off, s[0:3], 0 offset:288
	buffer_load_dword v2, off, s[0:3], 0 offset:292
	v_mov_b32_e32 v3, 0
	buffer_store_dword v3, off, s[0:3], 0 offset:288
	buffer_store_dword v3, off, s[0:3], 0 offset:292
	s_waitcnt vmcnt(2)
	ds_write_b64 v117, v[1:2]
.LBB57_289:
	s_or_b64 exec, exec, s[4:5]
	s_waitcnt lgkmcnt(0)
	; wave barrier
	buffer_load_dword v3, off, s[0:3], 0 offset:300
	buffer_load_dword v4, off, s[0:3], 0 offset:308
	;; [unrolled: 1-line block ×44, first 2 shown]
	v_mov_b32_e32 v118, 0
	ds_read2_b64 v[119:122], v118 offset0:95 offset1:96
	ds_read2_b64 v[123:126], v118 offset0:97 offset1:98
	;; [unrolled: 1-line block ×8, first 2 shown]
	v_cmp_lt_u32_e32 vcc, 35, v0
	s_waitcnt vmcnt(43) lgkmcnt(7)
	v_mul_f32_e32 v1, v119, v3
	v_mul_f32_e32 v3, v120, v3
	s_waitcnt vmcnt(42)
	v_mul_f32_e32 v2, v121, v4
	v_mul_f32_e32 v4, v122, v4
	s_waitcnt vmcnt(41) lgkmcnt(6)
	v_mul_f32_e32 v151, v123, v5
	s_waitcnt vmcnt(40)
	v_mul_f32_e32 v152, v125, v6
	s_waitcnt vmcnt(39) lgkmcnt(5)
	v_mul_f32_e32 v153, v127, v7
	s_waitcnt vmcnt(38)
	;; [unrolled: 4-line block ×5, first 2 shown]
	v_mul_f32_e32 v178, v141, v14
	s_waitcnt vmcnt(29)
	v_fma_f32 v3, v119, v17, -v3
	v_add_f32_e32 v3, 0, v3
	s_waitcnt vmcnt(28)
	v_fma_f32 v4, v121, v18, -v4
	v_add_f32_e32 v3, v3, v4
	v_mul_f32_e32 v4, v124, v5
	s_waitcnt vmcnt(27)
	v_fma_f32 v4, v123, v19, -v4
	v_add_f32_e32 v3, v3, v4
	v_mul_f32_e32 v4, v126, v6
	;; [unrolled: 4-line block ×4, first 2 shown]
	s_waitcnt vmcnt(24)
	v_fma_f32 v4, v129, v22, -v4
	v_fmac_f32_e32 v1, v120, v17
	v_add_f32_e32 v3, v3, v4
	v_mul_f32_e32 v4, v132, v9
	v_fmac_f32_e32 v2, v122, v18
	v_add_f32_e32 v1, 0, v1
	s_waitcnt vmcnt(23)
	v_fma_f32 v4, v131, v23, -v4
	v_fmac_f32_e32 v151, v124, v19
	v_add_f32_e32 v1, v1, v2
	v_add_f32_e32 v3, v3, v4
	v_mul_f32_e32 v4, v134, v10
	v_fmac_f32_e32 v152, v126, v20
	v_add_f32_e32 v1, v1, v151
	s_waitcnt vmcnt(22)
	v_fma_f32 v4, v133, v24, -v4
	v_fmac_f32_e32 v153, v128, v21
	v_add_f32_e32 v1, v1, v152
	;; [unrolled: 8-line block ×5, first 2 shown]
	v_add_f32_e32 v3, v3, v4
	v_mul_f32_e32 v4, v142, v14
	s_waitcnt lgkmcnt(1)
	v_mul_f32_e32 v179, v143, v15
	s_waitcnt vmcnt(18)
	v_fmac_f32_e32 v178, v142, v28
	v_add_f32_e32 v1, v1, v177
	v_fma_f32 v4, v141, v28, -v4
	v_mul_f32_e32 v180, v145, v16
	s_waitcnt vmcnt(17)
	v_fmac_f32_e32 v179, v144, v159
	v_add_f32_e32 v1, v1, v178
	ds_read2_b64 v[151:154], v118 offset0:111 offset1:112
	ds_read2_b64 v[155:158], v118 offset0:113 offset1:114
	v_add_f32_e32 v3, v3, v4
	v_mul_f32_e32 v4, v144, v15
	v_add_f32_e32 v1, v1, v179
	s_waitcnt vmcnt(16)
	v_fmac_f32_e32 v180, v146, v160
	s_waitcnt vmcnt(15) lgkmcnt(2)
	v_mul_f32_e32 v2, v147, v161
	v_fma_f32 v4, v143, v159, -v4
	v_add_f32_e32 v1, v1, v180
	s_waitcnt vmcnt(14)
	v_fmac_f32_e32 v2, v148, v162
	v_add_f32_e32 v3, v3, v4
	v_mul_f32_e32 v4, v146, v16
	v_add_f32_e32 v1, v1, v2
	s_waitcnt vmcnt(13)
	v_mul_f32_e32 v2, v149, v163
	v_fma_f32 v4, v145, v160, -v4
	s_waitcnt vmcnt(12)
	v_fmac_f32_e32 v2, v150, v164
	v_add_f32_e32 v3, v3, v4
	v_mul_f32_e32 v4, v148, v161
	v_add_f32_e32 v1, v1, v2
	s_waitcnt vmcnt(11) lgkmcnt(1)
	v_mul_f32_e32 v2, v151, v165
	v_fma_f32 v4, v147, v162, -v4
	s_waitcnt vmcnt(10)
	v_fmac_f32_e32 v2, v152, v166
	v_add_f32_e32 v3, v3, v4
	v_mul_f32_e32 v4, v150, v163
	v_add_f32_e32 v1, v1, v2
	s_waitcnt vmcnt(9)
	v_mul_f32_e32 v2, v153, v167
	v_fma_f32 v4, v149, v164, -v4
	s_waitcnt vmcnt(8)
	v_fmac_f32_e32 v2, v154, v168
	v_add_f32_e32 v3, v3, v4
	v_mul_f32_e32 v4, v152, v165
	v_add_f32_e32 v177, v1, v2
	ds_read_b64 v[1:2], v118 offset:920
	v_fma_f32 v4, v151, v166, -v4
	s_waitcnt vmcnt(7) lgkmcnt(1)
	v_mul_f32_e32 v178, v155, v169
	v_add_f32_e32 v3, v3, v4
	v_mul_f32_e32 v4, v154, v167
	s_waitcnt vmcnt(6)
	v_fmac_f32_e32 v178, v156, v170
	v_fma_f32 v4, v153, v168, -v4
	v_add_f32_e32 v177, v177, v178
	s_waitcnt vmcnt(5)
	v_mul_f32_e32 v178, v157, v171
	v_add_f32_e32 v3, v3, v4
	v_mul_f32_e32 v4, v156, v169
	s_waitcnt vmcnt(4)
	v_fmac_f32_e32 v178, v158, v172
	v_fma_f32 v4, v155, v170, -v4
	v_add_f32_e32 v177, v177, v178
	s_waitcnt vmcnt(3) lgkmcnt(0)
	v_mul_f32_e32 v178, v1, v173
	v_add_f32_e32 v3, v3, v4
	v_mul_f32_e32 v4, v158, v171
	s_waitcnt vmcnt(2)
	v_fmac_f32_e32 v178, v2, v174
	v_fma_f32 v4, v157, v172, -v4
	v_mul_f32_e32 v2, v2, v173
	v_add_f32_e32 v3, v3, v4
	v_fma_f32 v1, v1, v174, -v2
	v_add_f32_e32 v1, v3, v1
	v_add_f32_e32 v177, v177, v178
	s_waitcnt vmcnt(1)
	v_sub_f32_e32 v1, v175, v1
	s_waitcnt vmcnt(0)
	v_sub_f32_e32 v2, v176, v177
	buffer_store_dword v1, off, s[0:3], 0 offset:288
	buffer_store_dword v2, off, s[0:3], 0 offset:292
	s_and_saveexec_b64 s[4:5], vcc
	s_cbranch_execz .LBB57_291
; %bb.290:
	buffer_load_dword v1, off, s[0:3], 0 offset:280
	buffer_load_dword v2, off, s[0:3], 0 offset:284
	s_waitcnt vmcnt(0)
	ds_write_b64 v117, v[1:2]
	buffer_store_dword v118, off, s[0:3], 0 offset:280
	buffer_store_dword v118, off, s[0:3], 0 offset:284
.LBB57_291:
	s_or_b64 exec, exec, s[4:5]
	s_waitcnt lgkmcnt(0)
	; wave barrier
	buffer_load_dword v1, off, s[0:3], 0 offset:292
	buffer_load_dword v2, off, s[0:3], 0 offset:300
	;; [unrolled: 1-line block ×46, first 2 shown]
	ds_read_b128 v[119:122], v118 offset:752
	ds_read_b128 v[123:126], v118 offset:768
	;; [unrolled: 1-line block ×8, first 2 shown]
	v_cmp_lt_u32_e32 vcc, 34, v0
	s_waitcnt vmcnt(45) lgkmcnt(7)
	v_mul_f32_e32 v151, v119, v1
	v_mul_f32_e32 v1, v120, v1
	s_waitcnt vmcnt(44)
	v_mul_f32_e32 v152, v121, v2
	v_mul_f32_e32 v2, v122, v2
	s_waitcnt vmcnt(43) lgkmcnt(6)
	v_mul_f32_e32 v153, v123, v3
	s_waitcnt vmcnt(42)
	v_mul_f32_e32 v154, v125, v4
	s_waitcnt vmcnt(41) lgkmcnt(5)
	v_mul_f32_e32 v155, v127, v5
	s_waitcnt vmcnt(40)
	;; [unrolled: 4-line block ×5, first 2 shown]
	v_fma_f32 v1, v119, v14, -v1
	v_add_f32_e32 v1, 0, v1
	s_waitcnt vmcnt(31)
	v_fma_f32 v2, v121, v15, -v2
	v_add_f32_e32 v1, v1, v2
	v_mul_f32_e32 v2, v124, v3
	s_waitcnt vmcnt(30)
	v_fma_f32 v2, v123, v16, -v2
	v_add_f32_e32 v1, v1, v2
	v_mul_f32_e32 v2, v126, v4
	;; [unrolled: 4-line block ×3, first 2 shown]
	s_waitcnt vmcnt(28)
	v_fma_f32 v2, v127, v18, -v2
	v_fmac_f32_e32 v151, v120, v14
	v_add_f32_e32 v1, v1, v2
	v_mul_f32_e32 v2, v130, v6
	v_fmac_f32_e32 v152, v122, v15
	v_add_f32_e32 v151, 0, v151
	s_waitcnt vmcnt(27)
	v_fma_f32 v2, v129, v19, -v2
	v_fmac_f32_e32 v153, v124, v16
	v_add_f32_e32 v151, v151, v152
	v_add_f32_e32 v1, v1, v2
	v_mul_f32_e32 v2, v132, v7
	v_fmac_f32_e32 v154, v126, v17
	v_add_f32_e32 v151, v151, v153
	s_waitcnt vmcnt(26)
	v_fma_f32 v2, v131, v20, -v2
	v_fmac_f32_e32 v155, v128, v18
	v_add_f32_e32 v151, v151, v154
	;; [unrolled: 8-line block ×4, first 2 shown]
	v_add_f32_e32 v1, v1, v2
	v_mul_f32_e32 v2, v138, v10
	s_waitcnt vmcnt(23)
	v_fmac_f32_e32 v160, v138, v23
	v_add_f32_e32 v151, v151, v159
	v_fma_f32 v2, v137, v23, -v2
	v_mul_f32_e32 v162, v141, v12
	s_waitcnt vmcnt(22)
	v_fmac_f32_e32 v161, v140, v24
	v_add_f32_e32 v151, v151, v160
	v_add_f32_e32 v1, v1, v2
	v_mul_f32_e32 v2, v140, v11
	s_waitcnt lgkmcnt(1)
	v_mul_f32_e32 v181, v143, v13
	s_waitcnt vmcnt(21)
	v_fmac_f32_e32 v162, v142, v25
	v_add_f32_e32 v151, v151, v161
	v_fma_f32 v2, v139, v24, -v2
	s_waitcnt vmcnt(20)
	v_fmac_f32_e32 v181, v144, v26
	v_add_f32_e32 v151, v151, v162
	s_waitcnt vmcnt(19)
	v_mul_f32_e32 v152, v145, v27
	v_add_f32_e32 v1, v1, v2
	v_mul_f32_e32 v2, v142, v12
	v_add_f32_e32 v151, v151, v181
	s_waitcnt vmcnt(18)
	v_fmac_f32_e32 v152, v146, v28
	v_fma_f32 v2, v141, v25, -v2
	v_add_f32_e32 v151, v151, v152
	s_waitcnt vmcnt(17) lgkmcnt(0)
	v_mul_f32_e32 v152, v147, v163
	v_add_f32_e32 v1, v1, v2
	v_mul_f32_e32 v2, v144, v13
	s_waitcnt vmcnt(16)
	v_fmac_f32_e32 v152, v148, v164
	v_fma_f32 v2, v143, v26, -v2
	v_add_f32_e32 v155, v151, v152
	ds_read_b128 v[151:154], v118 offset:880
	v_add_f32_e32 v1, v1, v2
	v_mul_f32_e32 v2, v146, v27
	v_fma_f32 v2, v145, v28, -v2
	v_add_f32_e32 v1, v1, v2
	v_mul_f32_e32 v2, v148, v163
	s_waitcnt vmcnt(15)
	v_mul_f32_e32 v156, v149, v165
	v_fma_f32 v2, v147, v164, -v2
	s_waitcnt vmcnt(14)
	v_fmac_f32_e32 v156, v150, v166
	v_add_f32_e32 v1, v1, v2
	v_mul_f32_e32 v2, v150, v165
	v_add_f32_e32 v159, v155, v156
	ds_read_b128 v[155:158], v118 offset:896
	s_waitcnt vmcnt(13) lgkmcnt(1)
	v_mul_f32_e32 v160, v151, v167
	v_fma_f32 v2, v149, v166, -v2
	s_waitcnt vmcnt(12)
	v_fmac_f32_e32 v160, v152, v168
	v_add_f32_e32 v1, v1, v2
	v_mul_f32_e32 v2, v152, v167
	v_add_f32_e32 v159, v159, v160
	s_waitcnt vmcnt(11)
	v_mul_f32_e32 v160, v153, v169
	v_fma_f32 v2, v151, v168, -v2
	s_waitcnt vmcnt(10)
	v_fmac_f32_e32 v160, v154, v170
	v_add_f32_e32 v1, v1, v2
	v_mul_f32_e32 v2, v154, v169
	v_add_f32_e32 v181, v159, v160
	ds_read_b128 v[159:162], v118 offset:912
	v_fma_f32 v2, v153, v170, -v2
	v_add_f32_e32 v1, v1, v2
	s_waitcnt vmcnt(9) lgkmcnt(1)
	v_mul_f32_e32 v2, v156, v171
	v_mul_f32_e32 v182, v155, v171
	s_waitcnt vmcnt(8)
	v_fma_f32 v2, v155, v172, -v2
	v_fmac_f32_e32 v182, v156, v172
	v_add_f32_e32 v1, v1, v2
	s_waitcnt vmcnt(7)
	v_mul_f32_e32 v2, v158, v173
	v_add_f32_e32 v118, v181, v182
	v_mul_f32_e32 v181, v157, v173
	s_waitcnt vmcnt(6)
	v_fma_f32 v2, v157, v174, -v2
	v_fmac_f32_e32 v181, v158, v174
	v_add_f32_e32 v1, v1, v2
	s_waitcnt vmcnt(5) lgkmcnt(0)
	v_mul_f32_e32 v2, v160, v175
	v_add_f32_e32 v118, v118, v181
	v_mul_f32_e32 v181, v159, v175
	s_waitcnt vmcnt(4)
	v_fma_f32 v2, v159, v176, -v2
	v_fmac_f32_e32 v181, v160, v176
	v_add_f32_e32 v1, v1, v2
	s_waitcnt vmcnt(3)
	v_mul_f32_e32 v2, v162, v177
	v_add_f32_e32 v118, v118, v181
	v_mul_f32_e32 v181, v161, v177
	s_waitcnt vmcnt(2)
	v_fma_f32 v2, v161, v178, -v2
	v_fmac_f32_e32 v181, v162, v178
	v_add_f32_e32 v1, v1, v2
	v_add_f32_e32 v118, v118, v181
	s_waitcnt vmcnt(1)
	v_sub_f32_e32 v1, v179, v1
	s_waitcnt vmcnt(0)
	v_sub_f32_e32 v2, v180, v118
	buffer_store_dword v1, off, s[0:3], 0 offset:280
	buffer_store_dword v2, off, s[0:3], 0 offset:284
	s_and_saveexec_b64 s[4:5], vcc
	s_cbranch_execz .LBB57_293
; %bb.292:
	buffer_load_dword v1, off, s[0:3], 0 offset:272
	buffer_load_dword v2, off, s[0:3], 0 offset:276
	v_mov_b32_e32 v3, 0
	buffer_store_dword v3, off, s[0:3], 0 offset:272
	buffer_store_dword v3, off, s[0:3], 0 offset:276
	s_waitcnt vmcnt(2)
	ds_write_b64 v117, v[1:2]
.LBB57_293:
	s_or_b64 exec, exec, s[4:5]
	s_waitcnt lgkmcnt(0)
	; wave barrier
	buffer_load_dword v3, off, s[0:3], 0 offset:284
	buffer_load_dword v4, off, s[0:3], 0 offset:292
	;; [unrolled: 1-line block ×48, first 2 shown]
	v_mov_b32_e32 v118, 0
	ds_read2_b64 v[119:122], v118 offset0:93 offset1:94
	ds_read2_b64 v[123:126], v118 offset0:95 offset1:96
	;; [unrolled: 1-line block ×7, first 2 shown]
	v_cmp_lt_u32_e32 vcc, 33, v0
	ds_read2_b64 v[159:162], v118 offset0:113 offset1:114
	s_waitcnt vmcnt(47) lgkmcnt(7)
	v_mul_f32_e32 v1, v119, v3
	v_mul_f32_e32 v3, v120, v3
	s_waitcnt vmcnt(46)
	v_mul_f32_e32 v2, v121, v4
	v_mul_f32_e32 v4, v122, v4
	s_waitcnt vmcnt(45) lgkmcnt(6)
	v_mul_f32_e32 v147, v123, v5
	s_waitcnt vmcnt(44)
	v_mul_f32_e32 v148, v125, v6
	s_waitcnt vmcnt(43) lgkmcnt(5)
	v_mul_f32_e32 v149, v127, v7
	s_waitcnt vmcnt(42)
	;; [unrolled: 4-line block ×4, first 2 shown]
	v_mul_f32_e32 v154, v137, v12
	s_waitcnt vmcnt(35)
	v_fma_f32 v3, v119, v15, -v3
	v_add_f32_e32 v3, 0, v3
	s_waitcnt vmcnt(34)
	v_fma_f32 v4, v121, v16, -v4
	v_add_f32_e32 v3, v3, v4
	v_mul_f32_e32 v4, v124, v5
	s_waitcnt vmcnt(33)
	v_fma_f32 v4, v123, v17, -v4
	v_add_f32_e32 v3, v3, v4
	v_mul_f32_e32 v4, v126, v6
	;; [unrolled: 4-line block ×3, first 2 shown]
	s_waitcnt vmcnt(31)
	v_fma_f32 v4, v127, v19, -v4
	v_fmac_f32_e32 v1, v120, v15
	v_add_f32_e32 v3, v3, v4
	v_mul_f32_e32 v4, v130, v8
	v_fmac_f32_e32 v2, v122, v16
	v_add_f32_e32 v1, 0, v1
	s_waitcnt vmcnt(30)
	v_fma_f32 v4, v129, v20, -v4
	v_fmac_f32_e32 v147, v124, v17
	v_add_f32_e32 v1, v1, v2
	v_add_f32_e32 v3, v3, v4
	v_mul_f32_e32 v4, v132, v9
	v_fmac_f32_e32 v148, v126, v18
	v_add_f32_e32 v1, v1, v147
	s_waitcnt vmcnt(29)
	v_fma_f32 v4, v131, v21, -v4
	v_fmac_f32_e32 v149, v128, v19
	v_add_f32_e32 v1, v1, v148
	;; [unrolled: 8-line block ×4, first 2 shown]
	v_add_f32_e32 v3, v3, v4
	v_mul_f32_e32 v4, v138, v12
	s_waitcnt lgkmcnt(2)
	v_mul_f32_e32 v155, v139, v13
	s_waitcnt vmcnt(26)
	v_fmac_f32_e32 v154, v138, v24
	v_add_f32_e32 v1, v1, v153
	v_fma_f32 v4, v137, v24, -v4
	v_mul_f32_e32 v156, v141, v14
	s_waitcnt vmcnt(25)
	v_fmac_f32_e32 v155, v140, v25
	v_add_f32_e32 v1, v1, v154
	ds_read2_b64 v[147:150], v118 offset0:107 offset1:108
	ds_read2_b64 v[151:154], v118 offset0:109 offset1:110
	v_add_f32_e32 v3, v3, v4
	v_mul_f32_e32 v4, v140, v13
	s_waitcnt vmcnt(24)
	v_fmac_f32_e32 v156, v142, v26
	v_add_f32_e32 v1, v1, v155
	s_waitcnt vmcnt(23) lgkmcnt(3)
	v_mul_f32_e32 v2, v143, v27
	v_fma_f32 v4, v139, v25, -v4
	v_add_f32_e32 v1, v1, v156
	s_waitcnt vmcnt(22)
	v_fmac_f32_e32 v2, v144, v28
	v_add_f32_e32 v3, v3, v4
	v_mul_f32_e32 v4, v142, v14
	v_add_f32_e32 v1, v1, v2
	s_waitcnt vmcnt(21)
	v_mul_f32_e32 v2, v145, v163
	v_fma_f32 v4, v141, v26, -v4
	s_waitcnt vmcnt(20)
	v_fmac_f32_e32 v2, v146, v164
	v_add_f32_e32 v3, v3, v4
	v_mul_f32_e32 v4, v144, v27
	v_add_f32_e32 v1, v1, v2
	s_waitcnt vmcnt(19) lgkmcnt(1)
	v_mul_f32_e32 v2, v147, v165
	v_fma_f32 v4, v143, v28, -v4
	s_waitcnt vmcnt(18)
	v_fmac_f32_e32 v2, v148, v166
	v_add_f32_e32 v3, v3, v4
	v_mul_f32_e32 v4, v146, v163
	v_add_f32_e32 v1, v1, v2
	s_waitcnt vmcnt(17)
	v_mul_f32_e32 v2, v149, v167
	v_fma_f32 v4, v145, v164, -v4
	s_waitcnt vmcnt(16)
	v_fmac_f32_e32 v2, v150, v168
	ds_read2_b64 v[155:158], v118 offset0:111 offset1:112
	v_add_f32_e32 v3, v3, v4
	v_mul_f32_e32 v4, v148, v165
	v_add_f32_e32 v1, v1, v2
	s_waitcnt vmcnt(15) lgkmcnt(1)
	v_mul_f32_e32 v2, v151, v169
	v_fma_f32 v4, v147, v166, -v4
	s_waitcnt vmcnt(14)
	v_fmac_f32_e32 v2, v152, v170
	v_add_f32_e32 v3, v3, v4
	v_mul_f32_e32 v4, v150, v167
	v_add_f32_e32 v1, v1, v2
	s_waitcnt vmcnt(13)
	v_mul_f32_e32 v2, v153, v171
	v_fma_f32 v4, v149, v168, -v4
	s_waitcnt vmcnt(12)
	v_fmac_f32_e32 v2, v154, v172
	v_add_f32_e32 v3, v3, v4
	v_mul_f32_e32 v4, v152, v169
	v_add_f32_e32 v1, v1, v2
	s_waitcnt vmcnt(11) lgkmcnt(0)
	v_mul_f32_e32 v2, v155, v173
	v_fma_f32 v4, v151, v170, -v4
	s_waitcnt vmcnt(10)
	v_fmac_f32_e32 v2, v156, v174
	v_add_f32_e32 v3, v3, v4
	v_mul_f32_e32 v4, v154, v171
	v_add_f32_e32 v1, v1, v2
	s_waitcnt vmcnt(9)
	v_mul_f32_e32 v2, v157, v175
	v_fma_f32 v4, v153, v172, -v4
	s_waitcnt vmcnt(8)
	v_fmac_f32_e32 v2, v158, v176
	v_add_f32_e32 v3, v3, v4
	v_mul_f32_e32 v4, v156, v173
	v_add_f32_e32 v185, v1, v2
	ds_read_b64 v[1:2], v118 offset:920
	v_fma_f32 v4, v155, v174, -v4
	s_waitcnt vmcnt(6)
	v_mul_f32_e32 v186, v159, v178
	v_add_f32_e32 v3, v3, v4
	v_mul_f32_e32 v4, v158, v175
	v_fmac_f32_e32 v186, v160, v177
	v_fma_f32 v4, v157, v176, -v4
	v_add_f32_e32 v185, v185, v186
	s_waitcnt vmcnt(3)
	v_mul_f32_e32 v186, v161, v181
	v_add_f32_e32 v3, v3, v4
	v_mul_f32_e32 v4, v160, v178
	s_waitcnt vmcnt(2)
	v_fmac_f32_e32 v186, v162, v182
	v_fma_f32 v4, v159, v177, -v4
	v_add_f32_e32 v185, v185, v186
	s_waitcnt vmcnt(0) lgkmcnt(0)
	v_mul_f32_e32 v186, v1, v184
	v_add_f32_e32 v3, v3, v4
	v_mul_f32_e32 v4, v162, v181
	v_fmac_f32_e32 v186, v2, v183
	v_fma_f32 v4, v161, v182, -v4
	v_mul_f32_e32 v2, v2, v184
	v_add_f32_e32 v3, v3, v4
	v_fma_f32 v1, v1, v183, -v2
	v_add_f32_e32 v1, v3, v1
	v_add_f32_e32 v185, v185, v186
	v_sub_f32_e32 v1, v179, v1
	v_sub_f32_e32 v2, v180, v185
	buffer_store_dword v1, off, s[0:3], 0 offset:272
	buffer_store_dword v2, off, s[0:3], 0 offset:276
	s_and_saveexec_b64 s[4:5], vcc
	s_cbranch_execz .LBB57_295
; %bb.294:
	buffer_load_dword v1, off, s[0:3], 0 offset:264
	buffer_load_dword v2, off, s[0:3], 0 offset:268
	s_waitcnt vmcnt(0)
	ds_write_b64 v117, v[1:2]
	buffer_store_dword v118, off, s[0:3], 0 offset:264
	buffer_store_dword v118, off, s[0:3], 0 offset:268
.LBB57_295:
	s_or_b64 exec, exec, s[4:5]
	s_waitcnt lgkmcnt(0)
	; wave barrier
	buffer_load_dword v1, off, s[0:3], 0 offset:276
	buffer_load_dword v2, off, s[0:3], 0 offset:284
	;; [unrolled: 1-line block ×48, first 2 shown]
	ds_read_b128 v[119:122], v118 offset:736
	ds_read_b128 v[123:126], v118 offset:752
	buffer_load_dword v187, off, s[0:3], 0 offset:456
	buffer_load_dword v188, off, s[0:3], 0 offset:460
	ds_read_b128 v[127:130], v118 offset:768
	ds_read_b128 v[131:134], v118 offset:784
	;; [unrolled: 1-line block ×5, first 2 shown]
	v_cmp_lt_u32_e32 vcc, 32, v0
	s_waitcnt vmcnt(49) lgkmcnt(6)
	v_mul_f32_e32 v147, v119, v1
	v_mul_f32_e32 v1, v120, v1
	s_waitcnt vmcnt(48)
	v_mul_f32_e32 v148, v121, v2
	v_mul_f32_e32 v2, v122, v2
	s_waitcnt vmcnt(47) lgkmcnt(5)
	v_mul_f32_e32 v149, v123, v3
	s_waitcnt vmcnt(46)
	v_mul_f32_e32 v150, v125, v4
	s_waitcnt vmcnt(45) lgkmcnt(4)
	v_mul_f32_e32 v151, v127, v5
	s_waitcnt vmcnt(44)
	;; [unrolled: 4-line block ×4, first 2 shown]
	v_mul_f32_e32 v156, v137, v10
	s_waitcnt vmcnt(37)
	v_fma_f32 v1, v119, v13, -v1
	v_add_f32_e32 v1, 0, v1
	s_waitcnt vmcnt(36)
	v_fma_f32 v2, v121, v14, -v2
	v_add_f32_e32 v1, v1, v2
	v_mul_f32_e32 v2, v124, v3
	v_fmac_f32_e32 v147, v120, v13
	s_waitcnt vmcnt(35)
	v_fma_f32 v2, v123, v15, -v2
	v_fmac_f32_e32 v148, v122, v14
	v_add_f32_e32 v147, 0, v147
	v_add_f32_e32 v1, v1, v2
	v_mul_f32_e32 v2, v126, v4
	v_fmac_f32_e32 v149, v124, v15
	v_add_f32_e32 v147, v147, v148
	s_waitcnt vmcnt(34)
	v_fma_f32 v2, v125, v16, -v2
	v_fmac_f32_e32 v150, v126, v16
	v_add_f32_e32 v147, v147, v149
	v_add_f32_e32 v1, v1, v2
	v_mul_f32_e32 v2, v128, v5
	s_waitcnt vmcnt(33)
	v_fmac_f32_e32 v151, v128, v17
	v_add_f32_e32 v147, v147, v150
	v_fma_f32 v2, v127, v17, -v2
	s_waitcnt vmcnt(32)
	v_fmac_f32_e32 v152, v130, v18
	v_add_f32_e32 v147, v147, v151
	v_add_f32_e32 v1, v1, v2
	v_mul_f32_e32 v2, v130, v6
	s_waitcnt vmcnt(31)
	v_fmac_f32_e32 v153, v132, v19
	v_add_f32_e32 v147, v147, v152
	v_fma_f32 v2, v129, v18, -v2
	s_waitcnt vmcnt(30)
	v_fmac_f32_e32 v154, v134, v20
	v_add_f32_e32 v147, v147, v153
	v_add_f32_e32 v1, v1, v2
	v_mul_f32_e32 v2, v132, v7
	s_waitcnt vmcnt(29)
	v_fmac_f32_e32 v155, v136, v21
	v_add_f32_e32 v147, v147, v154
	v_fma_f32 v2, v131, v19, -v2
	s_waitcnt lgkmcnt(1)
	v_mul_f32_e32 v157, v139, v11
	s_waitcnt vmcnt(28)
	v_fmac_f32_e32 v156, v138, v22
	v_add_f32_e32 v147, v147, v155
	v_add_f32_e32 v1, v1, v2
	v_mul_f32_e32 v2, v134, v8
	v_mul_f32_e32 v158, v141, v12
	s_waitcnt vmcnt(27)
	v_fmac_f32_e32 v157, v140, v23
	v_add_f32_e32 v147, v147, v156
	v_fma_f32 v2, v133, v20, -v2
	v_add_f32_e32 v147, v147, v157
	s_waitcnt vmcnt(26)
	v_fmac_f32_e32 v158, v142, v24
	v_add_f32_e32 v1, v1, v2
	v_mul_f32_e32 v2, v136, v9
	v_add_f32_e32 v151, v147, v158
	ds_read_b128 v[147:150], v118 offset:848
	v_fma_f32 v2, v135, v21, -v2
	s_waitcnt vmcnt(25) lgkmcnt(1)
	v_mul_f32_e32 v152, v143, v25
	v_add_f32_e32 v1, v1, v2
	v_mul_f32_e32 v2, v138, v10
	s_waitcnt vmcnt(24)
	v_fmac_f32_e32 v152, v144, v26
	v_fma_f32 v2, v137, v22, -v2
	v_add_f32_e32 v151, v151, v152
	s_waitcnt vmcnt(23)
	v_mul_f32_e32 v152, v145, v27
	v_add_f32_e32 v1, v1, v2
	v_mul_f32_e32 v2, v140, v11
	s_waitcnt vmcnt(22)
	v_fmac_f32_e32 v152, v146, v28
	v_fma_f32 v2, v139, v23, -v2
	v_add_f32_e32 v151, v151, v152
	s_waitcnt vmcnt(21) lgkmcnt(0)
	v_mul_f32_e32 v152, v147, v167
	v_add_f32_e32 v1, v1, v2
	v_mul_f32_e32 v2, v142, v12
	s_waitcnt vmcnt(20)
	v_fmac_f32_e32 v152, v148, v168
	v_fma_f32 v2, v141, v24, -v2
	v_add_f32_e32 v155, v151, v152
	ds_read_b128 v[151:154], v118 offset:864
	v_add_f32_e32 v1, v1, v2
	v_mul_f32_e32 v2, v144, v25
	v_fma_f32 v2, v143, v26, -v2
	s_waitcnt vmcnt(19)
	v_mul_f32_e32 v156, v149, v169
	v_add_f32_e32 v1, v1, v2
	v_mul_f32_e32 v2, v146, v27
	s_waitcnt vmcnt(18)
	v_fmac_f32_e32 v156, v150, v170
	v_fma_f32 v2, v145, v28, -v2
	v_add_f32_e32 v159, v155, v156
	ds_read_b128 v[155:158], v118 offset:880
	v_add_f32_e32 v1, v1, v2
	v_mul_f32_e32 v2, v148, v167
	s_waitcnt vmcnt(17) lgkmcnt(1)
	v_mul_f32_e32 v160, v151, v171
	v_fma_f32 v2, v147, v168, -v2
	s_waitcnt vmcnt(16)
	v_fmac_f32_e32 v160, v152, v172
	v_add_f32_e32 v1, v1, v2
	v_mul_f32_e32 v2, v150, v169
	v_add_f32_e32 v159, v159, v160
	s_waitcnt vmcnt(15)
	v_mul_f32_e32 v160, v153, v173
	v_fma_f32 v2, v149, v170, -v2
	s_waitcnt vmcnt(14)
	v_fmac_f32_e32 v160, v154, v174
	v_add_f32_e32 v1, v1, v2
	v_mul_f32_e32 v2, v152, v171
	v_add_f32_e32 v159, v159, v160
	s_waitcnt vmcnt(13) lgkmcnt(0)
	v_mul_f32_e32 v160, v155, v175
	v_fma_f32 v2, v151, v172, -v2
	s_waitcnt vmcnt(12)
	v_fmac_f32_e32 v160, v156, v176
	v_add_f32_e32 v1, v1, v2
	v_mul_f32_e32 v2, v154, v173
	v_add_f32_e32 v163, v159, v160
	ds_read_b128 v[159:162], v118 offset:896
	v_fma_f32 v2, v153, v174, -v2
	v_add_f32_e32 v1, v1, v2
	v_mul_f32_e32 v2, v156, v175
	s_waitcnt vmcnt(11)
	v_mul_f32_e32 v164, v157, v177
	v_fma_f32 v2, v155, v176, -v2
	s_waitcnt vmcnt(10)
	v_fmac_f32_e32 v164, v158, v178
	v_add_f32_e32 v1, v1, v2
	v_mul_f32_e32 v2, v158, v177
	v_add_f32_e32 v189, v163, v164
	ds_read_b128 v[163:166], v118 offset:912
	v_fma_f32 v2, v157, v178, -v2
	v_add_f32_e32 v1, v1, v2
	s_waitcnt vmcnt(7) lgkmcnt(1)
	v_mul_f32_e32 v2, v160, v181
	v_mul_f32_e32 v118, v159, v181
	s_waitcnt vmcnt(6)
	v_fma_f32 v2, v159, v182, -v2
	v_fmac_f32_e32 v118, v160, v182
	v_add_f32_e32 v1, v1, v2
	s_waitcnt vmcnt(4)
	v_mul_f32_e32 v2, v162, v184
	v_add_f32_e32 v118, v189, v118
	v_mul_f32_e32 v189, v161, v184
	v_fma_f32 v2, v161, v183, -v2
	v_fmac_f32_e32 v189, v162, v183
	v_add_f32_e32 v1, v1, v2
	s_waitcnt vmcnt(2) lgkmcnt(0)
	v_mul_f32_e32 v2, v164, v186
	v_add_f32_e32 v118, v118, v189
	v_mul_f32_e32 v189, v163, v186
	v_fma_f32 v2, v163, v185, -v2
	v_fmac_f32_e32 v189, v164, v185
	v_add_f32_e32 v1, v1, v2
	s_waitcnt vmcnt(0)
	v_mul_f32_e32 v2, v166, v188
	v_add_f32_e32 v118, v118, v189
	v_mul_f32_e32 v189, v165, v188
	v_fma_f32 v2, v165, v187, -v2
	v_fmac_f32_e32 v189, v166, v187
	v_add_f32_e32 v1, v1, v2
	v_add_f32_e32 v118, v118, v189
	v_sub_f32_e32 v1, v179, v1
	v_sub_f32_e32 v2, v180, v118
	buffer_store_dword v1, off, s[0:3], 0 offset:264
	buffer_store_dword v2, off, s[0:3], 0 offset:268
	s_and_saveexec_b64 s[4:5], vcc
	s_cbranch_execz .LBB57_297
; %bb.296:
	buffer_load_dword v1, off, s[0:3], 0 offset:256
	buffer_load_dword v2, off, s[0:3], 0 offset:260
	v_mov_b32_e32 v3, 0
	buffer_store_dword v3, off, s[0:3], 0 offset:256
	buffer_store_dword v3, off, s[0:3], 0 offset:260
	s_waitcnt vmcnt(2)
	ds_write_b64 v117, v[1:2]
.LBB57_297:
	s_or_b64 exec, exec, s[4:5]
	s_waitcnt lgkmcnt(0)
	; wave barrier
	buffer_load_dword v3, off, s[0:3], 0 offset:268
	buffer_load_dword v4, off, s[0:3], 0 offset:276
	;; [unrolled: 1-line block ×52, first 2 shown]
	v_mov_b32_e32 v118, 0
	ds_read2_b64 v[119:122], v118 offset0:91 offset1:92
	ds_read2_b64 v[123:126], v118 offset0:93 offset1:94
	;; [unrolled: 1-line block ×8, first 2 shown]
	v_cmp_lt_u32_e32 vcc, 31, v0
	ds_read2_b64 v[155:158], v118 offset0:109 offset1:110
	s_waitcnt vmcnt(51) lgkmcnt(8)
	v_mul_f32_e32 v1, v119, v3
	v_mul_f32_e32 v3, v120, v3
	s_waitcnt vmcnt(50)
	v_mul_f32_e32 v2, v121, v4
	v_mul_f32_e32 v4, v122, v4
	s_waitcnt vmcnt(49) lgkmcnt(7)
	v_mul_f32_e32 v143, v123, v5
	s_waitcnt vmcnt(48)
	v_mul_f32_e32 v144, v125, v6
	s_waitcnt vmcnt(47) lgkmcnt(6)
	v_mul_f32_e32 v145, v127, v7
	s_waitcnt vmcnt(46)
	;; [unrolled: 4-line block ×4, first 2 shown]
	v_fma_f32 v3, v119, v14, -v3
	v_add_f32_e32 v3, 0, v3
	s_waitcnt vmcnt(39)
	v_fma_f32 v4, v121, v15, -v4
	v_add_f32_e32 v3, v3, v4
	v_mul_f32_e32 v4, v124, v5
	s_waitcnt vmcnt(38)
	v_fma_f32 v4, v123, v16, -v4
	v_add_f32_e32 v3, v3, v4
	v_mul_f32_e32 v4, v126, v6
	;; [unrolled: 4-line block ×3, first 2 shown]
	v_fmac_f32_e32 v1, v120, v14
	s_waitcnt vmcnt(36)
	v_fma_f32 v4, v127, v18, -v4
	v_fmac_f32_e32 v2, v122, v15
	v_add_f32_e32 v1, 0, v1
	v_add_f32_e32 v3, v3, v4
	v_mul_f32_e32 v4, v130, v8
	v_fmac_f32_e32 v143, v124, v16
	v_add_f32_e32 v1, v1, v2
	s_waitcnt vmcnt(35)
	v_fma_f32 v4, v129, v19, -v4
	v_fmac_f32_e32 v144, v126, v17
	v_add_f32_e32 v1, v1, v143
	v_add_f32_e32 v3, v3, v4
	v_mul_f32_e32 v4, v132, v9
	v_fmac_f32_e32 v145, v128, v18
	v_add_f32_e32 v1, v1, v144
	;; [unrolled: 8-line block ×3, first 2 shown]
	s_waitcnt vmcnt(33)
	v_fma_f32 v4, v133, v21, -v4
	v_fmac_f32_e32 v148, v134, v21
	v_add_f32_e32 v1, v1, v147
	ds_read2_b64 v[143:146], v118 offset0:103 offset1:104
	v_add_f32_e32 v3, v3, v4
	v_mul_f32_e32 v4, v136, v11
	v_mul_f32_e32 v150, v137, v12
	s_waitcnt vmcnt(32)
	v_fmac_f32_e32 v149, v136, v22
	v_add_f32_e32 v1, v1, v148
	v_fma_f32 v4, v135, v22, -v4
	s_waitcnt lgkmcnt(4)
	v_mul_f32_e32 v151, v139, v13
	s_waitcnt vmcnt(31)
	v_fmac_f32_e32 v150, v138, v23
	v_add_f32_e32 v1, v1, v149
	v_add_f32_e32 v3, v3, v4
	v_mul_f32_e32 v4, v138, v12
	v_add_f32_e32 v1, v1, v150
	s_waitcnt vmcnt(30)
	v_fmac_f32_e32 v151, v140, v24
	s_waitcnt vmcnt(29)
	v_mul_f32_e32 v2, v141, v25
	v_fma_f32 v4, v137, v23, -v4
	v_add_f32_e32 v1, v1, v151
	s_waitcnt vmcnt(28)
	v_fmac_f32_e32 v2, v142, v26
	ds_read2_b64 v[147:150], v118 offset0:105 offset1:106
	v_add_f32_e32 v3, v3, v4
	v_mul_f32_e32 v4, v140, v13
	v_add_f32_e32 v1, v1, v2
	s_waitcnt vmcnt(27) lgkmcnt(1)
	v_mul_f32_e32 v2, v143, v27
	v_fma_f32 v4, v139, v24, -v4
	s_waitcnt vmcnt(26)
	v_fmac_f32_e32 v2, v144, v28
	v_add_f32_e32 v3, v3, v4
	v_mul_f32_e32 v4, v142, v25
	v_add_f32_e32 v1, v1, v2
	s_waitcnt vmcnt(25)
	v_mul_f32_e32 v2, v145, v167
	v_fma_f32 v4, v141, v26, -v4
	s_waitcnt vmcnt(24)
	v_fmac_f32_e32 v2, v146, v168
	ds_read2_b64 v[151:154], v118 offset0:107 offset1:108
	v_add_f32_e32 v3, v3, v4
	v_mul_f32_e32 v4, v144, v27
	v_add_f32_e32 v1, v1, v2
	s_waitcnt vmcnt(23) lgkmcnt(1)
	v_mul_f32_e32 v2, v147, v169
	v_fma_f32 v4, v143, v28, -v4
	s_waitcnt vmcnt(22)
	v_fmac_f32_e32 v2, v148, v170
	v_add_f32_e32 v3, v3, v4
	v_mul_f32_e32 v4, v146, v167
	v_add_f32_e32 v1, v1, v2
	s_waitcnt vmcnt(21)
	v_mul_f32_e32 v2, v149, v171
	v_fma_f32 v4, v145, v168, -v4
	s_waitcnt vmcnt(20)
	v_fmac_f32_e32 v2, v150, v172
	v_add_f32_e32 v3, v3, v4
	v_mul_f32_e32 v4, v148, v169
	v_add_f32_e32 v1, v1, v2
	s_waitcnt vmcnt(19) lgkmcnt(0)
	v_mul_f32_e32 v2, v151, v173
	v_fma_f32 v4, v147, v170, -v4
	s_waitcnt vmcnt(18)
	v_fmac_f32_e32 v2, v152, v174
	v_add_f32_e32 v3, v3, v4
	v_mul_f32_e32 v4, v150, v171
	v_add_f32_e32 v1, v1, v2
	s_waitcnt vmcnt(17)
	v_mul_f32_e32 v2, v153, v175
	v_fma_f32 v4, v149, v172, -v4
	s_waitcnt vmcnt(16)
	v_fmac_f32_e32 v2, v154, v176
	v_add_f32_e32 v3, v3, v4
	v_mul_f32_e32 v4, v152, v173
	v_add_f32_e32 v1, v1, v2
	s_waitcnt vmcnt(14)
	v_mul_f32_e32 v2, v155, v178
	v_fma_f32 v4, v151, v174, -v4
	v_fmac_f32_e32 v2, v156, v177
	v_add_f32_e32 v3, v3, v4
	v_mul_f32_e32 v4, v154, v175
	v_add_f32_e32 v1, v1, v2
	s_waitcnt vmcnt(11)
	v_mul_f32_e32 v2, v157, v181
	v_fma_f32 v4, v153, v176, -v4
	s_waitcnt vmcnt(10)
	v_fmac_f32_e32 v2, v158, v182
	v_add_f32_e32 v3, v3, v4
	v_mul_f32_e32 v4, v156, v178
	v_add_f32_e32 v1, v1, v2
	s_waitcnt vmcnt(8)
	v_mul_f32_e32 v2, v159, v184
	v_fma_f32 v4, v155, v177, -v4
	v_fmac_f32_e32 v2, v160, v183
	v_add_f32_e32 v3, v3, v4
	v_mul_f32_e32 v4, v158, v181
	v_add_f32_e32 v1, v1, v2
	s_waitcnt vmcnt(6)
	v_mul_f32_e32 v2, v161, v186
	v_fma_f32 v4, v157, v182, -v4
	v_fmac_f32_e32 v2, v162, v185
	v_add_f32_e32 v3, v3, v4
	v_mul_f32_e32 v4, v160, v184
	v_add_f32_e32 v193, v1, v2
	ds_read_b64 v[1:2], v118 offset:920
	v_fma_f32 v4, v159, v183, -v4
	s_waitcnt vmcnt(4)
	v_mul_f32_e32 v194, v163, v188
	v_add_f32_e32 v3, v3, v4
	v_mul_f32_e32 v4, v162, v186
	v_fmac_f32_e32 v194, v164, v187
	v_fma_f32 v4, v161, v185, -v4
	v_add_f32_e32 v193, v193, v194
	s_waitcnt vmcnt(2)
	v_mul_f32_e32 v194, v165, v190
	v_add_f32_e32 v3, v3, v4
	v_mul_f32_e32 v4, v164, v188
	v_fmac_f32_e32 v194, v166, v189
	v_fma_f32 v4, v163, v187, -v4
	v_add_f32_e32 v193, v193, v194
	s_waitcnt vmcnt(0) lgkmcnt(0)
	v_mul_f32_e32 v194, v1, v192
	v_add_f32_e32 v3, v3, v4
	v_mul_f32_e32 v4, v166, v190
	v_fmac_f32_e32 v194, v2, v191
	v_fma_f32 v4, v165, v189, -v4
	v_mul_f32_e32 v2, v2, v192
	v_add_f32_e32 v3, v3, v4
	v_fma_f32 v1, v1, v191, -v2
	v_add_f32_e32 v1, v3, v1
	v_add_f32_e32 v193, v193, v194
	v_sub_f32_e32 v1, v179, v1
	v_sub_f32_e32 v2, v180, v193
	buffer_store_dword v1, off, s[0:3], 0 offset:256
	buffer_store_dword v2, off, s[0:3], 0 offset:260
	s_and_saveexec_b64 s[4:5], vcc
	s_cbranch_execz .LBB57_299
; %bb.298:
	buffer_load_dword v1, off, s[0:3], 0 offset:248
	buffer_load_dword v2, off, s[0:3], 0 offset:252
	s_waitcnt vmcnt(0)
	ds_write_b64 v117, v[1:2]
	buffer_store_dword v118, off, s[0:3], 0 offset:248
	buffer_store_dword v118, off, s[0:3], 0 offset:252
.LBB57_299:
	s_or_b64 exec, exec, s[4:5]
	s_waitcnt lgkmcnt(0)
	; wave barrier
	buffer_load_dword v1, off, s[0:3], 0 offset:260
	buffer_load_dword v2, off, s[0:3], 0 offset:268
	;; [unrolled: 1-line block ×42, first 2 shown]
	ds_read_b128 v[119:122], v118 offset:720
	ds_read_b128 v[123:126], v118 offset:736
	;; [unrolled: 1-line block ×4, first 2 shown]
	buffer_load_dword v185, off, s[0:3], 0 offset:420
	buffer_load_dword v186, off, s[0:3], 0 offset:416
	;; [unrolled: 1-line block ×6, first 2 shown]
	ds_read_b128 v[135:138], v118 offset:784
	ds_read_b128 v[139:142], v118 offset:800
	buffer_load_dword v191, off, s[0:3], 0 offset:440
	buffer_load_dword v192, off, s[0:3], 0 offset:444
	;; [unrolled: 1-line block ×6, first 2 shown]
	v_cmp_lt_u32_e32 vcc, 30, v0
	s_waitcnt vmcnt(53) lgkmcnt(5)
	v_mul_f32_e32 v143, v119, v1
	s_waitcnt vmcnt(52)
	v_mul_f32_e32 v144, v121, v2
	v_mul_f32_e32 v1, v120, v1
	s_waitcnt vmcnt(51) lgkmcnt(4)
	v_mul_f32_e32 v145, v123, v3
	v_mul_f32_e32 v2, v122, v2
	s_waitcnt vmcnt(50)
	v_mul_f32_e32 v146, v125, v4
	s_waitcnt vmcnt(49) lgkmcnt(3)
	v_mul_f32_e32 v147, v127, v5
	s_waitcnt vmcnt(48)
	v_mul_f32_e32 v148, v129, v6
	s_waitcnt vmcnt(47) lgkmcnt(2)
	v_mul_f32_e32 v149, v131, v7
	s_waitcnt vmcnt(46)
	v_mul_f32_e32 v150, v133, v8
	s_waitcnt vmcnt(43)
	v_fmac_f32_e32 v143, v120, v11
	s_waitcnt vmcnt(42)
	v_fmac_f32_e32 v144, v122, v12
	v_add_f32_e32 v143, 0, v143
	v_fma_f32 v1, v119, v11, -v1
	s_waitcnt vmcnt(41)
	v_fmac_f32_e32 v145, v124, v13
	v_add_f32_e32 v143, v143, v144
	v_add_f32_e32 v1, 0, v1
	v_fma_f32 v2, v121, v12, -v2
	s_waitcnt vmcnt(40)
	v_fmac_f32_e32 v146, v126, v14
	v_add_f32_e32 v143, v143, v145
	v_add_f32_e32 v1, v1, v2
	v_mul_f32_e32 v2, v124, v3
	s_waitcnt vmcnt(39)
	v_fmac_f32_e32 v147, v128, v15
	v_add_f32_e32 v143, v143, v146
	v_fma_f32 v2, v123, v13, -v2
	s_waitcnt vmcnt(38)
	v_fmac_f32_e32 v148, v130, v16
	v_add_f32_e32 v143, v143, v147
	v_add_f32_e32 v1, v1, v2
	v_mul_f32_e32 v2, v126, v4
	s_waitcnt vmcnt(37)
	v_fmac_f32_e32 v149, v132, v17
	v_add_f32_e32 v143, v143, v148
	v_fma_f32 v2, v125, v14, -v2
	s_waitcnt lgkmcnt(1)
	v_mul_f32_e32 v151, v135, v9
	s_waitcnt vmcnt(36)
	v_fmac_f32_e32 v150, v134, v18
	v_add_f32_e32 v143, v143, v149
	v_add_f32_e32 v1, v1, v2
	v_mul_f32_e32 v2, v128, v5
	v_mul_f32_e32 v152, v137, v10
	s_waitcnt vmcnt(35)
	v_fmac_f32_e32 v151, v136, v19
	v_add_f32_e32 v143, v143, v150
	v_fma_f32 v2, v127, v15, -v2
	s_waitcnt vmcnt(34)
	v_fmac_f32_e32 v152, v138, v20
	v_add_f32_e32 v143, v143, v151
	s_waitcnt vmcnt(33) lgkmcnt(0)
	v_mul_f32_e32 v144, v139, v21
	v_add_f32_e32 v1, v1, v2
	v_mul_f32_e32 v2, v130, v6
	v_add_f32_e32 v143, v143, v152
	s_waitcnt vmcnt(32)
	v_fmac_f32_e32 v144, v140, v22
	v_fma_f32 v2, v129, v16, -v2
	v_add_f32_e32 v147, v143, v144
	ds_read_b128 v[143:146], v118 offset:816
	v_add_f32_e32 v1, v1, v2
	v_mul_f32_e32 v2, v132, v7
	v_fma_f32 v2, v131, v17, -v2
	s_waitcnt vmcnt(31)
	v_mul_f32_e32 v148, v141, v23
	v_add_f32_e32 v1, v1, v2
	v_mul_f32_e32 v2, v134, v8
	s_waitcnt vmcnt(30)
	v_fmac_f32_e32 v148, v142, v24
	v_fma_f32 v2, v133, v18, -v2
	v_add_f32_e32 v151, v147, v148
	ds_read_b128 v[147:150], v118 offset:832
	v_add_f32_e32 v1, v1, v2
	v_mul_f32_e32 v2, v136, v9
	s_waitcnt vmcnt(29) lgkmcnt(1)
	v_mul_f32_e32 v152, v143, v25
	v_fma_f32 v2, v135, v19, -v2
	s_waitcnt vmcnt(28)
	v_fmac_f32_e32 v152, v144, v26
	v_add_f32_e32 v1, v1, v2
	v_mul_f32_e32 v2, v138, v10
	v_add_f32_e32 v151, v151, v152
	s_waitcnt vmcnt(27)
	v_mul_f32_e32 v152, v145, v27
	v_fma_f32 v2, v137, v20, -v2
	s_waitcnt vmcnt(26)
	v_fmac_f32_e32 v152, v146, v28
	v_add_f32_e32 v1, v1, v2
	v_mul_f32_e32 v2, v140, v21
	v_add_f32_e32 v151, v151, v152
	s_waitcnt vmcnt(25) lgkmcnt(0)
	v_mul_f32_e32 v152, v147, v171
	v_fma_f32 v2, v139, v22, -v2
	s_waitcnt vmcnt(24)
	v_fmac_f32_e32 v152, v148, v172
	v_add_f32_e32 v1, v1, v2
	v_mul_f32_e32 v2, v142, v23
	v_add_f32_e32 v155, v151, v152
	ds_read_b128 v[151:154], v118 offset:848
	v_fma_f32 v2, v141, v24, -v2
	v_add_f32_e32 v1, v1, v2
	v_mul_f32_e32 v2, v144, v25
	s_waitcnt vmcnt(23)
	v_mul_f32_e32 v156, v149, v173
	v_fma_f32 v2, v143, v26, -v2
	s_waitcnt vmcnt(22)
	v_fmac_f32_e32 v156, v150, v174
	v_add_f32_e32 v1, v1, v2
	v_mul_f32_e32 v2, v146, v27
	v_add_f32_e32 v159, v155, v156
	ds_read_b128 v[155:158], v118 offset:864
	v_fma_f32 v2, v145, v28, -v2
	s_waitcnt vmcnt(21) lgkmcnt(1)
	v_mul_f32_e32 v160, v151, v175
	v_add_f32_e32 v1, v1, v2
	v_mul_f32_e32 v2, v148, v171
	s_waitcnt vmcnt(20)
	v_fmac_f32_e32 v160, v152, v176
	v_fma_f32 v2, v147, v172, -v2
	v_add_f32_e32 v159, v159, v160
	s_waitcnt vmcnt(18)
	v_mul_f32_e32 v160, v153, v178
	v_add_f32_e32 v1, v1, v2
	v_mul_f32_e32 v2, v150, v173
	v_fmac_f32_e32 v160, v154, v177
	v_fma_f32 v2, v149, v174, -v2
	v_add_f32_e32 v159, v159, v160
	s_waitcnt vmcnt(15) lgkmcnt(0)
	v_mul_f32_e32 v160, v155, v181
	v_add_f32_e32 v1, v1, v2
	v_mul_f32_e32 v2, v152, v175
	s_waitcnt vmcnt(14)
	v_fmac_f32_e32 v160, v156, v182
	v_fma_f32 v2, v151, v176, -v2
	v_add_f32_e32 v163, v159, v160
	ds_read_b128 v[159:162], v118 offset:880
	v_add_f32_e32 v1, v1, v2
	v_mul_f32_e32 v2, v154, v178
	v_fma_f32 v2, v153, v177, -v2
	v_add_f32_e32 v1, v1, v2
	v_mul_f32_e32 v2, v156, v181
	s_waitcnt vmcnt(12)
	v_mul_f32_e32 v164, v157, v184
	v_fma_f32 v2, v155, v182, -v2
	v_fmac_f32_e32 v164, v158, v183
	v_add_f32_e32 v1, v1, v2
	v_mul_f32_e32 v2, v158, v184
	v_add_f32_e32 v167, v163, v164
	ds_read_b128 v[163:166], v118 offset:896
	s_waitcnt vmcnt(11) lgkmcnt(1)
	v_mul_f32_e32 v168, v159, v185
	v_fma_f32 v2, v157, v183, -v2
	s_waitcnt vmcnt(10)
	v_fmac_f32_e32 v168, v160, v186
	v_add_f32_e32 v1, v1, v2
	v_mul_f32_e32 v2, v160, v185
	v_add_f32_e32 v167, v167, v168
	s_waitcnt vmcnt(8)
	v_mul_f32_e32 v168, v161, v188
	v_fma_f32 v2, v159, v186, -v2
	v_fmac_f32_e32 v168, v162, v187
	v_add_f32_e32 v1, v1, v2
	v_mul_f32_e32 v2, v162, v188
	v_add_f32_e32 v197, v167, v168
	ds_read_b128 v[167:170], v118 offset:912
	v_fma_f32 v2, v161, v187, -v2
	v_add_f32_e32 v1, v1, v2
	s_waitcnt vmcnt(6) lgkmcnt(1)
	v_mul_f32_e32 v2, v164, v190
	v_mul_f32_e32 v198, v163, v190
	v_fma_f32 v2, v163, v189, -v2
	v_fmac_f32_e32 v198, v164, v189
	v_add_f32_e32 v1, v1, v2
	s_waitcnt vmcnt(4)
	v_mul_f32_e32 v2, v166, v192
	v_add_f32_e32 v118, v197, v198
	v_mul_f32_e32 v197, v165, v192
	v_fma_f32 v2, v165, v191, -v2
	v_fmac_f32_e32 v197, v166, v191
	v_add_f32_e32 v1, v1, v2
	s_waitcnt vmcnt(2) lgkmcnt(0)
	v_mul_f32_e32 v2, v168, v194
	v_add_f32_e32 v118, v118, v197
	v_mul_f32_e32 v197, v167, v194
	v_fma_f32 v2, v167, v193, -v2
	v_fmac_f32_e32 v197, v168, v193
	v_add_f32_e32 v1, v1, v2
	s_waitcnt vmcnt(0)
	v_mul_f32_e32 v2, v170, v196
	v_add_f32_e32 v118, v118, v197
	v_mul_f32_e32 v197, v169, v196
	v_fma_f32 v2, v169, v195, -v2
	v_fmac_f32_e32 v197, v170, v195
	v_add_f32_e32 v1, v1, v2
	v_add_f32_e32 v118, v118, v197
	v_sub_f32_e32 v1, v179, v1
	v_sub_f32_e32 v2, v180, v118
	buffer_store_dword v1, off, s[0:3], 0 offset:248
	buffer_store_dword v2, off, s[0:3], 0 offset:252
	s_and_saveexec_b64 s[4:5], vcc
	s_cbranch_execz .LBB57_301
; %bb.300:
	buffer_load_dword v1, off, s[0:3], 0 offset:240
	buffer_load_dword v2, off, s[0:3], 0 offset:244
	v_mov_b32_e32 v3, 0
	buffer_store_dword v3, off, s[0:3], 0 offset:240
	buffer_store_dword v3, off, s[0:3], 0 offset:244
	s_waitcnt vmcnt(2)
	ds_write_b64 v117, v[1:2]
.LBB57_301:
	s_or_b64 exec, exec, s[4:5]
	s_waitcnt lgkmcnt(0)
	; wave barrier
	buffer_load_dword v3, off, s[0:3], 0 offset:252
	buffer_load_dword v4, off, s[0:3], 0 offset:260
	;; [unrolled: 1-line block ×56, first 2 shown]
	v_mov_b32_e32 v118, 0
	ds_read2_b64 v[119:122], v118 offset0:89 offset1:90
	ds_read2_b64 v[123:126], v118 offset0:91 offset1:92
	ds_read2_b64 v[127:130], v118 offset0:93 offset1:94
	ds_read2_b64 v[131:134], v118 offset0:95 offset1:96
	ds_read2_b64 v[135:138], v118 offset0:97 offset1:98
	ds_read2_b64 v[139:142], v118 offset0:99 offset1:100
	ds_read2_b64 v[151:154], v118 offset0:105 offset1:106
	ds_read2_b64 v[155:158], v118 offset0:107 offset1:108
	ds_read2_b64 v[159:162], v118 offset0:109 offset1:110
	ds_read2_b64 v[163:166], v118 offset0:111 offset1:112
	ds_read2_b64 v[167:170], v118 offset0:113 offset1:114
	v_cmp_lt_u32_e32 vcc, 29, v0
	s_waitcnt vmcnt(55) lgkmcnt(10)
	v_mul_f32_e32 v1, v119, v3
	v_mul_f32_e32 v3, v120, v3
	s_waitcnt vmcnt(54)
	v_mul_f32_e32 v2, v121, v4
	v_mul_f32_e32 v4, v122, v4
	s_waitcnt vmcnt(53) lgkmcnt(9)
	v_mul_f32_e32 v143, v123, v5
	s_waitcnt vmcnt(52)
	v_mul_f32_e32 v144, v125, v6
	s_waitcnt vmcnt(51) lgkmcnt(8)
	v_mul_f32_e32 v145, v127, v7
	s_waitcnt vmcnt(50)
	;; [unrolled: 4-line block ×3, first 2 shown]
	v_fma_f32 v3, v119, v12, -v3
	v_add_f32_e32 v3, 0, v3
	s_waitcnt vmcnt(45)
	v_fma_f32 v4, v121, v13, -v4
	v_add_f32_e32 v3, v3, v4
	v_mul_f32_e32 v4, v124, v5
	s_waitcnt vmcnt(44)
	v_fma_f32 v4, v123, v14, -v4
	v_add_f32_e32 v3, v3, v4
	v_mul_f32_e32 v4, v126, v6
	v_fmac_f32_e32 v1, v120, v12
	s_waitcnt vmcnt(43)
	v_fma_f32 v4, v125, v15, -v4
	v_fmac_f32_e32 v2, v122, v13
	v_add_f32_e32 v1, 0, v1
	v_add_f32_e32 v3, v3, v4
	v_mul_f32_e32 v4, v128, v7
	v_fmac_f32_e32 v143, v124, v14
	v_add_f32_e32 v1, v1, v2
	s_waitcnt vmcnt(42)
	v_fma_f32 v4, v127, v16, -v4
	v_fmac_f32_e32 v144, v126, v15
	v_add_f32_e32 v1, v1, v143
	v_add_f32_e32 v3, v3, v4
	v_mul_f32_e32 v4, v130, v8
	v_fmac_f32_e32 v145, v128, v16
	v_add_f32_e32 v1, v1, v144
	s_waitcnt vmcnt(41)
	v_fma_f32 v4, v129, v17, -v4
	v_fmac_f32_e32 v146, v130, v17
	v_add_f32_e32 v1, v1, v145
	v_add_f32_e32 v3, v3, v4
	v_mul_f32_e32 v4, v132, v9
	v_mul_f32_e32 v148, v133, v10
	s_waitcnt vmcnt(40)
	v_fmac_f32_e32 v147, v132, v18
	v_add_f32_e32 v1, v1, v146
	v_fma_f32 v4, v131, v18, -v4
	s_waitcnt lgkmcnt(6)
	v_mul_f32_e32 v149, v135, v11
	s_waitcnt vmcnt(39)
	v_fmac_f32_e32 v148, v134, v19
	v_add_f32_e32 v1, v1, v147
	v_add_f32_e32 v3, v3, v4
	v_mul_f32_e32 v4, v134, v10
	v_add_f32_e32 v1, v1, v148
	s_waitcnt vmcnt(38)
	v_fmac_f32_e32 v149, v136, v20
	s_waitcnt vmcnt(37)
	v_mul_f32_e32 v2, v137, v21
	v_fma_f32 v4, v133, v19, -v4
	v_add_f32_e32 v1, v1, v149
	s_waitcnt vmcnt(36)
	v_fmac_f32_e32 v2, v138, v22
	ds_read2_b64 v[143:146], v118 offset0:101 offset1:102
	ds_read2_b64 v[147:150], v118 offset0:103 offset1:104
	v_add_f32_e32 v3, v3, v4
	v_mul_f32_e32 v4, v136, v11
	v_add_f32_e32 v1, v1, v2
	s_waitcnt vmcnt(35) lgkmcnt(7)
	v_mul_f32_e32 v2, v139, v23
	v_fma_f32 v4, v135, v20, -v4
	s_waitcnt vmcnt(34)
	v_fmac_f32_e32 v2, v140, v24
	v_add_f32_e32 v3, v3, v4
	v_mul_f32_e32 v4, v138, v21
	v_add_f32_e32 v1, v1, v2
	s_waitcnt vmcnt(33)
	v_mul_f32_e32 v2, v141, v25
	v_fma_f32 v4, v137, v22, -v4
	s_waitcnt vmcnt(32)
	v_fmac_f32_e32 v2, v142, v26
	v_add_f32_e32 v3, v3, v4
	v_mul_f32_e32 v4, v140, v23
	v_add_f32_e32 v1, v1, v2
	s_waitcnt vmcnt(31) lgkmcnt(1)
	v_mul_f32_e32 v2, v143, v27
	v_fma_f32 v4, v139, v24, -v4
	s_waitcnt vmcnt(30)
	v_fmac_f32_e32 v2, v144, v28
	v_add_f32_e32 v3, v3, v4
	v_mul_f32_e32 v4, v142, v25
	v_add_f32_e32 v1, v1, v2
	s_waitcnt vmcnt(29)
	v_mul_f32_e32 v2, v145, v171
	v_fma_f32 v4, v141, v26, -v4
	s_waitcnt vmcnt(28)
	v_fmac_f32_e32 v2, v146, v172
	v_add_f32_e32 v3, v3, v4
	v_mul_f32_e32 v4, v144, v27
	v_add_f32_e32 v1, v1, v2
	s_waitcnt vmcnt(27) lgkmcnt(0)
	v_mul_f32_e32 v2, v147, v173
	v_fma_f32 v4, v143, v28, -v4
	s_waitcnt vmcnt(26)
	v_fmac_f32_e32 v2, v148, v174
	v_add_f32_e32 v3, v3, v4
	v_mul_f32_e32 v4, v146, v171
	v_add_f32_e32 v1, v1, v2
	s_waitcnt vmcnt(24)
	v_mul_f32_e32 v2, v149, v176
	v_fma_f32 v4, v145, v172, -v4
	v_fmac_f32_e32 v2, v150, v175
	v_add_f32_e32 v3, v3, v4
	v_mul_f32_e32 v4, v148, v173
	v_add_f32_e32 v1, v1, v2
	s_waitcnt vmcnt(21)
	v_mul_f32_e32 v2, v151, v179
	v_fma_f32 v4, v147, v174, -v4
	s_waitcnt vmcnt(20)
	v_fmac_f32_e32 v2, v152, v180
	v_add_f32_e32 v3, v3, v4
	v_mul_f32_e32 v4, v150, v176
	v_add_f32_e32 v1, v1, v2
	s_waitcnt vmcnt(18)
	v_mul_f32_e32 v2, v153, v182
	v_fma_f32 v4, v149, v175, -v4
	v_fmac_f32_e32 v2, v154, v181
	v_add_f32_e32 v3, v3, v4
	v_mul_f32_e32 v4, v152, v179
	v_add_f32_e32 v1, v1, v2
	s_waitcnt vmcnt(16)
	v_mul_f32_e32 v2, v155, v184
	v_fma_f32 v4, v151, v180, -v4
	;; [unrolled: 7-line block ×7, first 2 shown]
	v_fmac_f32_e32 v2, v166, v193
	v_add_f32_e32 v3, v3, v4
	v_mul_f32_e32 v4, v164, v192
	v_add_f32_e32 v201, v1, v2
	ds_read_b64 v[1:2], v118 offset:920
	v_fma_f32 v4, v163, v191, -v4
	s_waitcnt vmcnt(4)
	v_mul_f32_e32 v202, v167, v196
	v_add_f32_e32 v3, v3, v4
	v_mul_f32_e32 v4, v166, v194
	v_fmac_f32_e32 v202, v168, v195
	v_fma_f32 v4, v165, v193, -v4
	v_add_f32_e32 v201, v201, v202
	s_waitcnt vmcnt(2)
	v_mul_f32_e32 v202, v169, v198
	v_add_f32_e32 v3, v3, v4
	v_mul_f32_e32 v4, v168, v196
	v_fmac_f32_e32 v202, v170, v197
	v_fma_f32 v4, v167, v195, -v4
	v_add_f32_e32 v201, v201, v202
	s_waitcnt vmcnt(0) lgkmcnt(0)
	v_mul_f32_e32 v202, v1, v200
	v_add_f32_e32 v3, v3, v4
	v_mul_f32_e32 v4, v170, v198
	v_fmac_f32_e32 v202, v2, v199
	v_fma_f32 v4, v169, v197, -v4
	v_mul_f32_e32 v2, v2, v200
	v_add_f32_e32 v3, v3, v4
	v_fma_f32 v1, v1, v199, -v2
	v_add_f32_e32 v1, v3, v1
	v_add_f32_e32 v201, v201, v202
	v_sub_f32_e32 v1, v177, v1
	v_sub_f32_e32 v2, v178, v201
	buffer_store_dword v1, off, s[0:3], 0 offset:240
	buffer_store_dword v2, off, s[0:3], 0 offset:244
	s_and_saveexec_b64 s[4:5], vcc
	s_cbranch_execz .LBB57_303
; %bb.302:
	buffer_load_dword v1, off, s[0:3], 0 offset:232
	buffer_load_dword v2, off, s[0:3], 0 offset:236
	s_waitcnt vmcnt(0)
	ds_write_b64 v117, v[1:2]
	buffer_store_dword v118, off, s[0:3], 0 offset:232
	buffer_store_dword v118, off, s[0:3], 0 offset:236
.LBB57_303:
	s_or_b64 exec, exec, s[4:5]
	s_waitcnt lgkmcnt(0)
	; wave barrier
	buffer_load_dword v1, off, s[0:3], 0 offset:244
	buffer_load_dword v2, off, s[0:3], 0 offset:252
	;; [unrolled: 1-line block ×34, first 2 shown]
	ds_read_b128 v[119:122], v118 offset:704
	ds_read_b128 v[123:126], v118 offset:720
	buffer_load_dword v181, off, s[0:3], 0 offset:372
	buffer_load_dword v182, off, s[0:3], 0 offset:368
	;; [unrolled: 1-line block ×6, first 2 shown]
	ds_read_b128 v[127:130], v118 offset:736
	ds_read_b128 v[131:134], v118 offset:752
	;; [unrolled: 1-line block ×4, first 2 shown]
	buffer_load_dword v187, off, s[0:3], 0 offset:396
	buffer_load_dword v188, off, s[0:3], 0 offset:392
	;; [unrolled: 1-line block ×18, first 2 shown]
	v_cmp_lt_u32_e32 vcc, 28, v0
	s_waitcnt vmcnt(57) lgkmcnt(5)
	v_mul_f32_e32 v143, v119, v1
	s_waitcnt vmcnt(56)
	v_mul_f32_e32 v144, v121, v2
	s_waitcnt vmcnt(55) lgkmcnt(4)
	v_mul_f32_e32 v145, v123, v3
	s_waitcnt vmcnt(54)
	v_mul_f32_e32 v146, v125, v4
	;; [unrolled: 4-line block ×3, first 2 shown]
	v_mul_f32_e32 v1, v120, v1
	s_waitcnt vmcnt(51) lgkmcnt(2)
	v_mul_f32_e32 v149, v131, v7
	s_waitcnt vmcnt(49)
	v_fmac_f32_e32 v143, v120, v9
	s_waitcnt vmcnt(48)
	v_fmac_f32_e32 v144, v122, v10
	v_add_f32_e32 v143, 0, v143
	s_waitcnt vmcnt(47)
	v_fmac_f32_e32 v145, v124, v11
	v_add_f32_e32 v143, v143, v144
	;; [unrolled: 3-line block ×5, first 2 shown]
	v_fma_f32 v1, v119, v9, -v1
	v_mul_f32_e32 v2, v122, v2
	v_mul_f32_e32 v150, v133, v8
	s_waitcnt vmcnt(43)
	v_fmac_f32_e32 v149, v132, v15
	v_add_f32_e32 v143, v143, v148
	v_add_f32_e32 v1, 0, v1
	v_fma_f32 v2, v121, v10, -v2
	s_waitcnt vmcnt(42)
	v_fmac_f32_e32 v150, v134, v16
	v_add_f32_e32 v143, v143, v149
	s_waitcnt vmcnt(41) lgkmcnt(1)
	v_mul_f32_e32 v144, v135, v17
	v_add_f32_e32 v1, v1, v2
	v_mul_f32_e32 v2, v124, v3
	v_add_f32_e32 v143, v143, v150
	s_waitcnt vmcnt(40)
	v_fmac_f32_e32 v144, v136, v18
	v_fma_f32 v2, v123, v11, -v2
	v_add_f32_e32 v143, v143, v144
	s_waitcnt vmcnt(39)
	v_mul_f32_e32 v144, v137, v19
	v_add_f32_e32 v1, v1, v2
	v_mul_f32_e32 v2, v126, v4
	s_waitcnt vmcnt(38)
	v_fmac_f32_e32 v144, v138, v20
	v_fma_f32 v2, v125, v12, -v2
	v_add_f32_e32 v143, v143, v144
	s_waitcnt vmcnt(37) lgkmcnt(0)
	v_mul_f32_e32 v144, v139, v21
	v_add_f32_e32 v1, v1, v2
	v_mul_f32_e32 v2, v128, v5
	s_waitcnt vmcnt(36)
	v_fmac_f32_e32 v144, v140, v22
	v_fma_f32 v2, v127, v13, -v2
	v_add_f32_e32 v147, v143, v144
	ds_read_b128 v[143:146], v118 offset:800
	v_add_f32_e32 v1, v1, v2
	v_mul_f32_e32 v2, v130, v6
	v_fma_f32 v2, v129, v14, -v2
	s_waitcnt vmcnt(35)
	v_mul_f32_e32 v148, v141, v23
	v_add_f32_e32 v1, v1, v2
	v_mul_f32_e32 v2, v132, v7
	s_waitcnt vmcnt(34)
	v_fmac_f32_e32 v148, v142, v24
	v_fma_f32 v2, v131, v15, -v2
	v_add_f32_e32 v151, v147, v148
	ds_read_b128 v[147:150], v118 offset:816
	v_add_f32_e32 v1, v1, v2
	v_mul_f32_e32 v2, v134, v8
	s_waitcnt vmcnt(33) lgkmcnt(1)
	v_mul_f32_e32 v152, v143, v25
	v_fma_f32 v2, v133, v16, -v2
	s_waitcnt vmcnt(32)
	v_fmac_f32_e32 v152, v144, v26
	v_add_f32_e32 v1, v1, v2
	v_mul_f32_e32 v2, v136, v17
	v_add_f32_e32 v151, v151, v152
	s_waitcnt vmcnt(31)
	v_mul_f32_e32 v152, v145, v27
	v_fma_f32 v2, v135, v18, -v2
	s_waitcnt vmcnt(30)
	v_fmac_f32_e32 v152, v146, v28
	v_add_f32_e32 v1, v1, v2
	v_mul_f32_e32 v2, v138, v19
	v_add_f32_e32 v151, v151, v152
	s_waitcnt vmcnt(29) lgkmcnt(0)
	v_mul_f32_e32 v152, v147, v175
	v_fma_f32 v2, v137, v20, -v2
	s_waitcnt vmcnt(28)
	v_fmac_f32_e32 v152, v148, v176
	v_add_f32_e32 v1, v1, v2
	v_mul_f32_e32 v2, v140, v21
	v_add_f32_e32 v155, v151, v152
	ds_read_b128 v[151:154], v118 offset:832
	v_fma_f32 v2, v139, v22, -v2
	v_add_f32_e32 v1, v1, v2
	v_mul_f32_e32 v2, v142, v23
	s_waitcnt vmcnt(25)
	v_mul_f32_e32 v156, v149, v179
	v_fma_f32 v2, v141, v24, -v2
	s_waitcnt vmcnt(24)
	v_fmac_f32_e32 v156, v150, v180
	v_add_f32_e32 v1, v1, v2
	v_mul_f32_e32 v2, v144, v25
	v_add_f32_e32 v159, v155, v156
	ds_read_b128 v[155:158], v118 offset:848
	v_fma_f32 v2, v143, v26, -v2
	s_waitcnt vmcnt(23) lgkmcnt(1)
	v_mul_f32_e32 v160, v151, v181
	v_add_f32_e32 v1, v1, v2
	v_mul_f32_e32 v2, v146, v27
	s_waitcnt vmcnt(22)
	v_fmac_f32_e32 v160, v152, v182
	v_fma_f32 v2, v145, v28, -v2
	v_add_f32_e32 v159, v159, v160
	s_waitcnt vmcnt(20)
	v_mul_f32_e32 v160, v153, v184
	v_add_f32_e32 v1, v1, v2
	v_mul_f32_e32 v2, v148, v175
	v_fmac_f32_e32 v160, v154, v183
	v_fma_f32 v2, v147, v176, -v2
	v_add_f32_e32 v159, v159, v160
	s_waitcnt vmcnt(18) lgkmcnt(0)
	v_mul_f32_e32 v160, v155, v186
	v_add_f32_e32 v1, v1, v2
	v_mul_f32_e32 v2, v150, v179
	v_fmac_f32_e32 v160, v156, v185
	v_fma_f32 v2, v149, v180, -v2
	v_add_f32_e32 v163, v159, v160
	ds_read_b128 v[159:162], v118 offset:864
	v_add_f32_e32 v1, v1, v2
	v_mul_f32_e32 v2, v152, v181
	v_fma_f32 v2, v151, v182, -v2
	s_waitcnt vmcnt(17)
	v_mul_f32_e32 v164, v157, v187
	v_add_f32_e32 v1, v1, v2
	v_mul_f32_e32 v2, v154, v184
	s_waitcnt vmcnt(16)
	v_fmac_f32_e32 v164, v158, v188
	v_fma_f32 v2, v153, v183, -v2
	v_add_f32_e32 v167, v163, v164
	ds_read_b128 v[163:166], v118 offset:880
	v_add_f32_e32 v1, v1, v2
	v_mul_f32_e32 v2, v156, v186
	s_waitcnt vmcnt(14) lgkmcnt(1)
	v_mul_f32_e32 v168, v159, v190
	v_fma_f32 v2, v155, v185, -v2
	v_fmac_f32_e32 v168, v160, v189
	v_add_f32_e32 v1, v1, v2
	v_mul_f32_e32 v2, v158, v187
	v_add_f32_e32 v167, v167, v168
	s_waitcnt vmcnt(12)
	v_mul_f32_e32 v168, v161, v192
	v_fma_f32 v2, v157, v188, -v2
	v_fmac_f32_e32 v168, v162, v191
	v_add_f32_e32 v1, v1, v2
	v_mul_f32_e32 v2, v160, v190
	v_add_f32_e32 v167, v167, v168
	s_waitcnt vmcnt(10) lgkmcnt(0)
	v_mul_f32_e32 v168, v163, v194
	v_fma_f32 v2, v159, v189, -v2
	v_fmac_f32_e32 v168, v164, v193
	v_add_f32_e32 v1, v1, v2
	v_mul_f32_e32 v2, v162, v192
	v_add_f32_e32 v171, v167, v168
	ds_read_b128 v[167:170], v118 offset:896
	v_fma_f32 v2, v161, v191, -v2
	v_add_f32_e32 v1, v1, v2
	v_mul_f32_e32 v2, v164, v194
	s_waitcnt vmcnt(8)
	v_mul_f32_e32 v172, v165, v196
	v_fma_f32 v2, v163, v193, -v2
	v_fmac_f32_e32 v172, v166, v195
	v_add_f32_e32 v1, v1, v2
	v_mul_f32_e32 v2, v166, v196
	v_add_f32_e32 v205, v171, v172
	ds_read_b128 v[171:174], v118 offset:912
	v_fma_f32 v2, v165, v195, -v2
	v_add_f32_e32 v1, v1, v2
	s_waitcnt vmcnt(6) lgkmcnt(1)
	v_mul_f32_e32 v2, v168, v198
	v_mul_f32_e32 v118, v167, v198
	v_fma_f32 v2, v167, v197, -v2
	v_fmac_f32_e32 v118, v168, v197
	v_add_f32_e32 v1, v1, v2
	s_waitcnt vmcnt(4)
	v_mul_f32_e32 v2, v170, v200
	v_add_f32_e32 v118, v205, v118
	v_mul_f32_e32 v205, v169, v200
	v_fma_f32 v2, v169, v199, -v2
	v_fmac_f32_e32 v205, v170, v199
	v_add_f32_e32 v1, v1, v2
	s_waitcnt vmcnt(2) lgkmcnt(0)
	v_mul_f32_e32 v2, v172, v202
	v_add_f32_e32 v118, v118, v205
	v_mul_f32_e32 v205, v171, v202
	v_fma_f32 v2, v171, v201, -v2
	v_fmac_f32_e32 v205, v172, v201
	v_add_f32_e32 v1, v1, v2
	s_waitcnt vmcnt(0)
	v_mul_f32_e32 v2, v174, v204
	v_add_f32_e32 v118, v118, v205
	v_mul_f32_e32 v205, v173, v204
	v_fma_f32 v2, v173, v203, -v2
	v_fmac_f32_e32 v205, v174, v203
	v_add_f32_e32 v1, v1, v2
	v_add_f32_e32 v118, v118, v205
	v_sub_f32_e32 v1, v177, v1
	v_sub_f32_e32 v2, v178, v118
	buffer_store_dword v1, off, s[0:3], 0 offset:232
	buffer_store_dword v2, off, s[0:3], 0 offset:236
	s_and_saveexec_b64 s[4:5], vcc
	s_cbranch_execz .LBB57_305
; %bb.304:
	buffer_load_dword v1, off, s[0:3], 0 offset:224
	buffer_load_dword v2, off, s[0:3], 0 offset:228
	v_mov_b32_e32 v3, 0
	buffer_store_dword v3, off, s[0:3], 0 offset:224
	buffer_store_dword v3, off, s[0:3], 0 offset:228
	s_waitcnt vmcnt(2)
	ds_write_b64 v117, v[1:2]
.LBB57_305:
	s_or_b64 exec, exec, s[4:5]
	s_waitcnt lgkmcnt(0)
	; wave barrier
	buffer_load_dword v3, off, s[0:3], 0 offset:236
	buffer_load_dword v4, off, s[0:3], 0 offset:244
	;; [unrolled: 1-line block ×60, first 2 shown]
	v_mov_b32_e32 v118, 0
	ds_read2_b64 v[119:122], v118 offset0:87 offset1:88
	ds_read2_b64 v[123:126], v118 offset0:89 offset1:90
	;; [unrolled: 1-line block ×12, first 2 shown]
	v_cmp_lt_u32_e32 vcc, 27, v0
	s_waitcnt vmcnt(59) lgkmcnt(11)
	v_mul_f32_e32 v1, v119, v3
	v_mul_f32_e32 v3, v120, v3
	s_waitcnt vmcnt(58)
	v_mul_f32_e32 v2, v121, v4
	v_mul_f32_e32 v4, v122, v4
	s_waitcnt vmcnt(57) lgkmcnt(10)
	v_mul_f32_e32 v139, v123, v5
	s_waitcnt vmcnt(56)
	v_mul_f32_e32 v140, v125, v6
	s_waitcnt vmcnt(55) lgkmcnt(9)
	v_mul_f32_e32 v141, v127, v7
	s_waitcnt vmcnt(52)
	v_fma_f32 v3, v119, v10, -v3
	v_add_f32_e32 v3, 0, v3
	s_waitcnt vmcnt(51)
	v_fma_f32 v4, v121, v11, -v4
	v_add_f32_e32 v3, v3, v4
	v_mul_f32_e32 v4, v124, v5
	v_fmac_f32_e32 v1, v120, v10
	s_waitcnt vmcnt(50)
	v_fma_f32 v4, v123, v12, -v4
	v_fmac_f32_e32 v2, v122, v11
	v_add_f32_e32 v1, 0, v1
	v_add_f32_e32 v3, v3, v4
	v_mul_f32_e32 v4, v126, v6
	v_fmac_f32_e32 v139, v124, v12
	v_add_f32_e32 v1, v1, v2
	s_waitcnt vmcnt(49)
	v_fma_f32 v4, v125, v13, -v4
	v_fmac_f32_e32 v140, v126, v13
	v_add_f32_e32 v1, v1, v139
	v_add_f32_e32 v3, v3, v4
	v_mul_f32_e32 v4, v128, v7
	v_mul_f32_e32 v142, v129, v8
	s_waitcnt vmcnt(48)
	v_fmac_f32_e32 v141, v128, v14
	v_add_f32_e32 v1, v1, v140
	v_fma_f32 v4, v127, v14, -v4
	s_waitcnt lgkmcnt(8)
	v_mul_f32_e32 v143, v131, v9
	s_waitcnt vmcnt(47)
	v_fmac_f32_e32 v142, v130, v15
	v_add_f32_e32 v1, v1, v141
	v_add_f32_e32 v3, v3, v4
	v_mul_f32_e32 v4, v130, v8
	s_waitcnt vmcnt(46)
	v_fmac_f32_e32 v143, v132, v16
	v_add_f32_e32 v1, v1, v142
	s_waitcnt vmcnt(45)
	v_mul_f32_e32 v2, v133, v17
	v_fma_f32 v4, v129, v15, -v4
	v_add_f32_e32 v1, v1, v143
	s_waitcnt vmcnt(44)
	v_fmac_f32_e32 v2, v134, v18
	ds_read2_b64 v[139:142], v118 offset0:97 offset1:98
	ds_read2_b64 v[143:146], v118 offset0:99 offset1:100
	v_add_f32_e32 v3, v3, v4
	v_mul_f32_e32 v4, v132, v9
	v_add_f32_e32 v1, v1, v2
	s_waitcnt vmcnt(43) lgkmcnt(9)
	v_mul_f32_e32 v2, v135, v19
	v_fma_f32 v4, v131, v16, -v4
	s_waitcnt vmcnt(42)
	v_fmac_f32_e32 v2, v136, v20
	v_add_f32_e32 v3, v3, v4
	v_mul_f32_e32 v4, v134, v17
	v_add_f32_e32 v1, v1, v2
	s_waitcnt vmcnt(41)
	v_mul_f32_e32 v2, v137, v21
	v_fma_f32 v4, v133, v18, -v4
	s_waitcnt vmcnt(40)
	v_fmac_f32_e32 v2, v138, v22
	v_add_f32_e32 v3, v3, v4
	v_mul_f32_e32 v4, v136, v19
	v_add_f32_e32 v1, v1, v2
	s_waitcnt vmcnt(39) lgkmcnt(1)
	v_mul_f32_e32 v2, v139, v23
	v_fma_f32 v4, v135, v20, -v4
	s_waitcnt vmcnt(38)
	v_fmac_f32_e32 v2, v140, v24
	v_add_f32_e32 v3, v3, v4
	v_mul_f32_e32 v4, v138, v21
	v_add_f32_e32 v1, v1, v2
	s_waitcnt vmcnt(37)
	v_mul_f32_e32 v2, v141, v25
	v_fma_f32 v4, v137, v22, -v4
	s_waitcnt vmcnt(36)
	v_fmac_f32_e32 v2, v142, v26
	v_add_f32_e32 v3, v3, v4
	v_mul_f32_e32 v4, v140, v23
	v_add_f32_e32 v1, v1, v2
	s_waitcnt vmcnt(34) lgkmcnt(0)
	v_mul_f32_e32 v2, v143, v28
	v_fma_f32 v4, v139, v24, -v4
	v_fmac_f32_e32 v2, v144, v27
	v_add_f32_e32 v3, v3, v4
	v_mul_f32_e32 v4, v142, v25
	v_add_f32_e32 v1, v1, v2
	s_waitcnt vmcnt(31)
	v_mul_f32_e32 v2, v145, v177
	v_fma_f32 v4, v141, v26, -v4
	s_waitcnt vmcnt(30)
	v_fmac_f32_e32 v2, v146, v178
	v_add_f32_e32 v3, v3, v4
	v_mul_f32_e32 v4, v144, v28
	v_add_f32_e32 v1, v1, v2
	s_waitcnt vmcnt(28)
	v_mul_f32_e32 v2, v147, v180
	v_fma_f32 v4, v143, v27, -v4
	v_fmac_f32_e32 v2, v148, v179
	v_add_f32_e32 v3, v3, v4
	v_mul_f32_e32 v4, v146, v177
	v_add_f32_e32 v1, v1, v2
	s_waitcnt vmcnt(26)
	v_mul_f32_e32 v2, v149, v182
	v_fma_f32 v4, v145, v178, -v4
	v_fmac_f32_e32 v2, v150, v181
	v_add_f32_e32 v3, v3, v4
	v_mul_f32_e32 v4, v148, v180
	v_add_f32_e32 v1, v1, v2
	s_waitcnt vmcnt(24)
	v_mul_f32_e32 v2, v151, v184
	v_fma_f32 v4, v147, v179, -v4
	v_fmac_f32_e32 v2, v152, v183
	v_add_f32_e32 v3, v3, v4
	v_mul_f32_e32 v4, v150, v182
	v_add_f32_e32 v1, v1, v2
	s_waitcnt vmcnt(22)
	v_mul_f32_e32 v2, v153, v186
	v_fma_f32 v4, v149, v181, -v4
	v_fmac_f32_e32 v2, v154, v185
	v_add_f32_e32 v3, v3, v4
	v_mul_f32_e32 v4, v152, v184
	v_add_f32_e32 v1, v1, v2
	s_waitcnt vmcnt(20)
	v_mul_f32_e32 v2, v155, v188
	v_fma_f32 v4, v151, v183, -v4
	v_fmac_f32_e32 v2, v156, v187
	v_add_f32_e32 v3, v3, v4
	v_mul_f32_e32 v4, v154, v186
	v_add_f32_e32 v1, v1, v2
	s_waitcnt vmcnt(18)
	v_mul_f32_e32 v2, v157, v190
	v_fma_f32 v4, v153, v185, -v4
	v_fmac_f32_e32 v2, v158, v189
	v_add_f32_e32 v3, v3, v4
	v_mul_f32_e32 v4, v156, v188
	v_add_f32_e32 v1, v1, v2
	s_waitcnt vmcnt(16)
	v_mul_f32_e32 v2, v159, v192
	v_fma_f32 v4, v155, v187, -v4
	v_fmac_f32_e32 v2, v160, v191
	v_add_f32_e32 v3, v3, v4
	v_mul_f32_e32 v4, v158, v190
	v_add_f32_e32 v1, v1, v2
	s_waitcnt vmcnt(14)
	v_mul_f32_e32 v2, v161, v194
	v_fma_f32 v4, v157, v189, -v4
	v_fmac_f32_e32 v2, v162, v193
	v_add_f32_e32 v3, v3, v4
	v_mul_f32_e32 v4, v160, v192
	v_add_f32_e32 v1, v1, v2
	s_waitcnt vmcnt(12)
	v_mul_f32_e32 v2, v163, v196
	v_fma_f32 v4, v159, v191, -v4
	v_fmac_f32_e32 v2, v164, v195
	v_add_f32_e32 v3, v3, v4
	v_mul_f32_e32 v4, v162, v194
	v_add_f32_e32 v1, v1, v2
	s_waitcnt vmcnt(10)
	v_mul_f32_e32 v2, v165, v198
	v_fma_f32 v4, v161, v193, -v4
	v_fmac_f32_e32 v2, v166, v197
	v_add_f32_e32 v3, v3, v4
	v_mul_f32_e32 v4, v164, v196
	v_add_f32_e32 v1, v1, v2
	s_waitcnt vmcnt(8)
	v_mul_f32_e32 v2, v167, v200
	v_fma_f32 v4, v163, v195, -v4
	v_fmac_f32_e32 v2, v168, v199
	v_add_f32_e32 v3, v3, v4
	v_mul_f32_e32 v4, v166, v198
	v_add_f32_e32 v1, v1, v2
	s_waitcnt vmcnt(6)
	v_mul_f32_e32 v2, v169, v202
	v_fma_f32 v4, v165, v197, -v4
	v_fmac_f32_e32 v2, v170, v201
	v_add_f32_e32 v3, v3, v4
	v_mul_f32_e32 v4, v168, v200
	v_add_f32_e32 v209, v1, v2
	ds_read_b64 v[1:2], v118 offset:920
	v_fma_f32 v4, v167, v199, -v4
	s_waitcnt vmcnt(4)
	v_mul_f32_e32 v210, v171, v204
	v_add_f32_e32 v3, v3, v4
	v_mul_f32_e32 v4, v170, v202
	v_fmac_f32_e32 v210, v172, v203
	v_fma_f32 v4, v169, v201, -v4
	v_add_f32_e32 v209, v209, v210
	s_waitcnt vmcnt(2)
	v_mul_f32_e32 v210, v173, v206
	v_add_f32_e32 v3, v3, v4
	v_mul_f32_e32 v4, v172, v204
	v_fmac_f32_e32 v210, v174, v205
	v_fma_f32 v4, v171, v203, -v4
	v_add_f32_e32 v209, v209, v210
	s_waitcnt vmcnt(0) lgkmcnt(0)
	v_mul_f32_e32 v210, v1, v208
	v_add_f32_e32 v3, v3, v4
	v_mul_f32_e32 v4, v174, v206
	v_fmac_f32_e32 v210, v2, v207
	v_fma_f32 v4, v173, v205, -v4
	v_mul_f32_e32 v2, v2, v208
	v_add_f32_e32 v3, v3, v4
	v_fma_f32 v1, v1, v207, -v2
	v_add_f32_e32 v1, v3, v1
	v_add_f32_e32 v209, v209, v210
	v_sub_f32_e32 v1, v175, v1
	v_sub_f32_e32 v2, v176, v209
	buffer_store_dword v1, off, s[0:3], 0 offset:224
	buffer_store_dword v2, off, s[0:3], 0 offset:228
	s_and_saveexec_b64 s[4:5], vcc
	s_cbranch_execz .LBB57_307
; %bb.306:
	buffer_load_dword v1, off, s[0:3], 0 offset:216
	buffer_load_dword v2, off, s[0:3], 0 offset:220
	s_waitcnt vmcnt(0)
	ds_write_b64 v117, v[1:2]
	buffer_store_dword v118, off, s[0:3], 0 offset:216
	buffer_store_dword v118, off, s[0:3], 0 offset:220
.LBB57_307:
	s_or_b64 exec, exec, s[4:5]
	s_waitcnt lgkmcnt(0)
	; wave barrier
	buffer_load_dword v1, off, s[0:3], 0 offset:228
	buffer_load_dword v2, off, s[0:3], 0 offset:236
	;; [unrolled: 1-line block ×32, first 2 shown]
	ds_read_b128 v[119:122], v118 offset:688
	ds_read_b128 v[123:126], v118 offset:704
	;; [unrolled: 1-line block ×4, first 2 shown]
	buffer_load_dword v183, off, s[0:3], 0 offset:348
	buffer_load_dword v184, off, s[0:3], 0 offset:344
	;; [unrolled: 1-line block ×30, first 2 shown]
	v_cmp_lt_u32_e32 vcc, 26, v0
	s_waitcnt vmcnt(61) lgkmcnt(3)
	v_mul_f32_e32 v135, v119, v1
	s_waitcnt vmcnt(60)
	v_mul_f32_e32 v136, v121, v2
	s_waitcnt vmcnt(59) lgkmcnt(2)
	v_mul_f32_e32 v137, v123, v3
	s_waitcnt vmcnt(58)
	v_mul_f32_e32 v138, v125, v4
	;; [unrolled: 4-line block ×3, first 2 shown]
	s_waitcnt vmcnt(55) lgkmcnt(0)
	v_mul_f32_e32 v141, v131, v7
	s_waitcnt vmcnt(54)
	v_fmac_f32_e32 v135, v120, v8
	s_waitcnt vmcnt(53)
	v_fmac_f32_e32 v136, v122, v9
	v_add_f32_e32 v135, 0, v135
	s_waitcnt vmcnt(52)
	v_fmac_f32_e32 v137, v124, v10
	v_add_f32_e32 v135, v135, v136
	;; [unrolled: 3-line block ×6, first 2 shown]
	v_add_f32_e32 v139, v135, v141
	ds_read_b128 v[135:138], v118 offset:752
	s_waitcnt vmcnt(47)
	v_mul_f32_e32 v140, v133, v15
	s_waitcnt vmcnt(46)
	v_fmac_f32_e32 v140, v134, v16
	v_mul_f32_e32 v1, v120, v1
	v_add_f32_e32 v143, v139, v140
	ds_read_b128 v[139:142], v118 offset:768
	v_fma_f32 v1, v119, v8, -v1
	v_mul_f32_e32 v2, v122, v2
	s_waitcnt vmcnt(45) lgkmcnt(1)
	v_mul_f32_e32 v144, v135, v17
	v_add_f32_e32 v1, 0, v1
	v_fma_f32 v2, v121, v9, -v2
	s_waitcnt vmcnt(44)
	v_fmac_f32_e32 v144, v136, v18
	v_add_f32_e32 v1, v1, v2
	v_mul_f32_e32 v2, v124, v3
	v_add_f32_e32 v143, v143, v144
	s_waitcnt vmcnt(43)
	v_mul_f32_e32 v144, v137, v19
	v_fma_f32 v2, v123, v10, -v2
	s_waitcnt vmcnt(42)
	v_fmac_f32_e32 v144, v138, v20
	v_add_f32_e32 v1, v1, v2
	v_mul_f32_e32 v2, v126, v4
	v_add_f32_e32 v143, v143, v144
	s_waitcnt vmcnt(41) lgkmcnt(0)
	v_mul_f32_e32 v144, v139, v21
	v_fma_f32 v2, v125, v11, -v2
	s_waitcnt vmcnt(40)
	v_fmac_f32_e32 v144, v140, v22
	v_add_f32_e32 v1, v1, v2
	v_mul_f32_e32 v2, v128, v5
	v_add_f32_e32 v147, v143, v144
	ds_read_b128 v[143:146], v118 offset:784
	v_fma_f32 v2, v127, v12, -v2
	v_add_f32_e32 v1, v1, v2
	v_mul_f32_e32 v2, v130, v6
	s_waitcnt vmcnt(39)
	v_mul_f32_e32 v148, v141, v23
	v_fma_f32 v2, v129, v13, -v2
	s_waitcnt vmcnt(38)
	v_fmac_f32_e32 v148, v142, v24
	v_add_f32_e32 v1, v1, v2
	v_mul_f32_e32 v2, v132, v7
	v_add_f32_e32 v151, v147, v148
	ds_read_b128 v[147:150], v118 offset:800
	v_fma_f32 v2, v131, v14, -v2
	s_waitcnt vmcnt(35) lgkmcnt(1)
	v_mul_f32_e32 v152, v143, v27
	v_add_f32_e32 v1, v1, v2
	v_mul_f32_e32 v2, v134, v15
	s_waitcnt vmcnt(34)
	v_fmac_f32_e32 v152, v144, v28
	v_fma_f32 v2, v133, v16, -v2
	v_add_f32_e32 v151, v151, v152
	s_waitcnt vmcnt(32)
	v_mul_f32_e32 v152, v145, v180
	v_add_f32_e32 v1, v1, v2
	v_mul_f32_e32 v2, v136, v17
	v_fmac_f32_e32 v152, v146, v179
	v_fma_f32 v2, v135, v18, -v2
	v_add_f32_e32 v151, v151, v152
	s_waitcnt vmcnt(30) lgkmcnt(0)
	v_mul_f32_e32 v152, v147, v182
	v_add_f32_e32 v1, v1, v2
	v_mul_f32_e32 v2, v138, v19
	v_fmac_f32_e32 v152, v148, v181
	v_fma_f32 v2, v137, v20, -v2
	v_add_f32_e32 v155, v151, v152
	ds_read_b128 v[151:154], v118 offset:816
	v_add_f32_e32 v1, v1, v2
	v_mul_f32_e32 v2, v140, v21
	v_fma_f32 v2, v139, v22, -v2
	s_waitcnt vmcnt(29)
	v_mul_f32_e32 v156, v149, v183
	v_add_f32_e32 v1, v1, v2
	v_mul_f32_e32 v2, v142, v23
	s_waitcnt vmcnt(28)
	v_fmac_f32_e32 v156, v150, v184
	v_fma_f32 v2, v141, v24, -v2
	v_add_f32_e32 v159, v155, v156
	ds_read_b128 v[155:158], v118 offset:832
	v_add_f32_e32 v1, v1, v2
	v_mul_f32_e32 v2, v144, v27
	s_waitcnt vmcnt(26) lgkmcnt(1)
	v_mul_f32_e32 v160, v151, v186
	v_fma_f32 v2, v143, v28, -v2
	v_fmac_f32_e32 v160, v152, v185
	v_add_f32_e32 v1, v1, v2
	v_mul_f32_e32 v2, v146, v180
	v_add_f32_e32 v159, v159, v160
	s_waitcnt vmcnt(24)
	v_mul_f32_e32 v160, v153, v188
	v_fma_f32 v2, v145, v179, -v2
	v_fmac_f32_e32 v160, v154, v187
	v_add_f32_e32 v1, v1, v2
	v_mul_f32_e32 v2, v148, v182
	v_add_f32_e32 v159, v159, v160
	s_waitcnt vmcnt(22) lgkmcnt(0)
	v_mul_f32_e32 v160, v155, v190
	v_fma_f32 v2, v147, v181, -v2
	v_fmac_f32_e32 v160, v156, v189
	v_add_f32_e32 v1, v1, v2
	v_mul_f32_e32 v2, v150, v183
	v_add_f32_e32 v163, v159, v160
	ds_read_b128 v[159:162], v118 offset:848
	v_fma_f32 v2, v149, v184, -v2
	v_add_f32_e32 v1, v1, v2
	v_mul_f32_e32 v2, v152, v186
	s_waitcnt vmcnt(20)
	v_mul_f32_e32 v164, v157, v192
	v_fma_f32 v2, v151, v185, -v2
	v_fmac_f32_e32 v164, v158, v191
	v_add_f32_e32 v1, v1, v2
	v_mul_f32_e32 v2, v154, v188
	v_add_f32_e32 v167, v163, v164
	ds_read_b128 v[163:166], v118 offset:864
	v_fma_f32 v2, v153, v187, -v2
	s_waitcnt vmcnt(18) lgkmcnt(1)
	v_mul_f32_e32 v168, v159, v194
	v_add_f32_e32 v1, v1, v2
	v_mul_f32_e32 v2, v156, v190
	v_fmac_f32_e32 v168, v160, v193
	v_fma_f32 v2, v155, v189, -v2
	v_add_f32_e32 v167, v167, v168
	s_waitcnt vmcnt(16)
	v_mul_f32_e32 v168, v161, v196
	v_add_f32_e32 v1, v1, v2
	v_mul_f32_e32 v2, v158, v192
	v_fmac_f32_e32 v168, v162, v195
	v_fma_f32 v2, v157, v191, -v2
	v_add_f32_e32 v167, v167, v168
	s_waitcnt vmcnt(14) lgkmcnt(0)
	v_mul_f32_e32 v168, v163, v198
	v_add_f32_e32 v1, v1, v2
	v_mul_f32_e32 v2, v160, v194
	v_fmac_f32_e32 v168, v164, v197
	v_fma_f32 v2, v159, v193, -v2
	v_add_f32_e32 v171, v167, v168
	ds_read_b128 v[167:170], v118 offset:880
	v_add_f32_e32 v1, v1, v2
	v_mul_f32_e32 v2, v162, v196
	v_fma_f32 v2, v161, v195, -v2
	v_add_f32_e32 v1, v1, v2
	v_mul_f32_e32 v2, v164, v198
	s_waitcnt vmcnt(12)
	v_mul_f32_e32 v172, v165, v200
	v_fma_f32 v2, v163, v197, -v2
	v_fmac_f32_e32 v172, v166, v199
	v_add_f32_e32 v1, v1, v2
	v_mul_f32_e32 v2, v166, v200
	v_add_f32_e32 v175, v171, v172
	ds_read_b128 v[171:174], v118 offset:896
	s_waitcnt vmcnt(10) lgkmcnt(1)
	v_mul_f32_e32 v176, v167, v202
	v_fma_f32 v2, v165, v199, -v2
	v_fmac_f32_e32 v176, v168, v201
	v_add_f32_e32 v1, v1, v2
	v_mul_f32_e32 v2, v168, v202
	v_add_f32_e32 v175, v175, v176
	s_waitcnt vmcnt(8)
	v_mul_f32_e32 v176, v169, v204
	v_fma_f32 v2, v167, v201, -v2
	v_fmac_f32_e32 v176, v170, v203
	v_add_f32_e32 v1, v1, v2
	v_mul_f32_e32 v2, v170, v204
	v_add_f32_e32 v213, v175, v176
	ds_read_b128 v[175:178], v118 offset:912
	v_fma_f32 v2, v169, v203, -v2
	v_add_f32_e32 v1, v1, v2
	s_waitcnt vmcnt(6) lgkmcnt(1)
	v_mul_f32_e32 v2, v172, v206
	v_mul_f32_e32 v214, v171, v206
	v_fma_f32 v2, v171, v205, -v2
	v_fmac_f32_e32 v214, v172, v205
	v_add_f32_e32 v1, v1, v2
	s_waitcnt vmcnt(4)
	v_mul_f32_e32 v2, v174, v208
	v_add_f32_e32 v118, v213, v214
	v_mul_f32_e32 v213, v173, v208
	v_fma_f32 v2, v173, v207, -v2
	v_fmac_f32_e32 v213, v174, v207
	v_add_f32_e32 v1, v1, v2
	s_waitcnt vmcnt(2) lgkmcnt(0)
	v_mul_f32_e32 v2, v176, v210
	v_add_f32_e32 v118, v118, v213
	v_mul_f32_e32 v213, v175, v210
	v_fma_f32 v2, v175, v209, -v2
	v_fmac_f32_e32 v213, v176, v209
	v_add_f32_e32 v1, v1, v2
	s_waitcnt vmcnt(0)
	v_mul_f32_e32 v2, v178, v212
	v_add_f32_e32 v118, v118, v213
	v_mul_f32_e32 v213, v177, v212
	v_fma_f32 v2, v177, v211, -v2
	v_fmac_f32_e32 v213, v178, v211
	v_add_f32_e32 v1, v1, v2
	v_add_f32_e32 v118, v118, v213
	v_sub_f32_e32 v1, v25, v1
	v_sub_f32_e32 v2, v26, v118
	buffer_store_dword v1, off, s[0:3], 0 offset:216
	buffer_store_dword v2, off, s[0:3], 0 offset:220
	s_and_saveexec_b64 s[4:5], vcc
	s_cbranch_execz .LBB57_309
; %bb.308:
	buffer_load_dword v1, off, s[0:3], 0 offset:208
	buffer_load_dword v2, off, s[0:3], 0 offset:212
	v_mov_b32_e32 v3, 0
	buffer_store_dword v3, off, s[0:3], 0 offset:208
	buffer_store_dword v3, off, s[0:3], 0 offset:212
	s_waitcnt vmcnt(2)
	ds_write_b64 v117, v[1:2]
.LBB57_309:
	s_or_b64 exec, exec, s[4:5]
	s_waitcnt lgkmcnt(0)
	; wave barrier
	buffer_load_dword v3, off, s[0:3], 0 offset:220
	buffer_load_dword v4, off, s[0:3], 0 offset:228
	;; [unrolled: 1-line block ×24, first 2 shown]
	v_mov_b32_e32 v118, 0
	buffer_load_dword v27, off, s[0:3], 0 offset:308
	buffer_load_dword v28, off, s[0:3], 0 offset:304
	;; [unrolled: 1-line block ×32, first 2 shown]
	ds_read2_b64 v[119:122], v118 offset0:85 offset1:86
	buffer_load_dword v209, off, s[0:3], 0 offset:432
	buffer_load_dword v210, off, s[0:3], 0 offset:436
	buffer_load_dword v211, off, s[0:3], 0 offset:440
	buffer_load_dword v212, off, s[0:3], 0 offset:444
	ds_read2_b64 v[123:126], v118 offset0:87 offset1:88
	ds_read2_b64 v[127:130], v118 offset0:89 offset1:90
	ds_read2_b64 v[131:134], v118 offset0:91 offset1:92
	v_cmp_lt_u32_e32 vcc, 25, v0
	s_waitcnt vmcnt(59) lgkmcnt(3)
	v_mul_f32_e32 v1, v119, v3
	s_waitcnt vmcnt(58)
	v_mul_f32_e32 v2, v121, v4
	s_waitcnt vmcnt(57) lgkmcnt(2)
	v_mul_f32_e32 v135, v123, v5
	s_waitcnt vmcnt(56)
	v_mul_f32_e32 v136, v125, v6
	;; [unrolled: 4-line block ×3, first 2 shown]
	v_mul_f32_e32 v3, v120, v3
	v_mul_f32_e32 v4, v122, v4
	s_waitcnt vmcnt(51)
	v_fmac_f32_e32 v1, v120, v11
	s_waitcnt vmcnt(50)
	v_fmac_f32_e32 v2, v122, v12
	v_add_f32_e32 v1, 0, v1
	s_waitcnt vmcnt(49)
	v_fmac_f32_e32 v135, v124, v13
	v_add_f32_e32 v1, v1, v2
	;; [unrolled: 3-line block ×5, first 2 shown]
	v_add_f32_e32 v1, v1, v138
	ds_read2_b64 v[135:138], v118 offset0:93 offset1:94
	buffer_load_dword v213, off, s[0:3], 0 offset:452
	buffer_load_dword v214, off, s[0:3], 0 offset:448
	;; [unrolled: 1-line block ×4, first 2 shown]
	v_fma_f32 v3, v119, v11, -v3
	v_add_f32_e32 v3, 0, v3
	v_fma_f32 v4, v121, v12, -v4
	v_add_f32_e32 v3, v3, v4
	v_mul_f32_e32 v4, v124, v5
	v_fma_f32 v4, v123, v13, -v4
	v_add_f32_e32 v3, v3, v4
	v_mul_f32_e32 v4, v126, v6
	;; [unrolled: 3-line block ×3, first 2 shown]
	s_waitcnt lgkmcnt(1)
	v_mul_f32_e32 v139, v131, v9
	v_fma_f32 v4, v127, v15, -v4
	v_mul_f32_e32 v140, v133, v10
	s_waitcnt vmcnt(49)
	v_fmac_f32_e32 v139, v132, v17
	v_add_f32_e32 v3, v3, v4
	v_mul_f32_e32 v4, v130, v8
	v_add_f32_e32 v1, v1, v139
	s_waitcnt vmcnt(48)
	v_fmac_f32_e32 v140, v134, v18
	v_fma_f32 v4, v129, v16, -v4
	v_add_f32_e32 v1, v1, v140
	ds_read2_b64 v[139:142], v118 offset0:95 offset1:96
	ds_read2_b64 v[143:146], v118 offset0:97 offset1:98
	v_add_f32_e32 v3, v3, v4
	v_mul_f32_e32 v4, v132, v9
	s_waitcnt vmcnt(47) lgkmcnt(2)
	v_mul_f32_e32 v2, v135, v19
	v_fma_f32 v4, v131, v17, -v4
	s_waitcnt vmcnt(46)
	v_fmac_f32_e32 v2, v136, v20
	v_add_f32_e32 v3, v3, v4
	v_mul_f32_e32 v4, v134, v10
	v_add_f32_e32 v1, v1, v2
	s_waitcnt vmcnt(45)
	v_mul_f32_e32 v2, v137, v21
	v_fma_f32 v4, v133, v18, -v4
	s_waitcnt vmcnt(44)
	v_fmac_f32_e32 v2, v138, v22
	v_add_f32_e32 v3, v3, v4
	v_mul_f32_e32 v4, v136, v19
	v_add_f32_e32 v1, v1, v2
	s_waitcnt vmcnt(42) lgkmcnt(1)
	v_mul_f32_e32 v2, v139, v24
	v_fma_f32 v4, v135, v20, -v4
	v_fmac_f32_e32 v2, v140, v23
	v_add_f32_e32 v3, v3, v4
	v_mul_f32_e32 v4, v138, v21
	v_add_f32_e32 v1, v1, v2
	s_waitcnt vmcnt(39)
	v_mul_f32_e32 v2, v141, v27
	v_fma_f32 v4, v137, v22, -v4
	s_waitcnt vmcnt(38)
	v_fmac_f32_e32 v2, v142, v28
	ds_read2_b64 v[147:150], v118 offset0:99 offset1:100
	ds_read2_b64 v[151:154], v118 offset0:101 offset1:102
	v_add_f32_e32 v3, v3, v4
	v_mul_f32_e32 v4, v140, v24
	v_add_f32_e32 v1, v1, v2
	s_waitcnt vmcnt(36) lgkmcnt(2)
	v_mul_f32_e32 v2, v143, v180
	v_fma_f32 v4, v139, v23, -v4
	v_fmac_f32_e32 v2, v144, v179
	v_add_f32_e32 v3, v3, v4
	v_mul_f32_e32 v4, v142, v27
	v_add_f32_e32 v1, v1, v2
	s_waitcnt vmcnt(34)
	v_mul_f32_e32 v2, v145, v182
	v_fma_f32 v4, v141, v28, -v4
	v_fmac_f32_e32 v2, v146, v181
	v_add_f32_e32 v3, v3, v4
	v_mul_f32_e32 v4, v144, v180
	v_add_f32_e32 v1, v1, v2
	s_waitcnt vmcnt(32) lgkmcnt(1)
	v_mul_f32_e32 v2, v147, v184
	v_fma_f32 v4, v143, v179, -v4
	v_fmac_f32_e32 v2, v148, v183
	v_add_f32_e32 v3, v3, v4
	v_mul_f32_e32 v4, v146, v182
	v_add_f32_e32 v1, v1, v2
	s_waitcnt vmcnt(30)
	v_mul_f32_e32 v2, v149, v186
	v_fma_f32 v4, v145, v181, -v4
	v_fmac_f32_e32 v2, v150, v185
	ds_read2_b64 v[155:158], v118 offset0:103 offset1:104
	ds_read2_b64 v[159:162], v118 offset0:105 offset1:106
	v_add_f32_e32 v3, v3, v4
	v_mul_f32_e32 v4, v148, v184
	v_add_f32_e32 v1, v1, v2
	s_waitcnt vmcnt(28) lgkmcnt(2)
	v_mul_f32_e32 v2, v151, v188
	v_fma_f32 v4, v147, v183, -v4
	v_fmac_f32_e32 v2, v152, v187
	v_add_f32_e32 v3, v3, v4
	v_mul_f32_e32 v4, v150, v186
	v_add_f32_e32 v1, v1, v2
	s_waitcnt vmcnt(26)
	v_mul_f32_e32 v2, v153, v190
	v_fma_f32 v4, v149, v185, -v4
	v_fmac_f32_e32 v2, v154, v189
	v_add_f32_e32 v3, v3, v4
	v_mul_f32_e32 v4, v152, v188
	v_add_f32_e32 v1, v1, v2
	s_waitcnt vmcnt(24) lgkmcnt(1)
	v_mul_f32_e32 v2, v155, v192
	v_fma_f32 v4, v151, v187, -v4
	v_fmac_f32_e32 v2, v156, v191
	v_add_f32_e32 v3, v3, v4
	v_mul_f32_e32 v4, v154, v190
	v_add_f32_e32 v1, v1, v2
	s_waitcnt vmcnt(22)
	v_mul_f32_e32 v2, v157, v194
	v_fma_f32 v4, v153, v189, -v4
	;; [unrolled: 30-line block ×4, first 2 shown]
	v_fmac_f32_e32 v2, v174, v209
	v_add_f32_e32 v3, v3, v4
	v_mul_f32_e32 v4, v172, v208
	v_add_f32_e32 v217, v1, v2
	ds_read_b64 v[1:2], v118 offset:920
	v_fma_f32 v4, v171, v207, -v4
	s_waitcnt vmcnt(4) lgkmcnt(1)
	v_mul_f32_e32 v218, v175, v212
	v_add_f32_e32 v3, v3, v4
	v_mul_f32_e32 v4, v174, v210
	v_fmac_f32_e32 v218, v176, v211
	v_fma_f32 v4, v173, v209, -v4
	v_add_f32_e32 v217, v217, v218
	s_waitcnt vmcnt(3)
	v_mul_f32_e32 v218, v177, v213
	v_add_f32_e32 v3, v3, v4
	v_mul_f32_e32 v4, v176, v212
	s_waitcnt vmcnt(2)
	v_fmac_f32_e32 v218, v178, v214
	v_fma_f32 v4, v175, v211, -v4
	v_add_f32_e32 v217, v217, v218
	s_waitcnt vmcnt(0) lgkmcnt(0)
	v_mul_f32_e32 v218, v1, v216
	v_add_f32_e32 v3, v3, v4
	v_mul_f32_e32 v4, v178, v213
	v_fmac_f32_e32 v218, v2, v215
	v_fma_f32 v4, v177, v214, -v4
	v_mul_f32_e32 v2, v2, v216
	v_add_f32_e32 v3, v3, v4
	v_fma_f32 v1, v1, v215, -v2
	v_add_f32_e32 v1, v3, v1
	v_add_f32_e32 v217, v217, v218
	v_sub_f32_e32 v1, v25, v1
	v_sub_f32_e32 v2, v26, v217
	buffer_store_dword v1, off, s[0:3], 0 offset:208
	buffer_store_dword v2, off, s[0:3], 0 offset:212
	s_and_saveexec_b64 s[4:5], vcc
	s_cbranch_execz .LBB57_311
; %bb.310:
	buffer_load_dword v1, off, s[0:3], 0 offset:200
	buffer_load_dword v2, off, s[0:3], 0 offset:204
	s_waitcnt vmcnt(0)
	ds_write_b64 v117, v[1:2]
	buffer_store_dword v118, off, s[0:3], 0 offset:200
	buffer_store_dword v118, off, s[0:3], 0 offset:204
.LBB57_311:
	s_or_b64 exec, exec, s[4:5]
	s_waitcnt lgkmcnt(0)
	; wave barrier
	buffer_load_dword v1, off, s[0:3], 0 offset:212
	buffer_load_dword v2, off, s[0:3], 0 offset:220
	;; [unrolled: 1-line block ×26, first 2 shown]
	ds_read_b128 v[119:122], v118 offset:672
	ds_read_b128 v[123:126], v118 offset:688
	;; [unrolled: 1-line block ×4, first 2 shown]
	buffer_load_dword v27, off, s[0:3], 0 offset:308
	buffer_load_dword v28, off, s[0:3], 0 offset:304
	;; [unrolled: 1-line block ×34, first 2 shown]
	v_cmp_lt_u32_e32 vcc, 24, v0
	s_waitcnt vmcnt(59) lgkmcnt(3)
	v_mul_f32_e32 v135, v119, v1
	s_waitcnt vmcnt(58)
	v_mul_f32_e32 v136, v121, v2
	s_waitcnt vmcnt(57) lgkmcnt(2)
	v_mul_f32_e32 v137, v123, v3
	s_waitcnt vmcnt(56)
	v_mul_f32_e32 v138, v125, v4
	;; [unrolled: 4-line block ×4, first 2 shown]
	s_waitcnt vmcnt(51)
	v_fmac_f32_e32 v135, v120, v9
	s_waitcnt vmcnt(50)
	v_fmac_f32_e32 v136, v122, v10
	v_add_f32_e32 v135, 0, v135
	s_waitcnt vmcnt(49)
	v_fmac_f32_e32 v137, v124, v11
	v_add_f32_e32 v135, v135, v136
	;; [unrolled: 3-line block ×7, first 2 shown]
	v_add_f32_e32 v143, v135, v142
	ds_read_b128 v[135:138], v118 offset:736
	buffer_load_dword v215, off, s[0:3], 0 offset:444
	buffer_load_dword v216, off, s[0:3], 0 offset:440
	;; [unrolled: 1-line block ×4, first 2 shown]
	ds_read_b128 v[139:142], v118 offset:752
	buffer_load_dword v219, off, s[0:3], 0 offset:456
	buffer_load_dword v220, off, s[0:3], 0 offset:460
	v_mul_f32_e32 v1, v120, v1
	s_waitcnt vmcnt(49) lgkmcnt(1)
	v_mul_f32_e32 v144, v135, v17
	s_waitcnt vmcnt(48)
	v_fmac_f32_e32 v144, v136, v18
	v_fma_f32 v1, v119, v9, -v1
	v_mul_f32_e32 v2, v122, v2
	v_add_f32_e32 v143, v143, v144
	s_waitcnt vmcnt(46)
	v_mul_f32_e32 v144, v137, v20
	v_add_f32_e32 v1, 0, v1
	v_fma_f32 v2, v121, v10, -v2
	v_fmac_f32_e32 v144, v138, v19
	v_add_f32_e32 v1, v1, v2
	v_mul_f32_e32 v2, v124, v3
	v_add_f32_e32 v143, v143, v144
	s_waitcnt vmcnt(43) lgkmcnt(0)
	v_mul_f32_e32 v144, v139, v23
	v_fma_f32 v2, v123, v11, -v2
	s_waitcnt vmcnt(42)
	v_fmac_f32_e32 v144, v140, v24
	v_add_f32_e32 v1, v1, v2
	v_mul_f32_e32 v2, v126, v4
	v_add_f32_e32 v147, v143, v144
	ds_read_b128 v[143:146], v118 offset:768
	v_fma_f32 v2, v125, v12, -v2
	v_add_f32_e32 v1, v1, v2
	v_mul_f32_e32 v2, v128, v5
	s_waitcnt vmcnt(40)
	v_mul_f32_e32 v148, v141, v26
	v_fma_f32 v2, v127, v13, -v2
	v_fmac_f32_e32 v148, v142, v25
	v_add_f32_e32 v1, v1, v2
	v_mul_f32_e32 v2, v130, v6
	v_add_f32_e32 v151, v147, v148
	ds_read_b128 v[147:150], v118 offset:784
	v_fma_f32 v2, v129, v14, -v2
	s_waitcnt vmcnt(39) lgkmcnt(1)
	v_mul_f32_e32 v152, v143, v27
	v_add_f32_e32 v1, v1, v2
	v_mul_f32_e32 v2, v132, v7
	s_waitcnt vmcnt(38)
	v_fmac_f32_e32 v152, v144, v28
	v_fma_f32 v2, v131, v15, -v2
	v_add_f32_e32 v151, v151, v152
	s_waitcnt vmcnt(36)
	v_mul_f32_e32 v152, v145, v184
	v_add_f32_e32 v1, v1, v2
	v_mul_f32_e32 v2, v134, v8
	v_fmac_f32_e32 v152, v146, v183
	v_fma_f32 v2, v133, v16, -v2
	v_add_f32_e32 v151, v151, v152
	s_waitcnt vmcnt(34) lgkmcnt(0)
	v_mul_f32_e32 v152, v147, v186
	v_add_f32_e32 v1, v1, v2
	v_mul_f32_e32 v2, v136, v17
	v_fmac_f32_e32 v152, v148, v185
	v_fma_f32 v2, v135, v18, -v2
	v_add_f32_e32 v155, v151, v152
	ds_read_b128 v[151:154], v118 offset:800
	v_add_f32_e32 v1, v1, v2
	v_mul_f32_e32 v2, v138, v20
	v_fma_f32 v2, v137, v19, -v2
	s_waitcnt vmcnt(32)
	v_mul_f32_e32 v156, v149, v188
	v_add_f32_e32 v1, v1, v2
	v_mul_f32_e32 v2, v140, v23
	v_fmac_f32_e32 v156, v150, v187
	v_fma_f32 v2, v139, v24, -v2
	v_add_f32_e32 v159, v155, v156
	ds_read_b128 v[155:158], v118 offset:816
	v_add_f32_e32 v1, v1, v2
	v_mul_f32_e32 v2, v142, v26
	s_waitcnt vmcnt(30) lgkmcnt(1)
	v_mul_f32_e32 v160, v151, v190
	v_fma_f32 v2, v141, v25, -v2
	v_fmac_f32_e32 v160, v152, v189
	v_add_f32_e32 v1, v1, v2
	v_mul_f32_e32 v2, v144, v27
	v_add_f32_e32 v159, v159, v160
	s_waitcnt vmcnt(28)
	v_mul_f32_e32 v160, v153, v192
	v_fma_f32 v2, v143, v28, -v2
	v_fmac_f32_e32 v160, v154, v191
	v_add_f32_e32 v1, v1, v2
	v_mul_f32_e32 v2, v146, v184
	v_add_f32_e32 v159, v159, v160
	s_waitcnt vmcnt(26) lgkmcnt(0)
	v_mul_f32_e32 v160, v155, v194
	v_fma_f32 v2, v145, v183, -v2
	v_fmac_f32_e32 v160, v156, v193
	v_add_f32_e32 v1, v1, v2
	v_mul_f32_e32 v2, v148, v186
	v_add_f32_e32 v163, v159, v160
	ds_read_b128 v[159:162], v118 offset:832
	v_fma_f32 v2, v147, v185, -v2
	v_add_f32_e32 v1, v1, v2
	v_mul_f32_e32 v2, v150, v188
	s_waitcnt vmcnt(24)
	v_mul_f32_e32 v164, v157, v196
	v_fma_f32 v2, v149, v187, -v2
	v_fmac_f32_e32 v164, v158, v195
	v_add_f32_e32 v1, v1, v2
	v_mul_f32_e32 v2, v152, v190
	v_add_f32_e32 v167, v163, v164
	ds_read_b128 v[163:166], v118 offset:848
	v_fma_f32 v2, v151, v189, -v2
	s_waitcnt vmcnt(22) lgkmcnt(1)
	v_mul_f32_e32 v168, v159, v198
	v_add_f32_e32 v1, v1, v2
	v_mul_f32_e32 v2, v154, v192
	v_fmac_f32_e32 v168, v160, v197
	v_fma_f32 v2, v153, v191, -v2
	v_add_f32_e32 v167, v167, v168
	s_waitcnt vmcnt(20)
	v_mul_f32_e32 v168, v161, v200
	v_add_f32_e32 v1, v1, v2
	v_mul_f32_e32 v2, v156, v194
	v_fmac_f32_e32 v168, v162, v199
	v_fma_f32 v2, v155, v193, -v2
	v_add_f32_e32 v167, v167, v168
	s_waitcnt vmcnt(18) lgkmcnt(0)
	v_mul_f32_e32 v168, v163, v202
	v_add_f32_e32 v1, v1, v2
	v_mul_f32_e32 v2, v158, v196
	v_fmac_f32_e32 v168, v164, v201
	v_fma_f32 v2, v157, v195, -v2
	v_add_f32_e32 v171, v167, v168
	ds_read_b128 v[167:170], v118 offset:864
	v_add_f32_e32 v1, v1, v2
	v_mul_f32_e32 v2, v160, v198
	v_fma_f32 v2, v159, v197, -v2
	s_waitcnt vmcnt(16)
	v_mul_f32_e32 v172, v165, v204
	v_add_f32_e32 v1, v1, v2
	v_mul_f32_e32 v2, v162, v200
	v_fmac_f32_e32 v172, v166, v203
	v_fma_f32 v2, v161, v199, -v2
	v_add_f32_e32 v175, v171, v172
	ds_read_b128 v[171:174], v118 offset:880
	v_add_f32_e32 v1, v1, v2
	v_mul_f32_e32 v2, v164, v202
	s_waitcnt vmcnt(14) lgkmcnt(1)
	v_mul_f32_e32 v176, v167, v206
	v_fma_f32 v2, v163, v201, -v2
	v_fmac_f32_e32 v176, v168, v205
	v_add_f32_e32 v1, v1, v2
	v_mul_f32_e32 v2, v166, v204
	v_add_f32_e32 v175, v175, v176
	s_waitcnt vmcnt(12)
	v_mul_f32_e32 v176, v169, v208
	v_fma_f32 v2, v165, v203, -v2
	v_fmac_f32_e32 v176, v170, v207
	v_add_f32_e32 v1, v1, v2
	v_mul_f32_e32 v2, v168, v206
	v_add_f32_e32 v175, v175, v176
	s_waitcnt vmcnt(10) lgkmcnt(0)
	v_mul_f32_e32 v176, v171, v210
	v_fma_f32 v2, v167, v205, -v2
	v_fmac_f32_e32 v176, v172, v209
	v_add_f32_e32 v1, v1, v2
	v_mul_f32_e32 v2, v170, v208
	v_add_f32_e32 v179, v175, v176
	ds_read_b128 v[175:178], v118 offset:896
	v_fma_f32 v2, v169, v207, -v2
	v_add_f32_e32 v1, v1, v2
	v_mul_f32_e32 v2, v172, v210
	s_waitcnt vmcnt(8)
	v_mul_f32_e32 v180, v173, v212
	v_fma_f32 v2, v171, v209, -v2
	v_fmac_f32_e32 v180, v174, v211
	v_add_f32_e32 v1, v1, v2
	v_mul_f32_e32 v2, v174, v212
	v_add_f32_e32 v221, v179, v180
	ds_read_b128 v[179:182], v118 offset:912
	v_fma_f32 v2, v173, v211, -v2
	v_add_f32_e32 v1, v1, v2
	s_waitcnt vmcnt(6) lgkmcnt(1)
	v_mul_f32_e32 v2, v176, v214
	v_mul_f32_e32 v118, v175, v214
	v_fma_f32 v2, v175, v213, -v2
	v_fmac_f32_e32 v118, v176, v213
	v_add_f32_e32 v1, v1, v2
	s_waitcnt vmcnt(5)
	v_mul_f32_e32 v2, v178, v215
	v_add_f32_e32 v118, v221, v118
	v_mul_f32_e32 v221, v177, v215
	s_waitcnt vmcnt(4)
	v_fma_f32 v2, v177, v216, -v2
	v_fmac_f32_e32 v221, v178, v216
	v_add_f32_e32 v1, v1, v2
	s_waitcnt vmcnt(2) lgkmcnt(0)
	v_mul_f32_e32 v2, v180, v218
	v_add_f32_e32 v118, v118, v221
	v_mul_f32_e32 v221, v179, v218
	v_fma_f32 v2, v179, v217, -v2
	v_fmac_f32_e32 v221, v180, v217
	v_add_f32_e32 v1, v1, v2
	s_waitcnt vmcnt(0)
	v_mul_f32_e32 v2, v182, v220
	v_add_f32_e32 v118, v118, v221
	v_mul_f32_e32 v221, v181, v220
	v_fma_f32 v2, v181, v219, -v2
	v_fmac_f32_e32 v221, v182, v219
	v_add_f32_e32 v1, v1, v2
	v_add_f32_e32 v118, v118, v221
	v_sub_f32_e32 v1, v21, v1
	v_sub_f32_e32 v2, v22, v118
	buffer_store_dword v1, off, s[0:3], 0 offset:200
	buffer_store_dword v2, off, s[0:3], 0 offset:204
	s_and_saveexec_b64 s[4:5], vcc
	s_cbranch_execz .LBB57_313
; %bb.312:
	buffer_load_dword v1, off, s[0:3], 0 offset:192
	buffer_load_dword v2, off, s[0:3], 0 offset:196
	v_mov_b32_e32 v3, 0
	buffer_store_dword v3, off, s[0:3], 0 offset:192
	buffer_store_dword v3, off, s[0:3], 0 offset:196
	s_waitcnt vmcnt(2)
	ds_write_b64 v117, v[1:2]
.LBB57_313:
	s_or_b64 exec, exec, s[4:5]
	s_waitcnt lgkmcnt(0)
	; wave barrier
	buffer_load_dword v3, off, s[0:3], 0 offset:204
	buffer_load_dword v4, off, s[0:3], 0 offset:212
	;; [unrolled: 1-line block ×21, first 2 shown]
	v_mov_b32_e32 v118, 0
	buffer_load_dword v24, off, s[0:3], 0 offset:272
	buffer_load_dword v25, off, s[0:3], 0 offset:280
	;; [unrolled: 1-line block ×37, first 2 shown]
	ds_read2_b64 v[119:122], v118 offset0:83 offset1:84
	ds_read2_b64 v[123:126], v118 offset0:85 offset1:86
	;; [unrolled: 1-line block ×5, first 2 shown]
	buffer_load_dword v215, off, s[0:3], 0 offset:424
	buffer_load_dword v216, off, s[0:3], 0 offset:428
	v_cmp_lt_u32_e32 vcc, 23, v0
	s_waitcnt vmcnt(59) lgkmcnt(4)
	v_mul_f32_e32 v1, v119, v3
	s_waitcnt vmcnt(58)
	v_mul_f32_e32 v2, v121, v4
	s_waitcnt vmcnt(57) lgkmcnt(3)
	v_mul_f32_e32 v139, v123, v5
	s_waitcnt vmcnt(56)
	v_mul_f32_e32 v140, v125, v6
	;; [unrolled: 4-line block ×3, first 2 shown]
	v_mul_f32_e32 v3, v120, v3
	v_mul_f32_e32 v4, v122, v4
	s_waitcnt vmcnt(51)
	v_fmac_f32_e32 v1, v120, v11
	s_waitcnt vmcnt(50)
	v_fmac_f32_e32 v2, v122, v12
	v_add_f32_e32 v1, 0, v1
	s_waitcnt vmcnt(49)
	v_fmac_f32_e32 v139, v124, v13
	v_add_f32_e32 v1, v1, v2
	;; [unrolled: 3-line block ×5, first 2 shown]
	v_add_f32_e32 v1, v1, v142
	ds_read2_b64 v[139:142], v118 offset0:93 offset1:94
	buffer_load_dword v217, off, s[0:3], 0 offset:436
	buffer_load_dword v218, off, s[0:3], 0 offset:432
	;; [unrolled: 1-line block ×8, first 2 shown]
	v_fma_f32 v3, v119, v11, -v3
	v_add_f32_e32 v3, 0, v3
	v_fma_f32 v4, v121, v12, -v4
	v_add_f32_e32 v3, v3, v4
	v_mul_f32_e32 v4, v124, v5
	v_fma_f32 v4, v123, v13, -v4
	v_add_f32_e32 v3, v3, v4
	v_mul_f32_e32 v4, v126, v6
	;; [unrolled: 3-line block ×4, first 2 shown]
	s_waitcnt lgkmcnt(2)
	v_mul_f32_e32 v143, v131, v9
	v_fma_f32 v4, v129, v16, -v4
	v_mul_f32_e32 v144, v133, v10
	s_waitcnt vmcnt(53)
	v_fmac_f32_e32 v143, v132, v17
	v_add_f32_e32 v3, v3, v4
	v_mul_f32_e32 v4, v132, v9
	s_waitcnt vmcnt(52)
	v_fmac_f32_e32 v144, v134, v18
	v_add_f32_e32 v1, v1, v143
	s_waitcnt vmcnt(51) lgkmcnt(1)
	v_mul_f32_e32 v2, v135, v19
	v_fma_f32 v4, v131, v17, -v4
	v_add_f32_e32 v1, v1, v144
	s_waitcnt vmcnt(50)
	v_fmac_f32_e32 v2, v136, v20
	v_add_f32_e32 v3, v3, v4
	v_mul_f32_e32 v4, v134, v10
	v_add_f32_e32 v1, v1, v2
	s_waitcnt vmcnt(49)
	v_mul_f32_e32 v2, v137, v21
	v_fma_f32 v4, v133, v18, -v4
	s_waitcnt vmcnt(46)
	v_fmac_f32_e32 v2, v138, v24
	ds_read2_b64 v[143:146], v118 offset0:95 offset1:96
	ds_read2_b64 v[147:150], v118 offset0:97 offset1:98
	v_add_f32_e32 v3, v3, v4
	v_mul_f32_e32 v4, v136, v19
	v_add_f32_e32 v1, v1, v2
	s_waitcnt vmcnt(44) lgkmcnt(2)
	v_mul_f32_e32 v2, v139, v26
	v_fma_f32 v4, v135, v20, -v4
	v_fmac_f32_e32 v2, v140, v25
	v_add_f32_e32 v3, v3, v4
	v_mul_f32_e32 v4, v138, v21
	v_add_f32_e32 v1, v1, v2
	s_waitcnt vmcnt(42)
	v_mul_f32_e32 v2, v141, v28
	v_fma_f32 v4, v137, v24, -v4
	v_fmac_f32_e32 v2, v142, v27
	v_add_f32_e32 v3, v3, v4
	v_mul_f32_e32 v4, v140, v26
	v_add_f32_e32 v1, v1, v2
	s_waitcnt vmcnt(40) lgkmcnt(1)
	v_mul_f32_e32 v2, v143, v184
	v_fma_f32 v4, v139, v25, -v4
	v_fmac_f32_e32 v2, v144, v183
	v_add_f32_e32 v3, v3, v4
	v_mul_f32_e32 v4, v142, v28
	v_add_f32_e32 v1, v1, v2
	s_waitcnt vmcnt(38)
	v_mul_f32_e32 v2, v145, v186
	v_fma_f32 v4, v141, v27, -v4
	v_fmac_f32_e32 v2, v146, v185
	ds_read2_b64 v[151:154], v118 offset0:99 offset1:100
	ds_read2_b64 v[155:158], v118 offset0:101 offset1:102
	v_add_f32_e32 v3, v3, v4
	v_mul_f32_e32 v4, v144, v184
	v_add_f32_e32 v1, v1, v2
	s_waitcnt vmcnt(36) lgkmcnt(2)
	v_mul_f32_e32 v2, v147, v188
	v_fma_f32 v4, v143, v183, -v4
	v_fmac_f32_e32 v2, v148, v187
	v_add_f32_e32 v3, v3, v4
	v_mul_f32_e32 v4, v146, v186
	v_add_f32_e32 v1, v1, v2
	s_waitcnt vmcnt(34)
	v_mul_f32_e32 v2, v149, v190
	v_fma_f32 v4, v145, v185, -v4
	v_fmac_f32_e32 v2, v150, v189
	v_add_f32_e32 v3, v3, v4
	v_mul_f32_e32 v4, v148, v188
	v_add_f32_e32 v1, v1, v2
	s_waitcnt vmcnt(32) lgkmcnt(1)
	v_mul_f32_e32 v2, v151, v192
	v_fma_f32 v4, v147, v187, -v4
	v_fmac_f32_e32 v2, v152, v191
	v_add_f32_e32 v3, v3, v4
	v_mul_f32_e32 v4, v150, v190
	v_add_f32_e32 v1, v1, v2
	s_waitcnt vmcnt(30)
	v_mul_f32_e32 v2, v153, v194
	v_fma_f32 v4, v149, v189, -v4
	;; [unrolled: 30-line block ×5, first 2 shown]
	s_waitcnt vmcnt(6)
	v_fmac_f32_e32 v2, v178, v218
	v_add_f32_e32 v3, v3, v4
	v_mul_f32_e32 v4, v176, v216
	v_add_f32_e32 v225, v1, v2
	ds_read_b64 v[1:2], v118 offset:920
	v_fma_f32 v4, v175, v215, -v4
	s_waitcnt vmcnt(4) lgkmcnt(1)
	v_mul_f32_e32 v226, v179, v220
	v_add_f32_e32 v3, v3, v4
	v_mul_f32_e32 v4, v178, v217
	v_fmac_f32_e32 v226, v180, v219
	v_fma_f32 v4, v177, v218, -v4
	v_add_f32_e32 v225, v225, v226
	s_waitcnt vmcnt(3)
	v_mul_f32_e32 v226, v181, v221
	v_add_f32_e32 v3, v3, v4
	v_mul_f32_e32 v4, v180, v220
	s_waitcnt vmcnt(2)
	v_fmac_f32_e32 v226, v182, v222
	v_fma_f32 v4, v179, v219, -v4
	v_add_f32_e32 v225, v225, v226
	s_waitcnt vmcnt(0) lgkmcnt(0)
	v_mul_f32_e32 v226, v1, v224
	v_add_f32_e32 v3, v3, v4
	v_mul_f32_e32 v4, v182, v221
	v_fmac_f32_e32 v226, v2, v223
	v_fma_f32 v4, v181, v222, -v4
	v_mul_f32_e32 v2, v2, v224
	v_add_f32_e32 v3, v3, v4
	v_fma_f32 v1, v1, v223, -v2
	v_add_f32_e32 v1, v3, v1
	v_add_f32_e32 v225, v225, v226
	v_sub_f32_e32 v1, v22, v1
	v_sub_f32_e32 v2, v23, v225
	buffer_store_dword v1, off, s[0:3], 0 offset:192
	buffer_store_dword v2, off, s[0:3], 0 offset:196
	s_and_saveexec_b64 s[4:5], vcc
	s_cbranch_execz .LBB57_315
; %bb.314:
	buffer_load_dword v1, off, s[0:3], 0 offset:184
	buffer_load_dword v2, off, s[0:3], 0 offset:188
	s_waitcnt vmcnt(0)
	ds_write_b64 v117, v[1:2]
	buffer_store_dword v118, off, s[0:3], 0 offset:184
	buffer_store_dword v118, off, s[0:3], 0 offset:188
.LBB57_315:
	s_or_b64 exec, exec, s[4:5]
	s_waitcnt lgkmcnt(0)
	; wave barrier
	buffer_load_dword v1, off, s[0:3], 0 offset:196
	buffer_load_dword v2, off, s[0:3], 0 offset:204
	;; [unrolled: 1-line block ×32, first 2 shown]
	ds_read_b128 v[119:122], v118 offset:656
	ds_read_b128 v[123:126], v118 offset:672
	;; [unrolled: 1-line block ×6, first 2 shown]
	buffer_load_dword v191, off, s[0:3], 0 offset:312
	buffer_load_dword v192, off, s[0:3], 0 offset:316
	;; [unrolled: 1-line block ×38, first 2 shown]
	v_cmp_lt_u32_e32 vcc, 22, v0
	s_waitcnt vmcnt(62) lgkmcnt(5)
	v_mul_f32_e32 v143, v119, v1
	v_mul_f32_e32 v144, v121, v2
	s_waitcnt lgkmcnt(4)
	v_mul_f32_e32 v145, v123, v3
	v_mul_f32_e32 v146, v125, v4
	s_waitcnt lgkmcnt(3)
	;; [unrolled: 3-line block ×3, first 2 shown]
	v_mul_f32_e32 v149, v131, v7
	v_mul_f32_e32 v150, v133, v8
	s_waitcnt vmcnt(61)
	v_fmac_f32_e32 v145, v124, v9
	s_waitcnt vmcnt(60)
	v_fmac_f32_e32 v144, v122, v10
	s_waitcnt vmcnt(59)
	v_fmac_f32_e32 v143, v120, v11
	v_add_f32_e32 v143, 0, v143
	v_add_f32_e32 v143, v143, v144
	;; [unrolled: 1-line block ×3, first 2 shown]
	s_waitcnt vmcnt(55)
	v_fmac_f32_e32 v146, v126, v15
	v_fmac_f32_e32 v147, v128, v14
	v_add_f32_e32 v143, v143, v146
	v_fmac_f32_e32 v148, v130, v13
	v_add_f32_e32 v143, v143, v147
	;; [unrolled: 2-line block ×3, first 2 shown]
	s_waitcnt vmcnt(51)
	v_fmac_f32_e32 v150, v134, v19
	v_add_f32_e32 v143, v143, v149
	s_waitcnt vmcnt(50) lgkmcnt(1)
	v_mul_f32_e32 v144, v135, v20
	v_add_f32_e32 v143, v143, v150
	v_fmac_f32_e32 v144, v136, v18
	v_mul_f32_e32 v1, v120, v1
	v_add_f32_e32 v143, v143, v144
	s_waitcnt vmcnt(49)
	v_mul_f32_e32 v144, v137, v21
	v_fma_f32 v1, v119, v11, -v1
	v_mul_f32_e32 v2, v122, v2
	v_fmac_f32_e32 v144, v138, v17
	v_add_f32_e32 v1, 0, v1
	v_fma_f32 v2, v121, v10, -v2
	v_add_f32_e32 v143, v143, v144
	s_waitcnt vmcnt(48) lgkmcnt(0)
	v_mul_f32_e32 v144, v139, v22
	v_add_f32_e32 v1, v1, v2
	v_mul_f32_e32 v2, v124, v3
	v_fmac_f32_e32 v144, v140, v16
	v_fma_f32 v2, v123, v9, -v2
	v_add_f32_e32 v147, v143, v144
	ds_read_b128 v[143:146], v118 offset:752
	v_add_f32_e32 v1, v1, v2
	v_mul_f32_e32 v2, v126, v4
	v_fma_f32 v2, v125, v15, -v2
	s_waitcnt vmcnt(45)
	v_mul_f32_e32 v148, v141, v25
	v_add_f32_e32 v1, v1, v2
	v_mul_f32_e32 v2, v128, v5
	s_waitcnt vmcnt(38)
	v_fmac_f32_e32 v148, v142, v190
	v_fma_f32 v2, v127, v14, -v2
	v_add_f32_e32 v151, v147, v148
	ds_read_b128 v[147:150], v118 offset:768
	v_add_f32_e32 v1, v1, v2
	v_mul_f32_e32 v2, v130, v6
	s_waitcnt lgkmcnt(1)
	v_mul_f32_e32 v152, v143, v27
	v_fma_f32 v2, v129, v13, -v2
	v_fmac_f32_e32 v152, v144, v26
	v_add_f32_e32 v1, v1, v2
	v_mul_f32_e32 v2, v132, v7
	v_add_f32_e32 v151, v151, v152
	v_mul_f32_e32 v152, v145, v187
	v_fma_f32 v2, v131, v12, -v2
	v_fmac_f32_e32 v152, v146, v28
	v_add_f32_e32 v1, v1, v2
	v_mul_f32_e32 v2, v134, v8
	v_add_f32_e32 v151, v151, v152
	s_waitcnt lgkmcnt(0)
	v_mul_f32_e32 v152, v147, v189
	v_fma_f32 v2, v133, v19, -v2
	v_fmac_f32_e32 v152, v148, v188
	v_add_f32_e32 v1, v1, v2
	v_mul_f32_e32 v2, v136, v20
	v_add_f32_e32 v155, v151, v152
	ds_read_b128 v[151:154], v118 offset:784
	v_fma_f32 v2, v135, v18, -v2
	v_add_f32_e32 v1, v1, v2
	v_mul_f32_e32 v2, v138, v21
	s_waitcnt vmcnt(36)
	v_mul_f32_e32 v156, v149, v192
	v_fma_f32 v2, v137, v17, -v2
	v_fmac_f32_e32 v156, v150, v191
	v_add_f32_e32 v1, v1, v2
	v_mul_f32_e32 v2, v140, v22
	v_add_f32_e32 v159, v155, v156
	ds_read_b128 v[155:158], v118 offset:800
	v_fma_f32 v2, v139, v16, -v2
	s_waitcnt vmcnt(34) lgkmcnt(1)
	v_mul_f32_e32 v160, v151, v194
	v_add_f32_e32 v1, v1, v2
	v_mul_f32_e32 v2, v142, v25
	v_fmac_f32_e32 v160, v152, v193
	v_fma_f32 v2, v141, v190, -v2
	v_add_f32_e32 v159, v159, v160
	s_waitcnt vmcnt(32)
	v_mul_f32_e32 v160, v153, v196
	v_add_f32_e32 v1, v1, v2
	v_mul_f32_e32 v2, v144, v27
	v_fmac_f32_e32 v160, v154, v195
	v_fma_f32 v2, v143, v26, -v2
	v_add_f32_e32 v159, v159, v160
	s_waitcnt vmcnt(30) lgkmcnt(0)
	v_mul_f32_e32 v160, v155, v198
	v_add_f32_e32 v1, v1, v2
	v_mul_f32_e32 v2, v146, v187
	v_fmac_f32_e32 v160, v156, v197
	v_fma_f32 v2, v145, v28, -v2
	v_add_f32_e32 v163, v159, v160
	ds_read_b128 v[159:162], v118 offset:816
	v_add_f32_e32 v1, v1, v2
	v_mul_f32_e32 v2, v148, v189
	v_fma_f32 v2, v147, v188, -v2
	s_waitcnt vmcnt(28)
	v_mul_f32_e32 v164, v157, v200
	v_add_f32_e32 v1, v1, v2
	v_mul_f32_e32 v2, v150, v192
	v_fmac_f32_e32 v164, v158, v199
	v_fma_f32 v2, v149, v191, -v2
	v_add_f32_e32 v167, v163, v164
	ds_read_b128 v[163:166], v118 offset:832
	v_add_f32_e32 v1, v1, v2
	v_mul_f32_e32 v2, v152, v194
	s_waitcnt vmcnt(26) lgkmcnt(1)
	v_mul_f32_e32 v168, v159, v202
	v_fma_f32 v2, v151, v193, -v2
	v_fmac_f32_e32 v168, v160, v201
	v_add_f32_e32 v1, v1, v2
	v_mul_f32_e32 v2, v154, v196
	v_add_f32_e32 v167, v167, v168
	s_waitcnt vmcnt(24)
	v_mul_f32_e32 v168, v161, v204
	v_fma_f32 v2, v153, v195, -v2
	v_fmac_f32_e32 v168, v162, v203
	v_add_f32_e32 v1, v1, v2
	v_mul_f32_e32 v2, v156, v198
	v_add_f32_e32 v167, v167, v168
	s_waitcnt vmcnt(22) lgkmcnt(0)
	v_mul_f32_e32 v168, v163, v206
	v_fma_f32 v2, v155, v197, -v2
	v_fmac_f32_e32 v168, v164, v205
	v_add_f32_e32 v1, v1, v2
	v_mul_f32_e32 v2, v158, v200
	v_add_f32_e32 v171, v167, v168
	ds_read_b128 v[167:170], v118 offset:848
	v_fma_f32 v2, v157, v199, -v2
	v_add_f32_e32 v1, v1, v2
	v_mul_f32_e32 v2, v160, v202
	s_waitcnt vmcnt(20)
	v_mul_f32_e32 v172, v165, v208
	v_fma_f32 v2, v159, v201, -v2
	v_fmac_f32_e32 v172, v166, v207
	v_add_f32_e32 v1, v1, v2
	v_mul_f32_e32 v2, v162, v204
	v_add_f32_e32 v175, v171, v172
	ds_read_b128 v[171:174], v118 offset:864
	v_fma_f32 v2, v161, v203, -v2
	s_waitcnt vmcnt(18) lgkmcnt(1)
	v_mul_f32_e32 v176, v167, v210
	v_add_f32_e32 v1, v1, v2
	v_mul_f32_e32 v2, v164, v206
	v_fmac_f32_e32 v176, v168, v209
	v_fma_f32 v2, v163, v205, -v2
	v_add_f32_e32 v175, v175, v176
	s_waitcnt vmcnt(16)
	v_mul_f32_e32 v176, v169, v212
	v_add_f32_e32 v1, v1, v2
	v_mul_f32_e32 v2, v166, v208
	v_fmac_f32_e32 v176, v170, v211
	v_fma_f32 v2, v165, v207, -v2
	v_add_f32_e32 v175, v175, v176
	s_waitcnt vmcnt(14) lgkmcnt(0)
	v_mul_f32_e32 v176, v171, v214
	v_add_f32_e32 v1, v1, v2
	v_mul_f32_e32 v2, v168, v210
	v_fmac_f32_e32 v176, v172, v213
	v_fma_f32 v2, v167, v209, -v2
	v_add_f32_e32 v179, v175, v176
	ds_read_b128 v[175:178], v118 offset:880
	v_add_f32_e32 v1, v1, v2
	v_mul_f32_e32 v2, v170, v212
	v_fma_f32 v2, v169, v211, -v2
	v_add_f32_e32 v1, v1, v2
	v_mul_f32_e32 v2, v172, v214
	s_waitcnt vmcnt(12)
	v_mul_f32_e32 v180, v173, v216
	v_fma_f32 v2, v171, v213, -v2
	v_fmac_f32_e32 v180, v174, v215
	v_add_f32_e32 v1, v1, v2
	v_mul_f32_e32 v2, v174, v216
	v_add_f32_e32 v183, v179, v180
	ds_read_b128 v[179:182], v118 offset:896
	s_waitcnt vmcnt(10) lgkmcnt(1)
	v_mul_f32_e32 v184, v175, v218
	v_fma_f32 v2, v173, v215, -v2
	v_fmac_f32_e32 v184, v176, v217
	v_add_f32_e32 v1, v1, v2
	v_mul_f32_e32 v2, v176, v218
	v_add_f32_e32 v183, v183, v184
	s_waitcnt vmcnt(9)
	v_mul_f32_e32 v184, v177, v219
	v_fma_f32 v2, v175, v217, -v2
	s_waitcnt vmcnt(6)
	v_fmac_f32_e32 v184, v178, v222
	v_add_f32_e32 v1, v1, v2
	v_mul_f32_e32 v2, v178, v219
	v_add_f32_e32 v229, v183, v184
	ds_read_b128 v[183:186], v118 offset:912
	v_fma_f32 v2, v177, v222, -v2
	v_add_f32_e32 v1, v1, v2
	s_waitcnt lgkmcnt(1)
	v_mul_f32_e32 v2, v180, v221
	v_mul_f32_e32 v230, v179, v221
	v_fma_f32 v2, v179, v220, -v2
	v_fmac_f32_e32 v230, v180, v220
	v_add_f32_e32 v1, v1, v2
	s_waitcnt vmcnt(4)
	v_mul_f32_e32 v2, v182, v224
	v_add_f32_e32 v118, v229, v230
	v_mul_f32_e32 v229, v181, v224
	v_fma_f32 v2, v181, v223, -v2
	v_fmac_f32_e32 v229, v182, v223
	v_add_f32_e32 v1, v1, v2
	s_waitcnt vmcnt(3) lgkmcnt(0)
	v_mul_f32_e32 v2, v184, v225
	v_add_f32_e32 v118, v118, v229
	v_mul_f32_e32 v229, v183, v225
	s_waitcnt vmcnt(0)
	v_fma_f32 v2, v183, v228, -v2
	v_fmac_f32_e32 v229, v184, v228
	v_add_f32_e32 v1, v1, v2
	v_mul_f32_e32 v2, v186, v227
	v_add_f32_e32 v118, v118, v229
	v_mul_f32_e32 v229, v185, v227
	v_fma_f32 v2, v185, v226, -v2
	v_fmac_f32_e32 v229, v186, v226
	v_add_f32_e32 v1, v1, v2
	v_add_f32_e32 v118, v118, v229
	v_sub_f32_e32 v1, v23, v1
	v_sub_f32_e32 v2, v24, v118
	buffer_store_dword v1, off, s[0:3], 0 offset:184
	buffer_store_dword v2, off, s[0:3], 0 offset:188
	s_and_saveexec_b64 s[4:5], vcc
	s_cbranch_execz .LBB57_317
; %bb.316:
	buffer_load_dword v1, off, s[0:3], 0 offset:176
	buffer_load_dword v2, off, s[0:3], 0 offset:180
	v_mov_b32_e32 v3, 0
	buffer_store_dword v3, off, s[0:3], 0 offset:176
	buffer_store_dword v3, off, s[0:3], 0 offset:180
	s_waitcnt vmcnt(2)
	ds_write_b64 v117, v[1:2]
.LBB57_317:
	s_or_b64 exec, exec, s[4:5]
	s_waitcnt lgkmcnt(0)
	; wave barrier
	buffer_load_dword v3, off, s[0:3], 0 offset:188
	buffer_load_dword v4, off, s[0:3], 0 offset:196
	;; [unrolled: 1-line block ×56, first 2 shown]
	v_mov_b32_e32 v118, 0
	ds_read2_b64 v[119:122], v118 offset0:81 offset1:82
	ds_read2_b64 v[123:126], v118 offset0:83 offset1:84
	;; [unrolled: 1-line block ×6, first 2 shown]
	buffer_load_dword v217, off, s[0:3], 0 offset:400
	buffer_load_dword v218, off, s[0:3], 0 offset:404
	;; [unrolled: 1-line block ×16, first 2 shown]
	ds_read2_b64 v[151:154], v118 offset0:97 offset1:98
	ds_read2_b64 v[155:158], v118 offset0:99 offset1:100
	ds_read2_b64 v[159:162], v118 offset0:101 offset1:102
	ds_read2_b64 v[163:166], v118 offset0:103 offset1:104
	ds_read2_b64 v[167:170], v118 offset0:105 offset1:106
	ds_read2_b64 v[171:174], v118 offset0:107 offset1:108
	ds_read2_b64 v[175:178], v118 offset0:109 offset1:110
	ds_read2_b64 v[179:182], v118 offset0:111 offset1:112
	ds_read2_b64 v[183:186], v118 offset0:113 offset1:114
	v_cmp_lt_u32_e32 vcc, 21, v0
	s_waitcnt vmcnt(62) lgkmcnt(14)
	v_mul_f32_e32 v1, v119, v3
	v_mul_f32_e32 v3, v120, v3
	;; [unrolled: 1-line block ×4, first 2 shown]
	s_waitcnt lgkmcnt(13)
	v_mul_f32_e32 v143, v123, v5
	v_mul_f32_e32 v144, v125, v6
	s_waitcnt lgkmcnt(12)
	v_mul_f32_e32 v145, v127, v7
	v_mul_f32_e32 v146, v129, v8
	s_waitcnt lgkmcnt(11)
	v_mul_f32_e32 v147, v131, v9
	v_fmac_f32_e32 v143, v124, v12
	s_waitcnt vmcnt(61)
	v_fma_f32 v4, v121, v13, -v4
	s_waitcnt vmcnt(60)
	v_fma_f32 v3, v119, v14, -v3
	v_add_f32_e32 v3, 0, v3
	v_add_f32_e32 v3, v3, v4
	v_mul_f32_e32 v4, v124, v5
	v_fma_f32 v4, v123, v12, -v4
	v_add_f32_e32 v3, v3, v4
	v_mul_f32_e32 v4, v126, v6
	v_fmac_f32_e32 v1, v120, v14
	s_waitcnt vmcnt(56)
	v_fma_f32 v4, v125, v18, -v4
	v_fmac_f32_e32 v2, v122, v13
	v_add_f32_e32 v1, 0, v1
	v_add_f32_e32 v3, v3, v4
	v_mul_f32_e32 v4, v128, v7
	v_add_f32_e32 v1, v1, v2
	v_fma_f32 v4, v127, v17, -v4
	v_fmac_f32_e32 v144, v126, v18
	v_add_f32_e32 v1, v1, v143
	v_add_f32_e32 v3, v3, v4
	v_mul_f32_e32 v4, v130, v8
	v_fmac_f32_e32 v145, v128, v17
	v_add_f32_e32 v1, v1, v144
	v_fma_f32 v4, v129, v16, -v4
	v_fmac_f32_e32 v146, v130, v16
	v_add_f32_e32 v1, v1, v145
	v_add_f32_e32 v3, v3, v4
	v_mul_f32_e32 v4, v132, v9
	v_mul_f32_e32 v148, v133, v10
	v_fmac_f32_e32 v147, v132, v15
	v_add_f32_e32 v1, v1, v146
	v_fma_f32 v4, v131, v15, -v4
	s_waitcnt lgkmcnt(10)
	v_mul_f32_e32 v149, v135, v11
	s_waitcnt vmcnt(52)
	v_fmac_f32_e32 v148, v134, v22
	v_add_f32_e32 v1, v1, v147
	v_add_f32_e32 v3, v3, v4
	v_mul_f32_e32 v4, v134, v10
	v_add_f32_e32 v1, v1, v148
	v_fmac_f32_e32 v149, v136, v21
	s_waitcnt vmcnt(51)
	v_mul_f32_e32 v2, v137, v23
	v_fma_f32 v4, v133, v22, -v4
	v_add_f32_e32 v1, v1, v149
	v_fmac_f32_e32 v2, v138, v20
	ds_read2_b64 v[143:146], v118 offset0:93 offset1:94
	ds_read2_b64 v[147:150], v118 offset0:95 offset1:96
	v_add_f32_e32 v3, v3, v4
	v_mul_f32_e32 v4, v136, v11
	v_add_f32_e32 v1, v1, v2
	s_waitcnt vmcnt(50) lgkmcnt(11)
	v_mul_f32_e32 v2, v139, v24
	v_fma_f32 v4, v135, v21, -v4
	v_fmac_f32_e32 v2, v140, v19
	v_add_f32_e32 v3, v3, v4
	v_mul_f32_e32 v4, v138, v23
	v_add_f32_e32 v1, v1, v2
	s_waitcnt vmcnt(46)
	v_mul_f32_e32 v2, v141, v28
	v_fma_f32 v4, v137, v20, -v4
	v_fmac_f32_e32 v2, v142, v27
	v_add_f32_e32 v3, v3, v4
	v_mul_f32_e32 v4, v140, v24
	v_add_f32_e32 v1, v1, v2
	s_waitcnt vmcnt(44) lgkmcnt(1)
	v_mul_f32_e32 v2, v143, v188
	v_fma_f32 v4, v139, v19, -v4
	v_fmac_f32_e32 v2, v144, v187
	v_add_f32_e32 v3, v3, v4
	v_mul_f32_e32 v4, v142, v28
	v_add_f32_e32 v1, v1, v2
	s_waitcnt vmcnt(42)
	v_mul_f32_e32 v2, v145, v190
	v_fma_f32 v4, v141, v27, -v4
	v_fmac_f32_e32 v2, v146, v189
	;; [unrolled: 14-line block ×3, first 2 shown]
	v_add_f32_e32 v3, v3, v4
	v_mul_f32_e32 v4, v148, v192
	v_add_f32_e32 v1, v1, v2
	s_waitcnt vmcnt(36)
	v_mul_f32_e32 v2, v151, v196
	v_fma_f32 v4, v147, v191, -v4
	v_fmac_f32_e32 v2, v152, v195
	v_add_f32_e32 v3, v3, v4
	v_mul_f32_e32 v4, v150, v194
	v_add_f32_e32 v1, v1, v2
	s_waitcnt vmcnt(34)
	v_mul_f32_e32 v2, v153, v198
	v_fma_f32 v4, v149, v193, -v4
	v_fmac_f32_e32 v2, v154, v197
	;; [unrolled: 7-line block ×13, first 2 shown]
	v_add_f32_e32 v3, v3, v4
	v_mul_f32_e32 v4, v174, v218
	v_add_f32_e32 v1, v1, v2
	s_waitcnt vmcnt(11)
	v_mul_f32_e32 v2, v177, v221
	v_fma_f32 v4, v173, v217, -v4
	s_waitcnt vmcnt(8)
	v_fmac_f32_e32 v2, v178, v224
	v_add_f32_e32 v3, v3, v4
	v_mul_f32_e32 v4, v176, v220
	v_add_f32_e32 v1, v1, v2
	v_mul_f32_e32 v2, v179, v223
	v_fma_f32 v4, v175, v219, -v4
	v_fmac_f32_e32 v2, v180, v222
	v_add_f32_e32 v3, v3, v4
	v_mul_f32_e32 v4, v178, v221
	v_add_f32_e32 v1, v1, v2
	s_waitcnt vmcnt(6)
	v_mul_f32_e32 v2, v181, v226
	v_fma_f32 v4, v177, v224, -v4
	v_fmac_f32_e32 v2, v182, v225
	v_add_f32_e32 v3, v3, v4
	v_mul_f32_e32 v4, v180, v223
	v_add_f32_e32 v233, v1, v2
	ds_read_b64 v[1:2], v118 offset:920
	v_fma_f32 v4, v179, v222, -v4
	s_waitcnt vmcnt(4)
	v_mul_f32_e32 v234, v183, v228
	v_add_f32_e32 v3, v3, v4
	v_mul_f32_e32 v4, v182, v226
	v_fmac_f32_e32 v234, v184, v227
	v_fma_f32 v4, v181, v225, -v4
	v_add_f32_e32 v233, v233, v234
	s_waitcnt vmcnt(3)
	v_mul_f32_e32 v234, v185, v229
	v_add_f32_e32 v3, v3, v4
	v_mul_f32_e32 v4, v184, v228
	s_waitcnt vmcnt(0)
	v_fmac_f32_e32 v234, v186, v232
	v_fma_f32 v4, v183, v227, -v4
	v_add_f32_e32 v233, v233, v234
	s_waitcnt lgkmcnt(0)
	v_mul_f32_e32 v234, v1, v231
	v_add_f32_e32 v3, v3, v4
	v_mul_f32_e32 v4, v186, v229
	v_fmac_f32_e32 v234, v2, v230
	v_fma_f32 v4, v185, v232, -v4
	v_mul_f32_e32 v2, v2, v231
	v_add_f32_e32 v3, v3, v4
	v_fma_f32 v1, v1, v230, -v2
	v_add_f32_e32 v1, v3, v1
	v_add_f32_e32 v233, v233, v234
	v_sub_f32_e32 v1, v25, v1
	v_sub_f32_e32 v2, v26, v233
	buffer_store_dword v1, off, s[0:3], 0 offset:176
	buffer_store_dword v2, off, s[0:3], 0 offset:180
	s_and_saveexec_b64 s[4:5], vcc
	s_cbranch_execz .LBB57_319
; %bb.318:
	buffer_load_dword v1, off, s[0:3], 0 offset:168
	buffer_load_dword v2, off, s[0:3], 0 offset:172
	s_waitcnt vmcnt(0)
	ds_write_b64 v117, v[1:2]
	buffer_store_dword v118, off, s[0:3], 0 offset:168
	buffer_store_dword v118, off, s[0:3], 0 offset:172
.LBB57_319:
	s_or_b64 exec, exec, s[4:5]
	s_waitcnt lgkmcnt(0)
	; wave barrier
	buffer_load_dword v1, off, s[0:3], 0 offset:180
	buffer_load_dword v2, off, s[0:3], 0 offset:188
	;; [unrolled: 1-line block ×26, first 2 shown]
	ds_read_b128 v[119:122], v118 offset:640
	ds_read_b128 v[123:126], v118 offset:656
	;; [unrolled: 1-line block ×6, first 2 shown]
	buffer_load_dword v27, off, s[0:3], 0 offset:272
	buffer_load_dword v28, off, s[0:3], 0 offset:276
	;; [unrolled: 1-line block ×46, first 2 shown]
	v_cmp_lt_u32_e32 vcc, 20, v0
	s_waitcnt vmcnt(62) lgkmcnt(5)
	v_mul_f32_e32 v143, v119, v1
	v_mul_f32_e32 v144, v121, v2
	s_waitcnt lgkmcnt(4)
	v_mul_f32_e32 v145, v123, v3
	v_mul_f32_e32 v146, v125, v4
	s_waitcnt lgkmcnt(3)
	v_mul_f32_e32 v147, v127, v5
	v_mul_f32_e32 v148, v129, v6
	s_waitcnt lgkmcnt(2)
	v_mul_f32_e32 v149, v131, v7
	v_mul_f32_e32 v150, v133, v8
	s_waitcnt lgkmcnt(1)
	v_mul_f32_e32 v151, v135, v9
	v_fmac_f32_e32 v145, v124, v10
	s_waitcnt vmcnt(61)
	v_fmac_f32_e32 v144, v122, v11
	s_waitcnt vmcnt(60)
	v_fmac_f32_e32 v143, v120, v12
	v_add_f32_e32 v143, 0, v143
	v_add_f32_e32 v143, v143, v144
	;; [unrolled: 1-line block ×3, first 2 shown]
	s_waitcnt vmcnt(56)
	v_fmac_f32_e32 v146, v126, v16
	v_fmac_f32_e32 v147, v128, v15
	v_add_f32_e32 v143, v143, v146
	v_fmac_f32_e32 v148, v130, v14
	v_add_f32_e32 v143, v143, v147
	v_fmac_f32_e32 v149, v132, v13
	v_add_f32_e32 v143, v143, v148
	s_waitcnt vmcnt(52)
	v_fmac_f32_e32 v150, v134, v20
	v_add_f32_e32 v143, v143, v149
	v_fmac_f32_e32 v151, v136, v19
	v_add_f32_e32 v143, v143, v150
	s_waitcnt vmcnt(51)
	v_mul_f32_e32 v144, v137, v21
	v_add_f32_e32 v143, v143, v151
	v_fmac_f32_e32 v144, v138, v18
	v_add_f32_e32 v143, v143, v144
	s_waitcnt vmcnt(50) lgkmcnt(0)
	v_mul_f32_e32 v144, v139, v22
	v_fmac_f32_e32 v144, v140, v17
	s_waitcnt vmcnt(46)
	v_mul_f32_e32 v148, v141, v26
	v_add_f32_e32 v147, v143, v144
	v_fmac_f32_e32 v148, v142, v25
	ds_read_b128 v[143:146], v118 offset:736
	v_add_f32_e32 v151, v147, v148
	ds_read_b128 v[147:150], v118 offset:752
	buffer_load_dword v235, off, s[0:3], 0 offset:456
	buffer_load_dword v236, off, s[0:3], 0 offset:460
	v_mul_f32_e32 v1, v120, v1
	v_fma_f32 v1, v119, v12, -v1
	v_mul_f32_e32 v2, v122, v2
	v_add_f32_e32 v1, 0, v1
	v_fma_f32 v2, v121, v11, -v2
	v_add_f32_e32 v1, v1, v2
	v_mul_f32_e32 v2, v124, v3
	v_fma_f32 v2, v123, v10, -v2
	v_add_f32_e32 v1, v1, v2
	v_mul_f32_e32 v2, v126, v4
	;; [unrolled: 3-line block ×3, first 2 shown]
	s_waitcnt vmcnt(46) lgkmcnt(1)
	v_mul_f32_e32 v152, v143, v28
	v_fma_f32 v2, v127, v15, -v2
	v_fmac_f32_e32 v152, v144, v27
	v_add_f32_e32 v1, v1, v2
	v_mul_f32_e32 v2, v130, v6
	v_add_f32_e32 v151, v151, v152
	s_waitcnt vmcnt(44)
	v_mul_f32_e32 v152, v145, v192
	v_fma_f32 v2, v129, v14, -v2
	v_fmac_f32_e32 v152, v146, v191
	v_add_f32_e32 v1, v1, v2
	v_mul_f32_e32 v2, v132, v7
	v_add_f32_e32 v151, v151, v152
	s_waitcnt vmcnt(42) lgkmcnt(0)
	v_mul_f32_e32 v152, v147, v194
	v_fma_f32 v2, v131, v13, -v2
	v_fmac_f32_e32 v152, v148, v193
	v_add_f32_e32 v1, v1, v2
	v_mul_f32_e32 v2, v134, v8
	v_add_f32_e32 v155, v151, v152
	ds_read_b128 v[151:154], v118 offset:768
	v_fma_f32 v2, v133, v20, -v2
	v_add_f32_e32 v1, v1, v2
	v_mul_f32_e32 v2, v136, v9
	s_waitcnt vmcnt(40)
	v_mul_f32_e32 v156, v149, v196
	v_fma_f32 v2, v135, v19, -v2
	v_fmac_f32_e32 v156, v150, v195
	v_add_f32_e32 v1, v1, v2
	v_mul_f32_e32 v2, v138, v21
	v_add_f32_e32 v159, v155, v156
	ds_read_b128 v[155:158], v118 offset:784
	v_fma_f32 v2, v137, v18, -v2
	s_waitcnt vmcnt(38) lgkmcnt(1)
	v_mul_f32_e32 v160, v151, v198
	v_add_f32_e32 v1, v1, v2
	v_mul_f32_e32 v2, v140, v22
	v_fmac_f32_e32 v160, v152, v197
	v_fma_f32 v2, v139, v17, -v2
	v_add_f32_e32 v159, v159, v160
	s_waitcnt vmcnt(36)
	v_mul_f32_e32 v160, v153, v200
	v_add_f32_e32 v1, v1, v2
	v_mul_f32_e32 v2, v142, v26
	v_fmac_f32_e32 v160, v154, v199
	v_fma_f32 v2, v141, v25, -v2
	v_add_f32_e32 v159, v159, v160
	s_waitcnt vmcnt(34) lgkmcnt(0)
	v_mul_f32_e32 v160, v155, v202
	v_add_f32_e32 v1, v1, v2
	v_mul_f32_e32 v2, v144, v28
	v_fmac_f32_e32 v160, v156, v201
	v_fma_f32 v2, v143, v27, -v2
	v_add_f32_e32 v163, v159, v160
	ds_read_b128 v[159:162], v118 offset:800
	v_add_f32_e32 v1, v1, v2
	v_mul_f32_e32 v2, v146, v192
	v_fma_f32 v2, v145, v191, -v2
	s_waitcnt vmcnt(32)
	v_mul_f32_e32 v164, v157, v204
	v_add_f32_e32 v1, v1, v2
	v_mul_f32_e32 v2, v148, v194
	v_fmac_f32_e32 v164, v158, v203
	v_fma_f32 v2, v147, v193, -v2
	v_add_f32_e32 v167, v163, v164
	ds_read_b128 v[163:166], v118 offset:816
	v_add_f32_e32 v1, v1, v2
	v_mul_f32_e32 v2, v150, v196
	s_waitcnt vmcnt(30) lgkmcnt(1)
	v_mul_f32_e32 v168, v159, v206
	v_fma_f32 v2, v149, v195, -v2
	v_fmac_f32_e32 v168, v160, v205
	v_add_f32_e32 v1, v1, v2
	v_mul_f32_e32 v2, v152, v198
	v_add_f32_e32 v167, v167, v168
	s_waitcnt vmcnt(28)
	v_mul_f32_e32 v168, v161, v208
	v_fma_f32 v2, v151, v197, -v2
	v_fmac_f32_e32 v168, v162, v207
	v_add_f32_e32 v1, v1, v2
	v_mul_f32_e32 v2, v154, v200
	v_add_f32_e32 v167, v167, v168
	s_waitcnt vmcnt(26) lgkmcnt(0)
	v_mul_f32_e32 v168, v163, v210
	v_fma_f32 v2, v153, v199, -v2
	v_fmac_f32_e32 v168, v164, v209
	v_add_f32_e32 v1, v1, v2
	v_mul_f32_e32 v2, v156, v202
	v_add_f32_e32 v171, v167, v168
	ds_read_b128 v[167:170], v118 offset:832
	v_fma_f32 v2, v155, v201, -v2
	v_add_f32_e32 v1, v1, v2
	v_mul_f32_e32 v2, v158, v204
	s_waitcnt vmcnt(24)
	v_mul_f32_e32 v172, v165, v212
	v_fma_f32 v2, v157, v203, -v2
	v_fmac_f32_e32 v172, v166, v211
	v_add_f32_e32 v1, v1, v2
	v_mul_f32_e32 v2, v160, v206
	v_add_f32_e32 v175, v171, v172
	ds_read_b128 v[171:174], v118 offset:848
	v_fma_f32 v2, v159, v205, -v2
	s_waitcnt vmcnt(22) lgkmcnt(1)
	v_mul_f32_e32 v176, v167, v214
	v_add_f32_e32 v1, v1, v2
	v_mul_f32_e32 v2, v162, v208
	v_fmac_f32_e32 v176, v168, v213
	v_fma_f32 v2, v161, v207, -v2
	v_add_f32_e32 v175, v175, v176
	s_waitcnt vmcnt(20)
	v_mul_f32_e32 v176, v169, v216
	v_add_f32_e32 v1, v1, v2
	v_mul_f32_e32 v2, v164, v210
	v_fmac_f32_e32 v176, v170, v215
	v_fma_f32 v2, v163, v209, -v2
	v_add_f32_e32 v175, v175, v176
	s_waitcnt vmcnt(18) lgkmcnt(0)
	v_mul_f32_e32 v176, v171, v218
	v_add_f32_e32 v1, v1, v2
	v_mul_f32_e32 v2, v166, v212
	v_fmac_f32_e32 v176, v172, v217
	v_fma_f32 v2, v165, v211, -v2
	v_add_f32_e32 v179, v175, v176
	ds_read_b128 v[175:178], v118 offset:864
	v_add_f32_e32 v1, v1, v2
	v_mul_f32_e32 v2, v168, v214
	v_fma_f32 v2, v167, v213, -v2
	s_waitcnt vmcnt(16)
	v_mul_f32_e32 v180, v173, v220
	v_add_f32_e32 v1, v1, v2
	v_mul_f32_e32 v2, v170, v216
	v_fmac_f32_e32 v180, v174, v219
	v_fma_f32 v2, v169, v215, -v2
	v_add_f32_e32 v183, v179, v180
	ds_read_b128 v[179:182], v118 offset:880
	v_add_f32_e32 v1, v1, v2
	v_mul_f32_e32 v2, v172, v218
	s_waitcnt vmcnt(14) lgkmcnt(1)
	v_mul_f32_e32 v184, v175, v222
	v_fma_f32 v2, v171, v217, -v2
	v_fmac_f32_e32 v184, v176, v221
	v_add_f32_e32 v1, v1, v2
	v_mul_f32_e32 v2, v174, v220
	v_add_f32_e32 v183, v183, v184
	s_waitcnt vmcnt(13)
	v_mul_f32_e32 v184, v177, v223
	v_fma_f32 v2, v173, v219, -v2
	s_waitcnt vmcnt(10)
	v_fmac_f32_e32 v184, v178, v226
	v_add_f32_e32 v1, v1, v2
	v_mul_f32_e32 v2, v176, v222
	v_add_f32_e32 v183, v183, v184
	s_waitcnt lgkmcnt(0)
	v_mul_f32_e32 v184, v179, v225
	v_fma_f32 v2, v175, v221, -v2
	v_fmac_f32_e32 v184, v180, v224
	v_add_f32_e32 v1, v1, v2
	v_mul_f32_e32 v2, v178, v223
	v_add_f32_e32 v187, v183, v184
	ds_read_b128 v[183:186], v118 offset:896
	v_fma_f32 v2, v177, v226, -v2
	v_add_f32_e32 v1, v1, v2
	v_mul_f32_e32 v2, v180, v225
	s_waitcnt vmcnt(8)
	v_mul_f32_e32 v188, v181, v228
	v_fma_f32 v2, v179, v224, -v2
	v_fmac_f32_e32 v188, v182, v227
	v_add_f32_e32 v1, v1, v2
	v_mul_f32_e32 v2, v182, v228
	v_add_f32_e32 v237, v187, v188
	ds_read_b128 v[187:190], v118 offset:912
	v_fma_f32 v2, v181, v227, -v2
	v_add_f32_e32 v1, v1, v2
	s_waitcnt vmcnt(6) lgkmcnt(1)
	v_mul_f32_e32 v2, v184, v230
	v_mul_f32_e32 v118, v183, v230
	v_fma_f32 v2, v183, v229, -v2
	v_fmac_f32_e32 v118, v184, v229
	v_add_f32_e32 v1, v1, v2
	s_waitcnt vmcnt(5)
	v_mul_f32_e32 v2, v186, v231
	v_add_f32_e32 v118, v237, v118
	v_mul_f32_e32 v237, v185, v231
	s_waitcnt vmcnt(2)
	v_fma_f32 v2, v185, v234, -v2
	v_fmac_f32_e32 v237, v186, v234
	v_add_f32_e32 v1, v1, v2
	s_waitcnt lgkmcnt(0)
	v_mul_f32_e32 v2, v188, v233
	v_add_f32_e32 v118, v118, v237
	v_mul_f32_e32 v237, v187, v233
	v_fma_f32 v2, v187, v232, -v2
	v_fmac_f32_e32 v237, v188, v232
	v_add_f32_e32 v1, v1, v2
	s_waitcnt vmcnt(0)
	v_mul_f32_e32 v2, v190, v236
	v_add_f32_e32 v118, v118, v237
	v_mul_f32_e32 v237, v189, v236
	v_fma_f32 v2, v189, v235, -v2
	v_fmac_f32_e32 v237, v190, v235
	v_add_f32_e32 v1, v1, v2
	v_add_f32_e32 v118, v118, v237
	v_sub_f32_e32 v1, v23, v1
	v_sub_f32_e32 v2, v24, v118
	buffer_store_dword v1, off, s[0:3], 0 offset:168
	buffer_store_dword v2, off, s[0:3], 0 offset:172
	s_and_saveexec_b64 s[4:5], vcc
	s_cbranch_execz .LBB57_321
; %bb.320:
	buffer_load_dword v1, off, s[0:3], 0 offset:160
	buffer_load_dword v2, off, s[0:3], 0 offset:164
	v_mov_b32_e32 v3, 0
	buffer_store_dword v3, off, s[0:3], 0 offset:160
	buffer_store_dword v3, off, s[0:3], 0 offset:164
	s_waitcnt vmcnt(2)
	ds_write_b64 v117, v[1:2]
.LBB57_321:
	s_or_b64 exec, exec, s[4:5]
	s_waitcnt lgkmcnt(0)
	; wave barrier
	buffer_load_dword v3, off, s[0:3], 0 offset:172
	buffer_load_dword v4, off, s[0:3], 0 offset:180
	;; [unrolled: 1-line block ×50, first 2 shown]
	v_mov_b32_e32 v118, 0
	ds_read2_b64 v[119:122], v118 offset0:79 offset1:80
	ds_read2_b64 v[123:126], v118 offset0:81 offset1:82
	;; [unrolled: 1-line block ×6, first 2 shown]
	buffer_load_dword v215, off, s[0:3], 0 offset:360
	buffer_load_dword v216, off, s[0:3], 0 offset:364
	;; [unrolled: 1-line block ×16, first 2 shown]
	v_cmp_lt_u32_e32 vcc, 19, v0
	s_waitcnt vmcnt(62) lgkmcnt(5)
	v_mul_f32_e32 v1, v119, v3
	v_mul_f32_e32 v2, v121, v4
	s_waitcnt lgkmcnt(4)
	v_mul_f32_e32 v143, v123, v5
	v_mul_f32_e32 v144, v125, v6
	s_waitcnt vmcnt(61) lgkmcnt(3)
	v_mul_f32_e32 v145, v127, v7
	s_waitcnt vmcnt(60)
	v_mul_f32_e32 v146, v129, v8
	s_waitcnt vmcnt(59) lgkmcnt(2)
	v_mul_f32_e32 v147, v131, v9
	s_waitcnt vmcnt(58)
	;; [unrolled: 4-line block ×3, first 2 shown]
	v_fmac_f32_e32 v143, v124, v12
	s_waitcnt vmcnt(55)
	v_fmac_f32_e32 v2, v122, v13
	s_waitcnt vmcnt(54)
	v_fmac_f32_e32 v1, v120, v14
	v_add_f32_e32 v1, 0, v1
	v_add_f32_e32 v1, v1, v2
	;; [unrolled: 1-line block ×3, first 2 shown]
	s_waitcnt vmcnt(50)
	v_fmac_f32_e32 v144, v126, v18
	v_fmac_f32_e32 v145, v128, v17
	v_add_f32_e32 v1, v1, v144
	v_fmac_f32_e32 v146, v130, v16
	v_add_f32_e32 v1, v1, v145
	v_add_f32_e32 v1, v1, v146
	ds_read2_b64 v[143:146], v118 offset0:91 offset1:92
	buffer_load_dword v231, off, s[0:3], 0 offset:424
	buffer_load_dword v232, off, s[0:3], 0 offset:428
	;; [unrolled: 1-line block ×6, first 2 shown]
	v_fmac_f32_e32 v147, v132, v15
	s_waitcnt vmcnt(52)
	v_fmac_f32_e32 v148, v134, v22
	v_add_f32_e32 v1, v1, v147
	v_fmac_f32_e32 v149, v136, v21
	v_add_f32_e32 v1, v1, v148
	v_add_f32_e32 v1, v1, v149
	ds_read2_b64 v[147:150], v118 offset0:93 offset1:94
	buffer_load_dword v237, off, s[0:3], 0 offset:452
	buffer_load_dword v238, off, s[0:3], 0 offset:456
	;; [unrolled: 1-line block ×4, first 2 shown]
	v_mul_f32_e32 v3, v120, v3
	v_fma_f32 v3, v119, v14, -v3
	v_mul_f32_e32 v4, v122, v4
	v_add_f32_e32 v3, 0, v3
	v_fma_f32 v4, v121, v13, -v4
	v_add_f32_e32 v3, v3, v4
	v_mul_f32_e32 v4, v124, v5
	v_fma_f32 v4, v123, v12, -v4
	v_add_f32_e32 v3, v3, v4
	v_mul_f32_e32 v4, v126, v6
	;; [unrolled: 3-line block ×6, first 2 shown]
	s_waitcnt vmcnt(55)
	v_mul_f32_e32 v2, v137, v23
	v_fma_f32 v4, v133, v22, -v4
	v_fmac_f32_e32 v2, v138, v20
	v_add_f32_e32 v3, v3, v4
	v_mul_f32_e32 v4, v136, v11
	v_add_f32_e32 v1, v1, v2
	s_waitcnt vmcnt(54) lgkmcnt(2)
	v_mul_f32_e32 v2, v139, v24
	v_fma_f32 v4, v135, v21, -v4
	v_fmac_f32_e32 v2, v140, v19
	v_add_f32_e32 v3, v3, v4
	v_mul_f32_e32 v4, v138, v23
	v_add_f32_e32 v1, v1, v2
	s_waitcnt vmcnt(53)
	v_mul_f32_e32 v2, v141, v25
	v_fma_f32 v4, v137, v20, -v4
	s_waitcnt vmcnt(46)
	v_fmac_f32_e32 v2, v142, v194
	v_add_f32_e32 v3, v3, v4
	v_mul_f32_e32 v4, v140, v24
	v_add_f32_e32 v1, v1, v2
	s_waitcnt lgkmcnt(1)
	v_mul_f32_e32 v2, v143, v27
	v_fma_f32 v4, v139, v19, -v4
	v_fmac_f32_e32 v2, v144, v26
	v_add_f32_e32 v3, v3, v4
	v_mul_f32_e32 v4, v142, v25
	v_add_f32_e32 v1, v1, v2
	v_mul_f32_e32 v2, v145, v191
	v_fma_f32 v4, v141, v194, -v4
	v_fmac_f32_e32 v2, v146, v28
	ds_read2_b64 v[151:154], v118 offset0:95 offset1:96
	ds_read2_b64 v[155:158], v118 offset0:97 offset1:98
	v_add_f32_e32 v3, v3, v4
	v_mul_f32_e32 v4, v144, v27
	v_add_f32_e32 v1, v1, v2
	s_waitcnt lgkmcnt(2)
	v_mul_f32_e32 v2, v147, v193
	v_fma_f32 v4, v143, v26, -v4
	v_fmac_f32_e32 v2, v148, v192
	v_add_f32_e32 v3, v3, v4
	v_mul_f32_e32 v4, v146, v191
	v_add_f32_e32 v1, v1, v2
	s_waitcnt vmcnt(42)
	v_mul_f32_e32 v2, v149, v198
	v_fma_f32 v4, v145, v28, -v4
	v_fmac_f32_e32 v2, v150, v197
	v_add_f32_e32 v3, v3, v4
	v_mul_f32_e32 v4, v148, v193
	v_add_f32_e32 v1, v1, v2
	s_waitcnt vmcnt(40) lgkmcnt(1)
	v_mul_f32_e32 v2, v151, v200
	v_fma_f32 v4, v147, v192, -v4
	v_fmac_f32_e32 v2, v152, v199
	v_add_f32_e32 v3, v3, v4
	v_mul_f32_e32 v4, v150, v198
	v_add_f32_e32 v1, v1, v2
	s_waitcnt vmcnt(38)
	v_mul_f32_e32 v2, v153, v202
	v_fma_f32 v4, v149, v197, -v4
	v_fmac_f32_e32 v2, v154, v201
	ds_read2_b64 v[159:162], v118 offset0:99 offset1:100
	ds_read2_b64 v[163:166], v118 offset0:101 offset1:102
	v_add_f32_e32 v3, v3, v4
	v_mul_f32_e32 v4, v152, v200
	v_add_f32_e32 v1, v1, v2
	s_waitcnt vmcnt(36) lgkmcnt(2)
	v_mul_f32_e32 v2, v155, v204
	v_fma_f32 v4, v151, v199, -v4
	v_fmac_f32_e32 v2, v156, v203
	v_add_f32_e32 v3, v3, v4
	v_mul_f32_e32 v4, v154, v202
	v_add_f32_e32 v1, v1, v2
	s_waitcnt vmcnt(34)
	v_mul_f32_e32 v2, v157, v206
	v_fma_f32 v4, v153, v201, -v4
	v_fmac_f32_e32 v2, v158, v205
	v_add_f32_e32 v3, v3, v4
	v_mul_f32_e32 v4, v156, v204
	v_add_f32_e32 v1, v1, v2
	s_waitcnt vmcnt(32) lgkmcnt(1)
	v_mul_f32_e32 v2, v159, v208
	v_fma_f32 v4, v155, v203, -v4
	v_fmac_f32_e32 v2, v160, v207
	v_add_f32_e32 v3, v3, v4
	v_mul_f32_e32 v4, v158, v206
	v_add_f32_e32 v1, v1, v2
	s_waitcnt vmcnt(30)
	v_mul_f32_e32 v2, v161, v210
	v_fma_f32 v4, v157, v205, -v4
	v_fmac_f32_e32 v2, v162, v209
	ds_read2_b64 v[167:170], v118 offset0:103 offset1:104
	ds_read2_b64 v[171:174], v118 offset0:105 offset1:106
	v_add_f32_e32 v3, v3, v4
	v_mul_f32_e32 v4, v160, v208
	v_add_f32_e32 v1, v1, v2
	s_waitcnt vmcnt(28) lgkmcnt(2)
	v_mul_f32_e32 v2, v163, v212
	v_fma_f32 v4, v159, v207, -v4
	v_fmac_f32_e32 v2, v164, v211
	v_add_f32_e32 v3, v3, v4
	v_mul_f32_e32 v4, v162, v210
	v_add_f32_e32 v1, v1, v2
	s_waitcnt vmcnt(26)
	v_mul_f32_e32 v2, v165, v214
	v_fma_f32 v4, v161, v209, -v4
	v_fmac_f32_e32 v2, v166, v213
	v_add_f32_e32 v3, v3, v4
	v_mul_f32_e32 v4, v164, v212
	v_add_f32_e32 v1, v1, v2
	s_waitcnt vmcnt(24) lgkmcnt(1)
	v_mul_f32_e32 v2, v167, v216
	v_fma_f32 v4, v163, v211, -v4
	v_fmac_f32_e32 v2, v168, v215
	v_add_f32_e32 v3, v3, v4
	v_mul_f32_e32 v4, v166, v214
	v_add_f32_e32 v1, v1, v2
	s_waitcnt vmcnt(23)
	v_mul_f32_e32 v2, v169, v217
	v_fma_f32 v4, v165, v213, -v4
	s_waitcnt vmcnt(20)
	v_fmac_f32_e32 v2, v170, v220
	ds_read2_b64 v[175:178], v118 offset0:107 offset1:108
	ds_read2_b64 v[179:182], v118 offset0:109 offset1:110
	v_add_f32_e32 v3, v3, v4
	v_mul_f32_e32 v4, v168, v216
	v_add_f32_e32 v1, v1, v2
	s_waitcnt lgkmcnt(2)
	v_mul_f32_e32 v2, v171, v219
	v_fma_f32 v4, v167, v215, -v4
	v_fmac_f32_e32 v2, v172, v218
	v_add_f32_e32 v3, v3, v4
	v_mul_f32_e32 v4, v170, v217
	v_add_f32_e32 v1, v1, v2
	s_waitcnt vmcnt(18)
	v_mul_f32_e32 v2, v173, v222
	v_fma_f32 v4, v169, v220, -v4
	v_fmac_f32_e32 v2, v174, v221
	v_add_f32_e32 v3, v3, v4
	v_mul_f32_e32 v4, v172, v219
	v_add_f32_e32 v1, v1, v2
	s_waitcnt vmcnt(16) lgkmcnt(1)
	v_mul_f32_e32 v2, v175, v224
	v_fma_f32 v4, v171, v218, -v4
	v_fmac_f32_e32 v2, v176, v223
	v_add_f32_e32 v3, v3, v4
	v_mul_f32_e32 v4, v174, v222
	v_add_f32_e32 v1, v1, v2
	s_waitcnt vmcnt(15)
	v_mul_f32_e32 v2, v177, v225
	v_fma_f32 v4, v173, v221, -v4
	s_waitcnt vmcnt(12)
	v_fmac_f32_e32 v2, v178, v228
	ds_read2_b64 v[183:186], v118 offset0:111 offset1:112
	ds_read2_b64 v[187:190], v118 offset0:113 offset1:114
	v_add_f32_e32 v3, v3, v4
	v_mul_f32_e32 v4, v176, v224
	v_add_f32_e32 v1, v1, v2
	s_waitcnt lgkmcnt(2)
	v_mul_f32_e32 v2, v179, v227
	v_fma_f32 v4, v175, v223, -v4
	v_fmac_f32_e32 v2, v180, v226
	v_add_f32_e32 v3, v3, v4
	v_mul_f32_e32 v4, v178, v225
	v_add_f32_e32 v1, v1, v2
	s_waitcnt vmcnt(10)
	v_mul_f32_e32 v2, v181, v230
	v_fma_f32 v4, v177, v228, -v4
	v_fmac_f32_e32 v2, v182, v229
	v_add_f32_e32 v3, v3, v4
	v_mul_f32_e32 v4, v180, v227
	v_add_f32_e32 v1, v1, v2
	s_waitcnt vmcnt(8) lgkmcnt(1)
	v_mul_f32_e32 v2, v183, v232
	v_fma_f32 v4, v179, v226, -v4
	v_fmac_f32_e32 v2, v184, v231
	v_add_f32_e32 v3, v3, v4
	v_mul_f32_e32 v4, v182, v230
	v_add_f32_e32 v1, v1, v2
	s_waitcnt vmcnt(7)
	v_mul_f32_e32 v2, v185, v233
	v_fma_f32 v4, v181, v229, -v4
	s_waitcnt vmcnt(4)
	v_fmac_f32_e32 v2, v186, v236
	v_add_f32_e32 v3, v3, v4
	v_mul_f32_e32 v4, v184, v232
	v_add_f32_e32 v241, v1, v2
	ds_read_b64 v[1:2], v118 offset:920
	v_fma_f32 v4, v183, v231, -v4
	s_waitcnt lgkmcnt(1)
	v_mul_f32_e32 v242, v187, v235
	v_add_f32_e32 v3, v3, v4
	v_mul_f32_e32 v4, v186, v233
	v_fmac_f32_e32 v242, v188, v234
	v_fma_f32 v4, v185, v236, -v4
	v_add_f32_e32 v241, v241, v242
	s_waitcnt vmcnt(3)
	v_mul_f32_e32 v242, v189, v237
	v_add_f32_e32 v3, v3, v4
	v_mul_f32_e32 v4, v188, v235
	s_waitcnt vmcnt(0)
	v_fmac_f32_e32 v242, v190, v240
	v_fma_f32 v4, v187, v234, -v4
	v_add_f32_e32 v241, v241, v242
	s_waitcnt lgkmcnt(0)
	v_mul_f32_e32 v242, v1, v239
	v_add_f32_e32 v3, v3, v4
	v_mul_f32_e32 v4, v190, v237
	v_fmac_f32_e32 v242, v2, v238
	v_fma_f32 v4, v189, v240, -v4
	v_mul_f32_e32 v2, v2, v239
	v_add_f32_e32 v3, v3, v4
	v_fma_f32 v1, v1, v238, -v2
	v_add_f32_e32 v1, v3, v1
	v_add_f32_e32 v241, v241, v242
	v_sub_f32_e32 v1, v195, v1
	v_sub_f32_e32 v2, v196, v241
	buffer_store_dword v1, off, s[0:3], 0 offset:160
	buffer_store_dword v2, off, s[0:3], 0 offset:164
	s_and_saveexec_b64 s[4:5], vcc
	s_cbranch_execz .LBB57_323
; %bb.322:
	buffer_load_dword v1, off, s[0:3], 0 offset:152
	buffer_load_dword v2, off, s[0:3], 0 offset:156
	s_waitcnt vmcnt(0)
	ds_write_b64 v117, v[1:2]
	buffer_store_dword v118, off, s[0:3], 0 offset:152
	buffer_store_dword v118, off, s[0:3], 0 offset:156
.LBB57_323:
	s_or_b64 exec, exec, s[4:5]
	s_waitcnt lgkmcnt(0)
	; wave barrier
	buffer_load_dword v1, off, s[0:3], 0 offset:164
	buffer_load_dword v2, off, s[0:3], 0 offset:172
	;; [unrolled: 1-line block ×32, first 2 shown]
	ds_read_b128 v[119:122], v118 offset:624
	ds_read_b128 v[123:126], v118 offset:640
	;; [unrolled: 1-line block ×6, first 2 shown]
	buffer_load_dword v199, off, s[0:3], 0 offset:280
	buffer_load_dword v200, off, s[0:3], 0 offset:284
	;; [unrolled: 1-line block ×32, first 2 shown]
	v_cmp_lt_u32_e32 vcc, 18, v0
	s_waitcnt vmcnt(62) lgkmcnt(5)
	v_mul_f32_e32 v143, v119, v1
	v_mul_f32_e32 v144, v121, v2
	s_waitcnt vmcnt(61) lgkmcnt(4)
	v_mul_f32_e32 v145, v123, v3
	s_waitcnt vmcnt(60)
	v_mul_f32_e32 v146, v125, v4
	s_waitcnt vmcnt(59) lgkmcnt(3)
	v_mul_f32_e32 v147, v127, v5
	s_waitcnt vmcnt(58)
	;; [unrolled: 4-line block ×4, first 2 shown]
	v_mul_f32_e32 v152, v137, v10
	s_waitcnt vmcnt(53)
	v_fmac_f32_e32 v145, v124, v11
	s_waitcnt vmcnt(52)
	v_fmac_f32_e32 v144, v122, v12
	s_waitcnt vmcnt(51)
	v_fmac_f32_e32 v143, v120, v13
	v_add_f32_e32 v143, 0, v143
	v_add_f32_e32 v143, v143, v144
	;; [unrolled: 1-line block ×3, first 2 shown]
	s_waitcnt vmcnt(47)
	v_fmac_f32_e32 v146, v126, v17
	v_fmac_f32_e32 v147, v128, v16
	v_add_f32_e32 v143, v143, v146
	v_fmac_f32_e32 v148, v130, v15
	v_add_f32_e32 v143, v143, v147
	;; [unrolled: 2-line block ×3, first 2 shown]
	s_waitcnt vmcnt(43)
	v_fmac_f32_e32 v150, v134, v21
	v_add_f32_e32 v143, v143, v149
	v_fmac_f32_e32 v151, v136, v20
	v_add_f32_e32 v143, v143, v150
	;; [unrolled: 2-line block ×3, first 2 shown]
	s_waitcnt vmcnt(42) lgkmcnt(0)
	v_mul_f32_e32 v144, v139, v22
	v_add_f32_e32 v143, v143, v152
	v_fmac_f32_e32 v144, v140, v18
	v_add_f32_e32 v147, v143, v144
	ds_read_b128 v[143:146], v118 offset:720
	buffer_load_dword v231, off, s[0:3], 0 offset:408
	buffer_load_dword v232, off, s[0:3], 0 offset:412
	s_waitcnt vmcnt(43)
	v_mul_f32_e32 v148, v141, v23
	s_waitcnt vmcnt(37)
	v_fmac_f32_e32 v148, v142, v195
	v_add_f32_e32 v151, v147, v148
	ds_read_b128 v[147:150], v118 offset:736
	buffer_load_dword v233, off, s[0:3], 0 offset:416
	buffer_load_dword v234, off, s[0:3], 0 offset:420
	;; [unrolled: 1-line block ×12, first 2 shown]
	v_mul_f32_e32 v1, v120, v1
	v_fma_f32 v1, v119, v13, -v1
	v_mul_f32_e32 v2, v122, v2
	v_add_f32_e32 v1, 0, v1
	v_fma_f32 v2, v121, v12, -v2
	v_add_f32_e32 v1, v1, v2
	v_mul_f32_e32 v2, v124, v3
	v_fma_f32 v2, v123, v11, -v2
	v_add_f32_e32 v1, v1, v2
	v_mul_f32_e32 v2, v126, v4
	v_fma_f32 v2, v125, v17, -v2
	s_waitcnt vmcnt(48) lgkmcnt(1)
	v_mul_f32_e32 v152, v143, v196
	v_add_f32_e32 v1, v1, v2
	v_mul_f32_e32 v2, v128, v5
	v_fmac_f32_e32 v152, v144, v28
	v_fma_f32 v2, v127, v16, -v2
	v_add_f32_e32 v151, v151, v152
	v_mul_f32_e32 v152, v145, v25
	v_add_f32_e32 v1, v1, v2
	v_mul_f32_e32 v2, v130, v6
	v_fmac_f32_e32 v152, v146, v24
	v_fma_f32 v2, v129, v15, -v2
	v_add_f32_e32 v151, v151, v152
	s_waitcnt lgkmcnt(0)
	v_mul_f32_e32 v152, v147, v27
	v_add_f32_e32 v1, v1, v2
	v_mul_f32_e32 v2, v132, v7
	v_fmac_f32_e32 v152, v148, v26
	v_fma_f32 v2, v131, v14, -v2
	v_add_f32_e32 v155, v151, v152
	ds_read_b128 v[151:154], v118 offset:752
	v_add_f32_e32 v1, v1, v2
	v_mul_f32_e32 v2, v134, v8
	v_fma_f32 v2, v133, v21, -v2
	s_waitcnt vmcnt(44)
	v_mul_f32_e32 v156, v149, v200
	v_add_f32_e32 v1, v1, v2
	v_mul_f32_e32 v2, v136, v9
	v_fmac_f32_e32 v156, v150, v199
	v_fma_f32 v2, v135, v20, -v2
	v_add_f32_e32 v159, v155, v156
	ds_read_b128 v[155:158], v118 offset:768
	v_add_f32_e32 v1, v1, v2
	v_mul_f32_e32 v2, v138, v10
	s_waitcnt vmcnt(42) lgkmcnt(1)
	v_mul_f32_e32 v160, v151, v202
	v_fma_f32 v2, v137, v19, -v2
	v_fmac_f32_e32 v160, v152, v201
	v_add_f32_e32 v1, v1, v2
	v_mul_f32_e32 v2, v140, v22
	v_add_f32_e32 v159, v159, v160
	s_waitcnt vmcnt(40)
	v_mul_f32_e32 v160, v153, v204
	v_fma_f32 v2, v139, v18, -v2
	v_fmac_f32_e32 v160, v154, v203
	v_add_f32_e32 v1, v1, v2
	v_mul_f32_e32 v2, v142, v23
	v_add_f32_e32 v159, v159, v160
	s_waitcnt vmcnt(38) lgkmcnt(0)
	v_mul_f32_e32 v160, v155, v206
	v_fma_f32 v2, v141, v195, -v2
	v_fmac_f32_e32 v160, v156, v205
	v_add_f32_e32 v1, v1, v2
	v_mul_f32_e32 v2, v144, v196
	v_add_f32_e32 v163, v159, v160
	ds_read_b128 v[159:162], v118 offset:784
	v_fma_f32 v2, v143, v28, -v2
	v_add_f32_e32 v1, v1, v2
	v_mul_f32_e32 v2, v146, v25
	s_waitcnt vmcnt(36)
	v_mul_f32_e32 v164, v157, v208
	v_fma_f32 v2, v145, v24, -v2
	v_fmac_f32_e32 v164, v158, v207
	v_add_f32_e32 v1, v1, v2
	v_mul_f32_e32 v2, v148, v27
	v_add_f32_e32 v167, v163, v164
	ds_read_b128 v[163:166], v118 offset:800
	v_fma_f32 v2, v147, v26, -v2
	s_waitcnt vmcnt(34) lgkmcnt(1)
	v_mul_f32_e32 v168, v159, v210
	v_add_f32_e32 v1, v1, v2
	v_mul_f32_e32 v2, v150, v200
	v_fmac_f32_e32 v168, v160, v209
	v_fma_f32 v2, v149, v199, -v2
	v_add_f32_e32 v167, v167, v168
	s_waitcnt vmcnt(32)
	v_mul_f32_e32 v168, v161, v212
	v_add_f32_e32 v1, v1, v2
	v_mul_f32_e32 v2, v152, v202
	v_fmac_f32_e32 v168, v162, v211
	v_fma_f32 v2, v151, v201, -v2
	v_add_f32_e32 v167, v167, v168
	s_waitcnt vmcnt(30) lgkmcnt(0)
	v_mul_f32_e32 v168, v163, v214
	v_add_f32_e32 v1, v1, v2
	v_mul_f32_e32 v2, v154, v204
	v_fmac_f32_e32 v168, v164, v213
	v_fma_f32 v2, v153, v203, -v2
	v_add_f32_e32 v171, v167, v168
	ds_read_b128 v[167:170], v118 offset:816
	v_add_f32_e32 v1, v1, v2
	v_mul_f32_e32 v2, v156, v206
	v_fma_f32 v2, v155, v205, -v2
	s_waitcnt vmcnt(28)
	v_mul_f32_e32 v172, v165, v216
	v_add_f32_e32 v1, v1, v2
	v_mul_f32_e32 v2, v158, v208
	v_fmac_f32_e32 v172, v166, v215
	v_fma_f32 v2, v157, v207, -v2
	v_add_f32_e32 v175, v171, v172
	ds_read_b128 v[171:174], v118 offset:832
	v_add_f32_e32 v1, v1, v2
	v_mul_f32_e32 v2, v160, v210
	s_waitcnt vmcnt(26) lgkmcnt(1)
	v_mul_f32_e32 v176, v167, v218
	v_fma_f32 v2, v159, v209, -v2
	v_fmac_f32_e32 v176, v168, v217
	v_add_f32_e32 v1, v1, v2
	v_mul_f32_e32 v2, v162, v212
	v_add_f32_e32 v175, v175, v176
	s_waitcnt vmcnt(25)
	v_mul_f32_e32 v176, v169, v219
	v_fma_f32 v2, v161, v211, -v2
	s_waitcnt vmcnt(22)
	v_fmac_f32_e32 v176, v170, v222
	v_add_f32_e32 v1, v1, v2
	v_mul_f32_e32 v2, v164, v214
	v_add_f32_e32 v175, v175, v176
	s_waitcnt lgkmcnt(0)
	v_mul_f32_e32 v176, v171, v221
	v_fma_f32 v2, v163, v213, -v2
	v_fmac_f32_e32 v176, v172, v220
	v_add_f32_e32 v1, v1, v2
	v_mul_f32_e32 v2, v166, v216
	v_add_f32_e32 v179, v175, v176
	ds_read_b128 v[175:178], v118 offset:848
	v_fma_f32 v2, v165, v215, -v2
	v_add_f32_e32 v1, v1, v2
	v_mul_f32_e32 v2, v168, v218
	s_waitcnt vmcnt(20)
	v_mul_f32_e32 v180, v173, v224
	v_fma_f32 v2, v167, v217, -v2
	v_fmac_f32_e32 v180, v174, v223
	v_add_f32_e32 v1, v1, v2
	v_mul_f32_e32 v2, v170, v219
	v_add_f32_e32 v183, v179, v180
	ds_read_b128 v[179:182], v118 offset:864
	v_fma_f32 v2, v169, v222, -v2
	s_waitcnt vmcnt(18) lgkmcnt(1)
	v_mul_f32_e32 v184, v175, v226
	v_add_f32_e32 v1, v1, v2
	v_mul_f32_e32 v2, v172, v221
	v_fmac_f32_e32 v184, v176, v225
	v_fma_f32 v2, v171, v220, -v2
	v_add_f32_e32 v183, v183, v184
	s_waitcnt vmcnt(17)
	v_mul_f32_e32 v184, v177, v227
	v_add_f32_e32 v1, v1, v2
	v_mul_f32_e32 v2, v174, v224
	s_waitcnt vmcnt(14)
	v_fmac_f32_e32 v184, v178, v230
	v_fma_f32 v2, v173, v223, -v2
	v_add_f32_e32 v183, v183, v184
	s_waitcnt lgkmcnt(0)
	v_mul_f32_e32 v184, v179, v229
	v_add_f32_e32 v1, v1, v2
	v_mul_f32_e32 v2, v176, v226
	v_fmac_f32_e32 v184, v180, v228
	v_fma_f32 v2, v175, v225, -v2
	v_add_f32_e32 v187, v183, v184
	ds_read_b128 v[183:186], v118 offset:880
	v_add_f32_e32 v1, v1, v2
	v_mul_f32_e32 v2, v178, v227
	v_fma_f32 v2, v177, v230, -v2
	v_add_f32_e32 v1, v1, v2
	v_mul_f32_e32 v2, v180, v229
	s_waitcnt vmcnt(12)
	v_mul_f32_e32 v188, v181, v232
	v_fma_f32 v2, v179, v228, -v2
	v_fmac_f32_e32 v188, v182, v231
	v_add_f32_e32 v1, v1, v2
	v_mul_f32_e32 v2, v182, v232
	v_add_f32_e32 v191, v187, v188
	ds_read_b128 v[187:190], v118 offset:896
	s_waitcnt vmcnt(10) lgkmcnt(1)
	v_mul_f32_e32 v192, v183, v234
	v_fma_f32 v2, v181, v231, -v2
	v_fmac_f32_e32 v192, v184, v233
	v_add_f32_e32 v1, v1, v2
	v_mul_f32_e32 v2, v184, v234
	v_add_f32_e32 v191, v191, v192
	s_waitcnt vmcnt(9)
	v_mul_f32_e32 v192, v185, v235
	v_fma_f32 v2, v183, v233, -v2
	s_waitcnt vmcnt(6)
	v_fmac_f32_e32 v192, v186, v238
	v_add_f32_e32 v1, v1, v2
	v_mul_f32_e32 v2, v186, v235
	v_add_f32_e32 v245, v191, v192
	ds_read_b128 v[191:194], v118 offset:912
	v_fma_f32 v2, v185, v238, -v2
	v_add_f32_e32 v1, v1, v2
	s_waitcnt lgkmcnt(1)
	v_mul_f32_e32 v2, v188, v237
	v_mul_f32_e32 v246, v187, v237
	v_fma_f32 v2, v187, v236, -v2
	v_fmac_f32_e32 v246, v188, v236
	v_add_f32_e32 v1, v1, v2
	s_waitcnt vmcnt(4)
	v_mul_f32_e32 v2, v190, v240
	v_add_f32_e32 v118, v245, v246
	v_mul_f32_e32 v245, v189, v240
	v_fma_f32 v2, v189, v239, -v2
	v_fmac_f32_e32 v245, v190, v239
	v_add_f32_e32 v1, v1, v2
	s_waitcnt vmcnt(3) lgkmcnt(0)
	v_mul_f32_e32 v2, v192, v241
	v_add_f32_e32 v118, v118, v245
	v_mul_f32_e32 v245, v191, v241
	s_waitcnt vmcnt(0)
	v_fma_f32 v2, v191, v244, -v2
	v_fmac_f32_e32 v245, v192, v244
	v_add_f32_e32 v1, v1, v2
	v_mul_f32_e32 v2, v194, v243
	v_add_f32_e32 v118, v118, v245
	v_mul_f32_e32 v245, v193, v243
	v_fma_f32 v2, v193, v242, -v2
	v_fmac_f32_e32 v245, v194, v242
	v_add_f32_e32 v1, v1, v2
	v_add_f32_e32 v118, v118, v245
	v_sub_f32_e32 v1, v197, v1
	v_sub_f32_e32 v2, v198, v118
	buffer_store_dword v1, off, s[0:3], 0 offset:152
	buffer_store_dword v2, off, s[0:3], 0 offset:156
	s_and_saveexec_b64 s[4:5], vcc
	s_cbranch_execz .LBB57_325
; %bb.324:
	buffer_load_dword v1, off, s[0:3], 0 offset:144
	buffer_load_dword v2, off, s[0:3], 0 offset:148
	v_mov_b32_e32 v3, 0
	buffer_store_dword v3, off, s[0:3], 0 offset:144
	buffer_store_dword v3, off, s[0:3], 0 offset:148
	s_waitcnt vmcnt(2)
	ds_write_b64 v117, v[1:2]
.LBB57_325:
	s_or_b64 exec, exec, s[4:5]
	s_waitcnt lgkmcnt(0)
	; wave barrier
	buffer_load_dword v3, off, s[0:3], 0 offset:156
	buffer_load_dword v4, off, s[0:3], 0 offset:164
	buffer_load_dword v5, off, s[0:3], 0 offset:172
	buffer_load_dword v6, off, s[0:3], 0 offset:180
	buffer_load_dword v7, off, s[0:3], 0 offset:188
	buffer_load_dword v8, off, s[0:3], 0 offset:196
	buffer_load_dword v9, off, s[0:3], 0 offset:204
	buffer_load_dword v10, off, s[0:3], 0 offset:212
	buffer_load_dword v11, off, s[0:3], 0 offset:220
	buffer_load_dword v12, off, s[0:3], 0 offset:228
	buffer_load_dword v13, off, s[0:3], 0 offset:236
	buffer_load_dword v14, off, s[0:3], 0 offset:168
	buffer_load_dword v15, off, s[0:3], 0 offset:160
	buffer_load_dword v16, off, s[0:3], 0 offset:152
	buffer_load_dword v17, off, s[0:3], 0 offset:200
	buffer_load_dword v18, off, s[0:3], 0 offset:192
	buffer_load_dword v19, off, s[0:3], 0 offset:184
	buffer_load_dword v20, off, s[0:3], 0 offset:176
	buffer_load_dword v21, off, s[0:3], 0 offset:232
	buffer_load_dword v22, off, s[0:3], 0 offset:224
	buffer_load_dword v23, off, s[0:3], 0 offset:216
	buffer_load_dword v24, off, s[0:3], 0 offset:208
	buffer_load_dword v25, off, s[0:3], 0 offset:244
	buffer_load_dword v26, off, s[0:3], 0 offset:248
	buffer_load_dword v27, off, s[0:3], 0 offset:252
	buffer_load_dword v28, off, s[0:3], 0 offset:256
	buffer_load_dword v195, off, s[0:3], 0 offset:260
	buffer_load_dword v196, off, s[0:3], 0 offset:264
	buffer_load_dword v197, off, s[0:3], 0 offset:268
	buffer_load_dword v198, off, s[0:3], 0 offset:240
	buffer_load_dword v199, off, s[0:3], 0 offset:144
	buffer_load_dword v200, off, s[0:3], 0 offset:148
	buffer_load_dword v201, off, s[0:3], 0 offset:272
	buffer_load_dword v202, off, s[0:3], 0 offset:276
	buffer_load_dword v203, off, s[0:3], 0 offset:280
	buffer_load_dword v204, off, s[0:3], 0 offset:284
	buffer_load_dword v205, off, s[0:3], 0 offset:288
	buffer_load_dword v206, off, s[0:3], 0 offset:292
	buffer_load_dword v207, off, s[0:3], 0 offset:296
	buffer_load_dword v208, off, s[0:3], 0 offset:300
	buffer_load_dword v209, off, s[0:3], 0 offset:304
	buffer_load_dword v210, off, s[0:3], 0 offset:308
	buffer_load_dword v211, off, s[0:3], 0 offset:312
	buffer_load_dword v212, off, s[0:3], 0 offset:316
	buffer_load_dword v213, off, s[0:3], 0 offset:320
	buffer_load_dword v214, off, s[0:3], 0 offset:324
	buffer_load_dword v215, off, s[0:3], 0 offset:328
	buffer_load_dword v216, off, s[0:3], 0 offset:332
	buffer_load_dword v217, off, s[0:3], 0 offset:336
	buffer_load_dword v218, off, s[0:3], 0 offset:340
	v_mov_b32_e32 v118, 0
	ds_read2_b64 v[119:122], v118 offset0:77 offset1:78
	ds_read2_b64 v[123:126], v118 offset0:79 offset1:80
	;; [unrolled: 1-line block ×6, first 2 shown]
	buffer_load_dword v219, off, s[0:3], 0 offset:344
	buffer_load_dword v220, off, s[0:3], 0 offset:348
	;; [unrolled: 1-line block ×8, first 2 shown]
	v_cmp_lt_u32_e32 vcc, 17, v0
	s_waitcnt vmcnt(57) lgkmcnt(5)
	v_mul_f32_e32 v1, v119, v3
	s_waitcnt vmcnt(56)
	v_mul_f32_e32 v2, v121, v4
	s_waitcnt vmcnt(55) lgkmcnt(4)
	v_mul_f32_e32 v143, v123, v5
	s_waitcnt vmcnt(54)
	v_mul_f32_e32 v144, v125, v6
	;; [unrolled: 4-line block ×5, first 2 shown]
	v_mul_f32_e32 v3, v120, v3
	s_waitcnt vmcnt(46)
	v_fmac_f32_e32 v143, v124, v14
	s_waitcnt vmcnt(45)
	v_fmac_f32_e32 v2, v122, v15
	s_waitcnt vmcnt(44)
	v_fmac_f32_e32 v1, v120, v16
	v_add_f32_e32 v1, 0, v1
	v_add_f32_e32 v1, v1, v2
	;; [unrolled: 1-line block ×3, first 2 shown]
	s_waitcnt vmcnt(40)
	v_fmac_f32_e32 v144, v126, v20
	v_fmac_f32_e32 v145, v128, v19
	v_add_f32_e32 v1, v1, v144
	v_fmac_f32_e32 v146, v130, v18
	v_add_f32_e32 v1, v1, v145
	;; [unrolled: 2-line block ×3, first 2 shown]
	s_waitcnt vmcnt(36)
	v_fmac_f32_e32 v148, v134, v24
	v_add_f32_e32 v1, v1, v147
	ds_read2_b64 v[143:146], v118 offset0:89 offset1:90
	buffer_load_dword v227, off, s[0:3], 0 offset:376
	buffer_load_dword v228, off, s[0:3], 0 offset:380
	;; [unrolled: 1-line block ×6, first 2 shown]
	v_fmac_f32_e32 v149, v136, v23
	v_add_f32_e32 v1, v1, v148
	v_fmac_f32_e32 v150, v138, v22
	v_add_f32_e32 v1, v1, v149
	v_add_f32_e32 v1, v1, v150
	ds_read2_b64 v[147:150], v118 offset0:91 offset1:92
	buffer_load_dword v233, off, s[0:3], 0 offset:400
	buffer_load_dword v234, off, s[0:3], 0 offset:404
	buffer_load_dword v235, off, s[0:3], 0 offset:408
	buffer_load_dword v236, off, s[0:3], 0 offset:412
	buffer_load_dword v237, off, s[0:3], 0 offset:420
	buffer_load_dword v238, off, s[0:3], 0 offset:424
	buffer_load_dword v239, off, s[0:3], 0 offset:428
	buffer_load_dword v240, off, s[0:3], 0 offset:416
	buffer_load_dword v241, off, s[0:3], 0 offset:432
	buffer_load_dword v242, off, s[0:3], 0 offset:436
	buffer_load_dword v243, off, s[0:3], 0 offset:440
	buffer_load_dword v244, off, s[0:3], 0 offset:444
	buffer_load_dword v245, off, s[0:3], 0 offset:452
	buffer_load_dword v246, off, s[0:3], 0 offset:456
	buffer_load_dword v247, off, s[0:3], 0 offset:460
	buffer_load_dword v248, off, s[0:3], 0 offset:448
	v_fma_f32 v3, v119, v16, -v3
	v_mul_f32_e32 v4, v122, v4
	v_add_f32_e32 v3, 0, v3
	v_fma_f32 v4, v121, v15, -v4
	v_add_f32_e32 v3, v3, v4
	v_mul_f32_e32 v4, v124, v5
	v_fma_f32 v4, v123, v14, -v4
	v_add_f32_e32 v3, v3, v4
	v_mul_f32_e32 v4, v126, v6
	;; [unrolled: 3-line block ×7, first 2 shown]
	v_fma_f32 v4, v135, v23, -v4
	s_waitcnt lgkmcnt(2)
	v_mul_f32_e32 v151, v139, v13
	v_add_f32_e32 v3, v3, v4
	v_mul_f32_e32 v4, v138, v12
	v_fmac_f32_e32 v151, v140, v21
	s_waitcnt vmcnt(57)
	v_mul_f32_e32 v2, v141, v25
	v_fma_f32 v4, v137, v22, -v4
	v_add_f32_e32 v1, v1, v151
	s_waitcnt vmcnt(50)
	v_fmac_f32_e32 v2, v142, v198
	v_add_f32_e32 v3, v3, v4
	v_mul_f32_e32 v4, v140, v13
	v_add_f32_e32 v1, v1, v2
	s_waitcnt lgkmcnt(1)
	v_mul_f32_e32 v2, v143, v27
	v_fma_f32 v4, v139, v21, -v4
	v_fmac_f32_e32 v2, v144, v26
	v_add_f32_e32 v3, v3, v4
	v_mul_f32_e32 v4, v142, v25
	v_add_f32_e32 v1, v1, v2
	v_mul_f32_e32 v2, v145, v195
	v_fma_f32 v4, v141, v198, -v4
	v_fmac_f32_e32 v2, v146, v28
	ds_read2_b64 v[151:154], v118 offset0:93 offset1:94
	ds_read2_b64 v[155:158], v118 offset0:95 offset1:96
	v_add_f32_e32 v3, v3, v4
	v_mul_f32_e32 v4, v144, v27
	v_add_f32_e32 v1, v1, v2
	s_waitcnt lgkmcnt(2)
	v_mul_f32_e32 v2, v147, v197
	v_fma_f32 v4, v143, v26, -v4
	v_fmac_f32_e32 v2, v148, v196
	v_add_f32_e32 v3, v3, v4
	v_mul_f32_e32 v4, v146, v195
	v_add_f32_e32 v1, v1, v2
	s_waitcnt vmcnt(46)
	v_mul_f32_e32 v2, v149, v202
	v_fma_f32 v4, v145, v28, -v4
	v_fmac_f32_e32 v2, v150, v201
	v_add_f32_e32 v3, v3, v4
	v_mul_f32_e32 v4, v148, v197
	v_add_f32_e32 v1, v1, v2
	s_waitcnt vmcnt(44) lgkmcnt(1)
	v_mul_f32_e32 v2, v151, v204
	v_fma_f32 v4, v147, v196, -v4
	v_fmac_f32_e32 v2, v152, v203
	v_add_f32_e32 v3, v3, v4
	v_mul_f32_e32 v4, v150, v202
	v_add_f32_e32 v1, v1, v2
	s_waitcnt vmcnt(42)
	v_mul_f32_e32 v2, v153, v206
	v_fma_f32 v4, v149, v201, -v4
	v_fmac_f32_e32 v2, v154, v205
	ds_read2_b64 v[159:162], v118 offset0:97 offset1:98
	ds_read2_b64 v[163:166], v118 offset0:99 offset1:100
	v_add_f32_e32 v3, v3, v4
	v_mul_f32_e32 v4, v152, v204
	v_add_f32_e32 v1, v1, v2
	s_waitcnt vmcnt(40) lgkmcnt(2)
	v_mul_f32_e32 v2, v155, v208
	v_fma_f32 v4, v151, v203, -v4
	v_fmac_f32_e32 v2, v156, v207
	v_add_f32_e32 v3, v3, v4
	v_mul_f32_e32 v4, v154, v206
	v_add_f32_e32 v1, v1, v2
	s_waitcnt vmcnt(38)
	v_mul_f32_e32 v2, v157, v210
	v_fma_f32 v4, v153, v205, -v4
	v_fmac_f32_e32 v2, v158, v209
	v_add_f32_e32 v3, v3, v4
	v_mul_f32_e32 v4, v156, v208
	v_add_f32_e32 v1, v1, v2
	s_waitcnt vmcnt(36) lgkmcnt(1)
	v_mul_f32_e32 v2, v159, v212
	v_fma_f32 v4, v155, v207, -v4
	v_fmac_f32_e32 v2, v160, v211
	v_add_f32_e32 v3, v3, v4
	v_mul_f32_e32 v4, v158, v210
	v_add_f32_e32 v1, v1, v2
	s_waitcnt vmcnt(34)
	v_mul_f32_e32 v2, v161, v214
	v_fma_f32 v4, v157, v209, -v4
	v_fmac_f32_e32 v2, v162, v213
	ds_read2_b64 v[167:170], v118 offset0:101 offset1:102
	ds_read2_b64 v[171:174], v118 offset0:103 offset1:104
	v_add_f32_e32 v3, v3, v4
	v_mul_f32_e32 v4, v160, v212
	v_add_f32_e32 v1, v1, v2
	s_waitcnt vmcnt(32) lgkmcnt(2)
	v_mul_f32_e32 v2, v163, v216
	v_fma_f32 v4, v159, v211, -v4
	v_fmac_f32_e32 v2, v164, v215
	v_add_f32_e32 v3, v3, v4
	v_mul_f32_e32 v4, v162, v214
	v_add_f32_e32 v1, v1, v2
	s_waitcnt vmcnt(30)
	v_mul_f32_e32 v2, v165, v218
	v_fma_f32 v4, v161, v213, -v4
	v_fmac_f32_e32 v2, v166, v217
	v_add_f32_e32 v3, v3, v4
	v_mul_f32_e32 v4, v164, v216
	v_add_f32_e32 v1, v1, v2
	s_waitcnt vmcnt(28) lgkmcnt(1)
	v_mul_f32_e32 v2, v167, v220
	v_fma_f32 v4, v163, v215, -v4
	v_fmac_f32_e32 v2, v168, v219
	v_add_f32_e32 v3, v3, v4
	v_mul_f32_e32 v4, v166, v218
	v_add_f32_e32 v1, v1, v2
	s_waitcnt vmcnt(27)
	v_mul_f32_e32 v2, v169, v221
	v_fma_f32 v4, v165, v217, -v4
	s_waitcnt vmcnt(24)
	v_fmac_f32_e32 v2, v170, v224
	ds_read2_b64 v[175:178], v118 offset0:105 offset1:106
	ds_read2_b64 v[179:182], v118 offset0:107 offset1:108
	v_add_f32_e32 v3, v3, v4
	v_mul_f32_e32 v4, v168, v220
	v_add_f32_e32 v1, v1, v2
	s_waitcnt lgkmcnt(2)
	v_mul_f32_e32 v2, v171, v223
	v_fma_f32 v4, v167, v219, -v4
	v_fmac_f32_e32 v2, v172, v222
	v_add_f32_e32 v3, v3, v4
	v_mul_f32_e32 v4, v170, v221
	v_add_f32_e32 v1, v1, v2
	s_waitcnt vmcnt(22)
	v_mul_f32_e32 v2, v173, v226
	v_fma_f32 v4, v169, v224, -v4
	v_fmac_f32_e32 v2, v174, v225
	v_add_f32_e32 v3, v3, v4
	v_mul_f32_e32 v4, v172, v223
	v_add_f32_e32 v1, v1, v2
	s_waitcnt vmcnt(20) lgkmcnt(1)
	v_mul_f32_e32 v2, v175, v228
	v_fma_f32 v4, v171, v222, -v4
	v_fmac_f32_e32 v2, v176, v227
	v_add_f32_e32 v3, v3, v4
	v_mul_f32_e32 v4, v174, v226
	v_add_f32_e32 v1, v1, v2
	s_waitcnt vmcnt(19)
	v_mul_f32_e32 v2, v177, v229
	v_fma_f32 v4, v173, v225, -v4
	s_waitcnt vmcnt(16)
	v_fmac_f32_e32 v2, v178, v232
	ds_read2_b64 v[183:186], v118 offset0:109 offset1:110
	ds_read2_b64 v[187:190], v118 offset0:111 offset1:112
	v_add_f32_e32 v3, v3, v4
	v_mul_f32_e32 v4, v176, v228
	v_add_f32_e32 v1, v1, v2
	s_waitcnt lgkmcnt(2)
	v_mul_f32_e32 v2, v179, v231
	v_fma_f32 v4, v175, v227, -v4
	v_fmac_f32_e32 v2, v180, v230
	v_add_f32_e32 v3, v3, v4
	v_mul_f32_e32 v4, v178, v229
	v_add_f32_e32 v1, v1, v2
	s_waitcnt vmcnt(14)
	v_mul_f32_e32 v2, v181, v234
	v_fma_f32 v4, v177, v232, -v4
	v_fmac_f32_e32 v2, v182, v233
	v_add_f32_e32 v3, v3, v4
	v_mul_f32_e32 v4, v180, v231
	v_add_f32_e32 v1, v1, v2
	s_waitcnt vmcnt(12) lgkmcnt(1)
	v_mul_f32_e32 v2, v183, v236
	v_fma_f32 v4, v179, v230, -v4
	v_fmac_f32_e32 v2, v184, v235
	v_add_f32_e32 v3, v3, v4
	v_mul_f32_e32 v4, v182, v234
	v_add_f32_e32 v1, v1, v2
	s_waitcnt vmcnt(11)
	v_mul_f32_e32 v2, v185, v237
	v_fma_f32 v4, v181, v233, -v4
	s_waitcnt vmcnt(8)
	v_fmac_f32_e32 v2, v186, v240
	v_add_f32_e32 v3, v3, v4
	v_mul_f32_e32 v4, v184, v236
	v_add_f32_e32 v1, v1, v2
	s_waitcnt lgkmcnt(0)
	v_mul_f32_e32 v2, v187, v239
	ds_read2_b64 v[191:194], v118 offset0:113 offset1:114
	v_fma_f32 v4, v183, v235, -v4
	v_fmac_f32_e32 v2, v188, v238
	v_add_f32_e32 v3, v3, v4
	v_mul_f32_e32 v4, v186, v237
	v_add_f32_e32 v1, v1, v2
	s_waitcnt vmcnt(6)
	v_mul_f32_e32 v2, v189, v242
	v_fma_f32 v4, v185, v240, -v4
	v_fmac_f32_e32 v2, v190, v241
	v_add_f32_e32 v3, v3, v4
	v_mul_f32_e32 v4, v188, v239
	v_add_f32_e32 v249, v1, v2
	ds_read_b64 v[1:2], v118 offset:920
	v_fma_f32 v4, v187, v238, -v4
	s_waitcnt vmcnt(4) lgkmcnt(1)
	v_mul_f32_e32 v250, v191, v244
	v_add_f32_e32 v3, v3, v4
	v_mul_f32_e32 v4, v190, v242
	v_fmac_f32_e32 v250, v192, v243
	v_fma_f32 v4, v189, v241, -v4
	v_add_f32_e32 v249, v249, v250
	s_waitcnt vmcnt(3)
	v_mul_f32_e32 v250, v193, v245
	v_add_f32_e32 v3, v3, v4
	v_mul_f32_e32 v4, v192, v244
	s_waitcnt vmcnt(0)
	v_fmac_f32_e32 v250, v194, v248
	v_fma_f32 v4, v191, v243, -v4
	v_add_f32_e32 v249, v249, v250
	s_waitcnt lgkmcnt(0)
	v_mul_f32_e32 v250, v1, v247
	v_add_f32_e32 v3, v3, v4
	v_mul_f32_e32 v4, v194, v245
	v_fmac_f32_e32 v250, v2, v246
	v_fma_f32 v4, v193, v248, -v4
	v_mul_f32_e32 v2, v2, v247
	v_add_f32_e32 v3, v3, v4
	v_fma_f32 v1, v1, v246, -v2
	v_add_f32_e32 v1, v3, v1
	v_add_f32_e32 v249, v249, v250
	v_sub_f32_e32 v1, v199, v1
	v_sub_f32_e32 v2, v200, v249
	buffer_store_dword v1, off, s[0:3], 0 offset:144
	buffer_store_dword v2, off, s[0:3], 0 offset:148
	s_and_saveexec_b64 s[4:5], vcc
	s_cbranch_execz .LBB57_327
; %bb.326:
	buffer_load_dword v1, off, s[0:3], 0 offset:136
	buffer_load_dword v2, off, s[0:3], 0 offset:140
	s_waitcnt vmcnt(0)
	ds_write_b64 v117, v[1:2]
	buffer_store_dword v118, off, s[0:3], 0 offset:136
	buffer_store_dword v118, off, s[0:3], 0 offset:140
.LBB57_327:
	s_or_b64 exec, exec, s[4:5]
	s_waitcnt lgkmcnt(0)
	; wave barrier
	buffer_load_dword v1, off, s[0:3], 0 offset:148
	buffer_load_dword v2, off, s[0:3], 0 offset:156
	;; [unrolled: 1-line block ×32, first 2 shown]
	ds_read_b128 v[119:122], v118 offset:608
	ds_read_b128 v[123:126], v118 offset:624
	;; [unrolled: 1-line block ×6, first 2 shown]
	buffer_load_dword v203, off, s[0:3], 0 offset:264
	buffer_load_dword v204, off, s[0:3], 0 offset:268
	;; [unrolled: 1-line block ×26, first 2 shown]
	v_cmp_lt_u32_e32 vcc, 16, v0
	s_waitcnt vmcnt(57) lgkmcnt(5)
	v_mul_f32_e32 v143, v119, v1
	s_waitcnt vmcnt(56)
	v_mul_f32_e32 v144, v121, v2
	s_waitcnt vmcnt(55) lgkmcnt(4)
	v_mul_f32_e32 v145, v123, v3
	s_waitcnt vmcnt(54)
	v_mul_f32_e32 v146, v125, v4
	;; [unrolled: 4-line block ×5, first 2 shown]
	s_waitcnt vmcnt(47) lgkmcnt(0)
	v_mul_f32_e32 v153, v139, v11
	s_waitcnt vmcnt(46)
	v_fmac_f32_e32 v145, v124, v12
	s_waitcnt vmcnt(45)
	v_fmac_f32_e32 v144, v122, v13
	;; [unrolled: 2-line block ×3, first 2 shown]
	v_add_f32_e32 v143, 0, v143
	v_add_f32_e32 v143, v143, v144
	;; [unrolled: 1-line block ×3, first 2 shown]
	s_waitcnt vmcnt(40)
	v_fmac_f32_e32 v146, v126, v18
	v_fmac_f32_e32 v147, v128, v17
	v_add_f32_e32 v143, v143, v146
	v_fmac_f32_e32 v148, v130, v16
	v_add_f32_e32 v143, v143, v147
	;; [unrolled: 2-line block ×3, first 2 shown]
	s_waitcnt vmcnt(36)
	v_fmac_f32_e32 v150, v134, v22
	v_add_f32_e32 v143, v143, v149
	v_fmac_f32_e32 v151, v136, v21
	v_add_f32_e32 v143, v143, v150
	;; [unrolled: 2-line block ×4, first 2 shown]
	v_add_f32_e32 v147, v143, v153
	ds_read_b128 v[143:146], v118 offset:704
	buffer_load_dword v229, off, s[0:3], 0 offset:368
	buffer_load_dword v230, off, s[0:3], 0 offset:372
	;; [unrolled: 1-line block ×6, first 2 shown]
	s_waitcnt vmcnt(41)
	v_mul_f32_e32 v148, v141, v23
	s_waitcnt vmcnt(35)
	v_fmac_f32_e32 v148, v142, v199
	v_add_f32_e32 v151, v147, v148
	ds_read_b128 v[147:150], v118 offset:720
	buffer_load_dword v235, off, s[0:3], 0 offset:392
	buffer_load_dword v236, off, s[0:3], 0 offset:396
	;; [unrolled: 1-line block ×10, first 2 shown]
	s_waitcnt vmcnt(44) lgkmcnt(1)
	v_mul_f32_e32 v152, v143, v200
	v_fmac_f32_e32 v152, v144, v28
	v_add_f32_e32 v151, v151, v152
	v_mul_f32_e32 v152, v145, v25
	v_fmac_f32_e32 v152, v146, v24
	v_add_f32_e32 v151, v151, v152
	s_waitcnt lgkmcnt(0)
	v_mul_f32_e32 v152, v147, v27
	buffer_load_dword v245, off, s[0:3], 0 offset:432
	buffer_load_dword v246, off, s[0:3], 0 offset:436
	;; [unrolled: 1-line block ×6, first 2 shown]
	v_fmac_f32_e32 v152, v148, v26
	s_waitcnt vmcnt(46)
	v_mul_f32_e32 v156, v149, v204
	v_add_f32_e32 v155, v151, v152
	v_fmac_f32_e32 v156, v150, v203
	ds_read_b128 v[151:154], v118 offset:736
	v_add_f32_e32 v159, v155, v156
	ds_read_b128 v[155:158], v118 offset:752
	buffer_load_dword v251, off, s[0:3], 0 offset:456
	buffer_load_dword v252, off, s[0:3], 0 offset:460
	v_mul_f32_e32 v1, v120, v1
	v_fma_f32 v1, v119, v14, -v1
	v_mul_f32_e32 v2, v122, v2
	v_add_f32_e32 v1, 0, v1
	v_fma_f32 v2, v121, v13, -v2
	v_add_f32_e32 v1, v1, v2
	v_mul_f32_e32 v2, v124, v3
	v_fma_f32 v2, v123, v12, -v2
	v_add_f32_e32 v1, v1, v2
	v_mul_f32_e32 v2, v126, v4
	;; [unrolled: 3-line block ×7, first 2 shown]
	s_waitcnt vmcnt(46) lgkmcnt(1)
	v_mul_f32_e32 v160, v151, v206
	v_fma_f32 v2, v135, v21, -v2
	v_fmac_f32_e32 v160, v152, v205
	v_add_f32_e32 v1, v1, v2
	v_mul_f32_e32 v2, v138, v10
	v_add_f32_e32 v159, v159, v160
	s_waitcnt vmcnt(44)
	v_mul_f32_e32 v160, v153, v208
	v_fma_f32 v2, v137, v20, -v2
	v_fmac_f32_e32 v160, v154, v207
	v_add_f32_e32 v1, v1, v2
	v_mul_f32_e32 v2, v140, v11
	v_add_f32_e32 v159, v159, v160
	s_waitcnt vmcnt(42) lgkmcnt(0)
	v_mul_f32_e32 v160, v155, v210
	v_fma_f32 v2, v139, v19, -v2
	v_fmac_f32_e32 v160, v156, v209
	v_add_f32_e32 v1, v1, v2
	v_mul_f32_e32 v2, v142, v23
	v_add_f32_e32 v163, v159, v160
	ds_read_b128 v[159:162], v118 offset:768
	v_fma_f32 v2, v141, v199, -v2
	v_add_f32_e32 v1, v1, v2
	v_mul_f32_e32 v2, v144, v200
	s_waitcnt vmcnt(40)
	v_mul_f32_e32 v164, v157, v212
	v_fma_f32 v2, v143, v28, -v2
	v_fmac_f32_e32 v164, v158, v211
	v_add_f32_e32 v1, v1, v2
	v_mul_f32_e32 v2, v146, v25
	v_add_f32_e32 v167, v163, v164
	ds_read_b128 v[163:166], v118 offset:784
	v_fma_f32 v2, v145, v24, -v2
	s_waitcnt vmcnt(38) lgkmcnt(1)
	v_mul_f32_e32 v168, v159, v214
	v_add_f32_e32 v1, v1, v2
	v_mul_f32_e32 v2, v148, v27
	v_fmac_f32_e32 v168, v160, v213
	v_fma_f32 v2, v147, v26, -v2
	v_add_f32_e32 v167, v167, v168
	s_waitcnt vmcnt(36)
	v_mul_f32_e32 v168, v161, v216
	v_add_f32_e32 v1, v1, v2
	v_mul_f32_e32 v2, v150, v204
	v_fmac_f32_e32 v168, v162, v215
	v_fma_f32 v2, v149, v203, -v2
	v_add_f32_e32 v167, v167, v168
	s_waitcnt vmcnt(34) lgkmcnt(0)
	v_mul_f32_e32 v168, v163, v218
	v_add_f32_e32 v1, v1, v2
	v_mul_f32_e32 v2, v152, v206
	v_fmac_f32_e32 v168, v164, v217
	v_fma_f32 v2, v151, v205, -v2
	v_add_f32_e32 v171, v167, v168
	ds_read_b128 v[167:170], v118 offset:800
	v_add_f32_e32 v1, v1, v2
	v_mul_f32_e32 v2, v154, v208
	v_fma_f32 v2, v153, v207, -v2
	s_waitcnt vmcnt(32)
	v_mul_f32_e32 v172, v165, v220
	v_add_f32_e32 v1, v1, v2
	v_mul_f32_e32 v2, v156, v210
	v_fmac_f32_e32 v172, v166, v219
	v_fma_f32 v2, v155, v209, -v2
	v_add_f32_e32 v175, v171, v172
	ds_read_b128 v[171:174], v118 offset:816
	v_add_f32_e32 v1, v1, v2
	v_mul_f32_e32 v2, v158, v212
	s_waitcnt vmcnt(30) lgkmcnt(1)
	v_mul_f32_e32 v176, v167, v222
	v_fma_f32 v2, v157, v211, -v2
	v_fmac_f32_e32 v176, v168, v221
	v_add_f32_e32 v1, v1, v2
	v_mul_f32_e32 v2, v160, v214
	v_add_f32_e32 v175, v175, v176
	s_waitcnt vmcnt(29)
	v_mul_f32_e32 v176, v169, v223
	v_fma_f32 v2, v159, v213, -v2
	s_waitcnt vmcnt(26)
	v_fmac_f32_e32 v176, v170, v226
	v_add_f32_e32 v1, v1, v2
	v_mul_f32_e32 v2, v162, v216
	v_add_f32_e32 v175, v175, v176
	s_waitcnt lgkmcnt(0)
	v_mul_f32_e32 v176, v171, v225
	v_fma_f32 v2, v161, v215, -v2
	v_fmac_f32_e32 v176, v172, v224
	v_add_f32_e32 v1, v1, v2
	v_mul_f32_e32 v2, v164, v218
	v_add_f32_e32 v179, v175, v176
	ds_read_b128 v[175:178], v118 offset:832
	v_fma_f32 v2, v163, v217, -v2
	v_add_f32_e32 v1, v1, v2
	v_mul_f32_e32 v2, v166, v220
	s_waitcnt vmcnt(24)
	v_mul_f32_e32 v180, v173, v228
	v_fma_f32 v2, v165, v219, -v2
	v_fmac_f32_e32 v180, v174, v227
	v_add_f32_e32 v1, v1, v2
	v_mul_f32_e32 v2, v168, v222
	v_add_f32_e32 v183, v179, v180
	ds_read_b128 v[179:182], v118 offset:848
	v_fma_f32 v2, v167, v221, -v2
	s_waitcnt vmcnt(22) lgkmcnt(1)
	v_mul_f32_e32 v184, v175, v230
	v_add_f32_e32 v1, v1, v2
	v_mul_f32_e32 v2, v170, v223
	v_fmac_f32_e32 v184, v176, v229
	v_fma_f32 v2, v169, v226, -v2
	v_add_f32_e32 v183, v183, v184
	s_waitcnt vmcnt(21)
	v_mul_f32_e32 v184, v177, v231
	v_add_f32_e32 v1, v1, v2
	v_mul_f32_e32 v2, v172, v225
	s_waitcnt vmcnt(18)
	v_fmac_f32_e32 v184, v178, v234
	v_fma_f32 v2, v171, v224, -v2
	v_add_f32_e32 v183, v183, v184
	s_waitcnt lgkmcnt(0)
	v_mul_f32_e32 v184, v179, v233
	v_add_f32_e32 v1, v1, v2
	v_mul_f32_e32 v2, v174, v228
	v_fmac_f32_e32 v184, v180, v232
	v_fma_f32 v2, v173, v227, -v2
	v_add_f32_e32 v187, v183, v184
	ds_read_b128 v[183:186], v118 offset:864
	v_add_f32_e32 v1, v1, v2
	v_mul_f32_e32 v2, v176, v230
	v_fma_f32 v2, v175, v229, -v2
	s_waitcnt vmcnt(16)
	v_mul_f32_e32 v188, v181, v236
	v_add_f32_e32 v1, v1, v2
	v_mul_f32_e32 v2, v178, v231
	v_fmac_f32_e32 v188, v182, v235
	v_fma_f32 v2, v177, v234, -v2
	v_add_f32_e32 v191, v187, v188
	ds_read_b128 v[187:190], v118 offset:880
	v_add_f32_e32 v1, v1, v2
	v_mul_f32_e32 v2, v180, v233
	s_waitcnt vmcnt(14) lgkmcnt(1)
	v_mul_f32_e32 v192, v183, v238
	v_fma_f32 v2, v179, v232, -v2
	v_fmac_f32_e32 v192, v184, v237
	v_add_f32_e32 v1, v1, v2
	v_mul_f32_e32 v2, v182, v236
	v_add_f32_e32 v191, v191, v192
	s_waitcnt vmcnt(13)
	v_mul_f32_e32 v192, v185, v239
	v_fma_f32 v2, v181, v235, -v2
	s_waitcnt vmcnt(10)
	v_fmac_f32_e32 v192, v186, v242
	v_add_f32_e32 v1, v1, v2
	v_mul_f32_e32 v2, v184, v238
	v_add_f32_e32 v191, v191, v192
	s_waitcnt lgkmcnt(0)
	v_mul_f32_e32 v192, v187, v241
	v_fma_f32 v2, v183, v237, -v2
	v_fmac_f32_e32 v192, v188, v240
	v_add_f32_e32 v1, v1, v2
	v_mul_f32_e32 v2, v186, v239
	v_add_f32_e32 v195, v191, v192
	ds_read_b128 v[191:194], v118 offset:896
	v_fma_f32 v2, v185, v242, -v2
	v_add_f32_e32 v1, v1, v2
	v_mul_f32_e32 v2, v188, v241
	s_waitcnt vmcnt(8)
	v_mul_f32_e32 v196, v189, v244
	v_fma_f32 v2, v187, v240, -v2
	v_fmac_f32_e32 v196, v190, v243
	v_add_f32_e32 v1, v1, v2
	v_mul_f32_e32 v2, v190, v244
	v_add_f32_e32 v253, v195, v196
	ds_read_b128 v[195:198], v118 offset:912
	v_fma_f32 v2, v189, v243, -v2
	v_add_f32_e32 v1, v1, v2
	s_waitcnt vmcnt(6) lgkmcnt(1)
	v_mul_f32_e32 v2, v192, v246
	v_mul_f32_e32 v118, v191, v246
	v_fma_f32 v2, v191, v245, -v2
	v_fmac_f32_e32 v118, v192, v245
	v_add_f32_e32 v1, v1, v2
	s_waitcnt vmcnt(5)
	v_mul_f32_e32 v2, v194, v247
	v_add_f32_e32 v118, v253, v118
	v_mul_f32_e32 v253, v193, v247
	s_waitcnt vmcnt(2)
	v_fma_f32 v2, v193, v250, -v2
	v_fmac_f32_e32 v253, v194, v250
	v_add_f32_e32 v1, v1, v2
	s_waitcnt lgkmcnt(0)
	v_mul_f32_e32 v2, v196, v249
	v_add_f32_e32 v118, v118, v253
	v_mul_f32_e32 v253, v195, v249
	v_fma_f32 v2, v195, v248, -v2
	v_fmac_f32_e32 v253, v196, v248
	v_add_f32_e32 v1, v1, v2
	s_waitcnt vmcnt(0)
	v_mul_f32_e32 v2, v198, v252
	v_add_f32_e32 v118, v118, v253
	v_mul_f32_e32 v253, v197, v252
	v_fma_f32 v2, v197, v251, -v2
	v_fmac_f32_e32 v253, v198, v251
	v_add_f32_e32 v1, v1, v2
	v_add_f32_e32 v118, v118, v253
	v_sub_f32_e32 v1, v201, v1
	v_sub_f32_e32 v2, v202, v118
	buffer_store_dword v1, off, s[0:3], 0 offset:136
	buffer_store_dword v2, off, s[0:3], 0 offset:140
	s_and_saveexec_b64 s[4:5], vcc
	s_cbranch_execz .LBB57_329
; %bb.328:
	buffer_load_dword v1, off, s[0:3], 0 offset:128
	buffer_load_dword v2, off, s[0:3], 0 offset:132
	v_mov_b32_e32 v3, 0
	buffer_store_dword v3, off, s[0:3], 0 offset:128
	buffer_store_dword v3, off, s[0:3], 0 offset:132
	s_waitcnt vmcnt(2)
	ds_write_b64 v117, v[1:2]
.LBB57_329:
	s_or_b64 exec, exec, s[4:5]
	s_waitcnt lgkmcnt(0)
	; wave barrier
	buffer_load_dword v127, off, s[0:3], 0 offset:140
	buffer_load_dword v126, off, s[0:3], 0 offset:148
	;; [unrolled: 1-line block ×32, first 2 shown]
	v_mov_b32_e32 v118, 0
	buffer_load_dword v26, off, s[0:3], 0 offset:256
	buffer_load_dword v27, off, s[0:3], 0 offset:260
	;; [unrolled: 1-line block ×18, first 2 shown]
	ds_read2_b64 v[128:131], v118 offset0:75 offset1:76
	ds_read2_b64 v[132:135], v118 offset0:77 offset1:78
	;; [unrolled: 1-line block ×6, first 2 shown]
	buffer_load_dword v223, off, s[0:3], 0 offset:328
	buffer_load_dword v224, off, s[0:3], 0 offset:332
	;; [unrolled: 1-line block ×6, first 2 shown]
	v_cmp_lt_u32_e32 vcc, 15, v0
	s_waitcnt vmcnt(55) lgkmcnt(5)
	v_mul_f32_e32 v1, v128, v127
	s_waitcnt vmcnt(54)
	v_mul_f32_e32 v2, v130, v126
	s_waitcnt vmcnt(53) lgkmcnt(4)
	v_mul_f32_e32 v152, v132, v125
	s_waitcnt vmcnt(52)
	v_mul_f32_e32 v153, v134, v124
	;; [unrolled: 4-line block ×5, first 2 shown]
	s_waitcnt vmcnt(45) lgkmcnt(0)
	v_mul_f32_e32 v160, v148, v6
	s_waitcnt vmcnt(44)
	v_fmac_f32_e32 v152, v133, v7
	s_waitcnt vmcnt(43)
	v_fmac_f32_e32 v2, v131, v8
	;; [unrolled: 2-line block ×3, first 2 shown]
	v_add_f32_e32 v1, 0, v1
	v_add_f32_e32 v1, v1, v2
	v_add_f32_e32 v1, v1, v152
	s_waitcnt vmcnt(38)
	v_fmac_f32_e32 v153, v135, v13
	v_fmac_f32_e32 v154, v137, v12
	v_add_f32_e32 v1, v1, v153
	v_fmac_f32_e32 v155, v139, v11
	v_add_f32_e32 v1, v1, v154
	v_add_f32_e32 v1, v1, v155
	ds_read2_b64 v[152:155], v118 offset0:87 offset1:88
	buffer_load_dword v229, off, s[0:3], 0 offset:352
	buffer_load_dword v230, off, s[0:3], 0 offset:356
	v_fmac_f32_e32 v156, v141, v10
	s_waitcnt vmcnt(36)
	v_fmac_f32_e32 v157, v143, v17
	v_add_f32_e32 v1, v1, v156
	v_fmac_f32_e32 v158, v145, v16
	v_add_f32_e32 v1, v1, v157
	;; [unrolled: 2-line block ×3, first 2 shown]
	v_add_f32_e32 v1, v1, v159
	ds_read2_b64 v[156:159], v118 offset0:89 offset1:90
	buffer_load_dword v231, off, s[0:3], 0 offset:360
	buffer_load_dword v232, off, s[0:3], 0 offset:364
	;; [unrolled: 1-line block ×16, first 2 shown]
	v_fmac_f32_e32 v160, v149, v14
	v_add_f32_e32 v1, v1, v160
	ds_read2_b64 v[160:163], v118 offset0:91 offset1:92
	buffer_load_dword v247, off, s[0:3], 0 offset:424
	buffer_load_dword v248, off, s[0:3], 0 offset:428
	;; [unrolled: 1-line block ×6, first 2 shown]
	ds_read2_b64 v[164:167], v118 offset0:93 offset1:94
	buffer_load_dword v253, off, s[0:3], 0 offset:452
	buffer_load_dword v254, off, s[0:3], 0 offset:456
	;; [unrolled: 1-line block ×4, first 2 shown]
	s_waitcnt vmcnt(61)
	v_mul_f32_e32 v2, v150, v18
	s_waitcnt vmcnt(55)
	v_fmac_f32_e32 v2, v151, v24
	v_add_f32_e32 v1, v1, v2
	s_waitcnt vmcnt(54) lgkmcnt(3)
	v_mul_f32_e32 v2, v152, v25
	v_fmac_f32_e32 v2, v153, v23
	v_add_f32_e32 v1, v1, v2
	v_mul_f32_e32 v2, v154, v20
	v_fmac_f32_e32 v2, v155, v19
	v_add_f32_e32 v1, v1, v2
	s_waitcnt lgkmcnt(2)
	v_mul_f32_e32 v2, v156, v22
	v_fmac_f32_e32 v2, v157, v21
	v_add_f32_e32 v1, v1, v2
	s_waitcnt vmcnt(50)
	v_mul_f32_e32 v2, v158, v27
	v_fmac_f32_e32 v2, v159, v26
	v_add_f32_e32 v1, v1, v2
	s_waitcnt vmcnt(48) lgkmcnt(1)
	v_mul_f32_e32 v2, v160, v208
	v_fmac_f32_e32 v2, v161, v28
	v_add_f32_e32 v1, v1, v2
	s_waitcnt vmcnt(46)
	v_mul_f32_e32 v2, v162, v210
	v_fmac_f32_e32 v2, v163, v209
	ds_read2_b64 v[168:171], v118 offset0:95 offset1:96
	ds_read2_b64 v[172:175], v118 offset0:97 offset1:98
	v_add_f32_e32 v1, v1, v2
	s_waitcnt vmcnt(44) lgkmcnt(2)
	v_mul_f32_e32 v2, v164, v212
	v_fmac_f32_e32 v2, v165, v211
	v_add_f32_e32 v1, v1, v2
	s_waitcnt vmcnt(42)
	v_mul_f32_e32 v2, v166, v214
	v_fmac_f32_e32 v2, v167, v213
	v_add_f32_e32 v1, v1, v2
	s_waitcnt vmcnt(40) lgkmcnt(1)
	v_mul_f32_e32 v2, v168, v216
	v_fmac_f32_e32 v2, v169, v215
	v_add_f32_e32 v1, v1, v2
	s_waitcnt vmcnt(38)
	v_mul_f32_e32 v2, v170, v218
	v_fmac_f32_e32 v2, v171, v217
	ds_read2_b64 v[176:179], v118 offset0:99 offset1:100
	ds_read2_b64 v[180:183], v118 offset0:101 offset1:102
	v_add_f32_e32 v1, v1, v2
	s_waitcnt vmcnt(36) lgkmcnt(2)
	v_mul_f32_e32 v2, v172, v220
	v_fmac_f32_e32 v2, v173, v219
	v_add_f32_e32 v1, v1, v2
	s_waitcnt vmcnt(34)
	v_mul_f32_e32 v2, v174, v222
	v_fmac_f32_e32 v2, v175, v221
	v_add_f32_e32 v1, v1, v2
	s_waitcnt vmcnt(32) lgkmcnt(1)
	v_mul_f32_e32 v2, v176, v224
	v_fmac_f32_e32 v2, v177, v223
	v_add_f32_e32 v1, v1, v2
	s_waitcnt vmcnt(31)
	v_mul_f32_e32 v2, v178, v225
	s_waitcnt vmcnt(28)
	v_fmac_f32_e32 v2, v179, v228
	ds_read2_b64 v[184:187], v118 offset0:103 offset1:104
	ds_read2_b64 v[188:191], v118 offset0:105 offset1:106
	v_add_f32_e32 v1, v1, v2
	s_waitcnt lgkmcnt(2)
	v_mul_f32_e32 v2, v180, v227
	v_fmac_f32_e32 v2, v181, v226
	v_add_f32_e32 v1, v1, v2
	ds_read2_b64 v[192:195], v118 offset0:107 offset1:108
	ds_read2_b64 v[196:199], v118 offset0:109 offset1:110
	ds_read2_b64 v[200:203], v118 offset0:111 offset1:112
	ds_read2_b64 v[204:207], v118 offset0:113 offset1:114
	v_mul_f32_e32 v3, v143, v3
	v_fma_f32 v3, v142, v17, -v3
	s_waitcnt vmcnt(26)
	v_mul_f32_e32 v2, v182, v230
	v_fmac_f32_e32 v2, v183, v229
	v_add_f32_e32 v1, v1, v2
	v_mul_f32_e32 v4, v145, v4
	v_fma_f32 v4, v144, v16, -v4
	s_waitcnt vmcnt(24) lgkmcnt(5)
	v_mul_f32_e32 v2, v184, v232
	v_fmac_f32_e32 v2, v185, v231
	v_add_f32_e32 v1, v1, v2
	s_waitcnt vmcnt(23)
	v_mul_f32_e32 v2, v186, v233
	s_waitcnt vmcnt(20)
	v_fmac_f32_e32 v2, v187, v236
	v_add_f32_e32 v1, v1, v2
	s_waitcnt lgkmcnt(4)
	v_mul_f32_e32 v2, v188, v235
	v_fmac_f32_e32 v2, v189, v234
	v_add_f32_e32 v1, v1, v2
	s_waitcnt vmcnt(18)
	v_mul_f32_e32 v2, v190, v238
	v_fmac_f32_e32 v2, v191, v237
	v_add_f32_e32 v1, v1, v2
	s_waitcnt vmcnt(16) lgkmcnt(3)
	v_mul_f32_e32 v2, v192, v240
	v_fmac_f32_e32 v2, v193, v239
	v_add_f32_e32 v1, v1, v2
	s_waitcnt vmcnt(15)
	v_mul_f32_e32 v2, v194, v241
	s_waitcnt vmcnt(12)
	v_fmac_f32_e32 v2, v195, v244
	v_add_f32_e32 v1, v1, v2
	s_waitcnt lgkmcnt(2)
	v_mul_f32_e32 v2, v196, v243
	v_fmac_f32_e32 v2, v197, v242
	v_add_f32_e32 v1, v1, v2
	s_waitcnt vmcnt(10)
	v_mul_f32_e32 v2, v198, v246
	v_fmac_f32_e32 v2, v199, v245
	v_add_f32_e32 v1, v1, v2
	s_waitcnt vmcnt(8) lgkmcnt(1)
	v_mul_f32_e32 v2, v200, v248
	v_fmac_f32_e32 v2, v201, v247
	v_add_f32_e32 v1, v1, v2
	s_waitcnt vmcnt(7)
	v_mul_f32_e32 v2, v202, v249
	s_waitcnt vmcnt(4)
	v_fmac_f32_e32 v2, v203, v252
	v_add_f32_e32 v30, v1, v2
	ds_read_b64 v[1:2], v118 offset:920
	s_waitcnt lgkmcnt(1)
	v_mul_f32_e32 v31, v204, v251
	v_fmac_f32_e32 v31, v205, v250
	v_add_f32_e32 v30, v30, v31
	s_waitcnt vmcnt(3)
	v_mul_f32_e32 v31, v206, v253
	s_waitcnt vmcnt(0)
	v_fmac_f32_e32 v31, v207, v29
	v_add_f32_e32 v30, v30, v31
	s_waitcnt lgkmcnt(0)
	v_mul_f32_e32 v31, v1, v255
	v_fmac_f32_e32 v31, v2, v254
	v_add_f32_e32 v30, v30, v31
	v_mul_f32_e32 v31, v129, v127
	v_fma_f32 v9, v128, v9, -v31
	v_mul_f32_e32 v31, v131, v126
	v_add_f32_e32 v9, 0, v9
	v_fma_f32 v8, v130, v8, -v31
	v_add_f32_e32 v8, v9, v8
	v_mul_f32_e32 v9, v133, v125
	v_fma_f32 v7, v132, v7, -v9
	v_add_f32_e32 v7, v8, v7
	v_mul_f32_e32 v8, v135, v124
	;; [unrolled: 3-line block ×5, first 2 shown]
	v_fma_f32 v8, v140, v10, -v8
	v_add_f32_e32 v7, v7, v8
	v_add_f32_e32 v3, v7, v3
	;; [unrolled: 1-line block ×3, first 2 shown]
	v_mul_f32_e32 v4, v147, v5
	v_fma_f32 v4, v146, v15, -v4
	v_add_f32_e32 v3, v3, v4
	v_mul_f32_e32 v4, v149, v6
	v_fma_f32 v4, v148, v14, -v4
	v_add_f32_e32 v3, v3, v4
	;; [unrolled: 3-line block ×30, first 2 shown]
	v_mul_f32_e32 v4, v207, v253
	v_fma_f32 v4, v206, v29, -v4
	v_mul_f32_e32 v2, v2, v255
	v_add_f32_e32 v3, v3, v4
	v_fma_f32 v1, v1, v254, -v2
	v_add_f32_e32 v1, v3, v1
	v_sub_f32_e32 v1, v121, v1
	v_sub_f32_e32 v2, v122, v30
	buffer_store_dword v1, off, s[0:3], 0 offset:128
	buffer_store_dword v2, off, s[0:3], 0 offset:132
	s_and_saveexec_b64 s[4:5], vcc
	s_cbranch_execz .LBB57_331
; %bb.330:
	buffer_load_dword v1, off, s[0:3], 0 offset:120
	buffer_load_dword v2, off, s[0:3], 0 offset:124
	s_waitcnt vmcnt(0)
	ds_write_b64 v117, v[1:2]
	buffer_store_dword v118, off, s[0:3], 0 offset:120
	buffer_store_dword v118, off, s[0:3], 0 offset:124
.LBB57_331:
	s_or_b64 exec, exec, s[4:5]
	s_waitcnt lgkmcnt(0)
	; wave barrier
	buffer_load_dword v1, off, s[0:3], 0 offset:132
	buffer_load_dword v2, off, s[0:3], 0 offset:140
	buffer_load_dword v3, off, s[0:3], 0 offset:148
	buffer_load_dword v4, off, s[0:3], 0 offset:156
	buffer_load_dword v5, off, s[0:3], 0 offset:164
	buffer_load_dword v6, off, s[0:3], 0 offset:172
	buffer_load_dword v7, off, s[0:3], 0 offset:180
	buffer_load_dword v8, off, s[0:3], 0 offset:188
	buffer_load_dword v9, off, s[0:3], 0 offset:196
	buffer_load_dword v10, off, s[0:3], 0 offset:204
	buffer_load_dword v11, off, s[0:3], 0 offset:212
	buffer_load_dword v12, off, s[0:3], 0 offset:220
	buffer_load_dword v13, off, s[0:3], 0 offset:144
	buffer_load_dword v14, off, s[0:3], 0 offset:136
	buffer_load_dword v15, off, s[0:3], 0 offset:128
	buffer_load_dword v16, off, s[0:3], 0 offset:176
	buffer_load_dword v17, off, s[0:3], 0 offset:168
	buffer_load_dword v18, off, s[0:3], 0 offset:160
	buffer_load_dword v19, off, s[0:3], 0 offset:152
	buffer_load_dword v20, off, s[0:3], 0 offset:208
	buffer_load_dword v21, off, s[0:3], 0 offset:200
	buffer_load_dword v22, off, s[0:3], 0 offset:192
	buffer_load_dword v23, off, s[0:3], 0 offset:184
	buffer_load_dword v24, off, s[0:3], 0 offset:232
	buffer_load_dword v25, off, s[0:3], 0 offset:236
	buffer_load_dword v26, off, s[0:3], 0 offset:240
	buffer_load_dword v27, off, s[0:3], 0 offset:244
	buffer_load_dword v28, off, s[0:3], 0 offset:224
	buffer_load_dword v29, off, s[0:3], 0 offset:216
	buffer_load_dword v30, off, s[0:3], 0 offset:228
	buffer_load_dword v31, off, s[0:3], 0 offset:120
	buffer_load_dword v32, off, s[0:3], 0 offset:124
	ds_read_b128 v[119:122], v118 offset:592
	ds_read_b128 v[123:126], v118 offset:608
	;; [unrolled: 1-line block ×6, first 2 shown]
	buffer_load_dword v203, off, s[0:3], 0 offset:248
	buffer_load_dword v204, off, s[0:3], 0 offset:252
	;; [unrolled: 1-line block ×18, first 2 shown]
	v_cmp_lt_u32_e32 vcc, 14, v0
	s_waitcnt vmcnt(49) lgkmcnt(5)
	v_mul_f32_e32 v143, v119, v1
	s_waitcnt vmcnt(48)
	v_mul_f32_e32 v144, v121, v2
	s_waitcnt vmcnt(47) lgkmcnt(4)
	v_mul_f32_e32 v145, v123, v3
	s_waitcnt vmcnt(46)
	v_mul_f32_e32 v146, v125, v4
	;; [unrolled: 4-line block ×6, first 2 shown]
	s_waitcnt vmcnt(37)
	v_fmac_f32_e32 v145, v124, v13
	s_waitcnt vmcnt(36)
	v_fmac_f32_e32 v144, v122, v14
	;; [unrolled: 2-line block ×3, first 2 shown]
	v_add_f32_e32 v143, 0, v143
	v_add_f32_e32 v143, v143, v144
	;; [unrolled: 1-line block ×3, first 2 shown]
	s_waitcnt vmcnt(31)
	v_fmac_f32_e32 v146, v126, v19
	v_fmac_f32_e32 v147, v128, v18
	v_add_f32_e32 v143, v143, v146
	v_fmac_f32_e32 v148, v130, v17
	v_add_f32_e32 v143, v143, v147
	;; [unrolled: 2-line block ×3, first 2 shown]
	s_waitcnt vmcnt(27)
	v_fmac_f32_e32 v150, v134, v23
	v_add_f32_e32 v143, v143, v149
	v_fmac_f32_e32 v151, v136, v22
	v_add_f32_e32 v143, v143, v150
	;; [unrolled: 2-line block ×3, first 2 shown]
	v_add_f32_e32 v147, v143, v152
	ds_read_b128 v[143:146], v118 offset:688
	buffer_load_dword v221, off, s[0:3], 0 offset:320
	buffer_load_dword v222, off, s[0:3], 0 offset:324
	;; [unrolled: 1-line block ×6, first 2 shown]
	v_fmac_f32_e32 v153, v140, v20
	s_waitcnt vmcnt(27)
	v_fmac_f32_e32 v154, v142, v29
	v_add_f32_e32 v147, v147, v153
	v_add_f32_e32 v151, v147, v154
	ds_read_b128 v[147:150], v118 offset:704
	buffer_load_dword v227, off, s[0:3], 0 offset:344
	buffer_load_dword v228, off, s[0:3], 0 offset:348
	;; [unrolled: 1-line block ×10, first 2 shown]
	s_waitcnt vmcnt(36) lgkmcnt(1)
	v_mul_f32_e32 v152, v143, v30
	buffer_load_dword v237, off, s[0:3], 0 offset:384
	buffer_load_dword v238, off, s[0:3], 0 offset:388
	;; [unrolled: 1-line block ×6, first 2 shown]
	v_fmac_f32_e32 v152, v144, v28
	v_add_f32_e32 v151, v151, v152
	v_mul_f32_e32 v152, v145, v25
	v_fmac_f32_e32 v152, v146, v24
	v_add_f32_e32 v151, v151, v152
	s_waitcnt lgkmcnt(0)
	v_mul_f32_e32 v152, v147, v27
	v_fmac_f32_e32 v152, v148, v26
	v_add_f32_e32 v155, v151, v152
	ds_read_b128 v[151:154], v118 offset:720
	buffer_load_dword v243, off, s[0:3], 0 offset:408
	buffer_load_dword v244, off, s[0:3], 0 offset:412
	s_waitcnt vmcnt(40)
	v_mul_f32_e32 v156, v149, v204
	v_fmac_f32_e32 v156, v150, v203
	v_add_f32_e32 v159, v155, v156
	ds_read_b128 v[155:158], v118 offset:736
	buffer_load_dword v245, off, s[0:3], 0 offset:416
	buffer_load_dword v246, off, s[0:3], 0 offset:420
	;; [unrolled: 1-line block ×12, first 2 shown]
	v_mul_f32_e32 v1, v120, v1
	v_fma_f32 v1, v119, v15, -v1
	v_mul_f32_e32 v2, v122, v2
	v_add_f32_e32 v1, 0, v1
	v_fma_f32 v2, v121, v14, -v2
	v_add_f32_e32 v1, v1, v2
	v_mul_f32_e32 v2, v124, v3
	v_fma_f32 v2, v123, v13, -v2
	v_add_f32_e32 v1, v1, v2
	v_mul_f32_e32 v2, v126, v4
	;; [unrolled: 3-line block ×6, first 2 shown]
	v_fma_f32 v2, v133, v23, -v2
	s_waitcnt vmcnt(50) lgkmcnt(1)
	v_mul_f32_e32 v160, v151, v206
	v_add_f32_e32 v1, v1, v2
	v_mul_f32_e32 v2, v136, v9
	v_fmac_f32_e32 v160, v152, v205
	v_fma_f32 v2, v135, v22, -v2
	v_add_f32_e32 v159, v159, v160
	s_waitcnt vmcnt(48)
	v_mul_f32_e32 v160, v153, v208
	v_add_f32_e32 v1, v1, v2
	v_mul_f32_e32 v2, v138, v10
	v_fmac_f32_e32 v160, v154, v207
	v_fma_f32 v2, v137, v21, -v2
	v_add_f32_e32 v34, v159, v160
	s_waitcnt vmcnt(46) lgkmcnt(0)
	v_mul_f32_e32 v159, v155, v210
	v_add_f32_e32 v1, v1, v2
	v_mul_f32_e32 v2, v140, v11
	v_fmac_f32_e32 v159, v156, v209
	v_fma_f32 v2, v139, v20, -v2
	v_add_f32_e32 v34, v34, v159
	ds_read_b128 v[159:162], v118 offset:752
	v_add_f32_e32 v1, v1, v2
	v_mul_f32_e32 v2, v142, v12
	v_fma_f32 v2, v141, v29, -v2
	s_waitcnt vmcnt(44)
	v_mul_f32_e32 v163, v157, v212
	v_add_f32_e32 v1, v1, v2
	v_mul_f32_e32 v2, v144, v30
	v_fmac_f32_e32 v163, v158, v211
	v_fma_f32 v2, v143, v28, -v2
	v_add_f32_e32 v34, v34, v163
	ds_read_b128 v[163:166], v118 offset:768
	v_add_f32_e32 v1, v1, v2
	v_mul_f32_e32 v2, v146, v25
	s_waitcnt vmcnt(42) lgkmcnt(1)
	v_mul_f32_e32 v167, v159, v214
	v_fma_f32 v2, v145, v24, -v2
	v_fmac_f32_e32 v167, v160, v213
	v_add_f32_e32 v1, v1, v2
	v_mul_f32_e32 v2, v148, v27
	v_add_f32_e32 v34, v34, v167
	s_waitcnt vmcnt(40)
	v_mul_f32_e32 v167, v161, v216
	v_fma_f32 v2, v147, v26, -v2
	v_fmac_f32_e32 v167, v162, v215
	v_add_f32_e32 v1, v1, v2
	v_mul_f32_e32 v2, v150, v204
	v_add_f32_e32 v34, v34, v167
	s_waitcnt vmcnt(38) lgkmcnt(0)
	v_mul_f32_e32 v167, v163, v218
	v_fma_f32 v2, v149, v203, -v2
	v_fmac_f32_e32 v167, v164, v217
	v_add_f32_e32 v1, v1, v2
	v_mul_f32_e32 v2, v152, v206
	v_add_f32_e32 v34, v34, v167
	ds_read_b128 v[167:170], v118 offset:784
	v_fma_f32 v2, v151, v205, -v2
	v_add_f32_e32 v1, v1, v2
	v_mul_f32_e32 v2, v154, v208
	s_waitcnt vmcnt(36)
	v_mul_f32_e32 v171, v165, v220
	v_fma_f32 v2, v153, v207, -v2
	v_fmac_f32_e32 v171, v166, v219
	v_add_f32_e32 v1, v1, v2
	v_mul_f32_e32 v2, v156, v210
	v_add_f32_e32 v34, v34, v171
	ds_read_b128 v[171:174], v118 offset:800
	v_fma_f32 v2, v155, v209, -v2
	s_waitcnt vmcnt(34) lgkmcnt(1)
	v_mul_f32_e32 v175, v167, v222
	v_add_f32_e32 v1, v1, v2
	v_mul_f32_e32 v2, v158, v212
	v_fmac_f32_e32 v175, v168, v221
	v_fma_f32 v2, v157, v211, -v2
	v_add_f32_e32 v34, v34, v175
	s_waitcnt vmcnt(33)
	v_mul_f32_e32 v175, v169, v223
	v_add_f32_e32 v1, v1, v2
	v_mul_f32_e32 v2, v160, v214
	s_waitcnt vmcnt(30)
	v_fmac_f32_e32 v175, v170, v226
	v_fma_f32 v2, v159, v213, -v2
	v_add_f32_e32 v34, v34, v175
	s_waitcnt lgkmcnt(0)
	v_mul_f32_e32 v175, v171, v225
	v_add_f32_e32 v1, v1, v2
	v_mul_f32_e32 v2, v162, v216
	v_fmac_f32_e32 v175, v172, v224
	v_fma_f32 v2, v161, v215, -v2
	v_add_f32_e32 v34, v34, v175
	ds_read_b128 v[175:178], v118 offset:816
	v_add_f32_e32 v1, v1, v2
	v_mul_f32_e32 v2, v164, v218
	v_fma_f32 v2, v163, v217, -v2
	s_waitcnt vmcnt(28)
	v_mul_f32_e32 v179, v173, v228
	v_add_f32_e32 v1, v1, v2
	v_mul_f32_e32 v2, v166, v220
	v_fmac_f32_e32 v179, v174, v227
	v_fma_f32 v2, v165, v219, -v2
	v_add_f32_e32 v34, v34, v179
	ds_read_b128 v[179:182], v118 offset:832
	v_add_f32_e32 v1, v1, v2
	v_mul_f32_e32 v2, v168, v222
	s_waitcnt vmcnt(26) lgkmcnt(1)
	v_mul_f32_e32 v183, v175, v230
	v_fma_f32 v2, v167, v221, -v2
	v_fmac_f32_e32 v183, v176, v229
	v_add_f32_e32 v1, v1, v2
	v_mul_f32_e32 v2, v170, v223
	v_add_f32_e32 v34, v34, v183
	s_waitcnt vmcnt(25)
	v_mul_f32_e32 v183, v177, v231
	v_fma_f32 v2, v169, v226, -v2
	s_waitcnt vmcnt(22)
	v_fmac_f32_e32 v183, v178, v234
	v_add_f32_e32 v1, v1, v2
	v_mul_f32_e32 v2, v172, v225
	v_add_f32_e32 v34, v34, v183
	s_waitcnt lgkmcnt(0)
	v_mul_f32_e32 v183, v179, v233
	v_fma_f32 v2, v171, v224, -v2
	v_fmac_f32_e32 v183, v180, v232
	v_add_f32_e32 v1, v1, v2
	v_mul_f32_e32 v2, v174, v228
	v_add_f32_e32 v34, v34, v183
	ds_read_b128 v[183:186], v118 offset:848
	v_fma_f32 v2, v173, v227, -v2
	v_add_f32_e32 v1, v1, v2
	v_mul_f32_e32 v2, v176, v230
	s_waitcnt vmcnt(20)
	v_mul_f32_e32 v187, v181, v236
	v_fma_f32 v2, v175, v229, -v2
	v_fmac_f32_e32 v187, v182, v235
	v_add_f32_e32 v1, v1, v2
	v_mul_f32_e32 v2, v178, v231
	v_add_f32_e32 v34, v34, v187
	ds_read_b128 v[187:190], v118 offset:864
	v_fma_f32 v2, v177, v234, -v2
	s_waitcnt vmcnt(18) lgkmcnt(1)
	v_mul_f32_e32 v191, v183, v238
	v_add_f32_e32 v1, v1, v2
	v_mul_f32_e32 v2, v180, v233
	v_fmac_f32_e32 v191, v184, v237
	v_fma_f32 v2, v179, v232, -v2
	v_add_f32_e32 v34, v34, v191
	s_waitcnt vmcnt(17)
	v_mul_f32_e32 v191, v185, v239
	v_add_f32_e32 v1, v1, v2
	v_mul_f32_e32 v2, v182, v236
	s_waitcnt vmcnt(14)
	v_fmac_f32_e32 v191, v186, v242
	v_fma_f32 v2, v181, v235, -v2
	v_add_f32_e32 v34, v34, v191
	s_waitcnt lgkmcnt(0)
	v_mul_f32_e32 v191, v187, v241
	v_add_f32_e32 v1, v1, v2
	v_mul_f32_e32 v2, v184, v238
	v_fmac_f32_e32 v191, v188, v240
	v_fma_f32 v2, v183, v237, -v2
	v_add_f32_e32 v34, v34, v191
	ds_read_b128 v[191:194], v118 offset:880
	v_add_f32_e32 v1, v1, v2
	v_mul_f32_e32 v2, v186, v239
	v_fma_f32 v2, v185, v242, -v2
	v_add_f32_e32 v1, v1, v2
	v_mul_f32_e32 v2, v188, v241
	s_waitcnt vmcnt(12)
	v_mul_f32_e32 v195, v189, v244
	v_fma_f32 v2, v187, v240, -v2
	v_fmac_f32_e32 v195, v190, v243
	v_add_f32_e32 v1, v1, v2
	v_mul_f32_e32 v2, v190, v244
	v_add_f32_e32 v34, v34, v195
	ds_read_b128 v[195:198], v118 offset:896
	s_waitcnt vmcnt(10) lgkmcnt(1)
	v_mul_f32_e32 v199, v191, v246
	v_fma_f32 v2, v189, v243, -v2
	v_fmac_f32_e32 v199, v192, v245
	v_add_f32_e32 v1, v1, v2
	v_mul_f32_e32 v2, v192, v246
	v_add_f32_e32 v34, v34, v199
	s_waitcnt vmcnt(9)
	v_mul_f32_e32 v199, v193, v247
	v_fma_f32 v2, v191, v245, -v2
	s_waitcnt vmcnt(6)
	v_fmac_f32_e32 v199, v194, v250
	v_add_f32_e32 v1, v1, v2
	v_mul_f32_e32 v2, v194, v247
	v_add_f32_e32 v34, v34, v199
	ds_read_b128 v[199:202], v118 offset:912
	v_fma_f32 v2, v193, v250, -v2
	v_add_f32_e32 v1, v1, v2
	s_waitcnt lgkmcnt(1)
	v_mul_f32_e32 v2, v196, v249
	v_mul_f32_e32 v35, v195, v249
	v_fma_f32 v2, v195, v248, -v2
	v_fmac_f32_e32 v35, v196, v248
	v_add_f32_e32 v1, v1, v2
	s_waitcnt vmcnt(4)
	v_mul_f32_e32 v2, v198, v252
	v_add_f32_e32 v34, v34, v35
	v_mul_f32_e32 v35, v197, v252
	v_fma_f32 v2, v197, v251, -v2
	v_fmac_f32_e32 v35, v198, v251
	v_add_f32_e32 v1, v1, v2
	s_waitcnt vmcnt(3) lgkmcnt(0)
	v_mul_f32_e32 v2, v200, v253
	v_add_f32_e32 v34, v34, v35
	v_mul_f32_e32 v35, v199, v253
	s_waitcnt vmcnt(0)
	v_fma_f32 v2, v199, v33, -v2
	v_fmac_f32_e32 v35, v200, v33
	v_add_f32_e32 v1, v1, v2
	v_mul_f32_e32 v2, v202, v255
	v_add_f32_e32 v34, v34, v35
	v_mul_f32_e32 v35, v201, v255
	v_fma_f32 v2, v201, v254, -v2
	v_fmac_f32_e32 v35, v202, v254
	v_add_f32_e32 v1, v1, v2
	v_add_f32_e32 v34, v34, v35
	v_sub_f32_e32 v1, v31, v1
	v_sub_f32_e32 v2, v32, v34
	buffer_store_dword v1, off, s[0:3], 0 offset:120
	buffer_store_dword v2, off, s[0:3], 0 offset:124
	s_and_saveexec_b64 s[4:5], vcc
	s_cbranch_execz .LBB57_333
; %bb.332:
	buffer_load_dword v1, off, s[0:3], 0 offset:112
	buffer_load_dword v2, off, s[0:3], 0 offset:116
	v_mov_b32_e32 v3, 0
	buffer_store_dword v3, off, s[0:3], 0 offset:112
	buffer_store_dword v3, off, s[0:3], 0 offset:116
	s_waitcnt vmcnt(2)
	ds_write_b64 v117, v[1:2]
.LBB57_333:
	s_or_b64 exec, exec, s[4:5]
	s_waitcnt lgkmcnt(0)
	; wave barrier
	buffer_load_dword v127, off, s[0:3], 0 offset:124
	buffer_load_dword v126, off, s[0:3], 0 offset:132
	;; [unrolled: 1-line block ×32, first 2 shown]
	v_mov_b32_e32 v118, 0
	buffer_load_dword v21, off, s[0:3], 0 offset:240
	buffer_load_dword v22, off, s[0:3], 0 offset:244
	buffer_load_dword v23, off, s[0:3], 0 offset:248
	buffer_load_dword v24, off, s[0:3], 0 offset:252
	buffer_load_dword v25, off, s[0:3], 0 offset:256
	buffer_load_dword v26, off, s[0:3], 0 offset:260
	buffer_load_dword v27, off, s[0:3], 0 offset:264
	buffer_load_dword v28, off, s[0:3], 0 offset:268
	buffer_load_dword v29, off, s[0:3], 0 offset:272
	buffer_load_dword v30, off, s[0:3], 0 offset:276
	buffer_load_dword v31, off, s[0:3], 0 offset:280
	buffer_load_dword v32, off, s[0:3], 0 offset:284
	buffer_load_dword v33, off, s[0:3], 0 offset:288
	buffer_load_dword v34, off, s[0:3], 0 offset:292
	buffer_load_dword v35, off, s[0:3], 0 offset:296
	buffer_load_dword v36, off, s[0:3], 0 offset:300
	ds_read2_b64 v[133:136], v118 offset0:73 offset1:74
	ds_read2_b64 v[137:140], v118 offset0:75 offset1:76
	;; [unrolled: 1-line block ×6, first 2 shown]
	buffer_load_dword v217, off, s[0:3], 0 offset:304
	buffer_load_dword v218, off, s[0:3], 0 offset:308
	v_cmp_lt_u32_e32 vcc, 13, v0
	s_waitcnt vmcnt(49) lgkmcnt(5)
	v_mul_f32_e32 v1, v133, v127
	s_waitcnt vmcnt(48)
	v_mul_f32_e32 v2, v135, v126
	s_waitcnt vmcnt(47) lgkmcnt(4)
	v_mul_f32_e32 v157, v137, v125
	s_waitcnt vmcnt(46)
	v_mul_f32_e32 v158, v139, v124
	s_waitcnt vmcnt(45) lgkmcnt(3)
	v_mul_f32_e32 v159, v141, v123
	s_waitcnt vmcnt(44)
	v_mul_f32_e32 v160, v143, v122
	s_waitcnt vmcnt(43) lgkmcnt(2)
	v_mul_f32_e32 v161, v145, v121
	s_waitcnt vmcnt(42)
	v_mul_f32_e32 v162, v147, v128
	s_waitcnt vmcnt(41) lgkmcnt(1)
	v_mul_f32_e32 v163, v149, v129
	s_waitcnt vmcnt(40)
	v_mul_f32_e32 v164, v151, v130
	s_waitcnt vmcnt(39) lgkmcnt(0)
	v_mul_f32_e32 v165, v153, v131
	s_waitcnt vmcnt(38)
	v_mul_f32_e32 v166, v155, v132
	s_waitcnt vmcnt(37)
	v_fmac_f32_e32 v157, v138, v3
	s_waitcnt vmcnt(36)
	v_fmac_f32_e32 v2, v136, v4
	;; [unrolled: 2-line block ×3, first 2 shown]
	v_add_f32_e32 v1, 0, v1
	v_add_f32_e32 v1, v1, v2
	;; [unrolled: 1-line block ×3, first 2 shown]
	s_waitcnt vmcnt(31)
	v_fmac_f32_e32 v158, v140, v9
	v_fmac_f32_e32 v159, v142, v8
	v_add_f32_e32 v1, v1, v158
	v_fmac_f32_e32 v160, v144, v7
	v_add_f32_e32 v1, v1, v159
	;; [unrolled: 2-line block ×3, first 2 shown]
	s_waitcnt vmcnt(27)
	v_fmac_f32_e32 v162, v148, v13
	v_add_f32_e32 v1, v1, v161
	ds_read2_b64 v[157:160], v118 offset0:85 offset1:86
	buffer_load_dword v219, off, s[0:3], 0 offset:312
	buffer_load_dword v220, off, s[0:3], 0 offset:316
	;; [unrolled: 1-line block ×6, first 2 shown]
	v_fmac_f32_e32 v163, v150, v12
	v_add_f32_e32 v1, v1, v162
	v_fmac_f32_e32 v164, v152, v11
	v_add_f32_e32 v1, v1, v163
	v_add_f32_e32 v1, v1, v164
	ds_read2_b64 v[161:164], v118 offset0:87 offset1:88
	buffer_load_dword v225, off, s[0:3], 0 offset:336
	buffer_load_dword v226, off, s[0:3], 0 offset:340
	;; [unrolled: 1-line block ×10, first 2 shown]
	v_fmac_f32_e32 v165, v154, v10
	s_waitcnt vmcnt(38)
	v_fmac_f32_e32 v166, v156, v18
	v_add_f32_e32 v1, v1, v165
	v_add_f32_e32 v1, v1, v166
	ds_read2_b64 v[165:168], v118 offset0:89 offset1:90
	buffer_load_dword v235, off, s[0:3], 0 offset:376
	buffer_load_dword v236, off, s[0:3], 0 offset:380
	;; [unrolled: 1-line block ×6, first 2 shown]
	ds_read2_b64 v[169:172], v118 offset0:91 offset1:92
	buffer_load_dword v241, off, s[0:3], 0 offset:400
	buffer_load_dword v242, off, s[0:3], 0 offset:404
	;; [unrolled: 1-line block ×16, first 2 shown]
	s_waitcnt vmcnt(59) lgkmcnt(3)
	v_mul_f32_e32 v2, v157, v19
	v_fmac_f32_e32 v2, v158, v17
	v_add_f32_e32 v1, v1, v2
	s_waitcnt vmcnt(58)
	v_mul_f32_e32 v2, v159, v20
	v_fmac_f32_e32 v2, v160, v16
	v_add_f32_e32 v1, v1, v2
	s_waitcnt lgkmcnt(2)
	v_mul_f32_e32 v2, v161, v15
	v_fmac_f32_e32 v2, v162, v14
	v_add_f32_e32 v1, v1, v2
	s_waitcnt vmcnt(54)
	v_mul_f32_e32 v2, v163, v22
	v_fmac_f32_e32 v2, v164, v21
	v_add_f32_e32 v1, v1, v2
	s_waitcnt vmcnt(52) lgkmcnt(1)
	v_mul_f32_e32 v2, v165, v24
	v_fmac_f32_e32 v2, v166, v23
	v_add_f32_e32 v1, v1, v2
	s_waitcnt vmcnt(50)
	v_mul_f32_e32 v2, v167, v26
	v_fmac_f32_e32 v2, v168, v25
	ds_read2_b64 v[173:176], v118 offset0:93 offset1:94
	ds_read2_b64 v[177:180], v118 offset0:95 offset1:96
	v_add_f32_e32 v1, v1, v2
	s_waitcnt vmcnt(48) lgkmcnt(2)
	v_mul_f32_e32 v2, v169, v28
	v_fmac_f32_e32 v2, v170, v27
	v_add_f32_e32 v1, v1, v2
	s_waitcnt vmcnt(46)
	v_mul_f32_e32 v2, v171, v30
	v_fmac_f32_e32 v2, v172, v29
	v_add_f32_e32 v1, v1, v2
	s_waitcnt vmcnt(44) lgkmcnt(1)
	v_mul_f32_e32 v2, v173, v32
	v_fmac_f32_e32 v2, v174, v31
	v_add_f32_e32 v1, v1, v2
	s_waitcnt vmcnt(42)
	v_mul_f32_e32 v2, v175, v34
	v_fmac_f32_e32 v2, v176, v33
	ds_read2_b64 v[181:184], v118 offset0:97 offset1:98
	ds_read2_b64 v[185:188], v118 offset0:99 offset1:100
	v_add_f32_e32 v1, v1, v2
	s_waitcnt vmcnt(40) lgkmcnt(2)
	v_mul_f32_e32 v2, v177, v36
	v_fmac_f32_e32 v2, v178, v35
	v_add_f32_e32 v1, v1, v2
	s_waitcnt vmcnt(38)
	v_mul_f32_e32 v2, v179, v218
	v_fmac_f32_e32 v2, v180, v217
	v_add_f32_e32 v1, v1, v2
	ds_read2_b64 v[189:192], v118 offset0:101 offset1:102
	ds_read2_b64 v[193:196], v118 offset0:103 offset1:104
	;; [unrolled: 1-line block ×7, first 2 shown]
	s_waitcnt vmcnt(36) lgkmcnt(8)
	v_mul_f32_e32 v2, v181, v220
	v_fmac_f32_e32 v2, v182, v219
	v_add_f32_e32 v1, v1, v2
	s_waitcnt vmcnt(35)
	v_mul_f32_e32 v2, v183, v221
	s_waitcnt vmcnt(32)
	v_fmac_f32_e32 v2, v184, v224
	v_add_f32_e32 v1, v1, v2
	s_waitcnt lgkmcnt(7)
	v_mul_f32_e32 v2, v185, v223
	v_fmac_f32_e32 v2, v186, v222
	v_add_f32_e32 v1, v1, v2
	s_waitcnt vmcnt(30)
	v_mul_f32_e32 v2, v187, v226
	v_fmac_f32_e32 v2, v188, v225
	v_add_f32_e32 v1, v1, v2
	s_waitcnt vmcnt(28) lgkmcnt(6)
	v_mul_f32_e32 v2, v189, v228
	v_fmac_f32_e32 v2, v190, v227
	v_add_f32_e32 v1, v1, v2
	s_waitcnt vmcnt(27)
	v_mul_f32_e32 v2, v191, v229
	s_waitcnt vmcnt(24)
	v_fmac_f32_e32 v2, v192, v232
	v_add_f32_e32 v1, v1, v2
	s_waitcnt lgkmcnt(5)
	v_mul_f32_e32 v2, v193, v231
	v_fmac_f32_e32 v2, v194, v230
	v_add_f32_e32 v1, v1, v2
	s_waitcnt vmcnt(22)
	v_mul_f32_e32 v2, v195, v234
	v_fmac_f32_e32 v2, v196, v233
	v_add_f32_e32 v1, v1, v2
	;; [unrolled: 17-line block ×4, first 2 shown]
	ds_read_b64 v[1:2], v118 offset:920
	s_waitcnt vmcnt(4) lgkmcnt(1)
	v_mul_f32_e32 v39, v213, v252
	v_fmac_f32_e32 v39, v214, v251
	v_add_f32_e32 v38, v38, v39
	s_waitcnt vmcnt(3)
	v_mul_f32_e32 v39, v215, v253
	s_waitcnt vmcnt(0)
	v_fmac_f32_e32 v39, v216, v37
	v_add_f32_e32 v38, v38, v39
	s_waitcnt lgkmcnt(0)
	v_mul_f32_e32 v39, v1, v255
	v_fmac_f32_e32 v39, v2, v254
	v_add_f32_e32 v38, v38, v39
	v_mul_f32_e32 v39, v134, v127
	v_fma_f32 v5, v133, v5, -v39
	v_mul_f32_e32 v39, v136, v126
	v_add_f32_e32 v5, 0, v5
	v_fma_f32 v4, v135, v4, -v39
	v_add_f32_e32 v4, v5, v4
	v_mul_f32_e32 v5, v138, v125
	v_fma_f32 v3, v137, v3, -v5
	v_add_f32_e32 v3, v4, v3
	v_mul_f32_e32 v4, v140, v124
	;; [unrolled: 3-line block ×40, first 2 shown]
	v_fma_f32 v4, v215, v37, -v4
	v_mul_f32_e32 v2, v2, v255
	v_add_f32_e32 v3, v3, v4
	v_fma_f32 v1, v1, v254, -v2
	v_add_f32_e32 v1, v3, v1
	v_sub_f32_e32 v1, v119, v1
	v_sub_f32_e32 v2, v120, v38
	buffer_store_dword v1, off, s[0:3], 0 offset:112
	buffer_store_dword v2, off, s[0:3], 0 offset:116
	s_and_saveexec_b64 s[4:5], vcc
	s_cbranch_execz .LBB57_335
; %bb.334:
	buffer_load_dword v1, off, s[0:3], 0 offset:104
	buffer_load_dword v2, off, s[0:3], 0 offset:108
	s_waitcnt vmcnt(0)
	ds_write_b64 v117, v[1:2]
	buffer_store_dword v118, off, s[0:3], 0 offset:104
	buffer_store_dword v118, off, s[0:3], 0 offset:108
.LBB57_335:
	s_or_b64 exec, exec, s[4:5]
	s_waitcnt lgkmcnt(0)
	; wave barrier
	buffer_load_dword v127, off, s[0:3], 0 offset:116
	buffer_load_dword v126, off, s[0:3], 0 offset:124
	;; [unrolled: 1-line block ×32, first 2 shown]
	ds_read_b128 v[133:136], v118 offset:576
	ds_read_b128 v[137:140], v118 offset:592
	;; [unrolled: 1-line block ×4, first 2 shown]
	buffer_load_dword v19, off, s[0:3], 0 offset:232
	buffer_load_dword v20, off, s[0:3], 0 offset:236
	ds_read_b128 v[149:152], v118 offset:640
	ds_read_b128 v[153:156], v118 offset:656
	;; [unrolled: 1-line block ×3, first 2 shown]
	buffer_load_dword v21, off, s[0:3], 0 offset:240
	buffer_load_dword v22, off, s[0:3], 0 offset:244
	;; [unrolled: 1-line block ×14, first 2 shown]
	v_cmp_lt_u32_e32 vcc, 12, v0
	s_waitcnt vmcnt(47) lgkmcnt(6)
	v_mul_f32_e32 v35, v133, v127
	s_waitcnt vmcnt(46)
	v_mul_f32_e32 v36, v135, v126
	s_waitcnt vmcnt(45) lgkmcnt(5)
	v_mul_f32_e32 v37, v137, v125
	s_waitcnt vmcnt(44)
	v_mul_f32_e32 v38, v139, v124
	;; [unrolled: 4-line block ×6, first 2 shown]
	s_waitcnt vmcnt(35)
	v_fmac_f32_e32 v37, v138, v1
	s_waitcnt vmcnt(34)
	v_fmac_f32_e32 v36, v136, v2
	;; [unrolled: 2-line block ×3, first 2 shown]
	v_add_f32_e32 v35, 0, v35
	v_add_f32_e32 v35, v35, v36
	;; [unrolled: 1-line block ×3, first 2 shown]
	s_waitcnt vmcnt(29)
	v_fmac_f32_e32 v38, v140, v7
	v_fmac_f32_e32 v39, v142, v6
	v_add_f32_e32 v35, v35, v38
	buffer_load_dword v36, off, s[0:3], 0 offset:296
	buffer_load_dword v37, off, s[0:3], 0 offset:300
	v_fmac_f32_e32 v40, v144, v5
	v_add_f32_e32 v35, v35, v39
	v_fmac_f32_e32 v161, v146, v4
	v_add_f32_e32 v35, v35, v40
	s_waitcnt vmcnt(27)
	v_fmac_f32_e32 v162, v148, v11
	v_add_f32_e32 v35, v35, v161
	v_fmac_f32_e32 v163, v150, v10
	v_add_f32_e32 v35, v35, v162
	;; [unrolled: 2-line block ×3, first 2 shown]
	v_add_f32_e32 v35, v35, v164
	ds_read_b128 v[161:164], v118 offset:688
	buffer_load_dword v39, off, s[0:3], 0 offset:304
	buffer_load_dword v40, off, s[0:3], 0 offset:308
	;; [unrolled: 1-line block ×14, first 2 shown]
	v_fmac_f32_e32 v165, v154, v8
	s_waitcnt vmcnt(37)
	v_fmac_f32_e32 v166, v156, v15
	v_add_f32_e32 v35, v35, v165
	s_waitcnt vmcnt(36) lgkmcnt(1)
	v_mul_f32_e32 v38, v157, v16
	v_add_f32_e32 v35, v35, v166
	v_fmac_f32_e32 v38, v158, v14
	v_add_f32_e32 v35, v35, v38
	s_waitcnt vmcnt(35)
	v_mul_f32_e32 v38, v159, v17
	buffer_load_dword v233, off, s[0:3], 0 offset:360
	buffer_load_dword v234, off, s[0:3], 0 offset:364
	v_fmac_f32_e32 v38, v160, v13
	v_add_f32_e32 v35, v35, v38
	s_waitcnt vmcnt(36) lgkmcnt(0)
	v_mul_f32_e32 v38, v161, v18
	v_fmac_f32_e32 v38, v162, v12
	v_add_f32_e32 v35, v35, v38
	s_waitcnt vmcnt(32)
	v_mul_f32_e32 v38, v163, v20
	v_fmac_f32_e32 v38, v164, v19
	ds_read_b128 v[165:168], v118 offset:704
	v_add_f32_e32 v35, v35, v38
	buffer_load_dword v38, off, s[0:3], 0 offset:368
	buffer_load_dword v235, off, s[0:3], 0 offset:372
	buffer_load_dword v236, off, s[0:3], 0 offset:380
	buffer_load_dword v237, off, s[0:3], 0 offset:384
	buffer_load_dword v238, off, s[0:3], 0 offset:388
	buffer_load_dword v239, off, s[0:3], 0 offset:376
	ds_read_b128 v[169:172], v118 offset:720
	buffer_load_dword v240, off, s[0:3], 0 offset:392
	buffer_load_dword v241, off, s[0:3], 0 offset:396
	;; [unrolled: 1-line block ×10, first 2 shown]
	s_waitcnt vmcnt(46) lgkmcnt(1)
	v_mul_f32_e32 v173, v165, v22
	v_fmac_f32_e32 v173, v166, v21
	v_add_f32_e32 v35, v35, v173
	s_waitcnt vmcnt(44)
	v_mul_f32_e32 v173, v167, v24
	v_fmac_f32_e32 v173, v168, v23
	v_add_f32_e32 v35, v35, v173
	s_waitcnt vmcnt(42) lgkmcnt(0)
	v_mul_f32_e32 v173, v169, v26
	buffer_load_dword v250, off, s[0:3], 0 offset:432
	buffer_load_dword v251, off, s[0:3], 0 offset:436
	;; [unrolled: 1-line block ×6, first 2 shown]
	v_fmac_f32_e32 v173, v170, v25
	s_waitcnt vmcnt(46)
	v_mul_f32_e32 v177, v171, v28
	v_add_f32_e32 v35, v35, v173
	v_fmac_f32_e32 v177, v172, v27
	ds_read_b128 v[173:176], v118 offset:736
	v_add_f32_e32 v35, v35, v177
	ds_read_b128 v[177:180], v118 offset:752
	buffer_load_dword v41, off, s[0:3], 0 offset:456
	buffer_load_dword v42, off, s[0:3], 0 offset:460
	s_waitcnt vmcnt(46) lgkmcnt(1)
	v_mul_f32_e32 v181, v173, v30
	v_fmac_f32_e32 v181, v174, v29
	v_add_f32_e32 v35, v35, v181
	s_waitcnt vmcnt(44)
	v_mul_f32_e32 v181, v175, v32
	v_fmac_f32_e32 v181, v176, v31
	v_add_f32_e32 v35, v35, v181
	s_waitcnt vmcnt(42) lgkmcnt(0)
	v_mul_f32_e32 v181, v177, v34
	v_fmac_f32_e32 v181, v178, v33
	v_add_f32_e32 v35, v35, v181
	ds_read_b128 v[181:184], v118 offset:768
	s_waitcnt vmcnt(40)
	v_mul_f32_e32 v185, v179, v37
	v_fmac_f32_e32 v185, v180, v36
	v_add_f32_e32 v35, v35, v185
	ds_read_b128 v[185:188], v118 offset:784
	s_waitcnt vmcnt(38) lgkmcnt(1)
	v_mul_f32_e32 v189, v181, v40
	v_fmac_f32_e32 v189, v182, v39
	v_add_f32_e32 v35, v35, v189
	s_waitcnt vmcnt(37)
	v_mul_f32_e32 v189, v183, v221
	s_waitcnt vmcnt(34)
	v_fmac_f32_e32 v189, v184, v224
	v_add_f32_e32 v35, v35, v189
	s_waitcnt lgkmcnt(0)
	v_mul_f32_e32 v189, v185, v223
	v_fmac_f32_e32 v189, v186, v222
	v_add_f32_e32 v35, v35, v189
	ds_read_b128 v[189:192], v118 offset:800
	s_waitcnt vmcnt(32)
	v_mul_f32_e32 v193, v187, v226
	v_fmac_f32_e32 v193, v188, v225
	v_add_f32_e32 v35, v35, v193
	ds_read_b128 v[193:196], v118 offset:816
	s_waitcnt vmcnt(30) lgkmcnt(1)
	v_mul_f32_e32 v197, v189, v228
	v_fmac_f32_e32 v197, v190, v227
	v_add_f32_e32 v35, v35, v197
	s_waitcnt vmcnt(29)
	v_mul_f32_e32 v197, v191, v229
	s_waitcnt vmcnt(26)
	v_fmac_f32_e32 v197, v192, v232
	v_add_f32_e32 v35, v35, v197
	s_waitcnt lgkmcnt(0)
	;; [unrolled: 19-line block ×5, first 2 shown]
	v_mul_f32_e32 v118, v217, v254
	v_fmac_f32_e32 v118, v218, v253
	v_add_f32_e32 v35, v35, v118
	s_waitcnt vmcnt(0)
	v_mul_f32_e32 v118, v219, v42
	v_fmac_f32_e32 v118, v220, v41
	v_add_f32_e32 v35, v35, v118
	v_mul_f32_e32 v118, v134, v127
	v_fma_f32 v3, v133, v3, -v118
	v_mul_f32_e32 v118, v136, v126
	v_add_f32_e32 v3, 0, v3
	v_fma_f32 v2, v135, v2, -v118
	v_add_f32_e32 v2, v3, v2
	v_mul_f32_e32 v3, v138, v125
	v_fma_f32 v1, v137, v1, -v3
	v_add_f32_e32 v1, v2, v1
	v_mul_f32_e32 v2, v140, v124
	;; [unrolled: 3-line block ×42, first 2 shown]
	v_fma_f32 v2, v219, v41, -v2
	v_add_f32_e32 v1, v1, v2
	v_sub_f32_e32 v1, v119, v1
	v_sub_f32_e32 v2, v120, v35
	buffer_store_dword v1, off, s[0:3], 0 offset:104
	buffer_store_dword v2, off, s[0:3], 0 offset:108
	s_and_saveexec_b64 s[4:5], vcc
	s_cbranch_execz .LBB57_337
; %bb.336:
	buffer_load_dword v1, off, s[0:3], 0 offset:96
	buffer_load_dword v2, off, s[0:3], 0 offset:100
	v_mov_b32_e32 v3, 0
	buffer_store_dword v3, off, s[0:3], 0 offset:96
	buffer_store_dword v3, off, s[0:3], 0 offset:100
	s_waitcnt vmcnt(2)
	ds_write_b64 v117, v[1:2]
.LBB57_337:
	s_or_b64 exec, exec, s[4:5]
	s_waitcnt lgkmcnt(0)
	; wave barrier
	buffer_load_dword v3, off, s[0:3], 0 offset:108
	buffer_load_dword v4, off, s[0:3], 0 offset:116
	buffer_load_dword v5, off, s[0:3], 0 offset:124
	buffer_load_dword v6, off, s[0:3], 0 offset:132
	buffer_load_dword v7, off, s[0:3], 0 offset:140
	buffer_load_dword v8, off, s[0:3], 0 offset:148
	buffer_load_dword v9, off, s[0:3], 0 offset:156
	buffer_load_dword v10, off, s[0:3], 0 offset:164
	buffer_load_dword v11, off, s[0:3], 0 offset:172
	buffer_load_dword v12, off, s[0:3], 0 offset:180
	buffer_load_dword v13, off, s[0:3], 0 offset:188
	buffer_load_dword v14, off, s[0:3], 0 offset:196
	buffer_load_dword v15, off, s[0:3], 0 offset:120
	buffer_load_dword v16, off, s[0:3], 0 offset:112
	buffer_load_dword v17, off, s[0:3], 0 offset:104
	buffer_load_dword v18, off, s[0:3], 0 offset:152
	buffer_load_dword v19, off, s[0:3], 0 offset:144
	buffer_load_dword v20, off, s[0:3], 0 offset:136
	buffer_load_dword v21, off, s[0:3], 0 offset:128
	buffer_load_dword v22, off, s[0:3], 0 offset:184
	buffer_load_dword v23, off, s[0:3], 0 offset:176
	buffer_load_dword v24, off, s[0:3], 0 offset:168
	buffer_load_dword v25, off, s[0:3], 0 offset:160
	buffer_load_dword v26, off, s[0:3], 0 offset:216
	buffer_load_dword v27, off, s[0:3], 0 offset:208
	buffer_load_dword v28, off, s[0:3], 0 offset:200
	buffer_load_dword v29, off, s[0:3], 0 offset:192
	buffer_load_dword v30, off, s[0:3], 0 offset:204
	buffer_load_dword v31, off, s[0:3], 0 offset:212
	buffer_load_dword v32, off, s[0:3], 0 offset:220
	buffer_load_dword v119, off, s[0:3], 0 offset:96
	buffer_load_dword v120, off, s[0:3], 0 offset:100
	v_mov_b32_e32 v118, 0
	buffer_load_dword v33, off, s[0:3], 0 offset:224
	buffer_load_dword v34, off, s[0:3], 0 offset:228
	;; [unrolled: 1-line block ×16, first 2 shown]
	ds_read2_b64 v[121:124], v118 offset0:71 offset1:72
	ds_read2_b64 v[125:128], v118 offset0:73 offset1:74
	;; [unrolled: 1-line block ×7, first 2 shown]
	v_cmp_lt_u32_e32 vcc, 11, v0
	s_waitcnt vmcnt(47) lgkmcnt(6)
	v_mul_f32_e32 v1, v121, v3
	s_waitcnt vmcnt(46)
	v_mul_f32_e32 v2, v123, v4
	s_waitcnt vmcnt(45) lgkmcnt(5)
	v_mul_f32_e32 v149, v125, v5
	s_waitcnt vmcnt(44)
	v_mul_f32_e32 v150, v127, v6
	;; [unrolled: 4-line block ×6, first 2 shown]
	s_waitcnt vmcnt(35)
	v_fmac_f32_e32 v149, v126, v15
	s_waitcnt vmcnt(34)
	v_fmac_f32_e32 v2, v124, v16
	;; [unrolled: 2-line block ×3, first 2 shown]
	v_add_f32_e32 v1, 0, v1
	v_add_f32_e32 v1, v1, v2
	;; [unrolled: 1-line block ×3, first 2 shown]
	s_waitcnt vmcnt(29)
	v_fmac_f32_e32 v150, v128, v21
	v_fmac_f32_e32 v151, v130, v20
	v_add_f32_e32 v1, v1, v150
	v_fmac_f32_e32 v152, v132, v19
	v_add_f32_e32 v1, v1, v151
	v_add_f32_e32 v1, v1, v152
	ds_read2_b64 v[149:152], v118 offset0:85 offset1:86
	buffer_load_dword v215, off, s[0:3], 0 offset:288
	buffer_load_dword v216, off, s[0:3], 0 offset:292
	;; [unrolled: 1-line block ×10, first 2 shown]
	v_fmac_f32_e32 v153, v134, v18
	s_waitcnt vmcnt(35)
	v_fmac_f32_e32 v154, v136, v25
	v_add_f32_e32 v1, v1, v153
	buffer_load_dword v225, off, s[0:3], 0 offset:328
	buffer_load_dword v226, off, s[0:3], 0 offset:332
	;; [unrolled: 1-line block ×6, first 2 shown]
	v_fmac_f32_e32 v155, v138, v24
	v_add_f32_e32 v1, v1, v154
	v_fmac_f32_e32 v156, v140, v23
	v_add_f32_e32 v1, v1, v155
	v_add_f32_e32 v1, v1, v156
	ds_read2_b64 v[153:156], v118 offset0:87 offset1:88
	buffer_load_dword v231, off, s[0:3], 0 offset:352
	buffer_load_dword v232, off, s[0:3], 0 offset:356
	v_fmac_f32_e32 v157, v142, v22
	s_waitcnt vmcnt(39)
	v_fmac_f32_e32 v158, v144, v29
	v_add_f32_e32 v1, v1, v157
	v_add_f32_e32 v1, v1, v158
	ds_read2_b64 v[157:160], v118 offset0:89 offset1:90
	buffer_load_dword v233, off, s[0:3], 0 offset:360
	buffer_load_dword v234, off, s[0:3], 0 offset:364
	;; [unrolled: 1-line block ×16, first 2 shown]
	ds_read2_b64 v[161:164], v118 offset0:91 offset1:92
	buffer_load_dword v249, off, s[0:3], 0 offset:424
	buffer_load_dword v250, off, s[0:3], 0 offset:428
	;; [unrolled: 1-line block ×6, first 2 shown]
	v_mul_f32_e32 v3, v122, v3
	v_fma_f32 v3, v121, v17, -v3
	v_mul_f32_e32 v4, v124, v4
	v_add_f32_e32 v3, 0, v3
	v_fma_f32 v4, v123, v16, -v4
	v_add_f32_e32 v3, v3, v4
	v_mul_f32_e32 v4, v126, v5
	ds_read2_b64 v[165:168], v118 offset0:93 offset1:94
	buffer_load_dword v255, off, s[0:3], 0 offset:452
	buffer_load_dword v43, off, s[0:3], 0 offset:456
	;; [unrolled: 1-line block ×4, first 2 shown]
	v_fma_f32 v4, v125, v15, -v4
	v_add_f32_e32 v3, v3, v4
	v_mul_f32_e32 v4, v128, v6
	v_fma_f32 v4, v127, v21, -v4
	v_add_f32_e32 v3, v3, v4
	v_mul_f32_e32 v4, v130, v7
	;; [unrolled: 3-line block ×8, first 2 shown]
	s_waitcnt vmcnt(62) lgkmcnt(5)
	v_mul_f32_e32 v2, v145, v30
	v_fma_f32 v4, v141, v22, -v4
	v_fmac_f32_e32 v2, v146, v28
	v_add_f32_e32 v3, v3, v4
	v_mul_f32_e32 v4, v144, v14
	v_add_f32_e32 v1, v1, v2
	v_mul_f32_e32 v2, v147, v31
	v_fma_f32 v4, v143, v29, -v4
	v_fmac_f32_e32 v2, v148, v27
	v_add_f32_e32 v3, v3, v4
	v_mul_f32_e32 v4, v146, v30
	v_add_f32_e32 v1, v1, v2
	s_waitcnt lgkmcnt(4)
	v_mul_f32_e32 v2, v149, v32
	v_fma_f32 v4, v145, v28, -v4
	v_fmac_f32_e32 v2, v150, v26
	v_add_f32_e32 v3, v3, v4
	v_mul_f32_e32 v4, v148, v31
	v_add_f32_e32 v1, v1, v2
	s_waitcnt vmcnt(58)
	v_mul_f32_e32 v2, v151, v34
	v_fma_f32 v4, v147, v27, -v4
	v_fmac_f32_e32 v2, v152, v33
	v_add_f32_e32 v3, v3, v4
	v_mul_f32_e32 v4, v150, v32
	v_add_f32_e32 v1, v1, v2
	s_waitcnt vmcnt(56) lgkmcnt(3)
	v_mul_f32_e32 v2, v153, v36
	v_fma_f32 v4, v149, v26, -v4
	v_fmac_f32_e32 v2, v154, v35
	v_add_f32_e32 v3, v3, v4
	v_mul_f32_e32 v4, v152, v34
	v_add_f32_e32 v1, v1, v2
	s_waitcnt vmcnt(54)
	v_mul_f32_e32 v2, v155, v38
	v_fma_f32 v4, v151, v33, -v4
	v_fmac_f32_e32 v2, v156, v37
	v_add_f32_e32 v3, v3, v4
	v_mul_f32_e32 v4, v154, v36
	v_add_f32_e32 v1, v1, v2
	s_waitcnt vmcnt(52) lgkmcnt(2)
	;; [unrolled: 14-line block ×3, first 2 shown]
	v_mul_f32_e32 v2, v161, v210
	v_fma_f32 v4, v157, v39, -v4
	v_fmac_f32_e32 v2, v162, v209
	v_add_f32_e32 v3, v3, v4
	v_mul_f32_e32 v4, v160, v42
	v_add_f32_e32 v1, v1, v2
	s_waitcnt vmcnt(46)
	v_mul_f32_e32 v2, v163, v212
	v_fma_f32 v4, v159, v41, -v4
	v_fmac_f32_e32 v2, v164, v211
	ds_read2_b64 v[169:172], v118 offset0:95 offset1:96
	ds_read2_b64 v[173:176], v118 offset0:97 offset1:98
	v_add_f32_e32 v3, v3, v4
	v_mul_f32_e32 v4, v162, v210
	v_add_f32_e32 v1, v1, v2
	s_waitcnt vmcnt(44) lgkmcnt(2)
	v_mul_f32_e32 v2, v165, v214
	v_fma_f32 v4, v161, v209, -v4
	v_fmac_f32_e32 v2, v166, v213
	v_add_f32_e32 v3, v3, v4
	v_mul_f32_e32 v4, v164, v212
	v_add_f32_e32 v1, v1, v2
	s_waitcnt vmcnt(42)
	v_mul_f32_e32 v2, v167, v216
	v_fma_f32 v4, v163, v211, -v4
	v_fmac_f32_e32 v2, v168, v215
	v_add_f32_e32 v3, v3, v4
	v_mul_f32_e32 v4, v166, v214
	v_add_f32_e32 v1, v1, v2
	s_waitcnt vmcnt(40) lgkmcnt(1)
	v_mul_f32_e32 v2, v169, v218
	v_fma_f32 v4, v165, v213, -v4
	v_fmac_f32_e32 v2, v170, v217
	v_add_f32_e32 v3, v3, v4
	v_mul_f32_e32 v4, v168, v216
	v_add_f32_e32 v1, v1, v2
	s_waitcnt vmcnt(39)
	v_mul_f32_e32 v2, v171, v219
	v_fma_f32 v4, v167, v215, -v4
	s_waitcnt vmcnt(36)
	v_fmac_f32_e32 v2, v172, v222
	ds_read2_b64 v[177:180], v118 offset0:99 offset1:100
	ds_read2_b64 v[181:184], v118 offset0:101 offset1:102
	v_add_f32_e32 v3, v3, v4
	v_mul_f32_e32 v4, v170, v218
	v_add_f32_e32 v1, v1, v2
	s_waitcnt lgkmcnt(2)
	v_mul_f32_e32 v2, v173, v221
	v_fma_f32 v4, v169, v217, -v4
	v_fmac_f32_e32 v2, v174, v220
	v_add_f32_e32 v3, v3, v4
	v_mul_f32_e32 v4, v172, v219
	v_add_f32_e32 v1, v1, v2
	s_waitcnt vmcnt(34)
	v_mul_f32_e32 v2, v175, v224
	v_fma_f32 v4, v171, v222, -v4
	v_fmac_f32_e32 v2, v176, v223
	v_add_f32_e32 v3, v3, v4
	v_mul_f32_e32 v4, v174, v221
	v_add_f32_e32 v1, v1, v2
	s_waitcnt vmcnt(32) lgkmcnt(1)
	v_mul_f32_e32 v2, v177, v226
	v_fma_f32 v4, v173, v220, -v4
	v_fmac_f32_e32 v2, v178, v225
	v_add_f32_e32 v3, v3, v4
	v_mul_f32_e32 v4, v176, v224
	v_add_f32_e32 v1, v1, v2
	s_waitcnt vmcnt(31)
	v_mul_f32_e32 v2, v179, v227
	v_fma_f32 v4, v175, v223, -v4
	s_waitcnt vmcnt(28)
	v_fmac_f32_e32 v2, v180, v230
	ds_read2_b64 v[185:188], v118 offset0:103 offset1:104
	ds_read2_b64 v[189:192], v118 offset0:105 offset1:106
	v_add_f32_e32 v3, v3, v4
	v_mul_f32_e32 v4, v178, v226
	v_add_f32_e32 v1, v1, v2
	s_waitcnt lgkmcnt(2)
	;; [unrolled: 31-line block ×4, first 2 shown]
	v_mul_f32_e32 v2, v197, v245
	v_fma_f32 v4, v193, v241, -v4
	v_fmac_f32_e32 v2, v198, v244
	v_add_f32_e32 v3, v3, v4
	v_mul_f32_e32 v4, v196, v243
	v_add_f32_e32 v1, v1, v2
	s_waitcnt vmcnt(10)
	v_mul_f32_e32 v2, v199, v248
	v_fma_f32 v4, v195, v246, -v4
	v_fmac_f32_e32 v2, v200, v247
	v_add_f32_e32 v3, v3, v4
	v_mul_f32_e32 v4, v198, v245
	v_add_f32_e32 v1, v1, v2
	s_waitcnt vmcnt(8) lgkmcnt(1)
	v_mul_f32_e32 v2, v201, v250
	v_fma_f32 v4, v197, v244, -v4
	v_fmac_f32_e32 v2, v202, v249
	v_add_f32_e32 v3, v3, v4
	v_mul_f32_e32 v4, v200, v248
	v_add_f32_e32 v1, v1, v2
	s_waitcnt vmcnt(7)
	v_mul_f32_e32 v2, v203, v251
	v_fma_f32 v4, v199, v247, -v4
	s_waitcnt vmcnt(4)
	v_fmac_f32_e32 v2, v204, v254
	v_add_f32_e32 v3, v3, v4
	v_mul_f32_e32 v4, v202, v250
	v_add_f32_e32 v46, v1, v2
	ds_read_b64 v[1:2], v118 offset:920
	v_fma_f32 v4, v201, v249, -v4
	s_waitcnt lgkmcnt(1)
	v_mul_f32_e32 v47, v205, v253
	v_add_f32_e32 v3, v3, v4
	v_mul_f32_e32 v4, v204, v251
	v_fmac_f32_e32 v47, v206, v252
	v_fma_f32 v4, v203, v254, -v4
	v_add_f32_e32 v46, v46, v47
	s_waitcnt vmcnt(3)
	v_mul_f32_e32 v47, v207, v255
	v_add_f32_e32 v3, v3, v4
	v_mul_f32_e32 v4, v206, v253
	s_waitcnt vmcnt(0)
	v_fmac_f32_e32 v47, v208, v45
	v_fma_f32 v4, v205, v252, -v4
	v_add_f32_e32 v46, v46, v47
	s_waitcnt lgkmcnt(0)
	v_mul_f32_e32 v47, v1, v44
	v_add_f32_e32 v3, v3, v4
	v_mul_f32_e32 v4, v208, v255
	v_fmac_f32_e32 v47, v2, v43
	v_fma_f32 v4, v207, v45, -v4
	v_mul_f32_e32 v2, v2, v44
	v_add_f32_e32 v3, v3, v4
	v_fma_f32 v1, v1, v43, -v2
	v_add_f32_e32 v1, v3, v1
	v_add_f32_e32 v46, v46, v47
	v_sub_f32_e32 v1, v119, v1
	v_sub_f32_e32 v2, v120, v46
	buffer_store_dword v1, off, s[0:3], 0 offset:96
	buffer_store_dword v2, off, s[0:3], 0 offset:100
	s_and_saveexec_b64 s[4:5], vcc
	s_cbranch_execz .LBB57_339
; %bb.338:
	buffer_load_dword v1, off, s[0:3], 0 offset:88
	buffer_load_dword v2, off, s[0:3], 0 offset:92
	s_waitcnt vmcnt(0)
	ds_write_b64 v117, v[1:2]
	buffer_store_dword v118, off, s[0:3], 0 offset:88
	buffer_store_dword v118, off, s[0:3], 0 offset:92
.LBB57_339:
	s_or_b64 exec, exec, s[4:5]
	s_waitcnt lgkmcnt(0)
	; wave barrier
	buffer_load_dword v127, off, s[0:3], 0 offset:100
	buffer_load_dword v126, off, s[0:3], 0 offset:108
	;; [unrolled: 1-line block ×33, first 2 shown]
	ds_read_b128 v[128:131], v118 offset:560
	ds_read_b128 v[132:135], v118 offset:576
	;; [unrolled: 1-line block ×6, first 2 shown]
	buffer_load_dword v25, off, s[0:3], 0 offset:216
	buffer_load_dword v26, off, s[0:3], 0 offset:228
	;; [unrolled: 1-line block ×7, first 2 shown]
	ds_read_b128 v[152:155], v118 offset:656
	ds_read_b128 v[156:159], v118 offset:672
	buffer_load_dword v32, off, s[0:3], 0 offset:248
	buffer_load_dword v33, off, s[0:3], 0 offset:252
	;; [unrolled: 1-line block ×8, first 2 shown]
	v_cmp_lt_u32_e32 vcc, 10, v0
	s_waitcnt vmcnt(47) lgkmcnt(7)
	v_mul_f32_e32 v40, v128, v127
	s_waitcnt vmcnt(46)
	v_mul_f32_e32 v41, v130, v126
	s_waitcnt vmcnt(45) lgkmcnt(6)
	v_mul_f32_e32 v42, v132, v125
	s_waitcnt vmcnt(44)
	v_mul_f32_e32 v43, v134, v124
	;; [unrolled: 4-line block ×6, first 2 shown]
	s_waitcnt vmcnt(35)
	v_fmac_f32_e32 v42, v133, v6
	s_waitcnt vmcnt(34)
	v_fmac_f32_e32 v41, v131, v7
	;; [unrolled: 2-line block ×3, first 2 shown]
	v_add_f32_e32 v40, 0, v40
	v_add_f32_e32 v40, v40, v41
	;; [unrolled: 1-line block ×3, first 2 shown]
	s_waitcnt vmcnt(29)
	v_fmac_f32_e32 v43, v135, v12
	v_fmac_f32_e32 v44, v137, v11
	v_add_f32_e32 v40, v40, v43
	v_fmac_f32_e32 v45, v139, v10
	v_add_f32_e32 v40, v40, v44
	;; [unrolled: 2-line block ×3, first 2 shown]
	s_waitcnt vmcnt(25)
	v_fmac_f32_e32 v47, v143, v16
	v_add_f32_e32 v40, v40, v46
	v_fmac_f32_e32 v48, v145, v15
	v_add_f32_e32 v40, v40, v47
	;; [unrolled: 2-line block ×4, first 2 shown]
	s_waitcnt vmcnt(21)
	v_fmac_f32_e32 v162, v151, v20
	v_add_f32_e32 v40, v40, v161
	s_waitcnt vmcnt(20) lgkmcnt(1)
	v_mul_f32_e32 v41, v152, v21
	v_add_f32_e32 v40, v40, v162
	v_fmac_f32_e32 v41, v153, v19
	v_add_f32_e32 v40, v40, v41
	buffer_load_dword v41, off, s[0:3], 0 offset:280
	buffer_load_dword v42, off, s[0:3], 0 offset:284
	;; [unrolled: 1-line block ×8, first 2 shown]
	s_waitcnt vmcnt(27)
	v_mul_f32_e32 v43, v154, v22
	v_fmac_f32_e32 v43, v155, v18
	v_add_f32_e32 v40, v40, v43
	s_waitcnt vmcnt(26) lgkmcnt(0)
	v_mul_f32_e32 v43, v156, v23
	v_fmac_f32_e32 v43, v157, v17
	v_add_f32_e32 v40, v40, v43
	buffer_load_dword v43, off, s[0:3], 0 offset:312
	buffer_load_dword v221, off, s[0:3], 0 offset:316
	ds_read_b128 v[160:163], v118 offset:688
	buffer_load_dword v222, off, s[0:3], 0 offset:320
	buffer_load_dword v223, off, s[0:3], 0 offset:324
	;; [unrolled: 1-line block ×6, first 2 shown]
	s_waitcnt vmcnt(33)
	v_mul_f32_e32 v164, v158, v24
	s_waitcnt vmcnt(30)
	v_fmac_f32_e32 v164, v159, v25
	v_add_f32_e32 v40, v40, v164
	ds_read_b128 v[164:167], v118 offset:704
	buffer_load_dword v228, off, s[0:3], 0 offset:344
	buffer_load_dword v229, off, s[0:3], 0 offset:348
	;; [unrolled: 1-line block ×10, first 2 shown]
	s_waitcnt vmcnt(39) lgkmcnt(1)
	v_mul_f32_e32 v168, v160, v26
	buffer_load_dword v238, off, s[0:3], 0 offset:384
	buffer_load_dword v239, off, s[0:3], 0 offset:388
	;; [unrolled: 1-line block ×6, first 2 shown]
	s_waitcnt vmcnt(40)
	v_fmac_f32_e32 v168, v161, v31
	v_add_f32_e32 v40, v40, v168
	v_mul_f32_e32 v168, v162, v28
	v_fmac_f32_e32 v168, v163, v27
	v_add_f32_e32 v40, v40, v168
	s_waitcnt lgkmcnt(0)
	v_mul_f32_e32 v168, v164, v30
	v_fmac_f32_e32 v168, v165, v29
	v_add_f32_e32 v40, v40, v168
	ds_read_b128 v[168:171], v118 offset:720
	buffer_load_dword v244, off, s[0:3], 0 offset:408
	buffer_load_dword v245, off, s[0:3], 0 offset:412
	s_waitcnt vmcnt(40)
	v_mul_f32_e32 v172, v166, v33
	v_fmac_f32_e32 v172, v167, v32
	v_add_f32_e32 v40, v40, v172
	ds_read_b128 v[172:175], v118 offset:736
	buffer_load_dword v246, off, s[0:3], 0 offset:416
	buffer_load_dword v247, off, s[0:3], 0 offset:420
	;; [unrolled: 1-line block ×12, first 2 shown]
	s_waitcnt vmcnt(50) lgkmcnt(1)
	v_mul_f32_e32 v176, v168, v35
	v_fmac_f32_e32 v176, v169, v34
	v_add_f32_e32 v40, v40, v176
	s_waitcnt vmcnt(48)
	v_mul_f32_e32 v176, v170, v37
	v_fmac_f32_e32 v176, v171, v36
	v_add_f32_e32 v40, v40, v176
	s_waitcnt vmcnt(46) lgkmcnt(0)
	v_mul_f32_e32 v176, v172, v39
	v_fmac_f32_e32 v176, v173, v38
	v_add_f32_e32 v40, v40, v176
	ds_read_b128 v[176:179], v118 offset:752
	v_mul_f32_e32 v1, v143, v1
	v_fma_f32 v1, v142, v16, -v1
	v_mul_f32_e32 v2, v145, v2
	v_fma_f32 v2, v144, v15, -v2
	s_waitcnt vmcnt(44)
	v_mul_f32_e32 v180, v174, v42
	v_fmac_f32_e32 v180, v175, v41
	v_add_f32_e32 v40, v40, v180
	ds_read_b128 v[180:183], v118 offset:768
	s_waitcnt vmcnt(42) lgkmcnt(1)
	v_mul_f32_e32 v184, v176, v45
	v_fmac_f32_e32 v184, v177, v44
	v_add_f32_e32 v40, v40, v184
	s_waitcnt vmcnt(41)
	v_mul_f32_e32 v184, v178, v46
	s_waitcnt vmcnt(38)
	v_fmac_f32_e32 v184, v179, v220
	v_add_f32_e32 v40, v40, v184
	s_waitcnt lgkmcnt(0)
	v_mul_f32_e32 v184, v180, v48
	v_fmac_f32_e32 v184, v181, v47
	v_add_f32_e32 v40, v40, v184
	ds_read_b128 v[184:187], v118 offset:784
	s_waitcnt vmcnt(36)
	v_mul_f32_e32 v188, v182, v221
	v_fmac_f32_e32 v188, v183, v43
	v_add_f32_e32 v40, v40, v188
	ds_read_b128 v[188:191], v118 offset:800
	s_waitcnt vmcnt(34) lgkmcnt(1)
	v_mul_f32_e32 v192, v184, v223
	v_fmac_f32_e32 v192, v185, v222
	v_add_f32_e32 v40, v40, v192
	s_waitcnt vmcnt(33)
	v_mul_f32_e32 v192, v186, v224
	s_waitcnt vmcnt(30)
	v_fmac_f32_e32 v192, v187, v227
	v_add_f32_e32 v40, v40, v192
	s_waitcnt lgkmcnt(0)
	v_mul_f32_e32 v192, v188, v226
	v_fmac_f32_e32 v192, v189, v225
	v_add_f32_e32 v40, v40, v192
	ds_read_b128 v[192:195], v118 offset:816
	s_waitcnt vmcnt(28)
	v_mul_f32_e32 v196, v190, v229
	v_fmac_f32_e32 v196, v191, v228
	v_add_f32_e32 v40, v40, v196
	ds_read_b128 v[196:199], v118 offset:832
	s_waitcnt vmcnt(26) lgkmcnt(1)
	v_mul_f32_e32 v200, v192, v231
	v_fmac_f32_e32 v200, v193, v230
	v_add_f32_e32 v40, v40, v200
	s_waitcnt vmcnt(25)
	v_mul_f32_e32 v200, v194, v232
	s_waitcnt vmcnt(22)
	v_fmac_f32_e32 v200, v195, v235
	v_add_f32_e32 v40, v40, v200
	s_waitcnt lgkmcnt(0)
	v_mul_f32_e32 v200, v196, v234
	v_fmac_f32_e32 v200, v197, v233
	v_add_f32_e32 v40, v40, v200
	ds_read_b128 v[200:203], v118 offset:848
	s_waitcnt vmcnt(20)
	v_mul_f32_e32 v204, v198, v237
	v_fmac_f32_e32 v204, v199, v236
	v_add_f32_e32 v40, v40, v204
	ds_read_b128 v[204:207], v118 offset:864
	s_waitcnt vmcnt(18) lgkmcnt(1)
	v_mul_f32_e32 v208, v200, v239
	v_fmac_f32_e32 v208, v201, v238
	v_add_f32_e32 v40, v40, v208
	s_waitcnt vmcnt(17)
	v_mul_f32_e32 v208, v202, v240
	s_waitcnt vmcnt(14)
	v_fmac_f32_e32 v208, v203, v243
	v_add_f32_e32 v40, v40, v208
	s_waitcnt lgkmcnt(0)
	v_mul_f32_e32 v208, v204, v242
	v_fmac_f32_e32 v208, v205, v241
	v_add_f32_e32 v40, v40, v208
	ds_read_b128 v[208:211], v118 offset:880
	s_waitcnt vmcnt(12)
	v_mul_f32_e32 v212, v206, v245
	v_fmac_f32_e32 v212, v207, v244
	v_add_f32_e32 v40, v40, v212
	ds_read_b128 v[212:215], v118 offset:896
	s_waitcnt vmcnt(10) lgkmcnt(1)
	v_mul_f32_e32 v216, v208, v247
	v_fmac_f32_e32 v216, v209, v246
	v_add_f32_e32 v40, v40, v216
	s_waitcnt vmcnt(9)
	v_mul_f32_e32 v216, v210, v248
	s_waitcnt vmcnt(6)
	v_fmac_f32_e32 v216, v211, v251
	v_add_f32_e32 v40, v40, v216
	ds_read_b128 v[216:219], v118 offset:912
	s_waitcnt lgkmcnt(1)
	v_mul_f32_e32 v51, v212, v250
	v_fmac_f32_e32 v51, v213, v249
	v_add_f32_e32 v40, v40, v51
	s_waitcnt vmcnt(4)
	v_mul_f32_e32 v51, v214, v253
	v_fmac_f32_e32 v51, v215, v252
	v_add_f32_e32 v40, v40, v51
	s_waitcnt vmcnt(3) lgkmcnt(0)
	v_mul_f32_e32 v51, v216, v254
	s_waitcnt vmcnt(0)
	v_fmac_f32_e32 v51, v217, v50
	v_add_f32_e32 v40, v40, v51
	v_mul_f32_e32 v51, v218, v49
	v_fmac_f32_e32 v51, v219, v255
	v_add_f32_e32 v40, v40, v51
	v_mul_f32_e32 v51, v129, v127
	v_fma_f32 v8, v128, v8, -v51
	v_mul_f32_e32 v51, v131, v126
	v_add_f32_e32 v8, 0, v8
	v_fma_f32 v7, v130, v7, -v51
	v_add_f32_e32 v7, v8, v7
	v_mul_f32_e32 v8, v133, v125
	v_fma_f32 v6, v132, v6, -v8
	v_add_f32_e32 v6, v7, v6
	v_mul_f32_e32 v7, v135, v124
	;; [unrolled: 3-line block ×5, first 2 shown]
	v_fma_f32 v7, v140, v9, -v7
	v_add_f32_e32 v6, v6, v7
	v_add_f32_e32 v1, v6, v1
	;; [unrolled: 1-line block ×3, first 2 shown]
	v_mul_f32_e32 v2, v147, v3
	v_fma_f32 v2, v146, v14, -v2
	v_add_f32_e32 v1, v1, v2
	v_mul_f32_e32 v2, v149, v4
	v_fma_f32 v2, v148, v13, -v2
	v_add_f32_e32 v1, v1, v2
	;; [unrolled: 3-line block ×37, first 2 shown]
	v_sub_f32_e32 v1, v119, v1
	v_sub_f32_e32 v2, v120, v40
	buffer_store_dword v1, off, s[0:3], 0 offset:88
	buffer_store_dword v2, off, s[0:3], 0 offset:92
	s_and_saveexec_b64 s[4:5], vcc
	s_cbranch_execz .LBB57_341
; %bb.340:
	buffer_load_dword v1, off, s[0:3], 0 offset:80
	buffer_load_dword v2, off, s[0:3], 0 offset:84
	v_mov_b32_e32 v3, 0
	buffer_store_dword v3, off, s[0:3], 0 offset:80
	buffer_store_dword v3, off, s[0:3], 0 offset:84
	s_waitcnt vmcnt(2)
	ds_write_b64 v117, v[1:2]
.LBB57_341:
	s_or_b64 exec, exec, s[4:5]
	s_waitcnt lgkmcnt(0)
	; wave barrier
	buffer_load_dword v125, off, s[0:3], 0 offset:92
	buffer_load_dword v124, off, s[0:3], 0 offset:100
	;; [unrolled: 1-line block ×40, first 2 shown]
	v_mov_b32_e32 v118, 0
	buffer_load_dword v34, off, s[0:3], 0 offset:240
	buffer_load_dword v35, off, s[0:3], 0 offset:244
	;; [unrolled: 1-line block ×8, first 2 shown]
	ds_read2_b64 v[128:131], v118 offset0:69 offset1:70
	ds_read2_b64 v[132:135], v118 offset0:71 offset1:72
	;; [unrolled: 1-line block ×8, first 2 shown]
	v_cmp_lt_u32_e32 vcc, 9, v0
	s_waitcnt vmcnt(47) lgkmcnt(7)
	v_mul_f32_e32 v1, v128, v125
	s_waitcnt vmcnt(46)
	v_mul_f32_e32 v2, v130, v124
	s_waitcnt vmcnt(45) lgkmcnt(6)
	v_mul_f32_e32 v42, v132, v123
	s_waitcnt vmcnt(44)
	v_mul_f32_e32 v43, v134, v122
	;; [unrolled: 4-line block ×6, first 2 shown]
	s_waitcnt vmcnt(35)
	v_fmac_f32_e32 v42, v133, v8
	s_waitcnt vmcnt(34)
	v_fmac_f32_e32 v2, v131, v9
	;; [unrolled: 2-line block ×3, first 2 shown]
	v_add_f32_e32 v1, 0, v1
	v_add_f32_e32 v1, v1, v2
	v_add_f32_e32 v1, v1, v42
	s_waitcnt vmcnt(29)
	v_fmac_f32_e32 v43, v135, v14
	v_fmac_f32_e32 v44, v137, v13
	v_add_f32_e32 v1, v1, v43
	v_fmac_f32_e32 v45, v139, v12
	v_add_f32_e32 v1, v1, v44
	buffer_load_dword v42, off, s[0:3], 0 offset:272
	buffer_load_dword v43, off, s[0:3], 0 offset:276
	v_fmac_f32_e32 v46, v141, v11
	v_add_f32_e32 v1, v1, v45
	s_waitcnt vmcnt(27)
	v_fmac_f32_e32 v47, v143, v18
	v_add_f32_e32 v1, v1, v46
	v_fmac_f32_e32 v48, v145, v17
	v_add_f32_e32 v1, v1, v47
	;; [unrolled: 2-line block ×3, first 2 shown]
	v_add_f32_e32 v1, v1, v49
	buffer_load_dword v44, off, s[0:3], 0 offset:280
	buffer_load_dword v45, off, s[0:3], 0 offset:284
	;; [unrolled: 1-line block ×6, first 2 shown]
	v_fmac_f32_e32 v50, v149, v15
	s_waitcnt vmcnt(29)
	v_fmac_f32_e32 v51, v151, v22
	v_add_f32_e32 v1, v1, v50
	v_add_f32_e32 v1, v1, v51
	buffer_load_dword v50, off, s[0:3], 0 offset:304
	buffer_load_dword v51, off, s[0:3], 0 offset:308
	ds_read2_b64 v[160:163], v118 offset0:85 offset1:86
	buffer_load_dword v52, off, s[0:3], 0 offset:312
	buffer_load_dword v220, off, s[0:3], 0 offset:316
	;; [unrolled: 1-line block ×6, first 2 shown]
	ds_read2_b64 v[164:167], v118 offset0:87 offset1:88
	buffer_load_dword v225, off, s[0:3], 0 offset:336
	buffer_load_dword v226, off, s[0:3], 0 offset:340
	;; [unrolled: 1-line block ×10, first 2 shown]
	ds_read2_b64 v[168:171], v118 offset0:89 offset1:90
	buffer_load_dword v235, off, s[0:3], 0 offset:376
	buffer_load_dword v236, off, s[0:3], 0 offset:380
	;; [unrolled: 1-line block ×6, first 2 shown]
	ds_read2_b64 v[172:175], v118 offset0:91 offset1:92
	buffer_load_dword v241, off, s[0:3], 0 offset:400
	buffer_load_dword v242, off, s[0:3], 0 offset:404
	;; [unrolled: 1-line block ×16, first 2 shown]
	s_waitcnt vmcnt(62) lgkmcnt(5)
	v_mul_f32_e32 v2, v152, v23
	v_fmac_f32_e32 v2, v153, v21
	v_add_f32_e32 v1, v1, v2
	v_mul_f32_e32 v2, v154, v24
	v_fmac_f32_e32 v2, v155, v20
	v_add_f32_e32 v1, v1, v2
	s_waitcnt lgkmcnt(4)
	v_mul_f32_e32 v2, v156, v25
	v_fmac_f32_e32 v2, v157, v19
	v_add_f32_e32 v1, v1, v2
	v_mul_f32_e32 v2, v158, v26
	s_waitcnt vmcnt(58)
	v_fmac_f32_e32 v2, v159, v33
	v_add_f32_e32 v1, v1, v2
	s_waitcnt lgkmcnt(3)
	v_mul_f32_e32 v2, v160, v28
	v_fmac_f32_e32 v2, v161, v27
	v_add_f32_e32 v1, v1, v2
	v_mul_f32_e32 v2, v162, v30
	v_fmac_f32_e32 v2, v163, v29
	v_add_f32_e32 v1, v1, v2
	s_waitcnt lgkmcnt(2)
	v_mul_f32_e32 v2, v164, v32
	v_fmac_f32_e32 v2, v165, v31
	v_add_f32_e32 v1, v1, v2
	s_waitcnt vmcnt(54)
	v_mul_f32_e32 v2, v166, v35
	v_fmac_f32_e32 v2, v167, v34
	v_add_f32_e32 v1, v1, v2
	s_waitcnt vmcnt(52) lgkmcnt(1)
	v_mul_f32_e32 v2, v168, v37
	v_fmac_f32_e32 v2, v169, v36
	v_add_f32_e32 v1, v1, v2
	s_waitcnt vmcnt(50)
	v_mul_f32_e32 v2, v170, v39
	v_fmac_f32_e32 v2, v171, v38
	ds_read2_b64 v[176:179], v118 offset0:93 offset1:94
	ds_read2_b64 v[180:183], v118 offset0:95 offset1:96
	v_add_f32_e32 v1, v1, v2
	s_waitcnt vmcnt(48) lgkmcnt(2)
	v_mul_f32_e32 v2, v172, v41
	v_fmac_f32_e32 v2, v173, v40
	v_add_f32_e32 v1, v1, v2
	ds_read2_b64 v[184:187], v118 offset0:97 offset1:98
	ds_read2_b64 v[188:191], v118 offset0:99 offset1:100
	;; [unrolled: 1-line block ×9, first 2 shown]
	v_mul_f32_e32 v3, v143, v3
	v_fma_f32 v3, v142, v18, -v3
	v_mul_f32_e32 v4, v145, v4
	v_fma_f32 v4, v144, v17, -v4
	s_waitcnt vmcnt(46)
	v_mul_f32_e32 v2, v174, v43
	v_fmac_f32_e32 v2, v175, v42
	v_add_f32_e32 v1, v1, v2
	s_waitcnt vmcnt(44) lgkmcnt(10)
	v_mul_f32_e32 v2, v176, v45
	v_fmac_f32_e32 v2, v177, v44
	v_add_f32_e32 v1, v1, v2
	s_waitcnt vmcnt(43)
	v_mul_f32_e32 v2, v178, v46
	s_waitcnt vmcnt(40)
	v_fmac_f32_e32 v2, v179, v49
	v_add_f32_e32 v1, v1, v2
	s_waitcnt lgkmcnt(9)
	v_mul_f32_e32 v2, v180, v48
	v_fmac_f32_e32 v2, v181, v47
	v_add_f32_e32 v1, v1, v2
	s_waitcnt vmcnt(38)
	v_mul_f32_e32 v2, v182, v51
	v_fmac_f32_e32 v2, v183, v50
	v_add_f32_e32 v1, v1, v2
	s_waitcnt vmcnt(36) lgkmcnt(8)
	v_mul_f32_e32 v2, v184, v220
	v_fmac_f32_e32 v2, v185, v52
	v_add_f32_e32 v1, v1, v2
	s_waitcnt vmcnt(35)
	v_mul_f32_e32 v2, v186, v221
	s_waitcnt vmcnt(32)
	v_fmac_f32_e32 v2, v187, v224
	v_add_f32_e32 v1, v1, v2
	s_waitcnt lgkmcnt(7)
	v_mul_f32_e32 v2, v188, v223
	v_fmac_f32_e32 v2, v189, v222
	v_add_f32_e32 v1, v1, v2
	;; [unrolled: 17-line block ×5, first 2 shown]
	s_waitcnt vmcnt(6)
	v_mul_f32_e32 v2, v214, v250
	v_fmac_f32_e32 v2, v215, v249
	v_add_f32_e32 v54, v1, v2
	ds_read_b64 v[1:2], v118 offset:920
	s_waitcnt vmcnt(4) lgkmcnt(1)
	v_mul_f32_e32 v55, v216, v252
	v_fmac_f32_e32 v55, v217, v251
	v_add_f32_e32 v54, v54, v55
	s_waitcnt vmcnt(3)
	v_mul_f32_e32 v55, v218, v253
	s_waitcnt vmcnt(0)
	v_fmac_f32_e32 v55, v219, v53
	v_add_f32_e32 v54, v54, v55
	s_waitcnt lgkmcnt(0)
	v_mul_f32_e32 v55, v1, v255
	v_fmac_f32_e32 v55, v2, v254
	v_add_f32_e32 v54, v54, v55
	v_mul_f32_e32 v55, v129, v125
	v_fma_f32 v10, v128, v10, -v55
	v_mul_f32_e32 v55, v131, v124
	v_add_f32_e32 v10, 0, v10
	v_fma_f32 v9, v130, v9, -v55
	v_add_f32_e32 v9, v10, v9
	v_mul_f32_e32 v10, v133, v123
	v_fma_f32 v8, v132, v8, -v10
	v_add_f32_e32 v8, v9, v8
	v_mul_f32_e32 v9, v135, v122
	v_fma_f32 v9, v134, v14, -v9
	v_add_f32_e32 v8, v8, v9
	v_mul_f32_e32 v9, v137, v121
	v_fma_f32 v9, v136, v13, -v9
	v_add_f32_e32 v8, v8, v9
	v_mul_f32_e32 v9, v139, v120
	v_fma_f32 v9, v138, v12, -v9
	v_add_f32_e32 v8, v8, v9
	v_mul_f32_e32 v9, v141, v119
	v_fma_f32 v9, v140, v11, -v9
	v_add_f32_e32 v8, v8, v9
	v_add_f32_e32 v3, v8, v3
	;; [unrolled: 1-line block ×3, first 2 shown]
	v_mul_f32_e32 v4, v147, v5
	v_fma_f32 v4, v146, v16, -v4
	v_add_f32_e32 v3, v3, v4
	v_mul_f32_e32 v4, v149, v6
	v_fma_f32 v4, v148, v15, -v4
	v_add_f32_e32 v3, v3, v4
	v_mul_f32_e32 v4, v151, v7
	v_fma_f32 v4, v150, v22, -v4
	v_add_f32_e32 v3, v3, v4
	v_mul_f32_e32 v4, v153, v23
	v_fma_f32 v4, v152, v21, -v4
	v_add_f32_e32 v3, v3, v4
	v_mul_f32_e32 v4, v155, v24
	v_fma_f32 v4, v154, v20, -v4
	v_add_f32_e32 v3, v3, v4
	v_mul_f32_e32 v4, v157, v25
	v_fma_f32 v4, v156, v19, -v4
	v_add_f32_e32 v3, v3, v4
	v_mul_f32_e32 v4, v159, v26
	v_fma_f32 v4, v158, v33, -v4
	v_add_f32_e32 v3, v3, v4
	v_mul_f32_e32 v4, v161, v28
	v_fma_f32 v4, v160, v27, -v4
	v_add_f32_e32 v3, v3, v4
	v_mul_f32_e32 v4, v163, v30
	v_fma_f32 v4, v162, v29, -v4
	v_add_f32_e32 v3, v3, v4
	v_mul_f32_e32 v4, v165, v32
	v_fma_f32 v4, v164, v31, -v4
	v_add_f32_e32 v3, v3, v4
	v_mul_f32_e32 v4, v167, v35
	v_fma_f32 v4, v166, v34, -v4
	v_add_f32_e32 v3, v3, v4
	v_mul_f32_e32 v4, v169, v37
	v_fma_f32 v4, v168, v36, -v4
	v_add_f32_e32 v3, v3, v4
	v_mul_f32_e32 v4, v171, v39
	v_fma_f32 v4, v170, v38, -v4
	v_add_f32_e32 v3, v3, v4
	v_mul_f32_e32 v4, v173, v41
	v_fma_f32 v4, v172, v40, -v4
	v_add_f32_e32 v3, v3, v4
	v_mul_f32_e32 v4, v175, v43
	v_fma_f32 v4, v174, v42, -v4
	v_add_f32_e32 v3, v3, v4
	v_mul_f32_e32 v4, v177, v45
	v_fma_f32 v4, v176, v44, -v4
	v_add_f32_e32 v3, v3, v4
	v_mul_f32_e32 v4, v179, v46
	v_fma_f32 v4, v178, v49, -v4
	v_add_f32_e32 v3, v3, v4
	v_mul_f32_e32 v4, v181, v48
	v_fma_f32 v4, v180, v47, -v4
	v_add_f32_e32 v3, v3, v4
	v_mul_f32_e32 v4, v183, v51
	v_fma_f32 v4, v182, v50, -v4
	v_add_f32_e32 v3, v3, v4
	v_mul_f32_e32 v4, v185, v220
	v_fma_f32 v4, v184, v52, -v4
	v_add_f32_e32 v3, v3, v4
	v_mul_f32_e32 v4, v187, v221
	v_fma_f32 v4, v186, v224, -v4
	v_add_f32_e32 v3, v3, v4
	v_mul_f32_e32 v4, v189, v223
	v_fma_f32 v4, v188, v222, -v4
	v_add_f32_e32 v3, v3, v4
	v_mul_f32_e32 v4, v191, v226
	v_fma_f32 v4, v190, v225, -v4
	v_add_f32_e32 v3, v3, v4
	v_mul_f32_e32 v4, v193, v228
	v_fma_f32 v4, v192, v227, -v4
	v_add_f32_e32 v3, v3, v4
	v_mul_f32_e32 v4, v195, v229
	v_fma_f32 v4, v194, v232, -v4
	v_add_f32_e32 v3, v3, v4
	v_mul_f32_e32 v4, v197, v231
	v_fma_f32 v4, v196, v230, -v4
	v_add_f32_e32 v3, v3, v4
	v_mul_f32_e32 v4, v199, v234
	v_fma_f32 v4, v198, v233, -v4
	v_add_f32_e32 v3, v3, v4
	v_mul_f32_e32 v4, v201, v236
	v_fma_f32 v4, v200, v235, -v4
	v_add_f32_e32 v3, v3, v4
	v_mul_f32_e32 v4, v203, v237
	v_fma_f32 v4, v202, v240, -v4
	v_add_f32_e32 v3, v3, v4
	v_mul_f32_e32 v4, v205, v239
	v_fma_f32 v4, v204, v238, -v4
	v_add_f32_e32 v3, v3, v4
	v_mul_f32_e32 v4, v207, v242
	v_fma_f32 v4, v206, v241, -v4
	v_add_f32_e32 v3, v3, v4
	v_mul_f32_e32 v4, v209, v244
	v_fma_f32 v4, v208, v243, -v4
	v_add_f32_e32 v3, v3, v4
	v_mul_f32_e32 v4, v211, v245
	v_fma_f32 v4, v210, v248, -v4
	v_add_f32_e32 v3, v3, v4
	v_mul_f32_e32 v4, v213, v247
	v_fma_f32 v4, v212, v246, -v4
	v_add_f32_e32 v3, v3, v4
	v_mul_f32_e32 v4, v215, v250
	v_fma_f32 v4, v214, v249, -v4
	v_add_f32_e32 v3, v3, v4
	v_mul_f32_e32 v4, v217, v252
	v_fma_f32 v4, v216, v251, -v4
	v_add_f32_e32 v3, v3, v4
	v_mul_f32_e32 v4, v219, v253
	v_fma_f32 v4, v218, v53, -v4
	v_mul_f32_e32 v2, v2, v255
	v_add_f32_e32 v3, v3, v4
	v_fma_f32 v1, v1, v254, -v2
	v_add_f32_e32 v1, v3, v1
	v_sub_f32_e32 v1, v126, v1
	v_sub_f32_e32 v2, v127, v54
	buffer_store_dword v1, off, s[0:3], 0 offset:80
	buffer_store_dword v2, off, s[0:3], 0 offset:84
	s_and_saveexec_b64 s[4:5], vcc
	s_cbranch_execz .LBB57_343
; %bb.342:
	buffer_load_dword v1, off, s[0:3], 0 offset:72
	buffer_load_dword v2, off, s[0:3], 0 offset:76
	s_waitcnt vmcnt(0)
	ds_write_b64 v117, v[1:2]
	buffer_store_dword v118, off, s[0:3], 0 offset:72
	buffer_store_dword v118, off, s[0:3], 0 offset:76
.LBB57_343:
	s_or_b64 exec, exec, s[4:5]
	s_waitcnt lgkmcnt(0)
	; wave barrier
	buffer_load_dword v125, off, s[0:3], 0 offset:84
	buffer_load_dword v124, off, s[0:3], 0 offset:92
	;; [unrolled: 1-line block ×40, first 2 shown]
	ds_read_b128 v[156:159], v118 offset:544
	ds_read_b128 v[160:163], v118 offset:560
	;; [unrolled: 1-line block ×7, first 2 shown]
	buffer_load_dword v4, off, s[0:3], 0 offset:232
	buffer_load_dword v5, off, s[0:3], 0 offset:236
	;; [unrolled: 1-line block ×8, first 2 shown]
	v_cmp_lt_u32_e32 vcc, 8, v0
	s_waitcnt vmcnt(47) lgkmcnt(6)
	v_mul_f32_e32 v12, v156, v125
	s_waitcnt vmcnt(46)
	v_mul_f32_e32 v13, v158, v124
	s_waitcnt vmcnt(45) lgkmcnt(5)
	v_mul_f32_e32 v14, v160, v123
	s_waitcnt vmcnt(44)
	v_mul_f32_e32 v15, v162, v122
	;; [unrolled: 4-line block ×6, first 2 shown]
	s_waitcnt vmcnt(35)
	v_fmac_f32_e32 v14, v161, v138
	s_waitcnt vmcnt(34)
	v_fmac_f32_e32 v13, v159, v141
	;; [unrolled: 2-line block ×3, first 2 shown]
	v_add_f32_e32 v12, 0, v12
	v_add_f32_e32 v12, v12, v13
	v_add_f32_e32 v12, v12, v14
	buffer_load_dword v13, off, s[0:3], 0 offset:264
	buffer_load_dword v14, off, s[0:3], 0 offset:268
	s_waitcnt vmcnt(31)
	v_fmac_f32_e32 v15, v163, v143
	v_fmac_f32_e32 v16, v165, v140
	v_add_f32_e32 v12, v12, v15
	v_fmac_f32_e32 v17, v167, v137
	v_add_f32_e32 v12, v12, v16
	;; [unrolled: 2-line block ×3, first 2 shown]
	s_waitcnt vmcnt(27)
	v_fmac_f32_e32 v19, v171, v139
	v_add_f32_e32 v12, v12, v18
	v_fmac_f32_e32 v20, v173, v136
	v_add_f32_e32 v12, v12, v19
	v_fmac_f32_e32 v21, v175, v134
	v_add_f32_e32 v12, v12, v20
	v_fmac_f32_e32 v22, v177, v133
	v_add_f32_e32 v12, v12, v21
	ds_read_b128 v[184:187], v118 offset:656
	s_waitcnt vmcnt(23)
	v_fmac_f32_e32 v23, v179, v151
	v_add_f32_e32 v12, v12, v22
	s_waitcnt vmcnt(22) lgkmcnt(1)
	v_mul_f32_e32 v15, v180, v150
	v_add_f32_e32 v12, v12, v23
	v_fmac_f32_e32 v15, v181, v147
	v_add_f32_e32 v12, v12, v15
	s_waitcnt vmcnt(21)
	v_mul_f32_e32 v15, v182, v148
	v_fmac_f32_e32 v15, v183, v145
	v_add_f32_e32 v12, v12, v15
	s_waitcnt vmcnt(20) lgkmcnt(0)
	v_mul_f32_e32 v15, v184, v146
	v_fmac_f32_e32 v15, v185, v142
	v_add_f32_e32 v12, v12, v15
	buffer_load_dword v15, off, s[0:3], 0 offset:272
	buffer_load_dword v16, off, s[0:3], 0 offset:276
	;; [unrolled: 1-line block ×6, first 2 shown]
	s_waitcnt vmcnt(25)
	v_mul_f32_e32 v21, v186, v149
	s_waitcnt vmcnt(18)
	v_fmac_f32_e32 v21, v187, v3
	ds_read_b128 v[188:191], v118 offset:672
	v_add_f32_e32 v12, v12, v21
	buffer_load_dword v21, off, s[0:3], 0 offset:296
	buffer_load_dword v22, off, s[0:3], 0 offset:300
	ds_read_b128 v[192:195], v118 offset:688
	buffer_load_dword v24, off, s[0:3], 0 offset:304
	buffer_load_dword v25, off, s[0:3], 0 offset:308
	;; [unrolled: 1-line block ×14, first 2 shown]
	s_waitcnt lgkmcnt(1)
	v_mul_f32_e32 v23, v188, v153
	v_fmac_f32_e32 v23, v189, v152
	v_add_f32_e32 v12, v12, v23
	v_mul_f32_e32 v23, v190, v155
	buffer_load_dword v38, off, s[0:3], 0 offset:360
	buffer_load_dword v39, off, s[0:3], 0 offset:364
	v_fmac_f32_e32 v23, v191, v154
	v_add_f32_e32 v12, v12, v23
	s_waitcnt lgkmcnt(0)
	v_mul_f32_e32 v23, v192, v2
	v_fmac_f32_e32 v23, v193, v1
	v_add_f32_e32 v12, v12, v23
	s_waitcnt vmcnt(32)
	v_mul_f32_e32 v23, v194, v5
	ds_read_b128 v[196:199], v118 offset:704
	v_fmac_f32_e32 v23, v195, v4
	v_add_f32_e32 v12, v12, v23
	buffer_load_dword v23, off, s[0:3], 0 offset:368
	buffer_load_dword v40, off, s[0:3], 0 offset:372
	;; [unrolled: 1-line block ×6, first 2 shown]
	ds_read_b128 v[200:203], v118 offset:720
	s_waitcnt vmcnt(36) lgkmcnt(1)
	v_mul_f32_e32 v45, v196, v7
	v_fmac_f32_e32 v45, v197, v6
	v_add_f32_e32 v12, v12, v45
	buffer_load_dword v45, off, s[0:3], 0 offset:392
	buffer_load_dword v46, off, s[0:3], 0 offset:396
	;; [unrolled: 1-line block ×8, first 2 shown]
	s_waitcnt vmcnt(42)
	v_mul_f32_e32 v47, v198, v9
	v_fmac_f32_e32 v47, v199, v8
	v_add_f32_e32 v12, v12, v47
	s_waitcnt vmcnt(40) lgkmcnt(0)
	v_mul_f32_e32 v47, v200, v11
	v_fmac_f32_e32 v47, v201, v10
	v_add_f32_e32 v12, v12, v47
	buffer_load_dword v47, off, s[0:3], 0 offset:424
	buffer_load_dword v54, off, s[0:3], 0 offset:428
	;; [unrolled: 1-line block ×8, first 2 shown]
	ds_read_b128 v[204:207], v118 offset:736
	ds_read_b128 v[208:211], v118 offset:752
	v_mul_f32_e32 v124, v159, v124
	v_fma_f32 v124, v158, v141, -v124
	v_mul_f32_e32 v123, v161, v123
	v_fma_f32 v123, v160, v138, -v123
	;; [unrolled: 2-line block ×5, first 2 shown]
	s_waitcnt vmcnt(46)
	v_mul_f32_e32 v55, v202, v14
	v_fmac_f32_e32 v55, v203, v13
	v_add_f32_e32 v12, v12, v55
	buffer_load_dword v55, off, s[0:3], 0 offset:456
	buffer_load_dword v58, off, s[0:3], 0 offset:460
	v_mul_f32_e32 v119, v169, v119
	v_fma_f32 v119, v168, v135, -v119
	v_mul_f32_e32 v2, v193, v2
	v_fma_f32 v1, v192, v1, -v2
	;; [unrolled: 2-line block ×3, first 2 shown]
	s_waitcnt vmcnt(46) lgkmcnt(1)
	v_mul_f32_e32 v212, v204, v16
	v_fmac_f32_e32 v212, v205, v15
	v_add_f32_e32 v12, v12, v212
	s_waitcnt vmcnt(45)
	v_mul_f32_e32 v212, v206, v17
	s_waitcnt vmcnt(42)
	v_fmac_f32_e32 v212, v207, v20
	v_add_f32_e32 v12, v12, v212
	s_waitcnt lgkmcnt(0)
	v_mul_f32_e32 v212, v208, v19
	v_fmac_f32_e32 v212, v209, v18
	v_add_f32_e32 v12, v12, v212
	ds_read_b128 v[212:215], v118 offset:768
	s_waitcnt vmcnt(40)
	v_mul_f32_e32 v216, v210, v22
	v_fmac_f32_e32 v216, v211, v21
	v_add_f32_e32 v12, v12, v216
	ds_read_b128 v[216:219], v118 offset:784
	s_waitcnt vmcnt(38) lgkmcnt(1)
	v_mul_f32_e32 v220, v212, v25
	v_fmac_f32_e32 v220, v213, v24
	v_add_f32_e32 v12, v12, v220
	s_waitcnt vmcnt(37)
	v_mul_f32_e32 v220, v214, v26
	s_waitcnt vmcnt(34)
	v_fmac_f32_e32 v220, v215, v29
	v_add_f32_e32 v12, v12, v220
	s_waitcnt lgkmcnt(0)
	v_mul_f32_e32 v220, v216, v28
	v_fmac_f32_e32 v220, v217, v27
	v_add_f32_e32 v12, v12, v220
	ds_read_b128 v[220:223], v118 offset:800
	s_waitcnt vmcnt(32)
	v_mul_f32_e32 v224, v218, v31
	v_fmac_f32_e32 v224, v219, v30
	v_add_f32_e32 v12, v12, v224
	ds_read_b128 v[224:227], v118 offset:816
	;; [unrolled: 19-line block ×5, first 2 shown]
	s_waitcnt vmcnt(6) lgkmcnt(1)
	v_mul_f32_e32 v118, v244, v252
	v_fmac_f32_e32 v118, v245, v56
	v_add_f32_e32 v12, v12, v118
	s_waitcnt vmcnt(5)
	v_mul_f32_e32 v118, v246, v253
	s_waitcnt vmcnt(2)
	v_fmac_f32_e32 v118, v247, v57
	v_add_f32_e32 v12, v12, v118
	s_waitcnt lgkmcnt(0)
	v_mul_f32_e32 v118, v248, v255
	v_fmac_f32_e32 v118, v249, v254
	v_add_f32_e32 v12, v12, v118
	s_waitcnt vmcnt(0)
	v_mul_f32_e32 v118, v250, v58
	v_fmac_f32_e32 v118, v251, v55
	v_add_f32_e32 v12, v12, v118
	v_mul_f32_e32 v118, v157, v125
	v_fma_f32 v118, v156, v144, -v118
	v_add_f32_e32 v118, 0, v118
	v_add_f32_e32 v118, v118, v124
	;; [unrolled: 1-line block ×7, first 2 shown]
	v_mul_f32_e32 v119, v171, v128
	v_fma_f32 v119, v170, v139, -v119
	v_add_f32_e32 v118, v118, v119
	v_mul_f32_e32 v119, v173, v129
	v_fma_f32 v119, v172, v136, -v119
	v_add_f32_e32 v118, v118, v119
	;; [unrolled: 3-line block ×11, first 2 shown]
	v_add_f32_e32 v1, v3, v1
	v_add_f32_e32 v1, v1, v2
	v_mul_f32_e32 v2, v197, v7
	v_fma_f32 v2, v196, v6, -v2
	v_add_f32_e32 v1, v1, v2
	v_mul_f32_e32 v2, v199, v9
	v_fma_f32 v2, v198, v8, -v2
	;; [unrolled: 3-line block ×28, first 2 shown]
	v_add_f32_e32 v1, v1, v2
	v_sub_f32_e32 v1, v126, v1
	v_sub_f32_e32 v2, v127, v12
	buffer_store_dword v1, off, s[0:3], 0 offset:72
	buffer_store_dword v2, off, s[0:3], 0 offset:76
	s_and_saveexec_b64 s[4:5], vcc
	s_cbranch_execz .LBB57_345
; %bb.344:
	buffer_load_dword v1, off, s[0:3], 0 offset:64
	buffer_load_dword v2, off, s[0:3], 0 offset:68
	v_mov_b32_e32 v3, 0
	buffer_store_dword v3, off, s[0:3], 0 offset:64
	buffer_store_dword v3, off, s[0:3], 0 offset:68
	s_waitcnt vmcnt(2)
	ds_write_b64 v117, v[1:2]
.LBB57_345:
	s_or_b64 exec, exec, s[4:5]
	s_waitcnt lgkmcnt(0)
	; wave barrier
	buffer_load_dword v125, off, s[0:3], 0 offset:76
	buffer_load_dword v124, off, s[0:3], 0 offset:84
	;; [unrolled: 1-line block ×40, first 2 shown]
	v_mov_b32_e32 v118, 0
	buffer_load_dword v30, off, s[0:3], 0 offset:224
	buffer_load_dword v31, off, s[0:3], 0 offset:228
	;; [unrolled: 1-line block ×10, first 2 shown]
	ds_read2_b64 v[132:135], v118 offset0:67 offset1:68
	ds_read2_b64 v[136:139], v118 offset0:69 offset1:70
	;; [unrolled: 1-line block ×8, first 2 shown]
	v_cmp_lt_u32_e32 vcc, 7, v0
	s_waitcnt vmcnt(49) lgkmcnt(7)
	v_mul_f32_e32 v1, v132, v125
	s_waitcnt vmcnt(48)
	v_mul_f32_e32 v2, v134, v124
	s_waitcnt vmcnt(47) lgkmcnt(6)
	v_mul_f32_e32 v40, v136, v123
	s_waitcnt vmcnt(46)
	v_mul_f32_e32 v41, v138, v122
	;; [unrolled: 4-line block ×5, first 2 shown]
	s_waitcnt vmcnt(39) lgkmcnt(2)
	v_mul_f32_e32 v48, v152, v131
	s_waitcnt vmcnt(38)
	v_fmac_f32_e32 v40, v137, v3
	s_waitcnt vmcnt(37)
	v_fmac_f32_e32 v2, v135, v4
	;; [unrolled: 2-line block ×3, first 2 shown]
	v_add_f32_e32 v1, 0, v1
	v_add_f32_e32 v1, v1, v2
	;; [unrolled: 1-line block ×3, first 2 shown]
	s_waitcnt vmcnt(32)
	v_fmac_f32_e32 v41, v139, v9
	v_fmac_f32_e32 v42, v141, v8
	v_add_f32_e32 v1, v1, v41
	v_fmac_f32_e32 v43, v143, v7
	v_add_f32_e32 v1, v1, v42
	buffer_load_dword v40, off, s[0:3], 0 offset:264
	buffer_load_dword v41, off, s[0:3], 0 offset:268
	v_fmac_f32_e32 v44, v145, v6
	v_add_f32_e32 v1, v1, v43
	s_waitcnt vmcnt(30)
	v_fmac_f32_e32 v45, v147, v13
	v_add_f32_e32 v1, v1, v44
	v_add_f32_e32 v1, v1, v45
	ds_read2_b64 v[164:167], v118 offset0:83 offset1:84
	buffer_load_dword v42, off, s[0:3], 0 offset:276
	buffer_load_dword v43, off, s[0:3], 0 offset:280
	;; [unrolled: 1-line block ×4, first 2 shown]
	v_fmac_f32_e32 v46, v149, v12
	v_fmac_f32_e32 v47, v151, v11
	v_add_f32_e32 v1, v1, v46
	v_add_f32_e32 v1, v1, v47
	ds_read2_b64 v[168:171], v118 offset0:85 offset1:86
	buffer_load_dword v46, off, s[0:3], 0 offset:288
	buffer_load_dword v47, off, s[0:3], 0 offset:292
	v_fmac_f32_e32 v48, v153, v10
	v_add_f32_e32 v1, v1, v48
	buffer_load_dword v48, off, s[0:3], 0 offset:296
	buffer_load_dword v49, off, s[0:3], 0 offset:300
	;; [unrolled: 1-line block ×14, first 2 shown]
	ds_read2_b64 v[172:175], v118 offset0:87 offset1:88
	buffer_load_dword v231, off, s[0:3], 0 offset:352
	buffer_load_dword v232, off, s[0:3], 0 offset:356
	ds_read2_b64 v[176:179], v118 offset0:89 offset1:90
	buffer_load_dword v233, off, s[0:3], 0 offset:360
	buffer_load_dword v234, off, s[0:3], 0 offset:364
	;; [unrolled: 1-line block ×16, first 2 shown]
	ds_read2_b64 v[180:183], v118 offset0:91 offset1:92
	buffer_load_dword v249, off, s[0:3], 0 offset:424
	buffer_load_dword v250, off, s[0:3], 0 offset:428
	;; [unrolled: 1-line block ×6, first 2 shown]
	ds_read2_b64 v[184:187], v118 offset0:93 offset1:94
	buffer_load_dword v255, off, s[0:3], 0 offset:452
	buffer_load_dword v59, off, s[0:3], 0 offset:456
	;; [unrolled: 1-line block ×4, first 2 shown]
	s_waitcnt vmcnt(62)
	v_mul_f32_e32 v2, v154, v14
	v_fmac_f32_e32 v2, v155, v18
	v_add_f32_e32 v1, v1, v2
	s_waitcnt lgkmcnt(7)
	v_mul_f32_e32 v2, v156, v19
	v_fmac_f32_e32 v2, v157, v17
	v_add_f32_e32 v1, v1, v2
	v_mul_f32_e32 v2, v158, v20
	v_fmac_f32_e32 v2, v159, v16
	v_add_f32_e32 v1, v1, v2
	s_waitcnt lgkmcnt(6)
	v_mul_f32_e32 v2, v160, v21
	v_fmac_f32_e32 v2, v161, v15
	v_add_f32_e32 v1, v1, v2
	;; [unrolled: 7-line block ×4, first 2 shown]
	s_waitcnt vmcnt(58)
	v_mul_f32_e32 v2, v170, v31
	v_fmac_f32_e32 v2, v171, v30
	v_add_f32_e32 v1, v1, v2
	s_waitcnt vmcnt(56) lgkmcnt(3)
	v_mul_f32_e32 v2, v172, v33
	v_fmac_f32_e32 v2, v173, v32
	v_add_f32_e32 v1, v1, v2
	s_waitcnt vmcnt(54)
	v_mul_f32_e32 v2, v174, v35
	v_fmac_f32_e32 v2, v175, v34
	v_add_f32_e32 v1, v1, v2
	s_waitcnt vmcnt(52) lgkmcnt(2)
	v_mul_f32_e32 v2, v176, v37
	v_fmac_f32_e32 v2, v177, v36
	v_add_f32_e32 v1, v1, v2
	s_waitcnt vmcnt(50)
	v_mul_f32_e32 v2, v178, v39
	v_fmac_f32_e32 v2, v179, v38
	v_add_f32_e32 v1, v1, v2
	ds_read2_b64 v[188:191], v118 offset0:95 offset1:96
	ds_read2_b64 v[192:195], v118 offset0:97 offset1:98
	;; [unrolled: 1-line block ×10, first 2 shown]
	s_waitcnt vmcnt(48) lgkmcnt(11)
	v_mul_f32_e32 v2, v180, v41
	v_fmac_f32_e32 v2, v181, v40
	v_add_f32_e32 v1, v1, v2
	s_waitcnt vmcnt(47)
	v_mul_f32_e32 v2, v182, v42
	s_waitcnt vmcnt(44)
	v_fmac_f32_e32 v2, v183, v45
	v_add_f32_e32 v1, v1, v2
	s_waitcnt lgkmcnt(10)
	v_mul_f32_e32 v2, v184, v44
	v_fmac_f32_e32 v2, v185, v43
	v_add_f32_e32 v1, v1, v2
	s_waitcnt vmcnt(42)
	v_mul_f32_e32 v2, v186, v47
	v_fmac_f32_e32 v2, v187, v46
	v_add_f32_e32 v1, v1, v2
	s_waitcnt vmcnt(40) lgkmcnt(9)
	v_mul_f32_e32 v2, v188, v49
	v_fmac_f32_e32 v2, v189, v48
	v_add_f32_e32 v1, v1, v2
	s_waitcnt vmcnt(39)
	v_mul_f32_e32 v2, v190, v50
	s_waitcnt vmcnt(36)
	v_fmac_f32_e32 v2, v191, v53
	v_add_f32_e32 v1, v1, v2
	s_waitcnt lgkmcnt(8)
	v_mul_f32_e32 v2, v192, v52
	v_fmac_f32_e32 v2, v193, v51
	v_add_f32_e32 v1, v1, v2
	s_waitcnt vmcnt(34)
	v_mul_f32_e32 v2, v194, v55
	v_fmac_f32_e32 v2, v195, v54
	v_add_f32_e32 v1, v1, v2
	;; [unrolled: 17-line block ×5, first 2 shown]
	s_waitcnt vmcnt(8) lgkmcnt(1)
	v_mul_f32_e32 v2, v220, v250
	v_fmac_f32_e32 v2, v221, v249
	v_add_f32_e32 v1, v1, v2
	s_waitcnt vmcnt(7)
	v_mul_f32_e32 v2, v222, v251
	s_waitcnt vmcnt(4)
	v_fmac_f32_e32 v2, v223, v254
	v_add_f32_e32 v62, v1, v2
	ds_read_b64 v[1:2], v118 offset:920
	s_waitcnt lgkmcnt(1)
	v_mul_f32_e32 v63, v224, v253
	v_fmac_f32_e32 v63, v225, v252
	v_add_f32_e32 v62, v62, v63
	s_waitcnt vmcnt(3)
	v_mul_f32_e32 v63, v226, v255
	s_waitcnt vmcnt(0)
	v_fmac_f32_e32 v63, v227, v61
	v_add_f32_e32 v62, v62, v63
	s_waitcnt lgkmcnt(0)
	v_mul_f32_e32 v63, v1, v60
	v_fmac_f32_e32 v63, v2, v59
	v_add_f32_e32 v62, v62, v63
	v_mul_f32_e32 v63, v133, v125
	v_fma_f32 v5, v132, v5, -v63
	v_mul_f32_e32 v63, v135, v124
	v_add_f32_e32 v5, 0, v5
	v_fma_f32 v4, v134, v4, -v63
	v_add_f32_e32 v4, v5, v4
	v_mul_f32_e32 v5, v137, v123
	v_fma_f32 v3, v136, v3, -v5
	v_add_f32_e32 v3, v4, v3
	v_mul_f32_e32 v4, v139, v122
	;; [unrolled: 3-line block ×46, first 2 shown]
	v_fma_f32 v4, v226, v61, -v4
	v_mul_f32_e32 v2, v2, v60
	v_add_f32_e32 v3, v3, v4
	v_fma_f32 v1, v1, v59, -v2
	v_add_f32_e32 v1, v3, v1
	v_sub_f32_e32 v1, v126, v1
	v_sub_f32_e32 v2, v127, v62
	buffer_store_dword v1, off, s[0:3], 0 offset:64
	buffer_store_dword v2, off, s[0:3], 0 offset:68
	s_and_saveexec_b64 s[4:5], vcc
	s_cbranch_execz .LBB57_347
; %bb.346:
	buffer_load_dword v1, off, s[0:3], 0 offset:56
	buffer_load_dword v2, off, s[0:3], 0 offset:60
	s_waitcnt vmcnt(0)
	ds_write_b64 v117, v[1:2]
	buffer_store_dword v118, off, s[0:3], 0 offset:56
	buffer_store_dword v118, off, s[0:3], 0 offset:60
.LBB57_347:
	s_or_b64 exec, exec, s[4:5]
	s_waitcnt lgkmcnt(0)
	; wave barrier
	buffer_load_dword v125, off, s[0:3], 0 offset:68
	buffer_load_dword v124, off, s[0:3], 0 offset:76
	;; [unrolled: 1-line block ×40, first 2 shown]
	ds_read_b128 v[133:136], v118 offset:528
	ds_read_b128 v[137:140], v118 offset:544
	;; [unrolled: 1-line block ×7, first 2 shown]
	buffer_load_dword v27, off, s[0:3], 0 offset:216
	buffer_load_dword v28, off, s[0:3], 0 offset:220
	;; [unrolled: 1-line block ×10, first 2 shown]
	ds_read_b128 v[161:164], v118 offset:640
	v_cmp_lt_u32_e32 vcc, 6, v0
	s_waitcnt vmcnt(49) lgkmcnt(7)
	v_mul_f32_e32 v37, v133, v125
	s_waitcnt vmcnt(48)
	v_mul_f32_e32 v38, v135, v124
	s_waitcnt vmcnt(47) lgkmcnt(6)
	v_mul_f32_e32 v39, v137, v123
	s_waitcnt vmcnt(46)
	v_mul_f32_e32 v40, v139, v122
	;; [unrolled: 4-line block ×6, first 2 shown]
	s_waitcnt vmcnt(37)
	v_fmac_f32_e32 v39, v138, v1
	s_waitcnt vmcnt(36)
	v_fmac_f32_e32 v38, v136, v2
	;; [unrolled: 2-line block ×3, first 2 shown]
	v_add_f32_e32 v37, 0, v37
	v_add_f32_e32 v37, v37, v38
	;; [unrolled: 1-line block ×3, first 2 shown]
	s_waitcnt vmcnt(31)
	v_fmac_f32_e32 v40, v140, v7
	v_fmac_f32_e32 v41, v142, v6
	v_add_f32_e32 v37, v37, v40
	v_fmac_f32_e32 v42, v144, v5
	v_add_f32_e32 v37, v37, v41
	;; [unrolled: 2-line block ×3, first 2 shown]
	s_waitcnt vmcnt(27)
	v_fmac_f32_e32 v44, v148, v11
	v_add_f32_e32 v37, v37, v43
	v_fmac_f32_e32 v45, v150, v10
	v_add_f32_e32 v37, v37, v44
	;; [unrolled: 2-line block ×4, first 2 shown]
	v_add_f32_e32 v37, v37, v47
	s_waitcnt vmcnt(23)
	v_fmac_f32_e32 v48, v156, v15
	s_waitcnt vmcnt(22) lgkmcnt(1)
	v_mul_f32_e32 v38, v157, v16
	v_add_f32_e32 v37, v37, v48
	v_fmac_f32_e32 v38, v158, v14
	buffer_load_dword v39, off, s[0:3], 0 offset:260
	v_add_f32_e32 v37, v37, v38
	s_waitcnt vmcnt(22)
	v_mul_f32_e32 v38, v159, v17
	v_fmac_f32_e32 v38, v160, v13
	buffer_load_dword v40, off, s[0:3], 0 offset:256
	buffer_load_dword v41, off, s[0:3], 0 offset:264
	;; [unrolled: 1-line block ×3, first 2 shown]
	ds_read_b128 v[165:168], v118 offset:656
	v_add_f32_e32 v37, v37, v38
	s_waitcnt vmcnt(24) lgkmcnt(1)
	v_mul_f32_e32 v38, v161, v18
	v_fmac_f32_e32 v38, v162, v12
	v_add_f32_e32 v37, v37, v38
	s_waitcnt vmcnt(23)
	v_mul_f32_e32 v38, v163, v19
	buffer_load_dword v43, off, s[0:3], 0 offset:272
	buffer_load_dword v44, off, s[0:3], 0 offset:276
	s_waitcnt vmcnt(19)
	v_fmac_f32_e32 v38, v164, v25
	v_add_f32_e32 v37, v37, v38
	s_waitcnt vmcnt(18) lgkmcnt(0)
	v_mul_f32_e32 v38, v165, v26
	v_fmac_f32_e32 v38, v166, v24
	ds_read_b128 v[169:172], v118 offset:672
	v_add_f32_e32 v37, v37, v38
	buffer_load_dword v38, off, s[0:3], 0 offset:280
	buffer_load_dword v45, off, s[0:3], 0 offset:284
	;; [unrolled: 1-line block ×8, first 2 shown]
	v_mul_f32_e32 v46, v167, v21
	v_fmac_f32_e32 v46, v168, v20
	v_add_f32_e32 v37, v37, v46
	s_waitcnt lgkmcnt(0)
	v_mul_f32_e32 v46, v169, v23
	v_fmac_f32_e32 v46, v170, v22
	v_add_f32_e32 v37, v37, v46
	buffer_load_dword v46, off, s[0:3], 0 offset:312
	buffer_load_dword v53, off, s[0:3], 0 offset:316
	ds_read_b128 v[173:176], v118 offset:688
	buffer_load_dword v55, off, s[0:3], 0 offset:320
	buffer_load_dword v56, off, s[0:3], 0 offset:324
	;; [unrolled: 1-line block ×6, first 2 shown]
	ds_read_b128 v[177:180], v118 offset:704
	buffer_load_dword v61, off, s[0:3], 0 offset:344
	buffer_load_dword v62, off, s[0:3], 0 offset:348
	s_waitcnt vmcnt(32)
	v_mul_f32_e32 v54, v171, v28
	v_fmac_f32_e32 v54, v172, v27
	v_add_f32_e32 v37, v37, v54
	s_waitcnt vmcnt(30) lgkmcnt(1)
	v_mul_f32_e32 v54, v173, v30
	v_fmac_f32_e32 v54, v174, v29
	v_add_f32_e32 v37, v37, v54
	buffer_load_dword v54, off, s[0:3], 0 offset:352
	buffer_load_dword v63, off, s[0:3], 0 offset:356
	;; [unrolled: 1-line block ×14, first 2 shown]
	s_waitcnt vmcnt(42)
	v_mul_f32_e32 v181, v175, v32
	v_fmac_f32_e32 v181, v176, v31
	v_add_f32_e32 v37, v37, v181
	s_waitcnt vmcnt(40) lgkmcnt(0)
	v_mul_f32_e32 v181, v177, v34
	v_fmac_f32_e32 v181, v178, v33
	v_add_f32_e32 v37, v37, v181
	ds_read_b128 v[181:184], v118 offset:720
	buffer_load_dword v244, off, s[0:3], 0 offset:408
	buffer_load_dword v245, off, s[0:3], 0 offset:412
	s_waitcnt vmcnt(40)
	v_mul_f32_e32 v185, v179, v36
	v_fmac_f32_e32 v185, v180, v35
	v_add_f32_e32 v37, v37, v185
	ds_read_b128 v[185:188], v118 offset:736
	buffer_load_dword v246, off, s[0:3], 0 offset:416
	buffer_load_dword v247, off, s[0:3], 0 offset:420
	;; [unrolled: 1-line block ×12, first 2 shown]
	s_waitcnt vmcnt(51) lgkmcnt(1)
	v_mul_f32_e32 v189, v181, v39
	s_waitcnt vmcnt(50)
	v_fmac_f32_e32 v189, v182, v40
	v_add_f32_e32 v37, v37, v189
	s_waitcnt vmcnt(48)
	v_mul_f32_e32 v189, v183, v42
	v_fmac_f32_e32 v189, v184, v41
	v_add_f32_e32 v37, v37, v189
	s_waitcnt vmcnt(46) lgkmcnt(0)
	v_mul_f32_e32 v189, v185, v44
	v_fmac_f32_e32 v189, v186, v43
	v_add_f32_e32 v37, v37, v189
	ds_read_b128 v[189:192], v118 offset:752
	s_waitcnt vmcnt(44)
	v_mul_f32_e32 v193, v187, v45
	v_fmac_f32_e32 v193, v188, v38
	v_add_f32_e32 v37, v37, v193
	ds_read_b128 v[193:196], v118 offset:768
	s_waitcnt vmcnt(42) lgkmcnt(1)
	v_mul_f32_e32 v197, v189, v48
	v_fmac_f32_e32 v197, v190, v47
	v_add_f32_e32 v37, v37, v197
	s_waitcnt vmcnt(41)
	v_mul_f32_e32 v197, v191, v49
	s_waitcnt vmcnt(38)
	v_fmac_f32_e32 v197, v192, v52
	v_add_f32_e32 v37, v37, v197
	s_waitcnt lgkmcnt(0)
	v_mul_f32_e32 v197, v193, v51
	v_fmac_f32_e32 v197, v194, v50
	v_add_f32_e32 v37, v37, v197
	ds_read_b128 v[197:200], v118 offset:784
	s_waitcnt vmcnt(36)
	v_mul_f32_e32 v201, v195, v53
	v_fmac_f32_e32 v201, v196, v46
	v_add_f32_e32 v37, v37, v201
	ds_read_b128 v[201:204], v118 offset:800
	s_waitcnt vmcnt(34) lgkmcnt(1)
	v_mul_f32_e32 v205, v197, v56
	v_fmac_f32_e32 v205, v198, v55
	v_add_f32_e32 v37, v37, v205
	s_waitcnt vmcnt(33)
	v_mul_f32_e32 v205, v199, v57
	s_waitcnt vmcnt(30)
	v_fmac_f32_e32 v205, v200, v60
	v_add_f32_e32 v37, v37, v205
	s_waitcnt lgkmcnt(0)
	;; [unrolled: 19-line block ×4, first 2 shown]
	v_mul_f32_e32 v221, v217, v242
	v_fmac_f32_e32 v221, v218, v241
	v_add_f32_e32 v37, v37, v221
	ds_read_b128 v[221:224], v118 offset:880
	s_waitcnt vmcnt(12)
	v_mul_f32_e32 v225, v219, v245
	v_fmac_f32_e32 v225, v220, v244
	v_add_f32_e32 v37, v37, v225
	ds_read_b128 v[225:228], v118 offset:896
	s_waitcnt vmcnt(10) lgkmcnt(1)
	v_mul_f32_e32 v229, v221, v247
	v_fmac_f32_e32 v229, v222, v246
	v_add_f32_e32 v37, v37, v229
	s_waitcnt vmcnt(9)
	v_mul_f32_e32 v229, v223, v248
	s_waitcnt vmcnt(6)
	v_fmac_f32_e32 v229, v224, v251
	v_add_f32_e32 v37, v37, v229
	ds_read_b128 v[229:232], v118 offset:912
	s_waitcnt lgkmcnt(1)
	v_mul_f32_e32 v67, v225, v250
	v_fmac_f32_e32 v67, v226, v249
	v_add_f32_e32 v37, v37, v67
	s_waitcnt vmcnt(4)
	v_mul_f32_e32 v67, v227, v253
	v_fmac_f32_e32 v67, v228, v252
	v_add_f32_e32 v37, v37, v67
	s_waitcnt vmcnt(3) lgkmcnt(0)
	v_mul_f32_e32 v67, v229, v254
	s_waitcnt vmcnt(0)
	v_fmac_f32_e32 v67, v230, v66
	v_add_f32_e32 v37, v37, v67
	v_mul_f32_e32 v67, v231, v65
	v_fmac_f32_e32 v67, v232, v255
	v_add_f32_e32 v37, v37, v67
	v_mul_f32_e32 v67, v134, v125
	v_fma_f32 v3, v133, v3, -v67
	v_mul_f32_e32 v67, v136, v124
	v_add_f32_e32 v3, 0, v3
	v_fma_f32 v2, v135, v2, -v67
	v_add_f32_e32 v2, v3, v2
	v_mul_f32_e32 v3, v138, v123
	v_fma_f32 v1, v137, v1, -v3
	v_add_f32_e32 v1, v2, v1
	v_mul_f32_e32 v2, v140, v122
	v_fma_f32 v2, v139, v7, -v2
	v_add_f32_e32 v1, v1, v2
	v_mul_f32_e32 v2, v142, v121
	v_fma_f32 v2, v141, v6, -v2
	v_add_f32_e32 v1, v1, v2
	v_mul_f32_e32 v2, v144, v120
	v_fma_f32 v2, v143, v5, -v2
	v_add_f32_e32 v1, v1, v2
	v_mul_f32_e32 v2, v146, v119
	v_fma_f32 v2, v145, v4, -v2
	v_add_f32_e32 v1, v1, v2
	v_mul_f32_e32 v2, v148, v128
	v_fma_f32 v2, v147, v11, -v2
	v_add_f32_e32 v1, v1, v2
	v_mul_f32_e32 v2, v150, v129
	v_fma_f32 v2, v149, v10, -v2
	v_add_f32_e32 v1, v1, v2
	v_mul_f32_e32 v2, v152, v130
	v_fma_f32 v2, v151, v9, -v2
	v_add_f32_e32 v1, v1, v2
	v_mul_f32_e32 v2, v154, v131
	v_fma_f32 v2, v153, v8, -v2
	v_add_f32_e32 v1, v1, v2
	v_mul_f32_e32 v2, v156, v132
	v_fma_f32 v2, v155, v15, -v2
	v_add_f32_e32 v1, v1, v2
	v_mul_f32_e32 v2, v158, v16
	v_fma_f32 v2, v157, v14, -v2
	v_add_f32_e32 v1, v1, v2
	v_mul_f32_e32 v2, v160, v17
	v_fma_f32 v2, v159, v13, -v2
	v_add_f32_e32 v1, v1, v2
	v_mul_f32_e32 v2, v162, v18
	v_fma_f32 v2, v161, v12, -v2
	v_add_f32_e32 v1, v1, v2
	v_mul_f32_e32 v2, v164, v19
	v_fma_f32 v2, v163, v25, -v2
	v_add_f32_e32 v1, v1, v2
	v_mul_f32_e32 v2, v166, v26
	v_fma_f32 v2, v165, v24, -v2
	v_add_f32_e32 v1, v1, v2
	v_mul_f32_e32 v2, v168, v21
	v_fma_f32 v2, v167, v20, -v2
	v_add_f32_e32 v1, v1, v2
	v_mul_f32_e32 v2, v170, v23
	v_fma_f32 v2, v169, v22, -v2
	v_add_f32_e32 v1, v1, v2
	v_mul_f32_e32 v2, v172, v28
	v_fma_f32 v2, v171, v27, -v2
	v_add_f32_e32 v1, v1, v2
	v_mul_f32_e32 v2, v174, v30
	v_fma_f32 v2, v173, v29, -v2
	v_add_f32_e32 v1, v1, v2
	v_mul_f32_e32 v2, v176, v32
	v_fma_f32 v2, v175, v31, -v2
	v_add_f32_e32 v1, v1, v2
	v_mul_f32_e32 v2, v178, v34
	v_fma_f32 v2, v177, v33, -v2
	v_add_f32_e32 v1, v1, v2
	v_mul_f32_e32 v2, v180, v36
	v_fma_f32 v2, v179, v35, -v2
	v_add_f32_e32 v1, v1, v2
	v_mul_f32_e32 v2, v182, v39
	v_fma_f32 v2, v181, v40, -v2
	v_add_f32_e32 v1, v1, v2
	v_mul_f32_e32 v2, v184, v42
	v_fma_f32 v2, v183, v41, -v2
	v_add_f32_e32 v1, v1, v2
	v_mul_f32_e32 v2, v186, v44
	v_fma_f32 v2, v185, v43, -v2
	v_add_f32_e32 v1, v1, v2
	v_mul_f32_e32 v2, v188, v45
	v_fma_f32 v2, v187, v38, -v2
	v_add_f32_e32 v1, v1, v2
	v_mul_f32_e32 v2, v190, v48
	v_fma_f32 v2, v189, v47, -v2
	v_add_f32_e32 v1, v1, v2
	v_mul_f32_e32 v2, v192, v49
	v_fma_f32 v2, v191, v52, -v2
	v_add_f32_e32 v1, v1, v2
	v_mul_f32_e32 v2, v194, v51
	v_fma_f32 v2, v193, v50, -v2
	v_add_f32_e32 v1, v1, v2
	v_mul_f32_e32 v2, v196, v53
	v_fma_f32 v2, v195, v46, -v2
	v_add_f32_e32 v1, v1, v2
	v_mul_f32_e32 v2, v198, v56
	v_fma_f32 v2, v197, v55, -v2
	v_add_f32_e32 v1, v1, v2
	v_mul_f32_e32 v2, v200, v57
	v_fma_f32 v2, v199, v60, -v2
	v_add_f32_e32 v1, v1, v2
	v_mul_f32_e32 v2, v202, v59
	v_fma_f32 v2, v201, v58, -v2
	v_add_f32_e32 v1, v1, v2
	v_mul_f32_e32 v2, v204, v62
	v_fma_f32 v2, v203, v61, -v2
	v_add_f32_e32 v1, v1, v2
	v_mul_f32_e32 v2, v206, v63
	v_fma_f32 v2, v205, v54, -v2
	v_add_f32_e32 v1, v1, v2
	v_mul_f32_e32 v2, v208, v64
	v_fma_f32 v2, v207, v235, -v2
	v_add_f32_e32 v1, v1, v2
	v_mul_f32_e32 v2, v210, v234
	v_fma_f32 v2, v209, v233, -v2
	v_add_f32_e32 v1, v1, v2
	v_mul_f32_e32 v2, v212, v237
	v_fma_f32 v2, v211, v236, -v2
	v_add_f32_e32 v1, v1, v2
	v_mul_f32_e32 v2, v214, v239
	v_fma_f32 v2, v213, v238, -v2
	v_add_f32_e32 v1, v1, v2
	v_mul_f32_e32 v2, v216, v240
	v_fma_f32 v2, v215, v243, -v2
	v_add_f32_e32 v1, v1, v2
	v_mul_f32_e32 v2, v218, v242
	v_fma_f32 v2, v217, v241, -v2
	v_add_f32_e32 v1, v1, v2
	v_mul_f32_e32 v2, v220, v245
	v_fma_f32 v2, v219, v244, -v2
	v_add_f32_e32 v1, v1, v2
	v_mul_f32_e32 v2, v222, v247
	v_fma_f32 v2, v221, v246, -v2
	v_add_f32_e32 v1, v1, v2
	v_mul_f32_e32 v2, v224, v248
	v_fma_f32 v2, v223, v251, -v2
	v_add_f32_e32 v1, v1, v2
	v_mul_f32_e32 v2, v226, v250
	v_fma_f32 v2, v225, v249, -v2
	v_add_f32_e32 v1, v1, v2
	v_mul_f32_e32 v2, v228, v253
	v_fma_f32 v2, v227, v252, -v2
	v_add_f32_e32 v1, v1, v2
	v_mul_f32_e32 v2, v230, v254
	v_fma_f32 v2, v229, v66, -v2
	v_add_f32_e32 v1, v1, v2
	v_mul_f32_e32 v2, v232, v65
	v_fma_f32 v2, v231, v255, -v2
	v_add_f32_e32 v1, v1, v2
	v_sub_f32_e32 v1, v126, v1
	v_sub_f32_e32 v2, v127, v37
	buffer_store_dword v1, off, s[0:3], 0 offset:56
	buffer_store_dword v2, off, s[0:3], 0 offset:60
	s_and_saveexec_b64 s[4:5], vcc
	s_cbranch_execz .LBB57_349
; %bb.348:
	buffer_load_dword v1, off, s[0:3], 0 offset:48
	buffer_load_dword v2, off, s[0:3], 0 offset:52
	v_mov_b32_e32 v3, 0
	buffer_store_dword v3, off, s[0:3], 0 offset:48
	buffer_store_dword v3, off, s[0:3], 0 offset:52
	s_waitcnt vmcnt(2)
	ds_write_b64 v117, v[1:2]
.LBB57_349:
	s_or_b64 exec, exec, s[4:5]
	s_waitcnt lgkmcnt(0)
	; wave barrier
	buffer_load_dword v127, off, s[0:3], 0 offset:60
	buffer_load_dword v126, off, s[0:3], 0 offset:68
	;; [unrolled: 1-line block ×40, first 2 shown]
	v_mov_b32_e32 v118, 0
	buffer_load_dword v28, off, s[0:3], 0 offset:208
	buffer_load_dword v29, off, s[0:3], 0 offset:212
	;; [unrolled: 1-line block ×10, first 2 shown]
	ds_read2_b64 v[134:137], v118 offset0:65 offset1:66
	ds_read2_b64 v[138:141], v118 offset0:67 offset1:68
	;; [unrolled: 1-line block ×7, first 2 shown]
	v_cmp_lt_u32_e32 vcc, 5, v0
	s_waitcnt vmcnt(49) lgkmcnt(6)
	v_mul_f32_e32 v1, v134, v127
	s_waitcnt vmcnt(48)
	v_mul_f32_e32 v2, v136, v126
	s_waitcnt vmcnt(47) lgkmcnt(5)
	v_mul_f32_e32 v38, v138, v123
	s_waitcnt vmcnt(46)
	v_mul_f32_e32 v39, v140, v122
	;; [unrolled: 4-line block ×6, first 2 shown]
	s_waitcnt vmcnt(37)
	v_fmac_f32_e32 v38, v139, v3
	s_waitcnt vmcnt(36)
	v_fmac_f32_e32 v2, v137, v4
	;; [unrolled: 2-line block ×3, first 2 shown]
	v_add_f32_e32 v1, 0, v1
	v_add_f32_e32 v1, v1, v2
	v_add_f32_e32 v1, v1, v38
	s_waitcnt vmcnt(31)
	v_fmac_f32_e32 v39, v141, v9
	v_fmac_f32_e32 v40, v143, v8
	v_add_f32_e32 v1, v1, v39
	buffer_load_dword v38, off, s[0:3], 0 offset:248
	buffer_load_dword v39, off, s[0:3], 0 offset:252
	v_fmac_f32_e32 v41, v145, v7
	v_add_f32_e32 v1, v1, v40
	v_fmac_f32_e32 v42, v147, v6
	v_add_f32_e32 v1, v1, v41
	s_waitcnt vmcnt(29)
	v_fmac_f32_e32 v43, v149, v12
	v_add_f32_e32 v1, v1, v42
	v_fmac_f32_e32 v44, v151, v11
	v_add_f32_e32 v1, v1, v43
	ds_read2_b64 v[162:165], v118 offset0:79 offset1:80
	buffer_load_dword v40, off, s[0:3], 0 offset:260
	buffer_load_dword v41, off, s[0:3], 0 offset:256
	;; [unrolled: 1-line block ×4, first 2 shown]
	v_fmac_f32_e32 v45, v153, v10
	v_add_f32_e32 v1, v1, v44
	v_add_f32_e32 v1, v1, v45
	ds_read2_b64 v[166:169], v118 offset0:81 offset1:82
	ds_read2_b64 v[170:173], v118 offset0:83 offset1:84
	buffer_load_dword v44, off, s[0:3], 0 offset:272
	buffer_load_dword v45, off, s[0:3], 0 offset:276
	v_fmac_f32_e32 v46, v155, v133
	v_add_f32_e32 v1, v1, v46
	s_waitcnt vmcnt(31)
	v_fmac_f32_e32 v47, v157, v16
	v_add_f32_e32 v1, v1, v47
	buffer_load_dword v46, off, s[0:3], 0 offset:280
	buffer_load_dword v47, off, s[0:3], 0 offset:284
	;; [unrolled: 1-line block ×8, first 2 shown]
	ds_read2_b64 v[174:177], v118 offset0:85 offset1:86
	buffer_load_dword v54, off, s[0:3], 0 offset:312
	buffer_load_dword v55, off, s[0:3], 0 offset:316
	;; [unrolled: 1-line block ×6, first 2 shown]
	ds_read2_b64 v[178:181], v118 offset0:87 offset1:88
	buffer_load_dword v60, off, s[0:3], 0 offset:336
	buffer_load_dword v61, off, s[0:3], 0 offset:340
	buffer_load_dword v62, off, s[0:3], 0 offset:344
	buffer_load_dword v63, off, s[0:3], 0 offset:348
	buffer_load_dword v64, off, s[0:3], 0 offset:356
	buffer_load_dword v65, off, s[0:3], 0 offset:360
	buffer_load_dword v66, off, s[0:3], 0 offset:364
	buffer_load_dword v67, off, s[0:3], 0 offset:352
	buffer_load_dword v68, off, s[0:3], 0 offset:368
	buffer_load_dword v234, off, s[0:3], 0 offset:372
	ds_read2_b64 v[182:185], v118 offset0:89 offset1:90
	buffer_load_dword v235, off, s[0:3], 0 offset:376
	buffer_load_dword v236, off, s[0:3], 0 offset:380
	;; [unrolled: 1-line block ×6, first 2 shown]
	ds_read2_b64 v[186:189], v118 offset0:91 offset1:92
	buffer_load_dword v241, off, s[0:3], 0 offset:400
	buffer_load_dword v242, off, s[0:3], 0 offset:404
	;; [unrolled: 1-line block ×16, first 2 shown]
	s_waitcnt vmcnt(62) lgkmcnt(7)
	v_mul_f32_e32 v2, v158, v17
	v_fmac_f32_e32 v2, v159, v15
	v_add_f32_e32 v1, v1, v2
	v_mul_f32_e32 v2, v160, v18
	v_fmac_f32_e32 v2, v161, v14
	v_add_f32_e32 v1, v1, v2
	s_waitcnt lgkmcnt(6)
	v_mul_f32_e32 v2, v162, v19
	v_fmac_f32_e32 v2, v163, v13
	v_add_f32_e32 v1, v1, v2
	v_mul_f32_e32 v2, v164, v20
	v_fmac_f32_e32 v2, v165, v27
	v_add_f32_e32 v1, v1, v2
	s_waitcnt lgkmcnt(5)
	;; [unrolled: 7-line block ×3, first 2 shown]
	v_mul_f32_e32 v2, v170, v26
	v_fmac_f32_e32 v2, v171, v25
	v_add_f32_e32 v1, v1, v2
	v_mul_f32_e32 v2, v172, v29
	v_fmac_f32_e32 v2, v173, v28
	v_add_f32_e32 v1, v1, v2
	s_waitcnt vmcnt(60) lgkmcnt(3)
	v_mul_f32_e32 v2, v174, v31
	v_fmac_f32_e32 v2, v175, v30
	v_add_f32_e32 v1, v1, v2
	s_waitcnt vmcnt(58)
	v_mul_f32_e32 v2, v176, v33
	v_fmac_f32_e32 v2, v177, v32
	v_add_f32_e32 v1, v1, v2
	s_waitcnt vmcnt(56) lgkmcnt(2)
	v_mul_f32_e32 v2, v178, v35
	v_fmac_f32_e32 v2, v179, v34
	v_add_f32_e32 v1, v1, v2
	s_waitcnt vmcnt(54)
	v_mul_f32_e32 v2, v180, v37
	v_fmac_f32_e32 v2, v181, v36
	v_add_f32_e32 v1, v1, v2
	ds_read2_b64 v[190:193], v118 offset0:93 offset1:94
	ds_read2_b64 v[194:197], v118 offset0:95 offset1:96
	;; [unrolled: 1-line block ×8, first 2 shown]
	s_waitcnt vmcnt(52) lgkmcnt(9)
	v_mul_f32_e32 v2, v182, v39
	v_fmac_f32_e32 v2, v183, v38
	v_add_f32_e32 v1, v1, v2
	ds_read2_b64 v[222:225], v118 offset0:109 offset1:110
	ds_read2_b64 v[226:229], v118 offset0:111 offset1:112
	;; [unrolled: 1-line block ×3, first 2 shown]
	s_waitcnt vmcnt(51)
	v_mul_f32_e32 v2, v184, v40
	s_waitcnt vmcnt(50)
	v_fmac_f32_e32 v2, v185, v41
	v_add_f32_e32 v1, v1, v2
	s_waitcnt vmcnt(48) lgkmcnt(11)
	v_mul_f32_e32 v2, v186, v43
	v_fmac_f32_e32 v2, v187, v42
	v_add_f32_e32 v1, v1, v2
	s_waitcnt vmcnt(46)
	v_mul_f32_e32 v2, v188, v45
	v_fmac_f32_e32 v2, v189, v44
	v_add_f32_e32 v1, v1, v2
	s_waitcnt vmcnt(44) lgkmcnt(10)
	v_mul_f32_e32 v2, v190, v47
	v_fmac_f32_e32 v2, v191, v46
	v_add_f32_e32 v1, v1, v2
	s_waitcnt vmcnt(43)
	v_mul_f32_e32 v2, v192, v48
	s_waitcnt vmcnt(40)
	v_fmac_f32_e32 v2, v193, v51
	v_add_f32_e32 v1, v1, v2
	s_waitcnt lgkmcnt(9)
	v_mul_f32_e32 v2, v194, v50
	v_fmac_f32_e32 v2, v195, v49
	v_add_f32_e32 v1, v1, v2
	s_waitcnt vmcnt(38)
	v_mul_f32_e32 v2, v196, v53
	v_fmac_f32_e32 v2, v197, v52
	v_add_f32_e32 v1, v1, v2
	s_waitcnt vmcnt(36) lgkmcnt(8)
	v_mul_f32_e32 v2, v198, v55
	v_fmac_f32_e32 v2, v199, v54
	v_add_f32_e32 v1, v1, v2
	s_waitcnt vmcnt(35)
	v_mul_f32_e32 v2, v200, v56
	s_waitcnt vmcnt(32)
	v_fmac_f32_e32 v2, v201, v59
	v_add_f32_e32 v1, v1, v2
	s_waitcnt lgkmcnt(7)
	v_mul_f32_e32 v2, v202, v58
	v_fmac_f32_e32 v2, v203, v57
	v_add_f32_e32 v1, v1, v2
	s_waitcnt vmcnt(30)
	v_mul_f32_e32 v2, v204, v61
	v_fmac_f32_e32 v2, v205, v60
	v_add_f32_e32 v1, v1, v2
	s_waitcnt vmcnt(28) lgkmcnt(6)
	v_mul_f32_e32 v2, v206, v63
	v_fmac_f32_e32 v2, v207, v62
	v_add_f32_e32 v1, v1, v2
	s_waitcnt vmcnt(27)
	v_mul_f32_e32 v2, v208, v64
	s_waitcnt vmcnt(24)
	v_fmac_f32_e32 v2, v209, v67
	v_add_f32_e32 v1, v1, v2
	s_waitcnt lgkmcnt(5)
	v_mul_f32_e32 v2, v210, v66
	v_fmac_f32_e32 v2, v211, v65
	v_add_f32_e32 v1, v1, v2
	s_waitcnt vmcnt(22)
	v_mul_f32_e32 v2, v212, v234
	v_fmac_f32_e32 v2, v213, v68
	v_add_f32_e32 v1, v1, v2
	s_waitcnt vmcnt(20) lgkmcnt(4)
	v_mul_f32_e32 v2, v214, v236
	v_fmac_f32_e32 v2, v215, v235
	v_add_f32_e32 v1, v1, v2
	s_waitcnt vmcnt(19)
	v_mul_f32_e32 v2, v216, v237
	s_waitcnt vmcnt(16)
	v_fmac_f32_e32 v2, v217, v240
	v_add_f32_e32 v1, v1, v2
	s_waitcnt lgkmcnt(3)
	v_mul_f32_e32 v2, v218, v239
	v_fmac_f32_e32 v2, v219, v238
	v_add_f32_e32 v1, v1, v2
	s_waitcnt vmcnt(14)
	v_mul_f32_e32 v2, v220, v242
	v_fmac_f32_e32 v2, v221, v241
	v_add_f32_e32 v1, v1, v2
	s_waitcnt vmcnt(12) lgkmcnt(2)
	v_mul_f32_e32 v2, v222, v244
	v_fmac_f32_e32 v2, v223, v243
	v_add_f32_e32 v1, v1, v2
	s_waitcnt vmcnt(11)
	v_mul_f32_e32 v2, v224, v245
	s_waitcnt vmcnt(8)
	v_fmac_f32_e32 v2, v225, v248
	v_add_f32_e32 v1, v1, v2
	s_waitcnt lgkmcnt(1)
	v_mul_f32_e32 v2, v226, v247
	v_fmac_f32_e32 v2, v227, v246
	v_add_f32_e32 v1, v1, v2
	s_waitcnt vmcnt(6)
	v_mul_f32_e32 v2, v228, v250
	v_fmac_f32_e32 v2, v229, v249
	v_add_f32_e32 v70, v1, v2
	ds_read_b64 v[1:2], v118 offset:920
	s_waitcnt vmcnt(4) lgkmcnt(1)
	v_mul_f32_e32 v71, v230, v252
	v_fmac_f32_e32 v71, v231, v251
	v_add_f32_e32 v70, v70, v71
	s_waitcnt vmcnt(3)
	v_mul_f32_e32 v71, v232, v253
	s_waitcnt vmcnt(0)
	v_fmac_f32_e32 v71, v233, v69
	v_add_f32_e32 v70, v70, v71
	s_waitcnt lgkmcnt(0)
	v_mul_f32_e32 v71, v1, v255
	v_fmac_f32_e32 v71, v2, v254
	v_add_f32_e32 v70, v70, v71
	v_mul_f32_e32 v71, v135, v127
	v_fma_f32 v5, v134, v5, -v71
	v_mul_f32_e32 v71, v137, v126
	v_add_f32_e32 v5, 0, v5
	v_fma_f32 v4, v136, v4, -v71
	v_add_f32_e32 v4, v5, v4
	v_mul_f32_e32 v5, v139, v123
	v_fma_f32 v3, v138, v3, -v5
	v_add_f32_e32 v3, v4, v3
	v_mul_f32_e32 v4, v141, v122
	;; [unrolled: 3-line block ×48, first 2 shown]
	v_fma_f32 v4, v232, v69, -v4
	v_mul_f32_e32 v2, v2, v255
	v_add_f32_e32 v3, v3, v4
	v_fma_f32 v1, v1, v254, -v2
	v_add_f32_e32 v1, v3, v1
	v_sub_f32_e32 v1, v124, v1
	v_sub_f32_e32 v2, v125, v70
	buffer_store_dword v1, off, s[0:3], 0 offset:48
	buffer_store_dword v2, off, s[0:3], 0 offset:52
	s_and_saveexec_b64 s[4:5], vcc
	s_cbranch_execz .LBB57_351
; %bb.350:
	buffer_load_dword v1, off, s[0:3], 0 offset:40
	buffer_load_dword v2, off, s[0:3], 0 offset:44
	s_waitcnt vmcnt(0)
	ds_write_b64 v117, v[1:2]
	buffer_store_dword v118, off, s[0:3], 0 offset:40
	buffer_store_dword v118, off, s[0:3], 0 offset:44
.LBB57_351:
	s_or_b64 exec, exec, s[4:5]
	s_waitcnt lgkmcnt(0)
	; wave barrier
	buffer_load_dword v127, off, s[0:3], 0 offset:52
	buffer_load_dword v124, off, s[0:3], 0 offset:60
	;; [unrolled: 1-line block ×40, first 2 shown]
	ds_read_b128 v[142:145], v118 offset:512
	ds_read_b128 v[146:149], v118 offset:528
	;; [unrolled: 1-line block ×6, first 2 shown]
	buffer_load_dword v18, off, s[0:3], 0 offset:200
	buffer_load_dword v19, off, s[0:3], 0 offset:204
	;; [unrolled: 1-line block ×12, first 2 shown]
	ds_read_b128 v[166:169], v118 offset:608
	ds_read_b128 v[170:173], v118 offset:624
	v_cmp_lt_u32_e32 vcc, 4, v0
	s_waitcnt vmcnt(51) lgkmcnt(7)
	v_mul_f32_e32 v30, v142, v127
	s_waitcnt vmcnt(50)
	v_mul_f32_e32 v31, v144, v124
	s_waitcnt vmcnt(49) lgkmcnt(6)
	v_mul_f32_e32 v32, v146, v123
	s_waitcnt vmcnt(48)
	v_mul_f32_e32 v33, v148, v122
	;; [unrolled: 4-line block ×5, first 2 shown]
	s_waitcnt vmcnt(41) lgkmcnt(2)
	v_mul_f32_e32 v40, v162, v131
	s_waitcnt vmcnt(40)
	v_fmac_f32_e32 v32, v147, v138
	s_waitcnt vmcnt(39)
	v_fmac_f32_e32 v31, v145, v141
	;; [unrolled: 2-line block ×3, first 2 shown]
	v_add_f32_e32 v30, 0, v30
	v_add_f32_e32 v30, v30, v31
	;; [unrolled: 1-line block ×3, first 2 shown]
	s_waitcnt vmcnt(34)
	v_fmac_f32_e32 v33, v149, v2
	v_fmac_f32_e32 v34, v151, v140
	v_add_f32_e32 v30, v30, v33
	buffer_load_dword v32, off, s[0:3], 0 offset:248
	buffer_load_dword v33, off, s[0:3], 0 offset:252
	v_fmac_f32_e32 v35, v153, v137
	v_add_f32_e32 v30, v30, v34
	v_add_f32_e32 v30, v30, v35
	buffer_load_dword v34, off, s[0:3], 0 offset:256
	buffer_load_dword v35, off, s[0:3], 0 offset:260
	v_fmac_f32_e32 v36, v155, v134
	s_waitcnt vmcnt(34)
	v_fmac_f32_e32 v37, v157, v139
	v_add_f32_e32 v30, v30, v36
	v_add_f32_e32 v30, v30, v37
	ds_read_b128 v[174:177], v118 offset:640
	buffer_load_dword v36, off, s[0:3], 0 offset:264
	buffer_load_dword v37, off, s[0:3], 0 offset:268
	v_fmac_f32_e32 v38, v159, v136
	v_fmac_f32_e32 v39, v161, v133
	v_add_f32_e32 v30, v30, v38
	v_fmac_f32_e32 v40, v163, v132
	v_add_f32_e32 v30, v30, v39
	s_waitcnt vmcnt(35)
	v_mul_f32_e32 v31, v164, v135
	v_add_f32_e32 v30, v30, v40
	s_waitcnt vmcnt(31)
	v_fmac_f32_e32 v31, v165, v6
	v_add_f32_e32 v30, v30, v31
	s_waitcnt vmcnt(30) lgkmcnt(2)
	v_mul_f32_e32 v31, v166, v7
	v_fmac_f32_e32 v31, v167, v5
	v_add_f32_e32 v30, v30, v31
	s_waitcnt vmcnt(29)
	v_mul_f32_e32 v31, v168, v8
	v_fmac_f32_e32 v31, v169, v4
	v_add_f32_e32 v30, v30, v31
	s_waitcnt vmcnt(28) lgkmcnt(1)
	v_mul_f32_e32 v31, v170, v9
	v_fmac_f32_e32 v31, v171, v3
	v_add_f32_e32 v30, v30, v31
	s_waitcnt vmcnt(27)
	v_mul_f32_e32 v31, v172, v10
	s_waitcnt vmcnt(21)
	v_fmac_f32_e32 v31, v173, v16
	ds_read_b128 v[178:181], v118 offset:656
	v_add_f32_e32 v30, v30, v31
	s_waitcnt vmcnt(20) lgkmcnt(1)
	v_mul_f32_e32 v31, v174, v17
	v_fmac_f32_e32 v31, v175, v15
	v_add_f32_e32 v30, v30, v31
	v_mul_f32_e32 v31, v176, v12
	v_fmac_f32_e32 v31, v177, v11
	v_add_f32_e32 v30, v30, v31
	s_waitcnt lgkmcnt(0)
	v_mul_f32_e32 v31, v178, v14
	v_fmac_f32_e32 v31, v179, v13
	v_add_f32_e32 v30, v30, v31
	buffer_load_dword v31, off, s[0:3], 0 offset:272
	buffer_load_dword v38, off, s[0:3], 0 offset:276
	;; [unrolled: 1-line block ×6, first 2 shown]
	s_waitcnt vmcnt(22)
	v_mul_f32_e32 v43, v180, v19
	v_fmac_f32_e32 v43, v181, v18
	ds_read_b128 v[182:185], v118 offset:672
	v_add_f32_e32 v30, v30, v43
	buffer_load_dword v43, off, s[0:3], 0 offset:296
	buffer_load_dword v44, off, s[0:3], 0 offset:300
	ds_read_b128 v[186:189], v118 offset:688
	buffer_load_dword v46, off, s[0:3], 0 offset:304
	buffer_load_dword v47, off, s[0:3], 0 offset:308
	;; [unrolled: 1-line block ×14, first 2 shown]
	s_waitcnt vmcnt(36) lgkmcnt(1)
	v_mul_f32_e32 v45, v182, v21
	v_fmac_f32_e32 v45, v183, v20
	v_add_f32_e32 v30, v30, v45
	s_waitcnt vmcnt(34)
	v_mul_f32_e32 v45, v184, v23
	buffer_load_dword v60, off, s[0:3], 0 offset:360
	buffer_load_dword v61, off, s[0:3], 0 offset:364
	v_fmac_f32_e32 v45, v185, v22
	v_add_f32_e32 v30, v30, v45
	s_waitcnt vmcnt(34) lgkmcnt(0)
	v_mul_f32_e32 v45, v186, v25
	v_fmac_f32_e32 v45, v187, v24
	v_add_f32_e32 v30, v30, v45
	s_waitcnt vmcnt(32)
	v_mul_f32_e32 v45, v188, v27
	ds_read_b128 v[190:193], v118 offset:704
	v_fmac_f32_e32 v45, v189, v26
	v_add_f32_e32 v30, v30, v45
	buffer_load_dword v45, off, s[0:3], 0 offset:368
	buffer_load_dword v62, off, s[0:3], 0 offset:372
	;; [unrolled: 1-line block ×6, first 2 shown]
	ds_read_b128 v[194:197], v118 offset:720
	s_waitcnt vmcnt(36) lgkmcnt(1)
	v_mul_f32_e32 v67, v190, v29
	v_fmac_f32_e32 v67, v191, v28
	v_add_f32_e32 v30, v30, v67
	buffer_load_dword v67, off, s[0:3], 0 offset:392
	buffer_load_dword v68, off, s[0:3], 0 offset:396
	;; [unrolled: 1-line block ×8, first 2 shown]
	s_waitcnt vmcnt(42)
	v_mul_f32_e32 v69, v192, v33
	v_fmac_f32_e32 v69, v193, v32
	v_add_f32_e32 v30, v30, v69
	s_waitcnt vmcnt(40) lgkmcnt(0)
	v_mul_f32_e32 v69, v194, v35
	v_fmac_f32_e32 v69, v195, v34
	v_add_f32_e32 v30, v30, v69
	buffer_load_dword v69, off, s[0:3], 0 offset:424
	buffer_load_dword v249, off, s[0:3], 0 offset:428
	;; [unrolled: 1-line block ×8, first 2 shown]
	ds_read_b128 v[198:201], v118 offset:736
	s_waitcnt vmcnt(46)
	v_mul_f32_e32 v202, v196, v37
	v_fmac_f32_e32 v202, v197, v36
	v_add_f32_e32 v30, v30, v202
	ds_read_b128 v[202:205], v118 offset:752
	buffer_load_dword v73, off, s[0:3], 0 offset:456
	buffer_load_dword v74, off, s[0:3], 0 offset:460
	s_waitcnt vmcnt(46) lgkmcnt(1)
	v_mul_f32_e32 v206, v198, v38
	v_fmac_f32_e32 v206, v199, v31
	v_add_f32_e32 v30, v30, v206
	s_waitcnt vmcnt(45)
	v_mul_f32_e32 v206, v200, v39
	s_waitcnt vmcnt(42)
	v_fmac_f32_e32 v206, v201, v42
	v_add_f32_e32 v30, v30, v206
	s_waitcnt lgkmcnt(0)
	v_mul_f32_e32 v206, v202, v41
	v_fmac_f32_e32 v206, v203, v40
	v_add_f32_e32 v30, v30, v206
	ds_read_b128 v[206:209], v118 offset:768
	s_waitcnt vmcnt(40)
	v_mul_f32_e32 v210, v204, v44
	v_fmac_f32_e32 v210, v205, v43
	v_add_f32_e32 v30, v30, v210
	ds_read_b128 v[210:213], v118 offset:784
	s_waitcnt vmcnt(38) lgkmcnt(1)
	v_mul_f32_e32 v214, v206, v47
	v_fmac_f32_e32 v214, v207, v46
	v_add_f32_e32 v30, v30, v214
	s_waitcnt vmcnt(37)
	v_mul_f32_e32 v214, v208, v48
	s_waitcnt vmcnt(34)
	v_fmac_f32_e32 v214, v209, v51
	v_add_f32_e32 v30, v30, v214
	s_waitcnt lgkmcnt(0)
	v_mul_f32_e32 v214, v210, v50
	v_fmac_f32_e32 v214, v211, v49
	v_add_f32_e32 v30, v30, v214
	ds_read_b128 v[214:217], v118 offset:800
	s_waitcnt vmcnt(32)
	v_mul_f32_e32 v218, v212, v53
	v_fmac_f32_e32 v218, v213, v52
	v_add_f32_e32 v30, v30, v218
	ds_read_b128 v[218:221], v118 offset:816
	;; [unrolled: 19-line block ×5, first 2 shown]
	s_waitcnt vmcnt(6) lgkmcnt(1)
	v_mul_f32_e32 v118, v238, v251
	v_fmac_f32_e32 v118, v239, v250
	v_add_f32_e32 v30, v30, v118
	s_waitcnt vmcnt(5)
	v_mul_f32_e32 v118, v240, v252
	s_waitcnt vmcnt(2)
	v_fmac_f32_e32 v118, v241, v255
	v_add_f32_e32 v30, v30, v118
	s_waitcnt lgkmcnt(0)
	v_mul_f32_e32 v118, v242, v254
	v_fmac_f32_e32 v118, v243, v253
	v_add_f32_e32 v30, v30, v118
	s_waitcnt vmcnt(0)
	v_mul_f32_e32 v118, v244, v74
	v_fmac_f32_e32 v118, v245, v73
	v_add_f32_e32 v30, v30, v118
	v_mul_f32_e32 v118, v143, v127
	v_fma_f32 v1, v142, v1, -v118
	v_mul_f32_e32 v118, v145, v124
	v_add_f32_e32 v1, 0, v1
	v_fma_f32 v118, v144, v141, -v118
	v_add_f32_e32 v1, v1, v118
	v_mul_f32_e32 v118, v147, v123
	v_fma_f32 v118, v146, v138, -v118
	v_add_f32_e32 v1, v1, v118
	v_mul_f32_e32 v118, v149, v122
	;; [unrolled: 3-line block ×50, first 2 shown]
	v_fma_f32 v2, v244, v73, -v2
	v_add_f32_e32 v1, v1, v2
	v_sub_f32_e32 v1, v125, v1
	v_sub_f32_e32 v2, v126, v30
	buffer_store_dword v1, off, s[0:3], 0 offset:40
	buffer_store_dword v2, off, s[0:3], 0 offset:44
	s_and_saveexec_b64 s[4:5], vcc
	s_cbranch_execz .LBB57_353
; %bb.352:
	buffer_load_dword v1, off, s[0:3], 0 offset:32
	buffer_load_dword v2, off, s[0:3], 0 offset:36
	v_mov_b32_e32 v3, 0
	buffer_store_dword v3, off, s[0:3], 0 offset:32
	buffer_store_dword v3, off, s[0:3], 0 offset:36
	s_waitcnt vmcnt(2)
	ds_write_b64 v117, v[1:2]
.LBB57_353:
	s_or_b64 exec, exec, s[4:5]
	s_waitcnt lgkmcnt(0)
	; wave barrier
	buffer_load_dword v127, off, s[0:3], 0 offset:44
	buffer_load_dword v126, off, s[0:3], 0 offset:52
	;; [unrolled: 1-line block ×40, first 2 shown]
	v_mov_b32_e32 v118, 0
	buffer_load_dword v11, off, s[0:3], 0 offset:192
	buffer_load_dword v12, off, s[0:3], 0 offset:196
	;; [unrolled: 1-line block ×11, first 2 shown]
	ds_read2_b64 v[155:158], v118 offset0:63 offset1:64
	ds_read2_b64 v[159:162], v118 offset0:65 offset1:66
	;; [unrolled: 1-line block ×8, first 2 shown]
	v_cmp_lt_u32_e32 vcc, 3, v0
	s_waitcnt vmcnt(50) lgkmcnt(7)
	v_mul_f32_e32 v1, v155, v127
	s_waitcnt vmcnt(49)
	v_mul_f32_e32 v2, v157, v126
	s_waitcnt vmcnt(48) lgkmcnt(6)
	v_mul_f32_e32 v3, v159, v125
	s_waitcnt vmcnt(47)
	v_mul_f32_e32 v4, v161, v124
	;; [unrolled: 4-line block ×5, first 2 shown]
	s_waitcnt vmcnt(40) lgkmcnt(2)
	v_mul_f32_e32 v26, v175, v131
	s_waitcnt vmcnt(39)
	v_fmac_f32_e32 v3, v160, v138
	s_waitcnt vmcnt(38)
	v_fmac_f32_e32 v2, v158, v141
	;; [unrolled: 2-line block ×3, first 2 shown]
	v_add_f32_e32 v1, 0, v1
	v_add_f32_e32 v1, v1, v2
	;; [unrolled: 1-line block ×3, first 2 shown]
	s_waitcnt vmcnt(33)
	v_fmac_f32_e32 v4, v162, v142
	v_fmac_f32_e32 v5, v164, v140
	v_add_f32_e32 v1, v1, v4
	v_fmac_f32_e32 v6, v166, v137
	v_add_f32_e32 v1, v1, v5
	;; [unrolled: 2-line block ×3, first 2 shown]
	s_waitcnt vmcnt(29)
	v_fmac_f32_e32 v23, v170, v139
	v_add_f32_e32 v1, v1, v22
	v_fmac_f32_e32 v24, v172, v136
	v_add_f32_e32 v1, v1, v23
	v_fmac_f32_e32 v25, v174, v133
	v_add_f32_e32 v1, v1, v24
	buffer_load_dword v22, off, s[0:3], 0 offset:232
	buffer_load_dword v23, off, s[0:3], 0 offset:240
	;; [unrolled: 1-line block ×3, first 2 shown]
	v_fmac_f32_e32 v26, v176, v132
	v_add_f32_e32 v1, v1, v25
	v_add_f32_e32 v1, v1, v26
	buffer_load_dword v25, off, s[0:3], 0 offset:248
	buffer_load_dword v26, off, s[0:3], 0 offset:252
	ds_read2_b64 v[187:190], v118 offset0:79 offset1:80
	buffer_load_dword v27, off, s[0:3], 0 offset:256
	buffer_load_dword v28, off, s[0:3], 0 offset:260
	ds_read2_b64 v[191:194], v118 offset0:81 offset1:82
	;; [unrolled: 3-line block ×3, first 2 shown]
	buffer_load_dword v31, off, s[0:3], 0 offset:276
	buffer_load_dword v32, off, s[0:3], 0 offset:280
	;; [unrolled: 1-line block ×4, first 2 shown]
	ds_read2_b64 v[199:202], v118 offset0:85 offset1:86
	buffer_load_dword v35, off, s[0:3], 0 offset:288
	buffer_load_dword v36, off, s[0:3], 0 offset:292
	;; [unrolled: 1-line block ×16, first 2 shown]
	ds_read2_b64 v[203:206], v118 offset0:87 offset1:88
	buffer_load_dword v51, off, s[0:3], 0 offset:352
	buffer_load_dword v52, off, s[0:3], 0 offset:356
	ds_read2_b64 v[207:210], v118 offset0:89 offset1:90
	buffer_load_dword v53, off, s[0:3], 0 offset:360
	buffer_load_dword v54, off, s[0:3], 0 offset:364
	;; [unrolled: 1-line block ×16, first 2 shown]
	ds_read2_b64 v[211:214], v118 offset0:91 offset1:92
	buffer_load_dword v69, off, s[0:3], 0 offset:424
	buffer_load_dword v70, off, s[0:3], 0 offset:428
	;; [unrolled: 1-line block ×6, first 2 shown]
	s_waitcnt vmcnt(62)
	v_mul_f32_e32 v2, v177, v135
	v_fmac_f32_e32 v2, v178, v150
	v_add_f32_e32 v1, v1, v2
	s_waitcnt lgkmcnt(8)
	v_mul_f32_e32 v2, v179, v149
	ds_read2_b64 v[215:218], v118 offset0:93 offset1:94
	buffer_load_dword v255, off, s[0:3], 0 offset:452
	buffer_load_dword v75, off, s[0:3], 0 offset:456
	;; [unrolled: 1-line block ×4, first 2 shown]
	v_fmac_f32_e32 v2, v180, v147
	v_add_f32_e32 v1, v1, v2
	v_mul_f32_e32 v2, v181, v148
	v_fmac_f32_e32 v2, v182, v145
	v_add_f32_e32 v1, v1, v2
	s_waitcnt lgkmcnt(8)
	v_mul_f32_e32 v2, v183, v146
	v_fmac_f32_e32 v2, v184, v144
	v_add_f32_e32 v1, v1, v2
	v_mul_f32_e32 v2, v185, v151
	v_fmac_f32_e32 v2, v186, v10
	v_add_f32_e32 v1, v1, v2
	s_waitcnt lgkmcnt(7)
	v_mul_f32_e32 v2, v187, v153
	;; [unrolled: 7-line block ×3, first 2 shown]
	v_fmac_f32_e32 v2, v192, v8
	v_add_f32_e32 v1, v1, v2
	v_mul_f32_e32 v2, v193, v12
	v_fmac_f32_e32 v2, v194, v11
	v_add_f32_e32 v1, v1, v2
	s_waitcnt vmcnt(62) lgkmcnt(5)
	v_mul_f32_e32 v2, v195, v14
	v_fmac_f32_e32 v2, v196, v13
	v_add_f32_e32 v1, v1, v2
	v_mul_f32_e32 v2, v197, v16
	v_fmac_f32_e32 v2, v198, v15
	v_add_f32_e32 v1, v1, v2
	s_waitcnt vmcnt(60) lgkmcnt(4)
	v_mul_f32_e32 v2, v199, v18
	v_fmac_f32_e32 v2, v200, v17
	v_add_f32_e32 v1, v1, v2
	s_waitcnt vmcnt(58)
	v_mul_f32_e32 v2, v201, v20
	v_fmac_f32_e32 v2, v202, v19
	v_add_f32_e32 v1, v1, v2
	s_waitcnt vmcnt(57) lgkmcnt(3)
	v_mul_f32_e32 v2, v203, v21
	ds_read2_b64 v[219:222], v118 offset0:95 offset1:96
	ds_read2_b64 v[223:226], v118 offset0:97 offset1:98
	;; [unrolled: 1-line block ×9, first 2 shown]
	v_mul_f32_e32 v80, v158, v126
	v_fma_f32 v80, v157, v141, -v80
	s_waitcnt vmcnt(56)
	v_fmac_f32_e32 v2, v204, v22
	v_add_f32_e32 v1, v1, v2
	s_waitcnt vmcnt(54)
	v_mul_f32_e32 v2, v205, v24
	v_fmac_f32_e32 v2, v206, v23
	v_add_f32_e32 v1, v1, v2
	v_mul_f32_e32 v7, v190, v7
	s_waitcnt vmcnt(52) lgkmcnt(11)
	v_mul_f32_e32 v2, v207, v26
	v_fmac_f32_e32 v2, v208, v25
	v_add_f32_e32 v1, v1, v2
	s_waitcnt vmcnt(50)
	v_mul_f32_e32 v2, v209, v28
	v_fmac_f32_e32 v2, v210, v27
	v_add_f32_e32 v1, v1, v2
	s_waitcnt vmcnt(48) lgkmcnt(10)
	v_mul_f32_e32 v2, v211, v30
	v_fmac_f32_e32 v2, v212, v29
	v_add_f32_e32 v1, v1, v2
	s_waitcnt vmcnt(47)
	v_mul_f32_e32 v2, v213, v31
	s_waitcnt vmcnt(44)
	v_fmac_f32_e32 v2, v214, v34
	v_add_f32_e32 v1, v1, v2
	s_waitcnt lgkmcnt(9)
	v_mul_f32_e32 v2, v215, v33
	v_fmac_f32_e32 v2, v216, v32
	v_add_f32_e32 v1, v1, v2
	s_waitcnt vmcnt(42)
	v_mul_f32_e32 v2, v217, v36
	v_fmac_f32_e32 v2, v218, v35
	v_add_f32_e32 v1, v1, v2
	s_waitcnt vmcnt(40) lgkmcnt(8)
	v_mul_f32_e32 v2, v219, v38
	v_fmac_f32_e32 v2, v220, v37
	v_add_f32_e32 v1, v1, v2
	s_waitcnt vmcnt(39)
	v_mul_f32_e32 v2, v221, v39
	s_waitcnt vmcnt(36)
	v_fmac_f32_e32 v2, v222, v42
	v_add_f32_e32 v1, v1, v2
	s_waitcnt lgkmcnt(7)
	;; [unrolled: 17-line block ×5, first 2 shown]
	v_mul_f32_e32 v2, v247, v65
	v_fmac_f32_e32 v2, v248, v64
	v_add_f32_e32 v1, v1, v2
	s_waitcnt vmcnt(10)
	v_mul_f32_e32 v2, v249, v68
	v_fmac_f32_e32 v2, v250, v67
	v_add_f32_e32 v5, v1, v2
	ds_read2_b64 v[1:4], v118 offset0:113 offset1:114
	s_waitcnt vmcnt(8) lgkmcnt(1)
	v_mul_f32_e32 v6, v251, v70
	v_fmac_f32_e32 v6, v252, v69
	v_add_f32_e32 v5, v5, v6
	s_waitcnt vmcnt(7)
	v_mul_f32_e32 v6, v253, v71
	s_waitcnt vmcnt(4)
	v_fmac_f32_e32 v6, v254, v74
	v_add_f32_e32 v78, v5, v6
	ds_read_b64 v[5:6], v118 offset:920
	s_waitcnt lgkmcnt(1)
	v_mul_f32_e32 v79, v1, v73
	v_fmac_f32_e32 v79, v2, v72
	v_add_f32_e32 v78, v78, v79
	s_waitcnt vmcnt(3)
	v_mul_f32_e32 v79, v3, v255
	s_waitcnt vmcnt(0)
	v_fmac_f32_e32 v79, v4, v77
	v_add_f32_e32 v78, v78, v79
	s_waitcnt lgkmcnt(0)
	v_mul_f32_e32 v79, v5, v76
	v_fmac_f32_e32 v79, v6, v75
	v_add_f32_e32 v78, v78, v79
	v_mul_f32_e32 v79, v156, v127
	v_fma_f32 v79, v155, v143, -v79
	v_add_f32_e32 v79, 0, v79
	v_add_f32_e32 v79, v79, v80
	v_mul_f32_e32 v80, v160, v125
	v_fma_f32 v80, v159, v138, -v80
	v_add_f32_e32 v79, v79, v80
	v_mul_f32_e32 v80, v162, v124
	v_fma_f32 v80, v161, v142, -v80
	;; [unrolled: 3-line block ×15, first 2 shown]
	v_add_f32_e32 v10, v10, v79
	v_fma_f32 v7, v189, v154, -v7
	v_mul_f32_e32 v9, v192, v9
	v_add_f32_e32 v7, v10, v7
	v_fma_f32 v8, v191, v8, -v9
	v_add_f32_e32 v7, v7, v8
	v_mul_f32_e32 v8, v194, v12
	v_fma_f32 v8, v193, v11, -v8
	v_add_f32_e32 v7, v7, v8
	v_mul_f32_e32 v8, v196, v14
	;; [unrolled: 3-line block ×31, first 2 shown]
	v_fma_f32 v8, v253, v74, -v8
	v_mul_f32_e32 v2, v2, v73
	v_add_f32_e32 v7, v7, v8
	v_fma_f32 v1, v1, v72, -v2
	v_mul_f32_e32 v2, v4, v255
	v_add_f32_e32 v1, v7, v1
	v_fma_f32 v2, v3, v77, -v2
	v_add_f32_e32 v1, v1, v2
	v_mul_f32_e32 v2, v6, v76
	v_fma_f32 v2, v5, v75, -v2
	v_add_f32_e32 v1, v1, v2
	v_sub_f32_e32 v1, v119, v1
	v_sub_f32_e32 v2, v120, v78
	buffer_store_dword v1, off, s[0:3], 0 offset:32
	buffer_store_dword v2, off, s[0:3], 0 offset:36
	s_and_saveexec_b64 s[4:5], vcc
	s_cbranch_execz .LBB57_355
; %bb.354:
	buffer_load_dword v1, off, s[0:3], 0 offset:24
	buffer_load_dword v2, off, s[0:3], 0 offset:28
	s_waitcnt vmcnt(0)
	ds_write_b64 v117, v[1:2]
	buffer_store_dword v118, off, s[0:3], 0 offset:24
	buffer_store_dword v118, off, s[0:3], 0 offset:28
.LBB57_355:
	s_or_b64 exec, exec, s[4:5]
	s_waitcnt lgkmcnt(0)
	; wave barrier
	buffer_load_dword v127, off, s[0:3], 0 offset:36
	buffer_load_dword v126, off, s[0:3], 0 offset:44
	;; [unrolled: 1-line block ×40, first 2 shown]
	ds_read_b128 v[1:4], v118 offset:496
	ds_read_b128 v[152:155], v118 offset:512
	;; [unrolled: 1-line block ×6, first 2 shown]
	buffer_load_dword v12, off, s[0:3], 0 offset:184
	buffer_load_dword v13, off, s[0:3], 0 offset:188
	;; [unrolled: 1-line block ×12, first 2 shown]
	ds_read_b128 v[172:175], v118 offset:592
	ds_read_b128 v[176:179], v118 offset:608
	v_cmp_lt_u32_e32 vcc, 2, v0
	s_waitcnt vmcnt(51) lgkmcnt(7)
	v_mul_f32_e32 v24, v1, v127
	s_waitcnt vmcnt(50)
	v_mul_f32_e32 v25, v3, v126
	s_waitcnt vmcnt(49) lgkmcnt(6)
	v_mul_f32_e32 v26, v152, v125
	s_waitcnt vmcnt(48)
	v_mul_f32_e32 v27, v154, v124
	s_waitcnt vmcnt(47) lgkmcnt(5)
	v_mul_f32_e32 v28, v156, v123
	s_waitcnt vmcnt(46)
	v_mul_f32_e32 v29, v158, v120
	s_waitcnt vmcnt(45) lgkmcnt(4)
	v_mul_f32_e32 v30, v160, v119
	s_waitcnt vmcnt(44)
	v_mul_f32_e32 v31, v162, v128
	s_waitcnt vmcnt(43) lgkmcnt(3)
	v_mul_f32_e32 v32, v164, v129
	s_waitcnt vmcnt(42)
	v_mul_f32_e32 v33, v166, v130
	s_waitcnt vmcnt(41) lgkmcnt(2)
	v_mul_f32_e32 v34, v168, v131
	s_waitcnt vmcnt(40)
	v_fmac_f32_e32 v26, v153, v138
	s_waitcnt vmcnt(39)
	v_fmac_f32_e32 v25, v4, v141
	;; [unrolled: 2-line block ×3, first 2 shown]
	v_add_f32_e32 v24, 0, v24
	v_add_f32_e32 v24, v24, v25
	;; [unrolled: 1-line block ×3, first 2 shown]
	s_waitcnt vmcnt(34)
	v_fmac_f32_e32 v27, v155, v142
	v_fmac_f32_e32 v28, v157, v140
	v_add_f32_e32 v24, v24, v27
	v_fmac_f32_e32 v29, v159, v137
	v_add_f32_e32 v24, v24, v28
	;; [unrolled: 2-line block ×3, first 2 shown]
	s_waitcnt vmcnt(30)
	v_fmac_f32_e32 v31, v163, v139
	v_add_f32_e32 v24, v24, v30
	v_fmac_f32_e32 v32, v165, v136
	v_add_f32_e32 v24, v24, v31
	;; [unrolled: 2-line block ×4, first 2 shown]
	s_waitcnt vmcnt(29)
	v_mul_f32_e32 v25, v170, v135
	v_add_f32_e32 v24, v24, v34
	s_waitcnt vmcnt(25)
	v_fmac_f32_e32 v25, v171, v150
	v_add_f32_e32 v24, v24, v25
	s_waitcnt vmcnt(24) lgkmcnt(1)
	v_mul_f32_e32 v25, v172, v149
	buffer_load_dword v26, off, s[0:3], 0 offset:236
	buffer_load_dword v27, off, s[0:3], 0 offset:232
	;; [unrolled: 1-line block ×4, first 2 shown]
	v_fmac_f32_e32 v25, v173, v147
	v_add_f32_e32 v24, v24, v25
	s_waitcnt vmcnt(27)
	v_mul_f32_e32 v25, v174, v148
	v_fmac_f32_e32 v25, v175, v145
	v_add_f32_e32 v24, v24, v25
	buffer_load_dword v25, off, s[0:3], 0 offset:248
	buffer_load_dword v30, off, s[0:3], 0 offset:252
	ds_read_b128 v[180:183], v118 offset:624
	ds_read_b128 v[184:187], v118 offset:640
	s_waitcnt vmcnt(28) lgkmcnt(2)
	v_mul_f32_e32 v31, v176, v146
	v_fmac_f32_e32 v31, v177, v144
	v_add_f32_e32 v24, v24, v31
	s_waitcnt vmcnt(27)
	v_mul_f32_e32 v31, v178, v151
	s_waitcnt vmcnt(21)
	v_fmac_f32_e32 v31, v179, v10
	v_add_f32_e32 v24, v24, v31
	s_waitcnt vmcnt(20) lgkmcnt(1)
	v_mul_f32_e32 v31, v180, v11
	v_fmac_f32_e32 v31, v181, v9
	v_add_f32_e32 v24, v24, v31
	v_mul_f32_e32 v31, v182, v6
	buffer_load_dword v32, off, s[0:3], 0 offset:260
	v_fmac_f32_e32 v31, v183, v5
	buffer_load_dword v33, off, s[0:3], 0 offset:256
	buffer_load_dword v34, off, s[0:3], 0 offset:264
	;; [unrolled: 1-line block ×3, first 2 shown]
	ds_read_b128 v[188:191], v118 offset:656
	v_add_f32_e32 v24, v24, v31
	s_waitcnt lgkmcnt(1)
	v_mul_f32_e32 v31, v184, v8
	v_fmac_f32_e32 v31, v185, v7
	v_add_f32_e32 v24, v24, v31
	s_waitcnt vmcnt(20)
	v_mul_f32_e32 v31, v186, v13
	v_fmac_f32_e32 v31, v187, v12
	buffer_load_dword v36, off, s[0:3], 0 offset:272
	buffer_load_dword v37, off, s[0:3], 0 offset:276
	v_add_f32_e32 v24, v24, v31
	s_waitcnt vmcnt(20) lgkmcnt(0)
	v_mul_f32_e32 v31, v188, v15
	v_fmac_f32_e32 v31, v189, v14
	ds_read_b128 v[192:195], v118 offset:672
	v_add_f32_e32 v24, v24, v31
	buffer_load_dword v31, off, s[0:3], 0 offset:280
	buffer_load_dword v38, off, s[0:3], 0 offset:284
	s_waitcnt vmcnt(20)
	v_mul_f32_e32 v39, v190, v17
	v_fmac_f32_e32 v39, v191, v16
	buffer_load_dword v40, off, s[0:3], 0 offset:288
	buffer_load_dword v41, off, s[0:3], 0 offset:292
	buffer_load_dword v42, off, s[0:3], 0 offset:300
	buffer_load_dword v43, off, s[0:3], 0 offset:304
	buffer_load_dword v44, off, s[0:3], 0 offset:308
	buffer_load_dword v45, off, s[0:3], 0 offset:296
	v_add_f32_e32 v24, v24, v39
	s_waitcnt vmcnt(24) lgkmcnt(0)
	v_mul_f32_e32 v39, v192, v19
	v_fmac_f32_e32 v39, v193, v18
	v_add_f32_e32 v24, v24, v39
	buffer_load_dword v39, off, s[0:3], 0 offset:312
	buffer_load_dword v46, off, s[0:3], 0 offset:316
	ds_read_b128 v[196:199], v118 offset:688
	buffer_load_dword v48, off, s[0:3], 0 offset:320
	buffer_load_dword v49, off, s[0:3], 0 offset:324
	;; [unrolled: 1-line block ×6, first 2 shown]
	ds_read_b128 v[200:203], v118 offset:704
	buffer_load_dword v54, off, s[0:3], 0 offset:344
	buffer_load_dword v55, off, s[0:3], 0 offset:348
	s_waitcnt vmcnt(32)
	v_mul_f32_e32 v47, v194, v21
	v_fmac_f32_e32 v47, v195, v20
	v_add_f32_e32 v24, v24, v47
	s_waitcnt vmcnt(30) lgkmcnt(1)
	v_mul_f32_e32 v47, v196, v23
	v_mul_f32_e32 v2, v2, v127
	v_fmac_f32_e32 v47, v197, v22
	v_fma_f32 v1, v1, v143, -v2
	v_mul_f32_e32 v2, v4, v126
	v_add_f32_e32 v24, v24, v47
	buffer_load_dword v47, off, s[0:3], 0 offset:352
	buffer_load_dword v56, off, s[0:3], 0 offset:356
	;; [unrolled: 1-line block ×6, first 2 shown]
	v_add_f32_e32 v1, 0, v1
	v_fma_f32 v2, v3, v141, -v2
	v_add_f32_e32 v1, v1, v2
	v_mul_f32_e32 v2, v153, v125
	v_fma_f32 v2, v152, v138, -v2
	buffer_load_dword v62, off, s[0:3], 0 offset:376
	buffer_load_dword v63, off, s[0:3], 0 offset:380
	v_add_f32_e32 v1, v1, v2
	v_mul_f32_e32 v2, v155, v124
	v_fma_f32 v2, v154, v142, -v2
	v_add_f32_e32 v1, v1, v2
	v_mul_f32_e32 v2, v157, v123
	v_fma_f32 v2, v156, v140, -v2
	;; [unrolled: 3-line block ×4, first 2 shown]
	v_add_f32_e32 v1, v1, v2
	s_waitcnt vmcnt(37)
	v_mul_f32_e32 v61, v198, v26
	s_waitcnt vmcnt(36)
	v_fmac_f32_e32 v61, v199, v27
	v_add_f32_e32 v24, v24, v61
	s_waitcnt vmcnt(34) lgkmcnt(0)
	v_mul_f32_e32 v61, v200, v29
	v_fmac_f32_e32 v61, v201, v28
	v_add_f32_e32 v24, v24, v61
	buffer_load_dword v61, off, s[0:3], 0 offset:384
	buffer_load_dword v64, off, s[0:3], 0 offset:388
	;; [unrolled: 1-line block ×6, first 2 shown]
	ds_read_b128 v[204:207], v118 offset:720
	v_mul_f32_e32 v2, v163, v128
	s_waitcnt vmcnt(38)
	v_mul_f32_e32 v69, v202, v30
	v_fmac_f32_e32 v69, v203, v25
	v_add_f32_e32 v24, v24, v69
	buffer_load_dword v69, off, s[0:3], 0 offset:408
	buffer_load_dword v70, off, s[0:3], 0 offset:412
	v_fma_f32 v2, v162, v139, -v2
	v_add_f32_e32 v1, v1, v2
	v_mul_f32_e32 v2, v165, v129
	v_fma_f32 v2, v164, v136, -v2
	v_add_f32_e32 v1, v1, v2
	v_mul_f32_e32 v2, v167, v130
	ds_read_b128 v[208:211], v118 offset:736
	buffer_load_dword v72, off, s[0:3], 0 offset:416
	buffer_load_dword v73, off, s[0:3], 0 offset:420
	;; [unrolled: 1-line block ×6, first 2 shown]
	v_fma_f32 v2, v166, v133, -v2
	v_add_f32_e32 v1, v1, v2
	v_mul_f32_e32 v2, v169, v131
	v_fma_f32 v2, v168, v132, -v2
	v_add_f32_e32 v1, v1, v2
	v_mul_f32_e32 v2, v171, v135
	;; [unrolled: 3-line block ×3, first 2 shown]
	buffer_load_dword v78, off, s[0:3], 0 offset:440
	buffer_load_dword v79, off, s[0:3], 0 offset:444
	;; [unrolled: 1-line block ×6, first 2 shown]
	v_fma_f32 v2, v172, v147, -v2
	v_add_f32_e32 v1, v1, v2
	v_mul_f32_e32 v2, v175, v148
	v_fma_f32 v2, v174, v145, -v2
	v_add_f32_e32 v1, v1, v2
	v_mul_f32_e32 v2, v177, v146
	v_fma_f32 v2, v176, v144, -v2
	v_add_f32_e32 v1, v1, v2
	v_mul_f32_e32 v2, v179, v151
	v_fma_f32 v2, v178, v10, -v2
	v_add_f32_e32 v1, v1, v2
	v_mul_f32_e32 v2, v181, v11
	v_fma_f32 v2, v180, v9, -v2
	v_add_f32_e32 v1, v1, v2
	v_mul_f32_e32 v2, v183, v6
	v_fma_f32 v2, v182, v5, -v2
	v_add_f32_e32 v1, v1, v2
	v_mul_f32_e32 v2, v185, v8
	v_fma_f32 v2, v184, v7, -v2
	v_add_f32_e32 v1, v1, v2
	v_mul_f32_e32 v2, v187, v13
	v_fma_f32 v2, v186, v12, -v2
	v_add_f32_e32 v1, v1, v2
	v_mul_f32_e32 v2, v189, v15
	v_fma_f32 v2, v188, v14, -v2
	v_add_f32_e32 v1, v1, v2
	v_mul_f32_e32 v2, v191, v17
	v_fma_f32 v2, v190, v16, -v2
	v_add_f32_e32 v1, v1, v2
	v_mul_f32_e32 v2, v193, v19
	v_fma_f32 v2, v192, v18, -v2
	v_add_f32_e32 v1, v1, v2
	v_mul_f32_e32 v2, v195, v21
	v_fma_f32 v2, v194, v20, -v2
	v_add_f32_e32 v1, v1, v2
	v_mul_f32_e32 v2, v197, v23
	v_fma_f32 v2, v196, v22, -v2
	v_add_f32_e32 v1, v1, v2
	v_mul_f32_e32 v2, v199, v26
	v_fma_f32 v2, v198, v27, -v2
	v_add_f32_e32 v1, v1, v2
	v_mul_f32_e32 v2, v201, v29
	v_fma_f32 v2, v200, v28, -v2
	v_add_f32_e32 v1, v1, v2
	v_mul_f32_e32 v2, v203, v30
	v_fma_f32 v2, v202, v25, -v2
	v_add_f32_e32 v1, v1, v2
	s_waitcnt vmcnt(51) lgkmcnt(1)
	v_mul_f32_e32 v2, v205, v32
	v_mul_f32_e32 v71, v204, v32
	s_waitcnt vmcnt(50)
	v_fma_f32 v2, v204, v33, -v2
	v_fmac_f32_e32 v71, v205, v33
	v_add_f32_e32 v1, v1, v2
	s_waitcnt vmcnt(48)
	v_mul_f32_e32 v2, v207, v35
	v_add_f32_e32 v24, v24, v71
	v_mul_f32_e32 v71, v206, v35
	ds_read_b128 v[212:215], v118 offset:752
	ds_read_b128 v[216:219], v118 offset:768
	v_fma_f32 v2, v206, v34, -v2
	v_fmac_f32_e32 v71, v207, v34
	v_add_f32_e32 v1, v1, v2
	s_waitcnt vmcnt(46) lgkmcnt(2)
	v_mul_f32_e32 v2, v209, v37
	v_add_f32_e32 v24, v24, v71
	v_mul_f32_e32 v71, v208, v37
	v_fma_f32 v2, v208, v36, -v2
	v_fmac_f32_e32 v71, v209, v36
	v_add_f32_e32 v1, v1, v2
	s_waitcnt vmcnt(44)
	v_mul_f32_e32 v2, v211, v38
	v_add_f32_e32 v24, v24, v71
	v_mul_f32_e32 v71, v210, v38
	v_fma_f32 v2, v210, v31, -v2
	v_fmac_f32_e32 v71, v211, v31
	v_add_f32_e32 v1, v1, v2
	s_waitcnt vmcnt(42) lgkmcnt(1)
	v_mul_f32_e32 v2, v213, v41
	v_add_f32_e32 v24, v24, v71
	v_mul_f32_e32 v71, v212, v41
	v_fma_f32 v2, v212, v40, -v2
	v_fmac_f32_e32 v71, v213, v40
	v_add_f32_e32 v1, v1, v2
	s_waitcnt vmcnt(41)
	v_mul_f32_e32 v2, v215, v42
	v_add_f32_e32 v24, v24, v71
	v_mul_f32_e32 v71, v214, v42
	ds_read_b128 v[220:223], v118 offset:784
	ds_read_b128 v[224:227], v118 offset:800
	s_waitcnt vmcnt(38)
	v_fma_f32 v2, v214, v45, -v2
	v_fmac_f32_e32 v71, v215, v45
	v_add_f32_e32 v1, v1, v2
	s_waitcnt lgkmcnt(2)
	v_mul_f32_e32 v2, v217, v44
	v_add_f32_e32 v24, v24, v71
	v_mul_f32_e32 v71, v216, v44
	v_fma_f32 v2, v216, v43, -v2
	v_fmac_f32_e32 v71, v217, v43
	v_add_f32_e32 v1, v1, v2
	s_waitcnt vmcnt(36)
	v_mul_f32_e32 v2, v219, v46
	v_add_f32_e32 v24, v24, v71
	v_mul_f32_e32 v71, v218, v46
	v_fma_f32 v2, v218, v39, -v2
	v_fmac_f32_e32 v71, v219, v39
	v_add_f32_e32 v1, v1, v2
	s_waitcnt vmcnt(34) lgkmcnt(1)
	v_mul_f32_e32 v2, v221, v49
	v_add_f32_e32 v24, v24, v71
	v_mul_f32_e32 v71, v220, v49
	v_fma_f32 v2, v220, v48, -v2
	v_fmac_f32_e32 v71, v221, v48
	v_add_f32_e32 v1, v1, v2
	s_waitcnt vmcnt(33)
	v_mul_f32_e32 v2, v223, v50
	v_add_f32_e32 v24, v24, v71
	v_mul_f32_e32 v71, v222, v50
	ds_read_b128 v[228:231], v118 offset:816
	ds_read_b128 v[232:235], v118 offset:832
	s_waitcnt vmcnt(30)
	v_fma_f32 v2, v222, v53, -v2
	v_fmac_f32_e32 v71, v223, v53
	v_add_f32_e32 v1, v1, v2
	s_waitcnt lgkmcnt(2)
	;; [unrolled: 31-line block ×4, first 2 shown]
	v_mul_f32_e32 v2, v241, v67
	v_add_f32_e32 v24, v24, v71
	v_mul_f32_e32 v71, v240, v67
	v_fma_f32 v2, v240, v66, -v2
	v_fmac_f32_e32 v71, v241, v66
	v_add_f32_e32 v1, v1, v2
	s_waitcnt vmcnt(12)
	v_mul_f32_e32 v2, v243, v70
	v_add_f32_e32 v24, v24, v71
	v_mul_f32_e32 v71, v242, v70
	v_fma_f32 v2, v242, v69, -v2
	v_fmac_f32_e32 v71, v243, v69
	v_add_f32_e32 v1, v1, v2
	s_waitcnt vmcnt(10) lgkmcnt(1)
	v_mul_f32_e32 v2, v245, v73
	v_add_f32_e32 v24, v24, v71
	v_mul_f32_e32 v71, v244, v73
	v_fma_f32 v2, v244, v72, -v2
	v_fmac_f32_e32 v71, v245, v72
	v_add_f32_e32 v1, v1, v2
	s_waitcnt vmcnt(9)
	v_mul_f32_e32 v2, v247, v74
	v_add_f32_e32 v24, v24, v71
	v_mul_f32_e32 v71, v246, v74
	ds_read_b128 v[252:255], v118 offset:912
	s_waitcnt vmcnt(6)
	v_fma_f32 v2, v246, v77, -v2
	v_fmac_f32_e32 v71, v247, v77
	v_add_f32_e32 v1, v1, v2
	s_waitcnt lgkmcnt(1)
	v_mul_f32_e32 v2, v249, v76
	v_add_f32_e32 v24, v24, v71
	v_mul_f32_e32 v71, v248, v76
	v_fma_f32 v2, v248, v75, -v2
	v_fmac_f32_e32 v71, v249, v75
	v_add_f32_e32 v1, v1, v2
	s_waitcnt vmcnt(4)
	v_mul_f32_e32 v2, v251, v79
	v_add_f32_e32 v24, v24, v71
	v_mul_f32_e32 v71, v250, v79
	v_fma_f32 v2, v250, v78, -v2
	v_fmac_f32_e32 v71, v251, v78
	v_add_f32_e32 v1, v1, v2
	s_waitcnt vmcnt(3) lgkmcnt(0)
	v_mul_f32_e32 v2, v253, v80
	v_add_f32_e32 v24, v24, v71
	v_mul_f32_e32 v71, v252, v80
	s_waitcnt vmcnt(0)
	v_fma_f32 v2, v252, v83, -v2
	v_fmac_f32_e32 v71, v253, v83
	v_add_f32_e32 v1, v1, v2
	v_mul_f32_e32 v2, v255, v82
	v_add_f32_e32 v24, v24, v71
	v_mul_f32_e32 v71, v254, v82
	v_fma_f32 v2, v254, v81, -v2
	v_fmac_f32_e32 v71, v255, v81
	v_add_f32_e32 v1, v1, v2
	v_add_f32_e32 v24, v24, v71
	v_sub_f32_e32 v1, v121, v1
	v_sub_f32_e32 v2, v122, v24
	buffer_store_dword v1, off, s[0:3], 0 offset:24
	buffer_store_dword v2, off, s[0:3], 0 offset:28
	s_and_saveexec_b64 s[4:5], vcc
	s_cbranch_execz .LBB57_357
; %bb.356:
	buffer_load_dword v1, off, s[0:3], 0 offset:16
	buffer_load_dword v2, off, s[0:3], 0 offset:20
	v_mov_b32_e32 v3, 0
	buffer_store_dword v3, off, s[0:3], 0 offset:16
	buffer_store_dword v3, off, s[0:3], 0 offset:20
	s_waitcnt vmcnt(2)
	ds_write_b64 v117, v[1:2]
.LBB57_357:
	s_or_b64 exec, exec, s[4:5]
	s_waitcnt lgkmcnt(0)
	; wave barrier
	buffer_load_dword v127, off, s[0:3], 0 offset:28
	buffer_load_dword v126, off, s[0:3], 0 offset:36
	;; [unrolled: 1-line block ×40, first 2 shown]
	v_mov_b32_e32 v118, 0
	buffer_load_dword v16, off, s[0:3], 0 offset:176
	buffer_load_dword v17, off, s[0:3], 0 offset:180
	;; [unrolled: 1-line block ×12, first 2 shown]
	ds_read2_b64 v[1:4], v118 offset0:61 offset1:62
	ds_read2_b64 v[158:161], v118 offset0:63 offset1:64
	;; [unrolled: 1-line block ×6, first 2 shown]
	buffer_load_dword v29, off, s[0:3], 0 offset:224
	buffer_load_dword v30, off, s[0:3], 0 offset:228
	ds_read2_b64 v[178:181], v118 offset0:73 offset1:74
	v_cmp_lt_u32_e32 vcc, 1, v0
	s_waitcnt vmcnt(53) lgkmcnt(6)
	v_mul_f32_e32 v5, v1, v127
	s_waitcnt vmcnt(52)
	v_mul_f32_e32 v6, v3, v126
	s_waitcnt vmcnt(51) lgkmcnt(5)
	v_mul_f32_e32 v7, v158, v125
	s_waitcnt vmcnt(50)
	v_mul_f32_e32 v8, v160, v124
	;; [unrolled: 4-line block ×5, first 2 shown]
	s_waitcnt vmcnt(43) lgkmcnt(1)
	v_mul_f32_e32 v28, v174, v131
	s_waitcnt vmcnt(42)
	v_fmac_f32_e32 v7, v159, v138
	s_waitcnt vmcnt(41)
	v_fmac_f32_e32 v6, v4, v141
	;; [unrolled: 2-line block ×3, first 2 shown]
	v_add_f32_e32 v5, 0, v5
	v_add_f32_e32 v5, v5, v6
	;; [unrolled: 1-line block ×3, first 2 shown]
	s_waitcnt vmcnt(36)
	v_fmac_f32_e32 v8, v161, v142
	v_fmac_f32_e32 v9, v163, v140
	v_add_f32_e32 v5, v5, v8
	v_fmac_f32_e32 v10, v165, v137
	v_add_f32_e32 v5, v5, v9
	v_fmac_f32_e32 v11, v167, v134
	v_add_f32_e32 v5, v5, v10
	s_waitcnt vmcnt(32)
	v_fmac_f32_e32 v12, v169, v139
	v_add_f32_e32 v5, v5, v11
	v_fmac_f32_e32 v13, v171, v136
	v_add_f32_e32 v5, v5, v12
	;; [unrolled: 2-line block ×3, first 2 shown]
	v_add_f32_e32 v5, v5, v14
	v_fmac_f32_e32 v28, v175, v132
	v_add_f32_e32 v5, v5, v28
	buffer_load_dword v28, off, s[0:3], 0 offset:232
	buffer_load_dword v31, off, s[0:3], 0 offset:236
	ds_read2_b64 v[182:185], v118 offset0:75 offset1:76
	buffer_load_dword v32, off, s[0:3], 0 offset:240
	buffer_load_dword v33, off, s[0:3], 0 offset:244
	ds_read2_b64 v[186:189], v118 offset0:77 offset1:78
	;; [unrolled: 3-line block ×3, first 2 shown]
	buffer_load_dword v36, off, s[0:3], 0 offset:260
	buffer_load_dword v37, off, s[0:3], 0 offset:256
	;; [unrolled: 1-line block ×4, first 2 shown]
	ds_read2_b64 v[194:197], v118 offset0:81 offset1:82
	ds_read2_b64 v[198:201], v118 offset0:83 offset1:84
	buffer_load_dword v40, off, s[0:3], 0 offset:272
	buffer_load_dword v41, off, s[0:3], 0 offset:276
	;; [unrolled: 1-line block ×10, first 2 shown]
	ds_read2_b64 v[202:205], v118 offset0:85 offset1:86
	buffer_load_dword v50, off, s[0:3], 0 offset:312
	buffer_load_dword v51, off, s[0:3], 0 offset:316
	;; [unrolled: 1-line block ×6, first 2 shown]
	ds_read2_b64 v[206:209], v118 offset0:87 offset1:88
	buffer_load_dword v56, off, s[0:3], 0 offset:336
	buffer_load_dword v57, off, s[0:3], 0 offset:340
	;; [unrolled: 1-line block ×8, first 2 shown]
	v_mul_f32_e32 v2, v2, v127
	buffer_load_dword v64, off, s[0:3], 0 offset:368
	buffer_load_dword v65, off, s[0:3], 0 offset:372
	v_fma_f32 v1, v1, v143, -v2
	v_mul_f32_e32 v2, v4, v126
	v_add_f32_e32 v1, 0, v1
	v_fma_f32 v2, v3, v141, -v2
	v_add_f32_e32 v1, v1, v2
	v_mul_f32_e32 v2, v159, v125
	v_fma_f32 v2, v158, v138, -v2
	v_add_f32_e32 v1, v1, v2
	v_mul_f32_e32 v2, v161, v124
	ds_read2_b64 v[210:213], v118 offset0:89 offset1:90
	buffer_load_dword v66, off, s[0:3], 0 offset:376
	buffer_load_dword v67, off, s[0:3], 0 offset:380
	;; [unrolled: 1-line block ×6, first 2 shown]
	v_fma_f32 v2, v160, v142, -v2
	v_add_f32_e32 v1, v1, v2
	v_mul_f32_e32 v2, v163, v123
	v_fma_f32 v2, v162, v140, -v2
	ds_read2_b64 v[214:217], v118 offset0:91 offset1:92
	buffer_load_dword v72, off, s[0:3], 0 offset:400
	buffer_load_dword v73, off, s[0:3], 0 offset:404
	v_add_f32_e32 v1, v1, v2
	v_mul_f32_e32 v2, v165, v122
	v_fma_f32 v2, v164, v137, -v2
	v_add_f32_e32 v1, v1, v2
	v_mul_f32_e32 v2, v167, v121
	v_fma_f32 v2, v166, v134, -v2
	;; [unrolled: 3-line block ×3, first 2 shown]
	buffer_load_dword v74, off, s[0:3], 0 offset:408
	buffer_load_dword v75, off, s[0:3], 0 offset:412
	;; [unrolled: 1-line block ×6, first 2 shown]
	v_add_f32_e32 v1, v1, v2
	v_mul_f32_e32 v2, v171, v129
	v_fma_f32 v2, v170, v136, -v2
	s_waitcnt vmcnt(62)
	v_mul_f32_e32 v6, v176, v135
	v_add_f32_e32 v1, v1, v2
	v_mul_f32_e32 v2, v173, v130
	v_fmac_f32_e32 v6, v177, v151
	v_fma_f32 v2, v172, v133, -v2
	v_add_f32_e32 v5, v5, v6
	s_waitcnt lgkmcnt(9)
	v_mul_f32_e32 v6, v178, v149
	v_add_f32_e32 v1, v1, v2
	v_mul_f32_e32 v2, v175, v131
	v_fmac_f32_e32 v6, v179, v147
	buffer_load_dword v80, off, s[0:3], 0 offset:432
	buffer_load_dword v81, off, s[0:3], 0 offset:436
	v_fma_f32 v2, v174, v132, -v2
	v_add_f32_e32 v5, v5, v6
	v_mul_f32_e32 v6, v180, v148
	v_add_f32_e32 v1, v1, v2
	v_mul_f32_e32 v2, v177, v135
	v_fmac_f32_e32 v6, v181, v146
	v_fma_f32 v2, v176, v151, -v2
	v_add_f32_e32 v5, v5, v6
	s_waitcnt lgkmcnt(8)
	v_mul_f32_e32 v6, v182, v145
	v_add_f32_e32 v1, v1, v2
	v_mul_f32_e32 v2, v179, v149
	v_fmac_f32_e32 v6, v183, v144
	v_fma_f32 v2, v178, v147, -v2
	v_add_f32_e32 v5, v5, v6
	v_mul_f32_e32 v6, v184, v150
	v_add_f32_e32 v1, v1, v2
	v_mul_f32_e32 v2, v181, v148
	v_fmac_f32_e32 v6, v185, v15
	buffer_load_dword v82, off, s[0:3], 0 offset:440
	buffer_load_dword v83, off, s[0:3], 0 offset:444
	;; [unrolled: 1-line block ×6, first 2 shown]
	v_fma_f32 v2, v180, v146, -v2
	v_add_f32_e32 v5, v5, v6
	s_waitcnt lgkmcnt(7)
	v_mul_f32_e32 v6, v186, v153
	v_add_f32_e32 v1, v1, v2
	v_mul_f32_e32 v2, v183, v145
	v_fmac_f32_e32 v6, v187, v152
	v_fma_f32 v2, v182, v144, -v2
	v_add_f32_e32 v5, v5, v6
	v_mul_f32_e32 v6, v188, v155
	v_add_f32_e32 v1, v1, v2
	v_mul_f32_e32 v2, v185, v150
	v_fmac_f32_e32 v6, v189, v154
	v_fma_f32 v2, v184, v15, -v2
	v_add_f32_e32 v5, v5, v6
	s_waitcnt lgkmcnt(6)
	v_mul_f32_e32 v6, v190, v157
	v_add_f32_e32 v1, v1, v2
	v_mul_f32_e32 v2, v187, v153
	v_fmac_f32_e32 v6, v191, v156
	v_fma_f32 v2, v186, v152, -v2
	v_add_f32_e32 v5, v5, v6
	v_mul_f32_e32 v6, v192, v17
	v_add_f32_e32 v1, v1, v2
	v_mul_f32_e32 v2, v189, v155
	v_fmac_f32_e32 v6, v193, v16
	v_fma_f32 v2, v188, v154, -v2
	v_add_f32_e32 v5, v5, v6
	s_waitcnt vmcnt(62) lgkmcnt(5)
	v_mul_f32_e32 v6, v194, v19
	v_add_f32_e32 v1, v1, v2
	v_mul_f32_e32 v2, v191, v157
	v_fmac_f32_e32 v6, v195, v18
	v_fma_f32 v2, v190, v156, -v2
	v_add_f32_e32 v5, v5, v6
	v_mul_f32_e32 v6, v196, v21
	v_add_f32_e32 v1, v1, v2
	v_mul_f32_e32 v2, v193, v17
	v_fmac_f32_e32 v6, v197, v20
	v_fma_f32 v2, v192, v16, -v2
	v_add_f32_e32 v5, v5, v6
	s_waitcnt lgkmcnt(4)
	v_mul_f32_e32 v6, v198, v23
	v_add_f32_e32 v1, v1, v2
	v_mul_f32_e32 v2, v195, v19
	v_fmac_f32_e32 v6, v199, v22
	v_fma_f32 v2, v194, v18, -v2
	v_add_f32_e32 v5, v5, v6
	v_mul_f32_e32 v6, v200, v25
	v_add_f32_e32 v1, v1, v2
	v_mul_f32_e32 v2, v197, v21
	v_fmac_f32_e32 v6, v201, v24
	v_fma_f32 v2, v196, v20, -v2
	v_add_f32_e32 v5, v5, v6
	s_waitcnt vmcnt(60) lgkmcnt(3)
	v_mul_f32_e32 v6, v202, v27
	v_add_f32_e32 v1, v1, v2
	v_mul_f32_e32 v2, v199, v23
	v_fmac_f32_e32 v6, v203, v26
	v_fma_f32 v2, v198, v22, -v2
	v_add_f32_e32 v5, v5, v6
	s_waitcnt vmcnt(58)
	v_mul_f32_e32 v6, v204, v30
	v_add_f32_e32 v1, v1, v2
	v_mul_f32_e32 v2, v201, v25
	v_fmac_f32_e32 v6, v205, v29
	v_fma_f32 v2, v200, v24, -v2
	v_add_f32_e32 v5, v5, v6
	s_waitcnt vmcnt(56) lgkmcnt(2)
	v_mul_f32_e32 v6, v206, v31
	v_add_f32_e32 v1, v1, v2
	v_mul_f32_e32 v2, v203, v27
	v_fmac_f32_e32 v6, v207, v28
	v_fma_f32 v2, v202, v26, -v2
	v_add_f32_e32 v5, v5, v6
	s_waitcnt vmcnt(54)
	;; [unrolled: 14-line block ×3, first 2 shown]
	v_mul_f32_e32 v6, v212, v36
	v_add_f32_e32 v1, v1, v2
	v_mul_f32_e32 v2, v209, v33
	s_waitcnt vmcnt(50)
	v_fmac_f32_e32 v6, v213, v37
	ds_read2_b64 v[218:221], v118 offset0:93 offset1:94
	ds_read2_b64 v[222:225], v118 offset0:95 offset1:96
	v_fma_f32 v2, v208, v32, -v2
	v_add_f32_e32 v5, v5, v6
	s_waitcnt vmcnt(48) lgkmcnt(2)
	v_mul_f32_e32 v6, v214, v39
	v_add_f32_e32 v1, v1, v2
	v_mul_f32_e32 v2, v211, v35
	v_fmac_f32_e32 v6, v215, v38
	v_fma_f32 v2, v210, v34, -v2
	v_add_f32_e32 v5, v5, v6
	s_waitcnt vmcnt(46)
	v_mul_f32_e32 v6, v216, v41
	v_add_f32_e32 v1, v1, v2
	v_mul_f32_e32 v2, v213, v36
	v_fmac_f32_e32 v6, v217, v40
	v_fma_f32 v2, v212, v37, -v2
	v_add_f32_e32 v5, v5, v6
	s_waitcnt vmcnt(44) lgkmcnt(1)
	v_mul_f32_e32 v6, v218, v43
	v_add_f32_e32 v1, v1, v2
	v_mul_f32_e32 v2, v215, v39
	v_fmac_f32_e32 v6, v219, v42
	v_fma_f32 v2, v214, v38, -v2
	v_add_f32_e32 v5, v5, v6
	s_waitcnt vmcnt(43)
	v_mul_f32_e32 v6, v220, v44
	v_add_f32_e32 v1, v1, v2
	v_mul_f32_e32 v2, v217, v41
	s_waitcnt vmcnt(40)
	v_fmac_f32_e32 v6, v221, v47
	ds_read2_b64 v[226:229], v118 offset0:97 offset1:98
	ds_read2_b64 v[230:233], v118 offset0:99 offset1:100
	v_fma_f32 v2, v216, v40, -v2
	v_add_f32_e32 v5, v5, v6
	s_waitcnt lgkmcnt(2)
	v_mul_f32_e32 v6, v222, v46
	v_add_f32_e32 v1, v1, v2
	v_mul_f32_e32 v2, v219, v43
	v_fmac_f32_e32 v6, v223, v45
	v_fma_f32 v2, v218, v42, -v2
	v_add_f32_e32 v5, v5, v6
	s_waitcnt vmcnt(38)
	v_mul_f32_e32 v6, v224, v49
	v_add_f32_e32 v1, v1, v2
	v_mul_f32_e32 v2, v221, v44
	v_fmac_f32_e32 v6, v225, v48
	v_fma_f32 v2, v220, v47, -v2
	v_add_f32_e32 v5, v5, v6
	s_waitcnt vmcnt(36) lgkmcnt(1)
	v_mul_f32_e32 v6, v226, v51
	v_add_f32_e32 v1, v1, v2
	v_mul_f32_e32 v2, v223, v46
	v_fmac_f32_e32 v6, v227, v50
	v_fma_f32 v2, v222, v45, -v2
	v_add_f32_e32 v5, v5, v6
	s_waitcnt vmcnt(35)
	v_mul_f32_e32 v6, v228, v52
	v_add_f32_e32 v1, v1, v2
	v_mul_f32_e32 v2, v225, v49
	s_waitcnt vmcnt(32)
	v_fmac_f32_e32 v6, v229, v55
	ds_read2_b64 v[234:237], v118 offset0:101 offset1:102
	ds_read2_b64 v[238:241], v118 offset0:103 offset1:104
	v_fma_f32 v2, v224, v48, -v2
	v_add_f32_e32 v5, v5, v6
	s_waitcnt lgkmcnt(2)
	;; [unrolled: 31-line block ×3, first 2 shown]
	v_mul_f32_e32 v6, v238, v62
	v_add_f32_e32 v1, v1, v2
	v_mul_f32_e32 v2, v235, v59
	v_fmac_f32_e32 v6, v239, v61
	v_fma_f32 v2, v234, v58, -v2
	v_add_f32_e32 v5, v5, v6
	s_waitcnt vmcnt(22)
	v_mul_f32_e32 v6, v240, v65
	v_add_f32_e32 v1, v1, v2
	v_mul_f32_e32 v2, v237, v60
	v_fmac_f32_e32 v6, v241, v64
	v_fma_f32 v2, v236, v63, -v2
	v_add_f32_e32 v5, v5, v6
	s_waitcnt vmcnt(20) lgkmcnt(1)
	v_mul_f32_e32 v6, v242, v67
	v_add_f32_e32 v1, v1, v2
	v_mul_f32_e32 v2, v239, v62
	v_fmac_f32_e32 v6, v243, v66
	v_fma_f32 v2, v238, v61, -v2
	v_add_f32_e32 v5, v5, v6
	s_waitcnt vmcnt(19)
	v_mul_f32_e32 v6, v244, v68
	v_add_f32_e32 v1, v1, v2
	v_mul_f32_e32 v2, v241, v65
	s_waitcnt vmcnt(16)
	v_fmac_f32_e32 v6, v245, v71
	v_fma_f32 v2, v240, v64, -v2
	v_add_f32_e32 v5, v5, v6
	s_waitcnt lgkmcnt(0)
	v_mul_f32_e32 v6, v246, v70
	ds_read2_b64 v[250:253], v118 offset0:109 offset1:110
	v_add_f32_e32 v1, v1, v2
	v_mul_f32_e32 v2, v243, v67
	v_fmac_f32_e32 v6, v247, v69
	v_fma_f32 v2, v242, v66, -v2
	v_add_f32_e32 v5, v5, v6
	s_waitcnt vmcnt(14)
	v_mul_f32_e32 v6, v248, v73
	v_add_f32_e32 v1, v1, v2
	v_mul_f32_e32 v2, v245, v68
	v_fmac_f32_e32 v6, v249, v72
	v_fma_f32 v2, v244, v71, -v2
	v_add_f32_e32 v9, v5, v6
	ds_read2_b64 v[5:8], v118 offset0:111 offset1:112
	v_add_f32_e32 v1, v1, v2
	v_mul_f32_e32 v2, v247, v70
	s_waitcnt vmcnt(12) lgkmcnt(1)
	v_mul_f32_e32 v10, v250, v75
	v_fma_f32 v2, v246, v69, -v2
	v_fmac_f32_e32 v10, v251, v74
	v_add_f32_e32 v1, v1, v2
	v_mul_f32_e32 v2, v249, v73
	v_add_f32_e32 v9, v9, v10
	s_waitcnt vmcnt(11)
	v_mul_f32_e32 v10, v252, v76
	v_fma_f32 v2, v248, v72, -v2
	s_waitcnt vmcnt(8)
	v_fmac_f32_e32 v10, v253, v79
	v_add_f32_e32 v1, v1, v2
	v_mul_f32_e32 v2, v251, v75
	v_add_f32_e32 v9, v9, v10
	s_waitcnt lgkmcnt(0)
	v_mul_f32_e32 v10, v5, v78
	v_fma_f32 v2, v250, v74, -v2
	v_fmac_f32_e32 v10, v6, v77
	v_add_f32_e32 v1, v1, v2
	v_mul_f32_e32 v2, v253, v76
	v_add_f32_e32 v13, v9, v10
	ds_read2_b64 v[9:12], v118 offset0:113 offset1:114
	v_fma_f32 v2, v252, v79, -v2
	v_add_f32_e32 v1, v1, v2
	v_mul_f32_e32 v2, v6, v78
	s_waitcnt vmcnt(6)
	v_mul_f32_e32 v14, v7, v81
	v_fma_f32 v2, v5, v77, -v2
	v_fmac_f32_e32 v14, v8, v80
	v_add_f32_e32 v1, v1, v2
	v_mul_f32_e32 v2, v8, v81
	v_add_f32_e32 v86, v13, v14
	ds_read_b64 v[13:14], v118 offset:920
	v_fma_f32 v2, v7, v80, -v2
	v_add_f32_e32 v1, v1, v2
	s_waitcnt vmcnt(4) lgkmcnt(1)
	v_mul_f32_e32 v2, v10, v83
	v_mul_f32_e32 v87, v9, v83
	v_fma_f32 v2, v9, v82, -v2
	v_fmac_f32_e32 v87, v10, v82
	v_add_f32_e32 v1, v1, v2
	s_waitcnt vmcnt(3)
	v_mul_f32_e32 v2, v12, v84
	v_add_f32_e32 v86, v86, v87
	v_mul_f32_e32 v87, v11, v84
	s_waitcnt vmcnt(0)
	v_fma_f32 v2, v11, v85, -v2
	v_fmac_f32_e32 v87, v12, v85
	v_add_f32_e32 v1, v1, v2
	s_waitcnt lgkmcnt(0)
	v_mul_f32_e32 v2, v14, v255
	v_add_f32_e32 v86, v86, v87
	v_mul_f32_e32 v87, v13, v255
	v_fma_f32 v2, v13, v254, -v2
	v_fmac_f32_e32 v87, v14, v254
	v_add_f32_e32 v1, v1, v2
	v_add_f32_e32 v86, v86, v87
	v_sub_f32_e32 v1, v119, v1
	v_sub_f32_e32 v2, v120, v86
	buffer_store_dword v1, off, s[0:3], 0 offset:16
	buffer_store_dword v2, off, s[0:3], 0 offset:20
	s_and_saveexec_b64 s[4:5], vcc
	s_cbranch_execz .LBB57_359
; %bb.358:
	buffer_load_dword v1, off, s[0:3], 0 offset:8
	buffer_load_dword v2, off, s[0:3], 0 offset:12
	s_waitcnt vmcnt(0)
	ds_write_b64 v117, v[1:2]
	buffer_store_dword v118, off, s[0:3], 0 offset:8
	buffer_store_dword v118, off, s[0:3], 0 offset:12
.LBB57_359:
	s_or_b64 exec, exec, s[4:5]
	s_waitcnt lgkmcnt(0)
	; wave barrier
	buffer_load_dword v127, off, s[0:3], 0 offset:20
	buffer_load_dword v126, off, s[0:3], 0 offset:28
	;; [unrolled: 1-line block ×40, first 2 shown]
	ds_read_b128 v[1:4], v118 offset:480
	ds_read_b128 v[5:8], v118 offset:496
	;; [unrolled: 1-line block ×6, first 2 shown]
	buffer_load_dword v18, off, s[0:3], 0 offset:168
	buffer_load_dword v19, off, s[0:3], 0 offset:172
	;; [unrolled: 1-line block ×14, first 2 shown]
	v_cmp_ne_u32_e32 vcc, 0, v0
	s_waitcnt vmcnt(53) lgkmcnt(5)
	v_mul_f32_e32 v13, v1, v127
	s_waitcnt vmcnt(52)
	v_mul_f32_e32 v14, v3, v126
	s_waitcnt vmcnt(51) lgkmcnt(4)
	v_mul_f32_e32 v15, v5, v125
	s_waitcnt vmcnt(50)
	v_mul_f32_e32 v16, v7, v124
	;; [unrolled: 4-line block ×5, first 2 shown]
	s_waitcnt vmcnt(43)
	v_fmac_f32_e32 v15, v6, v134
	s_waitcnt vmcnt(42)
	v_fmac_f32_e32 v14, v4, v138
	;; [unrolled: 2-line block ×3, first 2 shown]
	v_add_f32_e32 v13, 0, v13
	v_add_f32_e32 v13, v13, v14
	;; [unrolled: 1-line block ×3, first 2 shown]
	s_waitcnt vmcnt(37)
	v_fmac_f32_e32 v16, v8, v141
	v_fmac_f32_e32 v32, v10, v137
	v_add_f32_e32 v13, v13, v16
	v_fmac_f32_e32 v33, v12, v133
	v_add_f32_e32 v13, v13, v32
	;; [unrolled: 2-line block ×3, first 2 shown]
	buffer_load_dword v32, off, s[0:3], 0 offset:224
	buffer_load_dword v33, off, s[0:3], 0 offset:228
	s_waitcnt vmcnt(35)
	v_fmac_f32_e32 v35, v161, v143
	v_add_f32_e32 v13, v13, v34
	v_fmac_f32_e32 v36, v163, v139
	v_add_f32_e32 v13, v13, v35
	ds_read_b128 v[170:173], v118 offset:576
	ds_read_b128 v[174:177], v118 offset:592
	buffer_load_dword v34, off, s[0:3], 0 offset:232
	buffer_load_dword v35, off, s[0:3], 0 offset:236
	v_fmac_f32_e32 v37, v165, v135
	v_add_f32_e32 v13, v13, v36
	v_add_f32_e32 v13, v13, v37
	buffer_load_dword v36, off, s[0:3], 0 offset:240
	buffer_load_dword v37, off, s[0:3], 0 offset:244
	ds_read_b128 v[178:181], v118 offset:608
	ds_read_b128 v[182:185], v118 offset:624
	buffer_load_dword v38, off, s[0:3], 0 offset:248
	buffer_load_dword v39, off, s[0:3], 0 offset:252
	;; [unrolled: 1-line block ×4, first 2 shown]
	ds_read_b128 v[186:189], v118 offset:640
	buffer_load_dword v42, off, s[0:3], 0 offset:264
	buffer_load_dword v43, off, s[0:3], 0 offset:268
	ds_read_b128 v[190:193], v118 offset:656
	buffer_load_dword v44, off, s[0:3], 0 offset:272
	buffer_load_dword v45, off, s[0:3], 0 offset:276
	;; [unrolled: 1-line block ×6, first 2 shown]
	ds_read_b128 v[194:197], v118 offset:672
	buffer_load_dword v50, off, s[0:3], 0 offset:296
	buffer_load_dword v51, off, s[0:3], 0 offset:300
	ds_read_b128 v[198:201], v118 offset:688
	buffer_load_dword v52, off, s[0:3], 0 offset:304
	buffer_load_dword v53, off, s[0:3], 0 offset:308
	;; [unrolled: 1-line block ×8, first 2 shown]
	v_mul_f32_e32 v2, v2, v127
	buffer_load_dword v60, off, s[0:3], 0 offset:336
	buffer_load_dword v61, off, s[0:3], 0 offset:340
	;; [unrolled: 1-line block ×6, first 2 shown]
	v_fma_f32 v1, v1, v142, -v2
	v_mul_f32_e32 v2, v4, v126
	v_add_f32_e32 v1, 0, v1
	v_fma_f32 v2, v3, v138, -v2
	v_add_f32_e32 v1, v1, v2
	v_mul_f32_e32 v2, v6, v125
	buffer_load_dword v66, off, s[0:3], 0 offset:360
	buffer_load_dword v67, off, s[0:3], 0 offset:364
	v_fma_f32 v2, v5, v134, -v2
	v_add_f32_e32 v1, v1, v2
	v_mul_f32_e32 v2, v8, v124
	v_fma_f32 v2, v7, v141, -v2
	v_add_f32_e32 v1, v1, v2
	v_mul_f32_e32 v2, v10, v123
	v_fma_f32 v2, v9, v137, -v2
	ds_read_b128 v[202:205], v118 offset:704
	buffer_load_dword v68, off, s[0:3], 0 offset:368
	buffer_load_dword v69, off, s[0:3], 0 offset:372
	;; [unrolled: 1-line block ×6, first 2 shown]
	v_add_f32_e32 v1, v1, v2
	v_mul_f32_e32 v2, v12, v122
	v_fma_f32 v2, v11, v133, -v2
	v_add_f32_e32 v1, v1, v2
	v_mul_f32_e32 v2, v159, v121
	ds_read_b128 v[206:209], v118 offset:720
	buffer_load_dword v74, off, s[0:3], 0 offset:392
	buffer_load_dword v75, off, s[0:3], 0 offset:396
	v_fma_f32 v2, v158, v131, -v2
	v_add_f32_e32 v1, v1, v2
	v_mul_f32_e32 v2, v161, v128
	v_fma_f32 v2, v160, v143, -v2
	v_add_f32_e32 v1, v1, v2
	v_mul_f32_e32 v2, v163, v129
	v_fma_f32 v2, v162, v139, -v2
	buffer_load_dword v76, off, s[0:3], 0 offset:400
	buffer_load_dword v77, off, s[0:3], 0 offset:404
	;; [unrolled: 1-line block ×6, first 2 shown]
	v_add_f32_e32 v1, v1, v2
	v_mul_f32_e32 v2, v165, v130
	s_waitcnt vmcnt(62) lgkmcnt(10)
	v_mul_f32_e32 v14, v166, v136
	v_fma_f32 v2, v164, v135, -v2
	v_fmac_f32_e32 v14, v167, v132
	v_add_f32_e32 v1, v1, v2
	v_mul_f32_e32 v2, v167, v136
	v_add_f32_e32 v13, v13, v14
	v_mul_f32_e32 v14, v168, v140
	buffer_load_dword v82, off, s[0:3], 0 offset:424
	buffer_load_dword v83, off, s[0:3], 0 offset:428
	v_fma_f32 v2, v166, v132, -v2
	v_fmac_f32_e32 v14, v169, v150
	v_add_f32_e32 v1, v1, v2
	v_mul_f32_e32 v2, v169, v140
	v_add_f32_e32 v13, v13, v14
	s_waitcnt lgkmcnt(9)
	v_mul_f32_e32 v14, v170, v149
	v_fma_f32 v2, v168, v150, -v2
	v_fmac_f32_e32 v14, v171, v147
	v_add_f32_e32 v1, v1, v2
	v_mul_f32_e32 v2, v171, v149
	v_add_f32_e32 v13, v13, v14
	v_mul_f32_e32 v14, v172, v148
	v_fma_f32 v2, v170, v147, -v2
	v_fmac_f32_e32 v14, v173, v145
	v_add_f32_e32 v1, v1, v2
	v_mul_f32_e32 v2, v173, v148
	v_add_f32_e32 v13, v13, v14
	s_waitcnt lgkmcnt(8)
	v_mul_f32_e32 v14, v174, v146
	buffer_load_dword v84, off, s[0:3], 0 offset:432
	buffer_load_dword v85, off, s[0:3], 0 offset:436
	;; [unrolled: 1-line block ×6, first 2 shown]
	v_fma_f32 v2, v172, v145, -v2
	v_fmac_f32_e32 v14, v175, v144
	v_add_f32_e32 v1, v1, v2
	v_mul_f32_e32 v2, v175, v146
	v_add_f32_e32 v13, v13, v14
	v_mul_f32_e32 v14, v176, v151
	v_fma_f32 v2, v174, v144, -v2
	v_fmac_f32_e32 v14, v177, v17
	ds_read_b128 v[210:213], v118 offset:736
	ds_read_b128 v[214:217], v118 offset:752
	buffer_load_dword v255, off, s[0:3], 0 offset:456
	buffer_load_dword v89, off, s[0:3], 0 offset:460
	v_add_f32_e32 v1, v1, v2
	v_mul_f32_e32 v2, v177, v151
	v_add_f32_e32 v13, v13, v14
	s_waitcnt lgkmcnt(9)
	v_mul_f32_e32 v14, v178, v153
	v_fma_f32 v2, v176, v17, -v2
	v_fmac_f32_e32 v14, v179, v152
	v_add_f32_e32 v1, v1, v2
	v_mul_f32_e32 v2, v179, v153
	v_add_f32_e32 v13, v13, v14
	v_mul_f32_e32 v14, v180, v155
	v_fma_f32 v2, v178, v152, -v2
	v_fmac_f32_e32 v14, v181, v154
	v_add_f32_e32 v1, v1, v2
	v_mul_f32_e32 v2, v181, v155
	v_add_f32_e32 v13, v13, v14
	s_waitcnt lgkmcnt(8)
	v_mul_f32_e32 v14, v182, v157
	v_fma_f32 v2, v180, v154, -v2
	v_fmac_f32_e32 v14, v183, v156
	v_add_f32_e32 v1, v1, v2
	v_mul_f32_e32 v2, v183, v157
	v_add_f32_e32 v13, v13, v14
	v_mul_f32_e32 v14, v184, v19
	v_fma_f32 v2, v182, v156, -v2
	v_fmac_f32_e32 v14, v185, v18
	v_add_f32_e32 v1, v1, v2
	v_mul_f32_e32 v2, v185, v19
	v_add_f32_e32 v13, v13, v14
	s_waitcnt vmcnt(62) lgkmcnt(7)
	v_mul_f32_e32 v14, v186, v21
	v_fma_f32 v2, v184, v18, -v2
	v_fmac_f32_e32 v14, v187, v20
	v_add_f32_e32 v1, v1, v2
	v_mul_f32_e32 v2, v187, v21
	v_add_f32_e32 v13, v13, v14
	v_mul_f32_e32 v14, v188, v23
	v_fma_f32 v2, v186, v20, -v2
	v_fmac_f32_e32 v14, v189, v22
	v_add_f32_e32 v1, v1, v2
	v_mul_f32_e32 v2, v189, v23
	v_add_f32_e32 v13, v13, v14
	s_waitcnt lgkmcnt(6)
	v_mul_f32_e32 v14, v190, v25
	v_fma_f32 v2, v188, v22, -v2
	v_fmac_f32_e32 v14, v191, v24
	v_add_f32_e32 v1, v1, v2
	v_mul_f32_e32 v2, v191, v25
	v_add_f32_e32 v13, v13, v14
	v_mul_f32_e32 v14, v192, v27
	v_fma_f32 v2, v190, v24, -v2
	v_fmac_f32_e32 v14, v193, v26
	v_add_f32_e32 v1, v1, v2
	v_mul_f32_e32 v2, v193, v27
	v_add_f32_e32 v13, v13, v14
	s_waitcnt lgkmcnt(5)
	v_mul_f32_e32 v14, v194, v29
	v_fma_f32 v2, v192, v26, -v2
	v_fmac_f32_e32 v14, v195, v28
	v_add_f32_e32 v1, v1, v2
	v_mul_f32_e32 v2, v195, v29
	v_add_f32_e32 v13, v13, v14
	s_waitcnt vmcnt(60)
	v_mul_f32_e32 v14, v196, v31
	v_fma_f32 v2, v194, v28, -v2
	v_fmac_f32_e32 v14, v197, v30
	v_add_f32_e32 v1, v1, v2
	v_mul_f32_e32 v2, v197, v31
	v_add_f32_e32 v13, v13, v14
	s_waitcnt vmcnt(58) lgkmcnt(4)
	v_mul_f32_e32 v14, v198, v33
	v_fma_f32 v2, v196, v30, -v2
	v_fmac_f32_e32 v14, v199, v32
	v_add_f32_e32 v1, v1, v2
	v_mul_f32_e32 v2, v199, v33
	v_add_f32_e32 v13, v13, v14
	s_waitcnt vmcnt(56)
	v_mul_f32_e32 v14, v200, v35
	v_fma_f32 v2, v198, v32, -v2
	v_fmac_f32_e32 v14, v201, v34
	v_add_f32_e32 v1, v1, v2
	v_mul_f32_e32 v2, v201, v35
	v_add_f32_e32 v13, v13, v14
	s_waitcnt vmcnt(54) lgkmcnt(3)
	;; [unrolled: 14-line block ×4, first 2 shown]
	v_mul_f32_e32 v14, v210, v45
	v_fma_f32 v2, v208, v42, -v2
	v_fmac_f32_e32 v14, v211, v44
	v_add_f32_e32 v1, v1, v2
	v_mul_f32_e32 v2, v211, v45
	v_add_f32_e32 v13, v13, v14
	s_waitcnt vmcnt(45)
	v_mul_f32_e32 v14, v212, v46
	v_fma_f32 v2, v210, v44, -v2
	s_waitcnt vmcnt(42)
	v_fmac_f32_e32 v14, v213, v49
	ds_read_b128 v[218:221], v118 offset:768
	ds_read_b128 v[222:225], v118 offset:784
	v_add_f32_e32 v1, v1, v2
	v_mul_f32_e32 v2, v213, v46
	v_add_f32_e32 v13, v13, v14
	s_waitcnt lgkmcnt(2)
	v_mul_f32_e32 v14, v214, v48
	v_fma_f32 v2, v212, v49, -v2
	v_fmac_f32_e32 v14, v215, v47
	v_add_f32_e32 v1, v1, v2
	v_mul_f32_e32 v2, v215, v48
	v_add_f32_e32 v13, v13, v14
	s_waitcnt vmcnt(40)
	v_mul_f32_e32 v14, v216, v51
	v_fma_f32 v2, v214, v47, -v2
	v_fmac_f32_e32 v14, v217, v50
	v_add_f32_e32 v1, v1, v2
	v_mul_f32_e32 v2, v217, v51
	v_add_f32_e32 v13, v13, v14
	s_waitcnt vmcnt(38) lgkmcnt(1)
	v_mul_f32_e32 v14, v218, v53
	v_fma_f32 v2, v216, v50, -v2
	v_fmac_f32_e32 v14, v219, v52
	v_add_f32_e32 v1, v1, v2
	v_mul_f32_e32 v2, v219, v53
	v_add_f32_e32 v13, v13, v14
	s_waitcnt vmcnt(37)
	v_mul_f32_e32 v14, v220, v54
	v_fma_f32 v2, v218, v52, -v2
	s_waitcnt vmcnt(34)
	v_fmac_f32_e32 v14, v221, v57
	ds_read_b128 v[226:229], v118 offset:800
	ds_read_b128 v[230:233], v118 offset:816
	v_add_f32_e32 v1, v1, v2
	v_mul_f32_e32 v2, v221, v54
	v_add_f32_e32 v13, v13, v14
	s_waitcnt lgkmcnt(2)
	v_mul_f32_e32 v14, v222, v56
	v_fma_f32 v2, v220, v57, -v2
	v_fmac_f32_e32 v14, v223, v55
	v_add_f32_e32 v1, v1, v2
	v_mul_f32_e32 v2, v223, v56
	v_add_f32_e32 v13, v13, v14
	s_waitcnt vmcnt(32)
	v_mul_f32_e32 v14, v224, v59
	v_fma_f32 v2, v222, v55, -v2
	v_fmac_f32_e32 v14, v225, v58
	v_add_f32_e32 v1, v1, v2
	v_mul_f32_e32 v2, v225, v59
	v_add_f32_e32 v13, v13, v14
	s_waitcnt vmcnt(30) lgkmcnt(1)
	;; [unrolled: 31-line block ×4, first 2 shown]
	v_mul_f32_e32 v14, v242, v77
	v_fma_f32 v2, v240, v74, -v2
	v_fmac_f32_e32 v14, v243, v76
	v_add_f32_e32 v1, v1, v2
	v_mul_f32_e32 v2, v243, v77
	v_add_f32_e32 v13, v13, v14
	s_waitcnt vmcnt(13)
	v_mul_f32_e32 v14, v244, v78
	v_fma_f32 v2, v242, v76, -v2
	s_waitcnt vmcnt(10)
	v_fmac_f32_e32 v14, v245, v81
	v_add_f32_e32 v1, v1, v2
	v_mul_f32_e32 v2, v245, v78
	v_add_f32_e32 v13, v13, v14
	s_waitcnt lgkmcnt(0)
	v_mul_f32_e32 v14, v246, v80
	ds_read_b128 v[250:253], v118 offset:896
	v_fma_f32 v2, v244, v81, -v2
	v_fmac_f32_e32 v14, v247, v79
	v_add_f32_e32 v1, v1, v2
	v_mul_f32_e32 v2, v247, v80
	v_add_f32_e32 v13, v13, v14
	s_waitcnt vmcnt(8)
	v_mul_f32_e32 v14, v248, v83
	v_fma_f32 v2, v246, v79, -v2
	v_fmac_f32_e32 v14, v249, v82
	v_add_f32_e32 v1, v1, v2
	v_mul_f32_e32 v2, v249, v83
	v_add_f32_e32 v90, v13, v14
	ds_read_b128 v[13:16], v118 offset:912
	v_fma_f32 v2, v248, v82, -v2
	v_add_f32_e32 v1, v1, v2
	s_waitcnt vmcnt(6) lgkmcnt(1)
	v_mul_f32_e32 v2, v251, v85
	v_mul_f32_e32 v118, v250, v85
	v_fma_f32 v2, v250, v84, -v2
	v_fmac_f32_e32 v118, v251, v84
	v_add_f32_e32 v1, v1, v2
	s_waitcnt vmcnt(5)
	v_mul_f32_e32 v2, v253, v86
	v_add_f32_e32 v90, v90, v118
	v_mul_f32_e32 v118, v252, v86
	s_waitcnt vmcnt(2)
	v_fma_f32 v2, v252, v254, -v2
	v_fmac_f32_e32 v118, v253, v254
	v_add_f32_e32 v1, v1, v2
	s_waitcnt lgkmcnt(0)
	v_mul_f32_e32 v2, v14, v88
	v_add_f32_e32 v90, v90, v118
	v_mul_f32_e32 v118, v13, v88
	v_fma_f32 v2, v13, v87, -v2
	v_fmac_f32_e32 v118, v14, v87
	v_add_f32_e32 v1, v1, v2
	s_waitcnt vmcnt(0)
	v_mul_f32_e32 v2, v16, v89
	v_add_f32_e32 v90, v90, v118
	v_mul_f32_e32 v118, v15, v89
	v_fma_f32 v2, v15, v255, -v2
	v_fmac_f32_e32 v118, v16, v255
	v_add_f32_e32 v1, v1, v2
	v_add_f32_e32 v90, v90, v118
	v_sub_f32_e32 v1, v119, v1
	v_sub_f32_e32 v2, v120, v90
	buffer_store_dword v1, off, s[0:3], 0 offset:8
	buffer_store_dword v2, off, s[0:3], 0 offset:12
	s_and_saveexec_b64 s[4:5], vcc
	s_cbranch_execz .LBB57_361
; %bb.360:
	buffer_load_dword v0, off, s[0:3], 0
	buffer_load_dword v1, off, s[0:3], 0 offset:4
	v_mov_b32_e32 v2, 0
	buffer_store_dword v2, off, s[0:3], 0
	buffer_store_dword v2, off, s[0:3], 0 offset:4
	s_waitcnt vmcnt(2)
	ds_write_b64 v117, v[0:1]
.LBB57_361:
	s_or_b64 exec, exec, s[4:5]
	s_waitcnt lgkmcnt(0)
	; wave barrier
	buffer_load_dword v125, off, s[0:3], 0 offset:12
	buffer_load_dword v124, off, s[0:3], 0 offset:20
	;; [unrolled: 1-line block ×30, first 2 shown]
	buffer_load_dword v117, off, s[0:3], 0
	buffer_load_dword v118, off, s[0:3], 0 offset:4
	buffer_load_dword v150, off, s[0:3], 0 offset:132
	;; [unrolled: 1-line block ×21, first 2 shown]
	v_mov_b32_e32 v0, 0
	ds_read2_b64 v[1:4], v0 offset0:59 offset1:60
	ds_read2_b64 v[5:8], v0 offset0:61 offset1:62
	;; [unrolled: 1-line block ×6, first 2 shown]
	buffer_load_dword v29, off, s[0:3], 0 offset:212
	buffer_load_dword v30, off, s[0:3], 0 offset:208
	;; [unrolled: 1-line block ×4, first 2 shown]
	ds_read2_b64 v[177:180], v0 offset0:71 offset1:72
	buffer_load_dword v33, off, s[0:3], 0 offset:224
	buffer_load_dword v34, off, s[0:3], 0 offset:228
	;; [unrolled: 1-line block ×3, first 2 shown]
	ds_read2_b64 v[181:184], v0 offset0:73 offset1:74
	ds_read2_b64 v[185:188], v0 offset0:75 offset1:76
	;; [unrolled: 1-line block ×3, first 2 shown]
	buffer_load_dword v36, off, s[0:3], 0 offset:232
	buffer_load_dword v37, off, s[0:3], 0 offset:240
	;; [unrolled: 1-line block ×5, first 2 shown]
	ds_read2_b64 v[193:196], v0 offset0:79 offset1:80
	buffer_load_dword v41, off, s[0:3], 0 offset:256
	buffer_load_dword v42, off, s[0:3], 0 offset:260
	ds_read2_b64 v[197:200], v0 offset0:81 offset1:82
	buffer_load_dword v43, off, s[0:3], 0 offset:264
	buffer_load_dword v44, off, s[0:3], 0 offset:268
	;; [unrolled: 3-line block ×3, first 2 shown]
	buffer_load_dword v47, off, s[0:3], 0 offset:284
	buffer_load_dword v48, off, s[0:3], 0 offset:272
	ds_read2_b64 v[205:208], v0 offset0:85 offset1:86
	buffer_load_dword v49, off, s[0:3], 0 offset:288
	buffer_load_dword v50, off, s[0:3], 0 offset:292
	;; [unrolled: 1-line block ×16, first 2 shown]
	ds_read2_b64 v[209:212], v0 offset0:87 offset1:88
	buffer_load_dword v65, off, s[0:3], 0 offset:352
	buffer_load_dword v66, off, s[0:3], 0 offset:356
	ds_read2_b64 v[213:216], v0 offset0:89 offset1:90
	buffer_load_dword v67, off, s[0:3], 0 offset:360
	buffer_load_dword v68, off, s[0:3], 0 offset:364
	;; [unrolled: 1-line block ×16, first 2 shown]
	ds_read2_b64 v[217:220], v0 offset0:91 offset1:92
	buffer_load_dword v83, off, s[0:3], 0 offset:424
	buffer_load_dword v84, off, s[0:3], 0 offset:428
	;; [unrolled: 1-line block ×6, first 2 shown]
	ds_read2_b64 v[221:224], v0 offset0:93 offset1:94
	buffer_load_dword v89, off, s[0:3], 0 offset:452
	buffer_load_dword v90, off, s[0:3], 0 offset:456
	;; [unrolled: 1-line block ×4, first 2 shown]
	ds_read2_b64 v[225:228], v0 offset0:95 offset1:96
	ds_read2_b64 v[229:232], v0 offset0:97 offset1:98
	;; [unrolled: 1-line block ×7, first 2 shown]
	s_and_b64 vcc, exec, s[22:23]
	s_waitcnt vmcnt(62) lgkmcnt(14)
	v_mul_f32_e32 v17, v1, v125
	v_mul_f32_e32 v18, v3, v124
	;; [unrolled: 1-line block ×7, first 2 shown]
	v_fmac_f32_e32 v19, v6, v130
	v_fmac_f32_e32 v18, v4, v132
	;; [unrolled: 1-line block ×3, first 2 shown]
	v_mul_f32_e32 v2, v2, v125
	v_fma_f32 v1, v1, v135, -v2
	v_mul_f32_e32 v2, v4, v124
	v_add_f32_e32 v1, 0, v1
	v_fma_f32 v2, v3, v132, -v2
	v_add_f32_e32 v1, v1, v2
	v_mul_f32_e32 v2, v6, v123
	v_fma_f32 v2, v5, v130, -v2
	v_add_f32_e32 v1, v1, v2
	v_mul_f32_e32 v2, v8, v122
	v_fma_f32 v2, v7, v141, -v2
	v_add_f32_e32 v17, 0, v17
	v_add_f32_e32 v1, v1, v2
	v_mul_f32_e32 v2, v10, v121
	v_add_f32_e32 v17, v17, v18
	v_fma_f32 v2, v9, v140, -v2
	v_fmac_f32_e32 v20, v8, v141
	v_add_f32_e32 v17, v17, v19
	v_add_f32_e32 v1, v1, v2
	v_mul_f32_e32 v2, v12, v120
	v_fmac_f32_e32 v21, v10, v140
	v_add_f32_e32 v17, v17, v20
	v_fma_f32 v2, v11, v138, -v2
	v_fmac_f32_e32 v22, v12, v138
	v_add_f32_e32 v17, v17, v21
	v_add_f32_e32 v1, v1, v2
	v_mul_f32_e32 v2, v14, v119
	v_mul_f32_e32 v24, v15, v128
	v_fmac_f32_e32 v23, v14, v136
	v_add_f32_e32 v17, v17, v22
	v_fma_f32 v2, v13, v136, -v2
	v_mul_f32_e32 v25, v169, v127
	v_fmac_f32_e32 v24, v16, v139
	v_add_f32_e32 v17, v17, v23
	v_add_f32_e32 v1, v1, v2
	v_mul_f32_e32 v2, v16, v128
	v_mul_f32_e32 v26, v171, v126
	v_fmac_f32_e32 v25, v170, v137
	v_add_f32_e32 v17, v17, v24
	v_fma_f32 v2, v15, v139, -v2
	v_mul_f32_e32 v27, v173, v129
	v_fmac_f32_e32 v26, v172, v133
	v_add_f32_e32 v17, v17, v25
	v_add_f32_e32 v1, v1, v2
	v_mul_f32_e32 v2, v170, v127
	v_add_f32_e32 v17, v17, v26
	v_fmac_f32_e32 v27, v174, v131
	v_mul_f32_e32 v18, v175, v134
	v_fma_f32 v2, v169, v137, -v2
	v_add_f32_e32 v17, v17, v27
	v_fmac_f32_e32 v18, v176, v148
	v_add_f32_e32 v1, v1, v2
	v_mul_f32_e32 v2, v172, v126
	v_add_f32_e32 v17, v17, v18
	v_mul_f32_e32 v18, v177, v147
	v_fma_f32 v2, v171, v133, -v2
	v_fmac_f32_e32 v18, v178, v145
	v_add_f32_e32 v1, v1, v2
	v_mul_f32_e32 v2, v174, v129
	v_add_f32_e32 v17, v17, v18
	v_mul_f32_e32 v18, v179, v146
	v_fma_f32 v2, v173, v131, -v2
	v_fmac_f32_e32 v18, v180, v143
	v_add_f32_e32 v1, v1, v2
	v_mul_f32_e32 v2, v176, v134
	v_add_f32_e32 v17, v17, v18
	v_mul_f32_e32 v18, v181, v144
	v_fma_f32 v2, v175, v148, -v2
	v_fmac_f32_e32 v18, v182, v142
	v_add_f32_e32 v1, v1, v2
	v_mul_f32_e32 v2, v178, v147
	v_add_f32_e32 v17, v17, v18
	v_mul_f32_e32 v18, v183, v150
	v_fma_f32 v2, v177, v145, -v2
	v_fmac_f32_e32 v18, v184, v149
	v_add_f32_e32 v1, v1, v2
	v_mul_f32_e32 v2, v180, v146
	v_add_f32_e32 v17, v17, v18
	v_mul_f32_e32 v18, v185, v152
	v_fma_f32 v2, v179, v143, -v2
	v_fmac_f32_e32 v18, v186, v151
	v_add_f32_e32 v1, v1, v2
	v_mul_f32_e32 v2, v182, v144
	v_add_f32_e32 v17, v17, v18
	v_mul_f32_e32 v18, v187, v154
	v_fma_f32 v2, v181, v142, -v2
	v_fmac_f32_e32 v18, v188, v153
	v_add_f32_e32 v1, v1, v2
	v_mul_f32_e32 v2, v184, v150
	v_add_f32_e32 v17, v17, v18
	v_mul_f32_e32 v18, v189, v156
	v_fma_f32 v2, v183, v149, -v2
	v_fmac_f32_e32 v18, v190, v155
	v_add_f32_e32 v1, v1, v2
	v_mul_f32_e32 v2, v186, v152
	v_add_f32_e32 v17, v17, v18
	v_mul_f32_e32 v18, v191, v158
	v_fma_f32 v2, v185, v151, -v2
	v_fmac_f32_e32 v18, v192, v157
	v_add_f32_e32 v1, v1, v2
	v_mul_f32_e32 v2, v188, v154
	v_add_f32_e32 v17, v17, v18
	v_mul_f32_e32 v18, v193, v160
	v_fma_f32 v2, v187, v153, -v2
	v_fmac_f32_e32 v18, v194, v159
	v_add_f32_e32 v1, v1, v2
	v_mul_f32_e32 v2, v190, v156
	v_add_f32_e32 v17, v17, v18
	v_mul_f32_e32 v18, v195, v162
	v_fma_f32 v2, v189, v155, -v2
	v_fmac_f32_e32 v18, v196, v161
	v_add_f32_e32 v1, v1, v2
	v_mul_f32_e32 v2, v192, v158
	v_add_f32_e32 v17, v17, v18
	s_waitcnt lgkmcnt(13)
	v_mul_f32_e32 v18, v197, v164
	v_fma_f32 v2, v191, v157, -v2
	v_fmac_f32_e32 v18, v198, v163
	v_add_f32_e32 v1, v1, v2
	v_mul_f32_e32 v2, v194, v160
	v_add_f32_e32 v17, v17, v18
	v_mul_f32_e32 v18, v199, v166
	v_fma_f32 v2, v193, v159, -v2
	v_fmac_f32_e32 v18, v200, v165
	v_add_f32_e32 v1, v1, v2
	v_mul_f32_e32 v2, v196, v162
	v_add_f32_e32 v17, v17, v18
	s_waitcnt lgkmcnt(12)
	v_mul_f32_e32 v18, v201, v168
	v_fma_f32 v2, v195, v161, -v2
	v_fmac_f32_e32 v18, v202, v167
	v_add_f32_e32 v1, v1, v2
	v_mul_f32_e32 v2, v198, v164
	v_add_f32_e32 v17, v17, v18
	v_mul_f32_e32 v18, v203, v29
	v_fma_f32 v2, v197, v163, -v2
	v_fmac_f32_e32 v18, v204, v30
	v_add_f32_e32 v1, v1, v2
	v_mul_f32_e32 v2, v200, v166
	v_add_f32_e32 v17, v17, v18
	s_waitcnt vmcnt(60) lgkmcnt(11)
	v_mul_f32_e32 v18, v205, v32
	v_fma_f32 v2, v199, v165, -v2
	v_fmac_f32_e32 v18, v206, v31
	v_add_f32_e32 v1, v1, v2
	v_mul_f32_e32 v2, v202, v168
	v_add_f32_e32 v17, v17, v18
	s_waitcnt vmcnt(58)
	v_mul_f32_e32 v18, v207, v34
	v_fma_f32 v2, v201, v167, -v2
	v_fmac_f32_e32 v18, v208, v33
	v_add_f32_e32 v1, v1, v2
	v_mul_f32_e32 v2, v204, v29
	v_add_f32_e32 v17, v17, v18
	s_waitcnt vmcnt(57) lgkmcnt(10)
	v_mul_f32_e32 v18, v209, v35
	v_fma_f32 v2, v203, v30, -v2
	s_waitcnt vmcnt(56)
	v_fmac_f32_e32 v18, v210, v36
	v_add_f32_e32 v1, v1, v2
	v_mul_f32_e32 v2, v206, v32
	v_add_f32_e32 v17, v17, v18
	s_waitcnt vmcnt(54)
	v_mul_f32_e32 v18, v211, v38
	v_fma_f32 v2, v205, v31, -v2
	v_fmac_f32_e32 v18, v212, v37
	v_add_f32_e32 v1, v1, v2
	v_mul_f32_e32 v2, v208, v34
	v_add_f32_e32 v17, v17, v18
	s_waitcnt vmcnt(52) lgkmcnt(9)
	v_mul_f32_e32 v18, v213, v40
	v_fma_f32 v2, v207, v33, -v2
	v_fmac_f32_e32 v18, v214, v39
	v_add_f32_e32 v1, v1, v2
	v_mul_f32_e32 v2, v210, v35
	v_add_f32_e32 v17, v17, v18
	s_waitcnt vmcnt(50)
	v_mul_f32_e32 v18, v215, v42
	v_fma_f32 v2, v209, v36, -v2
	v_fmac_f32_e32 v18, v216, v41
	v_add_f32_e32 v1, v1, v2
	v_mul_f32_e32 v2, v212, v38
	v_add_f32_e32 v17, v17, v18
	s_waitcnt vmcnt(48) lgkmcnt(8)
	v_mul_f32_e32 v18, v217, v44
	v_fma_f32 v2, v211, v37, -v2
	v_fmac_f32_e32 v18, v218, v43
	v_add_f32_e32 v1, v1, v2
	v_mul_f32_e32 v2, v214, v40
	v_add_f32_e32 v17, v17, v18
	s_waitcnt vmcnt(47)
	v_mul_f32_e32 v18, v219, v45
	v_fma_f32 v2, v213, v39, -v2
	s_waitcnt vmcnt(44)
	v_fmac_f32_e32 v18, v220, v48
	v_add_f32_e32 v1, v1, v2
	v_mul_f32_e32 v2, v216, v42
	v_add_f32_e32 v17, v17, v18
	s_waitcnt lgkmcnt(7)
	v_mul_f32_e32 v18, v221, v47
	v_fma_f32 v2, v215, v41, -v2
	v_fmac_f32_e32 v18, v222, v46
	v_add_f32_e32 v1, v1, v2
	v_mul_f32_e32 v2, v218, v44
	v_add_f32_e32 v17, v17, v18
	s_waitcnt vmcnt(42)
	v_mul_f32_e32 v18, v223, v50
	v_fma_f32 v2, v217, v43, -v2
	v_fmac_f32_e32 v18, v224, v49
	v_add_f32_e32 v1, v1, v2
	v_mul_f32_e32 v2, v220, v45
	v_add_f32_e32 v17, v17, v18
	s_waitcnt vmcnt(40) lgkmcnt(6)
	v_mul_f32_e32 v18, v225, v52
	v_fma_f32 v2, v219, v48, -v2
	v_fmac_f32_e32 v18, v226, v51
	v_add_f32_e32 v1, v1, v2
	v_mul_f32_e32 v2, v222, v47
	v_add_f32_e32 v17, v17, v18
	s_waitcnt vmcnt(39)
	v_mul_f32_e32 v18, v227, v53
	v_fma_f32 v2, v221, v46, -v2
	s_waitcnt vmcnt(36)
	v_fmac_f32_e32 v18, v228, v56
	v_add_f32_e32 v1, v1, v2
	v_mul_f32_e32 v2, v224, v50
	v_add_f32_e32 v17, v17, v18
	s_waitcnt lgkmcnt(5)
	;; [unrolled: 29-line block ×4, first 2 shown]
	v_mul_f32_e32 v18, v245, v71
	v_fma_f32 v2, v239, v65, -v2
	v_fmac_f32_e32 v18, v246, v70
	v_add_f32_e32 v1, v1, v2
	v_mul_f32_e32 v2, v242, v68
	v_add_f32_e32 v17, v17, v18
	s_waitcnt vmcnt(18)
	v_mul_f32_e32 v18, v247, v74
	v_fma_f32 v2, v241, v67, -v2
	v_fmac_f32_e32 v18, v248, v73
	v_add_f32_e32 v1, v1, v2
	v_mul_f32_e32 v2, v244, v69
	v_add_f32_e32 v21, v17, v18
	ds_read2_b64 v[17:20], v0 offset0:109 offset1:110
	v_fma_f32 v2, v243, v72, -v2
	s_waitcnt vmcnt(16) lgkmcnt(1)
	v_mul_f32_e32 v22, v249, v76
	v_add_f32_e32 v1, v1, v2
	v_mul_f32_e32 v2, v246, v71
	v_fmac_f32_e32 v22, v250, v75
	v_fma_f32 v2, v245, v70, -v2
	v_add_f32_e32 v21, v21, v22
	s_waitcnt vmcnt(15)
	v_mul_f32_e32 v22, v251, v77
	v_add_f32_e32 v1, v1, v2
	v_mul_f32_e32 v2, v248, v74
	s_waitcnt vmcnt(12)
	v_fmac_f32_e32 v22, v252, v80
	v_fma_f32 v2, v247, v73, -v2
	v_add_f32_e32 v21, v21, v22
	s_waitcnt lgkmcnt(0)
	v_mul_f32_e32 v22, v17, v79
	v_add_f32_e32 v1, v1, v2
	v_mul_f32_e32 v2, v250, v76
	v_fmac_f32_e32 v22, v18, v78
	v_fma_f32 v2, v249, v75, -v2
	v_add_f32_e32 v25, v21, v22
	ds_read2_b64 v[21:24], v0 offset0:111 offset1:112
	v_add_f32_e32 v1, v1, v2
	v_mul_f32_e32 v2, v252, v77
	v_fma_f32 v2, v251, v80, -v2
	v_add_f32_e32 v1, v1, v2
	v_mul_f32_e32 v2, v18, v79
	s_waitcnt vmcnt(10)
	v_mul_f32_e32 v26, v19, v82
	v_fma_f32 v2, v17, v78, -v2
	v_fmac_f32_e32 v26, v20, v81
	v_add_f32_e32 v1, v1, v2
	v_mul_f32_e32 v2, v20, v82
	v_add_f32_e32 v92, v25, v26
	ds_read2_b64 v[25:28], v0 offset0:113 offset1:114
	s_waitcnt vmcnt(8) lgkmcnt(1)
	v_mul_f32_e32 v253, v21, v84
	v_fma_f32 v2, v19, v81, -v2
	v_fmac_f32_e32 v253, v22, v83
	v_add_f32_e32 v1, v1, v2
	v_mul_f32_e32 v2, v22, v84
	v_add_f32_e32 v92, v92, v253
	s_waitcnt vmcnt(7)
	v_mul_f32_e32 v253, v23, v85
	v_fma_f32 v2, v21, v83, -v2
	s_waitcnt vmcnt(4)
	v_fmac_f32_e32 v253, v24, v88
	v_add_f32_e32 v1, v1, v2
	v_mul_f32_e32 v2, v24, v85
	v_add_f32_e32 v92, v92, v253
	ds_read_b64 v[253:254], v0 offset:920
	v_fma_f32 v2, v23, v88, -v2
	v_add_f32_e32 v1, v1, v2
	s_waitcnt lgkmcnt(1)
	v_mul_f32_e32 v2, v26, v87
	v_mul_f32_e32 v93, v25, v87
	v_fma_f32 v2, v25, v86, -v2
	v_fmac_f32_e32 v93, v26, v86
	v_add_f32_e32 v1, v1, v2
	s_waitcnt vmcnt(3)
	v_mul_f32_e32 v2, v28, v89
	v_add_f32_e32 v92, v92, v93
	v_mul_f32_e32 v93, v27, v89
	s_waitcnt vmcnt(0)
	v_fma_f32 v2, v27, v91, -v2
	v_fmac_f32_e32 v93, v28, v91
	v_add_f32_e32 v1, v1, v2
	s_waitcnt lgkmcnt(0)
	v_mul_f32_e32 v2, v254, v255
	v_add_f32_e32 v92, v92, v93
	v_mul_f32_e32 v93, v253, v255
	v_fma_f32 v2, v253, v90, -v2
	v_fmac_f32_e32 v93, v254, v90
	v_add_f32_e32 v1, v1, v2
	v_add_f32_e32 v92, v92, v93
	v_sub_f32_e32 v1, v117, v1
	v_sub_f32_e32 v2, v118, v92
	buffer_store_dword v1, off, s[0:3], 0
	buffer_store_dword v2, off, s[0:3], 0 offset:4
	s_cbranch_vccz .LBB57_476
; %bb.362:
	global_load_dword v0, v0, s[20:21] offset:224
	s_waitcnt vmcnt(0)
	v_add_u32_e32 v0, -1, v0
	v_cmp_ne_u32_e32 vcc, 56, v0
	s_cbranch_vccz .LBB57_364
; %bb.363:
	v_lshlrev_b32_e32 v0, 3, v0
	buffer_load_dword v1, v0, s[0:3], 0 offen
	buffer_load_dword v2, v0, s[0:3], 0 offen offset:4
	buffer_load_dword v3, off, s[0:3], 0 offset:452
	buffer_load_dword v4, off, s[0:3], 0 offset:448
	s_waitcnt vmcnt(3)
	buffer_store_dword v1, off, s[0:3], 0 offset:448
	s_waitcnt vmcnt(3)
	buffer_store_dword v2, off, s[0:3], 0 offset:452
	s_waitcnt vmcnt(3)
	buffer_store_dword v3, v0, s[0:3], 0 offen offset:4
	s_waitcnt vmcnt(3)
	buffer_store_dword v4, v0, s[0:3], 0 offen
.LBB57_364:
	v_mov_b32_e32 v0, 0
	global_load_dword v1, v0, s[20:21] offset:220
	s_waitcnt vmcnt(0)
	v_add_u32_e32 v117, -1, v1
	v_cmp_eq_u32_e32 vcc, 55, v117
	s_cbranch_vccnz .LBB57_366
; %bb.365:
	v_lshlrev_b32_e32 v1, 3, v117
	buffer_load_dword v2, v1, s[0:3], 0 offen
	buffer_load_dword v3, v1, s[0:3], 0 offen offset:4
	buffer_load_dword v4, off, s[0:3], 0 offset:440
	buffer_load_dword v5, off, s[0:3], 0 offset:444
	s_waitcnt vmcnt(3)
	buffer_store_dword v2, off, s[0:3], 0 offset:440
	s_waitcnt vmcnt(3)
	buffer_store_dword v3, off, s[0:3], 0 offset:444
	s_waitcnt vmcnt(3)
	buffer_store_dword v4, v1, s[0:3], 0 offen
	s_waitcnt vmcnt(3)
	buffer_store_dword v5, v1, s[0:3], 0 offen offset:4
.LBB57_366:
	global_load_dword v0, v0, s[20:21] offset:216
	s_waitcnt vmcnt(0)
	v_add_u32_e32 v0, -1, v0
	v_cmp_eq_u32_e32 vcc, 54, v0
	s_cbranch_vccnz .LBB57_368
; %bb.367:
	v_lshlrev_b32_e32 v0, 3, v0
	buffer_load_dword v1, v0, s[0:3], 0 offen
	buffer_load_dword v2, v0, s[0:3], 0 offen offset:4
	buffer_load_dword v3, off, s[0:3], 0 offset:436
	buffer_load_dword v4, off, s[0:3], 0 offset:432
	s_waitcnt vmcnt(3)
	buffer_store_dword v1, off, s[0:3], 0 offset:432
	s_waitcnt vmcnt(3)
	buffer_store_dword v2, off, s[0:3], 0 offset:436
	s_waitcnt vmcnt(3)
	buffer_store_dword v3, v0, s[0:3], 0 offen offset:4
	s_waitcnt vmcnt(3)
	buffer_store_dword v4, v0, s[0:3], 0 offen
.LBB57_368:
	v_mov_b32_e32 v0, 0
	global_load_dword v1, v0, s[20:21] offset:212
	s_waitcnt vmcnt(0)
	v_add_u32_e32 v117, -1, v1
	v_cmp_eq_u32_e32 vcc, 53, v117
	s_cbranch_vccnz .LBB57_370
; %bb.369:
	v_lshlrev_b32_e32 v1, 3, v117
	buffer_load_dword v2, v1, s[0:3], 0 offen
	buffer_load_dword v3, v1, s[0:3], 0 offen offset:4
	buffer_load_dword v4, off, s[0:3], 0 offset:424
	buffer_load_dword v5, off, s[0:3], 0 offset:428
	s_waitcnt vmcnt(3)
	buffer_store_dword v2, off, s[0:3], 0 offset:424
	s_waitcnt vmcnt(3)
	buffer_store_dword v3, off, s[0:3], 0 offset:428
	s_waitcnt vmcnt(3)
	buffer_store_dword v4, v1, s[0:3], 0 offen
	s_waitcnt vmcnt(3)
	buffer_store_dword v5, v1, s[0:3], 0 offen offset:4
.LBB57_370:
	global_load_dword v0, v0, s[20:21] offset:208
	s_waitcnt vmcnt(0)
	v_add_u32_e32 v0, -1, v0
	v_cmp_eq_u32_e32 vcc, 52, v0
	s_cbranch_vccnz .LBB57_372
; %bb.371:
	v_lshlrev_b32_e32 v0, 3, v0
	buffer_load_dword v1, v0, s[0:3], 0 offen
	buffer_load_dword v2, v0, s[0:3], 0 offen offset:4
	buffer_load_dword v3, off, s[0:3], 0 offset:420
	buffer_load_dword v4, off, s[0:3], 0 offset:416
	s_waitcnt vmcnt(3)
	buffer_store_dword v1, off, s[0:3], 0 offset:416
	s_waitcnt vmcnt(3)
	buffer_store_dword v2, off, s[0:3], 0 offset:420
	s_waitcnt vmcnt(3)
	buffer_store_dword v3, v0, s[0:3], 0 offen offset:4
	s_waitcnt vmcnt(3)
	buffer_store_dword v4, v0, s[0:3], 0 offen
.LBB57_372:
	;; [unrolled: 41-line block ×27, first 2 shown]
	v_mov_b32_e32 v0, 0
	global_load_dword v1, v0, s[20:21] offset:4
	s_waitcnt vmcnt(0)
	v_add_u32_e32 v117, -1, v1
	v_cmp_eq_u32_e32 vcc, 1, v117
	s_cbranch_vccnz .LBB57_474
; %bb.473:
	v_lshlrev_b32_e32 v1, 3, v117
	buffer_load_dword v2, v1, s[0:3], 0 offen
	buffer_load_dword v3, v1, s[0:3], 0 offen offset:4
	buffer_load_dword v4, off, s[0:3], 0 offset:8
	buffer_load_dword v5, off, s[0:3], 0 offset:12
	s_waitcnt vmcnt(3)
	buffer_store_dword v2, off, s[0:3], 0 offset:8
	s_waitcnt vmcnt(3)
	buffer_store_dword v3, off, s[0:3], 0 offset:12
	s_waitcnt vmcnt(3)
	buffer_store_dword v4, v1, s[0:3], 0 offen
	s_waitcnt vmcnt(3)
	buffer_store_dword v5, v1, s[0:3], 0 offen offset:4
.LBB57_474:
	global_load_dword v0, v0, s[20:21]
	s_waitcnt vmcnt(0)
	v_add_u32_e32 v0, -1, v0
	v_cmp_eq_u32_e32 vcc, 0, v0
	s_cbranch_vccnz .LBB57_476
; %bb.475:
	v_lshlrev_b32_e32 v0, 3, v0
	buffer_load_dword v1, v0, s[0:3], 0 offen
	buffer_load_dword v2, v0, s[0:3], 0 offen offset:4
	buffer_load_dword v3, off, s[0:3], 0 offset:4
	buffer_load_dword v4, off, s[0:3], 0
	s_waitcnt vmcnt(3)
	buffer_store_dword v1, off, s[0:3], 0
	s_waitcnt vmcnt(3)
	buffer_store_dword v2, off, s[0:3], 0 offset:4
	s_waitcnt vmcnt(3)
	buffer_store_dword v3, v0, s[0:3], 0 offen offset:4
	s_waitcnt vmcnt(3)
	buffer_store_dword v4, v0, s[0:3], 0 offen
.LBB57_476:
	buffer_load_dword v0, off, s[0:3], 0
	s_nop 0
	buffer_load_dword v1, off, s[0:3], 0 offset:4
	buffer_load_dword v2, off, s[0:3], 0 offset:8
	;; [unrolled: 1-line block ×115, first 2 shown]
	s_waitcnt vmcnt(62)
	global_store_dwordx2 v[105:106], v[0:1], off
	global_store_dwordx2 v[109:110], v[2:3], off
	buffer_load_dword v0, off, s[0:3], 0 offset:464 ; 4-byte Folded Reload
	s_nop 0
	buffer_load_dword v1, off, s[0:3], 0 offset:468 ; 4-byte Folded Reload
	s_waitcnt vmcnt(0)
	global_store_dwordx2 v[0:1], v[4:5], off
	buffer_load_dword v0, off, s[0:3], 0 offset:472 ; 4-byte Folded Reload
	s_nop 0
	buffer_load_dword v1, off, s[0:3], 0 offset:476 ; 4-byte Folded Reload
	s_waitcnt vmcnt(0)
	;; [unrolled: 5-line block ×47, first 2 shown]
	global_store_dwordx2 v[0:1], v[185:186], off
	global_store_dwordx2 v[95:96], v[187:188], off
	;; [unrolled: 1-line block ×10, first 2 shown]
	s_endpgm
	.section	.rodata,"a",@progbits
	.p2align	6, 0x0
	.amdhsa_kernel _ZN9rocsolver6v33100L18getri_kernel_smallILi58E19rocblas_complex_numIfEPS3_EEvT1_iilPiilS6_bb
		.amdhsa_group_segment_fixed_size 932
		.amdhsa_private_segment_fixed_size 848
		.amdhsa_kernarg_size 60
		.amdhsa_user_sgpr_count 6
		.amdhsa_user_sgpr_private_segment_buffer 1
		.amdhsa_user_sgpr_dispatch_ptr 0
		.amdhsa_user_sgpr_queue_ptr 0
		.amdhsa_user_sgpr_kernarg_segment_ptr 1
		.amdhsa_user_sgpr_dispatch_id 0
		.amdhsa_user_sgpr_flat_scratch_init 0
		.amdhsa_user_sgpr_private_segment_size 0
		.amdhsa_uses_dynamic_stack 0
		.amdhsa_system_sgpr_private_segment_wavefront_offset 1
		.amdhsa_system_sgpr_workgroup_id_x 1
		.amdhsa_system_sgpr_workgroup_id_y 0
		.amdhsa_system_sgpr_workgroup_id_z 0
		.amdhsa_system_sgpr_workgroup_info 0
		.amdhsa_system_vgpr_workitem_id 0
		.amdhsa_next_free_vgpr 256
		.amdhsa_next_free_sgpr 24
		.amdhsa_reserve_vcc 1
		.amdhsa_reserve_flat_scratch 0
		.amdhsa_float_round_mode_32 0
		.amdhsa_float_round_mode_16_64 0
		.amdhsa_float_denorm_mode_32 3
		.amdhsa_float_denorm_mode_16_64 3
		.amdhsa_dx10_clamp 1
		.amdhsa_ieee_mode 1
		.amdhsa_fp16_overflow 0
		.amdhsa_exception_fp_ieee_invalid_op 0
		.amdhsa_exception_fp_denorm_src 0
		.amdhsa_exception_fp_ieee_div_zero 0
		.amdhsa_exception_fp_ieee_overflow 0
		.amdhsa_exception_fp_ieee_underflow 0
		.amdhsa_exception_fp_ieee_inexact 0
		.amdhsa_exception_int_div_zero 0
	.end_amdhsa_kernel
	.section	.text._ZN9rocsolver6v33100L18getri_kernel_smallILi58E19rocblas_complex_numIfEPS3_EEvT1_iilPiilS6_bb,"axG",@progbits,_ZN9rocsolver6v33100L18getri_kernel_smallILi58E19rocblas_complex_numIfEPS3_EEvT1_iilPiilS6_bb,comdat
.Lfunc_end57:
	.size	_ZN9rocsolver6v33100L18getri_kernel_smallILi58E19rocblas_complex_numIfEPS3_EEvT1_iilPiilS6_bb, .Lfunc_end57-_ZN9rocsolver6v33100L18getri_kernel_smallILi58E19rocblas_complex_numIfEPS3_EEvT1_iilPiilS6_bb
                                        ; -- End function
	.set _ZN9rocsolver6v33100L18getri_kernel_smallILi58E19rocblas_complex_numIfEPS3_EEvT1_iilPiilS6_bb.num_vgpr, 256
	.set _ZN9rocsolver6v33100L18getri_kernel_smallILi58E19rocblas_complex_numIfEPS3_EEvT1_iilPiilS6_bb.num_agpr, 0
	.set _ZN9rocsolver6v33100L18getri_kernel_smallILi58E19rocblas_complex_numIfEPS3_EEvT1_iilPiilS6_bb.numbered_sgpr, 24
	.set _ZN9rocsolver6v33100L18getri_kernel_smallILi58E19rocblas_complex_numIfEPS3_EEvT1_iilPiilS6_bb.num_named_barrier, 0
	.set _ZN9rocsolver6v33100L18getri_kernel_smallILi58E19rocblas_complex_numIfEPS3_EEvT1_iilPiilS6_bb.private_seg_size, 848
	.set _ZN9rocsolver6v33100L18getri_kernel_smallILi58E19rocblas_complex_numIfEPS3_EEvT1_iilPiilS6_bb.uses_vcc, 1
	.set _ZN9rocsolver6v33100L18getri_kernel_smallILi58E19rocblas_complex_numIfEPS3_EEvT1_iilPiilS6_bb.uses_flat_scratch, 0
	.set _ZN9rocsolver6v33100L18getri_kernel_smallILi58E19rocblas_complex_numIfEPS3_EEvT1_iilPiilS6_bb.has_dyn_sized_stack, 0
	.set _ZN9rocsolver6v33100L18getri_kernel_smallILi58E19rocblas_complex_numIfEPS3_EEvT1_iilPiilS6_bb.has_recursion, 0
	.set _ZN9rocsolver6v33100L18getri_kernel_smallILi58E19rocblas_complex_numIfEPS3_EEvT1_iilPiilS6_bb.has_indirect_call, 0
	.section	.AMDGPU.csdata,"",@progbits
; Kernel info:
; codeLenInByte = 120824
; TotalNumSgprs: 28
; NumVgprs: 256
; ScratchSize: 848
; MemoryBound: 0
; FloatMode: 240
; IeeeMode: 1
; LDSByteSize: 932 bytes/workgroup (compile time only)
; SGPRBlocks: 3
; VGPRBlocks: 63
; NumSGPRsForWavesPerEU: 28
; NumVGPRsForWavesPerEU: 256
; Occupancy: 1
; WaveLimiterHint : 1
; COMPUTE_PGM_RSRC2:SCRATCH_EN: 1
; COMPUTE_PGM_RSRC2:USER_SGPR: 6
; COMPUTE_PGM_RSRC2:TRAP_HANDLER: 0
; COMPUTE_PGM_RSRC2:TGID_X_EN: 1
; COMPUTE_PGM_RSRC2:TGID_Y_EN: 0
; COMPUTE_PGM_RSRC2:TGID_Z_EN: 0
; COMPUTE_PGM_RSRC2:TIDIG_COMP_CNT: 0
	.section	.text._ZN9rocsolver6v33100L18getri_kernel_smallILi59E19rocblas_complex_numIfEPS3_EEvT1_iilPiilS6_bb,"axG",@progbits,_ZN9rocsolver6v33100L18getri_kernel_smallILi59E19rocblas_complex_numIfEPS3_EEvT1_iilPiilS6_bb,comdat
	.globl	_ZN9rocsolver6v33100L18getri_kernel_smallILi59E19rocblas_complex_numIfEPS3_EEvT1_iilPiilS6_bb ; -- Begin function _ZN9rocsolver6v33100L18getri_kernel_smallILi59E19rocblas_complex_numIfEPS3_EEvT1_iilPiilS6_bb
	.p2align	8
	.type	_ZN9rocsolver6v33100L18getri_kernel_smallILi59E19rocblas_complex_numIfEPS3_EEvT1_iilPiilS6_bb,@function
_ZN9rocsolver6v33100L18getri_kernel_smallILi59E19rocblas_complex_numIfEPS3_EEvT1_iilPiilS6_bb: ; @_ZN9rocsolver6v33100L18getri_kernel_smallILi59E19rocblas_complex_numIfEPS3_EEvT1_iilPiilS6_bb
; %bb.0:
	s_add_u32 s0, s0, s7
	s_addc_u32 s1, s1, 0
	v_cmp_gt_u32_e32 vcc, 59, v0
	s_and_saveexec_b64 s[8:9], vcc
	s_cbranch_execz .LBB58_250
; %bb.1:
	s_load_dword s12, s[4:5], 0x38
	s_load_dwordx4 s[16:19], s[4:5], 0x10
	s_load_dwordx4 s[8:11], s[4:5], 0x28
                                        ; implicit-def: $sgpr20_sgpr21
	s_waitcnt lgkmcnt(0)
	s_bitcmp1_b32 s12, 8
	s_cselect_b64 s[22:23], -1, 0
	s_ashr_i32 s7, s6, 31
	s_bfe_u32 s12, s12, 0x10008
	s_cmp_eq_u32 s12, 0
	s_cbranch_scc1 .LBB58_3
; %bb.2:
	s_load_dword s12, s[4:5], 0x20
	s_mul_i32 s13, s8, s7
	s_mul_hi_u32 s14, s8, s6
	s_mul_i32 s9, s9, s6
	s_add_i32 s14, s14, s13
	s_add_i32 s9, s14, s9
	s_mul_i32 s8, s8, s6
	s_waitcnt lgkmcnt(0)
	s_ashr_i32 s13, s12, 31
	s_lshl_b64 s[8:9], s[8:9], 2
	s_add_u32 s14, s18, s8
	s_addc_u32 s15, s19, s9
	s_lshl_b64 s[8:9], s[12:13], 2
	s_add_u32 s20, s14, s8
	s_addc_u32 s21, s15, s9
.LBB58_3:
	s_load_dwordx4 s[12:15], s[4:5], 0x0
	s_load_dword s8, s[4:5], 0x38
	s_mul_i32 s9, s16, s7
	s_mul_hi_u32 s18, s16, s6
	s_add_i32 s9, s18, s9
	s_waitcnt lgkmcnt(0)
	s_ashr_i32 s5, s14, 31
	s_mov_b32 s4, s14
	s_mul_i32 s14, s17, s6
	s_add_i32 s17, s9, s14
	s_mul_i32 s16, s16, s6
	s_lshl_b64 s[16:17], s[16:17], 3
	s_add_u32 s9, s12, s16
	s_addc_u32 s12, s13, s17
	s_lshl_b64 s[4:5], s[4:5], 3
	s_add_u32 s4, s9, s4
	s_addc_u32 s5, s12, s5
	s_add_i32 s9, s15, s15
	v_add_u32_e32 v1, s9, v0
	v_ashrrev_i32_e32 v2, 31, v1
	v_lshlrev_b64 v[2:3], 3, v[1:2]
	v_add_u32_e32 v1, s15, v1
	v_mov_b32_e32 v4, s5
	v_add_co_u32_e32 v10, vcc, s4, v2
	v_ashrrev_i32_e32 v2, 31, v1
	v_addc_co_u32_e32 v11, vcc, v4, v3, vcc
	v_lshlrev_b64 v[2:3], 3, v[1:2]
	v_add_u32_e32 v1, s15, v1
	v_add_co_u32_e32 v12, vcc, s4, v2
	v_ashrrev_i32_e32 v2, 31, v1
	v_addc_co_u32_e32 v13, vcc, v4, v3, vcc
	v_lshlrev_b64 v[2:3], 3, v[1:2]
	v_add_u32_e32 v1, s15, v1
	;; [unrolled: 5-line block ×48, first 2 shown]
	v_add_co_u32_e32 v111, vcc, s4, v2
	v_ashrrev_i32_e32 v2, 31, v1
	v_addc_co_u32_e32 v112, vcc, v4, v3, vcc
	v_lshlrev_b64 v[2:3], 3, v[1:2]
	s_ashr_i32 s13, s15, 31
	v_add_co_u32_e32 v113, vcc, s4, v2
	v_addc_co_u32_e32 v114, vcc, v4, v3, vcc
	v_lshlrev_b32_e32 v3, 3, v0
	v_mov_b32_e32 v2, s5
	v_add_co_u32_e32 v130, vcc, s4, v3
	s_mov_b32 s12, s15
	v_addc_co_u32_e32 v131, vcc, 0, v2, vcc
	s_lshl_b64 s[12:13], s[12:13], 3
	v_mov_b32_e32 v2, s13
	v_add_co_u32_e32 v134, vcc, s12, v130
	v_addc_co_u32_e32 v135, vcc, v131, v2, vcc
	global_load_dwordx2 v[4:5], v3, s[4:5]
	global_load_dwordx2 v[6:7], v[134:135], off
	s_nop 0
	buffer_store_dword v10, off, s[0:3], 0 offset:472 ; 4-byte Folded Spill
	s_nop 0
	buffer_store_dword v11, off, s[0:3], 0 offset:476 ; 4-byte Folded Spill
	v_add_u32_e32 v1, s15, v1
	v_ashrrev_i32_e32 v2, 31, v1
	v_lshlrev_b64 v[8:9], 3, v[1:2]
	v_mov_b32_e32 v14, s5
	v_add_co_u32_e32 v124, vcc, s4, v8
	v_addc_co_u32_e32 v125, vcc, v14, v9, vcc
	v_add_u32_e32 v1, s15, v1
	v_ashrrev_i32_e32 v2, 31, v1
	v_mov_b32_e32 v18, s5
	v_mov_b32_e32 v24, s5
	s_bitcmp0_b32 s8, 0
	s_mov_b64 s[8:9], -1
	global_load_dwordx2 v[10:11], v[10:11], off
	s_nop 0
	buffer_store_dword v12, off, s[0:3], 0 offset:480 ; 4-byte Folded Spill
	s_nop 0
	buffer_store_dword v13, off, s[0:3], 0 offset:484 ; 4-byte Folded Spill
	global_load_dwordx2 v[12:13], v[12:13], off
	s_nop 0
	buffer_store_dword v15, off, s[0:3], 0 offset:488 ; 4-byte Folded Spill
	s_nop 0
	buffer_store_dword v16, off, s[0:3], 0 offset:492 ; 4-byte Folded Spill
	;; [unrolled: 5-line block ×3, first 2 shown]
	v_lshlrev_b64 v[14:15], 3, v[1:2]
	v_add_u32_e32 v1, s15, v1
	v_add_co_u32_e32 v126, vcc, s4, v14
	v_addc_co_u32_e32 v127, vcc, v18, v15, vcc
	v_ashrrev_i32_e32 v2, 31, v1
	global_load_dwordx2 v[16:17], v[19:20], off
	s_nop 0
	buffer_store_dword v21, off, s[0:3], 0 offset:504 ; 4-byte Folded Spill
	s_nop 0
	buffer_store_dword v22, off, s[0:3], 0 offset:508 ; 4-byte Folded Spill
	global_load_dwordx2 v[14:15], v[21:22], off
	s_nop 0
	buffer_store_dword v25, off, s[0:3], 0 offset:512 ; 4-byte Folded Spill
	s_nop 0
	buffer_store_dword v26, off, s[0:3], 0 offset:516 ; 4-byte Folded Spill
	v_lshlrev_b64 v[20:21], 3, v[1:2]
	v_add_u32_e32 v1, s15, v1
	v_add_co_u32_e32 v128, vcc, s4, v20
	v_addc_co_u32_e32 v129, vcc, v24, v21, vcc
	v_ashrrev_i32_e32 v2, 31, v1
	global_load_dwordx2 v[18:19], v[25:26], off
	s_nop 0
	buffer_store_dword v27, off, s[0:3], 0 offset:520 ; 4-byte Folded Spill
	s_nop 0
	buffer_store_dword v28, off, s[0:3], 0 offset:524 ; 4-byte Folded Spill
	v_lshlrev_b64 v[24:25], 3, v[1:2]
	v_add_u32_e32 v1, s15, v1
	v_add_co_u32_e32 v132, vcc, s4, v24
	v_ashrrev_i32_e32 v2, 31, v1
	global_load_dwordx2 v[22:23], v[27:28], off
	s_nop 0
	buffer_store_dword v29, off, s[0:3], 0 offset:528 ; 4-byte Folded Spill
	s_nop 0
	buffer_store_dword v30, off, s[0:3], 0 offset:532 ; 4-byte Folded Spill
	global_load_dwordx2 v[20:21], v[29:30], off
	s_nop 0
	buffer_store_dword v31, off, s[0:3], 0 offset:536 ; 4-byte Folded Spill
	s_nop 0
	buffer_store_dword v32, off, s[0:3], 0 offset:540 ; 4-byte Folded Spill
	v_mov_b32_e32 v30, s5
	v_addc_co_u32_e32 v133, vcc, v30, v25, vcc
	global_load_dwordx2 v[26:27], v[31:32], off
	s_nop 0
	buffer_store_dword v33, off, s[0:3], 0 offset:544 ; 4-byte Folded Spill
	s_nop 0
	buffer_store_dword v34, off, s[0:3], 0 offset:548 ; 4-byte Folded Spill
	v_lshlrev_b64 v[30:31], 3, v[1:2]
	v_add_u32_e32 v1, s15, v1
	v_add_co_u32_e32 v136, vcc, s4, v30
	v_ashrrev_i32_e32 v2, 31, v1
	global_load_dwordx2 v[28:29], v[33:34], off
	s_nop 0
	buffer_store_dword v35, off, s[0:3], 0 offset:552 ; 4-byte Folded Spill
	s_nop 0
	buffer_store_dword v36, off, s[0:3], 0 offset:556 ; 4-byte Folded Spill
	v_mov_b32_e32 v34, s5
	v_addc_co_u32_e32 v137, vcc, v34, v31, vcc
	global_load_dwordx2 v[24:25], v[35:36], off
	s_nop 0
	buffer_store_dword v37, off, s[0:3], 0 offset:560 ; 4-byte Folded Spill
	s_nop 0
	buffer_store_dword v38, off, s[0:3], 0 offset:564 ; 4-byte Folded Spill
	global_load_dwordx2 v[32:33], v[37:38], off
	s_nop 0
	buffer_store_dword v39, off, s[0:3], 0 offset:568 ; 4-byte Folded Spill
	s_nop 0
	buffer_store_dword v40, off, s[0:3], 0 offset:572 ; 4-byte Folded Spill
	v_lshlrev_b64 v[36:37], 3, v[1:2]
	v_add_u32_e32 v1, s15, v1
	v_add_co_u32_e32 v138, vcc, s4, v36
	v_ashrrev_i32_e32 v2, 31, v1
	v_lshlrev_b64 v[1:2], 3, v[1:2]
	global_load_dwordx2 v[30:31], v[39:40], off
	s_nop 0
	buffer_store_dword v41, off, s[0:3], 0 offset:576 ; 4-byte Folded Spill
	s_nop 0
	buffer_store_dword v42, off, s[0:3], 0 offset:580 ; 4-byte Folded Spill
	v_mov_b32_e32 v40, s5
	v_addc_co_u32_e32 v139, vcc, v40, v37, vcc
	v_add_co_u32_e32 v140, vcc, s4, v1
	global_load_dwordx2 v[34:35], v[41:42], off
	s_nop 0
	buffer_store_dword v43, off, s[0:3], 0 offset:584 ; 4-byte Folded Spill
	s_nop 0
	buffer_store_dword v44, off, s[0:3], 0 offset:588 ; 4-byte Folded Spill
	global_load_dwordx2 v[38:39], v[43:44], off
	s_nop 0
	buffer_store_dword v45, off, s[0:3], 0 offset:592 ; 4-byte Folded Spill
	s_nop 0
	buffer_store_dword v46, off, s[0:3], 0 offset:596 ; 4-byte Folded Spill
	;; [unrolled: 5-line block ×3, first 2 shown]
	v_mov_b32_e32 v46, s5
	v_addc_co_u32_e32 v141, vcc, v46, v2, vcc
	global_load_dwordx2 v[40:41], v[47:48], off
	s_nop 0
	buffer_store_dword v49, off, s[0:3], 0 offset:608 ; 4-byte Folded Spill
	s_nop 0
	buffer_store_dword v50, off, s[0:3], 0 offset:612 ; 4-byte Folded Spill
	global_load_dwordx2 v[42:43], v[49:50], off
	s_nop 0
	buffer_store_dword v51, off, s[0:3], 0 offset:616 ; 4-byte Folded Spill
	s_nop 0
	buffer_store_dword v52, off, s[0:3], 0 offset:620 ; 4-byte Folded Spill
	;; [unrolled: 5-line block ×3, first 2 shown]
	global_load_dwordx2 v[1:2], v[53:54], off
	s_waitcnt vmcnt(61)
	buffer_store_dword v5, off, s[0:3], 0 offset:4
	buffer_store_dword v55, off, s[0:3], 0 offset:632 ; 4-byte Folded Spill
	s_nop 0
	buffer_store_dword v56, off, s[0:3], 0 offset:636 ; 4-byte Folded Spill
	global_load_dwordx2 v[46:47], v[55:56], off
	s_nop 0
	buffer_store_dword v4, off, s[0:3], 0
	buffer_store_dword v57, off, s[0:3], 0 offset:640 ; 4-byte Folded Spill
	s_nop 0
	buffer_store_dword v58, off, s[0:3], 0 offset:644 ; 4-byte Folded Spill
	global_load_dwordx2 v[4:5], v[57:58], off
	s_waitcnt vmcnt(62)
	buffer_store_dword v7, off, s[0:3], 0 offset:12
	buffer_store_dword v59, off, s[0:3], 0 offset:648 ; 4-byte Folded Spill
	s_nop 0
	buffer_store_dword v60, off, s[0:3], 0 offset:652 ; 4-byte Folded Spill
	global_load_dwordx2 v[48:49], v[59:60], off
	s_nop 0
	buffer_store_dword v6, off, s[0:3], 0 offset:8
	buffer_store_dword v61, off, s[0:3], 0 offset:656 ; 4-byte Folded Spill
	s_nop 0
	buffer_store_dword v62, off, s[0:3], 0 offset:660 ; 4-byte Folded Spill
	global_load_dwordx2 v[6:7], v[61:62], off
	s_nop 0
	;; [unrolled: 6-line block ×5, first 2 shown]
	buffer_store_dword v12, off, s[0:3], 0 offset:24
	buffer_store_dword v69, off, s[0:3], 0 offset:688 ; 4-byte Folded Spill
	s_nop 0
	buffer_store_dword v70, off, s[0:3], 0 offset:692 ; 4-byte Folded Spill
	global_load_dwordx2 v[12:13], v[69:70], off
	s_waitcnt vmcnt(62)
	buffer_store_dword v9, off, s[0:3], 0 offset:36
	buffer_store_dword v71, off, s[0:3], 0 offset:696 ; 4-byte Folded Spill
	s_nop 0
	buffer_store_dword v72, off, s[0:3], 0 offset:700 ; 4-byte Folded Spill
	global_load_dwordx2 v[54:55], v[71:72], off
	s_nop 0
	buffer_store_dword v8, off, s[0:3], 0 offset:32
	buffer_store_dword v73, off, s[0:3], 0 offset:704 ; 4-byte Folded Spill
	s_nop 0
	buffer_store_dword v74, off, s[0:3], 0 offset:708 ; 4-byte Folded Spill
	global_load_dwordx2 v[8:9], v[73:74], off
	s_nop 0
	;; [unrolled: 6-line block ×15, first 2 shown]
	buffer_store_dword v29, off, s[0:3], 0 offset:92
	buffer_store_dword v101, off, s[0:3], 0 offset:816 ; 4-byte Folded Spill
	s_nop 0
	buffer_store_dword v102, off, s[0:3], 0 offset:820 ; 4-byte Folded Spill
	global_load_dwordx2 v[28:29], v[101:102], off
	s_waitcnt vmcnt(62)
	buffer_store_dword v24, off, s[0:3], 0 offset:96
	buffer_store_dword v103, off, s[0:3], 0 offset:824 ; 4-byte Folded Spill
	s_nop 0
	buffer_store_dword v104, off, s[0:3], 0 offset:828 ; 4-byte Folded Spill
	global_load_dwordx2 v[156:157], v[103:104], off
	s_nop 0
	buffer_store_dword v25, off, s[0:3], 0 offset:100
	buffer_store_dword v105, off, s[0:3], 0 offset:832 ; 4-byte Folded Spill
	s_nop 0
	buffer_store_dword v106, off, s[0:3], 0 offset:836 ; 4-byte Folded Spill
	global_load_dwordx2 v[24:25], v[105:106], off
	s_nop 0
	;; [unrolled: 6-line block ×5, first 2 shown]
	buffer_store_dword v30, off, s[0:3], 0 offset:112
	buffer_store_dword v113, off, s[0:3], 0 offset:864 ; 4-byte Folded Spill
	s_nop 0
	buffer_store_dword v114, off, s[0:3], 0 offset:868 ; 4-byte Folded Spill
	global_load_dwordx2 v[162:163], v[124:125], off
	global_load_dwordx2 v[164:165], v[128:129], off
	global_load_dwordx2 v[166:167], v[136:137], off
	global_load_dwordx2 v[168:169], v[140:141], off
	global_load_dwordx2 v[30:31], v[113:114], off
	s_nop 0
	buffer_store_dword v34, off, s[0:3], 0 offset:120
	buffer_store_dword v35, off, s[0:3], 0 offset:124
	global_load_dwordx2 v[34:35], v[126:127], off
	s_nop 0
	buffer_store_dword v38, off, s[0:3], 0 offset:128
	buffer_store_dword v39, off, s[0:3], 0 offset:132
	global_load_dwordx2 v[38:39], v[132:133], off
	;; [unrolled: 4-line block ×3, first 2 shown]
	s_nop 0
	buffer_store_dword v40, off, s[0:3], 0 offset:144
	buffer_store_dword v41, off, s[0:3], 0 offset:148
	;; [unrolled: 1-line block ×24, first 2 shown]
	s_waitcnt vmcnt(62)
	buffer_store_dword v54, off, s[0:3], 0 offset:240
	buffer_store_dword v55, off, s[0:3], 0 offset:244
	;; [unrolled: 1-line block ×30, first 2 shown]
	s_waitcnt vmcnt(62)
	buffer_store_dword v28, off, s[0:3], 0 offset:360
	buffer_store_dword v29, off, s[0:3], 0 offset:364
	;; [unrolled: 1-line block ×16, first 2 shown]
	s_waitcnt vmcnt(62)
	buffer_store_dword v34, off, s[0:3], 0 offset:424
	buffer_store_dword v35, off, s[0:3], 0 offset:428
	;; [unrolled: 1-line block ×12, first 2 shown]
	s_cbranch_scc1 .LBB58_248
; %bb.4:
	v_cmp_eq_u32_e64 s[4:5], 0, v0
	s_and_saveexec_b64 s[8:9], s[4:5]
; %bb.5:
	v_mov_b32_e32 v1, 0
	ds_write_b32 v1, v1 offset:472
; %bb.6:
	s_or_b64 exec, exec, s[8:9]
	v_mov_b32_e32 v1, 0
	v_lshl_add_u32 v5, v0, 3, v1
	s_waitcnt lgkmcnt(0)
	; wave barrier
	buffer_load_dword v1, v5, s[0:3], 0 offen
	buffer_load_dword v2, v5, s[0:3], 0 offen offset:4
	s_waitcnt vmcnt(1)
	v_cmp_eq_f32_e32 vcc, 0, v1
	s_waitcnt vmcnt(0)
	v_cmp_eq_f32_e64 s[8:9], 0, v2
	s_and_b64 s[8:9], vcc, s[8:9]
	s_and_saveexec_b64 s[12:13], s[8:9]
	s_cbranch_execz .LBB58_10
; %bb.7:
	v_mov_b32_e32 v1, 0
	ds_read_b32 v4, v1 offset:472
	v_add_u32_e32 v2, 1, v0
	s_waitcnt lgkmcnt(0)
	v_readfirstlane_b32 s8, v4
	s_cmp_eq_u32 s8, 0
	s_cselect_b64 s[14:15], -1, 0
	v_cmp_gt_i32_e32 vcc, s8, v2
	s_or_b64 s[14:15], s[14:15], vcc
	s_and_b64 exec, exec, s[14:15]
	s_cbranch_execz .LBB58_10
; %bb.8:
	s_mov_b64 s[14:15], 0
	v_mov_b32_e32 v4, s8
.LBB58_9:                               ; =>This Inner Loop Header: Depth=1
	ds_cmpst_rtn_b32 v4, v1, v4, v2 offset:472
	s_waitcnt lgkmcnt(0)
	v_cmp_ne_u32_e32 vcc, 0, v4
	v_cmp_le_i32_e64 s[8:9], v4, v2
	s_and_b64 s[8:9], vcc, s[8:9]
	s_and_b64 s[8:9], exec, s[8:9]
	s_or_b64 s[14:15], s[8:9], s[14:15]
	s_andn2_b64 exec, exec, s[14:15]
	s_cbranch_execnz .LBB58_9
.LBB58_10:
	s_or_b64 exec, exec, s[12:13]
	v_mov_b32_e32 v2, 0
	; wave barrier
	ds_read_b32 v1, v2 offset:472
	s_and_saveexec_b64 s[8:9], s[4:5]
	s_cbranch_execz .LBB58_12
; %bb.11:
	s_lshl_b64 s[12:13], s[6:7], 2
	s_add_u32 s12, s10, s12
	s_addc_u32 s13, s11, s13
	s_waitcnt lgkmcnt(0)
	global_store_dword v2, v1, s[12:13]
.LBB58_12:
	s_or_b64 exec, exec, s[8:9]
	s_waitcnt lgkmcnt(0)
	v_cmp_ne_u32_e32 vcc, 0, v1
	s_mov_b64 s[8:9], 0
	s_cbranch_vccnz .LBB58_248
; %bb.13:
	buffer_load_dword v2, v5, s[0:3], 0 offen
	buffer_load_dword v4, v5, s[0:3], 0 offen offset:4
                                        ; implicit-def: $vgpr7
                                        ; implicit-def: $vgpr6
                                        ; implicit-def: $vgpr1
	s_waitcnt vmcnt(0)
	v_cmp_ngt_f32_e64 s[8:9], |v2|, |v4|
	s_and_saveexec_b64 s[12:13], s[8:9]
	s_xor_b64 s[8:9], exec, s[12:13]
	s_cbranch_execz .LBB58_15
; %bb.14:
	v_div_scale_f32 v1, s[12:13], v4, v4, v2
	v_div_scale_f32 v6, vcc, v2, v4, v2
	v_rcp_f32_e32 v7, v1
	v_fma_f32 v8, -v1, v7, 1.0
	v_fmac_f32_e32 v7, v8, v7
	v_mul_f32_e32 v8, v6, v7
	v_fma_f32 v9, -v1, v8, v6
	v_fmac_f32_e32 v8, v9, v7
	v_fma_f32 v1, -v1, v8, v6
	v_div_fmas_f32 v1, v1, v7, v8
	v_div_fixup_f32 v1, v1, v4, v2
	v_fmac_f32_e32 v4, v2, v1
	v_div_scale_f32 v2, s[12:13], v4, v4, 1.0
	v_div_scale_f32 v6, vcc, 1.0, v4, 1.0
	v_rcp_f32_e32 v7, v2
	v_fma_f32 v8, -v2, v7, 1.0
	v_fmac_f32_e32 v7, v8, v7
	v_mul_f32_e32 v8, v6, v7
	v_fma_f32 v9, -v2, v8, v6
	v_fmac_f32_e32 v8, v9, v7
	v_fma_f32 v2, -v2, v8, v6
	v_div_fmas_f32 v2, v2, v7, v8
	v_div_fixup_f32 v2, v2, v4, 1.0
	v_mul_f32_e32 v7, v1, v2
	v_xor_b32_e32 v6, 0x80000000, v2
	v_xor_b32_e32 v1, 0x80000000, v7
                                        ; implicit-def: $vgpr2
                                        ; implicit-def: $vgpr4
.LBB58_15:
	s_andn2_saveexec_b64 s[8:9], s[8:9]
	s_cbranch_execz .LBB58_17
; %bb.16:
	v_div_scale_f32 v1, s[12:13], v2, v2, v4
	v_div_scale_f32 v6, vcc, v4, v2, v4
	v_rcp_f32_e32 v7, v1
	v_fma_f32 v8, -v1, v7, 1.0
	v_fmac_f32_e32 v7, v8, v7
	v_mul_f32_e32 v8, v6, v7
	v_fma_f32 v9, -v1, v8, v6
	v_fmac_f32_e32 v8, v9, v7
	v_fma_f32 v1, -v1, v8, v6
	v_div_fmas_f32 v1, v1, v7, v8
	v_div_fixup_f32 v6, v1, v2, v4
	v_fmac_f32_e32 v2, v4, v6
	v_div_scale_f32 v1, s[12:13], v2, v2, 1.0
	v_div_scale_f32 v4, vcc, 1.0, v2, 1.0
	v_rcp_f32_e32 v7, v1
	v_fma_f32 v8, -v1, v7, 1.0
	v_fmac_f32_e32 v7, v8, v7
	v_mul_f32_e32 v8, v4, v7
	v_fma_f32 v9, -v1, v8, v4
	v_fmac_f32_e32 v8, v9, v7
	v_fma_f32 v1, -v1, v8, v4
	v_div_fmas_f32 v1, v1, v7, v8
	v_div_fixup_f32 v7, v1, v2, 1.0
	v_xor_b32_e32 v1, 0x80000000, v7
	v_mul_f32_e64 v6, v6, -v7
.LBB58_17:
	s_or_b64 exec, exec, s[8:9]
	buffer_store_dword v7, v5, s[0:3], 0 offen
	buffer_store_dword v6, v5, s[0:3], 0 offen offset:4
	buffer_load_dword v8, off, s[0:3], 0 offset:12
	s_nop 0
	buffer_load_dword v7, off, s[0:3], 0 offset:8
	v_xor_b32_e32 v2, 0x80000000, v6
	v_add_u32_e32 v4, 0x1e0, v3
	s_waitcnt vmcnt(0)
	ds_write2_b64 v3, v[1:2], v[7:8] offset1:60
	s_waitcnt lgkmcnt(0)
	; wave barrier
	s_and_saveexec_b64 s[8:9], s[4:5]
	s_cbranch_execz .LBB58_19
; %bb.18:
	buffer_load_dword v6, v5, s[0:3], 0 offen
	buffer_load_dword v7, v5, s[0:3], 0 offen offset:4
	ds_read_b64 v[1:2], v4
	s_waitcnt vmcnt(0) lgkmcnt(0)
	v_mul_f32_e32 v8, v2, v7
	v_fma_f32 v8, v1, v6, -v8
	v_mul_f32_e32 v1, v1, v7
	v_fmac_f32_e32 v1, v2, v6
	v_add_f32_e32 v7, 0, v1
	v_mov_b32_e32 v1, 0
	ds_read_b64 v[1:2], v1 offset:8
	v_add_f32_e32 v6, 0, v8
	s_waitcnt lgkmcnt(0)
	v_mul_f32_e32 v8, v7, v2
	v_fma_f32 v8, v6, v1, -v8
	v_mul_f32_e32 v2, v6, v2
	v_fmac_f32_e32 v2, v7, v1
	buffer_store_dword v8, off, s[0:3], 0 offset:8
	buffer_store_dword v2, off, s[0:3], 0 offset:12
.LBB58_19:
	s_or_b64 exec, exec, s[8:9]
	; wave barrier
	buffer_load_dword v1, off, s[0:3], 0 offset:16
	buffer_load_dword v2, off, s[0:3], 0 offset:20
	v_cmp_gt_u32_e32 vcc, 2, v0
	s_waitcnt vmcnt(0)
	ds_write_b64 v4, v[1:2]
	s_waitcnt lgkmcnt(0)
	; wave barrier
	s_and_saveexec_b64 s[8:9], vcc
	s_cbranch_execz .LBB58_23
; %bb.20:
	buffer_load_dword v6, v5, s[0:3], 0 offen offset:4
	buffer_load_dword v7, v5, s[0:3], 0 offen
	ds_read_b64 v[1:2], v4
	s_waitcnt vmcnt(1) lgkmcnt(0)
	v_mul_f32_e32 v5, v2, v6
	v_mul_f32_e32 v6, v1, v6
	s_waitcnt vmcnt(0)
	v_fma_f32 v1, v1, v7, -v5
	v_fmac_f32_e32 v6, v2, v7
	v_add_f32_e32 v2, 0, v1
	v_add_f32_e32 v1, 0, v6
	s_and_saveexec_b64 s[12:13], s[4:5]
	s_cbranch_execz .LBB58_22
; %bb.21:
	v_mov_b32_e32 v5, 0
	ds_read_b64 v[5:6], v5 offset:488
	buffer_load_dword v7, off, s[0:3], 0 offset:8
	buffer_load_dword v8, off, s[0:3], 0 offset:12
	s_waitcnt vmcnt(0) lgkmcnt(0)
	v_mul_f32_e32 v9, v5, v8
	v_fmac_f32_e32 v9, v6, v7
	v_mul_f32_e32 v6, v6, v8
	v_fma_f32 v5, v5, v7, -v6
	v_add_f32_e32 v1, v1, v9
	v_add_f32_e32 v2, v2, v5
.LBB58_22:
	s_or_b64 exec, exec, s[12:13]
	v_mov_b32_e32 v5, 0
	ds_read_b64 v[5:6], v5 offset:16
	s_waitcnt lgkmcnt(0)
	v_mul_f32_e32 v7, v1, v6
	v_mul_f32_e32 v6, v2, v6
	v_fma_f32 v2, v2, v5, -v7
	v_fmac_f32_e32 v6, v1, v5
	buffer_store_dword v2, off, s[0:3], 0 offset:16
	buffer_store_dword v6, off, s[0:3], 0 offset:20
.LBB58_23:
	s_or_b64 exec, exec, s[8:9]
	; wave barrier
	buffer_load_dword v1, off, s[0:3], 0 offset:24
	buffer_load_dword v2, off, s[0:3], 0 offset:28
	v_cmp_gt_u32_e32 vcc, 3, v0
	s_waitcnt vmcnt(0)
	ds_write_b64 v4, v[1:2]
	v_add_u32_e32 v1, -1, v0
	s_waitcnt lgkmcnt(0)
	; wave barrier
	s_and_saveexec_b64 s[4:5], vcc
	s_cbranch_execz .LBB58_27
; %bb.24:
	v_add_u32_e32 v5, -1, v0
	v_add_u32_e32 v6, 0x1e0, v3
	v_mov_b32_e32 v7, v3
	v_mov_b32_e32 v2, 0
	s_mov_b64 s[8:9], 0
	v_mov_b32_e32 v8, 0
.LBB58_25:                              ; =>This Inner Loop Header: Depth=1
	buffer_load_dword v11, v7, s[0:3], 0 offen offset:4
	buffer_load_dword v12, v7, s[0:3], 0 offen
	ds_read_b64 v[9:10], v6
	v_add_u32_e32 v5, 1, v5
	v_cmp_lt_u32_e32 vcc, 1, v5
	v_add_u32_e32 v6, 8, v6
	v_add_u32_e32 v7, 8, v7
	s_or_b64 s[8:9], vcc, s[8:9]
	s_waitcnt vmcnt(1) lgkmcnt(0)
	v_mul_f32_e32 v13, v10, v11
	v_mul_f32_e32 v11, v9, v11
	s_waitcnt vmcnt(0)
	v_fma_f32 v9, v9, v12, -v13
	v_fmac_f32_e32 v11, v10, v12
	v_add_f32_e32 v8, v8, v9
	v_add_f32_e32 v2, v2, v11
	s_andn2_b64 exec, exec, s[8:9]
	s_cbranch_execnz .LBB58_25
; %bb.26:
	s_or_b64 exec, exec, s[8:9]
	v_mov_b32_e32 v5, 0
	ds_read_b64 v[5:6], v5 offset:24
	s_waitcnt lgkmcnt(0)
	v_mul_f32_e32 v7, v2, v6
	v_mul_f32_e32 v6, v8, v6
	v_fma_f32 v7, v8, v5, -v7
	v_fmac_f32_e32 v6, v2, v5
	buffer_store_dword v7, off, s[0:3], 0 offset:24
	buffer_store_dword v6, off, s[0:3], 0 offset:28
.LBB58_27:
	s_or_b64 exec, exec, s[4:5]
	; wave barrier
	buffer_load_dword v5, off, s[0:3], 0 offset:32
	buffer_load_dword v6, off, s[0:3], 0 offset:36
	v_cmp_gt_u32_e32 vcc, 4, v0
	s_waitcnt vmcnt(0)
	ds_write_b64 v4, v[5:6]
	s_waitcnt lgkmcnt(0)
	; wave barrier
	s_and_saveexec_b64 s[4:5], vcc
	s_cbranch_execz .LBB58_31
; %bb.28:
	v_add_u32_e32 v5, -1, v0
	v_add_u32_e32 v6, 0x1e0, v3
	v_mov_b32_e32 v7, v3
	v_mov_b32_e32 v2, 0
	s_mov_b64 s[8:9], 0
	v_mov_b32_e32 v8, 0
.LBB58_29:                              ; =>This Inner Loop Header: Depth=1
	buffer_load_dword v11, v7, s[0:3], 0 offen offset:4
	buffer_load_dword v12, v7, s[0:3], 0 offen
	ds_read_b64 v[9:10], v6
	v_add_u32_e32 v5, 1, v5
	v_cmp_lt_u32_e32 vcc, 2, v5
	v_add_u32_e32 v6, 8, v6
	v_add_u32_e32 v7, 8, v7
	s_or_b64 s[8:9], vcc, s[8:9]
	s_waitcnt vmcnt(1) lgkmcnt(0)
	v_mul_f32_e32 v13, v10, v11
	v_mul_f32_e32 v11, v9, v11
	s_waitcnt vmcnt(0)
	v_fma_f32 v9, v9, v12, -v13
	v_fmac_f32_e32 v11, v10, v12
	v_add_f32_e32 v8, v8, v9
	v_add_f32_e32 v2, v2, v11
	s_andn2_b64 exec, exec, s[8:9]
	s_cbranch_execnz .LBB58_29
; %bb.30:
	s_or_b64 exec, exec, s[8:9]
	v_mov_b32_e32 v5, 0
	ds_read_b64 v[5:6], v5 offset:32
	s_waitcnt lgkmcnt(0)
	v_mul_f32_e32 v7, v2, v6
	v_mul_f32_e32 v6, v8, v6
	v_fma_f32 v7, v8, v5, -v7
	v_fmac_f32_e32 v6, v2, v5
	buffer_store_dword v7, off, s[0:3], 0 offset:32
	buffer_store_dword v6, off, s[0:3], 0 offset:36
.LBB58_31:
	s_or_b64 exec, exec, s[4:5]
	; wave barrier
	buffer_load_dword v5, off, s[0:3], 0 offset:40
	buffer_load_dword v6, off, s[0:3], 0 offset:44
	v_cmp_gt_u32_e32 vcc, 5, v0
	s_waitcnt vmcnt(0)
	ds_write_b64 v4, v[5:6]
	;; [unrolled: 49-line block ×19, first 2 shown]
	s_waitcnt lgkmcnt(0)
	; wave barrier
	s_and_saveexec_b64 s[4:5], vcc
	s_cbranch_execz .LBB58_103
; %bb.100:
	v_add_u32_e32 v5, -1, v0
	v_add_u32_e32 v6, 0x1e0, v3
	v_mov_b32_e32 v7, v3
	v_mov_b32_e32 v2, 0
	s_mov_b64 s[8:9], 0
	v_mov_b32_e32 v8, 0
.LBB58_101:                             ; =>This Inner Loop Header: Depth=1
	buffer_load_dword v11, v7, s[0:3], 0 offen offset:4
	buffer_load_dword v12, v7, s[0:3], 0 offen
	ds_read_b64 v[9:10], v6
	v_add_u32_e32 v5, 1, v5
	v_cmp_lt_u32_e32 vcc, 20, v5
	v_add_u32_e32 v6, 8, v6
	v_add_u32_e32 v7, 8, v7
	s_or_b64 s[8:9], vcc, s[8:9]
	s_waitcnt vmcnt(1) lgkmcnt(0)
	v_mul_f32_e32 v13, v10, v11
	v_mul_f32_e32 v11, v9, v11
	s_waitcnt vmcnt(0)
	v_fma_f32 v9, v9, v12, -v13
	v_fmac_f32_e32 v11, v10, v12
	v_add_f32_e32 v8, v8, v9
	v_add_f32_e32 v2, v2, v11
	s_andn2_b64 exec, exec, s[8:9]
	s_cbranch_execnz .LBB58_101
; %bb.102:
	s_or_b64 exec, exec, s[8:9]
	v_mov_b32_e32 v5, 0
	ds_read_b64 v[5:6], v5 offset:176
	s_waitcnt lgkmcnt(0)
	v_mul_f32_e32 v7, v2, v6
	v_mul_f32_e32 v6, v8, v6
	v_fma_f32 v7, v8, v5, -v7
	v_fmac_f32_e32 v6, v2, v5
	buffer_store_dword v7, off, s[0:3], 0 offset:176
	buffer_store_dword v6, off, s[0:3], 0 offset:180
.LBB58_103:
	s_or_b64 exec, exec, s[4:5]
	; wave barrier
	buffer_load_dword v5, off, s[0:3], 0 offset:184
	buffer_load_dword v6, off, s[0:3], 0 offset:188
	v_cmp_gt_u32_e32 vcc, 23, v0
	s_waitcnt vmcnt(0)
	ds_write_b64 v4, v[5:6]
	s_waitcnt lgkmcnt(0)
	; wave barrier
	s_and_saveexec_b64 s[4:5], vcc
	s_cbranch_execz .LBB58_107
; %bb.104:
	v_add_u32_e32 v5, -1, v0
	v_add_u32_e32 v6, 0x1e0, v3
	v_mov_b32_e32 v7, v3
	v_mov_b32_e32 v2, 0
	s_mov_b64 s[8:9], 0
	v_mov_b32_e32 v8, 0
.LBB58_105:                             ; =>This Inner Loop Header: Depth=1
	buffer_load_dword v11, v7, s[0:3], 0 offen offset:4
	buffer_load_dword v12, v7, s[0:3], 0 offen
	ds_read_b64 v[9:10], v6
	v_add_u32_e32 v5, 1, v5
	v_cmp_lt_u32_e32 vcc, 21, v5
	v_add_u32_e32 v6, 8, v6
	v_add_u32_e32 v7, 8, v7
	s_or_b64 s[8:9], vcc, s[8:9]
	s_waitcnt vmcnt(1) lgkmcnt(0)
	v_mul_f32_e32 v13, v10, v11
	v_mul_f32_e32 v11, v9, v11
	s_waitcnt vmcnt(0)
	v_fma_f32 v9, v9, v12, -v13
	v_fmac_f32_e32 v11, v10, v12
	v_add_f32_e32 v8, v8, v9
	v_add_f32_e32 v2, v2, v11
	s_andn2_b64 exec, exec, s[8:9]
	s_cbranch_execnz .LBB58_105
; %bb.106:
	s_or_b64 exec, exec, s[8:9]
	v_mov_b32_e32 v5, 0
	ds_read_b64 v[5:6], v5 offset:184
	s_waitcnt lgkmcnt(0)
	v_mul_f32_e32 v7, v2, v6
	v_mul_f32_e32 v6, v8, v6
	v_fma_f32 v7, v8, v5, -v7
	v_fmac_f32_e32 v6, v2, v5
	buffer_store_dword v7, off, s[0:3], 0 offset:184
	buffer_store_dword v6, off, s[0:3], 0 offset:188
.LBB58_107:
	s_or_b64 exec, exec, s[4:5]
	; wave barrier
	buffer_load_dword v5, off, s[0:3], 0 offset:192
	buffer_load_dword v6, off, s[0:3], 0 offset:196
	v_cmp_gt_u32_e32 vcc, 24, v0
	s_waitcnt vmcnt(0)
	ds_write_b64 v4, v[5:6]
	;; [unrolled: 49-line block ×35, first 2 shown]
	s_waitcnt lgkmcnt(0)
	; wave barrier
	s_and_saveexec_b64 s[4:5], vcc
	s_cbranch_execz .LBB58_243
; %bb.240:
	v_add_u32_e32 v5, -1, v0
	v_add_u32_e32 v6, 0x1e0, v3
	v_mov_b32_e32 v7, v3
	v_mov_b32_e32 v2, 0
	s_mov_b64 s[8:9], 0
	v_mov_b32_e32 v8, 0
.LBB58_241:                             ; =>This Inner Loop Header: Depth=1
	buffer_load_dword v11, v7, s[0:3], 0 offen offset:4
	buffer_load_dword v12, v7, s[0:3], 0 offen
	ds_read_b64 v[9:10], v6
	v_add_u32_e32 v5, 1, v5
	v_cmp_lt_u32_e32 vcc, 55, v5
	v_add_u32_e32 v6, 8, v6
	v_add_u32_e32 v7, 8, v7
	s_or_b64 s[8:9], vcc, s[8:9]
	s_waitcnt vmcnt(1) lgkmcnt(0)
	v_mul_f32_e32 v13, v10, v11
	v_mul_f32_e32 v11, v9, v11
	s_waitcnt vmcnt(0)
	v_fma_f32 v9, v9, v12, -v13
	v_fmac_f32_e32 v11, v10, v12
	v_add_f32_e32 v8, v8, v9
	v_add_f32_e32 v2, v2, v11
	s_andn2_b64 exec, exec, s[8:9]
	s_cbranch_execnz .LBB58_241
; %bb.242:
	s_or_b64 exec, exec, s[8:9]
	v_mov_b32_e32 v5, 0
	ds_read_b64 v[5:6], v5 offset:456
	s_waitcnt lgkmcnt(0)
	v_mul_f32_e32 v7, v2, v6
	v_mul_f32_e32 v6, v8, v6
	v_fma_f32 v7, v8, v5, -v7
	v_fmac_f32_e32 v6, v2, v5
	buffer_store_dword v7, off, s[0:3], 0 offset:456
	buffer_store_dword v6, off, s[0:3], 0 offset:460
.LBB58_243:
	s_or_b64 exec, exec, s[4:5]
	; wave barrier
	buffer_load_dword v5, off, s[0:3], 0 offset:464
	buffer_load_dword v6, off, s[0:3], 0 offset:468
	v_cmp_ne_u32_e32 vcc, 58, v0
	s_waitcnt vmcnt(0)
	ds_write_b64 v4, v[5:6]
	s_waitcnt lgkmcnt(0)
	; wave barrier
	s_and_saveexec_b64 s[4:5], vcc
	s_cbranch_execz .LBB58_247
; %bb.244:
	v_add_u32_e32 v4, 0x1e0, v3
	v_mov_b32_e32 v2, 0
	s_mov_b64 s[8:9], 0
	v_mov_b32_e32 v5, 0
.LBB58_245:                             ; =>This Inner Loop Header: Depth=1
	buffer_load_dword v8, v3, s[0:3], 0 offen offset:4
	buffer_load_dword v9, v3, s[0:3], 0 offen
	ds_read_b64 v[6:7], v4
	v_add_u32_e32 v1, 1, v1
	v_cmp_lt_u32_e32 vcc, 56, v1
	v_add_u32_e32 v4, 8, v4
	v_add_u32_e32 v3, 8, v3
	s_or_b64 s[8:9], vcc, s[8:9]
	s_waitcnt vmcnt(1) lgkmcnt(0)
	v_mul_f32_e32 v10, v7, v8
	v_mul_f32_e32 v8, v6, v8
	s_waitcnt vmcnt(0)
	v_fma_f32 v6, v6, v9, -v10
	v_fmac_f32_e32 v8, v7, v9
	v_add_f32_e32 v5, v5, v6
	v_add_f32_e32 v2, v2, v8
	s_andn2_b64 exec, exec, s[8:9]
	s_cbranch_execnz .LBB58_245
; %bb.246:
	s_or_b64 exec, exec, s[8:9]
	v_mov_b32_e32 v1, 0
	ds_read_b64 v[3:4], v1 offset:464
	s_waitcnt lgkmcnt(0)
	v_mul_f32_e32 v1, v2, v4
	v_mul_f32_e32 v4, v5, v4
	v_fma_f32 v1, v5, v3, -v1
	v_fmac_f32_e32 v4, v2, v3
	buffer_store_dword v1, off, s[0:3], 0 offset:464
	buffer_store_dword v4, off, s[0:3], 0 offset:468
.LBB58_247:
	s_or_b64 exec, exec, s[4:5]
	s_mov_b64 s[8:9], -1
	; wave barrier
.LBB58_248:
	s_and_b64 vcc, exec, s[8:9]
	s_cbranch_vccz .LBB58_250
; %bb.249:
	s_lshl_b64 s[4:5], s[6:7], 2
	s_add_u32 s4, s10, s4
	s_addc_u32 s5, s11, s5
	v_mov_b32_e32 v1, 0
	global_load_dword v1, v1, s[4:5]
	s_waitcnt vmcnt(0)
	v_cmp_ne_u32_e32 vcc, 0, v1
	s_cbranch_vccz .LBB58_251
.LBB58_250:
	s_endpgm
.LBB58_251:
	v_mov_b32_e32 v1, 0x1e0
	v_lshl_add_u32 v1, v0, 3, v1
	v_cmp_eq_u32_e32 vcc, 58, v0
	s_and_saveexec_b64 s[4:5], vcc
	s_cbranch_execz .LBB58_253
; %bb.252:
	buffer_load_dword v2, off, s[0:3], 0 offset:456
	buffer_load_dword v3, off, s[0:3], 0 offset:460
	v_mov_b32_e32 v4, 0
	buffer_store_dword v4, off, s[0:3], 0 offset:456
	buffer_store_dword v4, off, s[0:3], 0 offset:460
	s_waitcnt vmcnt(2)
	ds_write_b64 v1, v[2:3]
.LBB58_253:
	s_or_b64 exec, exec, s[4:5]
	s_waitcnt lgkmcnt(0)
	; wave barrier
	buffer_load_dword v5, off, s[0:3], 0 offset:468
	buffer_load_dword v6, off, s[0:3], 0 offset:464
	;; [unrolled: 1-line block ×4, first 2 shown]
	v_mov_b32_e32 v2, 0
	ds_read_b64 v[3:4], v2 offset:944
	v_cmp_lt_u32_e32 vcc, 56, v0
	s_waitcnt vmcnt(3) lgkmcnt(0)
	v_mul_f32_e32 v9, v3, v5
	v_mul_f32_e32 v5, v4, v5
	s_waitcnt vmcnt(2)
	v_fma_f32 v3, v3, v6, -v5
	v_fmac_f32_e32 v9, v4, v6
	v_add_f32_e32 v3, 0, v3
	v_add_f32_e32 v4, 0, v9
	s_waitcnt vmcnt(1)
	v_sub_f32_e32 v3, v7, v3
	s_waitcnt vmcnt(0)
	v_sub_f32_e32 v4, v8, v4
	buffer_store_dword v3, off, s[0:3], 0 offset:456
	buffer_store_dword v4, off, s[0:3], 0 offset:460
	s_and_saveexec_b64 s[4:5], vcc
	s_cbranch_execz .LBB58_255
; %bb.254:
	buffer_load_dword v3, off, s[0:3], 0 offset:448
	buffer_load_dword v4, off, s[0:3], 0 offset:452
	s_waitcnt vmcnt(0)
	ds_write_b64 v1, v[3:4]
	buffer_store_dword v2, off, s[0:3], 0 offset:448
	buffer_store_dword v2, off, s[0:3], 0 offset:452
.LBB58_255:
	s_or_b64 exec, exec, s[4:5]
	s_waitcnt lgkmcnt(0)
	; wave barrier
	buffer_load_dword v6, off, s[0:3], 0 offset:460
	buffer_load_dword v7, off, s[0:3], 0 offset:468
	;; [unrolled: 1-line block ×6, first 2 shown]
	ds_read2_b64 v[2:5], v2 offset0:117 offset1:118
	v_cmp_lt_u32_e32 vcc, 55, v0
	s_waitcnt vmcnt(5) lgkmcnt(0)
	v_mul_f32_e32 v12, v2, v6
	v_mul_f32_e32 v6, v3, v6
	s_waitcnt vmcnt(4)
	v_mul_f32_e32 v13, v4, v7
	v_mul_f32_e32 v7, v5, v7
	s_waitcnt vmcnt(3)
	v_fma_f32 v2, v2, v8, -v6
	v_fmac_f32_e32 v12, v3, v8
	s_waitcnt vmcnt(2)
	v_fma_f32 v3, v4, v9, -v7
	v_add_f32_e32 v2, 0, v2
	v_fmac_f32_e32 v13, v5, v9
	v_add_f32_e32 v4, 0, v12
	v_add_f32_e32 v2, v2, v3
	;; [unrolled: 1-line block ×3, first 2 shown]
	s_waitcnt vmcnt(1)
	v_sub_f32_e32 v2, v10, v2
	s_waitcnt vmcnt(0)
	v_sub_f32_e32 v3, v11, v4
	buffer_store_dword v2, off, s[0:3], 0 offset:448
	buffer_store_dword v3, off, s[0:3], 0 offset:452
	s_and_saveexec_b64 s[4:5], vcc
	s_cbranch_execz .LBB58_257
; %bb.256:
	buffer_load_dword v2, off, s[0:3], 0 offset:440
	buffer_load_dword v3, off, s[0:3], 0 offset:444
	v_mov_b32_e32 v4, 0
	buffer_store_dword v4, off, s[0:3], 0 offset:440
	buffer_store_dword v4, off, s[0:3], 0 offset:444
	s_waitcnt vmcnt(2)
	ds_write_b64 v1, v[2:3]
.LBB58_257:
	s_or_b64 exec, exec, s[4:5]
	s_waitcnt lgkmcnt(0)
	; wave barrier
	buffer_load_dword v9, off, s[0:3], 0 offset:452
	buffer_load_dword v10, off, s[0:3], 0 offset:460
	;; [unrolled: 1-line block ×8, first 2 shown]
	v_mov_b32_e32 v2, 0
	ds_read_b128 v[3:6], v2 offset:928
	ds_read_b64 v[7:8], v2 offset:944
	v_cmp_lt_u32_e32 vcc, 54, v0
	s_waitcnt vmcnt(7) lgkmcnt(1)
	v_mul_f32_e32 v17, v3, v9
	v_mul_f32_e32 v9, v4, v9
	s_waitcnt vmcnt(6)
	v_mul_f32_e32 v18, v5, v10
	v_mul_f32_e32 v10, v6, v10
	s_waitcnt vmcnt(4)
	v_fma_f32 v3, v3, v12, -v9
	s_waitcnt lgkmcnt(0)
	v_mul_f32_e32 v19, v7, v11
	v_mul_f32_e32 v11, v8, v11
	v_fmac_f32_e32 v17, v4, v12
	s_waitcnt vmcnt(3)
	v_fma_f32 v4, v5, v13, -v10
	v_add_f32_e32 v3, 0, v3
	v_fmac_f32_e32 v18, v6, v13
	s_waitcnt vmcnt(2)
	v_fma_f32 v5, v7, v14, -v11
	v_add_f32_e32 v6, 0, v17
	v_add_f32_e32 v3, v3, v4
	v_fmac_f32_e32 v19, v8, v14
	v_add_f32_e32 v6, v6, v18
	v_add_f32_e32 v3, v3, v5
	;; [unrolled: 1-line block ×3, first 2 shown]
	s_waitcnt vmcnt(1)
	v_sub_f32_e32 v3, v15, v3
	s_waitcnt vmcnt(0)
	v_sub_f32_e32 v4, v16, v4
	buffer_store_dword v3, off, s[0:3], 0 offset:440
	buffer_store_dword v4, off, s[0:3], 0 offset:444
	s_and_saveexec_b64 s[4:5], vcc
	s_cbranch_execz .LBB58_259
; %bb.258:
	buffer_load_dword v3, off, s[0:3], 0 offset:432
	buffer_load_dword v4, off, s[0:3], 0 offset:436
	s_waitcnt vmcnt(0)
	ds_write_b64 v1, v[3:4]
	buffer_store_dword v2, off, s[0:3], 0 offset:432
	buffer_store_dword v2, off, s[0:3], 0 offset:436
.LBB58_259:
	s_or_b64 exec, exec, s[4:5]
	s_waitcnt lgkmcnt(0)
	; wave barrier
	buffer_load_dword v11, off, s[0:3], 0 offset:444
	buffer_load_dword v12, off, s[0:3], 0 offset:452
	;; [unrolled: 1-line block ×10, first 2 shown]
	ds_read2_b64 v[3:6], v2 offset0:115 offset1:116
	ds_read2_b64 v[7:10], v2 offset0:117 offset1:118
	v_cmp_lt_u32_e32 vcc, 53, v0
	s_waitcnt vmcnt(9) lgkmcnt(1)
	v_mul_f32_e32 v2, v3, v11
	v_mul_f32_e32 v11, v4, v11
	s_waitcnt vmcnt(8)
	v_mul_f32_e32 v21, v5, v12
	v_mul_f32_e32 v12, v6, v12
	s_waitcnt vmcnt(5)
	v_fma_f32 v3, v3, v15, -v11
	s_waitcnt lgkmcnt(0)
	v_mul_f32_e32 v22, v7, v13
	v_mul_f32_e32 v13, v8, v13
	v_fmac_f32_e32 v2, v4, v15
	s_waitcnt vmcnt(4)
	v_fma_f32 v4, v5, v16, -v12
	v_add_f32_e32 v3, 0, v3
	v_mul_f32_e32 v23, v9, v14
	v_mul_f32_e32 v14, v10, v14
	v_fmac_f32_e32 v21, v6, v16
	s_waitcnt vmcnt(3)
	v_fma_f32 v5, v7, v17, -v13
	v_add_f32_e32 v2, 0, v2
	v_add_f32_e32 v3, v3, v4
	v_fmac_f32_e32 v22, v8, v17
	s_waitcnt vmcnt(2)
	v_fma_f32 v6, v9, v18, -v14
	v_add_f32_e32 v2, v2, v21
	v_add_f32_e32 v3, v3, v5
	v_fmac_f32_e32 v23, v10, v18
	v_add_f32_e32 v2, v2, v22
	v_add_f32_e32 v3, v3, v6
	;; [unrolled: 1-line block ×3, first 2 shown]
	s_waitcnt vmcnt(1)
	v_sub_f32_e32 v3, v19, v3
	s_waitcnt vmcnt(0)
	v_sub_f32_e32 v2, v20, v2
	buffer_store_dword v3, off, s[0:3], 0 offset:432
	buffer_store_dword v2, off, s[0:3], 0 offset:436
	s_and_saveexec_b64 s[4:5], vcc
	s_cbranch_execz .LBB58_261
; %bb.260:
	buffer_load_dword v2, off, s[0:3], 0 offset:424
	buffer_load_dword v3, off, s[0:3], 0 offset:428
	v_mov_b32_e32 v4, 0
	buffer_store_dword v4, off, s[0:3], 0 offset:424
	buffer_store_dword v4, off, s[0:3], 0 offset:428
	s_waitcnt vmcnt(2)
	ds_write_b64 v1, v[2:3]
.LBB58_261:
	s_or_b64 exec, exec, s[4:5]
	s_waitcnt lgkmcnt(0)
	; wave barrier
	buffer_load_dword v13, off, s[0:3], 0 offset:436
	buffer_load_dword v14, off, s[0:3], 0 offset:444
	buffer_load_dword v15, off, s[0:3], 0 offset:452
	buffer_load_dword v16, off, s[0:3], 0 offset:460
	buffer_load_dword v17, off, s[0:3], 0 offset:468
	buffer_load_dword v18, off, s[0:3], 0 offset:432
	buffer_load_dword v19, off, s[0:3], 0 offset:440
	buffer_load_dword v20, off, s[0:3], 0 offset:448
	buffer_load_dword v21, off, s[0:3], 0 offset:456
	buffer_load_dword v22, off, s[0:3], 0 offset:464
	buffer_load_dword v23, off, s[0:3], 0 offset:424
	buffer_load_dword v24, off, s[0:3], 0 offset:428
	v_mov_b32_e32 v2, 0
	ds_read_b128 v[3:6], v2 offset:912
	ds_read_b128 v[7:10], v2 offset:928
	ds_read_b64 v[11:12], v2 offset:944
	v_cmp_lt_u32_e32 vcc, 52, v0
	s_waitcnt vmcnt(11) lgkmcnt(2)
	v_mul_f32_e32 v25, v3, v13
	v_mul_f32_e32 v13, v4, v13
	s_waitcnt vmcnt(10)
	v_mul_f32_e32 v26, v5, v14
	v_mul_f32_e32 v14, v6, v14
	s_waitcnt vmcnt(9) lgkmcnt(1)
	v_mul_f32_e32 v27, v7, v15
	s_waitcnt vmcnt(6)
	v_fma_f32 v3, v3, v18, -v13
	v_mul_f32_e32 v15, v8, v15
	v_fmac_f32_e32 v25, v4, v18
	s_waitcnt vmcnt(5)
	v_fma_f32 v4, v5, v19, -v14
	v_add_f32_e32 v3, 0, v3
	v_mul_f32_e32 v28, v9, v16
	v_mul_f32_e32 v16, v10, v16
	v_fmac_f32_e32 v26, v6, v19
	s_waitcnt vmcnt(4)
	v_fmac_f32_e32 v27, v8, v20
	v_fma_f32 v5, v7, v20, -v15
	v_add_f32_e32 v8, 0, v25
	v_add_f32_e32 v3, v3, v4
	s_waitcnt lgkmcnt(0)
	v_mul_f32_e32 v29, v11, v17
	v_mul_f32_e32 v17, v12, v17
	s_waitcnt vmcnt(3)
	v_fma_f32 v6, v9, v21, -v16
	v_add_f32_e32 v8, v8, v26
	v_add_f32_e32 v3, v3, v5
	v_fmac_f32_e32 v28, v10, v21
	s_waitcnt vmcnt(2)
	v_fma_f32 v7, v11, v22, -v17
	v_add_f32_e32 v4, v8, v27
	v_add_f32_e32 v3, v3, v6
	v_fmac_f32_e32 v29, v12, v22
	v_add_f32_e32 v4, v4, v28
	v_add_f32_e32 v3, v3, v7
	;; [unrolled: 1-line block ×3, first 2 shown]
	s_waitcnt vmcnt(1)
	v_sub_f32_e32 v3, v23, v3
	s_waitcnt vmcnt(0)
	v_sub_f32_e32 v4, v24, v4
	buffer_store_dword v3, off, s[0:3], 0 offset:424
	buffer_store_dword v4, off, s[0:3], 0 offset:428
	s_and_saveexec_b64 s[4:5], vcc
	s_cbranch_execz .LBB58_263
; %bb.262:
	buffer_load_dword v3, off, s[0:3], 0 offset:416
	buffer_load_dword v4, off, s[0:3], 0 offset:420
	s_waitcnt vmcnt(0)
	ds_write_b64 v1, v[3:4]
	buffer_store_dword v2, off, s[0:3], 0 offset:416
	buffer_store_dword v2, off, s[0:3], 0 offset:420
.LBB58_263:
	s_or_b64 exec, exec, s[4:5]
	s_waitcnt lgkmcnt(0)
	; wave barrier
	buffer_load_dword v15, off, s[0:3], 0 offset:428
	buffer_load_dword v16, off, s[0:3], 0 offset:436
	;; [unrolled: 1-line block ×14, first 2 shown]
	ds_read2_b64 v[3:6], v2 offset0:113 offset1:114
	ds_read2_b64 v[7:10], v2 offset0:115 offset1:116
	;; [unrolled: 1-line block ×3, first 2 shown]
	v_cmp_lt_u32_e32 vcc, 51, v0
	s_waitcnt vmcnt(13) lgkmcnt(2)
	v_mul_f32_e32 v2, v3, v15
	v_mul_f32_e32 v15, v4, v15
	s_waitcnt vmcnt(12)
	v_mul_f32_e32 v29, v5, v16
	v_mul_f32_e32 v16, v6, v16
	s_waitcnt vmcnt(11) lgkmcnt(1)
	v_mul_f32_e32 v30, v7, v17
	v_mul_f32_e32 v17, v8, v17
	s_waitcnt vmcnt(7)
	v_fma_f32 v3, v3, v21, -v15
	v_fmac_f32_e32 v2, v4, v21
	s_waitcnt vmcnt(6)
	v_fma_f32 v4, v5, v22, -v16
	v_add_f32_e32 v3, 0, v3
	v_mul_f32_e32 v31, v9, v18
	v_mul_f32_e32 v18, v10, v18
	v_fmac_f32_e32 v29, v6, v22
	s_waitcnt vmcnt(5)
	v_fma_f32 v5, v7, v23, -v17
	v_add_f32_e32 v2, 0, v2
	v_add_f32_e32 v3, v3, v4
	s_waitcnt lgkmcnt(0)
	v_mul_f32_e32 v32, v11, v19
	v_mul_f32_e32 v19, v12, v19
	v_fmac_f32_e32 v30, v8, v23
	s_waitcnt vmcnt(4)
	v_fma_f32 v6, v9, v24, -v18
	v_add_f32_e32 v2, v2, v29
	v_add_f32_e32 v3, v3, v5
	v_mul_f32_e32 v33, v13, v20
	v_mul_f32_e32 v20, v14, v20
	v_fmac_f32_e32 v31, v10, v24
	s_waitcnt vmcnt(3)
	v_fma_f32 v7, v11, v25, -v19
	v_add_f32_e32 v2, v2, v30
	v_add_f32_e32 v3, v3, v6
	v_fmac_f32_e32 v32, v12, v25
	s_waitcnt vmcnt(2)
	v_fma_f32 v8, v13, v26, -v20
	v_add_f32_e32 v2, v2, v31
	v_add_f32_e32 v3, v3, v7
	v_fmac_f32_e32 v33, v14, v26
	v_add_f32_e32 v2, v2, v32
	v_add_f32_e32 v3, v3, v8
	;; [unrolled: 1-line block ×3, first 2 shown]
	s_waitcnt vmcnt(1)
	v_sub_f32_e32 v3, v27, v3
	s_waitcnt vmcnt(0)
	v_sub_f32_e32 v2, v28, v2
	buffer_store_dword v3, off, s[0:3], 0 offset:416
	buffer_store_dword v2, off, s[0:3], 0 offset:420
	s_and_saveexec_b64 s[4:5], vcc
	s_cbranch_execz .LBB58_265
; %bb.264:
	buffer_load_dword v2, off, s[0:3], 0 offset:408
	buffer_load_dword v3, off, s[0:3], 0 offset:412
	v_mov_b32_e32 v4, 0
	buffer_store_dword v4, off, s[0:3], 0 offset:408
	buffer_store_dword v4, off, s[0:3], 0 offset:412
	s_waitcnt vmcnt(2)
	ds_write_b64 v1, v[2:3]
.LBB58_265:
	s_or_b64 exec, exec, s[4:5]
	s_waitcnt lgkmcnt(0)
	; wave barrier
	buffer_load_dword v17, off, s[0:3], 0 offset:420
	buffer_load_dword v18, off, s[0:3], 0 offset:428
	;; [unrolled: 1-line block ×16, first 2 shown]
	v_mov_b32_e32 v2, 0
	ds_read_b128 v[3:6], v2 offset:896
	ds_read_b128 v[7:10], v2 offset:912
	;; [unrolled: 1-line block ×3, first 2 shown]
	ds_read_b64 v[15:16], v2 offset:944
	v_cmp_lt_u32_e32 vcc, 50, v0
	s_waitcnt vmcnt(15) lgkmcnt(3)
	v_mul_f32_e32 v33, v3, v17
	v_mul_f32_e32 v17, v4, v17
	s_waitcnt vmcnt(14)
	v_mul_f32_e32 v34, v5, v18
	v_mul_f32_e32 v18, v6, v18
	s_waitcnt vmcnt(13) lgkmcnt(2)
	v_mul_f32_e32 v35, v7, v19
	s_waitcnt vmcnt(12)
	v_mul_f32_e32 v36, v9, v20
	v_mul_f32_e32 v19, v8, v19
	s_waitcnt vmcnt(8)
	v_fma_f32 v3, v3, v24, -v17
	v_fmac_f32_e32 v33, v4, v24
	s_waitcnt vmcnt(7)
	v_fma_f32 v4, v5, v25, -v18
	v_add_f32_e32 v3, 0, v3
	v_mul_f32_e32 v20, v10, v20
	v_fmac_f32_e32 v34, v6, v25
	s_waitcnt vmcnt(5)
	v_fmac_f32_e32 v36, v10, v27
	v_fma_f32 v5, v7, v26, -v19
	v_add_f32_e32 v10, 0, v33
	v_add_f32_e32 v3, v3, v4
	s_waitcnt lgkmcnt(1)
	v_mul_f32_e32 v37, v11, v21
	v_mul_f32_e32 v21, v12, v21
	v_fmac_f32_e32 v35, v8, v26
	v_fma_f32 v6, v9, v27, -v20
	v_add_f32_e32 v10, v10, v34
	v_add_f32_e32 v3, v3, v5
	v_mul_f32_e32 v38, v13, v22
	v_mul_f32_e32 v22, v14, v22
	s_waitcnt vmcnt(4)
	v_fma_f32 v7, v11, v28, -v21
	v_add_f32_e32 v4, v10, v35
	v_add_f32_e32 v3, v3, v6
	s_waitcnt lgkmcnt(0)
	v_mul_f32_e32 v39, v15, v23
	v_mul_f32_e32 v23, v16, v23
	v_fmac_f32_e32 v37, v12, v28
	s_waitcnt vmcnt(3)
	v_fma_f32 v8, v13, v29, -v22
	v_add_f32_e32 v4, v4, v36
	v_add_f32_e32 v3, v3, v7
	v_fmac_f32_e32 v38, v14, v29
	s_waitcnt vmcnt(2)
	v_fma_f32 v9, v15, v30, -v23
	v_add_f32_e32 v4, v4, v37
	v_add_f32_e32 v3, v3, v8
	v_fmac_f32_e32 v39, v16, v30
	v_add_f32_e32 v4, v4, v38
	v_add_f32_e32 v3, v3, v9
	v_add_f32_e32 v4, v4, v39
	s_waitcnt vmcnt(1)
	v_sub_f32_e32 v3, v31, v3
	s_waitcnt vmcnt(0)
	v_sub_f32_e32 v4, v32, v4
	buffer_store_dword v3, off, s[0:3], 0 offset:408
	buffer_store_dword v4, off, s[0:3], 0 offset:412
	s_and_saveexec_b64 s[4:5], vcc
	s_cbranch_execz .LBB58_267
; %bb.266:
	buffer_load_dword v3, off, s[0:3], 0 offset:400
	buffer_load_dword v4, off, s[0:3], 0 offset:404
	s_waitcnt vmcnt(0)
	ds_write_b64 v1, v[3:4]
	buffer_store_dword v2, off, s[0:3], 0 offset:400
	buffer_store_dword v2, off, s[0:3], 0 offset:404
.LBB58_267:
	s_or_b64 exec, exec, s[4:5]
	s_waitcnt lgkmcnt(0)
	; wave barrier
	buffer_load_dword v19, off, s[0:3], 0 offset:412
	buffer_load_dword v20, off, s[0:3], 0 offset:420
	;; [unrolled: 1-line block ×18, first 2 shown]
	ds_read2_b64 v[3:6], v2 offset0:111 offset1:112
	ds_read2_b64 v[7:10], v2 offset0:113 offset1:114
	;; [unrolled: 1-line block ×4, first 2 shown]
	v_cmp_lt_u32_e32 vcc, 49, v0
	s_waitcnt vmcnt(17) lgkmcnt(3)
	v_mul_f32_e32 v2, v3, v19
	v_mul_f32_e32 v19, v4, v19
	s_waitcnt vmcnt(16)
	v_mul_f32_e32 v37, v5, v20
	v_mul_f32_e32 v20, v6, v20
	s_waitcnt vmcnt(15) lgkmcnt(2)
	v_mul_f32_e32 v38, v7, v21
	v_mul_f32_e32 v21, v8, v21
	s_waitcnt vmcnt(14)
	v_mul_f32_e32 v39, v9, v22
	v_mul_f32_e32 v22, v10, v22
	s_waitcnt vmcnt(9)
	v_fma_f32 v3, v3, v27, -v19
	v_fmac_f32_e32 v2, v4, v27
	s_waitcnt vmcnt(8)
	v_fma_f32 v4, v5, v28, -v20
	v_add_f32_e32 v3, 0, v3
	v_fmac_f32_e32 v37, v6, v28
	s_waitcnt vmcnt(7)
	v_fma_f32 v5, v7, v29, -v21
	v_add_f32_e32 v2, 0, v2
	v_add_f32_e32 v3, v3, v4
	s_waitcnt lgkmcnt(1)
	v_mul_f32_e32 v40, v11, v23
	v_mul_f32_e32 v23, v12, v23
	v_fmac_f32_e32 v38, v8, v29
	s_waitcnt vmcnt(6)
	v_fma_f32 v6, v9, v30, -v22
	v_add_f32_e32 v2, v2, v37
	v_add_f32_e32 v3, v3, v5
	v_mul_f32_e32 v41, v13, v24
	v_mul_f32_e32 v24, v14, v24
	v_fmac_f32_e32 v39, v10, v30
	s_waitcnt vmcnt(5)
	v_fma_f32 v7, v11, v31, -v23
	v_add_f32_e32 v2, v2, v38
	v_add_f32_e32 v3, v3, v6
	s_waitcnt lgkmcnt(0)
	v_mul_f32_e32 v42, v15, v25
	v_mul_f32_e32 v25, v16, v25
	v_fmac_f32_e32 v40, v12, v31
	s_waitcnt vmcnt(4)
	v_fma_f32 v8, v13, v32, -v24
	v_add_f32_e32 v2, v2, v39
	v_add_f32_e32 v3, v3, v7
	v_mul_f32_e32 v43, v17, v26
	v_mul_f32_e32 v26, v18, v26
	v_fmac_f32_e32 v41, v14, v32
	s_waitcnt vmcnt(3)
	v_fma_f32 v9, v15, v33, -v25
	v_add_f32_e32 v2, v2, v40
	v_add_f32_e32 v3, v3, v8
	v_fmac_f32_e32 v42, v16, v33
	s_waitcnt vmcnt(2)
	v_fma_f32 v10, v17, v34, -v26
	v_add_f32_e32 v2, v2, v41
	v_add_f32_e32 v3, v3, v9
	v_fmac_f32_e32 v43, v18, v34
	v_add_f32_e32 v2, v2, v42
	v_add_f32_e32 v3, v3, v10
	;; [unrolled: 1-line block ×3, first 2 shown]
	s_waitcnt vmcnt(1)
	v_sub_f32_e32 v3, v35, v3
	s_waitcnt vmcnt(0)
	v_sub_f32_e32 v2, v36, v2
	buffer_store_dword v3, off, s[0:3], 0 offset:400
	buffer_store_dword v2, off, s[0:3], 0 offset:404
	s_and_saveexec_b64 s[4:5], vcc
	s_cbranch_execz .LBB58_269
; %bb.268:
	buffer_load_dword v2, off, s[0:3], 0 offset:392
	buffer_load_dword v3, off, s[0:3], 0 offset:396
	v_mov_b32_e32 v4, 0
	buffer_store_dword v4, off, s[0:3], 0 offset:392
	buffer_store_dword v4, off, s[0:3], 0 offset:396
	s_waitcnt vmcnt(2)
	ds_write_b64 v1, v[2:3]
.LBB58_269:
	s_or_b64 exec, exec, s[4:5]
	s_waitcnt lgkmcnt(0)
	; wave barrier
	buffer_load_dword v21, off, s[0:3], 0 offset:404
	buffer_load_dword v22, off, s[0:3], 0 offset:412
	;; [unrolled: 1-line block ×20, first 2 shown]
	v_mov_b32_e32 v2, 0
	ds_read_b128 v[3:6], v2 offset:880
	ds_read_b128 v[7:10], v2 offset:896
	;; [unrolled: 1-line block ×4, first 2 shown]
	ds_read_b64 v[19:20], v2 offset:944
	v_cmp_lt_u32_e32 vcc, 48, v0
	s_waitcnt vmcnt(19) lgkmcnt(4)
	v_mul_f32_e32 v41, v3, v21
	v_mul_f32_e32 v21, v4, v21
	s_waitcnt vmcnt(18)
	v_mul_f32_e32 v42, v5, v22
	v_mul_f32_e32 v22, v6, v22
	s_waitcnt vmcnt(17) lgkmcnt(3)
	v_mul_f32_e32 v43, v7, v23
	s_waitcnt vmcnt(15) lgkmcnt(2)
	v_mul_f32_e32 v45, v11, v25
	v_mul_f32_e32 v23, v8, v23
	;; [unrolled: 1-line block ×4, first 2 shown]
	s_waitcnt vmcnt(10)
	v_fma_f32 v3, v3, v30, -v21
	v_fmac_f32_e32 v41, v4, v30
	s_waitcnt vmcnt(9)
	v_fma_f32 v4, v5, v31, -v22
	v_add_f32_e32 v3, 0, v3
	v_mul_f32_e32 v25, v12, v25
	v_fmac_f32_e32 v42, v6, v31
	s_waitcnt vmcnt(6)
	v_fmac_f32_e32 v45, v12, v34
	v_fma_f32 v5, v7, v32, -v23
	v_add_f32_e32 v12, 0, v41
	v_add_f32_e32 v3, v3, v4
	v_fmac_f32_e32 v43, v8, v32
	v_fma_f32 v6, v9, v33, -v24
	v_add_f32_e32 v12, v12, v42
	v_add_f32_e32 v3, v3, v5
	v_mul_f32_e32 v46, v13, v26
	v_mul_f32_e32 v26, v14, v26
	v_fmac_f32_e32 v44, v10, v33
	v_fma_f32 v7, v11, v34, -v25
	v_add_f32_e32 v4, v12, v43
	v_add_f32_e32 v3, v3, v6
	s_waitcnt lgkmcnt(1)
	v_mul_f32_e32 v47, v15, v27
	v_mul_f32_e32 v27, v16, v27
	s_waitcnt vmcnt(5)
	v_fma_f32 v8, v13, v35, -v26
	v_add_f32_e32 v4, v4, v44
	v_add_f32_e32 v3, v3, v7
	v_mul_f32_e32 v48, v17, v28
	v_mul_f32_e32 v28, v18, v28
	v_fmac_f32_e32 v46, v14, v35
	s_waitcnt vmcnt(4)
	v_fma_f32 v9, v15, v36, -v27
	v_add_f32_e32 v4, v4, v45
	v_add_f32_e32 v3, v3, v8
	s_waitcnt lgkmcnt(0)
	v_mul_f32_e32 v49, v19, v29
	v_mul_f32_e32 v29, v20, v29
	v_fmac_f32_e32 v47, v16, v36
	s_waitcnt vmcnt(3)
	v_fma_f32 v10, v17, v37, -v28
	v_add_f32_e32 v4, v4, v46
	v_add_f32_e32 v3, v3, v9
	v_fmac_f32_e32 v48, v18, v37
	s_waitcnt vmcnt(2)
	v_fma_f32 v11, v19, v38, -v29
	v_add_f32_e32 v4, v4, v47
	v_add_f32_e32 v3, v3, v10
	v_fmac_f32_e32 v49, v20, v38
	v_add_f32_e32 v4, v4, v48
	v_add_f32_e32 v3, v3, v11
	;; [unrolled: 1-line block ×3, first 2 shown]
	s_waitcnt vmcnt(1)
	v_sub_f32_e32 v3, v39, v3
	s_waitcnt vmcnt(0)
	v_sub_f32_e32 v4, v40, v4
	buffer_store_dword v3, off, s[0:3], 0 offset:392
	buffer_store_dword v4, off, s[0:3], 0 offset:396
	s_and_saveexec_b64 s[4:5], vcc
	s_cbranch_execz .LBB58_271
; %bb.270:
	buffer_load_dword v3, off, s[0:3], 0 offset:384
	buffer_load_dword v4, off, s[0:3], 0 offset:388
	s_waitcnt vmcnt(0)
	ds_write_b64 v1, v[3:4]
	buffer_store_dword v2, off, s[0:3], 0 offset:384
	buffer_store_dword v2, off, s[0:3], 0 offset:388
.LBB58_271:
	s_or_b64 exec, exec, s[4:5]
	s_waitcnt lgkmcnt(0)
	; wave barrier
	buffer_load_dword v23, off, s[0:3], 0 offset:396
	buffer_load_dword v24, off, s[0:3], 0 offset:404
	;; [unrolled: 1-line block ×22, first 2 shown]
	ds_read2_b64 v[3:6], v2 offset0:109 offset1:110
	ds_read2_b64 v[7:10], v2 offset0:111 offset1:112
	;; [unrolled: 1-line block ×5, first 2 shown]
	v_cmp_lt_u32_e32 vcc, 47, v0
	s_waitcnt vmcnt(21) lgkmcnt(4)
	v_mul_f32_e32 v2, v3, v23
	v_mul_f32_e32 v23, v4, v23
	s_waitcnt vmcnt(20)
	v_mul_f32_e32 v45, v5, v24
	v_mul_f32_e32 v24, v6, v24
	s_waitcnt vmcnt(19) lgkmcnt(3)
	v_mul_f32_e32 v46, v7, v25
	v_mul_f32_e32 v25, v8, v25
	s_waitcnt vmcnt(18)
	v_mul_f32_e32 v47, v9, v26
	v_mul_f32_e32 v26, v10, v26
	s_waitcnt vmcnt(17) lgkmcnt(2)
	v_mul_f32_e32 v48, v11, v27
	v_mul_f32_e32 v27, v12, v27
	s_waitcnt vmcnt(11)
	v_fma_f32 v3, v3, v33, -v23
	v_fmac_f32_e32 v2, v4, v33
	s_waitcnt vmcnt(10)
	v_fma_f32 v4, v5, v34, -v24
	v_add_f32_e32 v3, 0, v3
	v_fmac_f32_e32 v45, v6, v34
	s_waitcnt vmcnt(9)
	v_fma_f32 v5, v7, v35, -v25
	v_add_f32_e32 v2, 0, v2
	v_add_f32_e32 v3, v3, v4
	v_fmac_f32_e32 v46, v8, v35
	s_waitcnt vmcnt(8)
	v_fma_f32 v6, v9, v36, -v26
	v_add_f32_e32 v2, v2, v45
	v_add_f32_e32 v3, v3, v5
	v_mul_f32_e32 v49, v13, v28
	v_mul_f32_e32 v28, v14, v28
	v_fmac_f32_e32 v47, v10, v36
	s_waitcnt vmcnt(7)
	v_fma_f32 v7, v11, v37, -v27
	v_add_f32_e32 v2, v2, v46
	v_add_f32_e32 v3, v3, v6
	s_waitcnt lgkmcnt(1)
	v_mul_f32_e32 v50, v15, v29
	v_mul_f32_e32 v29, v16, v29
	v_fmac_f32_e32 v48, v12, v37
	s_waitcnt vmcnt(6)
	v_fma_f32 v8, v13, v38, -v28
	v_add_f32_e32 v2, v2, v47
	v_add_f32_e32 v3, v3, v7
	v_mul_f32_e32 v51, v17, v30
	v_mul_f32_e32 v30, v18, v30
	v_fmac_f32_e32 v49, v14, v38
	s_waitcnt vmcnt(5)
	v_fma_f32 v9, v15, v39, -v29
	v_add_f32_e32 v2, v2, v48
	v_add_f32_e32 v3, v3, v8
	s_waitcnt lgkmcnt(0)
	v_mul_f32_e32 v52, v19, v31
	v_mul_f32_e32 v31, v20, v31
	v_fmac_f32_e32 v50, v16, v39
	s_waitcnt vmcnt(4)
	v_fma_f32 v10, v17, v40, -v30
	v_add_f32_e32 v2, v2, v49
	v_add_f32_e32 v3, v3, v9
	v_mul_f32_e32 v53, v21, v32
	v_mul_f32_e32 v32, v22, v32
	v_fmac_f32_e32 v51, v18, v40
	s_waitcnt vmcnt(3)
	v_fma_f32 v11, v19, v41, -v31
	v_add_f32_e32 v2, v2, v50
	v_add_f32_e32 v3, v3, v10
	v_fmac_f32_e32 v52, v20, v41
	s_waitcnt vmcnt(2)
	v_fma_f32 v12, v21, v42, -v32
	v_add_f32_e32 v2, v2, v51
	v_add_f32_e32 v3, v3, v11
	v_fmac_f32_e32 v53, v22, v42
	v_add_f32_e32 v2, v2, v52
	v_add_f32_e32 v3, v3, v12
	;; [unrolled: 1-line block ×3, first 2 shown]
	s_waitcnt vmcnt(1)
	v_sub_f32_e32 v3, v43, v3
	s_waitcnt vmcnt(0)
	v_sub_f32_e32 v2, v44, v2
	buffer_store_dword v3, off, s[0:3], 0 offset:384
	buffer_store_dword v2, off, s[0:3], 0 offset:388
	s_and_saveexec_b64 s[4:5], vcc
	s_cbranch_execz .LBB58_273
; %bb.272:
	buffer_load_dword v2, off, s[0:3], 0 offset:376
	buffer_load_dword v3, off, s[0:3], 0 offset:380
	v_mov_b32_e32 v4, 0
	buffer_store_dword v4, off, s[0:3], 0 offset:376
	buffer_store_dword v4, off, s[0:3], 0 offset:380
	s_waitcnt vmcnt(2)
	ds_write_b64 v1, v[2:3]
.LBB58_273:
	s_or_b64 exec, exec, s[4:5]
	s_waitcnt lgkmcnt(0)
	; wave barrier
	buffer_load_dword v25, off, s[0:3], 0 offset:388
	buffer_load_dword v26, off, s[0:3], 0 offset:396
	;; [unrolled: 1-line block ×24, first 2 shown]
	v_mov_b32_e32 v2, 0
	ds_read_b128 v[3:6], v2 offset:864
	ds_read_b128 v[7:10], v2 offset:880
	;; [unrolled: 1-line block ×5, first 2 shown]
	ds_read_b64 v[23:24], v2 offset:944
	v_cmp_lt_u32_e32 vcc, 46, v0
	s_waitcnt vmcnt(23) lgkmcnt(5)
	v_mul_f32_e32 v49, v3, v25
	v_mul_f32_e32 v25, v4, v25
	s_waitcnt vmcnt(22)
	v_mul_f32_e32 v50, v5, v26
	v_mul_f32_e32 v26, v6, v26
	s_waitcnt vmcnt(21) lgkmcnt(4)
	v_mul_f32_e32 v51, v7, v27
	v_mul_f32_e32 v27, v8, v27
	s_waitcnt vmcnt(20)
	v_mul_f32_e32 v52, v9, v28
	s_waitcnt vmcnt(19) lgkmcnt(3)
	v_mul_f32_e32 v53, v11, v29
	v_mul_f32_e32 v28, v10, v28
	;; [unrolled: 1-line block ×3, first 2 shown]
	s_waitcnt vmcnt(18)
	v_mul_f32_e32 v54, v13, v30
	s_waitcnt vmcnt(12)
	v_fma_f32 v3, v3, v36, -v25
	v_fmac_f32_e32 v49, v4, v36
	s_waitcnt vmcnt(11)
	v_fma_f32 v4, v5, v37, -v26
	v_add_f32_e32 v3, 0, v3
	s_waitcnt vmcnt(10)
	v_fma_f32 v5, v7, v38, -v27
	v_add_f32_e32 v3, v3, v4
	v_fmac_f32_e32 v50, v6, v37
	s_waitcnt vmcnt(8)
	v_fmac_f32_e32 v53, v12, v40
	v_fma_f32 v6, v9, v39, -v28
	v_add_f32_e32 v12, 0, v49
	v_add_f32_e32 v3, v3, v5
	v_mul_f32_e32 v30, v14, v30
	v_fmac_f32_e32 v51, v8, v38
	v_fma_f32 v7, v11, v40, -v29
	v_add_f32_e32 v12, v12, v50
	v_add_f32_e32 v3, v3, v6
	s_waitcnt lgkmcnt(2)
	v_mul_f32_e32 v55, v15, v31
	v_mul_f32_e32 v31, v16, v31
	v_fmac_f32_e32 v52, v10, v39
	s_waitcnt vmcnt(7)
	v_fma_f32 v8, v13, v41, -v30
	v_add_f32_e32 v4, v12, v51
	v_add_f32_e32 v3, v3, v7
	v_mul_f32_e32 v142, v17, v32
	v_mul_f32_e32 v32, v18, v32
	s_waitcnt vmcnt(6)
	v_fma_f32 v9, v15, v42, -v31
	v_add_f32_e32 v4, v4, v52
	v_add_f32_e32 v3, v3, v8
	s_waitcnt lgkmcnt(1)
	v_mul_f32_e32 v143, v19, v33
	v_mul_f32_e32 v33, v20, v33
	v_fmac_f32_e32 v54, v14, v41
	s_waitcnt vmcnt(5)
	v_fma_f32 v10, v17, v43, -v32
	v_add_f32_e32 v4, v4, v53
	v_add_f32_e32 v3, v3, v9
	v_fmac_f32_e32 v55, v16, v42
	s_waitcnt vmcnt(4)
	v_fma_f32 v11, v19, v44, -v33
	v_add_f32_e32 v4, v4, v54
	v_add_f32_e32 v3, v3, v10
	v_mul_f32_e32 v5, v22, v34
	v_fmac_f32_e32 v142, v18, v43
	v_add_f32_e32 v4, v4, v55
	v_add_f32_e32 v3, v3, v11
	s_waitcnt vmcnt(3)
	v_fma_f32 v5, v21, v45, -v5
	v_mul_f32_e32 v144, v21, v34
	v_fmac_f32_e32 v143, v20, v44
	v_add_f32_e32 v4, v4, v142
	v_add_f32_e32 v3, v3, v5
	s_waitcnt lgkmcnt(0)
	v_mul_f32_e32 v5, v24, v35
	v_mul_f32_e32 v145, v23, v35
	v_fmac_f32_e32 v144, v22, v45
	v_add_f32_e32 v4, v4, v143
	s_waitcnt vmcnt(2)
	v_fma_f32 v5, v23, v46, -v5
	v_fmac_f32_e32 v145, v24, v46
	v_add_f32_e32 v4, v4, v144
	v_add_f32_e32 v3, v3, v5
	;; [unrolled: 1-line block ×3, first 2 shown]
	s_waitcnt vmcnt(1)
	v_sub_f32_e32 v3, v47, v3
	s_waitcnt vmcnt(0)
	v_sub_f32_e32 v4, v48, v4
	buffer_store_dword v3, off, s[0:3], 0 offset:376
	buffer_store_dword v4, off, s[0:3], 0 offset:380
	s_and_saveexec_b64 s[4:5], vcc
	s_cbranch_execz .LBB58_275
; %bb.274:
	buffer_load_dword v3, off, s[0:3], 0 offset:368
	buffer_load_dword v4, off, s[0:3], 0 offset:372
	s_waitcnt vmcnt(0)
	ds_write_b64 v1, v[3:4]
	buffer_store_dword v2, off, s[0:3], 0 offset:368
	buffer_store_dword v2, off, s[0:3], 0 offset:372
.LBB58_275:
	s_or_b64 exec, exec, s[4:5]
	s_waitcnt lgkmcnt(0)
	; wave barrier
	buffer_load_dword v23, off, s[0:3], 0 offset:380
	buffer_load_dword v24, off, s[0:3], 0 offset:388
	;; [unrolled: 1-line block ×26, first 2 shown]
	ds_read2_b64 v[3:6], v2 offset0:107 offset1:108
	ds_read2_b64 v[7:10], v2 offset0:109 offset1:110
	;; [unrolled: 1-line block ×6, first 2 shown]
	v_cmp_lt_u32_e32 vcc, 45, v0
	s_waitcnt vmcnt(25) lgkmcnt(5)
	v_mul_f32_e32 v2, v3, v23
	v_mul_f32_e32 v23, v4, v23
	s_waitcnt vmcnt(24)
	v_mul_f32_e32 v49, v5, v24
	v_mul_f32_e32 v24, v6, v24
	s_waitcnt vmcnt(23) lgkmcnt(4)
	v_mul_f32_e32 v50, v7, v25
	v_mul_f32_e32 v25, v8, v25
	s_waitcnt vmcnt(22)
	v_mul_f32_e32 v51, v9, v26
	v_mul_f32_e32 v26, v10, v26
	;; [unrolled: 6-line block ×3, first 2 shown]
	s_waitcnt vmcnt(13)
	v_fma_f32 v3, v3, v35, -v23
	v_fmac_f32_e32 v2, v4, v35
	s_waitcnt vmcnt(12)
	v_fma_f32 v4, v5, v36, -v24
	v_add_f32_e32 v3, 0, v3
	s_waitcnt vmcnt(11)
	v_fma_f32 v5, v7, v37, -v25
	v_add_f32_e32 v3, v3, v4
	v_fmac_f32_e32 v49, v6, v36
	s_waitcnt vmcnt(10)
	v_fma_f32 v6, v9, v38, -v26
	v_add_f32_e32 v3, v3, v5
	s_waitcnt vmcnt(9)
	v_fma_f32 v7, v11, v39, -v27
	v_add_f32_e32 v3, v3, v6
	s_waitcnt lgkmcnt(2)
	v_mul_f32_e32 v54, v15, v29
	v_mul_f32_e32 v29, v16, v29
	v_fmac_f32_e32 v50, v8, v37
	s_waitcnt vmcnt(8)
	v_fma_f32 v8, v13, v40, -v28
	v_add_f32_e32 v2, 0, v2
	v_add_f32_e32 v3, v3, v7
	v_mul_f32_e32 v55, v17, v30
	v_mul_f32_e32 v30, v18, v30
	s_waitcnt vmcnt(7)
	v_fma_f32 v9, v15, v41, -v29
	v_add_f32_e32 v2, v2, v49
	v_add_f32_e32 v3, v3, v8
	v_fmac_f32_e32 v51, v10, v38
	s_waitcnt vmcnt(6)
	v_fma_f32 v10, v17, v42, -v30
	v_add_f32_e32 v2, v2, v50
	v_add_f32_e32 v3, v3, v9
	s_waitcnt lgkmcnt(1)
	v_mul_f32_e32 v4, v20, v31
	v_fmac_f32_e32 v52, v12, v39
	v_add_f32_e32 v2, v2, v51
	v_add_f32_e32 v3, v3, v10
	s_waitcnt vmcnt(5)
	v_fma_f32 v4, v19, v43, -v4
	v_fmac_f32_e32 v53, v14, v40
	v_add_f32_e32 v2, v2, v52
	v_add_f32_e32 v3, v3, v4
	v_mul_f32_e32 v4, v22, v32
	v_fmac_f32_e32 v54, v16, v41
	v_add_f32_e32 v2, v2, v53
	s_waitcnt vmcnt(4)
	v_fma_f32 v4, v21, v44, -v4
	v_mul_f32_e32 v146, v19, v31
	v_fmac_f32_e32 v55, v18, v42
	v_add_f32_e32 v2, v2, v54
	v_add_f32_e32 v3, v3, v4
	s_waitcnt lgkmcnt(0)
	v_mul_f32_e32 v4, v143, v33
	v_mul_f32_e32 v147, v21, v32
	v_fmac_f32_e32 v146, v20, v43
	v_add_f32_e32 v2, v2, v55
	s_waitcnt vmcnt(3)
	v_fma_f32 v4, v142, v45, -v4
	v_mul_f32_e32 v148, v142, v33
	v_fmac_f32_e32 v147, v22, v44
	v_add_f32_e32 v2, v2, v146
	v_add_f32_e32 v3, v3, v4
	v_mul_f32_e32 v4, v145, v34
	v_mul_f32_e32 v149, v144, v34
	v_fmac_f32_e32 v148, v143, v45
	v_add_f32_e32 v2, v2, v147
	s_waitcnt vmcnt(2)
	v_fma_f32 v4, v144, v46, -v4
	v_fmac_f32_e32 v149, v145, v46
	v_add_f32_e32 v2, v2, v148
	v_add_f32_e32 v3, v3, v4
	;; [unrolled: 1-line block ×3, first 2 shown]
	s_waitcnt vmcnt(1)
	v_sub_f32_e32 v3, v47, v3
	s_waitcnt vmcnt(0)
	v_sub_f32_e32 v2, v48, v2
	buffer_store_dword v3, off, s[0:3], 0 offset:368
	buffer_store_dword v2, off, s[0:3], 0 offset:372
	s_and_saveexec_b64 s[4:5], vcc
	s_cbranch_execz .LBB58_277
; %bb.276:
	buffer_load_dword v2, off, s[0:3], 0 offset:360
	buffer_load_dword v3, off, s[0:3], 0 offset:364
	v_mov_b32_e32 v4, 0
	buffer_store_dword v4, off, s[0:3], 0 offset:360
	buffer_store_dword v4, off, s[0:3], 0 offset:364
	s_waitcnt vmcnt(2)
	ds_write_b64 v1, v[2:3]
.LBB58_277:
	s_or_b64 exec, exec, s[4:5]
	s_waitcnt lgkmcnt(0)
	; wave barrier
	buffer_load_dword v25, off, s[0:3], 0 offset:372
	buffer_load_dword v26, off, s[0:3], 0 offset:380
	;; [unrolled: 1-line block ×28, first 2 shown]
	v_mov_b32_e32 v2, 0
	ds_read_b128 v[3:6], v2 offset:848
	ds_read_b128 v[7:10], v2 offset:864
	;; [unrolled: 1-line block ×6, first 2 shown]
	ds_read_b64 v[23:24], v2 offset:944
	v_cmp_lt_u32_e32 vcc, 44, v0
	s_waitcnt vmcnt(27) lgkmcnt(6)
	v_mul_f32_e32 v53, v3, v25
	v_mul_f32_e32 v25, v4, v25
	s_waitcnt vmcnt(26)
	v_mul_f32_e32 v54, v5, v26
	v_mul_f32_e32 v26, v6, v26
	s_waitcnt vmcnt(25) lgkmcnt(5)
	v_mul_f32_e32 v55, v7, v27
	v_mul_f32_e32 v27, v8, v27
	s_waitcnt vmcnt(24)
	v_mul_f32_e32 v146, v9, v28
	v_mul_f32_e32 v28, v10, v28
	s_waitcnt vmcnt(23) lgkmcnt(4)
	v_mul_f32_e32 v147, v11, v29
	v_mul_f32_e32 v29, v12, v29
	s_waitcnt vmcnt(22)
	v_mul_f32_e32 v148, v13, v30
	v_mul_f32_e32 v30, v14, v30
	s_waitcnt vmcnt(21) lgkmcnt(3)
	v_mul_f32_e32 v149, v15, v31
	s_waitcnt vmcnt(14)
	v_fma_f32 v3, v3, v38, -v25
	v_fmac_f32_e32 v53, v4, v38
	s_waitcnt vmcnt(13)
	v_fma_f32 v4, v5, v39, -v26
	v_add_f32_e32 v3, 0, v3
	s_waitcnt vmcnt(12)
	v_fma_f32 v5, v7, v40, -v27
	v_add_f32_e32 v3, v3, v4
	v_fmac_f32_e32 v54, v6, v39
	s_waitcnt vmcnt(11)
	v_fma_f32 v6, v9, v41, -v28
	v_add_f32_e32 v3, v3, v5
	s_waitcnt vmcnt(10)
	v_fma_f32 v7, v11, v42, -v29
	v_add_f32_e32 v3, v3, v6
	v_fmac_f32_e32 v55, v8, v40
	s_waitcnt vmcnt(9)
	v_fma_f32 v8, v13, v43, -v30
	v_add_f32_e32 v3, v3, v7
	v_mul_f32_e32 v5, v16, v31
	v_add_f32_e32 v3, v3, v8
	s_waitcnt vmcnt(8)
	v_fma_f32 v5, v15, v44, -v5
	v_add_f32_e32 v3, v3, v5
	v_mul_f32_e32 v5, v18, v32
	v_add_f32_e32 v9, 0, v53
	s_waitcnt vmcnt(7)
	v_fma_f32 v5, v17, v45, -v5
	v_add_f32_e32 v9, v9, v54
	v_add_f32_e32 v3, v3, v5
	s_waitcnt lgkmcnt(2)
	v_mul_f32_e32 v5, v20, v33
	v_fmac_f32_e32 v146, v10, v41
	v_add_f32_e32 v4, v9, v55
	s_waitcnt vmcnt(6)
	v_fma_f32 v5, v19, v46, -v5
	v_fmac_f32_e32 v147, v12, v42
	v_add_f32_e32 v4, v4, v146
	v_add_f32_e32 v3, v3, v5
	v_mul_f32_e32 v5, v22, v34
	v_fmac_f32_e32 v148, v14, v43
	v_add_f32_e32 v4, v4, v147
	s_waitcnt vmcnt(5)
	v_fma_f32 v5, v21, v47, -v5
	v_mul_f32_e32 v150, v17, v32
	v_fmac_f32_e32 v149, v16, v44
	v_add_f32_e32 v4, v4, v148
	v_add_f32_e32 v3, v3, v5
	s_waitcnt lgkmcnt(1)
	v_mul_f32_e32 v5, v143, v35
	v_mul_f32_e32 v151, v19, v33
	v_fmac_f32_e32 v150, v18, v45
	v_add_f32_e32 v4, v4, v149
	s_waitcnt vmcnt(4)
	v_fma_f32 v5, v142, v48, -v5
	v_mul_f32_e32 v152, v21, v34
	v_fmac_f32_e32 v151, v20, v46
	v_add_f32_e32 v4, v4, v150
	v_add_f32_e32 v3, v3, v5
	v_mul_f32_e32 v5, v145, v36
	v_mul_f32_e32 v153, v142, v35
	v_fmac_f32_e32 v152, v22, v47
	v_add_f32_e32 v4, v4, v151
	s_waitcnt vmcnt(3)
	v_fma_f32 v5, v144, v49, -v5
	v_mul_f32_e32 v154, v144, v36
	v_fmac_f32_e32 v153, v143, v48
	v_add_f32_e32 v4, v4, v152
	v_add_f32_e32 v3, v3, v5
	s_waitcnt lgkmcnt(0)
	v_mul_f32_e32 v5, v24, v37
	v_mul_f32_e32 v155, v23, v37
	v_fmac_f32_e32 v154, v145, v49
	v_add_f32_e32 v4, v4, v153
	s_waitcnt vmcnt(2)
	v_fma_f32 v5, v23, v50, -v5
	v_fmac_f32_e32 v155, v24, v50
	v_add_f32_e32 v4, v4, v154
	v_add_f32_e32 v3, v3, v5
	;; [unrolled: 1-line block ×3, first 2 shown]
	s_waitcnt vmcnt(1)
	v_sub_f32_e32 v3, v51, v3
	s_waitcnt vmcnt(0)
	v_sub_f32_e32 v4, v52, v4
	buffer_store_dword v3, off, s[0:3], 0 offset:360
	buffer_store_dword v4, off, s[0:3], 0 offset:364
	s_and_saveexec_b64 s[4:5], vcc
	s_cbranch_execz .LBB58_279
; %bb.278:
	buffer_load_dword v3, off, s[0:3], 0 offset:352
	buffer_load_dword v4, off, s[0:3], 0 offset:356
	s_waitcnt vmcnt(0)
	ds_write_b64 v1, v[3:4]
	buffer_store_dword v2, off, s[0:3], 0 offset:352
	buffer_store_dword v2, off, s[0:3], 0 offset:356
.LBB58_279:
	s_or_b64 exec, exec, s[4:5]
	s_waitcnt lgkmcnt(0)
	; wave barrier
	buffer_load_dword v23, off, s[0:3], 0 offset:364
	buffer_load_dword v24, off, s[0:3], 0 offset:372
	;; [unrolled: 1-line block ×30, first 2 shown]
	ds_read2_b64 v[3:6], v2 offset0:105 offset1:106
	ds_read2_b64 v[7:10], v2 offset0:107 offset1:108
	;; [unrolled: 1-line block ×7, first 2 shown]
	v_cmp_lt_u32_e32 vcc, 43, v0
	s_waitcnt vmcnt(29) lgkmcnt(6)
	v_mul_f32_e32 v2, v3, v23
	v_mul_f32_e32 v23, v4, v23
	s_waitcnt vmcnt(28)
	v_mul_f32_e32 v53, v5, v24
	v_mul_f32_e32 v24, v6, v24
	s_waitcnt vmcnt(27) lgkmcnt(5)
	v_mul_f32_e32 v54, v7, v25
	v_mul_f32_e32 v25, v8, v25
	s_waitcnt vmcnt(26)
	v_mul_f32_e32 v55, v9, v26
	v_mul_f32_e32 v26, v10, v26
	s_waitcnt vmcnt(25) lgkmcnt(4)
	v_mul_f32_e32 v150, v11, v27
	v_mul_f32_e32 v27, v12, v27
	s_waitcnt vmcnt(24)
	v_mul_f32_e32 v151, v13, v28
	s_waitcnt vmcnt(23) lgkmcnt(3)
	v_mul_f32_e32 v152, v15, v29
	s_waitcnt vmcnt(22)
	v_mul_f32_e32 v153, v17, v30
	s_waitcnt vmcnt(21) lgkmcnt(2)
	v_mul_f32_e32 v154, v19, v31
	s_waitcnt vmcnt(15)
	v_fma_f32 v3, v3, v37, -v23
	v_fmac_f32_e32 v2, v4, v37
	s_waitcnt vmcnt(14)
	v_fma_f32 v4, v5, v38, -v24
	v_add_f32_e32 v3, 0, v3
	s_waitcnt vmcnt(13)
	v_fma_f32 v5, v7, v39, -v25
	v_add_f32_e32 v3, v3, v4
	v_fmac_f32_e32 v53, v6, v38
	s_waitcnt vmcnt(12)
	v_fma_f32 v6, v9, v40, -v26
	v_add_f32_e32 v3, v3, v5
	s_waitcnt vmcnt(11)
	v_fma_f32 v7, v11, v41, -v27
	v_add_f32_e32 v3, v3, v6
	v_mul_f32_e32 v4, v14, v28
	v_add_f32_e32 v3, v3, v7
	s_waitcnt vmcnt(10)
	v_fma_f32 v4, v13, v42, -v4
	v_add_f32_e32 v3, v3, v4
	v_mul_f32_e32 v4, v16, v29
	s_waitcnt vmcnt(9)
	v_fma_f32 v4, v15, v43, -v4
	v_add_f32_e32 v3, v3, v4
	v_mul_f32_e32 v4, v18, v30
	s_waitcnt vmcnt(8)
	v_fma_f32 v4, v17, v44, -v4
	v_add_f32_e32 v2, 0, v2
	v_add_f32_e32 v3, v3, v4
	v_mul_f32_e32 v4, v20, v31
	v_fmac_f32_e32 v54, v8, v39
	v_add_f32_e32 v2, v2, v53
	s_waitcnt vmcnt(7)
	v_fma_f32 v4, v19, v45, -v4
	v_fmac_f32_e32 v55, v10, v40
	v_add_f32_e32 v2, v2, v54
	v_add_f32_e32 v3, v3, v4
	v_mul_f32_e32 v4, v22, v32
	v_fmac_f32_e32 v150, v12, v41
	v_add_f32_e32 v2, v2, v55
	s_waitcnt vmcnt(6)
	v_fma_f32 v4, v21, v46, -v4
	v_fmac_f32_e32 v151, v14, v42
	v_add_f32_e32 v2, v2, v150
	v_add_f32_e32 v3, v3, v4
	s_waitcnt lgkmcnt(1)
	v_mul_f32_e32 v4, v143, v33
	v_fmac_f32_e32 v152, v16, v43
	v_add_f32_e32 v2, v2, v151
	s_waitcnt vmcnt(5)
	v_fma_f32 v4, v142, v47, -v4
	v_fmac_f32_e32 v153, v18, v44
	v_add_f32_e32 v2, v2, v152
	v_add_f32_e32 v3, v3, v4
	v_mul_f32_e32 v4, v145, v34
	v_mul_f32_e32 v155, v21, v32
	v_fmac_f32_e32 v154, v20, v45
	v_add_f32_e32 v2, v2, v153
	s_waitcnt vmcnt(4)
	v_fma_f32 v4, v144, v48, -v4
	v_mul_f32_e32 v156, v142, v33
	v_fmac_f32_e32 v155, v22, v46
	v_add_f32_e32 v2, v2, v154
	v_add_f32_e32 v3, v3, v4
	s_waitcnt lgkmcnt(0)
	v_mul_f32_e32 v4, v147, v35
	v_mul_f32_e32 v157, v144, v34
	v_fmac_f32_e32 v156, v143, v47
	v_add_f32_e32 v2, v2, v155
	s_waitcnt vmcnt(3)
	v_fma_f32 v4, v146, v49, -v4
	v_mul_f32_e32 v158, v146, v35
	v_fmac_f32_e32 v157, v145, v48
	v_add_f32_e32 v2, v2, v156
	v_add_f32_e32 v3, v3, v4
	v_mul_f32_e32 v4, v149, v36
	v_mul_f32_e32 v159, v148, v36
	v_fmac_f32_e32 v158, v147, v49
	v_add_f32_e32 v2, v2, v157
	s_waitcnt vmcnt(2)
	v_fma_f32 v4, v148, v50, -v4
	v_fmac_f32_e32 v159, v149, v50
	v_add_f32_e32 v2, v2, v158
	v_add_f32_e32 v3, v3, v4
	;; [unrolled: 1-line block ×3, first 2 shown]
	s_waitcnt vmcnt(1)
	v_sub_f32_e32 v3, v51, v3
	s_waitcnt vmcnt(0)
	v_sub_f32_e32 v2, v52, v2
	buffer_store_dword v3, off, s[0:3], 0 offset:352
	buffer_store_dword v2, off, s[0:3], 0 offset:356
	s_and_saveexec_b64 s[4:5], vcc
	s_cbranch_execz .LBB58_281
; %bb.280:
	buffer_load_dword v2, off, s[0:3], 0 offset:344
	buffer_load_dword v3, off, s[0:3], 0 offset:348
	v_mov_b32_e32 v4, 0
	buffer_store_dword v4, off, s[0:3], 0 offset:344
	buffer_store_dword v4, off, s[0:3], 0 offset:348
	s_waitcnt vmcnt(2)
	ds_write_b64 v1, v[2:3]
.LBB58_281:
	s_or_b64 exec, exec, s[4:5]
	s_waitcnt lgkmcnt(0)
	; wave barrier
	buffer_load_dword v25, off, s[0:3], 0 offset:356
	buffer_load_dword v26, off, s[0:3], 0 offset:364
	;; [unrolled: 1-line block ×32, first 2 shown]
	v_mov_b32_e32 v2, 0
	ds_read_b128 v[3:6], v2 offset:832
	ds_read_b128 v[7:10], v2 offset:848
	;; [unrolled: 1-line block ×7, first 2 shown]
	ds_read_b64 v[23:24], v2 offset:944
	v_cmp_lt_u32_e32 vcc, 42, v0
	s_waitcnt vmcnt(31) lgkmcnt(7)
	v_mul_f32_e32 v151, v3, v25
	v_mul_f32_e32 v25, v4, v25
	s_waitcnt vmcnt(30)
	v_mul_f32_e32 v152, v5, v26
	v_mul_f32_e32 v26, v6, v26
	s_waitcnt vmcnt(29) lgkmcnt(6)
	v_mul_f32_e32 v153, v7, v27
	v_mul_f32_e32 v27, v8, v27
	s_waitcnt vmcnt(28)
	v_mul_f32_e32 v154, v9, v28
	s_waitcnt vmcnt(27) lgkmcnt(5)
	v_mul_f32_e32 v155, v11, v29
	s_waitcnt vmcnt(26)
	v_mul_f32_e32 v156, v13, v30
	s_waitcnt vmcnt(25) lgkmcnt(4)
	;; [unrolled: 4-line block ×4, first 2 shown]
	v_mul_f32_e32 v161, v142, v35
	s_waitcnt vmcnt(20)
	v_mul_f32_e32 v162, v144, v36
	s_waitcnt vmcnt(16)
	v_fma_f32 v3, v3, v40, -v25
	v_fmac_f32_e32 v151, v4, v40
	s_waitcnt vmcnt(15)
	v_fma_f32 v4, v5, v41, -v26
	v_add_f32_e32 v3, 0, v3
	s_waitcnt vmcnt(14)
	v_fma_f32 v5, v7, v42, -v27
	v_add_f32_e32 v3, v3, v4
	v_add_f32_e32 v3, v3, v5
	v_mul_f32_e32 v5, v10, v28
	s_waitcnt vmcnt(13)
	v_fma_f32 v5, v9, v43, -v5
	v_add_f32_e32 v3, v3, v5
	v_mul_f32_e32 v5, v12, v29
	s_waitcnt vmcnt(12)
	v_fma_f32 v5, v11, v44, -v5
	;; [unrolled: 4-line block ×5, first 2 shown]
	v_add_f32_e32 v3, v3, v5
	v_mul_f32_e32 v5, v20, v33
	v_fmac_f32_e32 v152, v6, v41
	v_add_f32_e32 v6, 0, v151
	s_waitcnt vmcnt(8)
	v_fma_f32 v5, v19, v48, -v5
	v_fmac_f32_e32 v153, v8, v42
	v_add_f32_e32 v6, v6, v152
	v_add_f32_e32 v3, v3, v5
	v_mul_f32_e32 v5, v22, v34
	v_fmac_f32_e32 v154, v10, v43
	v_add_f32_e32 v4, v6, v153
	s_waitcnt vmcnt(7)
	v_fma_f32 v5, v21, v49, -v5
	v_fmac_f32_e32 v155, v12, v44
	v_add_f32_e32 v4, v4, v154
	;; [unrolled: 8-line block ×4, first 2 shown]
	v_add_f32_e32 v3, v3, v5
	s_waitcnt lgkmcnt(1)
	v_mul_f32_e32 v5, v147, v37
	v_fmac_f32_e32 v160, v22, v49
	v_add_f32_e32 v4, v4, v159
	s_waitcnt vmcnt(4)
	v_fma_f32 v5, v146, v52, -v5
	v_fmac_f32_e32 v161, v143, v50
	v_add_f32_e32 v4, v4, v160
	v_add_f32_e32 v3, v3, v5
	v_mul_f32_e32 v5, v149, v38
	v_mul_f32_e32 v163, v146, v37
	v_fmac_f32_e32 v162, v145, v51
	v_add_f32_e32 v4, v4, v161
	s_waitcnt vmcnt(3)
	v_fma_f32 v5, v148, v53, -v5
	v_mul_f32_e32 v164, v148, v38
	v_fmac_f32_e32 v163, v147, v52
	v_add_f32_e32 v4, v4, v162
	v_add_f32_e32 v3, v3, v5
	s_waitcnt lgkmcnt(0)
	v_mul_f32_e32 v5, v24, v39
	v_mul_f32_e32 v165, v23, v39
	v_fmac_f32_e32 v164, v149, v53
	v_add_f32_e32 v4, v4, v163
	s_waitcnt vmcnt(2)
	v_fma_f32 v5, v23, v54, -v5
	v_fmac_f32_e32 v165, v24, v54
	v_add_f32_e32 v4, v4, v164
	v_add_f32_e32 v3, v3, v5
	;; [unrolled: 1-line block ×3, first 2 shown]
	s_waitcnt vmcnt(1)
	v_sub_f32_e32 v3, v55, v3
	s_waitcnt vmcnt(0)
	v_sub_f32_e32 v4, v150, v4
	buffer_store_dword v3, off, s[0:3], 0 offset:344
	buffer_store_dword v4, off, s[0:3], 0 offset:348
	s_and_saveexec_b64 s[4:5], vcc
	s_cbranch_execz .LBB58_283
; %bb.282:
	buffer_load_dword v3, off, s[0:3], 0 offset:336
	buffer_load_dword v4, off, s[0:3], 0 offset:340
	s_waitcnt vmcnt(0)
	ds_write_b64 v1, v[3:4]
	buffer_store_dword v2, off, s[0:3], 0 offset:336
	buffer_store_dword v2, off, s[0:3], 0 offset:340
.LBB58_283:
	s_or_b64 exec, exec, s[4:5]
	s_waitcnt lgkmcnt(0)
	; wave barrier
	buffer_load_dword v23, off, s[0:3], 0 offset:348
	buffer_load_dword v24, off, s[0:3], 0 offset:356
	;; [unrolled: 1-line block ×34, first 2 shown]
	ds_read2_b64 v[3:6], v2 offset0:103 offset1:104
	ds_read2_b64 v[7:10], v2 offset0:105 offset1:106
	;; [unrolled: 1-line block ×8, first 2 shown]
	v_cmp_lt_u32_e32 vcc, 41, v0
	s_waitcnt vmcnt(33) lgkmcnt(7)
	v_mul_f32_e32 v2, v3, v23
	v_mul_f32_e32 v23, v4, v23
	s_waitcnt vmcnt(32)
	v_mul_f32_e32 v155, v5, v24
	v_mul_f32_e32 v24, v6, v24
	s_waitcnt vmcnt(31) lgkmcnt(6)
	v_mul_f32_e32 v156, v7, v25
	s_waitcnt vmcnt(30)
	v_mul_f32_e32 v157, v9, v26
	s_waitcnt vmcnt(29) lgkmcnt(5)
	v_mul_f32_e32 v158, v11, v27
	s_waitcnt vmcnt(28)
	;; [unrolled: 4-line block ×6, first 2 shown]
	v_mul_f32_e32 v167, v148, v36
	s_waitcnt vmcnt(17)
	v_fma_f32 v3, v3, v39, -v23
	v_fmac_f32_e32 v2, v4, v39
	s_waitcnt vmcnt(16)
	v_fma_f32 v4, v5, v40, -v24
	v_add_f32_e32 v3, 0, v3
	v_add_f32_e32 v3, v3, v4
	v_mul_f32_e32 v4, v8, v25
	s_waitcnt vmcnt(15)
	v_fma_f32 v4, v7, v41, -v4
	v_add_f32_e32 v3, v3, v4
	v_mul_f32_e32 v4, v10, v26
	s_waitcnt vmcnt(14)
	v_fma_f32 v4, v9, v42, -v4
	;; [unrolled: 4-line block ×7, first 2 shown]
	v_fmac_f32_e32 v155, v6, v40
	v_add_f32_e32 v2, 0, v2
	v_add_f32_e32 v3, v3, v4
	v_mul_f32_e32 v4, v22, v32
	v_fmac_f32_e32 v156, v8, v41
	v_add_f32_e32 v2, v2, v155
	s_waitcnt vmcnt(8)
	v_fma_f32 v4, v21, v48, -v4
	v_fmac_f32_e32 v157, v10, v42
	v_add_f32_e32 v2, v2, v156
	v_add_f32_e32 v3, v3, v4
	v_mul_f32_e32 v4, v143, v33
	v_fmac_f32_e32 v158, v12, v43
	v_add_f32_e32 v2, v2, v157
	s_waitcnt vmcnt(7)
	v_fma_f32 v4, v142, v49, -v4
	;; [unrolled: 8-line block ×5, first 2 shown]
	v_fmac_f32_e32 v165, v145, v50
	v_add_f32_e32 v2, v2, v164
	v_add_f32_e32 v3, v3, v4
	s_waitcnt lgkmcnt(0)
	v_mul_f32_e32 v4, v151, v37
	v_fmac_f32_e32 v166, v147, v51
	v_add_f32_e32 v2, v2, v165
	s_waitcnt vmcnt(3)
	v_fma_f32 v4, v150, v53, -v4
	v_mul_f32_e32 v168, v150, v37
	v_fmac_f32_e32 v167, v149, v52
	v_add_f32_e32 v2, v2, v166
	v_add_f32_e32 v3, v3, v4
	v_mul_f32_e32 v4, v153, v38
	v_mul_f32_e32 v169, v152, v38
	v_fmac_f32_e32 v168, v151, v53
	v_add_f32_e32 v2, v2, v167
	s_waitcnt vmcnt(2)
	v_fma_f32 v4, v152, v54, -v4
	v_fmac_f32_e32 v169, v153, v54
	v_add_f32_e32 v2, v2, v168
	v_add_f32_e32 v3, v3, v4
	;; [unrolled: 1-line block ×3, first 2 shown]
	s_waitcnt vmcnt(1)
	v_sub_f32_e32 v3, v55, v3
	s_waitcnt vmcnt(0)
	v_sub_f32_e32 v2, v154, v2
	buffer_store_dword v3, off, s[0:3], 0 offset:336
	buffer_store_dword v2, off, s[0:3], 0 offset:340
	s_and_saveexec_b64 s[4:5], vcc
	s_cbranch_execz .LBB58_285
; %bb.284:
	buffer_load_dword v2, off, s[0:3], 0 offset:328
	buffer_load_dword v3, off, s[0:3], 0 offset:332
	v_mov_b32_e32 v4, 0
	buffer_store_dword v4, off, s[0:3], 0 offset:328
	buffer_store_dword v4, off, s[0:3], 0 offset:332
	s_waitcnt vmcnt(2)
	ds_write_b64 v1, v[2:3]
.LBB58_285:
	s_or_b64 exec, exec, s[4:5]
	s_waitcnt lgkmcnt(0)
	; wave barrier
	buffer_load_dword v25, off, s[0:3], 0 offset:340
	buffer_load_dword v26, off, s[0:3], 0 offset:348
	;; [unrolled: 1-line block ×36, first 2 shown]
	v_mov_b32_e32 v2, 0
	ds_read_b128 v[3:6], v2 offset:816
	ds_read_b128 v[7:10], v2 offset:832
	;; [unrolled: 1-line block ×8, first 2 shown]
	ds_read_b64 v[23:24], v2 offset:944
	v_cmp_lt_u32_e32 vcc, 40, v0
	s_waitcnt vmcnt(35) lgkmcnt(8)
	v_mul_f32_e32 v159, v3, v25
	s_waitcnt vmcnt(34)
	v_mul_f32_e32 v160, v5, v26
	s_waitcnt vmcnt(33) lgkmcnt(7)
	v_mul_f32_e32 v161, v7, v27
	s_waitcnt vmcnt(32)
	v_mul_f32_e32 v162, v9, v28
	;; [unrolled: 4-line block ×8, first 2 shown]
	s_waitcnt vmcnt(19) lgkmcnt(0)
	v_mul_f32_e32 v175, v23, v41
	s_waitcnt vmcnt(18)
	v_fmac_f32_e32 v159, v4, v42
	v_mul_f32_e32 v4, v4, v25
	v_fma_f32 v3, v3, v42, -v4
	v_mul_f32_e32 v4, v6, v26
	v_add_f32_e32 v3, 0, v3
	s_waitcnt vmcnt(17)
	v_fma_f32 v4, v5, v43, -v4
	v_add_f32_e32 v3, v3, v4
	v_mul_f32_e32 v4, v8, v27
	s_waitcnt vmcnt(16)
	v_fma_f32 v4, v7, v44, -v4
	v_add_f32_e32 v3, v3, v4
	v_mul_f32_e32 v4, v10, v28
	;; [unrolled: 4-line block ×8, first 2 shown]
	v_fmac_f32_e32 v160, v6, v43
	v_add_f32_e32 v159, 0, v159
	s_waitcnt vmcnt(9)
	v_fma_f32 v4, v21, v51, -v4
	v_fmac_f32_e32 v161, v8, v44
	v_add_f32_e32 v159, v159, v160
	v_add_f32_e32 v3, v3, v4
	v_mul_f32_e32 v4, v143, v35
	v_fmac_f32_e32 v162, v10, v45
	v_add_f32_e32 v159, v159, v161
	s_waitcnt vmcnt(8)
	v_fma_f32 v4, v142, v52, -v4
	v_fmac_f32_e32 v163, v12, v46
	v_add_f32_e32 v159, v159, v162
	v_add_f32_e32 v3, v3, v4
	v_mul_f32_e32 v4, v145, v36
	v_fmac_f32_e32 v164, v14, v47
	v_add_f32_e32 v159, v159, v163
	s_waitcnt vmcnt(7)
	v_fma_f32 v4, v144, v53, -v4
	v_fmac_f32_e32 v165, v16, v48
	v_add_f32_e32 v159, v159, v164
	v_add_f32_e32 v3, v3, v4
	v_mul_f32_e32 v4, v147, v37
	v_fmac_f32_e32 v166, v18, v49
	v_add_f32_e32 v159, v159, v165
	s_waitcnt vmcnt(6)
	v_fma_f32 v4, v146, v54, -v4
	v_fmac_f32_e32 v167, v20, v50
	v_add_f32_e32 v159, v159, v166
	v_add_f32_e32 v3, v3, v4
	v_mul_f32_e32 v4, v149, v38
	v_fmac_f32_e32 v168, v22, v51
	v_add_f32_e32 v159, v159, v167
	s_waitcnt vmcnt(5)
	v_fma_f32 v4, v148, v55, -v4
	v_fmac_f32_e32 v169, v143, v52
	v_add_f32_e32 v159, v159, v168
	v_add_f32_e32 v3, v3, v4
	v_mul_f32_e32 v4, v151, v39
	v_fmac_f32_e32 v170, v145, v53
	v_add_f32_e32 v159, v159, v169
	s_waitcnt vmcnt(4)
	v_fma_f32 v4, v150, v154, -v4
	v_fmac_f32_e32 v171, v147, v54
	v_add_f32_e32 v159, v159, v170
	v_add_f32_e32 v3, v3, v4
	v_mul_f32_e32 v4, v153, v40
	v_fmac_f32_e32 v172, v149, v55
	v_add_f32_e32 v159, v159, v171
	s_waitcnt vmcnt(3)
	v_fma_f32 v4, v152, v155, -v4
	v_fmac_f32_e32 v173, v151, v154
	v_add_f32_e32 v159, v159, v172
	v_add_f32_e32 v3, v3, v4
	v_mul_f32_e32 v4, v24, v41
	v_fmac_f32_e32 v174, v153, v155
	v_add_f32_e32 v159, v159, v173
	s_waitcnt vmcnt(2)
	v_fma_f32 v4, v23, v156, -v4
	v_fmac_f32_e32 v175, v24, v156
	v_add_f32_e32 v159, v159, v174
	v_add_f32_e32 v3, v3, v4
	;; [unrolled: 1-line block ×3, first 2 shown]
	s_waitcnt vmcnt(1)
	v_sub_f32_e32 v3, v157, v3
	s_waitcnt vmcnt(0)
	v_sub_f32_e32 v4, v158, v159
	buffer_store_dword v3, off, s[0:3], 0 offset:328
	buffer_store_dword v4, off, s[0:3], 0 offset:332
	s_and_saveexec_b64 s[4:5], vcc
	s_cbranch_execz .LBB58_287
; %bb.286:
	buffer_load_dword v3, off, s[0:3], 0 offset:320
	buffer_load_dword v4, off, s[0:3], 0 offset:324
	s_waitcnt vmcnt(0)
	ds_write_b64 v1, v[3:4]
	buffer_store_dword v2, off, s[0:3], 0 offset:320
	buffer_store_dword v2, off, s[0:3], 0 offset:324
.LBB58_287:
	s_or_b64 exec, exec, s[4:5]
	s_waitcnt lgkmcnt(0)
	; wave barrier
	buffer_load_dword v23, off, s[0:3], 0 offset:332
	buffer_load_dword v24, off, s[0:3], 0 offset:340
	;; [unrolled: 1-line block ×38, first 2 shown]
	ds_read2_b64 v[3:6], v2 offset0:101 offset1:102
	ds_read2_b64 v[7:10], v2 offset0:103 offset1:104
	;; [unrolled: 1-line block ×9, first 2 shown]
	v_cmp_lt_u32_e32 vcc, 39, v0
	s_waitcnt vmcnt(37) lgkmcnt(8)
	v_mul_f32_e32 v2, v3, v23
	s_waitcnt vmcnt(36)
	v_mul_f32_e32 v163, v5, v24
	s_waitcnt vmcnt(35) lgkmcnt(7)
	v_mul_f32_e32 v164, v7, v25
	s_waitcnt vmcnt(34)
	v_mul_f32_e32 v165, v9, v26
	;; [unrolled: 4-line block ×8, first 2 shown]
	s_waitcnt vmcnt(21) lgkmcnt(0)
	v_mul_f32_e32 v178, v154, v39
	s_waitcnt vmcnt(20)
	v_fmac_f32_e32 v2, v4, v40
	v_mul_f32_e32 v4, v4, v23
	v_fma_f32 v3, v3, v40, -v4
	v_mul_f32_e32 v4, v6, v24
	v_add_f32_e32 v3, 0, v3
	s_waitcnt vmcnt(19)
	v_fma_f32 v4, v5, v41, -v4
	v_add_f32_e32 v3, v3, v4
	v_mul_f32_e32 v4, v8, v25
	s_waitcnt vmcnt(18)
	v_fma_f32 v4, v7, v42, -v4
	v_add_f32_e32 v3, v3, v4
	v_mul_f32_e32 v4, v10, v26
	;; [unrolled: 4-line block ×8, first 2 shown]
	s_waitcnt vmcnt(11)
	v_fma_f32 v4, v21, v49, -v4
	v_fmac_f32_e32 v163, v6, v41
	v_add_f32_e32 v2, 0, v2
	v_add_f32_e32 v3, v3, v4
	v_mul_f32_e32 v4, v143, v33
	v_fmac_f32_e32 v164, v8, v42
	v_add_f32_e32 v2, v2, v163
	s_waitcnt vmcnt(10)
	v_fma_f32 v4, v142, v50, -v4
	v_fmac_f32_e32 v165, v10, v43
	v_add_f32_e32 v2, v2, v164
	v_add_f32_e32 v3, v3, v4
	v_mul_f32_e32 v4, v145, v34
	v_fmac_f32_e32 v166, v12, v44
	v_add_f32_e32 v2, v2, v165
	;; [unrolled: 8-line block ×7, first 2 shown]
	s_waitcnt vmcnt(4)
	v_fma_f32 v4, v154, v158, -v4
	v_fmac_f32_e32 v177, v153, v55
	v_add_f32_e32 v2, v2, v176
	v_add_f32_e32 v3, v3, v4
	s_waitcnt vmcnt(3)
	v_mul_f32_e32 v4, v157, v159
	v_add_f32_e32 v2, v2, v177
	v_fmac_f32_e32 v178, v155, v158
	v_mul_f32_e32 v163, v156, v159
	s_waitcnt vmcnt(2)
	v_fma_f32 v4, v156, v160, -v4
	v_add_f32_e32 v2, v2, v178
	v_fmac_f32_e32 v163, v157, v160
	v_add_f32_e32 v3, v3, v4
	v_add_f32_e32 v2, v2, v163
	s_waitcnt vmcnt(1)
	v_sub_f32_e32 v3, v161, v3
	s_waitcnt vmcnt(0)
	v_sub_f32_e32 v2, v162, v2
	buffer_store_dword v3, off, s[0:3], 0 offset:320
	buffer_store_dword v2, off, s[0:3], 0 offset:324
	s_and_saveexec_b64 s[4:5], vcc
	s_cbranch_execz .LBB58_289
; %bb.288:
	buffer_load_dword v2, off, s[0:3], 0 offset:312
	buffer_load_dword v3, off, s[0:3], 0 offset:316
	v_mov_b32_e32 v4, 0
	buffer_store_dword v4, off, s[0:3], 0 offset:312
	buffer_store_dword v4, off, s[0:3], 0 offset:316
	s_waitcnt vmcnt(2)
	ds_write_b64 v1, v[2:3]
.LBB58_289:
	s_or_b64 exec, exec, s[4:5]
	s_waitcnt lgkmcnt(0)
	; wave barrier
	buffer_load_dword v25, off, s[0:3], 0 offset:324
	buffer_load_dword v26, off, s[0:3], 0 offset:332
	;; [unrolled: 1-line block ×40, first 2 shown]
	v_mov_b32_e32 v2, 0
	ds_read_b128 v[3:6], v2 offset:800
	ds_read_b128 v[7:10], v2 offset:816
	;; [unrolled: 1-line block ×9, first 2 shown]
	v_cmp_lt_u32_e32 vcc, 38, v0
	s_waitcnt vmcnt(39) lgkmcnt(8)
	v_mul_f32_e32 v23, v3, v25
	s_waitcnt vmcnt(38)
	v_mul_f32_e32 v24, v5, v26
	s_waitcnt vmcnt(37) lgkmcnt(7)
	v_mul_f32_e32 v167, v7, v27
	s_waitcnt vmcnt(36)
	v_mul_f32_e32 v168, v9, v28
	;; [unrolled: 4-line block ×7, first 2 shown]
	s_waitcnt vmcnt(25) lgkmcnt(1)
	v_mul_f32_e32 v179, v150, v39
	s_waitcnt vmcnt(24)
	v_fmac_f32_e32 v23, v4, v40
	v_mul_f32_e32 v4, v4, v25
	v_fma_f32 v3, v3, v40, -v4
	v_mul_f32_e32 v4, v6, v26
	v_add_f32_e32 v3, 0, v3
	s_waitcnt vmcnt(23)
	v_fma_f32 v4, v5, v41, -v4
	v_add_f32_e32 v3, v3, v4
	v_mul_f32_e32 v4, v8, v27
	s_waitcnt vmcnt(22)
	v_fma_f32 v4, v7, v42, -v4
	v_add_f32_e32 v3, v3, v4
	v_mul_f32_e32 v4, v10, v28
	;; [unrolled: 4-line block ×6, first 2 shown]
	s_waitcnt vmcnt(17)
	v_fma_f32 v4, v17, v47, -v4
	v_fmac_f32_e32 v24, v6, v41
	v_add_f32_e32 v23, 0, v23
	v_add_f32_e32 v3, v3, v4
	v_mul_f32_e32 v4, v20, v33
	v_fmac_f32_e32 v167, v8, v42
	v_add_f32_e32 v23, v23, v24
	s_waitcnt vmcnt(16)
	v_fma_f32 v4, v19, v48, -v4
	v_fmac_f32_e32 v168, v10, v43
	v_add_f32_e32 v23, v23, v167
	v_add_f32_e32 v3, v3, v4
	v_mul_f32_e32 v4, v22, v34
	v_fmac_f32_e32 v169, v12, v44
	v_add_f32_e32 v23, v23, v168
	;; [unrolled: 8-line block ×6, first 2 shown]
	s_waitcnt vmcnt(11)
	v_fma_f32 v4, v148, v53, -v4
	v_fmac_f32_e32 v178, v149, v53
	v_add_f32_e32 v23, v23, v177
	v_add_f32_e32 v3, v3, v4
	v_mul_f32_e32 v4, v151, v39
	s_waitcnt vmcnt(10)
	v_fmac_f32_e32 v179, v151, v54
	v_add_f32_e32 v23, v23, v178
	s_waitcnt vmcnt(9)
	v_mul_f32_e32 v24, v152, v55
	v_fma_f32 v4, v150, v54, -v4
	v_add_f32_e32 v23, v23, v179
	s_waitcnt vmcnt(8)
	v_fmac_f32_e32 v24, v153, v158
	v_add_f32_e32 v3, v3, v4
	v_mul_f32_e32 v4, v153, v55
	v_add_f32_e32 v167, v23, v24
	ds_read_b64 v[23:24], v2 offset:944
	v_fma_f32 v4, v152, v158, -v4
	v_add_f32_e32 v3, v3, v4
	s_waitcnt vmcnt(7) lgkmcnt(1)
	v_mul_f32_e32 v4, v155, v159
	v_mul_f32_e32 v168, v154, v159
	s_waitcnt vmcnt(6)
	v_fma_f32 v4, v154, v160, -v4
	v_fmac_f32_e32 v168, v155, v160
	v_add_f32_e32 v3, v3, v4
	s_waitcnt vmcnt(5)
	v_mul_f32_e32 v4, v157, v161
	v_add_f32_e32 v167, v167, v168
	v_mul_f32_e32 v168, v156, v161
	s_waitcnt vmcnt(4)
	v_fma_f32 v4, v156, v162, -v4
	v_fmac_f32_e32 v168, v157, v162
	v_add_f32_e32 v3, v3, v4
	s_waitcnt vmcnt(3) lgkmcnt(0)
	v_mul_f32_e32 v4, v24, v163
	v_add_f32_e32 v167, v167, v168
	v_mul_f32_e32 v168, v23, v163
	s_waitcnt vmcnt(2)
	v_fma_f32 v4, v23, v164, -v4
	v_fmac_f32_e32 v168, v24, v164
	v_add_f32_e32 v3, v3, v4
	v_add_f32_e32 v167, v167, v168
	s_waitcnt vmcnt(1)
	v_sub_f32_e32 v3, v165, v3
	s_waitcnt vmcnt(0)
	v_sub_f32_e32 v4, v166, v167
	buffer_store_dword v3, off, s[0:3], 0 offset:312
	buffer_store_dword v4, off, s[0:3], 0 offset:316
	s_and_saveexec_b64 s[4:5], vcc
	s_cbranch_execz .LBB58_291
; %bb.290:
	buffer_load_dword v3, off, s[0:3], 0 offset:304
	buffer_load_dword v4, off, s[0:3], 0 offset:308
	s_waitcnt vmcnt(0)
	ds_write_b64 v1, v[3:4]
	buffer_store_dword v2, off, s[0:3], 0 offset:304
	buffer_store_dword v2, off, s[0:3], 0 offset:308
.LBB58_291:
	s_or_b64 exec, exec, s[4:5]
	s_waitcnt lgkmcnt(0)
	; wave barrier
	buffer_load_dword v23, off, s[0:3], 0 offset:316
	buffer_load_dword v24, off, s[0:3], 0 offset:324
	;; [unrolled: 1-line block ×42, first 2 shown]
	ds_read2_b64 v[3:6], v2 offset0:99 offset1:100
	ds_read2_b64 v[7:10], v2 offset0:101 offset1:102
	;; [unrolled: 1-line block ×8, first 2 shown]
	v_cmp_lt_u32_e32 vcc, 37, v0
	s_waitcnt vmcnt(41) lgkmcnt(7)
	v_mul_f32_e32 v154, v3, v23
	s_waitcnt vmcnt(40)
	v_mul_f32_e32 v155, v5, v24
	s_waitcnt vmcnt(39) lgkmcnt(6)
	v_mul_f32_e32 v156, v7, v25
	s_waitcnt vmcnt(38)
	v_mul_f32_e32 v157, v9, v26
	;; [unrolled: 4-line block ×7, first 2 shown]
	s_waitcnt vmcnt(27) lgkmcnt(0)
	v_mul_f32_e32 v177, v150, v37
	s_waitcnt vmcnt(26)
	v_fmac_f32_e32 v154, v4, v38
	v_mul_f32_e32 v4, v4, v23
	v_fma_f32 v3, v3, v38, -v4
	v_mul_f32_e32 v4, v6, v24
	v_add_f32_e32 v3, 0, v3
	s_waitcnt vmcnt(25)
	v_fma_f32 v4, v5, v39, -v4
	v_add_f32_e32 v3, v3, v4
	v_mul_f32_e32 v4, v8, v25
	s_waitcnt vmcnt(24)
	v_fma_f32 v4, v7, v40, -v4
	v_add_f32_e32 v3, v3, v4
	v_mul_f32_e32 v4, v10, v26
	;; [unrolled: 4-line block ×5, first 2 shown]
	v_fmac_f32_e32 v155, v6, v39
	v_add_f32_e32 v154, 0, v154
	s_waitcnt vmcnt(20)
	v_fma_f32 v4, v15, v44, -v4
	v_fmac_f32_e32 v156, v8, v40
	v_add_f32_e32 v154, v154, v155
	v_add_f32_e32 v3, v3, v4
	v_mul_f32_e32 v4, v18, v30
	v_fmac_f32_e32 v157, v10, v41
	v_add_f32_e32 v154, v154, v156
	s_waitcnt vmcnt(19)
	v_fma_f32 v4, v17, v45, -v4
	v_fmac_f32_e32 v158, v12, v42
	v_add_f32_e32 v154, v154, v157
	v_add_f32_e32 v3, v3, v4
	v_mul_f32_e32 v4, v20, v31
	;; [unrolled: 8-line block ×5, first 2 shown]
	s_waitcnt vmcnt(15)
	v_fmac_f32_e32 v174, v145, v49
	v_add_f32_e32 v154, v154, v173
	v_fma_f32 v4, v144, v49, -v4
	s_waitcnt vmcnt(14)
	v_fmac_f32_e32 v175, v147, v50
	v_add_f32_e32 v154, v154, v174
	v_add_f32_e32 v3, v3, v4
	v_mul_f32_e32 v4, v147, v35
	s_waitcnt vmcnt(13)
	v_fmac_f32_e32 v176, v149, v51
	v_add_f32_e32 v154, v154, v175
	v_fma_f32 v4, v146, v50, -v4
	s_waitcnt vmcnt(12)
	v_fmac_f32_e32 v177, v151, v52
	v_add_f32_e32 v154, v154, v176
	v_add_f32_e32 v3, v3, v4
	v_mul_f32_e32 v4, v149, v36
	v_add_f32_e32 v158, v154, v177
	ds_read2_b64 v[154:157], v2 offset0:115 offset1:116
	v_fma_f32 v4, v148, v51, -v4
	v_add_f32_e32 v3, v3, v4
	v_mul_f32_e32 v4, v151, v37
	s_waitcnt vmcnt(11)
	v_mul_f32_e32 v159, v152, v53
	v_fma_f32 v4, v150, v52, -v4
	s_waitcnt vmcnt(10)
	v_fmac_f32_e32 v159, v153, v54
	v_add_f32_e32 v3, v3, v4
	v_mul_f32_e32 v4, v153, v53
	v_add_f32_e32 v171, v158, v159
	ds_read2_b64 v[158:161], v2 offset0:117 offset1:118
	v_fma_f32 v4, v152, v54, -v4
	v_add_f32_e32 v3, v3, v4
	s_waitcnt vmcnt(9) lgkmcnt(1)
	v_mul_f32_e32 v4, v155, v55
	v_mul_f32_e32 v2, v154, v55
	s_waitcnt vmcnt(8)
	v_fma_f32 v4, v154, v162, -v4
	v_fmac_f32_e32 v2, v155, v162
	v_add_f32_e32 v3, v3, v4
	s_waitcnt vmcnt(7)
	v_mul_f32_e32 v4, v157, v163
	v_add_f32_e32 v2, v171, v2
	v_mul_f32_e32 v171, v156, v163
	s_waitcnt vmcnt(6)
	v_fma_f32 v4, v156, v164, -v4
	v_fmac_f32_e32 v171, v157, v164
	v_add_f32_e32 v3, v3, v4
	s_waitcnt vmcnt(5) lgkmcnt(0)
	v_mul_f32_e32 v4, v159, v165
	v_add_f32_e32 v2, v2, v171
	v_mul_f32_e32 v171, v158, v165
	s_waitcnt vmcnt(4)
	v_fma_f32 v4, v158, v166, -v4
	v_fmac_f32_e32 v171, v159, v166
	v_add_f32_e32 v3, v3, v4
	s_waitcnt vmcnt(3)
	v_mul_f32_e32 v4, v161, v167
	v_add_f32_e32 v2, v2, v171
	v_mul_f32_e32 v171, v160, v167
	s_waitcnt vmcnt(2)
	v_fma_f32 v4, v160, v168, -v4
	v_fmac_f32_e32 v171, v161, v168
	v_add_f32_e32 v3, v3, v4
	v_add_f32_e32 v2, v2, v171
	s_waitcnt vmcnt(1)
	v_sub_f32_e32 v3, v169, v3
	s_waitcnt vmcnt(0)
	v_sub_f32_e32 v2, v170, v2
	buffer_store_dword v3, off, s[0:3], 0 offset:304
	buffer_store_dword v2, off, s[0:3], 0 offset:308
	s_and_saveexec_b64 s[4:5], vcc
	s_cbranch_execz .LBB58_293
; %bb.292:
	buffer_load_dword v2, off, s[0:3], 0 offset:296
	buffer_load_dword v3, off, s[0:3], 0 offset:300
	v_mov_b32_e32 v4, 0
	buffer_store_dword v4, off, s[0:3], 0 offset:296
	buffer_store_dword v4, off, s[0:3], 0 offset:300
	s_waitcnt vmcnt(2)
	ds_write_b64 v1, v[2:3]
.LBB58_293:
	s_or_b64 exec, exec, s[4:5]
	s_waitcnt lgkmcnt(0)
	; wave barrier
	buffer_load_dword v25, off, s[0:3], 0 offset:308
	buffer_load_dword v26, off, s[0:3], 0 offset:316
	;; [unrolled: 1-line block ×44, first 2 shown]
	v_mov_b32_e32 v2, 0
	ds_read_b128 v[3:6], v2 offset:784
	ds_read_b128 v[7:10], v2 offset:800
	;; [unrolled: 1-line block ×8, first 2 shown]
	v_cmp_lt_u32_e32 vcc, 36, v0
	s_waitcnt vmcnt(43) lgkmcnt(7)
	v_mul_f32_e32 v23, v3, v25
	s_waitcnt vmcnt(42)
	v_mul_f32_e32 v24, v5, v26
	s_waitcnt vmcnt(41) lgkmcnt(6)
	v_mul_f32_e32 v154, v7, v27
	s_waitcnt vmcnt(40)
	v_mul_f32_e32 v155, v9, v28
	;; [unrolled: 4-line block ×7, first 2 shown]
	s_waitcnt vmcnt(29)
	v_fmac_f32_e32 v23, v4, v39
	v_mul_f32_e32 v4, v4, v25
	v_fma_f32 v3, v3, v39, -v4
	v_mul_f32_e32 v4, v6, v26
	v_add_f32_e32 v3, 0, v3
	s_waitcnt vmcnt(28)
	v_fma_f32 v4, v5, v40, -v4
	v_add_f32_e32 v3, v3, v4
	v_mul_f32_e32 v4, v8, v27
	s_waitcnt vmcnt(27)
	v_fma_f32 v4, v7, v41, -v4
	v_add_f32_e32 v3, v3, v4
	v_mul_f32_e32 v4, v10, v28
	s_waitcnt vmcnt(26)
	v_fma_f32 v4, v9, v42, -v4
	v_add_f32_e32 v3, v3, v4
	v_mul_f32_e32 v4, v12, v29
	s_waitcnt vmcnt(25)
	v_fma_f32 v4, v11, v43, -v4
	v_add_f32_e32 v3, v3, v4
	v_mul_f32_e32 v4, v14, v30
	s_waitcnt vmcnt(24)
	v_fma_f32 v4, v13, v44, -v4
	v_add_f32_e32 v3, v3, v4
	v_mul_f32_e32 v4, v16, v31
	s_waitcnt vmcnt(23)
	v_fma_f32 v4, v15, v45, -v4
	v_add_f32_e32 v3, v3, v4
	v_mul_f32_e32 v4, v18, v32
	v_fmac_f32_e32 v24, v6, v40
	v_add_f32_e32 v23, 0, v23
	s_waitcnt vmcnt(22)
	v_fma_f32 v4, v17, v46, -v4
	v_fmac_f32_e32 v154, v8, v41
	v_add_f32_e32 v23, v23, v24
	v_add_f32_e32 v3, v3, v4
	v_mul_f32_e32 v4, v20, v33
	v_fmac_f32_e32 v155, v10, v42
	v_add_f32_e32 v23, v23, v154
	s_waitcnt vmcnt(21)
	v_fma_f32 v4, v19, v47, -v4
	v_fmac_f32_e32 v156, v12, v43
	v_add_f32_e32 v23, v23, v155
	v_add_f32_e32 v3, v3, v4
	v_mul_f32_e32 v4, v22, v34
	;; [unrolled: 8-line block ×5, first 2 shown]
	v_fmac_f32_e32 v176, v145, v50
	v_add_f32_e32 v23, v23, v175
	s_waitcnt vmcnt(17)
	v_fma_f32 v4, v146, v51, -v4
	v_fmac_f32_e32 v177, v147, v51
	v_add_f32_e32 v23, v23, v176
	ds_read_b128 v[154:157], v2 offset:912
	ds_read_b128 v[158:161], v2 offset:928
	v_add_f32_e32 v3, v3, v4
	v_mul_f32_e32 v4, v149, v38
	v_add_f32_e32 v23, v23, v177
	s_waitcnt vmcnt(16)
	v_fmac_f32_e32 v178, v149, v52
	s_waitcnt vmcnt(15) lgkmcnt(2)
	v_mul_f32_e32 v24, v150, v53
	v_fma_f32 v4, v148, v52, -v4
	v_add_f32_e32 v23, v23, v178
	s_waitcnt vmcnt(14)
	v_fmac_f32_e32 v24, v151, v54
	v_add_f32_e32 v3, v3, v4
	v_mul_f32_e32 v4, v151, v53
	v_add_f32_e32 v23, v23, v24
	s_waitcnt vmcnt(13)
	v_mul_f32_e32 v24, v152, v55
	v_fma_f32 v4, v150, v54, -v4
	s_waitcnt vmcnt(12)
	v_fmac_f32_e32 v24, v153, v162
	v_add_f32_e32 v3, v3, v4
	v_mul_f32_e32 v4, v153, v55
	v_add_f32_e32 v23, v23, v24
	s_waitcnt vmcnt(11) lgkmcnt(1)
	v_mul_f32_e32 v24, v154, v163
	v_fma_f32 v4, v152, v162, -v4
	s_waitcnt vmcnt(10)
	v_fmac_f32_e32 v24, v155, v164
	v_add_f32_e32 v3, v3, v4
	v_mul_f32_e32 v4, v155, v163
	v_add_f32_e32 v23, v23, v24
	s_waitcnt vmcnt(9)
	v_mul_f32_e32 v24, v156, v165
	v_fma_f32 v4, v154, v164, -v4
	s_waitcnt vmcnt(8)
	v_fmac_f32_e32 v24, v157, v166
	v_add_f32_e32 v3, v3, v4
	v_mul_f32_e32 v4, v157, v165
	v_add_f32_e32 v175, v23, v24
	ds_read_b64 v[23:24], v2 offset:944
	v_fma_f32 v4, v156, v166, -v4
	v_add_f32_e32 v3, v3, v4
	s_waitcnt vmcnt(7) lgkmcnt(1)
	v_mul_f32_e32 v4, v159, v167
	v_mul_f32_e32 v176, v158, v167
	s_waitcnt vmcnt(6)
	v_fma_f32 v4, v158, v168, -v4
	v_fmac_f32_e32 v176, v159, v168
	v_add_f32_e32 v3, v3, v4
	s_waitcnt vmcnt(5)
	v_mul_f32_e32 v4, v161, v169
	v_add_f32_e32 v175, v175, v176
	v_mul_f32_e32 v176, v160, v169
	s_waitcnt vmcnt(4)
	v_fma_f32 v4, v160, v170, -v4
	v_fmac_f32_e32 v176, v161, v170
	v_add_f32_e32 v3, v3, v4
	s_waitcnt vmcnt(3) lgkmcnt(0)
	v_mul_f32_e32 v4, v24, v171
	v_add_f32_e32 v175, v175, v176
	v_mul_f32_e32 v176, v23, v171
	s_waitcnt vmcnt(2)
	v_fma_f32 v4, v23, v172, -v4
	v_fmac_f32_e32 v176, v24, v172
	v_add_f32_e32 v3, v3, v4
	v_add_f32_e32 v175, v175, v176
	s_waitcnt vmcnt(1)
	v_sub_f32_e32 v3, v173, v3
	s_waitcnt vmcnt(0)
	v_sub_f32_e32 v4, v174, v175
	buffer_store_dword v3, off, s[0:3], 0 offset:296
	buffer_store_dword v4, off, s[0:3], 0 offset:300
	s_and_saveexec_b64 s[4:5], vcc
	s_cbranch_execz .LBB58_295
; %bb.294:
	buffer_load_dword v3, off, s[0:3], 0 offset:288
	buffer_load_dword v4, off, s[0:3], 0 offset:292
	s_waitcnt vmcnt(0)
	ds_write_b64 v1, v[3:4]
	buffer_store_dword v2, off, s[0:3], 0 offset:288
	buffer_store_dword v2, off, s[0:3], 0 offset:292
.LBB58_295:
	s_or_b64 exec, exec, s[4:5]
	s_waitcnt lgkmcnt(0)
	; wave barrier
	buffer_load_dword v23, off, s[0:3], 0 offset:300
	buffer_load_dword v24, off, s[0:3], 0 offset:308
	;; [unrolled: 1-line block ×46, first 2 shown]
	ds_read2_b64 v[3:6], v2 offset0:97 offset1:98
	ds_read2_b64 v[7:10], v2 offset0:99 offset1:100
	;; [unrolled: 1-line block ×8, first 2 shown]
	v_cmp_lt_u32_e32 vcc, 35, v0
	s_waitcnt vmcnt(45) lgkmcnt(7)
	v_mul_f32_e32 v154, v3, v23
	s_waitcnt vmcnt(44)
	v_mul_f32_e32 v155, v5, v24
	s_waitcnt vmcnt(43) lgkmcnt(6)
	v_mul_f32_e32 v156, v7, v25
	s_waitcnt vmcnt(42)
	v_mul_f32_e32 v157, v9, v26
	;; [unrolled: 4-line block ×6, first 2 shown]
	s_waitcnt vmcnt(33) lgkmcnt(1)
	v_mul_f32_e32 v179, v146, v35
	s_waitcnt vmcnt(32)
	v_fmac_f32_e32 v154, v4, v36
	v_mul_f32_e32 v4, v4, v23
	v_fma_f32 v3, v3, v36, -v4
	v_mul_f32_e32 v4, v6, v24
	v_add_f32_e32 v3, 0, v3
	s_waitcnt vmcnt(31)
	v_fma_f32 v4, v5, v37, -v4
	v_add_f32_e32 v3, v3, v4
	v_mul_f32_e32 v4, v8, v25
	s_waitcnt vmcnt(30)
	v_fma_f32 v4, v7, v38, -v4
	v_add_f32_e32 v3, v3, v4
	v_mul_f32_e32 v4, v10, v26
	s_waitcnt vmcnt(29)
	v_fma_f32 v4, v9, v39, -v4
	v_add_f32_e32 v3, v3, v4
	v_mul_f32_e32 v4, v12, v27
	s_waitcnt vmcnt(28)
	v_fma_f32 v4, v11, v40, -v4
	v_add_f32_e32 v3, v3, v4
	v_mul_f32_e32 v4, v14, v28
	v_fmac_f32_e32 v155, v6, v37
	v_add_f32_e32 v154, 0, v154
	s_waitcnt vmcnt(27)
	v_fma_f32 v4, v13, v41, -v4
	v_fmac_f32_e32 v156, v8, v38
	v_add_f32_e32 v154, v154, v155
	v_add_f32_e32 v3, v3, v4
	v_mul_f32_e32 v4, v16, v29
	v_fmac_f32_e32 v157, v10, v39
	v_add_f32_e32 v154, v154, v156
	s_waitcnt vmcnt(26)
	v_fma_f32 v4, v15, v42, -v4
	v_fmac_f32_e32 v158, v12, v40
	v_add_f32_e32 v154, v154, v157
	v_add_f32_e32 v3, v3, v4
	v_mul_f32_e32 v4, v18, v30
	;; [unrolled: 8-line block ×4, first 2 shown]
	s_waitcnt vmcnt(23)
	v_fmac_f32_e32 v163, v22, v45
	v_add_f32_e32 v154, v154, v162
	v_fma_f32 v4, v21, v45, -v4
	s_waitcnt vmcnt(22)
	v_fmac_f32_e32 v164, v143, v46
	v_add_f32_e32 v154, v154, v163
	v_add_f32_e32 v3, v3, v4
	v_mul_f32_e32 v4, v143, v33
	s_waitcnt vmcnt(21)
	v_fmac_f32_e32 v165, v145, v47
	v_add_f32_e32 v154, v154, v164
	v_fma_f32 v4, v142, v46, -v4
	s_waitcnt vmcnt(20)
	v_fmac_f32_e32 v179, v147, v48
	v_add_f32_e32 v154, v154, v165
	s_waitcnt vmcnt(19)
	v_mul_f32_e32 v155, v148, v49
	v_add_f32_e32 v3, v3, v4
	v_mul_f32_e32 v4, v145, v34
	v_add_f32_e32 v154, v154, v179
	s_waitcnt vmcnt(18)
	v_fmac_f32_e32 v155, v149, v50
	v_fma_f32 v4, v144, v47, -v4
	v_add_f32_e32 v154, v154, v155
	s_waitcnt vmcnt(17) lgkmcnt(0)
	v_mul_f32_e32 v155, v150, v51
	v_add_f32_e32 v3, v3, v4
	v_mul_f32_e32 v4, v147, v35
	s_waitcnt vmcnt(16)
	v_fmac_f32_e32 v155, v151, v52
	v_fma_f32 v4, v146, v48, -v4
	v_add_f32_e32 v158, v154, v155
	ds_read2_b64 v[154:157], v2 offset0:113 offset1:114
	v_add_f32_e32 v3, v3, v4
	v_mul_f32_e32 v4, v149, v49
	v_fma_f32 v4, v148, v50, -v4
	v_add_f32_e32 v3, v3, v4
	v_mul_f32_e32 v4, v151, v51
	s_waitcnt vmcnt(15)
	v_mul_f32_e32 v159, v152, v53
	v_fma_f32 v4, v150, v52, -v4
	s_waitcnt vmcnt(14)
	v_fmac_f32_e32 v159, v153, v54
	v_add_f32_e32 v3, v3, v4
	v_mul_f32_e32 v4, v153, v53
	v_add_f32_e32 v162, v158, v159
	ds_read2_b64 v[158:161], v2 offset0:115 offset1:116
	s_waitcnt vmcnt(13) lgkmcnt(1)
	v_mul_f32_e32 v163, v154, v55
	v_fma_f32 v4, v152, v54, -v4
	s_waitcnt vmcnt(12)
	v_fmac_f32_e32 v163, v155, v166
	v_add_f32_e32 v3, v3, v4
	v_mul_f32_e32 v4, v155, v55
	v_add_f32_e32 v162, v162, v163
	s_waitcnt vmcnt(11)
	v_mul_f32_e32 v163, v156, v167
	v_fma_f32 v4, v154, v166, -v4
	s_waitcnt vmcnt(10)
	v_fmac_f32_e32 v163, v157, v168
	v_add_f32_e32 v3, v3, v4
	v_mul_f32_e32 v4, v157, v167
	v_add_f32_e32 v179, v162, v163
	ds_read2_b64 v[162:165], v2 offset0:117 offset1:118
	v_fma_f32 v4, v156, v168, -v4
	v_add_f32_e32 v3, v3, v4
	s_waitcnt vmcnt(9) lgkmcnt(1)
	v_mul_f32_e32 v4, v159, v169
	v_mul_f32_e32 v180, v158, v169
	s_waitcnt vmcnt(8)
	v_fma_f32 v4, v158, v170, -v4
	v_fmac_f32_e32 v180, v159, v170
	v_add_f32_e32 v3, v3, v4
	s_waitcnt vmcnt(7)
	v_mul_f32_e32 v4, v161, v171
	v_add_f32_e32 v2, v179, v180
	v_mul_f32_e32 v179, v160, v171
	s_waitcnt vmcnt(6)
	v_fma_f32 v4, v160, v172, -v4
	v_fmac_f32_e32 v179, v161, v172
	v_add_f32_e32 v3, v3, v4
	s_waitcnt vmcnt(5) lgkmcnt(0)
	v_mul_f32_e32 v4, v163, v173
	v_add_f32_e32 v2, v2, v179
	v_mul_f32_e32 v179, v162, v173
	s_waitcnt vmcnt(4)
	v_fma_f32 v4, v162, v174, -v4
	v_fmac_f32_e32 v179, v163, v174
	v_add_f32_e32 v3, v3, v4
	s_waitcnt vmcnt(3)
	v_mul_f32_e32 v4, v165, v175
	v_add_f32_e32 v2, v2, v179
	v_mul_f32_e32 v179, v164, v175
	s_waitcnt vmcnt(2)
	v_fma_f32 v4, v164, v176, -v4
	v_fmac_f32_e32 v179, v165, v176
	v_add_f32_e32 v3, v3, v4
	v_add_f32_e32 v2, v2, v179
	s_waitcnt vmcnt(1)
	v_sub_f32_e32 v3, v177, v3
	s_waitcnt vmcnt(0)
	v_sub_f32_e32 v2, v178, v2
	buffer_store_dword v3, off, s[0:3], 0 offset:288
	buffer_store_dword v2, off, s[0:3], 0 offset:292
	s_and_saveexec_b64 s[4:5], vcc
	s_cbranch_execz .LBB58_297
; %bb.296:
	buffer_load_dword v2, off, s[0:3], 0 offset:280
	buffer_load_dword v3, off, s[0:3], 0 offset:284
	v_mov_b32_e32 v4, 0
	buffer_store_dword v4, off, s[0:3], 0 offset:280
	buffer_store_dword v4, off, s[0:3], 0 offset:284
	s_waitcnt vmcnt(2)
	ds_write_b64 v1, v[2:3]
.LBB58_297:
	s_or_b64 exec, exec, s[4:5]
	s_waitcnt lgkmcnt(0)
	; wave barrier
	buffer_load_dword v25, off, s[0:3], 0 offset:292
	buffer_load_dword v26, off, s[0:3], 0 offset:300
	;; [unrolled: 1-line block ×48, first 2 shown]
	v_mov_b32_e32 v2, 0
	ds_read_b128 v[3:6], v2 offset:768
	ds_read_b128 v[7:10], v2 offset:784
	;; [unrolled: 1-line block ×7, first 2 shown]
	v_cmp_lt_u32_e32 vcc, 34, v0
	ds_read_b128 v[162:165], v2 offset:928
	s_waitcnt vmcnt(47) lgkmcnt(7)
	v_mul_f32_e32 v23, v3, v25
	s_waitcnt vmcnt(46)
	v_mul_f32_e32 v24, v5, v26
	s_waitcnt vmcnt(45) lgkmcnt(6)
	v_mul_f32_e32 v150, v7, v27
	s_waitcnt vmcnt(44)
	v_mul_f32_e32 v151, v9, v28
	;; [unrolled: 4-line block ×6, first 2 shown]
	s_waitcnt vmcnt(35)
	v_fmac_f32_e32 v23, v4, v37
	v_mul_f32_e32 v4, v4, v25
	v_fma_f32 v3, v3, v37, -v4
	v_mul_f32_e32 v4, v6, v26
	v_add_f32_e32 v3, 0, v3
	s_waitcnt vmcnt(34)
	v_fma_f32 v4, v5, v38, -v4
	v_add_f32_e32 v3, v3, v4
	v_mul_f32_e32 v4, v8, v27
	s_waitcnt vmcnt(33)
	v_fma_f32 v4, v7, v39, -v4
	v_add_f32_e32 v3, v3, v4
	v_mul_f32_e32 v4, v10, v28
	;; [unrolled: 4-line block ×5, first 2 shown]
	v_fmac_f32_e32 v24, v6, v38
	v_add_f32_e32 v23, 0, v23
	s_waitcnt vmcnt(29)
	v_fma_f32 v4, v15, v43, -v4
	v_fmac_f32_e32 v150, v8, v39
	v_add_f32_e32 v23, v23, v24
	v_add_f32_e32 v3, v3, v4
	v_mul_f32_e32 v4, v18, v32
	v_fmac_f32_e32 v151, v10, v40
	v_add_f32_e32 v23, v23, v150
	s_waitcnt vmcnt(28)
	v_fma_f32 v4, v17, v44, -v4
	v_fmac_f32_e32 v152, v12, v41
	v_add_f32_e32 v23, v23, v151
	v_add_f32_e32 v3, v3, v4
	v_mul_f32_e32 v4, v20, v33
	;; [unrolled: 8-line block ×4, first 2 shown]
	v_fmac_f32_e32 v157, v22, v46
	v_add_f32_e32 v23, v23, v156
	s_waitcnt vmcnt(25)
	v_fma_f32 v4, v142, v47, -v4
	v_fmac_f32_e32 v158, v143, v47
	v_add_f32_e32 v23, v23, v157
	ds_read_b128 v[150:153], v2 offset:880
	ds_read_b128 v[154:157], v2 offset:896
	v_add_f32_e32 v3, v3, v4
	v_mul_f32_e32 v4, v145, v36
	s_waitcnt vmcnt(24)
	v_fmac_f32_e32 v159, v145, v48
	v_add_f32_e32 v23, v23, v158
	s_waitcnt vmcnt(23) lgkmcnt(3)
	v_mul_f32_e32 v24, v146, v49
	v_fma_f32 v4, v144, v48, -v4
	v_add_f32_e32 v23, v23, v159
	s_waitcnt vmcnt(22)
	v_fmac_f32_e32 v24, v147, v50
	v_add_f32_e32 v3, v3, v4
	v_mul_f32_e32 v4, v147, v49
	v_add_f32_e32 v23, v23, v24
	s_waitcnt vmcnt(21)
	v_mul_f32_e32 v24, v148, v51
	v_fma_f32 v4, v146, v50, -v4
	s_waitcnt vmcnt(20)
	v_fmac_f32_e32 v24, v149, v52
	v_add_f32_e32 v3, v3, v4
	v_mul_f32_e32 v4, v149, v51
	v_add_f32_e32 v23, v23, v24
	s_waitcnt vmcnt(19) lgkmcnt(1)
	v_mul_f32_e32 v24, v150, v53
	v_fma_f32 v4, v148, v52, -v4
	s_waitcnt vmcnt(18)
	v_fmac_f32_e32 v24, v151, v54
	v_add_f32_e32 v3, v3, v4
	v_mul_f32_e32 v4, v151, v53
	v_add_f32_e32 v23, v23, v24
	s_waitcnt vmcnt(17)
	v_mul_f32_e32 v24, v152, v55
	v_fma_f32 v4, v150, v54, -v4
	s_waitcnt vmcnt(16)
	v_fmac_f32_e32 v24, v153, v166
	ds_read_b128 v[158:161], v2 offset:912
	v_add_f32_e32 v3, v3, v4
	v_mul_f32_e32 v4, v153, v55
	v_add_f32_e32 v23, v23, v24
	s_waitcnt vmcnt(15) lgkmcnt(1)
	v_mul_f32_e32 v24, v154, v167
	v_fma_f32 v4, v152, v166, -v4
	s_waitcnt vmcnt(14)
	v_fmac_f32_e32 v24, v155, v168
	v_add_f32_e32 v3, v3, v4
	v_mul_f32_e32 v4, v155, v167
	v_add_f32_e32 v23, v23, v24
	s_waitcnt vmcnt(13)
	v_mul_f32_e32 v24, v156, v169
	v_fma_f32 v4, v154, v168, -v4
	s_waitcnt vmcnt(12)
	v_fmac_f32_e32 v24, v157, v170
	v_add_f32_e32 v3, v3, v4
	v_mul_f32_e32 v4, v157, v169
	v_add_f32_e32 v23, v23, v24
	s_waitcnt vmcnt(11) lgkmcnt(0)
	v_mul_f32_e32 v24, v158, v171
	v_fma_f32 v4, v156, v170, -v4
	s_waitcnt vmcnt(10)
	v_fmac_f32_e32 v24, v159, v172
	v_add_f32_e32 v3, v3, v4
	v_mul_f32_e32 v4, v159, v171
	v_add_f32_e32 v23, v23, v24
	s_waitcnt vmcnt(9)
	v_mul_f32_e32 v24, v160, v173
	v_fma_f32 v4, v158, v172, -v4
	s_waitcnt vmcnt(8)
	v_fmac_f32_e32 v24, v161, v174
	v_add_f32_e32 v3, v3, v4
	v_mul_f32_e32 v4, v161, v173
	v_add_f32_e32 v183, v23, v24
	ds_read_b64 v[23:24], v2 offset:944
	v_fma_f32 v4, v160, v174, -v4
	v_add_f32_e32 v3, v3, v4
	s_waitcnt vmcnt(6)
	v_mul_f32_e32 v4, v163, v176
	v_mul_f32_e32 v184, v162, v176
	v_fma_f32 v4, v162, v175, -v4
	v_fmac_f32_e32 v184, v163, v175
	v_add_f32_e32 v3, v3, v4
	s_waitcnt vmcnt(3)
	v_mul_f32_e32 v4, v165, v179
	v_add_f32_e32 v183, v183, v184
	v_mul_f32_e32 v184, v164, v179
	s_waitcnt vmcnt(2)
	v_fma_f32 v4, v164, v180, -v4
	v_fmac_f32_e32 v184, v165, v180
	v_add_f32_e32 v3, v3, v4
	s_waitcnt vmcnt(0) lgkmcnt(0)
	v_mul_f32_e32 v4, v24, v182
	v_add_f32_e32 v183, v183, v184
	v_mul_f32_e32 v184, v23, v182
	v_fma_f32 v4, v23, v181, -v4
	v_fmac_f32_e32 v184, v24, v181
	v_add_f32_e32 v3, v3, v4
	v_add_f32_e32 v183, v183, v184
	v_sub_f32_e32 v3, v177, v3
	v_sub_f32_e32 v4, v178, v183
	buffer_store_dword v3, off, s[0:3], 0 offset:280
	buffer_store_dword v4, off, s[0:3], 0 offset:284
	s_and_saveexec_b64 s[4:5], vcc
	s_cbranch_execz .LBB58_299
; %bb.298:
	buffer_load_dword v3, off, s[0:3], 0 offset:272
	buffer_load_dword v4, off, s[0:3], 0 offset:276
	s_waitcnt vmcnt(0)
	ds_write_b64 v1, v[3:4]
	buffer_store_dword v2, off, s[0:3], 0 offset:272
	buffer_store_dword v2, off, s[0:3], 0 offset:276
.LBB58_299:
	s_or_b64 exec, exec, s[4:5]
	s_waitcnt lgkmcnt(0)
	; wave barrier
	buffer_load_dword v23, off, s[0:3], 0 offset:284
	buffer_load_dword v24, off, s[0:3], 0 offset:292
	;; [unrolled: 1-line block ×48, first 2 shown]
	ds_read2_b64 v[3:6], v2 offset0:95 offset1:96
	ds_read2_b64 v[7:10], v2 offset0:97 offset1:98
	buffer_load_dword v185, off, s[0:3], 0 offset:464
	buffer_load_dword v186, off, s[0:3], 0 offset:468
	ds_read2_b64 v[11:14], v2 offset0:99 offset1:100
	ds_read2_b64 v[15:18], v2 offset0:101 offset1:102
	;; [unrolled: 1-line block ×5, first 2 shown]
	v_cmp_lt_u32_e32 vcc, 33, v0
	s_waitcnt vmcnt(49) lgkmcnt(6)
	v_mul_f32_e32 v150, v3, v23
	s_waitcnt vmcnt(48)
	v_mul_f32_e32 v151, v5, v24
	s_waitcnt vmcnt(47) lgkmcnt(5)
	v_mul_f32_e32 v152, v7, v25
	s_waitcnt vmcnt(46)
	v_mul_f32_e32 v153, v9, v26
	s_waitcnt vmcnt(45) lgkmcnt(4)
	v_mul_f32_e32 v154, v11, v27
	s_waitcnt vmcnt(44)
	v_mul_f32_e32 v155, v13, v28
	s_waitcnt vmcnt(43) lgkmcnt(3)
	v_mul_f32_e32 v156, v15, v29
	s_waitcnt vmcnt(42)
	v_mul_f32_e32 v157, v17, v30
	s_waitcnt vmcnt(41) lgkmcnt(2)
	v_mul_f32_e32 v158, v19, v31
	s_waitcnt vmcnt(40)
	v_mul_f32_e32 v159, v21, v32
	s_waitcnt vmcnt(39) lgkmcnt(1)
	v_mul_f32_e32 v160, v142, v33
	s_waitcnt vmcnt(38)
	v_mul_f32_e32 v161, v144, v34
	s_waitcnt vmcnt(37)
	v_fmac_f32_e32 v150, v4, v35
	v_mul_f32_e32 v4, v4, v23
	v_fma_f32 v3, v3, v35, -v4
	v_mul_f32_e32 v4, v6, v24
	v_add_f32_e32 v3, 0, v3
	s_waitcnt vmcnt(36)
	v_fma_f32 v4, v5, v36, -v4
	v_add_f32_e32 v3, v3, v4
	v_mul_f32_e32 v4, v8, v25
	s_waitcnt vmcnt(35)
	v_fma_f32 v4, v7, v37, -v4
	v_fmac_f32_e32 v151, v6, v36
	v_add_f32_e32 v150, 0, v150
	v_add_f32_e32 v3, v3, v4
	v_mul_f32_e32 v4, v10, v26
	v_fmac_f32_e32 v152, v8, v37
	v_add_f32_e32 v150, v150, v151
	s_waitcnt vmcnt(34)
	v_fma_f32 v4, v9, v38, -v4
	v_fmac_f32_e32 v153, v10, v38
	v_add_f32_e32 v150, v150, v152
	v_add_f32_e32 v3, v3, v4
	v_mul_f32_e32 v4, v12, v27
	s_waitcnt vmcnt(33)
	v_fmac_f32_e32 v154, v12, v39
	v_add_f32_e32 v150, v150, v153
	v_fma_f32 v4, v11, v39, -v4
	s_waitcnt vmcnt(32)
	v_fmac_f32_e32 v155, v14, v40
	v_add_f32_e32 v150, v150, v154
	v_add_f32_e32 v3, v3, v4
	v_mul_f32_e32 v4, v14, v28
	s_waitcnt vmcnt(31)
	v_fmac_f32_e32 v156, v16, v41
	v_add_f32_e32 v150, v150, v155
	v_fma_f32 v4, v13, v40, -v4
	s_waitcnt vmcnt(30)
	;; [unrolled: 9-line block ×3, first 2 shown]
	v_fmac_f32_e32 v159, v22, v44
	v_add_f32_e32 v150, v150, v158
	v_add_f32_e32 v3, v3, v4
	v_mul_f32_e32 v4, v18, v30
	s_waitcnt vmcnt(27)
	v_fmac_f32_e32 v160, v143, v45
	v_add_f32_e32 v150, v150, v159
	v_fma_f32 v4, v17, v42, -v4
	v_add_f32_e32 v150, v150, v160
	s_waitcnt vmcnt(26)
	v_fmac_f32_e32 v161, v145, v46
	v_add_f32_e32 v3, v3, v4
	v_mul_f32_e32 v4, v20, v31
	v_add_f32_e32 v154, v150, v161
	ds_read2_b64 v[150:153], v2 offset0:109 offset1:110
	v_fma_f32 v4, v19, v43, -v4
	s_waitcnt vmcnt(25) lgkmcnt(1)
	v_mul_f32_e32 v155, v146, v47
	v_add_f32_e32 v3, v3, v4
	v_mul_f32_e32 v4, v22, v32
	s_waitcnt vmcnt(24)
	v_fmac_f32_e32 v155, v147, v48
	v_fma_f32 v4, v21, v44, -v4
	v_add_f32_e32 v154, v154, v155
	s_waitcnt vmcnt(23)
	v_mul_f32_e32 v155, v148, v49
	v_add_f32_e32 v3, v3, v4
	v_mul_f32_e32 v4, v143, v33
	s_waitcnt vmcnt(22)
	v_fmac_f32_e32 v155, v149, v50
	v_fma_f32 v4, v142, v45, -v4
	v_add_f32_e32 v154, v154, v155
	s_waitcnt vmcnt(21) lgkmcnt(0)
	v_mul_f32_e32 v155, v150, v51
	v_add_f32_e32 v3, v3, v4
	v_mul_f32_e32 v4, v145, v34
	s_waitcnt vmcnt(20)
	v_fmac_f32_e32 v155, v151, v52
	v_fma_f32 v4, v144, v46, -v4
	v_add_f32_e32 v158, v154, v155
	ds_read2_b64 v[154:157], v2 offset0:111 offset1:112
	v_add_f32_e32 v3, v3, v4
	v_mul_f32_e32 v4, v147, v47
	v_fma_f32 v4, v146, v48, -v4
	s_waitcnt vmcnt(19)
	v_mul_f32_e32 v159, v152, v53
	v_add_f32_e32 v3, v3, v4
	v_mul_f32_e32 v4, v149, v49
	s_waitcnt vmcnt(18)
	v_fmac_f32_e32 v159, v153, v54
	v_fma_f32 v4, v148, v50, -v4
	v_add_f32_e32 v162, v158, v159
	ds_read2_b64 v[158:161], v2 offset0:113 offset1:114
	v_add_f32_e32 v3, v3, v4
	v_mul_f32_e32 v4, v151, v51
	s_waitcnt vmcnt(17) lgkmcnt(1)
	v_mul_f32_e32 v163, v154, v55
	v_fma_f32 v4, v150, v52, -v4
	s_waitcnt vmcnt(16)
	v_fmac_f32_e32 v163, v155, v170
	v_add_f32_e32 v3, v3, v4
	v_mul_f32_e32 v4, v153, v53
	v_add_f32_e32 v162, v162, v163
	s_waitcnt vmcnt(15)
	v_mul_f32_e32 v163, v156, v171
	v_fma_f32 v4, v152, v54, -v4
	s_waitcnt vmcnt(14)
	v_fmac_f32_e32 v163, v157, v172
	v_add_f32_e32 v3, v3, v4
	v_mul_f32_e32 v4, v155, v55
	v_add_f32_e32 v162, v162, v163
	s_waitcnt vmcnt(13) lgkmcnt(0)
	v_mul_f32_e32 v163, v158, v173
	v_fma_f32 v4, v154, v170, -v4
	s_waitcnt vmcnt(12)
	v_fmac_f32_e32 v163, v159, v174
	v_add_f32_e32 v3, v3, v4
	v_mul_f32_e32 v4, v157, v171
	v_add_f32_e32 v166, v162, v163
	ds_read2_b64 v[162:165], v2 offset0:115 offset1:116
	v_fma_f32 v4, v156, v172, -v4
	v_add_f32_e32 v3, v3, v4
	v_mul_f32_e32 v4, v159, v173
	s_waitcnt vmcnt(11)
	v_mul_f32_e32 v167, v160, v175
	v_fma_f32 v4, v158, v174, -v4
	s_waitcnt vmcnt(10)
	v_fmac_f32_e32 v167, v161, v176
	v_add_f32_e32 v3, v3, v4
	v_mul_f32_e32 v4, v161, v175
	v_add_f32_e32 v187, v166, v167
	ds_read2_b64 v[166:169], v2 offset0:117 offset1:118
	v_fma_f32 v4, v160, v176, -v4
	v_add_f32_e32 v3, v3, v4
	s_waitcnt vmcnt(7) lgkmcnt(1)
	v_mul_f32_e32 v4, v163, v179
	v_mul_f32_e32 v2, v162, v179
	s_waitcnt vmcnt(6)
	v_fma_f32 v4, v162, v180, -v4
	v_fmac_f32_e32 v2, v163, v180
	v_add_f32_e32 v3, v3, v4
	s_waitcnt vmcnt(4)
	v_mul_f32_e32 v4, v165, v182
	v_add_f32_e32 v2, v187, v2
	v_mul_f32_e32 v187, v164, v182
	v_fma_f32 v4, v164, v181, -v4
	v_fmac_f32_e32 v187, v165, v181
	v_add_f32_e32 v3, v3, v4
	s_waitcnt vmcnt(2) lgkmcnt(0)
	v_mul_f32_e32 v4, v167, v184
	v_add_f32_e32 v2, v2, v187
	v_mul_f32_e32 v187, v166, v184
	v_fma_f32 v4, v166, v183, -v4
	v_fmac_f32_e32 v187, v167, v183
	v_add_f32_e32 v3, v3, v4
	s_waitcnt vmcnt(0)
	v_mul_f32_e32 v4, v169, v186
	v_add_f32_e32 v2, v2, v187
	v_mul_f32_e32 v187, v168, v186
	v_fma_f32 v4, v168, v185, -v4
	v_fmac_f32_e32 v187, v169, v185
	v_add_f32_e32 v3, v3, v4
	v_add_f32_e32 v2, v2, v187
	v_sub_f32_e32 v3, v177, v3
	v_sub_f32_e32 v2, v178, v2
	buffer_store_dword v3, off, s[0:3], 0 offset:272
	buffer_store_dword v2, off, s[0:3], 0 offset:276
	s_and_saveexec_b64 s[4:5], vcc
	s_cbranch_execz .LBB58_301
; %bb.300:
	buffer_load_dword v2, off, s[0:3], 0 offset:264
	buffer_load_dword v3, off, s[0:3], 0 offset:268
	v_mov_b32_e32 v4, 0
	buffer_store_dword v4, off, s[0:3], 0 offset:264
	buffer_store_dword v4, off, s[0:3], 0 offset:268
	s_waitcnt vmcnt(2)
	ds_write_b64 v1, v[2:3]
.LBB58_301:
	s_or_b64 exec, exec, s[4:5]
	s_waitcnt lgkmcnt(0)
	; wave barrier
	buffer_load_dword v25, off, s[0:3], 0 offset:276
	buffer_load_dword v26, off, s[0:3], 0 offset:284
	buffer_load_dword v27, off, s[0:3], 0 offset:292
	buffer_load_dword v28, off, s[0:3], 0 offset:300
	buffer_load_dword v29, off, s[0:3], 0 offset:308
	buffer_load_dword v30, off, s[0:3], 0 offset:316
	buffer_load_dword v31, off, s[0:3], 0 offset:324
	buffer_load_dword v32, off, s[0:3], 0 offset:332
	buffer_load_dword v33, off, s[0:3], 0 offset:340
	buffer_load_dword v34, off, s[0:3], 0 offset:348
	buffer_load_dword v35, off, s[0:3], 0 offset:356
	buffer_load_dword v36, off, s[0:3], 0 offset:272
	buffer_load_dword v37, off, s[0:3], 0 offset:280
	buffer_load_dword v38, off, s[0:3], 0 offset:288
	buffer_load_dword v39, off, s[0:3], 0 offset:296
	buffer_load_dword v40, off, s[0:3], 0 offset:304
	buffer_load_dword v41, off, s[0:3], 0 offset:312
	buffer_load_dword v42, off, s[0:3], 0 offset:320
	buffer_load_dword v43, off, s[0:3], 0 offset:328
	buffer_load_dword v44, off, s[0:3], 0 offset:336
	buffer_load_dword v45, off, s[0:3], 0 offset:344
	buffer_load_dword v46, off, s[0:3], 0 offset:352
	buffer_load_dword v47, off, s[0:3], 0 offset:364
	buffer_load_dword v48, off, s[0:3], 0 offset:360
	buffer_load_dword v49, off, s[0:3], 0 offset:372
	buffer_load_dword v50, off, s[0:3], 0 offset:368
	buffer_load_dword v51, off, s[0:3], 0 offset:380
	buffer_load_dword v52, off, s[0:3], 0 offset:376
	buffer_load_dword v53, off, s[0:3], 0 offset:388
	buffer_load_dword v54, off, s[0:3], 0 offset:384
	buffer_load_dword v55, off, s[0:3], 0 offset:396
	buffer_load_dword v170, off, s[0:3], 0 offset:392
	buffer_load_dword v171, off, s[0:3], 0 offset:404
	buffer_load_dword v172, off, s[0:3], 0 offset:400
	buffer_load_dword v173, off, s[0:3], 0 offset:412
	buffer_load_dword v174, off, s[0:3], 0 offset:408
	buffer_load_dword v175, off, s[0:3], 0 offset:416
	buffer_load_dword v176, off, s[0:3], 0 offset:420
	buffer_load_dword v177, off, s[0:3], 0 offset:264
	buffer_load_dword v178, off, s[0:3], 0 offset:268
	buffer_load_dword v179, off, s[0:3], 0 offset:428
	buffer_load_dword v180, off, s[0:3], 0 offset:424
	buffer_load_dword v181, off, s[0:3], 0 offset:432
	buffer_load_dword v182, off, s[0:3], 0 offset:436
	buffer_load_dword v183, off, s[0:3], 0 offset:440
	buffer_load_dword v184, off, s[0:3], 0 offset:444
	buffer_load_dword v185, off, s[0:3], 0 offset:448
	buffer_load_dword v186, off, s[0:3], 0 offset:452
	buffer_load_dword v187, off, s[0:3], 0 offset:456
	buffer_load_dword v188, off, s[0:3], 0 offset:460
	buffer_load_dword v189, off, s[0:3], 0 offset:464
	buffer_load_dword v190, off, s[0:3], 0 offset:468
	v_mov_b32_e32 v2, 0
	ds_read_b128 v[3:6], v2 offset:752
	ds_read_b128 v[7:10], v2 offset:768
	;; [unrolled: 1-line block ×8, first 2 shown]
	v_cmp_lt_u32_e32 vcc, 32, v0
	ds_read_b128 v[158:161], v2 offset:896
	s_waitcnt vmcnt(51) lgkmcnt(8)
	v_mul_f32_e32 v23, v3, v25
	s_waitcnt vmcnt(50)
	v_mul_f32_e32 v24, v5, v26
	s_waitcnt vmcnt(49) lgkmcnt(7)
	v_mul_f32_e32 v146, v7, v27
	s_waitcnt vmcnt(48)
	v_mul_f32_e32 v147, v9, v28
	;; [unrolled: 4-line block ×5, first 2 shown]
	s_waitcnt vmcnt(41) lgkmcnt(3)
	v_mul_f32_e32 v154, v142, v35
	s_waitcnt vmcnt(40)
	v_fmac_f32_e32 v23, v4, v36
	v_mul_f32_e32 v4, v4, v25
	v_fma_f32 v3, v3, v36, -v4
	v_mul_f32_e32 v4, v6, v26
	v_add_f32_e32 v3, 0, v3
	s_waitcnt vmcnt(39)
	v_fma_f32 v4, v5, v37, -v4
	v_add_f32_e32 v3, v3, v4
	v_mul_f32_e32 v4, v8, v27
	s_waitcnt vmcnt(38)
	v_fma_f32 v4, v7, v38, -v4
	v_add_f32_e32 v3, v3, v4
	v_mul_f32_e32 v4, v10, v28
	;; [unrolled: 4-line block ×4, first 2 shown]
	s_waitcnt vmcnt(35)
	v_fma_f32 v4, v13, v41, -v4
	v_fmac_f32_e32 v24, v6, v37
	v_add_f32_e32 v23, 0, v23
	v_add_f32_e32 v3, v3, v4
	v_mul_f32_e32 v4, v16, v31
	v_fmac_f32_e32 v146, v8, v38
	v_add_f32_e32 v23, v23, v24
	s_waitcnt vmcnt(34)
	v_fma_f32 v4, v15, v42, -v4
	v_fmac_f32_e32 v147, v10, v39
	v_add_f32_e32 v23, v23, v146
	v_add_f32_e32 v3, v3, v4
	v_mul_f32_e32 v4, v18, v32
	v_fmac_f32_e32 v148, v12, v40
	v_add_f32_e32 v23, v23, v147
	;; [unrolled: 8-line block ×3, first 2 shown]
	s_waitcnt vmcnt(32)
	v_fma_f32 v4, v19, v44, -v4
	v_fmac_f32_e32 v151, v18, v43
	v_add_f32_e32 v23, v23, v150
	ds_read_b128 v[146:149], v2 offset:848
	v_add_f32_e32 v3, v3, v4
	v_mul_f32_e32 v4, v22, v34
	v_fmac_f32_e32 v152, v20, v44
	v_add_f32_e32 v23, v23, v151
	s_waitcnt vmcnt(31)
	v_fma_f32 v4, v21, v45, -v4
	v_fmac_f32_e32 v153, v22, v45
	v_add_f32_e32 v23, v23, v152
	v_add_f32_e32 v3, v3, v4
	v_mul_f32_e32 v4, v143, v35
	v_add_f32_e32 v23, v23, v153
	s_waitcnt vmcnt(30)
	v_fmac_f32_e32 v154, v143, v46
	s_waitcnt vmcnt(29)
	v_mul_f32_e32 v24, v144, v47
	v_fma_f32 v4, v142, v46, -v4
	v_add_f32_e32 v23, v23, v154
	s_waitcnt vmcnt(28)
	v_fmac_f32_e32 v24, v145, v48
	ds_read_b128 v[150:153], v2 offset:864
	v_add_f32_e32 v3, v3, v4
	v_mul_f32_e32 v4, v145, v47
	v_add_f32_e32 v23, v23, v24
	s_waitcnt vmcnt(27) lgkmcnt(1)
	v_mul_f32_e32 v24, v146, v49
	v_fma_f32 v4, v144, v48, -v4
	s_waitcnt vmcnt(26)
	v_fmac_f32_e32 v24, v147, v50
	v_add_f32_e32 v3, v3, v4
	v_mul_f32_e32 v4, v147, v49
	v_add_f32_e32 v23, v23, v24
	s_waitcnt vmcnt(25)
	v_mul_f32_e32 v24, v148, v51
	v_fma_f32 v4, v146, v50, -v4
	s_waitcnt vmcnt(24)
	v_fmac_f32_e32 v24, v149, v52
	ds_read_b128 v[154:157], v2 offset:880
	v_add_f32_e32 v3, v3, v4
	v_mul_f32_e32 v4, v149, v51
	v_add_f32_e32 v23, v23, v24
	s_waitcnt vmcnt(23) lgkmcnt(1)
	v_mul_f32_e32 v24, v150, v53
	v_fma_f32 v4, v148, v52, -v4
	s_waitcnt vmcnt(22)
	v_fmac_f32_e32 v24, v151, v54
	v_add_f32_e32 v3, v3, v4
	v_mul_f32_e32 v4, v151, v53
	v_add_f32_e32 v23, v23, v24
	s_waitcnt vmcnt(21)
	v_mul_f32_e32 v24, v152, v55
	v_fma_f32 v4, v150, v54, -v4
	s_waitcnt vmcnt(20)
	v_fmac_f32_e32 v24, v153, v170
	v_add_f32_e32 v3, v3, v4
	v_mul_f32_e32 v4, v153, v55
	v_add_f32_e32 v23, v23, v24
	s_waitcnt vmcnt(19) lgkmcnt(0)
	v_mul_f32_e32 v24, v154, v171
	v_fma_f32 v4, v152, v170, -v4
	s_waitcnt vmcnt(18)
	v_fmac_f32_e32 v24, v155, v172
	v_add_f32_e32 v3, v3, v4
	v_mul_f32_e32 v4, v155, v171
	v_add_f32_e32 v23, v23, v24
	s_waitcnt vmcnt(17)
	v_mul_f32_e32 v24, v156, v173
	v_fma_f32 v4, v154, v172, -v4
	s_waitcnt vmcnt(16)
	v_fmac_f32_e32 v24, v157, v174
	v_add_f32_e32 v3, v3, v4
	v_mul_f32_e32 v4, v157, v173
	v_add_f32_e32 v23, v23, v24
	s_waitcnt vmcnt(14)
	v_mul_f32_e32 v24, v158, v176
	v_fma_f32 v4, v156, v174, -v4
	v_fmac_f32_e32 v24, v159, v175
	v_add_f32_e32 v3, v3, v4
	v_mul_f32_e32 v4, v159, v176
	v_add_f32_e32 v23, v23, v24
	s_waitcnt vmcnt(11)
	v_mul_f32_e32 v24, v160, v179
	v_fma_f32 v4, v158, v175, -v4
	s_waitcnt vmcnt(10)
	v_fmac_f32_e32 v24, v161, v180
	v_add_f32_e32 v3, v3, v4
	v_mul_f32_e32 v4, v161, v179
	v_add_f32_e32 v23, v23, v24
	s_waitcnt vmcnt(8)
	v_mul_f32_e32 v24, v162, v182
	v_fma_f32 v4, v160, v180, -v4
	v_fmac_f32_e32 v24, v163, v181
	v_add_f32_e32 v3, v3, v4
	v_mul_f32_e32 v4, v163, v182
	v_add_f32_e32 v23, v23, v24
	s_waitcnt vmcnt(6)
	v_mul_f32_e32 v24, v164, v184
	v_fma_f32 v4, v162, v181, -v4
	v_fmac_f32_e32 v24, v165, v183
	v_add_f32_e32 v3, v3, v4
	v_mul_f32_e32 v4, v165, v184
	v_add_f32_e32 v191, v23, v24
	ds_read_b64 v[23:24], v2 offset:944
	v_fma_f32 v4, v164, v183, -v4
	v_add_f32_e32 v3, v3, v4
	s_waitcnt vmcnt(4)
	v_mul_f32_e32 v4, v167, v186
	v_mul_f32_e32 v192, v166, v186
	v_fma_f32 v4, v166, v185, -v4
	v_fmac_f32_e32 v192, v167, v185
	v_add_f32_e32 v3, v3, v4
	s_waitcnt vmcnt(2)
	v_mul_f32_e32 v4, v169, v188
	v_add_f32_e32 v191, v191, v192
	v_mul_f32_e32 v192, v168, v188
	v_fma_f32 v4, v168, v187, -v4
	v_fmac_f32_e32 v192, v169, v187
	v_add_f32_e32 v3, v3, v4
	s_waitcnt vmcnt(0) lgkmcnt(0)
	v_mul_f32_e32 v4, v24, v190
	v_add_f32_e32 v191, v191, v192
	v_mul_f32_e32 v192, v23, v190
	v_fma_f32 v4, v23, v189, -v4
	v_fmac_f32_e32 v192, v24, v189
	v_add_f32_e32 v3, v3, v4
	v_add_f32_e32 v191, v191, v192
	v_sub_f32_e32 v3, v177, v3
	v_sub_f32_e32 v4, v178, v191
	buffer_store_dword v3, off, s[0:3], 0 offset:264
	buffer_store_dword v4, off, s[0:3], 0 offset:268
	s_and_saveexec_b64 s[4:5], vcc
	s_cbranch_execz .LBB58_303
; %bb.302:
	buffer_load_dword v3, off, s[0:3], 0 offset:256
	buffer_load_dword v4, off, s[0:3], 0 offset:260
	s_waitcnt vmcnt(0)
	ds_write_b64 v1, v[3:4]
	buffer_store_dword v2, off, s[0:3], 0 offset:256
	buffer_store_dword v2, off, s[0:3], 0 offset:260
.LBB58_303:
	s_or_b64 exec, exec, s[4:5]
	s_waitcnt lgkmcnt(0)
	; wave barrier
	buffer_load_dword v23, off, s[0:3], 0 offset:268
	buffer_load_dword v24, off, s[0:3], 0 offset:276
	;; [unrolled: 1-line block ×42, first 2 shown]
	ds_read2_b64 v[3:6], v2 offset0:93 offset1:94
	ds_read2_b64 v[7:10], v2 offset0:95 offset1:96
	;; [unrolled: 1-line block ×4, first 2 shown]
	buffer_load_dword v183, off, s[0:3], 0 offset:428
	buffer_load_dword v184, off, s[0:3], 0 offset:424
	;; [unrolled: 1-line block ×6, first 2 shown]
	ds_read2_b64 v[19:22], v2 offset0:101 offset1:102
	ds_read2_b64 v[142:145], v2 offset0:103 offset1:104
	buffer_load_dword v189, off, s[0:3], 0 offset:448
	buffer_load_dword v190, off, s[0:3], 0 offset:452
	;; [unrolled: 1-line block ×6, first 2 shown]
	v_cmp_lt_u32_e32 vcc, 31, v0
	s_waitcnt vmcnt(53) lgkmcnt(5)
	v_mul_f32_e32 v146, v3, v23
	s_waitcnt vmcnt(52)
	v_mul_f32_e32 v147, v5, v24
	s_waitcnt vmcnt(51) lgkmcnt(4)
	v_mul_f32_e32 v148, v7, v25
	s_waitcnt vmcnt(50)
	v_mul_f32_e32 v149, v9, v26
	;; [unrolled: 4-line block ×5, first 2 shown]
	s_waitcnt vmcnt(43)
	v_fmac_f32_e32 v146, v4, v33
	v_mul_f32_e32 v4, v4, v23
	s_waitcnt vmcnt(42)
	v_fmac_f32_e32 v147, v6, v34
	v_add_f32_e32 v146, 0, v146
	v_fma_f32 v3, v3, v33, -v4
	v_mul_f32_e32 v4, v6, v24
	s_waitcnt vmcnt(41)
	v_fmac_f32_e32 v148, v8, v35
	v_add_f32_e32 v146, v146, v147
	v_add_f32_e32 v3, 0, v3
	v_fma_f32 v4, v5, v34, -v4
	s_waitcnt vmcnt(40)
	v_fmac_f32_e32 v149, v10, v36
	v_add_f32_e32 v146, v146, v148
	v_add_f32_e32 v3, v3, v4
	v_mul_f32_e32 v4, v8, v25
	s_waitcnt vmcnt(39)
	v_fmac_f32_e32 v150, v12, v37
	v_add_f32_e32 v146, v146, v149
	v_fma_f32 v4, v7, v35, -v4
	s_waitcnt vmcnt(38)
	v_fmac_f32_e32 v151, v14, v38
	v_add_f32_e32 v146, v146, v150
	v_add_f32_e32 v3, v3, v4
	v_mul_f32_e32 v4, v10, v26
	s_waitcnt vmcnt(37)
	v_fmac_f32_e32 v152, v16, v39
	;; [unrolled: 9-line block ×3, first 2 shown]
	v_add_f32_e32 v146, v146, v153
	v_fma_f32 v4, v11, v37, -v4
	s_waitcnt vmcnt(34)
	v_fmac_f32_e32 v155, v22, v42
	v_add_f32_e32 v146, v146, v154
	s_waitcnt vmcnt(33) lgkmcnt(0)
	v_mul_f32_e32 v147, v142, v43
	v_add_f32_e32 v3, v3, v4
	v_mul_f32_e32 v4, v14, v28
	v_add_f32_e32 v146, v146, v155
	s_waitcnt vmcnt(32)
	v_fmac_f32_e32 v147, v143, v44
	v_fma_f32 v4, v13, v38, -v4
	v_add_f32_e32 v150, v146, v147
	ds_read2_b64 v[146:149], v2 offset0:105 offset1:106
	v_add_f32_e32 v3, v3, v4
	v_mul_f32_e32 v4, v16, v29
	v_fma_f32 v4, v15, v39, -v4
	s_waitcnt vmcnt(31)
	v_mul_f32_e32 v151, v144, v45
	v_add_f32_e32 v3, v3, v4
	v_mul_f32_e32 v4, v18, v30
	s_waitcnt vmcnt(30)
	v_fmac_f32_e32 v151, v145, v46
	v_fma_f32 v4, v17, v40, -v4
	v_add_f32_e32 v154, v150, v151
	ds_read2_b64 v[150:153], v2 offset0:107 offset1:108
	v_add_f32_e32 v3, v3, v4
	v_mul_f32_e32 v4, v20, v31
	s_waitcnt vmcnt(29) lgkmcnt(1)
	v_mul_f32_e32 v155, v146, v47
	v_fma_f32 v4, v19, v41, -v4
	s_waitcnt vmcnt(28)
	v_fmac_f32_e32 v155, v147, v48
	v_add_f32_e32 v3, v3, v4
	v_mul_f32_e32 v4, v22, v32
	v_add_f32_e32 v154, v154, v155
	s_waitcnt vmcnt(27)
	v_mul_f32_e32 v155, v148, v49
	v_fma_f32 v4, v21, v42, -v4
	s_waitcnt vmcnt(26)
	v_fmac_f32_e32 v155, v149, v50
	v_add_f32_e32 v3, v3, v4
	v_mul_f32_e32 v4, v143, v43
	v_add_f32_e32 v154, v154, v155
	s_waitcnt vmcnt(25) lgkmcnt(0)
	v_mul_f32_e32 v155, v150, v51
	v_fma_f32 v4, v142, v44, -v4
	s_waitcnt vmcnt(24)
	v_fmac_f32_e32 v155, v151, v52
	v_add_f32_e32 v3, v3, v4
	v_mul_f32_e32 v4, v145, v45
	v_add_f32_e32 v158, v154, v155
	ds_read2_b64 v[154:157], v2 offset0:109 offset1:110
	v_fma_f32 v4, v144, v46, -v4
	v_add_f32_e32 v3, v3, v4
	v_mul_f32_e32 v4, v147, v47
	s_waitcnt vmcnt(23)
	v_mul_f32_e32 v159, v152, v53
	v_fma_f32 v4, v146, v48, -v4
	s_waitcnt vmcnt(22)
	v_fmac_f32_e32 v159, v153, v54
	v_add_f32_e32 v3, v3, v4
	v_mul_f32_e32 v4, v149, v49
	v_add_f32_e32 v162, v158, v159
	ds_read2_b64 v[158:161], v2 offset0:111 offset1:112
	v_fma_f32 v4, v148, v50, -v4
	s_waitcnt vmcnt(21) lgkmcnt(1)
	v_mul_f32_e32 v163, v154, v55
	v_add_f32_e32 v3, v3, v4
	v_mul_f32_e32 v4, v151, v51
	s_waitcnt vmcnt(20)
	v_fmac_f32_e32 v163, v155, v174
	v_fma_f32 v4, v150, v52, -v4
	v_add_f32_e32 v162, v162, v163
	s_waitcnt vmcnt(18)
	v_mul_f32_e32 v163, v156, v176
	v_add_f32_e32 v3, v3, v4
	v_mul_f32_e32 v4, v153, v53
	v_fmac_f32_e32 v163, v157, v175
	v_fma_f32 v4, v152, v54, -v4
	v_add_f32_e32 v162, v162, v163
	s_waitcnt vmcnt(15) lgkmcnt(0)
	v_mul_f32_e32 v163, v158, v179
	v_add_f32_e32 v3, v3, v4
	v_mul_f32_e32 v4, v155, v55
	s_waitcnt vmcnt(14)
	v_fmac_f32_e32 v163, v159, v180
	v_fma_f32 v4, v154, v174, -v4
	v_add_f32_e32 v166, v162, v163
	ds_read2_b64 v[162:165], v2 offset0:113 offset1:114
	v_add_f32_e32 v3, v3, v4
	v_mul_f32_e32 v4, v157, v176
	v_fma_f32 v4, v156, v175, -v4
	v_add_f32_e32 v3, v3, v4
	v_mul_f32_e32 v4, v159, v179
	s_waitcnt vmcnt(12)
	v_mul_f32_e32 v167, v160, v182
	v_fma_f32 v4, v158, v180, -v4
	v_fmac_f32_e32 v167, v161, v181
	v_add_f32_e32 v3, v3, v4
	v_mul_f32_e32 v4, v161, v182
	v_add_f32_e32 v170, v166, v167
	ds_read2_b64 v[166:169], v2 offset0:115 offset1:116
	s_waitcnt vmcnt(11) lgkmcnt(1)
	v_mul_f32_e32 v171, v162, v183
	v_fma_f32 v4, v160, v181, -v4
	s_waitcnt vmcnt(10)
	v_fmac_f32_e32 v171, v163, v184
	v_add_f32_e32 v3, v3, v4
	v_mul_f32_e32 v4, v163, v183
	v_add_f32_e32 v170, v170, v171
	s_waitcnt vmcnt(8)
	v_mul_f32_e32 v171, v164, v186
	v_fma_f32 v4, v162, v184, -v4
	v_fmac_f32_e32 v171, v165, v185
	v_add_f32_e32 v3, v3, v4
	v_mul_f32_e32 v4, v165, v186
	v_add_f32_e32 v195, v170, v171
	ds_read2_b64 v[170:173], v2 offset0:117 offset1:118
	v_fma_f32 v4, v164, v185, -v4
	v_add_f32_e32 v3, v3, v4
	s_waitcnt vmcnt(6) lgkmcnt(1)
	v_mul_f32_e32 v4, v167, v188
	v_mul_f32_e32 v196, v166, v188
	v_fma_f32 v4, v166, v187, -v4
	v_fmac_f32_e32 v196, v167, v187
	v_add_f32_e32 v3, v3, v4
	s_waitcnt vmcnt(4)
	v_mul_f32_e32 v4, v169, v190
	v_add_f32_e32 v2, v195, v196
	v_mul_f32_e32 v195, v168, v190
	v_fma_f32 v4, v168, v189, -v4
	v_fmac_f32_e32 v195, v169, v189
	v_add_f32_e32 v3, v3, v4
	s_waitcnt vmcnt(2) lgkmcnt(0)
	v_mul_f32_e32 v4, v171, v192
	v_add_f32_e32 v2, v2, v195
	v_mul_f32_e32 v195, v170, v192
	v_fma_f32 v4, v170, v191, -v4
	v_fmac_f32_e32 v195, v171, v191
	v_add_f32_e32 v3, v3, v4
	s_waitcnt vmcnt(0)
	v_mul_f32_e32 v4, v173, v194
	v_add_f32_e32 v2, v2, v195
	v_mul_f32_e32 v195, v172, v194
	v_fma_f32 v4, v172, v193, -v4
	v_fmac_f32_e32 v195, v173, v193
	v_add_f32_e32 v3, v3, v4
	v_add_f32_e32 v2, v2, v195
	v_sub_f32_e32 v3, v177, v3
	v_sub_f32_e32 v2, v178, v2
	buffer_store_dword v3, off, s[0:3], 0 offset:256
	buffer_store_dword v2, off, s[0:3], 0 offset:260
	s_and_saveexec_b64 s[4:5], vcc
	s_cbranch_execz .LBB58_305
; %bb.304:
	buffer_load_dword v2, off, s[0:3], 0 offset:248
	buffer_load_dword v3, off, s[0:3], 0 offset:252
	v_mov_b32_e32 v4, 0
	buffer_store_dword v4, off, s[0:3], 0 offset:248
	buffer_store_dword v4, off, s[0:3], 0 offset:252
	s_waitcnt vmcnt(2)
	ds_write_b64 v1, v[2:3]
.LBB58_305:
	s_or_b64 exec, exec, s[4:5]
	s_waitcnt lgkmcnt(0)
	; wave barrier
	buffer_load_dword v25, off, s[0:3], 0 offset:260
	buffer_load_dword v26, off, s[0:3], 0 offset:268
	;; [unrolled: 1-line block ×56, first 2 shown]
	v_mov_b32_e32 v2, 0
	ds_read_b128 v[3:6], v2 offset:736
	ds_read_b128 v[7:10], v2 offset:752
	;; [unrolled: 1-line block ×11, first 2 shown]
	v_cmp_lt_u32_e32 vcc, 30, v0
	s_waitcnt vmcnt(55) lgkmcnt(10)
	v_mul_f32_e32 v23, v3, v25
	s_waitcnt vmcnt(54)
	v_mul_f32_e32 v24, v5, v26
	s_waitcnt vmcnt(53) lgkmcnt(9)
	v_mul_f32_e32 v146, v7, v27
	s_waitcnt vmcnt(52)
	v_mul_f32_e32 v147, v9, v28
	;; [unrolled: 4-line block ×4, first 2 shown]
	s_waitcnt vmcnt(47) lgkmcnt(6)
	v_mul_f32_e32 v152, v19, v33
	s_waitcnt vmcnt(46)
	v_fmac_f32_e32 v23, v4, v34
	v_mul_f32_e32 v4, v4, v25
	v_fma_f32 v3, v3, v34, -v4
	v_mul_f32_e32 v4, v6, v26
	v_add_f32_e32 v3, 0, v3
	s_waitcnt vmcnt(45)
	v_fma_f32 v4, v5, v35, -v4
	v_add_f32_e32 v3, v3, v4
	v_mul_f32_e32 v4, v8, v27
	s_waitcnt vmcnt(44)
	v_fma_f32 v4, v7, v36, -v4
	v_add_f32_e32 v3, v3, v4
	v_mul_f32_e32 v4, v10, v28
	;; [unrolled: 4-line block ×3, first 2 shown]
	s_waitcnt vmcnt(42)
	v_fma_f32 v4, v11, v38, -v4
	v_fmac_f32_e32 v24, v6, v35
	v_add_f32_e32 v23, 0, v23
	v_add_f32_e32 v3, v3, v4
	v_mul_f32_e32 v4, v14, v30
	v_fmac_f32_e32 v146, v8, v36
	v_add_f32_e32 v23, v23, v24
	s_waitcnt vmcnt(41)
	v_fma_f32 v4, v13, v39, -v4
	v_fmac_f32_e32 v147, v10, v37
	v_add_f32_e32 v23, v23, v146
	v_add_f32_e32 v3, v3, v4
	v_mul_f32_e32 v4, v16, v31
	v_fmac_f32_e32 v148, v12, v38
	v_add_f32_e32 v23, v23, v147
	;; [unrolled: 8-line block ×3, first 2 shown]
	s_waitcnt vmcnt(39)
	v_fma_f32 v4, v17, v41, -v4
	v_fmac_f32_e32 v151, v18, v41
	v_add_f32_e32 v23, v23, v150
	v_add_f32_e32 v3, v3, v4
	v_mul_f32_e32 v4, v20, v33
	v_add_f32_e32 v23, v23, v151
	s_waitcnt vmcnt(38)
	v_fmac_f32_e32 v152, v20, v42
	s_waitcnt vmcnt(37)
	v_mul_f32_e32 v24, v21, v43
	v_fma_f32 v4, v19, v42, -v4
	v_add_f32_e32 v23, v23, v152
	s_waitcnt vmcnt(36)
	v_fmac_f32_e32 v24, v22, v44
	ds_read_b128 v[146:149], v2 offset:832
	ds_read_b128 v[150:153], v2 offset:848
	v_add_f32_e32 v3, v3, v4
	v_mul_f32_e32 v4, v22, v43
	v_add_f32_e32 v23, v23, v24
	s_waitcnt vmcnt(35) lgkmcnt(7)
	v_mul_f32_e32 v24, v142, v45
	v_fma_f32 v4, v21, v44, -v4
	s_waitcnt vmcnt(34)
	v_fmac_f32_e32 v24, v143, v46
	v_add_f32_e32 v3, v3, v4
	v_mul_f32_e32 v4, v143, v45
	v_add_f32_e32 v23, v23, v24
	s_waitcnt vmcnt(33)
	v_mul_f32_e32 v24, v144, v47
	v_fma_f32 v4, v142, v46, -v4
	s_waitcnt vmcnt(32)
	v_fmac_f32_e32 v24, v145, v48
	v_add_f32_e32 v3, v3, v4
	v_mul_f32_e32 v4, v145, v47
	v_add_f32_e32 v23, v23, v24
	s_waitcnt vmcnt(31) lgkmcnt(1)
	v_mul_f32_e32 v24, v146, v49
	v_fma_f32 v4, v144, v48, -v4
	s_waitcnt vmcnt(30)
	v_fmac_f32_e32 v24, v147, v50
	v_add_f32_e32 v3, v3, v4
	v_mul_f32_e32 v4, v147, v49
	v_add_f32_e32 v23, v23, v24
	s_waitcnt vmcnt(29)
	v_mul_f32_e32 v24, v148, v51
	v_fma_f32 v4, v146, v50, -v4
	s_waitcnt vmcnt(28)
	v_fmac_f32_e32 v24, v149, v52
	v_add_f32_e32 v3, v3, v4
	v_mul_f32_e32 v4, v149, v51
	v_add_f32_e32 v23, v23, v24
	s_waitcnt vmcnt(27) lgkmcnt(0)
	v_mul_f32_e32 v24, v150, v53
	v_fma_f32 v4, v148, v52, -v4
	s_waitcnt vmcnt(26)
	v_fmac_f32_e32 v24, v151, v54
	v_add_f32_e32 v3, v3, v4
	v_mul_f32_e32 v4, v151, v53
	v_add_f32_e32 v23, v23, v24
	s_waitcnt vmcnt(24)
	v_mul_f32_e32 v24, v152, v174
	v_fma_f32 v4, v150, v54, -v4
	v_fmac_f32_e32 v24, v153, v55
	v_add_f32_e32 v3, v3, v4
	v_mul_f32_e32 v4, v153, v174
	v_add_f32_e32 v23, v23, v24
	s_waitcnt vmcnt(21)
	v_mul_f32_e32 v24, v154, v177
	v_fma_f32 v4, v152, v55, -v4
	s_waitcnt vmcnt(20)
	v_fmac_f32_e32 v24, v155, v178
	v_add_f32_e32 v3, v3, v4
	v_mul_f32_e32 v4, v155, v177
	v_add_f32_e32 v23, v23, v24
	s_waitcnt vmcnt(18)
	v_mul_f32_e32 v24, v156, v180
	v_fma_f32 v4, v154, v178, -v4
	v_fmac_f32_e32 v24, v157, v179
	v_add_f32_e32 v3, v3, v4
	v_mul_f32_e32 v4, v157, v180
	v_add_f32_e32 v23, v23, v24
	s_waitcnt vmcnt(16)
	v_mul_f32_e32 v24, v158, v182
	v_fma_f32 v4, v156, v179, -v4
	;; [unrolled: 7-line block ×7, first 2 shown]
	v_fmac_f32_e32 v24, v169, v191
	v_add_f32_e32 v3, v3, v4
	v_mul_f32_e32 v4, v169, v192
	v_add_f32_e32 v199, v23, v24
	ds_read_b64 v[23:24], v2 offset:944
	v_fma_f32 v4, v168, v191, -v4
	v_add_f32_e32 v3, v3, v4
	s_waitcnt vmcnt(4)
	v_mul_f32_e32 v4, v171, v194
	v_mul_f32_e32 v200, v170, v194
	v_fma_f32 v4, v170, v193, -v4
	v_fmac_f32_e32 v200, v171, v193
	v_add_f32_e32 v3, v3, v4
	s_waitcnt vmcnt(2)
	v_mul_f32_e32 v4, v173, v196
	v_add_f32_e32 v199, v199, v200
	v_mul_f32_e32 v200, v172, v196
	v_fma_f32 v4, v172, v195, -v4
	v_fmac_f32_e32 v200, v173, v195
	v_add_f32_e32 v3, v3, v4
	s_waitcnt vmcnt(0) lgkmcnt(0)
	v_mul_f32_e32 v4, v24, v198
	v_add_f32_e32 v199, v199, v200
	v_mul_f32_e32 v200, v23, v198
	v_fma_f32 v4, v23, v197, -v4
	v_fmac_f32_e32 v200, v24, v197
	v_add_f32_e32 v3, v3, v4
	v_add_f32_e32 v199, v199, v200
	v_sub_f32_e32 v3, v175, v3
	v_sub_f32_e32 v4, v176, v199
	buffer_store_dword v3, off, s[0:3], 0 offset:248
	buffer_store_dword v4, off, s[0:3], 0 offset:252
	s_and_saveexec_b64 s[4:5], vcc
	s_cbranch_execz .LBB58_307
; %bb.306:
	buffer_load_dword v3, off, s[0:3], 0 offset:240
	buffer_load_dword v4, off, s[0:3], 0 offset:244
	s_waitcnt vmcnt(0)
	ds_write_b64 v1, v[3:4]
	buffer_store_dword v2, off, s[0:3], 0 offset:240
	buffer_store_dword v2, off, s[0:3], 0 offset:244
.LBB58_307:
	s_or_b64 exec, exec, s[4:5]
	s_waitcnt lgkmcnt(0)
	; wave barrier
	buffer_load_dword v23, off, s[0:3], 0 offset:252
	buffer_load_dword v24, off, s[0:3], 0 offset:260
	;; [unrolled: 1-line block ×34, first 2 shown]
	ds_read2_b64 v[3:6], v2 offset0:91 offset1:92
	ds_read2_b64 v[7:10], v2 offset0:93 offset1:94
	buffer_load_dword v179, off, s[0:3], 0 offset:380
	buffer_load_dword v180, off, s[0:3], 0 offset:376
	;; [unrolled: 1-line block ×6, first 2 shown]
	ds_read2_b64 v[11:14], v2 offset0:95 offset1:96
	ds_read2_b64 v[15:18], v2 offset0:97 offset1:98
	;; [unrolled: 1-line block ×4, first 2 shown]
	buffer_load_dword v185, off, s[0:3], 0 offset:404
	buffer_load_dword v186, off, s[0:3], 0 offset:400
	buffer_load_dword v187, off, s[0:3], 0 offset:408
	buffer_load_dword v188, off, s[0:3], 0 offset:412
	buffer_load_dword v189, off, s[0:3], 0 offset:416
	buffer_load_dword v190, off, s[0:3], 0 offset:420
	buffer_load_dword v191, off, s[0:3], 0 offset:424
	buffer_load_dword v192, off, s[0:3], 0 offset:428
	buffer_load_dword v193, off, s[0:3], 0 offset:432
	buffer_load_dword v194, off, s[0:3], 0 offset:436
	buffer_load_dword v195, off, s[0:3], 0 offset:440
	buffer_load_dword v196, off, s[0:3], 0 offset:444
	buffer_load_dword v197, off, s[0:3], 0 offset:448
	buffer_load_dword v198, off, s[0:3], 0 offset:452
	buffer_load_dword v199, off, s[0:3], 0 offset:456
	buffer_load_dword v200, off, s[0:3], 0 offset:460
	buffer_load_dword v201, off, s[0:3], 0 offset:464
	buffer_load_dword v202, off, s[0:3], 0 offset:468
	v_cmp_lt_u32_e32 vcc, 29, v0
	s_waitcnt vmcnt(57) lgkmcnt(5)
	v_mul_f32_e32 v146, v3, v23
	s_waitcnt vmcnt(56)
	v_mul_f32_e32 v147, v5, v24
	s_waitcnt vmcnt(55) lgkmcnt(4)
	v_mul_f32_e32 v148, v7, v25
	s_waitcnt vmcnt(54)
	v_mul_f32_e32 v149, v9, v26
	;; [unrolled: 4-line block ×4, first 2 shown]
	s_waitcnt vmcnt(49)
	v_fmac_f32_e32 v146, v4, v31
	s_waitcnt vmcnt(48)
	v_fmac_f32_e32 v147, v6, v32
	v_add_f32_e32 v146, 0, v146
	s_waitcnt vmcnt(47)
	v_fmac_f32_e32 v148, v8, v33
	v_add_f32_e32 v146, v146, v147
	;; [unrolled: 3-line block ×4, first 2 shown]
	v_mul_f32_e32 v4, v4, v23
	s_waitcnt vmcnt(44)
	v_fmac_f32_e32 v151, v14, v36
	v_add_f32_e32 v146, v146, v150
	v_fma_f32 v3, v3, v31, -v4
	v_mul_f32_e32 v4, v6, v24
	s_waitcnt vmcnt(43)
	v_fmac_f32_e32 v152, v16, v37
	v_add_f32_e32 v146, v146, v151
	v_add_f32_e32 v3, 0, v3
	v_fma_f32 v4, v5, v32, -v4
	s_waitcnt vmcnt(42)
	v_fmac_f32_e32 v153, v18, v38
	v_add_f32_e32 v146, v146, v152
	s_waitcnt vmcnt(41) lgkmcnt(1)
	v_mul_f32_e32 v147, v19, v39
	v_add_f32_e32 v3, v3, v4
	v_mul_f32_e32 v4, v8, v25
	v_add_f32_e32 v146, v146, v153
	s_waitcnt vmcnt(40)
	v_fmac_f32_e32 v147, v20, v40
	v_fma_f32 v4, v7, v33, -v4
	v_add_f32_e32 v146, v146, v147
	s_waitcnt vmcnt(39)
	v_mul_f32_e32 v147, v21, v41
	v_add_f32_e32 v3, v3, v4
	v_mul_f32_e32 v4, v10, v26
	s_waitcnt vmcnt(38)
	v_fmac_f32_e32 v147, v22, v42
	v_fma_f32 v4, v9, v34, -v4
	v_add_f32_e32 v146, v146, v147
	s_waitcnt vmcnt(37) lgkmcnt(0)
	v_mul_f32_e32 v147, v142, v43
	v_add_f32_e32 v3, v3, v4
	v_mul_f32_e32 v4, v12, v27
	s_waitcnt vmcnt(36)
	v_fmac_f32_e32 v147, v143, v44
	v_fma_f32 v4, v11, v35, -v4
	v_add_f32_e32 v150, v146, v147
	ds_read2_b64 v[146:149], v2 offset0:103 offset1:104
	v_add_f32_e32 v3, v3, v4
	v_mul_f32_e32 v4, v14, v28
	v_fma_f32 v4, v13, v36, -v4
	s_waitcnt vmcnt(35)
	v_mul_f32_e32 v151, v144, v45
	v_add_f32_e32 v3, v3, v4
	v_mul_f32_e32 v4, v16, v29
	s_waitcnt vmcnt(34)
	v_fmac_f32_e32 v151, v145, v46
	v_fma_f32 v4, v15, v37, -v4
	v_add_f32_e32 v154, v150, v151
	ds_read2_b64 v[150:153], v2 offset0:105 offset1:106
	v_add_f32_e32 v3, v3, v4
	v_mul_f32_e32 v4, v18, v30
	s_waitcnt vmcnt(33) lgkmcnt(1)
	v_mul_f32_e32 v155, v146, v47
	v_fma_f32 v4, v17, v38, -v4
	s_waitcnt vmcnt(32)
	v_fmac_f32_e32 v155, v147, v48
	v_add_f32_e32 v3, v3, v4
	v_mul_f32_e32 v4, v20, v39
	v_add_f32_e32 v154, v154, v155
	s_waitcnt vmcnt(31)
	v_mul_f32_e32 v155, v148, v49
	v_fma_f32 v4, v19, v40, -v4
	s_waitcnt vmcnt(30)
	v_fmac_f32_e32 v155, v149, v50
	v_add_f32_e32 v3, v3, v4
	v_mul_f32_e32 v4, v22, v41
	v_add_f32_e32 v154, v154, v155
	s_waitcnt vmcnt(29) lgkmcnt(0)
	v_mul_f32_e32 v155, v150, v51
	v_fma_f32 v4, v21, v42, -v4
	s_waitcnt vmcnt(28)
	v_fmac_f32_e32 v155, v151, v52
	v_add_f32_e32 v3, v3, v4
	v_mul_f32_e32 v4, v143, v43
	v_add_f32_e32 v158, v154, v155
	ds_read2_b64 v[154:157], v2 offset0:107 offset1:108
	v_fma_f32 v4, v142, v44, -v4
	v_add_f32_e32 v3, v3, v4
	v_mul_f32_e32 v4, v145, v45
	s_waitcnt vmcnt(25)
	v_mul_f32_e32 v159, v152, v55
	v_fma_f32 v4, v144, v46, -v4
	s_waitcnt vmcnt(24)
	v_fmac_f32_e32 v159, v153, v178
	v_add_f32_e32 v3, v3, v4
	v_mul_f32_e32 v4, v147, v47
	v_add_f32_e32 v162, v158, v159
	ds_read2_b64 v[158:161], v2 offset0:109 offset1:110
	v_fma_f32 v4, v146, v48, -v4
	s_waitcnt vmcnt(23) lgkmcnt(1)
	v_mul_f32_e32 v163, v154, v179
	v_add_f32_e32 v3, v3, v4
	v_mul_f32_e32 v4, v149, v49
	s_waitcnt vmcnt(22)
	v_fmac_f32_e32 v163, v155, v180
	v_fma_f32 v4, v148, v50, -v4
	v_add_f32_e32 v162, v162, v163
	s_waitcnt vmcnt(20)
	v_mul_f32_e32 v163, v156, v182
	v_add_f32_e32 v3, v3, v4
	v_mul_f32_e32 v4, v151, v51
	v_fmac_f32_e32 v163, v157, v181
	v_fma_f32 v4, v150, v52, -v4
	v_add_f32_e32 v162, v162, v163
	s_waitcnt vmcnt(18) lgkmcnt(0)
	v_mul_f32_e32 v163, v158, v184
	v_add_f32_e32 v3, v3, v4
	v_mul_f32_e32 v4, v153, v55
	v_fmac_f32_e32 v163, v159, v183
	v_fma_f32 v4, v152, v178, -v4
	v_add_f32_e32 v166, v162, v163
	ds_read2_b64 v[162:165], v2 offset0:111 offset1:112
	v_add_f32_e32 v3, v3, v4
	v_mul_f32_e32 v4, v155, v179
	v_fma_f32 v4, v154, v180, -v4
	s_waitcnt vmcnt(17)
	v_mul_f32_e32 v167, v160, v185
	v_add_f32_e32 v3, v3, v4
	v_mul_f32_e32 v4, v157, v182
	s_waitcnt vmcnt(16)
	v_fmac_f32_e32 v167, v161, v186
	v_fma_f32 v4, v156, v181, -v4
	v_add_f32_e32 v170, v166, v167
	ds_read2_b64 v[166:169], v2 offset0:113 offset1:114
	v_add_f32_e32 v3, v3, v4
	v_mul_f32_e32 v4, v159, v184
	s_waitcnt vmcnt(14) lgkmcnt(1)
	v_mul_f32_e32 v171, v162, v188
	v_fma_f32 v4, v158, v183, -v4
	v_fmac_f32_e32 v171, v163, v187
	v_add_f32_e32 v3, v3, v4
	v_mul_f32_e32 v4, v161, v185
	v_add_f32_e32 v170, v170, v171
	s_waitcnt vmcnt(12)
	v_mul_f32_e32 v171, v164, v190
	v_fma_f32 v4, v160, v186, -v4
	v_fmac_f32_e32 v171, v165, v189
	v_add_f32_e32 v3, v3, v4
	v_mul_f32_e32 v4, v163, v188
	v_add_f32_e32 v170, v170, v171
	s_waitcnt vmcnt(10) lgkmcnt(0)
	v_mul_f32_e32 v171, v166, v192
	v_fma_f32 v4, v162, v187, -v4
	v_fmac_f32_e32 v171, v167, v191
	v_add_f32_e32 v3, v3, v4
	v_mul_f32_e32 v4, v165, v190
	v_add_f32_e32 v174, v170, v171
	ds_read2_b64 v[170:173], v2 offset0:115 offset1:116
	v_fma_f32 v4, v164, v189, -v4
	v_add_f32_e32 v3, v3, v4
	v_mul_f32_e32 v4, v167, v192
	s_waitcnt vmcnt(8)
	v_mul_f32_e32 v175, v168, v194
	v_fma_f32 v4, v166, v191, -v4
	v_fmac_f32_e32 v175, v169, v193
	v_add_f32_e32 v3, v3, v4
	v_mul_f32_e32 v4, v169, v194
	v_add_f32_e32 v203, v174, v175
	ds_read2_b64 v[174:177], v2 offset0:117 offset1:118
	v_fma_f32 v4, v168, v193, -v4
	v_add_f32_e32 v3, v3, v4
	s_waitcnt vmcnt(6) lgkmcnt(1)
	v_mul_f32_e32 v4, v171, v196
	v_mul_f32_e32 v2, v170, v196
	v_fma_f32 v4, v170, v195, -v4
	v_fmac_f32_e32 v2, v171, v195
	v_add_f32_e32 v3, v3, v4
	s_waitcnt vmcnt(4)
	v_mul_f32_e32 v4, v173, v198
	v_add_f32_e32 v2, v203, v2
	v_mul_f32_e32 v203, v172, v198
	v_fma_f32 v4, v172, v197, -v4
	v_fmac_f32_e32 v203, v173, v197
	v_add_f32_e32 v3, v3, v4
	s_waitcnt vmcnt(2) lgkmcnt(0)
	v_mul_f32_e32 v4, v175, v200
	v_add_f32_e32 v2, v2, v203
	v_mul_f32_e32 v203, v174, v200
	v_fma_f32 v4, v174, v199, -v4
	v_fmac_f32_e32 v203, v175, v199
	v_add_f32_e32 v3, v3, v4
	s_waitcnt vmcnt(0)
	v_mul_f32_e32 v4, v177, v202
	v_add_f32_e32 v2, v2, v203
	v_mul_f32_e32 v203, v176, v202
	v_fma_f32 v4, v176, v201, -v4
	v_fmac_f32_e32 v203, v177, v201
	v_add_f32_e32 v3, v3, v4
	v_add_f32_e32 v2, v2, v203
	v_sub_f32_e32 v3, v53, v3
	v_sub_f32_e32 v2, v54, v2
	buffer_store_dword v3, off, s[0:3], 0 offset:240
	buffer_store_dword v2, off, s[0:3], 0 offset:244
	s_and_saveexec_b64 s[4:5], vcc
	s_cbranch_execz .LBB58_309
; %bb.308:
	buffer_load_dword v2, off, s[0:3], 0 offset:232
	buffer_load_dword v3, off, s[0:3], 0 offset:236
	v_mov_b32_e32 v4, 0
	buffer_store_dword v4, off, s[0:3], 0 offset:232
	buffer_store_dword v4, off, s[0:3], 0 offset:236
	s_waitcnt vmcnt(2)
	ds_write_b64 v1, v[2:3]
.LBB58_309:
	s_or_b64 exec, exec, s[4:5]
	s_waitcnt lgkmcnt(0)
	; wave barrier
	buffer_load_dword v25, off, s[0:3], 0 offset:244
	buffer_load_dword v26, off, s[0:3], 0 offset:252
	;; [unrolled: 1-line block ×60, first 2 shown]
	v_mov_b32_e32 v2, 0
	ds_read_b128 v[3:6], v2 offset:720
	ds_read_b128 v[7:10], v2 offset:736
	;; [unrolled: 1-line block ×12, first 2 shown]
	v_cmp_lt_u32_e32 vcc, 28, v0
	s_waitcnt vmcnt(59) lgkmcnt(11)
	v_mul_f32_e32 v23, v3, v25
	s_waitcnt vmcnt(58)
	v_mul_f32_e32 v24, v5, v26
	s_waitcnt vmcnt(57) lgkmcnt(10)
	v_mul_f32_e32 v142, v7, v27
	s_waitcnt vmcnt(56)
	v_mul_f32_e32 v143, v9, v28
	;; [unrolled: 4-line block ×3, first 2 shown]
	s_waitcnt vmcnt(53) lgkmcnt(8)
	v_mul_f32_e32 v146, v15, v31
	s_waitcnt vmcnt(52)
	v_fmac_f32_e32 v23, v4, v32
	v_mul_f32_e32 v4, v4, v25
	v_fma_f32 v3, v3, v32, -v4
	v_mul_f32_e32 v4, v6, v26
	v_add_f32_e32 v3, 0, v3
	s_waitcnt vmcnt(51)
	v_fma_f32 v4, v5, v33, -v4
	v_add_f32_e32 v3, v3, v4
	v_mul_f32_e32 v4, v8, v27
	s_waitcnt vmcnt(50)
	v_fma_f32 v4, v7, v34, -v4
	v_add_f32_e32 v3, v3, v4
	v_mul_f32_e32 v4, v10, v28
	s_waitcnt vmcnt(49)
	v_fma_f32 v4, v9, v35, -v4
	v_fmac_f32_e32 v24, v6, v33
	v_add_f32_e32 v23, 0, v23
	v_add_f32_e32 v3, v3, v4
	v_mul_f32_e32 v4, v12, v29
	v_fmac_f32_e32 v142, v8, v34
	v_add_f32_e32 v23, v23, v24
	s_waitcnt vmcnt(48)
	v_fma_f32 v4, v11, v36, -v4
	v_fmac_f32_e32 v143, v10, v35
	v_add_f32_e32 v23, v23, v142
	v_add_f32_e32 v3, v3, v4
	v_mul_f32_e32 v4, v14, v30
	v_fmac_f32_e32 v144, v12, v36
	v_add_f32_e32 v23, v23, v143
	s_waitcnt vmcnt(47)
	v_fma_f32 v4, v13, v37, -v4
	v_fmac_f32_e32 v145, v14, v37
	v_add_f32_e32 v23, v23, v144
	v_add_f32_e32 v3, v3, v4
	v_mul_f32_e32 v4, v16, v31
	s_waitcnt vmcnt(46)
	v_fmac_f32_e32 v146, v16, v38
	v_add_f32_e32 v23, v23, v145
	s_waitcnt vmcnt(45)
	v_mul_f32_e32 v24, v17, v39
	v_fma_f32 v4, v15, v38, -v4
	v_add_f32_e32 v23, v23, v146
	s_waitcnt vmcnt(44)
	v_fmac_f32_e32 v24, v18, v40
	ds_read_b128 v[142:145], v2 offset:800
	ds_read_b128 v[146:149], v2 offset:816
	v_add_f32_e32 v3, v3, v4
	v_mul_f32_e32 v4, v18, v39
	v_add_f32_e32 v23, v23, v24
	s_waitcnt vmcnt(43) lgkmcnt(9)
	v_mul_f32_e32 v24, v19, v41
	v_fma_f32 v4, v17, v40, -v4
	s_waitcnt vmcnt(42)
	v_fmac_f32_e32 v24, v20, v42
	v_add_f32_e32 v3, v3, v4
	v_mul_f32_e32 v4, v20, v41
	v_add_f32_e32 v23, v23, v24
	s_waitcnt vmcnt(41)
	v_mul_f32_e32 v24, v21, v43
	v_fma_f32 v4, v19, v42, -v4
	s_waitcnt vmcnt(40)
	v_fmac_f32_e32 v24, v22, v44
	v_add_f32_e32 v3, v3, v4
	v_mul_f32_e32 v4, v22, v43
	v_add_f32_e32 v23, v23, v24
	s_waitcnt vmcnt(39) lgkmcnt(1)
	v_mul_f32_e32 v24, v142, v45
	v_fma_f32 v4, v21, v44, -v4
	s_waitcnt vmcnt(38)
	v_fmac_f32_e32 v24, v143, v46
	v_add_f32_e32 v3, v3, v4
	v_mul_f32_e32 v4, v143, v45
	v_add_f32_e32 v23, v23, v24
	s_waitcnt vmcnt(37)
	v_mul_f32_e32 v24, v144, v47
	v_fma_f32 v4, v142, v46, -v4
	s_waitcnt vmcnt(36)
	v_fmac_f32_e32 v24, v145, v48
	v_add_f32_e32 v3, v3, v4
	v_mul_f32_e32 v4, v145, v47
	v_add_f32_e32 v23, v23, v24
	s_waitcnt vmcnt(34) lgkmcnt(0)
	v_mul_f32_e32 v24, v146, v50
	v_fma_f32 v4, v144, v48, -v4
	v_fmac_f32_e32 v24, v147, v49
	v_add_f32_e32 v3, v3, v4
	v_mul_f32_e32 v4, v147, v50
	v_add_f32_e32 v23, v23, v24
	s_waitcnt vmcnt(31)
	v_mul_f32_e32 v24, v148, v53
	v_fma_f32 v4, v146, v49, -v4
	s_waitcnt vmcnt(30)
	v_fmac_f32_e32 v24, v149, v54
	v_add_f32_e32 v3, v3, v4
	v_mul_f32_e32 v4, v149, v53
	v_add_f32_e32 v23, v23, v24
	s_waitcnt vmcnt(28)
	v_mul_f32_e32 v24, v150, v178
	v_fma_f32 v4, v148, v54, -v4
	v_fmac_f32_e32 v24, v151, v55
	v_add_f32_e32 v3, v3, v4
	v_mul_f32_e32 v4, v151, v178
	v_add_f32_e32 v23, v23, v24
	s_waitcnt vmcnt(26)
	v_mul_f32_e32 v24, v152, v180
	v_fma_f32 v4, v150, v55, -v4
	;; [unrolled: 7-line block ×12, first 2 shown]
	v_fmac_f32_e32 v24, v173, v199
	v_add_f32_e32 v3, v3, v4
	v_mul_f32_e32 v4, v173, v200
	v_add_f32_e32 v207, v23, v24
	ds_read_b64 v[23:24], v2 offset:944
	v_fma_f32 v4, v172, v199, -v4
	v_add_f32_e32 v3, v3, v4
	s_waitcnt vmcnt(4)
	v_mul_f32_e32 v4, v175, v202
	v_mul_f32_e32 v208, v174, v202
	v_fma_f32 v4, v174, v201, -v4
	v_fmac_f32_e32 v208, v175, v201
	v_add_f32_e32 v3, v3, v4
	s_waitcnt vmcnt(2)
	v_mul_f32_e32 v4, v177, v204
	v_add_f32_e32 v207, v207, v208
	v_mul_f32_e32 v208, v176, v204
	v_fma_f32 v4, v176, v203, -v4
	v_fmac_f32_e32 v208, v177, v203
	v_add_f32_e32 v3, v3, v4
	s_waitcnt vmcnt(0) lgkmcnt(0)
	v_mul_f32_e32 v4, v24, v206
	v_add_f32_e32 v207, v207, v208
	v_mul_f32_e32 v208, v23, v206
	v_fma_f32 v4, v23, v205, -v4
	v_fmac_f32_e32 v208, v24, v205
	v_add_f32_e32 v3, v3, v4
	v_add_f32_e32 v207, v207, v208
	v_sub_f32_e32 v3, v51, v3
	v_sub_f32_e32 v4, v52, v207
	buffer_store_dword v3, off, s[0:3], 0 offset:232
	buffer_store_dword v4, off, s[0:3], 0 offset:236
	s_and_saveexec_b64 s[4:5], vcc
	s_cbranch_execz .LBB58_311
; %bb.310:
	buffer_load_dword v3, off, s[0:3], 0 offset:224
	buffer_load_dword v4, off, s[0:3], 0 offset:228
	s_waitcnt vmcnt(0)
	ds_write_b64 v1, v[3:4]
	buffer_store_dword v2, off, s[0:3], 0 offset:224
	buffer_store_dword v2, off, s[0:3], 0 offset:228
.LBB58_311:
	s_or_b64 exec, exec, s[4:5]
	s_waitcnt lgkmcnt(0)
	; wave barrier
	buffer_load_dword v23, off, s[0:3], 0 offset:236
	buffer_load_dword v24, off, s[0:3], 0 offset:244
	;; [unrolled: 1-line block ×32, first 2 shown]
	ds_read2_b64 v[3:6], v2 offset0:89 offset1:90
	ds_read2_b64 v[7:10], v2 offset0:91 offset1:92
	;; [unrolled: 1-line block ×4, first 2 shown]
	buffer_load_dword v55, off, s[0:3], 0 offset:356
	buffer_load_dword v182, off, s[0:3], 0 offset:352
	;; [unrolled: 1-line block ×30, first 2 shown]
	v_cmp_lt_u32_e32 vcc, 27, v0
	s_waitcnt vmcnt(61) lgkmcnt(3)
	v_mul_f32_e32 v19, v3, v23
	s_waitcnt vmcnt(60)
	v_mul_f32_e32 v20, v5, v24
	s_waitcnt vmcnt(59) lgkmcnt(2)
	v_mul_f32_e32 v21, v7, v25
	s_waitcnt vmcnt(58)
	v_mul_f32_e32 v22, v9, v26
	s_waitcnt vmcnt(57) lgkmcnt(1)
	v_mul_f32_e32 v142, v11, v27
	s_waitcnt vmcnt(56)
	v_mul_f32_e32 v143, v13, v28
	s_waitcnt vmcnt(55) lgkmcnt(0)
	v_mul_f32_e32 v144, v15, v29
	s_waitcnt vmcnt(54)
	v_fmac_f32_e32 v19, v4, v30
	s_waitcnt vmcnt(53)
	v_fmac_f32_e32 v20, v6, v31
	v_add_f32_e32 v19, 0, v19
	s_waitcnt vmcnt(52)
	v_fmac_f32_e32 v21, v8, v32
	v_add_f32_e32 v19, v19, v20
	;; [unrolled: 3-line block ×6, first 2 shown]
	v_add_f32_e32 v142, v19, v144
	ds_read2_b64 v[19:22], v2 offset0:97 offset1:98
	s_waitcnt vmcnt(47)
	v_mul_f32_e32 v143, v17, v37
	s_waitcnt vmcnt(46)
	v_fmac_f32_e32 v143, v18, v38
	v_mul_f32_e32 v4, v4, v23
	v_add_f32_e32 v146, v142, v143
	ds_read2_b64 v[142:145], v2 offset0:99 offset1:100
	v_fma_f32 v3, v3, v30, -v4
	v_mul_f32_e32 v4, v6, v24
	s_waitcnt vmcnt(45) lgkmcnt(1)
	v_mul_f32_e32 v147, v19, v39
	v_add_f32_e32 v3, 0, v3
	v_fma_f32 v4, v5, v31, -v4
	s_waitcnt vmcnt(44)
	v_fmac_f32_e32 v147, v20, v40
	v_add_f32_e32 v3, v3, v4
	v_mul_f32_e32 v4, v8, v25
	v_add_f32_e32 v146, v146, v147
	s_waitcnt vmcnt(43)
	v_mul_f32_e32 v147, v21, v41
	v_fma_f32 v4, v7, v32, -v4
	s_waitcnt vmcnt(42)
	v_fmac_f32_e32 v147, v22, v42
	v_add_f32_e32 v3, v3, v4
	v_mul_f32_e32 v4, v10, v26
	v_add_f32_e32 v146, v146, v147
	s_waitcnt vmcnt(41) lgkmcnt(0)
	v_mul_f32_e32 v147, v142, v43
	v_fma_f32 v4, v9, v33, -v4
	s_waitcnt vmcnt(40)
	v_fmac_f32_e32 v147, v143, v44
	v_add_f32_e32 v3, v3, v4
	v_mul_f32_e32 v4, v12, v27
	v_add_f32_e32 v150, v146, v147
	ds_read2_b64 v[146:149], v2 offset0:101 offset1:102
	v_fma_f32 v4, v11, v34, -v4
	v_add_f32_e32 v3, v3, v4
	v_mul_f32_e32 v4, v14, v28
	s_waitcnt vmcnt(39)
	v_mul_f32_e32 v151, v144, v45
	v_fma_f32 v4, v13, v35, -v4
	s_waitcnt vmcnt(38)
	v_fmac_f32_e32 v151, v145, v46
	v_add_f32_e32 v3, v3, v4
	v_mul_f32_e32 v4, v16, v29
	v_add_f32_e32 v154, v150, v151
	ds_read2_b64 v[150:153], v2 offset0:103 offset1:104
	v_fma_f32 v4, v15, v36, -v4
	s_waitcnt vmcnt(35) lgkmcnt(1)
	v_mul_f32_e32 v155, v146, v49
	v_add_f32_e32 v3, v3, v4
	v_mul_f32_e32 v4, v18, v37
	s_waitcnt vmcnt(34)
	v_fmac_f32_e32 v155, v147, v50
	v_fma_f32 v4, v17, v38, -v4
	v_add_f32_e32 v154, v154, v155
	s_waitcnt vmcnt(32)
	v_mul_f32_e32 v155, v148, v52
	v_add_f32_e32 v3, v3, v4
	v_mul_f32_e32 v4, v20, v39
	v_fmac_f32_e32 v155, v149, v51
	v_fma_f32 v4, v19, v40, -v4
	v_add_f32_e32 v154, v154, v155
	s_waitcnt vmcnt(30) lgkmcnt(0)
	v_mul_f32_e32 v155, v150, v54
	v_add_f32_e32 v3, v3, v4
	v_mul_f32_e32 v4, v22, v41
	v_fmac_f32_e32 v155, v151, v53
	v_fma_f32 v4, v21, v42, -v4
	v_add_f32_e32 v158, v154, v155
	ds_read2_b64 v[154:157], v2 offset0:105 offset1:106
	v_add_f32_e32 v3, v3, v4
	v_mul_f32_e32 v4, v143, v43
	v_fma_f32 v4, v142, v44, -v4
	s_waitcnt vmcnt(29)
	v_mul_f32_e32 v159, v152, v55
	v_add_f32_e32 v3, v3, v4
	v_mul_f32_e32 v4, v145, v45
	s_waitcnt vmcnt(28)
	v_fmac_f32_e32 v159, v153, v182
	v_fma_f32 v4, v144, v46, -v4
	v_add_f32_e32 v162, v158, v159
	ds_read2_b64 v[158:161], v2 offset0:107 offset1:108
	v_add_f32_e32 v3, v3, v4
	v_mul_f32_e32 v4, v147, v49
	s_waitcnt vmcnt(26) lgkmcnt(1)
	v_mul_f32_e32 v163, v154, v184
	v_fma_f32 v4, v146, v50, -v4
	v_fmac_f32_e32 v163, v155, v183
	v_add_f32_e32 v3, v3, v4
	v_mul_f32_e32 v4, v149, v52
	v_add_f32_e32 v162, v162, v163
	s_waitcnt vmcnt(24)
	v_mul_f32_e32 v163, v156, v186
	v_fma_f32 v4, v148, v51, -v4
	v_fmac_f32_e32 v163, v157, v185
	v_add_f32_e32 v3, v3, v4
	v_mul_f32_e32 v4, v151, v54
	v_add_f32_e32 v162, v162, v163
	s_waitcnt vmcnt(22) lgkmcnt(0)
	v_mul_f32_e32 v163, v158, v188
	v_fma_f32 v4, v150, v53, -v4
	v_fmac_f32_e32 v163, v159, v187
	v_add_f32_e32 v3, v3, v4
	v_mul_f32_e32 v4, v153, v55
	v_add_f32_e32 v166, v162, v163
	ds_read2_b64 v[162:165], v2 offset0:109 offset1:110
	v_fma_f32 v4, v152, v182, -v4
	v_add_f32_e32 v3, v3, v4
	v_mul_f32_e32 v4, v155, v184
	s_waitcnt vmcnt(20)
	v_mul_f32_e32 v167, v160, v190
	v_fma_f32 v4, v154, v183, -v4
	v_fmac_f32_e32 v167, v161, v189
	v_add_f32_e32 v3, v3, v4
	v_mul_f32_e32 v4, v157, v186
	v_add_f32_e32 v170, v166, v167
	ds_read2_b64 v[166:169], v2 offset0:111 offset1:112
	v_fma_f32 v4, v156, v185, -v4
	s_waitcnt vmcnt(18) lgkmcnt(1)
	v_mul_f32_e32 v171, v162, v192
	v_add_f32_e32 v3, v3, v4
	v_mul_f32_e32 v4, v159, v188
	v_fmac_f32_e32 v171, v163, v191
	v_fma_f32 v4, v158, v187, -v4
	v_add_f32_e32 v170, v170, v171
	s_waitcnt vmcnt(16)
	v_mul_f32_e32 v171, v164, v194
	v_add_f32_e32 v3, v3, v4
	v_mul_f32_e32 v4, v161, v190
	v_fmac_f32_e32 v171, v165, v193
	v_fma_f32 v4, v160, v189, -v4
	v_add_f32_e32 v170, v170, v171
	s_waitcnt vmcnt(14) lgkmcnt(0)
	v_mul_f32_e32 v171, v166, v196
	v_add_f32_e32 v3, v3, v4
	v_mul_f32_e32 v4, v163, v192
	v_fmac_f32_e32 v171, v167, v195
	v_fma_f32 v4, v162, v191, -v4
	v_add_f32_e32 v174, v170, v171
	ds_read2_b64 v[170:173], v2 offset0:113 offset1:114
	v_add_f32_e32 v3, v3, v4
	v_mul_f32_e32 v4, v165, v194
	v_fma_f32 v4, v164, v193, -v4
	v_add_f32_e32 v3, v3, v4
	v_mul_f32_e32 v4, v167, v196
	s_waitcnt vmcnt(12)
	v_mul_f32_e32 v175, v168, v198
	v_fma_f32 v4, v166, v195, -v4
	v_fmac_f32_e32 v175, v169, v197
	v_add_f32_e32 v3, v3, v4
	v_mul_f32_e32 v4, v169, v198
	v_add_f32_e32 v178, v174, v175
	ds_read2_b64 v[174:177], v2 offset0:115 offset1:116
	s_waitcnt vmcnt(10) lgkmcnt(1)
	v_mul_f32_e32 v179, v170, v200
	v_fma_f32 v4, v168, v197, -v4
	v_fmac_f32_e32 v179, v171, v199
	v_add_f32_e32 v3, v3, v4
	v_mul_f32_e32 v4, v171, v200
	v_add_f32_e32 v178, v178, v179
	s_waitcnt vmcnt(8)
	v_mul_f32_e32 v179, v172, v202
	v_fma_f32 v4, v170, v199, -v4
	v_fmac_f32_e32 v179, v173, v201
	v_add_f32_e32 v3, v3, v4
	v_mul_f32_e32 v4, v173, v202
	v_add_f32_e32 v211, v178, v179
	ds_read2_b64 v[178:181], v2 offset0:117 offset1:118
	v_fma_f32 v4, v172, v201, -v4
	v_add_f32_e32 v3, v3, v4
	s_waitcnt vmcnt(6) lgkmcnt(1)
	v_mul_f32_e32 v4, v175, v204
	v_mul_f32_e32 v212, v174, v204
	v_fma_f32 v4, v174, v203, -v4
	v_fmac_f32_e32 v212, v175, v203
	v_add_f32_e32 v3, v3, v4
	s_waitcnt vmcnt(4)
	v_mul_f32_e32 v4, v177, v206
	v_add_f32_e32 v2, v211, v212
	v_mul_f32_e32 v211, v176, v206
	v_fma_f32 v4, v176, v205, -v4
	v_fmac_f32_e32 v211, v177, v205
	v_add_f32_e32 v3, v3, v4
	s_waitcnt vmcnt(2) lgkmcnt(0)
	v_mul_f32_e32 v4, v179, v208
	v_add_f32_e32 v2, v2, v211
	v_mul_f32_e32 v211, v178, v208
	v_fma_f32 v4, v178, v207, -v4
	v_fmac_f32_e32 v211, v179, v207
	v_add_f32_e32 v3, v3, v4
	s_waitcnt vmcnt(0)
	v_mul_f32_e32 v4, v181, v210
	v_add_f32_e32 v2, v2, v211
	v_mul_f32_e32 v211, v180, v210
	v_fma_f32 v4, v180, v209, -v4
	v_fmac_f32_e32 v211, v181, v209
	v_add_f32_e32 v3, v3, v4
	v_add_f32_e32 v2, v2, v211
	v_sub_f32_e32 v3, v47, v3
	v_sub_f32_e32 v2, v48, v2
	buffer_store_dword v3, off, s[0:3], 0 offset:224
	buffer_store_dword v2, off, s[0:3], 0 offset:228
	s_and_saveexec_b64 s[4:5], vcc
	s_cbranch_execz .LBB58_313
; %bb.312:
	buffer_load_dword v2, off, s[0:3], 0 offset:216
	buffer_load_dword v3, off, s[0:3], 0 offset:220
	v_mov_b32_e32 v4, 0
	buffer_store_dword v4, off, s[0:3], 0 offset:216
	buffer_store_dword v4, off, s[0:3], 0 offset:220
	s_waitcnt vmcnt(2)
	ds_write_b64 v1, v[2:3]
.LBB58_313:
	s_or_b64 exec, exec, s[4:5]
	s_waitcnt lgkmcnt(0)
	; wave barrier
	buffer_load_dword v25, off, s[0:3], 0 offset:228
	buffer_load_dword v26, off, s[0:3], 0 offset:236
	buffer_load_dword v27, off, s[0:3], 0 offset:244
	buffer_load_dword v28, off, s[0:3], 0 offset:252
	buffer_load_dword v29, off, s[0:3], 0 offset:260
	buffer_load_dword v30, off, s[0:3], 0 offset:268
	buffer_load_dword v31, off, s[0:3], 0 offset:276
	buffer_load_dword v32, off, s[0:3], 0 offset:284
	buffer_load_dword v33, off, s[0:3], 0 offset:224
	buffer_load_dword v34, off, s[0:3], 0 offset:232
	buffer_load_dword v35, off, s[0:3], 0 offset:240
	buffer_load_dword v36, off, s[0:3], 0 offset:248
	buffer_load_dword v37, off, s[0:3], 0 offset:256
	buffer_load_dword v38, off, s[0:3], 0 offset:264
	buffer_load_dword v39, off, s[0:3], 0 offset:272
	buffer_load_dword v40, off, s[0:3], 0 offset:280
	buffer_load_dword v41, off, s[0:3], 0 offset:292
	buffer_load_dword v42, off, s[0:3], 0 offset:288
	buffer_load_dword v43, off, s[0:3], 0 offset:300
	buffer_load_dword v44, off, s[0:3], 0 offset:296
	buffer_load_dword v45, off, s[0:3], 0 offset:304
	buffer_load_dword v46, off, s[0:3], 0 offset:308
	buffer_load_dword v47, off, s[0:3], 0 offset:216
	buffer_load_dword v48, off, s[0:3], 0 offset:220
	v_mov_b32_e32 v2, 0
	buffer_load_dword v49, off, s[0:3], 0 offset:316
	buffer_load_dword v50, off, s[0:3], 0 offset:312
	;; [unrolled: 1-line block ×32, first 2 shown]
	ds_read_b128 v[3:6], v2 offset:704
	buffer_load_dword v207, off, s[0:3], 0 offset:440
	buffer_load_dword v208, off, s[0:3], 0 offset:444
	buffer_load_dword v209, off, s[0:3], 0 offset:448
	buffer_load_dword v210, off, s[0:3], 0 offset:452
	ds_read_b128 v[7:10], v2 offset:720
	ds_read_b128 v[11:14], v2 offset:736
	;; [unrolled: 1-line block ×3, first 2 shown]
	v_cmp_lt_u32_e32 vcc, 26, v0
	s_waitcnt vmcnt(59) lgkmcnt(3)
	v_mul_f32_e32 v19, v3, v25
	s_waitcnt vmcnt(58)
	v_mul_f32_e32 v20, v5, v26
	s_waitcnt vmcnt(57) lgkmcnt(2)
	v_mul_f32_e32 v21, v7, v27
	s_waitcnt vmcnt(56)
	v_mul_f32_e32 v22, v9, v28
	;; [unrolled: 4-line block ×4, first 2 shown]
	s_waitcnt vmcnt(51)
	v_fmac_f32_e32 v19, v4, v33
	s_waitcnt vmcnt(50)
	v_fmac_f32_e32 v20, v6, v34
	v_add_f32_e32 v19, 0, v19
	s_waitcnt vmcnt(49)
	v_fmac_f32_e32 v21, v8, v35
	v_add_f32_e32 v19, v19, v20
	;; [unrolled: 3-line block ×6, first 2 shown]
	v_add_f32_e32 v23, v19, v142
	ds_read_b128 v[19:22], v2 offset:768
	buffer_load_dword v211, off, s[0:3], 0 offset:460
	buffer_load_dword v212, off, s[0:3], 0 offset:456
	;; [unrolled: 1-line block ×4, first 2 shown]
	v_mul_f32_e32 v4, v4, v25
	v_fma_f32 v3, v3, v33, -v4
	v_mul_f32_e32 v4, v6, v26
	v_add_f32_e32 v3, 0, v3
	v_fma_f32 v4, v5, v34, -v4
	v_add_f32_e32 v3, v3, v4
	v_mul_f32_e32 v4, v8, v27
	v_fma_f32 v4, v7, v35, -v4
	v_add_f32_e32 v3, v3, v4
	v_mul_f32_e32 v4, v10, v28
	;; [unrolled: 3-line block ×5, first 2 shown]
	s_waitcnt vmcnt(48)
	v_fmac_f32_e32 v143, v18, v40
	v_fma_f32 v4, v15, v39, -v4
	v_add_f32_e32 v23, v23, v143
	ds_read_b128 v[142:145], v2 offset:784
	ds_read_b128 v[146:149], v2 offset:800
	v_add_f32_e32 v3, v3, v4
	v_mul_f32_e32 v4, v18, v32
	s_waitcnt vmcnt(47) lgkmcnt(2)
	v_mul_f32_e32 v24, v19, v41
	v_fma_f32 v4, v17, v40, -v4
	s_waitcnt vmcnt(46)
	v_fmac_f32_e32 v24, v20, v42
	v_add_f32_e32 v3, v3, v4
	v_mul_f32_e32 v4, v20, v41
	v_add_f32_e32 v23, v23, v24
	s_waitcnt vmcnt(45)
	v_mul_f32_e32 v24, v21, v43
	v_fma_f32 v4, v19, v42, -v4
	s_waitcnt vmcnt(44)
	v_fmac_f32_e32 v24, v22, v44
	v_add_f32_e32 v3, v3, v4
	v_mul_f32_e32 v4, v22, v43
	v_add_f32_e32 v23, v23, v24
	s_waitcnt vmcnt(42) lgkmcnt(1)
	v_mul_f32_e32 v24, v142, v46
	v_fma_f32 v4, v21, v44, -v4
	v_fmac_f32_e32 v24, v143, v45
	v_add_f32_e32 v3, v3, v4
	v_mul_f32_e32 v4, v143, v46
	v_add_f32_e32 v23, v23, v24
	s_waitcnt vmcnt(39)
	v_mul_f32_e32 v24, v144, v49
	v_fma_f32 v4, v142, v45, -v4
	s_waitcnt vmcnt(38)
	v_fmac_f32_e32 v24, v145, v50
	ds_read_b128 v[150:153], v2 offset:816
	ds_read_b128 v[154:157], v2 offset:832
	v_add_f32_e32 v3, v3, v4
	v_mul_f32_e32 v4, v145, v49
	v_add_f32_e32 v23, v23, v24
	s_waitcnt vmcnt(36) lgkmcnt(2)
	v_mul_f32_e32 v24, v146, v52
	v_fma_f32 v4, v144, v50, -v4
	v_fmac_f32_e32 v24, v147, v51
	v_add_f32_e32 v3, v3, v4
	v_mul_f32_e32 v4, v147, v52
	v_add_f32_e32 v23, v23, v24
	s_waitcnt vmcnt(34)
	v_mul_f32_e32 v24, v148, v54
	v_fma_f32 v4, v146, v51, -v4
	v_fmac_f32_e32 v24, v149, v53
	v_add_f32_e32 v3, v3, v4
	v_mul_f32_e32 v4, v149, v54
	v_add_f32_e32 v23, v23, v24
	s_waitcnt vmcnt(32) lgkmcnt(1)
	v_mul_f32_e32 v24, v150, v182
	v_fma_f32 v4, v148, v53, -v4
	v_fmac_f32_e32 v24, v151, v55
	v_add_f32_e32 v3, v3, v4
	v_mul_f32_e32 v4, v151, v182
	v_add_f32_e32 v23, v23, v24
	s_waitcnt vmcnt(30)
	v_mul_f32_e32 v24, v152, v184
	v_fma_f32 v4, v150, v55, -v4
	v_fmac_f32_e32 v24, v153, v183
	ds_read_b128 v[158:161], v2 offset:848
	ds_read_b128 v[162:165], v2 offset:864
	v_add_f32_e32 v3, v3, v4
	v_mul_f32_e32 v4, v153, v184
	v_add_f32_e32 v23, v23, v24
	s_waitcnt vmcnt(28) lgkmcnt(2)
	v_mul_f32_e32 v24, v154, v186
	v_fma_f32 v4, v152, v183, -v4
	v_fmac_f32_e32 v24, v155, v185
	v_add_f32_e32 v3, v3, v4
	v_mul_f32_e32 v4, v155, v186
	v_add_f32_e32 v23, v23, v24
	s_waitcnt vmcnt(26)
	v_mul_f32_e32 v24, v156, v188
	v_fma_f32 v4, v154, v185, -v4
	v_fmac_f32_e32 v24, v157, v187
	v_add_f32_e32 v3, v3, v4
	v_mul_f32_e32 v4, v157, v188
	v_add_f32_e32 v23, v23, v24
	s_waitcnt vmcnt(24) lgkmcnt(1)
	v_mul_f32_e32 v24, v158, v190
	v_fma_f32 v4, v156, v187, -v4
	v_fmac_f32_e32 v24, v159, v189
	v_add_f32_e32 v3, v3, v4
	v_mul_f32_e32 v4, v159, v190
	v_add_f32_e32 v23, v23, v24
	s_waitcnt vmcnt(22)
	v_mul_f32_e32 v24, v160, v192
	v_fma_f32 v4, v158, v189, -v4
	;; [unrolled: 30-line block ×4, first 2 shown]
	v_fmac_f32_e32 v24, v177, v207
	v_add_f32_e32 v3, v3, v4
	v_mul_f32_e32 v4, v177, v208
	v_add_f32_e32 v215, v23, v24
	ds_read_b64 v[23:24], v2 offset:944
	v_fma_f32 v4, v176, v207, -v4
	v_add_f32_e32 v3, v3, v4
	s_waitcnt vmcnt(4) lgkmcnt(1)
	v_mul_f32_e32 v4, v179, v210
	v_mul_f32_e32 v216, v178, v210
	v_fma_f32 v4, v178, v209, -v4
	v_fmac_f32_e32 v216, v179, v209
	v_add_f32_e32 v3, v3, v4
	s_waitcnt vmcnt(3)
	v_mul_f32_e32 v4, v181, v211
	v_add_f32_e32 v215, v215, v216
	v_mul_f32_e32 v216, v180, v211
	s_waitcnt vmcnt(2)
	v_fma_f32 v4, v180, v212, -v4
	v_fmac_f32_e32 v216, v181, v212
	v_add_f32_e32 v3, v3, v4
	s_waitcnt vmcnt(0) lgkmcnt(0)
	v_mul_f32_e32 v4, v24, v214
	v_add_f32_e32 v215, v215, v216
	v_mul_f32_e32 v216, v23, v214
	v_fma_f32 v4, v23, v213, -v4
	v_fmac_f32_e32 v216, v24, v213
	v_add_f32_e32 v3, v3, v4
	v_add_f32_e32 v215, v215, v216
	v_sub_f32_e32 v3, v47, v3
	v_sub_f32_e32 v4, v48, v215
	buffer_store_dword v3, off, s[0:3], 0 offset:216
	buffer_store_dword v4, off, s[0:3], 0 offset:220
	s_and_saveexec_b64 s[4:5], vcc
	s_cbranch_execz .LBB58_315
; %bb.314:
	buffer_load_dword v3, off, s[0:3], 0 offset:208
	buffer_load_dword v4, off, s[0:3], 0 offset:212
	s_waitcnt vmcnt(0)
	ds_write_b64 v1, v[3:4]
	buffer_store_dword v2, off, s[0:3], 0 offset:208
	buffer_store_dword v2, off, s[0:3], 0 offset:212
.LBB58_315:
	s_or_b64 exec, exec, s[4:5]
	s_waitcnt lgkmcnt(0)
	; wave barrier
	buffer_load_dword v23, off, s[0:3], 0 offset:220
	buffer_load_dword v24, off, s[0:3], 0 offset:228
	;; [unrolled: 1-line block ×26, first 2 shown]
	ds_read2_b64 v[3:6], v2 offset0:87 offset1:88
	ds_read2_b64 v[7:10], v2 offset0:89 offset1:90
	;; [unrolled: 1-line block ×4, first 2 shown]
	buffer_load_dword v49, off, s[0:3], 0 offset:316
	buffer_load_dword v50, off, s[0:3], 0 offset:312
	buffer_load_dword v51, off, s[0:3], 0 offset:320
	buffer_load_dword v52, off, s[0:3], 0 offset:324
	buffer_load_dword v53, off, s[0:3], 0 offset:328
	buffer_load_dword v54, off, s[0:3], 0 offset:332
	buffer_load_dword v55, off, s[0:3], 0 offset:336
	buffer_load_dword v186, off, s[0:3], 0 offset:340
	buffer_load_dword v187, off, s[0:3], 0 offset:344
	buffer_load_dword v188, off, s[0:3], 0 offset:348
	buffer_load_dword v189, off, s[0:3], 0 offset:352
	buffer_load_dword v190, off, s[0:3], 0 offset:356
	buffer_load_dword v191, off, s[0:3], 0 offset:360
	buffer_load_dword v192, off, s[0:3], 0 offset:364
	buffer_load_dword v193, off, s[0:3], 0 offset:368
	buffer_load_dword v194, off, s[0:3], 0 offset:372
	buffer_load_dword v195, off, s[0:3], 0 offset:376
	buffer_load_dword v196, off, s[0:3], 0 offset:380
	buffer_load_dword v197, off, s[0:3], 0 offset:384
	buffer_load_dword v198, off, s[0:3], 0 offset:388
	buffer_load_dword v199, off, s[0:3], 0 offset:392
	buffer_load_dword v200, off, s[0:3], 0 offset:396
	buffer_load_dword v201, off, s[0:3], 0 offset:400
	buffer_load_dword v202, off, s[0:3], 0 offset:404
	buffer_load_dword v203, off, s[0:3], 0 offset:408
	buffer_load_dword v204, off, s[0:3], 0 offset:412
	buffer_load_dword v205, off, s[0:3], 0 offset:416
	buffer_load_dword v206, off, s[0:3], 0 offset:420
	buffer_load_dword v207, off, s[0:3], 0 offset:424
	buffer_load_dword v208, off, s[0:3], 0 offset:428
	buffer_load_dword v209, off, s[0:3], 0 offset:432
	buffer_load_dword v210, off, s[0:3], 0 offset:436
	buffer_load_dword v211, off, s[0:3], 0 offset:440
	buffer_load_dword v212, off, s[0:3], 0 offset:444
	v_cmp_lt_u32_e32 vcc, 25, v0
	s_waitcnt vmcnt(59) lgkmcnt(3)
	v_mul_f32_e32 v19, v3, v23
	s_waitcnt vmcnt(58)
	v_mul_f32_e32 v20, v5, v24
	s_waitcnt vmcnt(57) lgkmcnt(2)
	v_mul_f32_e32 v21, v7, v25
	s_waitcnt vmcnt(56)
	v_mul_f32_e32 v22, v9, v26
	s_waitcnt vmcnt(55) lgkmcnt(1)
	v_mul_f32_e32 v142, v11, v27
	s_waitcnt vmcnt(54)
	v_mul_f32_e32 v143, v13, v28
	s_waitcnt vmcnt(53) lgkmcnt(0)
	v_mul_f32_e32 v144, v15, v29
	s_waitcnt vmcnt(52)
	v_mul_f32_e32 v145, v17, v30
	s_waitcnt vmcnt(51)
	v_fmac_f32_e32 v19, v4, v31
	s_waitcnt vmcnt(50)
	v_fmac_f32_e32 v20, v6, v32
	v_add_f32_e32 v19, 0, v19
	s_waitcnt vmcnt(49)
	v_fmac_f32_e32 v21, v8, v33
	v_add_f32_e32 v19, v19, v20
	;; [unrolled: 3-line block ×7, first 2 shown]
	v_add_f32_e32 v146, v19, v145
	ds_read2_b64 v[19:22], v2 offset0:95 offset1:96
	buffer_load_dword v213, off, s[0:3], 0 offset:452
	buffer_load_dword v214, off, s[0:3], 0 offset:448
	;; [unrolled: 1-line block ×4, first 2 shown]
	ds_read2_b64 v[142:145], v2 offset0:97 offset1:98
	buffer_load_dword v217, off, s[0:3], 0 offset:464
	buffer_load_dword v218, off, s[0:3], 0 offset:468
	v_mul_f32_e32 v4, v4, v23
	s_waitcnt vmcnt(49) lgkmcnt(1)
	v_mul_f32_e32 v147, v19, v39
	s_waitcnt vmcnt(48)
	v_fmac_f32_e32 v147, v20, v40
	v_fma_f32 v3, v3, v31, -v4
	v_mul_f32_e32 v4, v6, v24
	v_add_f32_e32 v146, v146, v147
	s_waitcnt vmcnt(46)
	v_mul_f32_e32 v147, v21, v42
	v_add_f32_e32 v3, 0, v3
	v_fma_f32 v4, v5, v32, -v4
	v_fmac_f32_e32 v147, v22, v41
	v_add_f32_e32 v3, v3, v4
	v_mul_f32_e32 v4, v8, v25
	v_add_f32_e32 v146, v146, v147
	s_waitcnt vmcnt(43) lgkmcnt(0)
	v_mul_f32_e32 v147, v142, v45
	v_fma_f32 v4, v7, v33, -v4
	s_waitcnt vmcnt(42)
	v_fmac_f32_e32 v147, v143, v46
	v_add_f32_e32 v3, v3, v4
	v_mul_f32_e32 v4, v10, v26
	v_add_f32_e32 v150, v146, v147
	ds_read2_b64 v[146:149], v2 offset0:99 offset1:100
	v_fma_f32 v4, v9, v34, -v4
	v_add_f32_e32 v3, v3, v4
	v_mul_f32_e32 v4, v12, v27
	s_waitcnt vmcnt(40)
	v_mul_f32_e32 v151, v144, v48
	v_fma_f32 v4, v11, v35, -v4
	v_fmac_f32_e32 v151, v145, v47
	v_add_f32_e32 v3, v3, v4
	v_mul_f32_e32 v4, v14, v28
	v_add_f32_e32 v154, v150, v151
	ds_read2_b64 v[150:153], v2 offset0:101 offset1:102
	v_fma_f32 v4, v13, v36, -v4
	s_waitcnt vmcnt(39) lgkmcnt(1)
	v_mul_f32_e32 v155, v146, v49
	v_add_f32_e32 v3, v3, v4
	v_mul_f32_e32 v4, v16, v29
	s_waitcnt vmcnt(38)
	v_fmac_f32_e32 v155, v147, v50
	v_fma_f32 v4, v15, v37, -v4
	v_add_f32_e32 v154, v154, v155
	s_waitcnt vmcnt(36)
	v_mul_f32_e32 v155, v148, v52
	v_add_f32_e32 v3, v3, v4
	v_mul_f32_e32 v4, v18, v30
	v_fmac_f32_e32 v155, v149, v51
	v_fma_f32 v4, v17, v38, -v4
	v_add_f32_e32 v154, v154, v155
	s_waitcnt vmcnt(34) lgkmcnt(0)
	v_mul_f32_e32 v155, v150, v54
	v_add_f32_e32 v3, v3, v4
	v_mul_f32_e32 v4, v20, v39
	v_fmac_f32_e32 v155, v151, v53
	v_fma_f32 v4, v19, v40, -v4
	v_add_f32_e32 v158, v154, v155
	ds_read2_b64 v[154:157], v2 offset0:103 offset1:104
	v_add_f32_e32 v3, v3, v4
	v_mul_f32_e32 v4, v22, v42
	v_fma_f32 v4, v21, v41, -v4
	s_waitcnt vmcnt(32)
	v_mul_f32_e32 v159, v152, v186
	v_add_f32_e32 v3, v3, v4
	v_mul_f32_e32 v4, v143, v45
	v_fmac_f32_e32 v159, v153, v55
	v_fma_f32 v4, v142, v46, -v4
	v_add_f32_e32 v162, v158, v159
	ds_read2_b64 v[158:161], v2 offset0:105 offset1:106
	v_add_f32_e32 v3, v3, v4
	v_mul_f32_e32 v4, v145, v48
	s_waitcnt vmcnt(30) lgkmcnt(1)
	v_mul_f32_e32 v163, v154, v188
	v_fma_f32 v4, v144, v47, -v4
	v_fmac_f32_e32 v163, v155, v187
	v_add_f32_e32 v3, v3, v4
	v_mul_f32_e32 v4, v147, v49
	v_add_f32_e32 v162, v162, v163
	s_waitcnt vmcnt(28)
	v_mul_f32_e32 v163, v156, v190
	v_fma_f32 v4, v146, v50, -v4
	v_fmac_f32_e32 v163, v157, v189
	v_add_f32_e32 v3, v3, v4
	v_mul_f32_e32 v4, v149, v52
	v_add_f32_e32 v162, v162, v163
	s_waitcnt vmcnt(26) lgkmcnt(0)
	v_mul_f32_e32 v163, v158, v192
	v_fma_f32 v4, v148, v51, -v4
	v_fmac_f32_e32 v163, v159, v191
	v_add_f32_e32 v3, v3, v4
	v_mul_f32_e32 v4, v151, v54
	v_add_f32_e32 v166, v162, v163
	ds_read2_b64 v[162:165], v2 offset0:107 offset1:108
	v_fma_f32 v4, v150, v53, -v4
	v_add_f32_e32 v3, v3, v4
	v_mul_f32_e32 v4, v153, v186
	s_waitcnt vmcnt(24)
	v_mul_f32_e32 v167, v160, v194
	v_fma_f32 v4, v152, v55, -v4
	v_fmac_f32_e32 v167, v161, v193
	v_add_f32_e32 v3, v3, v4
	v_mul_f32_e32 v4, v155, v188
	v_add_f32_e32 v170, v166, v167
	ds_read2_b64 v[166:169], v2 offset0:109 offset1:110
	v_fma_f32 v4, v154, v187, -v4
	s_waitcnt vmcnt(22) lgkmcnt(1)
	v_mul_f32_e32 v171, v162, v196
	v_add_f32_e32 v3, v3, v4
	v_mul_f32_e32 v4, v157, v190
	v_fmac_f32_e32 v171, v163, v195
	v_fma_f32 v4, v156, v189, -v4
	v_add_f32_e32 v170, v170, v171
	s_waitcnt vmcnt(20)
	v_mul_f32_e32 v171, v164, v198
	v_add_f32_e32 v3, v3, v4
	v_mul_f32_e32 v4, v159, v192
	v_fmac_f32_e32 v171, v165, v197
	v_fma_f32 v4, v158, v191, -v4
	v_add_f32_e32 v170, v170, v171
	s_waitcnt vmcnt(18) lgkmcnt(0)
	v_mul_f32_e32 v171, v166, v200
	v_add_f32_e32 v3, v3, v4
	v_mul_f32_e32 v4, v161, v194
	v_fmac_f32_e32 v171, v167, v199
	v_fma_f32 v4, v160, v193, -v4
	v_add_f32_e32 v174, v170, v171
	ds_read2_b64 v[170:173], v2 offset0:111 offset1:112
	v_add_f32_e32 v3, v3, v4
	v_mul_f32_e32 v4, v163, v196
	v_fma_f32 v4, v162, v195, -v4
	s_waitcnt vmcnt(16)
	v_mul_f32_e32 v175, v168, v202
	v_add_f32_e32 v3, v3, v4
	v_mul_f32_e32 v4, v165, v198
	v_fmac_f32_e32 v175, v169, v201
	v_fma_f32 v4, v164, v197, -v4
	v_add_f32_e32 v178, v174, v175
	ds_read2_b64 v[174:177], v2 offset0:113 offset1:114
	v_add_f32_e32 v3, v3, v4
	v_mul_f32_e32 v4, v167, v200
	s_waitcnt vmcnt(14) lgkmcnt(1)
	v_mul_f32_e32 v179, v170, v204
	v_fma_f32 v4, v166, v199, -v4
	v_fmac_f32_e32 v179, v171, v203
	v_add_f32_e32 v3, v3, v4
	v_mul_f32_e32 v4, v169, v202
	v_add_f32_e32 v178, v178, v179
	s_waitcnt vmcnt(12)
	v_mul_f32_e32 v179, v172, v206
	v_fma_f32 v4, v168, v201, -v4
	v_fmac_f32_e32 v179, v173, v205
	v_add_f32_e32 v3, v3, v4
	v_mul_f32_e32 v4, v171, v204
	v_add_f32_e32 v178, v178, v179
	s_waitcnt vmcnt(10) lgkmcnt(0)
	v_mul_f32_e32 v179, v174, v208
	v_fma_f32 v4, v170, v203, -v4
	v_fmac_f32_e32 v179, v175, v207
	v_add_f32_e32 v3, v3, v4
	v_mul_f32_e32 v4, v173, v206
	v_add_f32_e32 v182, v178, v179
	ds_read2_b64 v[178:181], v2 offset0:115 offset1:116
	v_fma_f32 v4, v172, v205, -v4
	v_add_f32_e32 v3, v3, v4
	v_mul_f32_e32 v4, v175, v208
	s_waitcnt vmcnt(8)
	v_mul_f32_e32 v183, v176, v210
	v_fma_f32 v4, v174, v207, -v4
	v_fmac_f32_e32 v183, v177, v209
	v_add_f32_e32 v3, v3, v4
	v_mul_f32_e32 v4, v177, v210
	v_add_f32_e32 v219, v182, v183
	ds_read2_b64 v[182:185], v2 offset0:117 offset1:118
	v_fma_f32 v4, v176, v209, -v4
	v_add_f32_e32 v3, v3, v4
	s_waitcnt vmcnt(6) lgkmcnt(1)
	v_mul_f32_e32 v4, v179, v212
	v_mul_f32_e32 v2, v178, v212
	v_fma_f32 v4, v178, v211, -v4
	v_fmac_f32_e32 v2, v179, v211
	v_add_f32_e32 v3, v3, v4
	s_waitcnt vmcnt(5)
	v_mul_f32_e32 v4, v181, v213
	v_add_f32_e32 v2, v219, v2
	v_mul_f32_e32 v219, v180, v213
	s_waitcnt vmcnt(4)
	v_fma_f32 v4, v180, v214, -v4
	v_fmac_f32_e32 v219, v181, v214
	v_add_f32_e32 v3, v3, v4
	s_waitcnt vmcnt(2) lgkmcnt(0)
	v_mul_f32_e32 v4, v183, v216
	v_add_f32_e32 v2, v2, v219
	v_mul_f32_e32 v219, v182, v216
	v_fma_f32 v4, v182, v215, -v4
	v_fmac_f32_e32 v219, v183, v215
	v_add_f32_e32 v3, v3, v4
	s_waitcnt vmcnt(0)
	v_mul_f32_e32 v4, v185, v218
	v_add_f32_e32 v2, v2, v219
	v_mul_f32_e32 v219, v184, v218
	v_fma_f32 v4, v184, v217, -v4
	v_fmac_f32_e32 v219, v185, v217
	v_add_f32_e32 v3, v3, v4
	v_add_f32_e32 v2, v2, v219
	v_sub_f32_e32 v3, v43, v3
	v_sub_f32_e32 v2, v44, v2
	buffer_store_dword v3, off, s[0:3], 0 offset:208
	buffer_store_dword v2, off, s[0:3], 0 offset:212
	s_and_saveexec_b64 s[4:5], vcc
	s_cbranch_execz .LBB58_317
; %bb.316:
	buffer_load_dword v2, off, s[0:3], 0 offset:200
	buffer_load_dword v3, off, s[0:3], 0 offset:204
	v_mov_b32_e32 v4, 0
	buffer_store_dword v4, off, s[0:3], 0 offset:200
	buffer_store_dword v4, off, s[0:3], 0 offset:204
	s_waitcnt vmcnt(2)
	ds_write_b64 v1, v[2:3]
.LBB58_317:
	s_or_b64 exec, exec, s[4:5]
	s_waitcnt lgkmcnt(0)
	; wave barrier
	buffer_load_dword v25, off, s[0:3], 0 offset:268
	buffer_load_dword v26, off, s[0:3], 0 offset:212
	;; [unrolled: 1-line block ×58, first 2 shown]
	v_mov_b32_e32 v2, 0
	ds_read_b128 v[3:6], v2 offset:688
	ds_read_b128 v[7:10], v2 offset:704
	;; [unrolled: 1-line block ×5, first 2 shown]
	buffer_load_dword v213, off, s[0:3], 0 offset:432
	buffer_load_dword v214, off, s[0:3], 0 offset:436
	;; [unrolled: 1-line block ×6, first 2 shown]
	v_cmp_lt_u32_e32 vcc, 24, v0
	s_waitcnt vmcnt(62) lgkmcnt(1)
	v_mul_f32_e32 v147, v17, v25
	v_mul_f32_e32 v23, v3, v26
	s_waitcnt vmcnt(61)
	v_mul_f32_e32 v24, v5, v27
	s_waitcnt vmcnt(60)
	;; [unrolled: 2-line block ×3, first 2 shown]
	v_fmac_f32_e32 v142, v8, v29
	s_waitcnt vmcnt(58)
	v_fmac_f32_e32 v24, v6, v30
	s_waitcnt vmcnt(57)
	v_fmac_f32_e32 v23, v4, v31
	v_add_f32_e32 v23, 0, v23
	s_waitcnt vmcnt(56)
	v_mul_f32_e32 v143, v9, v32
	v_add_f32_e32 v23, v23, v24
	s_waitcnt vmcnt(55)
	v_mul_f32_e32 v144, v11, v33
	;; [unrolled: 3-line block ×3, first 2 shown]
	s_waitcnt vmcnt(50)
	v_fmac_f32_e32 v144, v12, v38
	s_waitcnt vmcnt(49)
	v_fmac_f32_e32 v143, v10, v39
	v_add_f32_e32 v23, v23, v143
	v_fmac_f32_e32 v145, v14, v37
	v_add_f32_e32 v23, v23, v144
	v_add_f32_e32 v23, v23, v145
	ds_read_b128 v[142:145], v2 offset:768
	buffer_load_dword v219, off, s[0:3], 0 offset:460
	buffer_load_dword v220, off, s[0:3], 0 offset:464
	;; [unrolled: 1-line block ×4, first 2 shown]
	v_mul_f32_e32 v4, v4, v26
	v_fma_f32 v3, v3, v31, -v4
	v_mul_f32_e32 v4, v6, v27
	v_add_f32_e32 v3, 0, v3
	v_fma_f32 v4, v5, v30, -v4
	v_add_f32_e32 v3, v3, v4
	v_mul_f32_e32 v4, v8, v28
	v_fma_f32 v4, v7, v29, -v4
	v_add_f32_e32 v3, v3, v4
	v_mul_f32_e32 v4, v10, v32
	;; [unrolled: 3-line block ×5, first 2 shown]
	v_mul_f32_e32 v146, v15, v35
	v_fma_f32 v4, v15, v36, -v4
	v_fmac_f32_e32 v146, v16, v36
	v_add_f32_e32 v3, v3, v4
	v_mul_f32_e32 v4, v18, v25
	s_waitcnt vmcnt(48)
	v_fmac_f32_e32 v147, v18, v44
	v_add_f32_e32 v23, v23, v146
	s_waitcnt vmcnt(47) lgkmcnt(1)
	v_mul_f32_e32 v24, v19, v45
	v_fma_f32 v4, v17, v44, -v4
	v_add_f32_e32 v23, v23, v147
	v_fmac_f32_e32 v24, v20, v43
	v_add_f32_e32 v3, v3, v4
	v_mul_f32_e32 v4, v20, v45
	v_add_f32_e32 v23, v23, v24
	s_waitcnt vmcnt(46)
	v_mul_f32_e32 v24, v21, v46
	v_fma_f32 v4, v19, v43, -v4
	v_fmac_f32_e32 v24, v22, v42
	ds_read_b128 v[146:149], v2 offset:784
	ds_read_b128 v[150:153], v2 offset:800
	v_add_f32_e32 v3, v3, v4
	v_mul_f32_e32 v4, v22, v46
	v_add_f32_e32 v23, v23, v24
	s_waitcnt lgkmcnt(2)
	v_mul_f32_e32 v24, v142, v41
	v_fma_f32 v4, v21, v42, -v4
	v_fmac_f32_e32 v24, v143, v40
	v_add_f32_e32 v3, v3, v4
	v_mul_f32_e32 v4, v143, v41
	v_add_f32_e32 v23, v23, v24
	s_waitcnt vmcnt(42)
	v_mul_f32_e32 v24, v144, v50
	v_fma_f32 v4, v142, v40, -v4
	v_fmac_f32_e32 v24, v145, v49
	v_add_f32_e32 v3, v3, v4
	v_mul_f32_e32 v4, v145, v50
	v_add_f32_e32 v23, v23, v24
	s_waitcnt vmcnt(40) lgkmcnt(1)
	v_mul_f32_e32 v24, v146, v52
	v_fma_f32 v4, v144, v49, -v4
	v_fmac_f32_e32 v24, v147, v51
	v_add_f32_e32 v3, v3, v4
	v_mul_f32_e32 v4, v147, v52
	v_add_f32_e32 v23, v23, v24
	s_waitcnt vmcnt(38)
	v_mul_f32_e32 v24, v148, v54
	v_fma_f32 v4, v146, v51, -v4
	v_fmac_f32_e32 v24, v149, v53
	ds_read_b128 v[154:157], v2 offset:816
	ds_read_b128 v[158:161], v2 offset:832
	v_add_f32_e32 v3, v3, v4
	v_mul_f32_e32 v4, v149, v54
	v_add_f32_e32 v23, v23, v24
	s_waitcnt vmcnt(36) lgkmcnt(2)
	v_mul_f32_e32 v24, v150, v186
	v_fma_f32 v4, v148, v53, -v4
	v_fmac_f32_e32 v24, v151, v55
	v_add_f32_e32 v3, v3, v4
	v_mul_f32_e32 v4, v151, v186
	v_add_f32_e32 v23, v23, v24
	s_waitcnt vmcnt(34)
	v_mul_f32_e32 v24, v152, v188
	v_fma_f32 v4, v150, v55, -v4
	v_fmac_f32_e32 v24, v153, v187
	v_add_f32_e32 v3, v3, v4
	v_mul_f32_e32 v4, v153, v188
	v_add_f32_e32 v23, v23, v24
	s_waitcnt vmcnt(32) lgkmcnt(1)
	v_mul_f32_e32 v24, v154, v190
	v_fma_f32 v4, v152, v187, -v4
	v_fmac_f32_e32 v24, v155, v189
	v_add_f32_e32 v3, v3, v4
	v_mul_f32_e32 v4, v155, v190
	v_add_f32_e32 v23, v23, v24
	s_waitcnt vmcnt(30)
	v_mul_f32_e32 v24, v156, v192
	v_fma_f32 v4, v154, v189, -v4
	v_fmac_f32_e32 v24, v157, v191
	ds_read_b128 v[162:165], v2 offset:848
	ds_read_b128 v[166:169], v2 offset:864
	v_add_f32_e32 v3, v3, v4
	v_mul_f32_e32 v4, v157, v192
	v_add_f32_e32 v23, v23, v24
	s_waitcnt vmcnt(28) lgkmcnt(2)
	v_mul_f32_e32 v24, v158, v194
	v_fma_f32 v4, v156, v191, -v4
	v_fmac_f32_e32 v24, v159, v193
	v_add_f32_e32 v3, v3, v4
	v_mul_f32_e32 v4, v159, v194
	v_add_f32_e32 v23, v23, v24
	s_waitcnt vmcnt(26)
	v_mul_f32_e32 v24, v160, v196
	v_fma_f32 v4, v158, v193, -v4
	v_fmac_f32_e32 v24, v161, v195
	v_add_f32_e32 v3, v3, v4
	v_mul_f32_e32 v4, v161, v196
	v_add_f32_e32 v23, v23, v24
	s_waitcnt vmcnt(24) lgkmcnt(1)
	v_mul_f32_e32 v24, v162, v198
	v_fma_f32 v4, v160, v195, -v4
	v_fmac_f32_e32 v24, v163, v197
	v_add_f32_e32 v3, v3, v4
	v_mul_f32_e32 v4, v163, v198
	v_add_f32_e32 v23, v23, v24
	s_waitcnt vmcnt(22)
	v_mul_f32_e32 v24, v164, v200
	v_fma_f32 v4, v162, v197, -v4
	v_fmac_f32_e32 v24, v165, v199
	ds_read_b128 v[170:173], v2 offset:880
	ds_read_b128 v[174:177], v2 offset:896
	v_add_f32_e32 v3, v3, v4
	v_mul_f32_e32 v4, v165, v200
	v_add_f32_e32 v23, v23, v24
	s_waitcnt vmcnt(20) lgkmcnt(2)
	v_mul_f32_e32 v24, v166, v202
	v_fma_f32 v4, v164, v199, -v4
	v_fmac_f32_e32 v24, v167, v201
	v_add_f32_e32 v3, v3, v4
	v_mul_f32_e32 v4, v167, v202
	v_add_f32_e32 v23, v23, v24
	s_waitcnt vmcnt(18)
	v_mul_f32_e32 v24, v168, v204
	v_fma_f32 v4, v166, v201, -v4
	v_fmac_f32_e32 v24, v169, v203
	v_add_f32_e32 v3, v3, v4
	v_mul_f32_e32 v4, v169, v204
	v_add_f32_e32 v23, v23, v24
	s_waitcnt vmcnt(16) lgkmcnt(1)
	v_mul_f32_e32 v24, v170, v206
	v_fma_f32 v4, v168, v203, -v4
	v_fmac_f32_e32 v24, v171, v205
	v_add_f32_e32 v3, v3, v4
	v_mul_f32_e32 v4, v171, v206
	v_add_f32_e32 v23, v23, v24
	s_waitcnt vmcnt(14)
	v_mul_f32_e32 v24, v172, v208
	v_fma_f32 v4, v170, v205, -v4
	v_fmac_f32_e32 v24, v173, v207
	ds_read_b128 v[178:181], v2 offset:912
	ds_read_b128 v[182:185], v2 offset:928
	v_add_f32_e32 v3, v3, v4
	v_mul_f32_e32 v4, v173, v208
	v_add_f32_e32 v23, v23, v24
	s_waitcnt vmcnt(12) lgkmcnt(2)
	v_mul_f32_e32 v24, v174, v210
	v_fma_f32 v4, v172, v207, -v4
	v_fmac_f32_e32 v24, v175, v209
	v_add_f32_e32 v3, v3, v4
	v_mul_f32_e32 v4, v175, v210
	v_add_f32_e32 v23, v23, v24
	s_waitcnt vmcnt(10)
	v_mul_f32_e32 v24, v176, v212
	v_fma_f32 v4, v174, v209, -v4
	v_fmac_f32_e32 v24, v177, v211
	v_add_f32_e32 v3, v3, v4
	v_mul_f32_e32 v4, v177, v212
	v_add_f32_e32 v23, v23, v24
	s_waitcnt vmcnt(8) lgkmcnt(1)
	v_mul_f32_e32 v24, v178, v214
	v_fma_f32 v4, v176, v211, -v4
	v_fmac_f32_e32 v24, v179, v213
	v_add_f32_e32 v3, v3, v4
	v_mul_f32_e32 v4, v179, v214
	v_add_f32_e32 v23, v23, v24
	s_waitcnt vmcnt(7)
	v_mul_f32_e32 v24, v180, v215
	v_fma_f32 v4, v178, v213, -v4
	s_waitcnt vmcnt(4)
	v_fmac_f32_e32 v24, v181, v218
	v_add_f32_e32 v3, v3, v4
	v_mul_f32_e32 v4, v181, v215
	v_add_f32_e32 v223, v23, v24
	ds_read_b64 v[23:24], v2 offset:944
	v_fma_f32 v4, v180, v218, -v4
	v_add_f32_e32 v3, v3, v4
	s_waitcnt lgkmcnt(1)
	v_mul_f32_e32 v4, v183, v217
	v_mul_f32_e32 v224, v182, v217
	v_fma_f32 v4, v182, v216, -v4
	v_fmac_f32_e32 v224, v183, v216
	v_add_f32_e32 v3, v3, v4
	s_waitcnt vmcnt(3)
	v_mul_f32_e32 v4, v185, v219
	v_add_f32_e32 v223, v223, v224
	v_mul_f32_e32 v224, v184, v219
	s_waitcnt vmcnt(0)
	v_fma_f32 v4, v184, v222, -v4
	v_fmac_f32_e32 v224, v185, v222
	v_add_f32_e32 v3, v3, v4
	s_waitcnt lgkmcnt(0)
	v_mul_f32_e32 v4, v24, v221
	v_add_f32_e32 v223, v223, v224
	v_mul_f32_e32 v224, v23, v221
	v_fma_f32 v4, v23, v220, -v4
	v_fmac_f32_e32 v224, v24, v220
	v_add_f32_e32 v3, v3, v4
	v_add_f32_e32 v223, v223, v224
	v_sub_f32_e32 v3, v47, v3
	v_sub_f32_e32 v4, v48, v223
	buffer_store_dword v3, off, s[0:3], 0 offset:200
	buffer_store_dword v4, off, s[0:3], 0 offset:204
	s_and_saveexec_b64 s[4:5], vcc
	s_cbranch_execz .LBB58_319
; %bb.318:
	buffer_load_dword v3, off, s[0:3], 0 offset:192
	buffer_load_dword v4, off, s[0:3], 0 offset:196
	s_waitcnt vmcnt(0)
	ds_write_b64 v1, v[3:4]
	buffer_store_dword v2, off, s[0:3], 0 offset:192
	buffer_store_dword v2, off, s[0:3], 0 offset:196
.LBB58_319:
	s_or_b64 exec, exec, s[4:5]
	s_waitcnt lgkmcnt(0)
	; wave barrier
	buffer_load_dword v23, off, s[0:3], 0 offset:204
	buffer_load_dword v24, off, s[0:3], 0 offset:212
	;; [unrolled: 1-line block ×32, first 2 shown]
	ds_read2_b64 v[3:6], v2 offset0:85 offset1:86
	ds_read2_b64 v[7:10], v2 offset0:87 offset1:88
	;; [unrolled: 1-line block ×6, first 2 shown]
	buffer_load_dword v55, off, s[0:3], 0 offset:320
	buffer_load_dword v190, off, s[0:3], 0 offset:324
	;; [unrolled: 1-line block ×38, first 2 shown]
	v_cmp_lt_u32_e32 vcc, 23, v0
	s_waitcnt vmcnt(62) lgkmcnt(5)
	v_mul_f32_e32 v146, v3, v23
	v_mul_f32_e32 v147, v5, v24
	s_waitcnt lgkmcnt(4)
	v_mul_f32_e32 v148, v7, v25
	v_mul_f32_e32 v149, v9, v26
	s_waitcnt lgkmcnt(3)
	;; [unrolled: 3-line block ×3, first 2 shown]
	v_mul_f32_e32 v152, v15, v29
	v_mul_f32_e32 v153, v17, v30
	s_waitcnt vmcnt(61)
	v_fmac_f32_e32 v148, v8, v31
	s_waitcnt vmcnt(60)
	v_fmac_f32_e32 v147, v6, v32
	;; [unrolled: 2-line block ×3, first 2 shown]
	v_add_f32_e32 v146, 0, v146
	v_add_f32_e32 v146, v146, v147
	;; [unrolled: 1-line block ×3, first 2 shown]
	s_waitcnt vmcnt(55)
	v_fmac_f32_e32 v149, v10, v37
	v_fmac_f32_e32 v150, v12, v36
	v_add_f32_e32 v146, v146, v149
	v_fmac_f32_e32 v151, v14, v35
	v_add_f32_e32 v146, v146, v150
	;; [unrolled: 2-line block ×3, first 2 shown]
	s_waitcnt vmcnt(51)
	v_fmac_f32_e32 v153, v18, v41
	v_add_f32_e32 v146, v146, v152
	s_waitcnt vmcnt(50) lgkmcnt(1)
	v_mul_f32_e32 v147, v19, v42
	v_add_f32_e32 v146, v146, v153
	v_fmac_f32_e32 v147, v20, v40
	v_mul_f32_e32 v4, v4, v23
	v_add_f32_e32 v146, v146, v147
	s_waitcnt vmcnt(49)
	v_mul_f32_e32 v147, v21, v43
	v_fma_f32 v3, v3, v33, -v4
	v_mul_f32_e32 v4, v6, v24
	v_fmac_f32_e32 v147, v22, v39
	v_add_f32_e32 v3, 0, v3
	v_fma_f32 v4, v5, v32, -v4
	v_add_f32_e32 v146, v146, v147
	s_waitcnt vmcnt(48) lgkmcnt(0)
	v_mul_f32_e32 v147, v142, v44
	v_add_f32_e32 v3, v3, v4
	v_mul_f32_e32 v4, v8, v25
	v_fmac_f32_e32 v147, v143, v38
	v_fma_f32 v4, v7, v31, -v4
	v_add_f32_e32 v150, v146, v147
	ds_read2_b64 v[146:149], v2 offset0:97 offset1:98
	v_add_f32_e32 v3, v3, v4
	v_mul_f32_e32 v4, v10, v26
	v_fma_f32 v4, v9, v37, -v4
	s_waitcnt vmcnt(45)
	v_mul_f32_e32 v151, v144, v47
	v_add_f32_e32 v3, v3, v4
	v_mul_f32_e32 v4, v12, v27
	s_waitcnt vmcnt(38)
	v_fmac_f32_e32 v151, v145, v54
	v_fma_f32 v4, v11, v36, -v4
	v_add_f32_e32 v154, v150, v151
	ds_read2_b64 v[150:153], v2 offset0:99 offset1:100
	v_add_f32_e32 v3, v3, v4
	v_mul_f32_e32 v4, v14, v28
	s_waitcnt lgkmcnt(1)
	v_mul_f32_e32 v155, v146, v49
	v_fma_f32 v4, v13, v35, -v4
	v_fmac_f32_e32 v155, v147, v48
	v_add_f32_e32 v3, v3, v4
	v_mul_f32_e32 v4, v16, v29
	v_add_f32_e32 v154, v154, v155
	v_mul_f32_e32 v155, v148, v51
	v_fma_f32 v4, v15, v34, -v4
	v_fmac_f32_e32 v155, v149, v50
	v_add_f32_e32 v3, v3, v4
	v_mul_f32_e32 v4, v18, v30
	v_add_f32_e32 v154, v154, v155
	s_waitcnt lgkmcnt(0)
	v_mul_f32_e32 v155, v150, v53
	v_fma_f32 v4, v17, v41, -v4
	v_fmac_f32_e32 v155, v151, v52
	v_add_f32_e32 v3, v3, v4
	v_mul_f32_e32 v4, v20, v42
	v_add_f32_e32 v158, v154, v155
	ds_read2_b64 v[154:157], v2 offset0:101 offset1:102
	v_fma_f32 v4, v19, v40, -v4
	v_add_f32_e32 v3, v3, v4
	v_mul_f32_e32 v4, v22, v43
	s_waitcnt vmcnt(36)
	v_mul_f32_e32 v159, v152, v190
	v_fma_f32 v4, v21, v39, -v4
	v_fmac_f32_e32 v159, v153, v55
	v_add_f32_e32 v3, v3, v4
	v_mul_f32_e32 v4, v143, v44
	v_add_f32_e32 v162, v158, v159
	ds_read2_b64 v[158:161], v2 offset0:103 offset1:104
	v_fma_f32 v4, v142, v38, -v4
	s_waitcnt vmcnt(34) lgkmcnt(1)
	v_mul_f32_e32 v163, v154, v192
	v_add_f32_e32 v3, v3, v4
	v_mul_f32_e32 v4, v145, v47
	v_fmac_f32_e32 v163, v155, v191
	v_fma_f32 v4, v144, v54, -v4
	v_add_f32_e32 v162, v162, v163
	s_waitcnt vmcnt(32)
	v_mul_f32_e32 v163, v156, v194
	v_add_f32_e32 v3, v3, v4
	v_mul_f32_e32 v4, v147, v49
	v_fmac_f32_e32 v163, v157, v193
	v_fma_f32 v4, v146, v48, -v4
	v_add_f32_e32 v162, v162, v163
	s_waitcnt vmcnt(30) lgkmcnt(0)
	v_mul_f32_e32 v163, v158, v196
	v_add_f32_e32 v3, v3, v4
	v_mul_f32_e32 v4, v149, v51
	v_fmac_f32_e32 v163, v159, v195
	v_fma_f32 v4, v148, v50, -v4
	v_add_f32_e32 v166, v162, v163
	ds_read2_b64 v[162:165], v2 offset0:105 offset1:106
	v_add_f32_e32 v3, v3, v4
	v_mul_f32_e32 v4, v151, v53
	v_fma_f32 v4, v150, v52, -v4
	s_waitcnt vmcnt(28)
	v_mul_f32_e32 v167, v160, v198
	v_add_f32_e32 v3, v3, v4
	v_mul_f32_e32 v4, v153, v190
	v_fmac_f32_e32 v167, v161, v197
	v_fma_f32 v4, v152, v55, -v4
	v_add_f32_e32 v170, v166, v167
	ds_read2_b64 v[166:169], v2 offset0:107 offset1:108
	v_add_f32_e32 v3, v3, v4
	v_mul_f32_e32 v4, v155, v192
	s_waitcnt vmcnt(26) lgkmcnt(1)
	v_mul_f32_e32 v171, v162, v200
	v_fma_f32 v4, v154, v191, -v4
	v_fmac_f32_e32 v171, v163, v199
	v_add_f32_e32 v3, v3, v4
	v_mul_f32_e32 v4, v157, v194
	v_add_f32_e32 v170, v170, v171
	s_waitcnt vmcnt(24)
	v_mul_f32_e32 v171, v164, v202
	v_fma_f32 v4, v156, v193, -v4
	v_fmac_f32_e32 v171, v165, v201
	v_add_f32_e32 v3, v3, v4
	v_mul_f32_e32 v4, v159, v196
	v_add_f32_e32 v170, v170, v171
	s_waitcnt vmcnt(22) lgkmcnt(0)
	v_mul_f32_e32 v171, v166, v204
	v_fma_f32 v4, v158, v195, -v4
	v_fmac_f32_e32 v171, v167, v203
	v_add_f32_e32 v3, v3, v4
	v_mul_f32_e32 v4, v161, v198
	v_add_f32_e32 v174, v170, v171
	ds_read2_b64 v[170:173], v2 offset0:109 offset1:110
	v_fma_f32 v4, v160, v197, -v4
	v_add_f32_e32 v3, v3, v4
	v_mul_f32_e32 v4, v163, v200
	s_waitcnt vmcnt(20)
	v_mul_f32_e32 v175, v168, v206
	v_fma_f32 v4, v162, v199, -v4
	v_fmac_f32_e32 v175, v169, v205
	v_add_f32_e32 v3, v3, v4
	v_mul_f32_e32 v4, v165, v202
	v_add_f32_e32 v178, v174, v175
	ds_read2_b64 v[174:177], v2 offset0:111 offset1:112
	v_fma_f32 v4, v164, v201, -v4
	s_waitcnt vmcnt(18) lgkmcnt(1)
	v_mul_f32_e32 v179, v170, v208
	v_add_f32_e32 v3, v3, v4
	v_mul_f32_e32 v4, v167, v204
	v_fmac_f32_e32 v179, v171, v207
	v_fma_f32 v4, v166, v203, -v4
	v_add_f32_e32 v178, v178, v179
	s_waitcnt vmcnt(16)
	v_mul_f32_e32 v179, v172, v210
	v_add_f32_e32 v3, v3, v4
	v_mul_f32_e32 v4, v169, v206
	v_fmac_f32_e32 v179, v173, v209
	v_fma_f32 v4, v168, v205, -v4
	v_add_f32_e32 v178, v178, v179
	s_waitcnt vmcnt(14) lgkmcnt(0)
	v_mul_f32_e32 v179, v174, v212
	v_add_f32_e32 v3, v3, v4
	v_mul_f32_e32 v4, v171, v208
	v_fmac_f32_e32 v179, v175, v211
	v_fma_f32 v4, v170, v207, -v4
	v_add_f32_e32 v182, v178, v179
	ds_read2_b64 v[178:181], v2 offset0:113 offset1:114
	v_add_f32_e32 v3, v3, v4
	v_mul_f32_e32 v4, v173, v210
	v_fma_f32 v4, v172, v209, -v4
	v_add_f32_e32 v3, v3, v4
	v_mul_f32_e32 v4, v175, v212
	s_waitcnt vmcnt(12)
	v_mul_f32_e32 v183, v176, v214
	v_fma_f32 v4, v174, v211, -v4
	v_fmac_f32_e32 v183, v177, v213
	v_add_f32_e32 v3, v3, v4
	v_mul_f32_e32 v4, v177, v214
	v_add_f32_e32 v186, v182, v183
	ds_read2_b64 v[182:185], v2 offset0:115 offset1:116
	s_waitcnt vmcnt(10) lgkmcnt(1)
	v_mul_f32_e32 v187, v178, v216
	v_fma_f32 v4, v176, v213, -v4
	v_fmac_f32_e32 v187, v179, v215
	v_add_f32_e32 v3, v3, v4
	v_mul_f32_e32 v4, v179, v216
	v_add_f32_e32 v186, v186, v187
	s_waitcnt vmcnt(9)
	v_mul_f32_e32 v187, v180, v217
	v_fma_f32 v4, v178, v215, -v4
	s_waitcnt vmcnt(6)
	v_fmac_f32_e32 v187, v181, v220
	v_add_f32_e32 v3, v3, v4
	v_mul_f32_e32 v4, v181, v217
	v_add_f32_e32 v227, v186, v187
	ds_read2_b64 v[186:189], v2 offset0:117 offset1:118
	v_fma_f32 v4, v180, v220, -v4
	v_add_f32_e32 v3, v3, v4
	s_waitcnt lgkmcnt(1)
	v_mul_f32_e32 v4, v183, v219
	v_mul_f32_e32 v228, v182, v219
	v_fma_f32 v4, v182, v218, -v4
	v_fmac_f32_e32 v228, v183, v218
	v_add_f32_e32 v3, v3, v4
	s_waitcnt vmcnt(4)
	v_mul_f32_e32 v4, v185, v222
	v_add_f32_e32 v2, v227, v228
	v_mul_f32_e32 v227, v184, v222
	v_fma_f32 v4, v184, v221, -v4
	v_fmac_f32_e32 v227, v185, v221
	v_add_f32_e32 v3, v3, v4
	s_waitcnt vmcnt(3) lgkmcnt(0)
	v_mul_f32_e32 v4, v187, v223
	v_add_f32_e32 v2, v2, v227
	v_mul_f32_e32 v227, v186, v223
	s_waitcnt vmcnt(0)
	v_fma_f32 v4, v186, v226, -v4
	v_fmac_f32_e32 v227, v187, v226
	v_add_f32_e32 v3, v3, v4
	v_mul_f32_e32 v4, v189, v225
	v_add_f32_e32 v2, v2, v227
	v_mul_f32_e32 v227, v188, v225
	v_fma_f32 v4, v188, v224, -v4
	v_fmac_f32_e32 v227, v189, v224
	v_add_f32_e32 v3, v3, v4
	v_add_f32_e32 v2, v2, v227
	v_sub_f32_e32 v3, v45, v3
	v_sub_f32_e32 v2, v46, v2
	buffer_store_dword v3, off, s[0:3], 0 offset:192
	buffer_store_dword v2, off, s[0:3], 0 offset:196
	s_and_saveexec_b64 s[4:5], vcc
	s_cbranch_execz .LBB58_321
; %bb.320:
	buffer_load_dword v2, off, s[0:3], 0 offset:184
	buffer_load_dword v3, off, s[0:3], 0 offset:188
	v_mov_b32_e32 v4, 0
	buffer_store_dword v4, off, s[0:3], 0 offset:184
	buffer_store_dword v4, off, s[0:3], 0 offset:188
	s_waitcnt vmcnt(2)
	ds_write_b64 v1, v[2:3]
.LBB58_321:
	s_or_b64 exec, exec, s[4:5]
	s_waitcnt lgkmcnt(0)
	; wave barrier
	buffer_load_dword v25, off, s[0:3], 0 offset:196
	buffer_load_dword v26, off, s[0:3], 0 offset:204
	;; [unrolled: 1-line block ×56, first 2 shown]
	v_mov_b32_e32 v2, 0
	ds_read_b128 v[3:6], v2 offset:672
	ds_read_b128 v[7:10], v2 offset:688
	ds_read_b128 v[11:14], v2 offset:704
	ds_read_b128 v[15:18], v2 offset:720
	ds_read_b128 v[19:22], v2 offset:736
	ds_read_b128 v[142:145], v2 offset:752
	buffer_load_dword v215, off, s[0:3], 0 offset:408
	buffer_load_dword v216, off, s[0:3], 0 offset:412
	;; [unrolled: 1-line block ×16, first 2 shown]
	ds_read_b128 v[154:157], v2 offset:800
	ds_read_b128 v[158:161], v2 offset:816
	;; [unrolled: 1-line block ×9, first 2 shown]
	v_cmp_lt_u32_e32 vcc, 22, v0
	s_waitcnt vmcnt(62) lgkmcnt(14)
	v_mul_f32_e32 v23, v3, v25
	v_mul_f32_e32 v24, v5, v26
	s_waitcnt lgkmcnt(13)
	v_mul_f32_e32 v146, v7, v27
	v_mul_f32_e32 v147, v9, v28
	s_waitcnt lgkmcnt(12)
	;; [unrolled: 3-line block ×4, first 2 shown]
	v_mul_f32_e32 v152, v19, v33
	v_fmac_f32_e32 v146, v8, v34
	s_waitcnt vmcnt(61)
	v_fmac_f32_e32 v24, v6, v35
	s_waitcnt vmcnt(60)
	v_fmac_f32_e32 v23, v4, v36
	v_mul_f32_e32 v4, v4, v25
	v_fma_f32 v3, v3, v36, -v4
	v_mul_f32_e32 v4, v6, v26
	v_add_f32_e32 v3, 0, v3
	v_fma_f32 v4, v5, v35, -v4
	v_add_f32_e32 v3, v3, v4
	v_mul_f32_e32 v4, v8, v27
	v_fma_f32 v4, v7, v34, -v4
	v_add_f32_e32 v3, v3, v4
	v_mul_f32_e32 v4, v10, v28
	s_waitcnt vmcnt(56)
	v_fma_f32 v4, v9, v40, -v4
	v_add_f32_e32 v3, v3, v4
	v_mul_f32_e32 v4, v12, v29
	v_fma_f32 v4, v11, v39, -v4
	v_add_f32_e32 v23, 0, v23
	v_add_f32_e32 v3, v3, v4
	v_mul_f32_e32 v4, v14, v30
	v_add_f32_e32 v23, v23, v24
	v_fma_f32 v4, v13, v38, -v4
	v_fmac_f32_e32 v147, v10, v40
	v_add_f32_e32 v23, v23, v146
	v_add_f32_e32 v3, v3, v4
	v_mul_f32_e32 v4, v16, v31
	v_fmac_f32_e32 v148, v12, v39
	v_add_f32_e32 v23, v23, v147
	v_fma_f32 v4, v15, v37, -v4
	v_fmac_f32_e32 v149, v14, v38
	v_add_f32_e32 v23, v23, v148
	v_add_f32_e32 v3, v3, v4
	v_mul_f32_e32 v4, v18, v32
	v_fmac_f32_e32 v150, v16, v37
	v_add_f32_e32 v23, v23, v149
	s_waitcnt vmcnt(52)
	v_fma_f32 v4, v17, v44, -v4
	v_fmac_f32_e32 v151, v18, v44
	v_add_f32_e32 v23, v23, v150
	v_add_f32_e32 v3, v3, v4
	v_mul_f32_e32 v4, v20, v33
	v_add_f32_e32 v23, v23, v151
	v_fmac_f32_e32 v152, v20, v43
	s_waitcnt vmcnt(51)
	v_mul_f32_e32 v24, v21, v45
	v_fma_f32 v4, v19, v43, -v4
	v_add_f32_e32 v23, v23, v152
	v_fmac_f32_e32 v24, v22, v42
	ds_read_b128 v[146:149], v2 offset:768
	ds_read_b128 v[150:153], v2 offset:784
	v_add_f32_e32 v3, v3, v4
	v_mul_f32_e32 v4, v22, v45
	v_add_f32_e32 v23, v23, v24
	s_waitcnt vmcnt(50) lgkmcnt(11)
	v_mul_f32_e32 v24, v142, v46
	v_fma_f32 v4, v21, v42, -v4
	v_fmac_f32_e32 v24, v143, v41
	v_add_f32_e32 v3, v3, v4
	v_mul_f32_e32 v4, v143, v46
	v_add_f32_e32 v23, v23, v24
	s_waitcnt vmcnt(46)
	v_mul_f32_e32 v24, v144, v50
	v_fma_f32 v4, v142, v41, -v4
	v_fmac_f32_e32 v24, v145, v49
	v_add_f32_e32 v3, v3, v4
	v_mul_f32_e32 v4, v145, v50
	v_add_f32_e32 v23, v23, v24
	s_waitcnt vmcnt(44) lgkmcnt(1)
	v_mul_f32_e32 v24, v146, v52
	v_fma_f32 v4, v144, v49, -v4
	v_fmac_f32_e32 v24, v147, v51
	v_add_f32_e32 v3, v3, v4
	v_mul_f32_e32 v4, v147, v52
	v_add_f32_e32 v23, v23, v24
	s_waitcnt vmcnt(42)
	v_mul_f32_e32 v24, v148, v54
	v_fma_f32 v4, v146, v51, -v4
	v_fmac_f32_e32 v24, v149, v53
	;; [unrolled: 14-line block ×3, first 2 shown]
	v_add_f32_e32 v3, v3, v4
	v_mul_f32_e32 v4, v153, v192
	v_add_f32_e32 v23, v23, v24
	s_waitcnt vmcnt(36)
	v_mul_f32_e32 v24, v154, v194
	v_fma_f32 v4, v152, v191, -v4
	v_fmac_f32_e32 v24, v155, v193
	v_add_f32_e32 v3, v3, v4
	v_mul_f32_e32 v4, v155, v194
	v_add_f32_e32 v23, v23, v24
	s_waitcnt vmcnt(34)
	v_mul_f32_e32 v24, v156, v196
	v_fma_f32 v4, v154, v193, -v4
	v_fmac_f32_e32 v24, v157, v195
	;; [unrolled: 7-line block ×13, first 2 shown]
	v_add_f32_e32 v3, v3, v4
	v_mul_f32_e32 v4, v179, v218
	v_add_f32_e32 v23, v23, v24
	s_waitcnt vmcnt(11)
	v_mul_f32_e32 v24, v180, v219
	v_fma_f32 v4, v178, v217, -v4
	s_waitcnt vmcnt(8)
	v_fmac_f32_e32 v24, v181, v222
	v_add_f32_e32 v3, v3, v4
	v_mul_f32_e32 v4, v181, v219
	v_add_f32_e32 v23, v23, v24
	v_mul_f32_e32 v24, v182, v221
	v_fma_f32 v4, v180, v222, -v4
	v_fmac_f32_e32 v24, v183, v220
	v_add_f32_e32 v3, v3, v4
	v_mul_f32_e32 v4, v183, v221
	v_add_f32_e32 v23, v23, v24
	s_waitcnt vmcnt(6)
	v_mul_f32_e32 v24, v184, v224
	v_fma_f32 v4, v182, v220, -v4
	v_fmac_f32_e32 v24, v185, v223
	v_add_f32_e32 v3, v3, v4
	v_mul_f32_e32 v4, v185, v224
	v_add_f32_e32 v231, v23, v24
	ds_read_b64 v[23:24], v2 offset:944
	v_fma_f32 v4, v184, v223, -v4
	v_add_f32_e32 v3, v3, v4
	s_waitcnt vmcnt(4)
	v_mul_f32_e32 v4, v187, v226
	v_mul_f32_e32 v232, v186, v226
	v_fma_f32 v4, v186, v225, -v4
	v_fmac_f32_e32 v232, v187, v225
	v_add_f32_e32 v3, v3, v4
	s_waitcnt vmcnt(3)
	v_mul_f32_e32 v4, v189, v227
	v_add_f32_e32 v231, v231, v232
	v_mul_f32_e32 v232, v188, v227
	s_waitcnt vmcnt(0)
	v_fma_f32 v4, v188, v230, -v4
	v_fmac_f32_e32 v232, v189, v230
	v_add_f32_e32 v3, v3, v4
	s_waitcnt lgkmcnt(0)
	v_mul_f32_e32 v4, v24, v229
	v_add_f32_e32 v231, v231, v232
	v_mul_f32_e32 v232, v23, v229
	v_fma_f32 v4, v23, v228, -v4
	v_fmac_f32_e32 v232, v24, v228
	v_add_f32_e32 v3, v3, v4
	v_add_f32_e32 v231, v231, v232
	v_sub_f32_e32 v3, v47, v3
	v_sub_f32_e32 v4, v48, v231
	buffer_store_dword v3, off, s[0:3], 0 offset:184
	buffer_store_dword v4, off, s[0:3], 0 offset:188
	s_and_saveexec_b64 s[4:5], vcc
	s_cbranch_execz .LBB58_323
; %bb.322:
	buffer_load_dword v3, off, s[0:3], 0 offset:176
	buffer_load_dword v4, off, s[0:3], 0 offset:180
	s_waitcnt vmcnt(0)
	ds_write_b64 v1, v[3:4]
	buffer_store_dword v2, off, s[0:3], 0 offset:176
	buffer_store_dword v2, off, s[0:3], 0 offset:180
.LBB58_323:
	s_or_b64 exec, exec, s[4:5]
	s_waitcnt lgkmcnt(0)
	; wave barrier
	buffer_load_dword v23, off, s[0:3], 0 offset:188
	buffer_load_dword v24, off, s[0:3], 0 offset:196
	;; [unrolled: 1-line block ×26, first 2 shown]
	ds_read2_b64 v[3:6], v2 offset0:83 offset1:84
	ds_read2_b64 v[7:10], v2 offset0:85 offset1:86
	;; [unrolled: 1-line block ×6, first 2 shown]
	buffer_load_dword v49, off, s[0:3], 0 offset:280
	buffer_load_dword v50, off, s[0:3], 0 offset:284
	;; [unrolled: 1-line block ×46, first 2 shown]
	v_cmp_lt_u32_e32 vcc, 21, v0
	s_waitcnt vmcnt(62) lgkmcnt(5)
	v_mul_f32_e32 v146, v3, v23
	v_mul_f32_e32 v147, v5, v24
	s_waitcnt lgkmcnt(4)
	v_mul_f32_e32 v148, v7, v25
	v_mul_f32_e32 v149, v9, v26
	s_waitcnt lgkmcnt(3)
	;; [unrolled: 3-line block ×4, first 2 shown]
	v_mul_f32_e32 v154, v19, v31
	v_fmac_f32_e32 v148, v8, v32
	s_waitcnt vmcnt(61)
	v_fmac_f32_e32 v147, v6, v33
	s_waitcnt vmcnt(60)
	v_fmac_f32_e32 v146, v4, v34
	v_add_f32_e32 v146, 0, v146
	v_add_f32_e32 v146, v146, v147
	;; [unrolled: 1-line block ×3, first 2 shown]
	s_waitcnt vmcnt(56)
	v_fmac_f32_e32 v149, v10, v38
	v_fmac_f32_e32 v150, v12, v37
	v_add_f32_e32 v146, v146, v149
	v_fmac_f32_e32 v151, v14, v36
	v_add_f32_e32 v146, v146, v150
	;; [unrolled: 2-line block ×3, first 2 shown]
	s_waitcnt vmcnt(52)
	v_fmac_f32_e32 v153, v18, v42
	v_add_f32_e32 v146, v146, v152
	v_fmac_f32_e32 v154, v20, v41
	v_add_f32_e32 v146, v146, v153
	s_waitcnt vmcnt(51)
	v_mul_f32_e32 v147, v21, v43
	v_add_f32_e32 v146, v146, v154
	v_fmac_f32_e32 v147, v22, v40
	v_add_f32_e32 v146, v146, v147
	s_waitcnt vmcnt(50) lgkmcnt(0)
	v_mul_f32_e32 v147, v142, v44
	v_fmac_f32_e32 v147, v143, v39
	s_waitcnt vmcnt(46)
	v_mul_f32_e32 v151, v144, v48
	v_add_f32_e32 v150, v146, v147
	v_fmac_f32_e32 v151, v145, v47
	ds_read2_b64 v[146:149], v2 offset0:95 offset1:96
	v_add_f32_e32 v154, v150, v151
	ds_read2_b64 v[150:153], v2 offset0:97 offset1:98
	buffer_load_dword v233, off, s[0:3], 0 offset:464
	buffer_load_dword v234, off, s[0:3], 0 offset:468
	v_mul_f32_e32 v4, v4, v23
	v_fma_f32 v3, v3, v34, -v4
	v_mul_f32_e32 v4, v6, v24
	v_add_f32_e32 v3, 0, v3
	v_fma_f32 v4, v5, v33, -v4
	v_add_f32_e32 v3, v3, v4
	v_mul_f32_e32 v4, v8, v25
	v_fma_f32 v4, v7, v32, -v4
	v_add_f32_e32 v3, v3, v4
	v_mul_f32_e32 v4, v10, v26
	;; [unrolled: 3-line block ×3, first 2 shown]
	s_waitcnt vmcnt(46) lgkmcnt(1)
	v_mul_f32_e32 v155, v146, v50
	v_fma_f32 v4, v11, v37, -v4
	v_fmac_f32_e32 v155, v147, v49
	v_add_f32_e32 v3, v3, v4
	v_mul_f32_e32 v4, v14, v28
	v_add_f32_e32 v154, v154, v155
	s_waitcnt vmcnt(44)
	v_mul_f32_e32 v155, v148, v52
	v_fma_f32 v4, v13, v36, -v4
	v_fmac_f32_e32 v155, v149, v51
	v_add_f32_e32 v3, v3, v4
	v_mul_f32_e32 v4, v16, v29
	v_add_f32_e32 v154, v154, v155
	s_waitcnt vmcnt(42) lgkmcnt(0)
	v_mul_f32_e32 v155, v150, v54
	v_fma_f32 v4, v15, v35, -v4
	v_fmac_f32_e32 v155, v151, v53
	v_add_f32_e32 v3, v3, v4
	v_mul_f32_e32 v4, v18, v30
	v_add_f32_e32 v158, v154, v155
	ds_read2_b64 v[154:157], v2 offset0:99 offset1:100
	v_fma_f32 v4, v17, v42, -v4
	v_add_f32_e32 v3, v3, v4
	v_mul_f32_e32 v4, v20, v31
	s_waitcnt vmcnt(40)
	v_mul_f32_e32 v159, v152, v194
	v_fma_f32 v4, v19, v41, -v4
	v_fmac_f32_e32 v159, v153, v55
	v_add_f32_e32 v3, v3, v4
	v_mul_f32_e32 v4, v22, v43
	v_add_f32_e32 v162, v158, v159
	ds_read2_b64 v[158:161], v2 offset0:101 offset1:102
	v_fma_f32 v4, v21, v40, -v4
	s_waitcnt vmcnt(38) lgkmcnt(1)
	v_mul_f32_e32 v163, v154, v196
	v_add_f32_e32 v3, v3, v4
	v_mul_f32_e32 v4, v143, v44
	v_fmac_f32_e32 v163, v155, v195
	v_fma_f32 v4, v142, v39, -v4
	v_add_f32_e32 v162, v162, v163
	s_waitcnt vmcnt(36)
	v_mul_f32_e32 v163, v156, v198
	v_add_f32_e32 v3, v3, v4
	v_mul_f32_e32 v4, v145, v48
	v_fmac_f32_e32 v163, v157, v197
	v_fma_f32 v4, v144, v47, -v4
	v_add_f32_e32 v162, v162, v163
	s_waitcnt vmcnt(34) lgkmcnt(0)
	v_mul_f32_e32 v163, v158, v200
	v_add_f32_e32 v3, v3, v4
	v_mul_f32_e32 v4, v147, v50
	v_fmac_f32_e32 v163, v159, v199
	v_fma_f32 v4, v146, v49, -v4
	v_add_f32_e32 v166, v162, v163
	ds_read2_b64 v[162:165], v2 offset0:103 offset1:104
	v_add_f32_e32 v3, v3, v4
	v_mul_f32_e32 v4, v149, v52
	v_fma_f32 v4, v148, v51, -v4
	s_waitcnt vmcnt(32)
	v_mul_f32_e32 v167, v160, v202
	v_add_f32_e32 v3, v3, v4
	v_mul_f32_e32 v4, v151, v54
	v_fmac_f32_e32 v167, v161, v201
	v_fma_f32 v4, v150, v53, -v4
	v_add_f32_e32 v170, v166, v167
	ds_read2_b64 v[166:169], v2 offset0:105 offset1:106
	v_add_f32_e32 v3, v3, v4
	v_mul_f32_e32 v4, v153, v194
	s_waitcnt vmcnt(30) lgkmcnt(1)
	v_mul_f32_e32 v171, v162, v204
	v_fma_f32 v4, v152, v55, -v4
	v_fmac_f32_e32 v171, v163, v203
	v_add_f32_e32 v3, v3, v4
	v_mul_f32_e32 v4, v155, v196
	v_add_f32_e32 v170, v170, v171
	s_waitcnt vmcnt(28)
	v_mul_f32_e32 v171, v164, v206
	v_fma_f32 v4, v154, v195, -v4
	v_fmac_f32_e32 v171, v165, v205
	v_add_f32_e32 v3, v3, v4
	v_mul_f32_e32 v4, v157, v198
	v_add_f32_e32 v170, v170, v171
	s_waitcnt vmcnt(26) lgkmcnt(0)
	v_mul_f32_e32 v171, v166, v208
	v_fma_f32 v4, v156, v197, -v4
	v_fmac_f32_e32 v171, v167, v207
	v_add_f32_e32 v3, v3, v4
	v_mul_f32_e32 v4, v159, v200
	v_add_f32_e32 v174, v170, v171
	ds_read2_b64 v[170:173], v2 offset0:107 offset1:108
	v_fma_f32 v4, v158, v199, -v4
	v_add_f32_e32 v3, v3, v4
	v_mul_f32_e32 v4, v161, v202
	s_waitcnt vmcnt(24)
	v_mul_f32_e32 v175, v168, v210
	v_fma_f32 v4, v160, v201, -v4
	v_fmac_f32_e32 v175, v169, v209
	v_add_f32_e32 v3, v3, v4
	v_mul_f32_e32 v4, v163, v204
	v_add_f32_e32 v178, v174, v175
	ds_read2_b64 v[174:177], v2 offset0:109 offset1:110
	v_fma_f32 v4, v162, v203, -v4
	s_waitcnt vmcnt(22) lgkmcnt(1)
	v_mul_f32_e32 v179, v170, v212
	v_add_f32_e32 v3, v3, v4
	v_mul_f32_e32 v4, v165, v206
	v_fmac_f32_e32 v179, v171, v211
	v_fma_f32 v4, v164, v205, -v4
	v_add_f32_e32 v178, v178, v179
	s_waitcnt vmcnt(20)
	v_mul_f32_e32 v179, v172, v214
	v_add_f32_e32 v3, v3, v4
	v_mul_f32_e32 v4, v167, v208
	v_fmac_f32_e32 v179, v173, v213
	v_fma_f32 v4, v166, v207, -v4
	v_add_f32_e32 v178, v178, v179
	s_waitcnt vmcnt(18) lgkmcnt(0)
	v_mul_f32_e32 v179, v174, v216
	v_add_f32_e32 v3, v3, v4
	v_mul_f32_e32 v4, v169, v210
	v_fmac_f32_e32 v179, v175, v215
	v_fma_f32 v4, v168, v209, -v4
	v_add_f32_e32 v182, v178, v179
	ds_read2_b64 v[178:181], v2 offset0:111 offset1:112
	v_add_f32_e32 v3, v3, v4
	v_mul_f32_e32 v4, v171, v212
	v_fma_f32 v4, v170, v211, -v4
	s_waitcnt vmcnt(16)
	v_mul_f32_e32 v183, v176, v218
	v_add_f32_e32 v3, v3, v4
	v_mul_f32_e32 v4, v173, v214
	v_fmac_f32_e32 v183, v177, v217
	v_fma_f32 v4, v172, v213, -v4
	v_add_f32_e32 v186, v182, v183
	ds_read2_b64 v[182:185], v2 offset0:113 offset1:114
	v_add_f32_e32 v3, v3, v4
	v_mul_f32_e32 v4, v175, v216
	s_waitcnt vmcnt(14) lgkmcnt(1)
	v_mul_f32_e32 v187, v178, v220
	v_fma_f32 v4, v174, v215, -v4
	v_fmac_f32_e32 v187, v179, v219
	v_add_f32_e32 v3, v3, v4
	v_mul_f32_e32 v4, v177, v218
	v_add_f32_e32 v186, v186, v187
	s_waitcnt vmcnt(13)
	v_mul_f32_e32 v187, v180, v221
	v_fma_f32 v4, v176, v217, -v4
	s_waitcnt vmcnt(10)
	v_fmac_f32_e32 v187, v181, v224
	v_add_f32_e32 v3, v3, v4
	v_mul_f32_e32 v4, v179, v220
	v_add_f32_e32 v186, v186, v187
	s_waitcnt lgkmcnt(0)
	v_mul_f32_e32 v187, v182, v223
	v_fma_f32 v4, v178, v219, -v4
	v_fmac_f32_e32 v187, v183, v222
	v_add_f32_e32 v3, v3, v4
	v_mul_f32_e32 v4, v181, v221
	v_add_f32_e32 v190, v186, v187
	ds_read2_b64 v[186:189], v2 offset0:115 offset1:116
	v_fma_f32 v4, v180, v224, -v4
	v_add_f32_e32 v3, v3, v4
	v_mul_f32_e32 v4, v183, v223
	s_waitcnt vmcnt(8)
	v_mul_f32_e32 v191, v184, v226
	v_fma_f32 v4, v182, v222, -v4
	v_fmac_f32_e32 v191, v185, v225
	v_add_f32_e32 v3, v3, v4
	v_mul_f32_e32 v4, v185, v226
	v_add_f32_e32 v235, v190, v191
	ds_read2_b64 v[190:193], v2 offset0:117 offset1:118
	v_fma_f32 v4, v184, v225, -v4
	v_add_f32_e32 v3, v3, v4
	s_waitcnt vmcnt(6) lgkmcnt(1)
	v_mul_f32_e32 v4, v187, v228
	v_mul_f32_e32 v2, v186, v228
	v_fma_f32 v4, v186, v227, -v4
	v_fmac_f32_e32 v2, v187, v227
	v_add_f32_e32 v3, v3, v4
	s_waitcnt vmcnt(5)
	v_mul_f32_e32 v4, v189, v229
	v_add_f32_e32 v2, v235, v2
	v_mul_f32_e32 v235, v188, v229
	s_waitcnt vmcnt(2)
	v_fma_f32 v4, v188, v232, -v4
	v_fmac_f32_e32 v235, v189, v232
	v_add_f32_e32 v3, v3, v4
	s_waitcnt lgkmcnt(0)
	v_mul_f32_e32 v4, v191, v231
	v_add_f32_e32 v2, v2, v235
	v_mul_f32_e32 v235, v190, v231
	v_fma_f32 v4, v190, v230, -v4
	v_fmac_f32_e32 v235, v191, v230
	v_add_f32_e32 v3, v3, v4
	s_waitcnt vmcnt(0)
	v_mul_f32_e32 v4, v193, v234
	v_add_f32_e32 v2, v2, v235
	v_mul_f32_e32 v235, v192, v234
	v_fma_f32 v4, v192, v233, -v4
	v_fmac_f32_e32 v235, v193, v233
	v_add_f32_e32 v3, v3, v4
	v_add_f32_e32 v2, v2, v235
	v_sub_f32_e32 v3, v45, v3
	v_sub_f32_e32 v2, v46, v2
	buffer_store_dword v3, off, s[0:3], 0 offset:176
	buffer_store_dword v2, off, s[0:3], 0 offset:180
	s_and_saveexec_b64 s[4:5], vcc
	s_cbranch_execz .LBB58_325
; %bb.324:
	buffer_load_dword v2, off, s[0:3], 0 offset:168
	buffer_load_dword v3, off, s[0:3], 0 offset:172
	v_mov_b32_e32 v4, 0
	buffer_store_dword v4, off, s[0:3], 0 offset:168
	buffer_store_dword v4, off, s[0:3], 0 offset:172
	s_waitcnt vmcnt(2)
	ds_write_b64 v1, v[2:3]
.LBB58_325:
	s_or_b64 exec, exec, s[4:5]
	s_waitcnt lgkmcnt(0)
	; wave barrier
	buffer_load_dword v25, off, s[0:3], 0 offset:180
	buffer_load_dword v26, off, s[0:3], 0 offset:188
	;; [unrolled: 1-line block ×50, first 2 shown]
	v_mov_b32_e32 v2, 0
	ds_read_b128 v[3:6], v2 offset:656
	ds_read_b128 v[7:10], v2 offset:672
	;; [unrolled: 1-line block ×6, first 2 shown]
	buffer_load_dword v213, off, s[0:3], 0 offset:368
	buffer_load_dword v214, off, s[0:3], 0 offset:372
	;; [unrolled: 1-line block ×16, first 2 shown]
	v_cmp_lt_u32_e32 vcc, 20, v0
	s_waitcnt vmcnt(62) lgkmcnt(5)
	v_mul_f32_e32 v23, v3, v25
	v_mul_f32_e32 v24, v5, v26
	s_waitcnt lgkmcnt(4)
	v_mul_f32_e32 v146, v7, v27
	v_mul_f32_e32 v147, v9, v28
	s_waitcnt vmcnt(61) lgkmcnt(3)
	v_mul_f32_e32 v148, v11, v29
	s_waitcnt vmcnt(60)
	v_mul_f32_e32 v149, v13, v30
	s_waitcnt vmcnt(59) lgkmcnt(2)
	v_mul_f32_e32 v150, v15, v31
	s_waitcnt vmcnt(58)
	;; [unrolled: 4-line block ×3, first 2 shown]
	v_fmac_f32_e32 v146, v8, v34
	s_waitcnt vmcnt(55)
	v_fmac_f32_e32 v24, v6, v35
	s_waitcnt vmcnt(54)
	v_fmac_f32_e32 v23, v4, v36
	v_add_f32_e32 v23, 0, v23
	v_add_f32_e32 v23, v23, v24
	;; [unrolled: 1-line block ×3, first 2 shown]
	s_waitcnt vmcnt(50)
	v_fmac_f32_e32 v147, v10, v40
	v_fmac_f32_e32 v148, v12, v39
	v_add_f32_e32 v23, v23, v147
	v_fmac_f32_e32 v149, v14, v38
	v_add_f32_e32 v23, v23, v148
	v_add_f32_e32 v23, v23, v149
	ds_read_b128 v[146:149], v2 offset:752
	buffer_load_dword v229, off, s[0:3], 0 offset:432
	buffer_load_dword v230, off, s[0:3], 0 offset:436
	;; [unrolled: 1-line block ×6, first 2 shown]
	v_fmac_f32_e32 v150, v16, v37
	s_waitcnt vmcnt(52)
	v_fmac_f32_e32 v151, v18, v44
	v_add_f32_e32 v23, v23, v150
	v_fmac_f32_e32 v152, v20, v43
	v_add_f32_e32 v23, v23, v151
	v_add_f32_e32 v23, v23, v152
	ds_read_b128 v[150:153], v2 offset:768
	buffer_load_dword v235, off, s[0:3], 0 offset:460
	buffer_load_dword v236, off, s[0:3], 0 offset:464
	;; [unrolled: 1-line block ×4, first 2 shown]
	v_mul_f32_e32 v4, v4, v25
	v_fma_f32 v3, v3, v36, -v4
	v_mul_f32_e32 v4, v6, v26
	v_add_f32_e32 v3, 0, v3
	v_fma_f32 v4, v5, v35, -v4
	v_add_f32_e32 v3, v3, v4
	v_mul_f32_e32 v4, v8, v27
	v_fma_f32 v4, v7, v34, -v4
	v_add_f32_e32 v3, v3, v4
	v_mul_f32_e32 v4, v10, v28
	;; [unrolled: 3-line block ×7, first 2 shown]
	s_waitcnt vmcnt(55)
	v_mul_f32_e32 v24, v21, v45
	v_fma_f32 v4, v19, v43, -v4
	v_fmac_f32_e32 v24, v22, v42
	v_add_f32_e32 v3, v3, v4
	v_mul_f32_e32 v4, v22, v45
	v_add_f32_e32 v23, v23, v24
	s_waitcnt vmcnt(54) lgkmcnt(2)
	v_mul_f32_e32 v24, v142, v46
	v_fma_f32 v4, v21, v42, -v4
	v_fmac_f32_e32 v24, v143, v41
	v_add_f32_e32 v3, v3, v4
	v_mul_f32_e32 v4, v143, v46
	v_add_f32_e32 v23, v23, v24
	s_waitcnt vmcnt(53)
	v_mul_f32_e32 v24, v144, v47
	v_fma_f32 v4, v142, v41, -v4
	s_waitcnt vmcnt(46)
	v_fmac_f32_e32 v24, v145, v54
	v_add_f32_e32 v3, v3, v4
	v_mul_f32_e32 v4, v145, v47
	v_add_f32_e32 v23, v23, v24
	s_waitcnt lgkmcnt(1)
	v_mul_f32_e32 v24, v146, v49
	v_fma_f32 v4, v144, v54, -v4
	v_fmac_f32_e32 v24, v147, v48
	v_add_f32_e32 v3, v3, v4
	v_mul_f32_e32 v4, v147, v49
	v_add_f32_e32 v23, v23, v24
	v_mul_f32_e32 v24, v148, v51
	v_fma_f32 v4, v146, v48, -v4
	v_fmac_f32_e32 v24, v149, v50
	ds_read_b128 v[154:157], v2 offset:784
	ds_read_b128 v[158:161], v2 offset:800
	v_add_f32_e32 v3, v3, v4
	v_mul_f32_e32 v4, v149, v51
	v_add_f32_e32 v23, v23, v24
	s_waitcnt lgkmcnt(2)
	v_mul_f32_e32 v24, v150, v53
	v_fma_f32 v4, v148, v50, -v4
	v_fmac_f32_e32 v24, v151, v52
	v_add_f32_e32 v3, v3, v4
	v_mul_f32_e32 v4, v151, v53
	v_add_f32_e32 v23, v23, v24
	s_waitcnt vmcnt(42)
	v_mul_f32_e32 v24, v152, v196
	v_fma_f32 v4, v150, v52, -v4
	v_fmac_f32_e32 v24, v153, v195
	v_add_f32_e32 v3, v3, v4
	v_mul_f32_e32 v4, v153, v196
	v_add_f32_e32 v23, v23, v24
	s_waitcnt vmcnt(40) lgkmcnt(1)
	v_mul_f32_e32 v24, v154, v198
	v_fma_f32 v4, v152, v195, -v4
	v_fmac_f32_e32 v24, v155, v197
	v_add_f32_e32 v3, v3, v4
	v_mul_f32_e32 v4, v155, v198
	v_add_f32_e32 v23, v23, v24
	s_waitcnt vmcnt(38)
	v_mul_f32_e32 v24, v156, v200
	v_fma_f32 v4, v154, v197, -v4
	v_fmac_f32_e32 v24, v157, v199
	ds_read_b128 v[162:165], v2 offset:816
	ds_read_b128 v[166:169], v2 offset:832
	v_add_f32_e32 v3, v3, v4
	v_mul_f32_e32 v4, v157, v200
	v_add_f32_e32 v23, v23, v24
	s_waitcnt vmcnt(36) lgkmcnt(2)
	v_mul_f32_e32 v24, v158, v202
	v_fma_f32 v4, v156, v199, -v4
	v_fmac_f32_e32 v24, v159, v201
	v_add_f32_e32 v3, v3, v4
	v_mul_f32_e32 v4, v159, v202
	v_add_f32_e32 v23, v23, v24
	s_waitcnt vmcnt(34)
	v_mul_f32_e32 v24, v160, v204
	v_fma_f32 v4, v158, v201, -v4
	v_fmac_f32_e32 v24, v161, v203
	v_add_f32_e32 v3, v3, v4
	v_mul_f32_e32 v4, v161, v204
	v_add_f32_e32 v23, v23, v24
	s_waitcnt vmcnt(32) lgkmcnt(1)
	v_mul_f32_e32 v24, v162, v206
	v_fma_f32 v4, v160, v203, -v4
	v_fmac_f32_e32 v24, v163, v205
	v_add_f32_e32 v3, v3, v4
	v_mul_f32_e32 v4, v163, v206
	v_add_f32_e32 v23, v23, v24
	s_waitcnt vmcnt(30)
	v_mul_f32_e32 v24, v164, v208
	v_fma_f32 v4, v162, v205, -v4
	v_fmac_f32_e32 v24, v165, v207
	ds_read_b128 v[170:173], v2 offset:848
	ds_read_b128 v[174:177], v2 offset:864
	v_add_f32_e32 v3, v3, v4
	v_mul_f32_e32 v4, v165, v208
	v_add_f32_e32 v23, v23, v24
	s_waitcnt vmcnt(28) lgkmcnt(2)
	v_mul_f32_e32 v24, v166, v210
	v_fma_f32 v4, v164, v207, -v4
	v_fmac_f32_e32 v24, v167, v209
	v_add_f32_e32 v3, v3, v4
	v_mul_f32_e32 v4, v167, v210
	v_add_f32_e32 v23, v23, v24
	s_waitcnt vmcnt(26)
	v_mul_f32_e32 v24, v168, v212
	v_fma_f32 v4, v166, v209, -v4
	v_fmac_f32_e32 v24, v169, v211
	v_add_f32_e32 v3, v3, v4
	v_mul_f32_e32 v4, v169, v212
	v_add_f32_e32 v23, v23, v24
	s_waitcnt vmcnt(24) lgkmcnt(1)
	v_mul_f32_e32 v24, v170, v214
	v_fma_f32 v4, v168, v211, -v4
	v_fmac_f32_e32 v24, v171, v213
	v_add_f32_e32 v3, v3, v4
	v_mul_f32_e32 v4, v171, v214
	v_add_f32_e32 v23, v23, v24
	s_waitcnt vmcnt(23)
	v_mul_f32_e32 v24, v172, v215
	v_fma_f32 v4, v170, v213, -v4
	s_waitcnt vmcnt(20)
	v_fmac_f32_e32 v24, v173, v218
	ds_read_b128 v[178:181], v2 offset:880
	ds_read_b128 v[182:185], v2 offset:896
	v_add_f32_e32 v3, v3, v4
	v_mul_f32_e32 v4, v173, v215
	v_add_f32_e32 v23, v23, v24
	s_waitcnt lgkmcnt(2)
	v_mul_f32_e32 v24, v174, v217
	v_fma_f32 v4, v172, v218, -v4
	v_fmac_f32_e32 v24, v175, v216
	v_add_f32_e32 v3, v3, v4
	v_mul_f32_e32 v4, v175, v217
	v_add_f32_e32 v23, v23, v24
	s_waitcnt vmcnt(18)
	v_mul_f32_e32 v24, v176, v220
	v_fma_f32 v4, v174, v216, -v4
	v_fmac_f32_e32 v24, v177, v219
	v_add_f32_e32 v3, v3, v4
	v_mul_f32_e32 v4, v177, v220
	v_add_f32_e32 v23, v23, v24
	s_waitcnt vmcnt(16) lgkmcnt(1)
	v_mul_f32_e32 v24, v178, v222
	v_fma_f32 v4, v176, v219, -v4
	v_fmac_f32_e32 v24, v179, v221
	v_add_f32_e32 v3, v3, v4
	v_mul_f32_e32 v4, v179, v222
	v_add_f32_e32 v23, v23, v24
	s_waitcnt vmcnt(15)
	v_mul_f32_e32 v24, v180, v223
	v_fma_f32 v4, v178, v221, -v4
	s_waitcnt vmcnt(12)
	v_fmac_f32_e32 v24, v181, v226
	ds_read_b128 v[186:189], v2 offset:912
	ds_read_b128 v[190:193], v2 offset:928
	v_add_f32_e32 v3, v3, v4
	v_mul_f32_e32 v4, v181, v223
	v_add_f32_e32 v23, v23, v24
	s_waitcnt lgkmcnt(2)
	v_mul_f32_e32 v24, v182, v225
	v_fma_f32 v4, v180, v226, -v4
	v_fmac_f32_e32 v24, v183, v224
	v_add_f32_e32 v3, v3, v4
	v_mul_f32_e32 v4, v183, v225
	v_add_f32_e32 v23, v23, v24
	s_waitcnt vmcnt(10)
	v_mul_f32_e32 v24, v184, v228
	v_fma_f32 v4, v182, v224, -v4
	v_fmac_f32_e32 v24, v185, v227
	v_add_f32_e32 v3, v3, v4
	v_mul_f32_e32 v4, v185, v228
	v_add_f32_e32 v23, v23, v24
	s_waitcnt vmcnt(8) lgkmcnt(1)
	v_mul_f32_e32 v24, v186, v230
	v_fma_f32 v4, v184, v227, -v4
	v_fmac_f32_e32 v24, v187, v229
	v_add_f32_e32 v3, v3, v4
	v_mul_f32_e32 v4, v187, v230
	v_add_f32_e32 v23, v23, v24
	s_waitcnt vmcnt(7)
	v_mul_f32_e32 v24, v188, v231
	v_fma_f32 v4, v186, v229, -v4
	s_waitcnt vmcnt(4)
	v_fmac_f32_e32 v24, v189, v234
	v_add_f32_e32 v3, v3, v4
	v_mul_f32_e32 v4, v189, v231
	v_add_f32_e32 v239, v23, v24
	ds_read_b64 v[23:24], v2 offset:944
	v_fma_f32 v4, v188, v234, -v4
	v_add_f32_e32 v3, v3, v4
	s_waitcnt lgkmcnt(1)
	v_mul_f32_e32 v4, v191, v233
	v_mul_f32_e32 v240, v190, v233
	v_fma_f32 v4, v190, v232, -v4
	v_fmac_f32_e32 v240, v191, v232
	v_add_f32_e32 v3, v3, v4
	s_waitcnt vmcnt(3)
	v_mul_f32_e32 v4, v193, v235
	v_add_f32_e32 v239, v239, v240
	v_mul_f32_e32 v240, v192, v235
	s_waitcnt vmcnt(0)
	v_fma_f32 v4, v192, v238, -v4
	v_fmac_f32_e32 v240, v193, v238
	v_add_f32_e32 v3, v3, v4
	s_waitcnt lgkmcnt(0)
	v_mul_f32_e32 v4, v24, v237
	v_add_f32_e32 v239, v239, v240
	v_mul_f32_e32 v240, v23, v237
	v_fma_f32 v4, v23, v236, -v4
	v_fmac_f32_e32 v240, v24, v236
	v_add_f32_e32 v3, v3, v4
	v_add_f32_e32 v239, v239, v240
	v_sub_f32_e32 v3, v55, v3
	v_sub_f32_e32 v4, v194, v239
	buffer_store_dword v3, off, s[0:3], 0 offset:168
	buffer_store_dword v4, off, s[0:3], 0 offset:172
	s_and_saveexec_b64 s[4:5], vcc
	s_cbranch_execz .LBB58_327
; %bb.326:
	buffer_load_dword v3, off, s[0:3], 0 offset:160
	buffer_load_dword v4, off, s[0:3], 0 offset:164
	s_waitcnt vmcnt(0)
	ds_write_b64 v1, v[3:4]
	buffer_store_dword v2, off, s[0:3], 0 offset:160
	buffer_store_dword v2, off, s[0:3], 0 offset:164
.LBB58_327:
	s_or_b64 exec, exec, s[4:5]
	s_waitcnt lgkmcnt(0)
	; wave barrier
	buffer_load_dword v23, off, s[0:3], 0 offset:172
	buffer_load_dword v24, off, s[0:3], 0 offset:180
	;; [unrolled: 1-line block ×32, first 2 shown]
	ds_read2_b64 v[3:6], v2 offset0:81 offset1:82
	ds_read2_b64 v[7:10], v2 offset0:83 offset1:84
	;; [unrolled: 1-line block ×6, first 2 shown]
	buffer_load_dword v55, off, s[0:3], 0 offset:288
	buffer_load_dword v198, off, s[0:3], 0 offset:292
	;; [unrolled: 1-line block ×32, first 2 shown]
	v_cmp_lt_u32_e32 vcc, 19, v0
	s_waitcnt vmcnt(62) lgkmcnt(5)
	v_mul_f32_e32 v146, v3, v23
	v_mul_f32_e32 v147, v5, v24
	s_waitcnt vmcnt(61) lgkmcnt(4)
	v_mul_f32_e32 v148, v7, v25
	s_waitcnt vmcnt(60)
	v_mul_f32_e32 v149, v9, v26
	s_waitcnt vmcnt(59) lgkmcnt(3)
	v_mul_f32_e32 v150, v11, v27
	s_waitcnt vmcnt(58)
	v_mul_f32_e32 v151, v13, v28
	s_waitcnt vmcnt(57) lgkmcnt(2)
	v_mul_f32_e32 v152, v15, v29
	s_waitcnt vmcnt(56)
	v_mul_f32_e32 v153, v17, v30
	s_waitcnt vmcnt(55) lgkmcnt(1)
	v_mul_f32_e32 v154, v19, v31
	s_waitcnt vmcnt(54)
	v_mul_f32_e32 v155, v21, v32
	s_waitcnt vmcnt(53)
	v_fmac_f32_e32 v148, v8, v33
	s_waitcnt vmcnt(52)
	v_fmac_f32_e32 v147, v6, v34
	;; [unrolled: 2-line block ×3, first 2 shown]
	v_add_f32_e32 v146, 0, v146
	v_add_f32_e32 v146, v146, v147
	;; [unrolled: 1-line block ×3, first 2 shown]
	s_waitcnt vmcnt(47)
	v_fmac_f32_e32 v149, v10, v39
	v_fmac_f32_e32 v150, v12, v38
	v_add_f32_e32 v146, v146, v149
	v_fmac_f32_e32 v151, v14, v37
	v_add_f32_e32 v146, v146, v150
	;; [unrolled: 2-line block ×3, first 2 shown]
	s_waitcnt vmcnt(43)
	v_fmac_f32_e32 v153, v18, v43
	v_add_f32_e32 v146, v146, v152
	v_fmac_f32_e32 v154, v20, v42
	v_add_f32_e32 v146, v146, v153
	;; [unrolled: 2-line block ×3, first 2 shown]
	s_waitcnt vmcnt(42) lgkmcnt(0)
	v_mul_f32_e32 v147, v142, v44
	v_add_f32_e32 v146, v146, v155
	v_fmac_f32_e32 v147, v143, v40
	v_add_f32_e32 v150, v146, v147
	ds_read2_b64 v[146:149], v2 offset0:93 offset1:94
	buffer_load_dword v229, off, s[0:3], 0 offset:416
	buffer_load_dword v230, off, s[0:3], 0 offset:420
	s_waitcnt vmcnt(43)
	v_mul_f32_e32 v151, v144, v45
	s_waitcnt vmcnt(37)
	v_fmac_f32_e32 v151, v145, v51
	v_add_f32_e32 v154, v150, v151
	ds_read2_b64 v[150:153], v2 offset0:95 offset1:96
	buffer_load_dword v231, off, s[0:3], 0 offset:424
	buffer_load_dword v232, off, s[0:3], 0 offset:428
	;; [unrolled: 1-line block ×12, first 2 shown]
	v_mul_f32_e32 v4, v4, v23
	v_fma_f32 v3, v3, v35, -v4
	v_mul_f32_e32 v4, v6, v24
	v_add_f32_e32 v3, 0, v3
	v_fma_f32 v4, v5, v34, -v4
	v_add_f32_e32 v3, v3, v4
	v_mul_f32_e32 v4, v8, v25
	v_fma_f32 v4, v7, v33, -v4
	v_add_f32_e32 v3, v3, v4
	v_mul_f32_e32 v4, v10, v26
	v_fma_f32 v4, v9, v39, -v4
	s_waitcnt vmcnt(48) lgkmcnt(1)
	v_mul_f32_e32 v155, v146, v52
	v_add_f32_e32 v3, v3, v4
	v_mul_f32_e32 v4, v12, v27
	v_fmac_f32_e32 v155, v147, v50
	v_fma_f32 v4, v11, v38, -v4
	v_add_f32_e32 v154, v154, v155
	v_mul_f32_e32 v155, v148, v47
	v_add_f32_e32 v3, v3, v4
	v_mul_f32_e32 v4, v14, v28
	v_fmac_f32_e32 v155, v149, v46
	v_fma_f32 v4, v13, v37, -v4
	v_add_f32_e32 v154, v154, v155
	s_waitcnt lgkmcnt(0)
	v_mul_f32_e32 v155, v150, v49
	v_add_f32_e32 v3, v3, v4
	v_mul_f32_e32 v4, v16, v29
	v_fmac_f32_e32 v155, v151, v48
	v_fma_f32 v4, v15, v36, -v4
	v_add_f32_e32 v158, v154, v155
	ds_read2_b64 v[154:157], v2 offset0:97 offset1:98
	v_add_f32_e32 v3, v3, v4
	v_mul_f32_e32 v4, v18, v30
	v_fma_f32 v4, v17, v43, -v4
	s_waitcnt vmcnt(44)
	v_mul_f32_e32 v159, v152, v198
	v_add_f32_e32 v3, v3, v4
	v_mul_f32_e32 v4, v20, v31
	v_fmac_f32_e32 v159, v153, v55
	v_fma_f32 v4, v19, v42, -v4
	v_add_f32_e32 v162, v158, v159
	ds_read2_b64 v[158:161], v2 offset0:99 offset1:100
	v_add_f32_e32 v3, v3, v4
	v_mul_f32_e32 v4, v22, v32
	s_waitcnt vmcnt(42) lgkmcnt(1)
	v_mul_f32_e32 v163, v154, v200
	v_fma_f32 v4, v21, v41, -v4
	v_fmac_f32_e32 v163, v155, v199
	v_add_f32_e32 v3, v3, v4
	v_mul_f32_e32 v4, v143, v44
	v_add_f32_e32 v162, v162, v163
	s_waitcnt vmcnt(40)
	v_mul_f32_e32 v163, v156, v202
	v_fma_f32 v4, v142, v40, -v4
	v_fmac_f32_e32 v163, v157, v201
	v_add_f32_e32 v3, v3, v4
	v_mul_f32_e32 v4, v145, v45
	v_add_f32_e32 v162, v162, v163
	s_waitcnt vmcnt(38) lgkmcnt(0)
	v_mul_f32_e32 v163, v158, v204
	v_fma_f32 v4, v144, v51, -v4
	v_fmac_f32_e32 v163, v159, v203
	v_add_f32_e32 v3, v3, v4
	v_mul_f32_e32 v4, v147, v52
	v_add_f32_e32 v166, v162, v163
	ds_read2_b64 v[162:165], v2 offset0:101 offset1:102
	v_fma_f32 v4, v146, v50, -v4
	v_add_f32_e32 v3, v3, v4
	v_mul_f32_e32 v4, v149, v47
	s_waitcnt vmcnt(36)
	v_mul_f32_e32 v167, v160, v206
	v_fma_f32 v4, v148, v46, -v4
	v_fmac_f32_e32 v167, v161, v205
	v_add_f32_e32 v3, v3, v4
	v_mul_f32_e32 v4, v151, v49
	v_add_f32_e32 v170, v166, v167
	ds_read2_b64 v[166:169], v2 offset0:103 offset1:104
	v_fma_f32 v4, v150, v48, -v4
	s_waitcnt vmcnt(34) lgkmcnt(1)
	v_mul_f32_e32 v171, v162, v208
	v_add_f32_e32 v3, v3, v4
	v_mul_f32_e32 v4, v153, v198
	v_fmac_f32_e32 v171, v163, v207
	v_fma_f32 v4, v152, v55, -v4
	v_add_f32_e32 v170, v170, v171
	s_waitcnt vmcnt(32)
	v_mul_f32_e32 v171, v164, v210
	v_add_f32_e32 v3, v3, v4
	v_mul_f32_e32 v4, v155, v200
	v_fmac_f32_e32 v171, v165, v209
	v_fma_f32 v4, v154, v199, -v4
	v_add_f32_e32 v170, v170, v171
	s_waitcnt vmcnt(30) lgkmcnt(0)
	v_mul_f32_e32 v171, v166, v212
	v_add_f32_e32 v3, v3, v4
	v_mul_f32_e32 v4, v157, v202
	v_fmac_f32_e32 v171, v167, v211
	v_fma_f32 v4, v156, v201, -v4
	v_add_f32_e32 v174, v170, v171
	ds_read2_b64 v[170:173], v2 offset0:105 offset1:106
	v_add_f32_e32 v3, v3, v4
	v_mul_f32_e32 v4, v159, v204
	v_fma_f32 v4, v158, v203, -v4
	s_waitcnt vmcnt(28)
	v_mul_f32_e32 v175, v168, v214
	v_add_f32_e32 v3, v3, v4
	v_mul_f32_e32 v4, v161, v206
	v_fmac_f32_e32 v175, v169, v213
	v_fma_f32 v4, v160, v205, -v4
	v_add_f32_e32 v178, v174, v175
	ds_read2_b64 v[174:177], v2 offset0:107 offset1:108
	v_add_f32_e32 v3, v3, v4
	v_mul_f32_e32 v4, v163, v208
	s_waitcnt vmcnt(26) lgkmcnt(1)
	v_mul_f32_e32 v179, v170, v216
	v_fma_f32 v4, v162, v207, -v4
	v_fmac_f32_e32 v179, v171, v215
	v_add_f32_e32 v3, v3, v4
	v_mul_f32_e32 v4, v165, v210
	v_add_f32_e32 v178, v178, v179
	s_waitcnt vmcnt(25)
	v_mul_f32_e32 v179, v172, v217
	v_fma_f32 v4, v164, v209, -v4
	s_waitcnt vmcnt(22)
	v_fmac_f32_e32 v179, v173, v220
	v_add_f32_e32 v3, v3, v4
	v_mul_f32_e32 v4, v167, v212
	v_add_f32_e32 v178, v178, v179
	s_waitcnt lgkmcnt(0)
	v_mul_f32_e32 v179, v174, v219
	v_fma_f32 v4, v166, v211, -v4
	v_fmac_f32_e32 v179, v175, v218
	v_add_f32_e32 v3, v3, v4
	v_mul_f32_e32 v4, v169, v214
	v_add_f32_e32 v182, v178, v179
	ds_read2_b64 v[178:181], v2 offset0:109 offset1:110
	v_fma_f32 v4, v168, v213, -v4
	v_add_f32_e32 v3, v3, v4
	v_mul_f32_e32 v4, v171, v216
	s_waitcnt vmcnt(20)
	v_mul_f32_e32 v183, v176, v222
	v_fma_f32 v4, v170, v215, -v4
	v_fmac_f32_e32 v183, v177, v221
	v_add_f32_e32 v3, v3, v4
	v_mul_f32_e32 v4, v173, v217
	v_add_f32_e32 v186, v182, v183
	ds_read2_b64 v[182:185], v2 offset0:111 offset1:112
	v_fma_f32 v4, v172, v220, -v4
	s_waitcnt vmcnt(18) lgkmcnt(1)
	v_mul_f32_e32 v187, v178, v224
	v_add_f32_e32 v3, v3, v4
	v_mul_f32_e32 v4, v175, v219
	v_fmac_f32_e32 v187, v179, v223
	v_fma_f32 v4, v174, v218, -v4
	v_add_f32_e32 v186, v186, v187
	s_waitcnt vmcnt(17)
	v_mul_f32_e32 v187, v180, v225
	v_add_f32_e32 v3, v3, v4
	v_mul_f32_e32 v4, v177, v222
	s_waitcnt vmcnt(14)
	v_fmac_f32_e32 v187, v181, v228
	v_fma_f32 v4, v176, v221, -v4
	v_add_f32_e32 v186, v186, v187
	s_waitcnt lgkmcnt(0)
	v_mul_f32_e32 v187, v182, v227
	v_add_f32_e32 v3, v3, v4
	v_mul_f32_e32 v4, v179, v224
	v_fmac_f32_e32 v187, v183, v226
	v_fma_f32 v4, v178, v223, -v4
	v_add_f32_e32 v190, v186, v187
	ds_read2_b64 v[186:189], v2 offset0:113 offset1:114
	v_add_f32_e32 v3, v3, v4
	v_mul_f32_e32 v4, v181, v225
	v_fma_f32 v4, v180, v228, -v4
	v_add_f32_e32 v3, v3, v4
	v_mul_f32_e32 v4, v183, v227
	s_waitcnt vmcnt(12)
	v_mul_f32_e32 v191, v184, v230
	v_fma_f32 v4, v182, v226, -v4
	v_fmac_f32_e32 v191, v185, v229
	v_add_f32_e32 v3, v3, v4
	v_mul_f32_e32 v4, v185, v230
	v_add_f32_e32 v194, v190, v191
	ds_read2_b64 v[190:193], v2 offset0:115 offset1:116
	s_waitcnt vmcnt(10) lgkmcnt(1)
	v_mul_f32_e32 v195, v186, v232
	v_fma_f32 v4, v184, v229, -v4
	v_fmac_f32_e32 v195, v187, v231
	v_add_f32_e32 v3, v3, v4
	v_mul_f32_e32 v4, v187, v232
	v_add_f32_e32 v194, v194, v195
	s_waitcnt vmcnt(9)
	v_mul_f32_e32 v195, v188, v233
	v_fma_f32 v4, v186, v231, -v4
	s_waitcnt vmcnt(6)
	v_fmac_f32_e32 v195, v189, v236
	v_add_f32_e32 v3, v3, v4
	v_mul_f32_e32 v4, v189, v233
	v_add_f32_e32 v243, v194, v195
	ds_read2_b64 v[194:197], v2 offset0:117 offset1:118
	v_fma_f32 v4, v188, v236, -v4
	v_add_f32_e32 v3, v3, v4
	s_waitcnt lgkmcnt(1)
	v_mul_f32_e32 v4, v191, v235
	v_mul_f32_e32 v244, v190, v235
	v_fma_f32 v4, v190, v234, -v4
	v_fmac_f32_e32 v244, v191, v234
	v_add_f32_e32 v3, v3, v4
	s_waitcnt vmcnt(4)
	v_mul_f32_e32 v4, v193, v238
	v_add_f32_e32 v2, v243, v244
	v_mul_f32_e32 v243, v192, v238
	v_fma_f32 v4, v192, v237, -v4
	v_fmac_f32_e32 v243, v193, v237
	v_add_f32_e32 v3, v3, v4
	s_waitcnt vmcnt(3) lgkmcnt(0)
	v_mul_f32_e32 v4, v195, v239
	v_add_f32_e32 v2, v2, v243
	v_mul_f32_e32 v243, v194, v239
	s_waitcnt vmcnt(0)
	v_fma_f32 v4, v194, v242, -v4
	v_fmac_f32_e32 v243, v195, v242
	v_add_f32_e32 v3, v3, v4
	v_mul_f32_e32 v4, v197, v241
	v_add_f32_e32 v2, v2, v243
	v_mul_f32_e32 v243, v196, v241
	v_fma_f32 v4, v196, v240, -v4
	v_fmac_f32_e32 v243, v197, v240
	v_add_f32_e32 v3, v3, v4
	v_add_f32_e32 v2, v2, v243
	v_sub_f32_e32 v3, v53, v3
	v_sub_f32_e32 v2, v54, v2
	buffer_store_dword v3, off, s[0:3], 0 offset:160
	buffer_store_dword v2, off, s[0:3], 0 offset:164
	s_and_saveexec_b64 s[4:5], vcc
	s_cbranch_execz .LBB58_329
; %bb.328:
	buffer_load_dword v2, off, s[0:3], 0 offset:152
	buffer_load_dword v3, off, s[0:3], 0 offset:156
	v_mov_b32_e32 v4, 0
	buffer_store_dword v4, off, s[0:3], 0 offset:152
	buffer_store_dword v4, off, s[0:3], 0 offset:156
	s_waitcnt vmcnt(2)
	ds_write_b64 v1, v[2:3]
.LBB58_329:
	s_or_b64 exec, exec, s[4:5]
	s_waitcnt lgkmcnt(0)
	; wave barrier
	buffer_load_dword v25, off, s[0:3], 0 offset:164
	buffer_load_dword v26, off, s[0:3], 0 offset:172
	;; [unrolled: 1-line block ×50, first 2 shown]
	v_mov_b32_e32 v2, 0
	ds_read_b128 v[3:6], v2 offset:640
	ds_read_b128 v[7:10], v2 offset:656
	;; [unrolled: 1-line block ×6, first 2 shown]
	buffer_load_dword v217, off, s[0:3], 0 offset:352
	buffer_load_dword v218, off, s[0:3], 0 offset:356
	buffer_load_dword v219, off, s[0:3], 0 offset:364
	buffer_load_dword v220, off, s[0:3], 0 offset:368
	buffer_load_dword v221, off, s[0:3], 0 offset:372
	buffer_load_dword v222, off, s[0:3], 0 offset:360
	buffer_load_dword v223, off, s[0:3], 0 offset:376
	buffer_load_dword v224, off, s[0:3], 0 offset:380
	v_cmp_lt_u32_e32 vcc, 18, v0
	s_waitcnt vmcnt(57) lgkmcnt(5)
	v_mul_f32_e32 v23, v3, v25
	s_waitcnt vmcnt(56)
	v_mul_f32_e32 v24, v5, v26
	s_waitcnt vmcnt(55) lgkmcnt(4)
	v_mul_f32_e32 v146, v7, v27
	s_waitcnt vmcnt(54)
	v_mul_f32_e32 v147, v9, v28
	;; [unrolled: 4-line block ×5, first 2 shown]
	s_waitcnt vmcnt(47) lgkmcnt(0)
	v_mul_f32_e32 v154, v142, v35
	s_waitcnt vmcnt(46)
	v_fmac_f32_e32 v146, v8, v36
	s_waitcnt vmcnt(45)
	v_fmac_f32_e32 v24, v6, v37
	;; [unrolled: 2-line block ×3, first 2 shown]
	v_add_f32_e32 v23, 0, v23
	v_add_f32_e32 v23, v23, v24
	;; [unrolled: 1-line block ×3, first 2 shown]
	s_waitcnt vmcnt(40)
	v_fmac_f32_e32 v147, v10, v42
	v_fmac_f32_e32 v148, v12, v41
	v_add_f32_e32 v23, v23, v147
	v_fmac_f32_e32 v149, v14, v40
	v_add_f32_e32 v23, v23, v148
	;; [unrolled: 2-line block ×3, first 2 shown]
	s_waitcnt vmcnt(36)
	v_fmac_f32_e32 v151, v18, v46
	v_add_f32_e32 v23, v23, v150
	ds_read_b128 v[146:149], v2 offset:736
	buffer_load_dword v225, off, s[0:3], 0 offset:384
	buffer_load_dword v226, off, s[0:3], 0 offset:388
	;; [unrolled: 1-line block ×6, first 2 shown]
	v_fmac_f32_e32 v152, v20, v45
	v_add_f32_e32 v23, v23, v151
	v_fmac_f32_e32 v153, v22, v44
	v_add_f32_e32 v23, v23, v152
	v_add_f32_e32 v23, v23, v153
	ds_read_b128 v[150:153], v2 offset:752
	buffer_load_dword v231, off, s[0:3], 0 offset:408
	buffer_load_dword v232, off, s[0:3], 0 offset:412
	;; [unrolled: 1-line block ×16, first 2 shown]
	v_mul_f32_e32 v4, v4, v25
	v_fma_f32 v3, v3, v38, -v4
	v_mul_f32_e32 v4, v6, v26
	v_add_f32_e32 v3, 0, v3
	v_fma_f32 v4, v5, v37, -v4
	v_add_f32_e32 v3, v3, v4
	v_mul_f32_e32 v4, v8, v27
	v_fma_f32 v4, v7, v36, -v4
	v_add_f32_e32 v3, v3, v4
	v_mul_f32_e32 v4, v10, v28
	;; [unrolled: 3-line block ×9, first 2 shown]
	v_fmac_f32_e32 v154, v143, v43
	s_waitcnt vmcnt(57)
	v_mul_f32_e32 v24, v144, v47
	v_fma_f32 v4, v142, v43, -v4
	v_add_f32_e32 v23, v23, v154
	s_waitcnt vmcnt(50)
	v_fmac_f32_e32 v24, v145, v54
	v_add_f32_e32 v3, v3, v4
	v_mul_f32_e32 v4, v145, v47
	v_add_f32_e32 v23, v23, v24
	s_waitcnt lgkmcnt(1)
	v_mul_f32_e32 v24, v146, v49
	v_fma_f32 v4, v144, v54, -v4
	v_fmac_f32_e32 v24, v147, v48
	v_add_f32_e32 v3, v3, v4
	v_mul_f32_e32 v4, v147, v49
	v_add_f32_e32 v23, v23, v24
	v_mul_f32_e32 v24, v148, v51
	v_fma_f32 v4, v146, v48, -v4
	v_fmac_f32_e32 v24, v149, v50
	ds_read_b128 v[154:157], v2 offset:768
	ds_read_b128 v[158:161], v2 offset:784
	v_add_f32_e32 v3, v3, v4
	v_mul_f32_e32 v4, v149, v51
	v_add_f32_e32 v23, v23, v24
	s_waitcnt lgkmcnt(2)
	v_mul_f32_e32 v24, v150, v53
	v_fma_f32 v4, v148, v50, -v4
	v_fmac_f32_e32 v24, v151, v52
	v_add_f32_e32 v3, v3, v4
	v_mul_f32_e32 v4, v151, v53
	v_add_f32_e32 v23, v23, v24
	s_waitcnt vmcnt(46)
	v_mul_f32_e32 v24, v152, v200
	v_fma_f32 v4, v150, v52, -v4
	v_fmac_f32_e32 v24, v153, v199
	v_add_f32_e32 v3, v3, v4
	v_mul_f32_e32 v4, v153, v200
	v_add_f32_e32 v23, v23, v24
	s_waitcnt vmcnt(44) lgkmcnt(1)
	v_mul_f32_e32 v24, v154, v202
	v_fma_f32 v4, v152, v199, -v4
	v_fmac_f32_e32 v24, v155, v201
	v_add_f32_e32 v3, v3, v4
	v_mul_f32_e32 v4, v155, v202
	v_add_f32_e32 v23, v23, v24
	s_waitcnt vmcnt(42)
	v_mul_f32_e32 v24, v156, v204
	v_fma_f32 v4, v154, v201, -v4
	v_fmac_f32_e32 v24, v157, v203
	ds_read_b128 v[162:165], v2 offset:800
	ds_read_b128 v[166:169], v2 offset:816
	v_add_f32_e32 v3, v3, v4
	v_mul_f32_e32 v4, v157, v204
	v_add_f32_e32 v23, v23, v24
	s_waitcnt vmcnt(40) lgkmcnt(2)
	v_mul_f32_e32 v24, v158, v206
	v_fma_f32 v4, v156, v203, -v4
	v_fmac_f32_e32 v24, v159, v205
	v_add_f32_e32 v3, v3, v4
	v_mul_f32_e32 v4, v159, v206
	v_add_f32_e32 v23, v23, v24
	s_waitcnt vmcnt(38)
	v_mul_f32_e32 v24, v160, v208
	v_fma_f32 v4, v158, v205, -v4
	v_fmac_f32_e32 v24, v161, v207
	v_add_f32_e32 v3, v3, v4
	v_mul_f32_e32 v4, v161, v208
	v_add_f32_e32 v23, v23, v24
	s_waitcnt vmcnt(36) lgkmcnt(1)
	v_mul_f32_e32 v24, v162, v210
	v_fma_f32 v4, v160, v207, -v4
	v_fmac_f32_e32 v24, v163, v209
	v_add_f32_e32 v3, v3, v4
	v_mul_f32_e32 v4, v163, v210
	v_add_f32_e32 v23, v23, v24
	s_waitcnt vmcnt(34)
	v_mul_f32_e32 v24, v164, v212
	v_fma_f32 v4, v162, v209, -v4
	v_fmac_f32_e32 v24, v165, v211
	ds_read_b128 v[170:173], v2 offset:832
	ds_read_b128 v[174:177], v2 offset:848
	v_add_f32_e32 v3, v3, v4
	v_mul_f32_e32 v4, v165, v212
	v_add_f32_e32 v23, v23, v24
	s_waitcnt vmcnt(32) lgkmcnt(2)
	v_mul_f32_e32 v24, v166, v214
	v_fma_f32 v4, v164, v211, -v4
	v_fmac_f32_e32 v24, v167, v213
	v_add_f32_e32 v3, v3, v4
	v_mul_f32_e32 v4, v167, v214
	v_add_f32_e32 v23, v23, v24
	s_waitcnt vmcnt(30)
	v_mul_f32_e32 v24, v168, v216
	v_fma_f32 v4, v166, v213, -v4
	v_fmac_f32_e32 v24, v169, v215
	v_add_f32_e32 v3, v3, v4
	v_mul_f32_e32 v4, v169, v216
	v_add_f32_e32 v23, v23, v24
	s_waitcnt vmcnt(28) lgkmcnt(1)
	v_mul_f32_e32 v24, v170, v218
	v_fma_f32 v4, v168, v215, -v4
	v_fmac_f32_e32 v24, v171, v217
	v_add_f32_e32 v3, v3, v4
	v_mul_f32_e32 v4, v171, v218
	v_add_f32_e32 v23, v23, v24
	s_waitcnt vmcnt(27)
	v_mul_f32_e32 v24, v172, v219
	v_fma_f32 v4, v170, v217, -v4
	s_waitcnt vmcnt(24)
	v_fmac_f32_e32 v24, v173, v222
	ds_read_b128 v[178:181], v2 offset:864
	ds_read_b128 v[182:185], v2 offset:880
	v_add_f32_e32 v3, v3, v4
	v_mul_f32_e32 v4, v173, v219
	v_add_f32_e32 v23, v23, v24
	s_waitcnt lgkmcnt(2)
	v_mul_f32_e32 v24, v174, v221
	v_fma_f32 v4, v172, v222, -v4
	v_fmac_f32_e32 v24, v175, v220
	v_add_f32_e32 v3, v3, v4
	v_mul_f32_e32 v4, v175, v221
	v_add_f32_e32 v23, v23, v24
	s_waitcnt vmcnt(22)
	v_mul_f32_e32 v24, v176, v224
	v_fma_f32 v4, v174, v220, -v4
	v_fmac_f32_e32 v24, v177, v223
	v_add_f32_e32 v3, v3, v4
	v_mul_f32_e32 v4, v177, v224
	v_add_f32_e32 v23, v23, v24
	s_waitcnt vmcnt(20) lgkmcnt(1)
	v_mul_f32_e32 v24, v178, v226
	v_fma_f32 v4, v176, v223, -v4
	v_fmac_f32_e32 v24, v179, v225
	v_add_f32_e32 v3, v3, v4
	v_mul_f32_e32 v4, v179, v226
	v_add_f32_e32 v23, v23, v24
	s_waitcnt vmcnt(19)
	v_mul_f32_e32 v24, v180, v227
	v_fma_f32 v4, v178, v225, -v4
	s_waitcnt vmcnt(16)
	v_fmac_f32_e32 v24, v181, v230
	ds_read_b128 v[186:189], v2 offset:896
	ds_read_b128 v[190:193], v2 offset:912
	v_add_f32_e32 v3, v3, v4
	v_mul_f32_e32 v4, v181, v227
	v_add_f32_e32 v23, v23, v24
	s_waitcnt lgkmcnt(2)
	v_mul_f32_e32 v24, v182, v229
	v_fma_f32 v4, v180, v230, -v4
	v_fmac_f32_e32 v24, v183, v228
	v_add_f32_e32 v3, v3, v4
	v_mul_f32_e32 v4, v183, v229
	v_add_f32_e32 v23, v23, v24
	s_waitcnt vmcnt(14)
	v_mul_f32_e32 v24, v184, v232
	v_fma_f32 v4, v182, v228, -v4
	v_fmac_f32_e32 v24, v185, v231
	v_add_f32_e32 v3, v3, v4
	v_mul_f32_e32 v4, v185, v232
	v_add_f32_e32 v23, v23, v24
	s_waitcnt vmcnt(12) lgkmcnt(1)
	v_mul_f32_e32 v24, v186, v234
	v_fma_f32 v4, v184, v231, -v4
	v_fmac_f32_e32 v24, v187, v233
	v_add_f32_e32 v3, v3, v4
	v_mul_f32_e32 v4, v187, v234
	v_add_f32_e32 v23, v23, v24
	s_waitcnt vmcnt(11)
	v_mul_f32_e32 v24, v188, v235
	v_fma_f32 v4, v186, v233, -v4
	s_waitcnt vmcnt(8)
	v_fmac_f32_e32 v24, v189, v238
	v_add_f32_e32 v3, v3, v4
	v_mul_f32_e32 v4, v189, v235
	v_add_f32_e32 v23, v23, v24
	s_waitcnt lgkmcnt(0)
	v_mul_f32_e32 v24, v190, v237
	ds_read_b128 v[194:197], v2 offset:928
	v_fma_f32 v4, v188, v238, -v4
	v_fmac_f32_e32 v24, v191, v236
	v_add_f32_e32 v3, v3, v4
	v_mul_f32_e32 v4, v191, v237
	v_add_f32_e32 v23, v23, v24
	s_waitcnt vmcnt(6)
	v_mul_f32_e32 v24, v192, v240
	v_fma_f32 v4, v190, v236, -v4
	v_fmac_f32_e32 v24, v193, v239
	v_add_f32_e32 v3, v3, v4
	v_mul_f32_e32 v4, v193, v240
	v_add_f32_e32 v247, v23, v24
	ds_read_b64 v[23:24], v2 offset:944
	v_fma_f32 v4, v192, v239, -v4
	v_add_f32_e32 v3, v3, v4
	s_waitcnt vmcnt(4) lgkmcnt(1)
	v_mul_f32_e32 v4, v195, v242
	v_mul_f32_e32 v248, v194, v242
	v_fma_f32 v4, v194, v241, -v4
	v_fmac_f32_e32 v248, v195, v241
	v_add_f32_e32 v3, v3, v4
	s_waitcnt vmcnt(3)
	v_mul_f32_e32 v4, v197, v243
	v_add_f32_e32 v247, v247, v248
	v_mul_f32_e32 v248, v196, v243
	s_waitcnt vmcnt(0)
	v_fma_f32 v4, v196, v246, -v4
	v_fmac_f32_e32 v248, v197, v246
	v_add_f32_e32 v3, v3, v4
	s_waitcnt lgkmcnt(0)
	v_mul_f32_e32 v4, v24, v245
	v_add_f32_e32 v247, v247, v248
	v_mul_f32_e32 v248, v23, v245
	v_fma_f32 v4, v23, v244, -v4
	v_fmac_f32_e32 v248, v24, v244
	v_add_f32_e32 v3, v3, v4
	v_add_f32_e32 v247, v247, v248
	v_sub_f32_e32 v3, v55, v3
	v_sub_f32_e32 v4, v198, v247
	buffer_store_dword v3, off, s[0:3], 0 offset:152
	buffer_store_dword v4, off, s[0:3], 0 offset:156
	s_and_saveexec_b64 s[4:5], vcc
	s_cbranch_execz .LBB58_331
; %bb.330:
	buffer_load_dword v3, off, s[0:3], 0 offset:144
	buffer_load_dword v4, off, s[0:3], 0 offset:148
	s_waitcnt vmcnt(0)
	ds_write_b64 v1, v[3:4]
	buffer_store_dword v2, off, s[0:3], 0 offset:144
	buffer_store_dword v2, off, s[0:3], 0 offset:148
.LBB58_331:
	s_or_b64 exec, exec, s[4:5]
	s_waitcnt lgkmcnt(0)
	; wave barrier
	buffer_load_dword v23, off, s[0:3], 0 offset:156
	buffer_load_dword v24, off, s[0:3], 0 offset:164
	;; [unrolled: 1-line block ×32, first 2 shown]
	ds_read2_b64 v[3:6], v2 offset0:79 offset1:80
	ds_read2_b64 v[7:10], v2 offset0:81 offset1:82
	;; [unrolled: 1-line block ×6, first 2 shown]
	buffer_load_dword v55, off, s[0:3], 0 offset:272
	buffer_load_dword v202, off, s[0:3], 0 offset:276
	;; [unrolled: 1-line block ×26, first 2 shown]
	v_cmp_lt_u32_e32 vcc, 17, v0
	s_waitcnt vmcnt(57) lgkmcnt(5)
	v_mul_f32_e32 v146, v3, v23
	s_waitcnt vmcnt(56)
	v_mul_f32_e32 v147, v5, v24
	s_waitcnt vmcnt(55) lgkmcnt(4)
	v_mul_f32_e32 v148, v7, v25
	s_waitcnt vmcnt(54)
	v_mul_f32_e32 v149, v9, v26
	;; [unrolled: 4-line block ×5, first 2 shown]
	s_waitcnt vmcnt(47) lgkmcnt(0)
	v_mul_f32_e32 v156, v142, v33
	s_waitcnt vmcnt(46)
	v_fmac_f32_e32 v148, v8, v34
	s_waitcnt vmcnt(45)
	v_fmac_f32_e32 v147, v6, v35
	;; [unrolled: 2-line block ×3, first 2 shown]
	v_add_f32_e32 v146, 0, v146
	v_add_f32_e32 v146, v146, v147
	;; [unrolled: 1-line block ×3, first 2 shown]
	s_waitcnt vmcnt(40)
	v_fmac_f32_e32 v149, v10, v40
	v_fmac_f32_e32 v150, v12, v39
	v_add_f32_e32 v146, v146, v149
	v_fmac_f32_e32 v151, v14, v38
	v_add_f32_e32 v146, v146, v150
	;; [unrolled: 2-line block ×3, first 2 shown]
	s_waitcnt vmcnt(36)
	v_fmac_f32_e32 v153, v18, v44
	v_add_f32_e32 v146, v146, v152
	v_fmac_f32_e32 v154, v20, v43
	v_add_f32_e32 v146, v146, v153
	;; [unrolled: 2-line block ×4, first 2 shown]
	v_add_f32_e32 v150, v146, v156
	ds_read2_b64 v[146:149], v2 offset0:91 offset1:92
	buffer_load_dword v227, off, s[0:3], 0 offset:376
	buffer_load_dword v228, off, s[0:3], 0 offset:380
	;; [unrolled: 1-line block ×6, first 2 shown]
	s_waitcnt vmcnt(41)
	v_mul_f32_e32 v151, v144, v45
	s_waitcnt vmcnt(35)
	v_fmac_f32_e32 v151, v145, v51
	v_add_f32_e32 v154, v150, v151
	ds_read2_b64 v[150:153], v2 offset0:93 offset1:94
	buffer_load_dword v233, off, s[0:3], 0 offset:400
	buffer_load_dword v234, off, s[0:3], 0 offset:404
	;; [unrolled: 1-line block ×10, first 2 shown]
	s_waitcnt vmcnt(44) lgkmcnt(1)
	v_mul_f32_e32 v155, v146, v52
	v_fmac_f32_e32 v155, v147, v50
	v_add_f32_e32 v154, v154, v155
	v_mul_f32_e32 v155, v148, v47
	v_fmac_f32_e32 v155, v149, v46
	v_add_f32_e32 v154, v154, v155
	s_waitcnt lgkmcnt(0)
	v_mul_f32_e32 v155, v150, v49
	buffer_load_dword v243, off, s[0:3], 0 offset:440
	buffer_load_dword v244, off, s[0:3], 0 offset:444
	;; [unrolled: 1-line block ×6, first 2 shown]
	v_fmac_f32_e32 v155, v151, v48
	s_waitcnt vmcnt(46)
	v_mul_f32_e32 v159, v152, v202
	v_add_f32_e32 v158, v154, v155
	v_fmac_f32_e32 v159, v153, v55
	ds_read2_b64 v[154:157], v2 offset0:95 offset1:96
	v_add_f32_e32 v162, v158, v159
	ds_read2_b64 v[158:161], v2 offset0:97 offset1:98
	buffer_load_dword v249, off, s[0:3], 0 offset:464
	buffer_load_dword v250, off, s[0:3], 0 offset:468
	v_mul_f32_e32 v4, v4, v23
	v_fma_f32 v3, v3, v36, -v4
	v_mul_f32_e32 v4, v6, v24
	v_add_f32_e32 v3, 0, v3
	v_fma_f32 v4, v5, v35, -v4
	v_add_f32_e32 v3, v3, v4
	v_mul_f32_e32 v4, v8, v25
	v_fma_f32 v4, v7, v34, -v4
	v_add_f32_e32 v3, v3, v4
	v_mul_f32_e32 v4, v10, v26
	;; [unrolled: 3-line block ×7, first 2 shown]
	s_waitcnt vmcnt(46) lgkmcnt(1)
	v_mul_f32_e32 v163, v154, v204
	v_fma_f32 v4, v19, v43, -v4
	v_fmac_f32_e32 v163, v155, v203
	v_add_f32_e32 v3, v3, v4
	v_mul_f32_e32 v4, v22, v32
	v_add_f32_e32 v162, v162, v163
	s_waitcnt vmcnt(44)
	v_mul_f32_e32 v163, v156, v206
	v_fma_f32 v4, v21, v42, -v4
	v_fmac_f32_e32 v163, v157, v205
	v_add_f32_e32 v3, v3, v4
	v_mul_f32_e32 v4, v143, v33
	v_add_f32_e32 v162, v162, v163
	s_waitcnt vmcnt(42) lgkmcnt(0)
	v_mul_f32_e32 v163, v158, v208
	v_fma_f32 v4, v142, v41, -v4
	v_fmac_f32_e32 v163, v159, v207
	v_add_f32_e32 v3, v3, v4
	v_mul_f32_e32 v4, v145, v45
	v_add_f32_e32 v166, v162, v163
	ds_read2_b64 v[162:165], v2 offset0:99 offset1:100
	v_fma_f32 v4, v144, v51, -v4
	v_add_f32_e32 v3, v3, v4
	v_mul_f32_e32 v4, v147, v52
	s_waitcnt vmcnt(40)
	v_mul_f32_e32 v167, v160, v210
	v_fma_f32 v4, v146, v50, -v4
	v_fmac_f32_e32 v167, v161, v209
	v_add_f32_e32 v3, v3, v4
	v_mul_f32_e32 v4, v149, v47
	v_add_f32_e32 v170, v166, v167
	ds_read2_b64 v[166:169], v2 offset0:101 offset1:102
	v_fma_f32 v4, v148, v46, -v4
	s_waitcnt vmcnt(38) lgkmcnt(1)
	v_mul_f32_e32 v171, v162, v212
	v_add_f32_e32 v3, v3, v4
	v_mul_f32_e32 v4, v151, v49
	v_fmac_f32_e32 v171, v163, v211
	v_fma_f32 v4, v150, v48, -v4
	v_add_f32_e32 v170, v170, v171
	s_waitcnt vmcnt(36)
	v_mul_f32_e32 v171, v164, v214
	v_add_f32_e32 v3, v3, v4
	v_mul_f32_e32 v4, v153, v202
	v_fmac_f32_e32 v171, v165, v213
	v_fma_f32 v4, v152, v55, -v4
	v_add_f32_e32 v170, v170, v171
	s_waitcnt vmcnt(34) lgkmcnt(0)
	v_mul_f32_e32 v171, v166, v216
	v_add_f32_e32 v3, v3, v4
	v_mul_f32_e32 v4, v155, v204
	v_fmac_f32_e32 v171, v167, v215
	v_fma_f32 v4, v154, v203, -v4
	v_add_f32_e32 v174, v170, v171
	ds_read2_b64 v[170:173], v2 offset0:103 offset1:104
	v_add_f32_e32 v3, v3, v4
	v_mul_f32_e32 v4, v157, v206
	v_fma_f32 v4, v156, v205, -v4
	s_waitcnt vmcnt(32)
	v_mul_f32_e32 v175, v168, v218
	v_add_f32_e32 v3, v3, v4
	v_mul_f32_e32 v4, v159, v208
	v_fmac_f32_e32 v175, v169, v217
	v_fma_f32 v4, v158, v207, -v4
	v_add_f32_e32 v178, v174, v175
	ds_read2_b64 v[174:177], v2 offset0:105 offset1:106
	v_add_f32_e32 v3, v3, v4
	v_mul_f32_e32 v4, v161, v210
	s_waitcnt vmcnt(30) lgkmcnt(1)
	v_mul_f32_e32 v179, v170, v220
	v_fma_f32 v4, v160, v209, -v4
	v_fmac_f32_e32 v179, v171, v219
	v_add_f32_e32 v3, v3, v4
	v_mul_f32_e32 v4, v163, v212
	v_add_f32_e32 v178, v178, v179
	s_waitcnt vmcnt(29)
	v_mul_f32_e32 v179, v172, v221
	v_fma_f32 v4, v162, v211, -v4
	s_waitcnt vmcnt(26)
	v_fmac_f32_e32 v179, v173, v224
	v_add_f32_e32 v3, v3, v4
	v_mul_f32_e32 v4, v165, v214
	v_add_f32_e32 v178, v178, v179
	s_waitcnt lgkmcnt(0)
	v_mul_f32_e32 v179, v174, v223
	v_fma_f32 v4, v164, v213, -v4
	v_fmac_f32_e32 v179, v175, v222
	v_add_f32_e32 v3, v3, v4
	v_mul_f32_e32 v4, v167, v216
	v_add_f32_e32 v182, v178, v179
	ds_read2_b64 v[178:181], v2 offset0:107 offset1:108
	v_fma_f32 v4, v166, v215, -v4
	v_add_f32_e32 v3, v3, v4
	v_mul_f32_e32 v4, v169, v218
	s_waitcnt vmcnt(24)
	v_mul_f32_e32 v183, v176, v226
	v_fma_f32 v4, v168, v217, -v4
	v_fmac_f32_e32 v183, v177, v225
	v_add_f32_e32 v3, v3, v4
	v_mul_f32_e32 v4, v171, v220
	v_add_f32_e32 v186, v182, v183
	ds_read2_b64 v[182:185], v2 offset0:109 offset1:110
	v_fma_f32 v4, v170, v219, -v4
	s_waitcnt vmcnt(22) lgkmcnt(1)
	v_mul_f32_e32 v187, v178, v228
	v_add_f32_e32 v3, v3, v4
	v_mul_f32_e32 v4, v173, v221
	v_fmac_f32_e32 v187, v179, v227
	v_fma_f32 v4, v172, v224, -v4
	v_add_f32_e32 v186, v186, v187
	s_waitcnt vmcnt(21)
	v_mul_f32_e32 v187, v180, v229
	v_add_f32_e32 v3, v3, v4
	v_mul_f32_e32 v4, v175, v223
	s_waitcnt vmcnt(18)
	v_fmac_f32_e32 v187, v181, v232
	v_fma_f32 v4, v174, v222, -v4
	v_add_f32_e32 v186, v186, v187
	s_waitcnt lgkmcnt(0)
	v_mul_f32_e32 v187, v182, v231
	v_add_f32_e32 v3, v3, v4
	v_mul_f32_e32 v4, v177, v226
	v_fmac_f32_e32 v187, v183, v230
	v_fma_f32 v4, v176, v225, -v4
	v_add_f32_e32 v190, v186, v187
	ds_read2_b64 v[186:189], v2 offset0:111 offset1:112
	v_add_f32_e32 v3, v3, v4
	v_mul_f32_e32 v4, v179, v228
	v_fma_f32 v4, v178, v227, -v4
	s_waitcnt vmcnt(16)
	v_mul_f32_e32 v191, v184, v234
	v_add_f32_e32 v3, v3, v4
	v_mul_f32_e32 v4, v181, v229
	v_fmac_f32_e32 v191, v185, v233
	v_fma_f32 v4, v180, v232, -v4
	v_add_f32_e32 v194, v190, v191
	ds_read2_b64 v[190:193], v2 offset0:113 offset1:114
	v_add_f32_e32 v3, v3, v4
	v_mul_f32_e32 v4, v183, v231
	s_waitcnt vmcnt(14) lgkmcnt(1)
	v_mul_f32_e32 v195, v186, v236
	v_fma_f32 v4, v182, v230, -v4
	v_fmac_f32_e32 v195, v187, v235
	v_add_f32_e32 v3, v3, v4
	v_mul_f32_e32 v4, v185, v234
	v_add_f32_e32 v194, v194, v195
	s_waitcnt vmcnt(13)
	v_mul_f32_e32 v195, v188, v237
	v_fma_f32 v4, v184, v233, -v4
	s_waitcnt vmcnt(10)
	v_fmac_f32_e32 v195, v189, v240
	v_add_f32_e32 v3, v3, v4
	v_mul_f32_e32 v4, v187, v236
	v_add_f32_e32 v194, v194, v195
	s_waitcnt lgkmcnt(0)
	v_mul_f32_e32 v195, v190, v239
	v_fma_f32 v4, v186, v235, -v4
	v_fmac_f32_e32 v195, v191, v238
	v_add_f32_e32 v3, v3, v4
	v_mul_f32_e32 v4, v189, v237
	v_add_f32_e32 v198, v194, v195
	ds_read2_b64 v[194:197], v2 offset0:115 offset1:116
	v_fma_f32 v4, v188, v240, -v4
	v_add_f32_e32 v3, v3, v4
	v_mul_f32_e32 v4, v191, v239
	s_waitcnt vmcnt(8)
	v_mul_f32_e32 v199, v192, v242
	v_fma_f32 v4, v190, v238, -v4
	v_fmac_f32_e32 v199, v193, v241
	v_add_f32_e32 v3, v3, v4
	v_mul_f32_e32 v4, v193, v242
	v_add_f32_e32 v251, v198, v199
	ds_read2_b64 v[198:201], v2 offset0:117 offset1:118
	v_fma_f32 v4, v192, v241, -v4
	v_add_f32_e32 v3, v3, v4
	s_waitcnt vmcnt(6) lgkmcnt(1)
	v_mul_f32_e32 v4, v195, v244
	v_mul_f32_e32 v2, v194, v244
	v_fma_f32 v4, v194, v243, -v4
	v_fmac_f32_e32 v2, v195, v243
	v_add_f32_e32 v3, v3, v4
	s_waitcnt vmcnt(5)
	v_mul_f32_e32 v4, v197, v245
	v_add_f32_e32 v2, v251, v2
	v_mul_f32_e32 v251, v196, v245
	s_waitcnt vmcnt(2)
	v_fma_f32 v4, v196, v248, -v4
	v_fmac_f32_e32 v251, v197, v248
	v_add_f32_e32 v3, v3, v4
	s_waitcnt lgkmcnt(0)
	v_mul_f32_e32 v4, v199, v247
	v_add_f32_e32 v2, v2, v251
	v_mul_f32_e32 v251, v198, v247
	v_fma_f32 v4, v198, v246, -v4
	v_fmac_f32_e32 v251, v199, v246
	v_add_f32_e32 v3, v3, v4
	s_waitcnt vmcnt(0)
	v_mul_f32_e32 v4, v201, v250
	v_add_f32_e32 v2, v2, v251
	v_mul_f32_e32 v251, v200, v250
	v_fma_f32 v4, v200, v249, -v4
	v_fmac_f32_e32 v251, v201, v249
	v_add_f32_e32 v3, v3, v4
	v_add_f32_e32 v2, v2, v251
	v_sub_f32_e32 v3, v53, v3
	v_sub_f32_e32 v2, v54, v2
	buffer_store_dword v3, off, s[0:3], 0 offset:144
	buffer_store_dword v2, off, s[0:3], 0 offset:148
	s_and_saveexec_b64 s[4:5], vcc
	s_cbranch_execz .LBB58_333
; %bb.332:
	buffer_load_dword v2, off, s[0:3], 0 offset:136
	buffer_load_dword v3, off, s[0:3], 0 offset:140
	v_mov_b32_e32 v4, 0
	buffer_store_dword v4, off, s[0:3], 0 offset:136
	buffer_store_dword v4, off, s[0:3], 0 offset:140
	s_waitcnt vmcnt(2)
	ds_write_b64 v1, v[2:3]
.LBB58_333:
	s_or_b64 exec, exec, s[4:5]
	s_waitcnt lgkmcnt(0)
	; wave barrier
	buffer_load_dword v11, off, s[0:3], 0 offset:148
	buffer_load_dword v10, off, s[0:3], 0 offset:156
	;; [unrolled: 1-line block ×32, first 2 shown]
	v_mov_b32_e32 v2, 0
	buffer_load_dword v49, off, s[0:3], 0 offset:264
	buffer_load_dword v50, off, s[0:3], 0 offset:268
	;; [unrolled: 1-line block ×18, first 2 shown]
	ds_read_b128 v[12:15], v2 offset:624
	ds_read_b128 v[16:19], v2 offset:640
	;; [unrolled: 1-line block ×6, first 2 shown]
	buffer_load_dword v221, off, s[0:3], 0 offset:336
	buffer_load_dword v222, off, s[0:3], 0 offset:340
	;; [unrolled: 1-line block ×6, first 2 shown]
	v_cmp_lt_u32_e32 vcc, 16, v0
	s_waitcnt vmcnt(55) lgkmcnt(5)
	v_mul_f32_e32 v24, v12, v11
	s_waitcnt vmcnt(54)
	v_mul_f32_e32 v25, v14, v10
	s_waitcnt vmcnt(53) lgkmcnt(4)
	v_mul_f32_e32 v154, v16, v9
	s_waitcnt vmcnt(52)
	v_mul_f32_e32 v155, v18, v8
	;; [unrolled: 4-line block ×5, first 2 shown]
	s_waitcnt vmcnt(45) lgkmcnt(0)
	v_mul_f32_e32 v162, v150, v29
	s_waitcnt vmcnt(44)
	v_fmac_f32_e32 v154, v17, v30
	s_waitcnt vmcnt(43)
	v_fmac_f32_e32 v25, v15, v31
	;; [unrolled: 2-line block ×3, first 2 shown]
	v_add_f32_e32 v24, 0, v24
	v_add_f32_e32 v24, v24, v25
	;; [unrolled: 1-line block ×3, first 2 shown]
	s_waitcnt vmcnt(38)
	v_fmac_f32_e32 v155, v19, v36
	v_fmac_f32_e32 v156, v21, v35
	v_add_f32_e32 v24, v24, v155
	v_fmac_f32_e32 v157, v23, v34
	v_add_f32_e32 v24, v24, v156
	v_add_f32_e32 v24, v24, v157
	ds_read_b128 v[154:157], v2 offset:720
	buffer_load_dword v227, off, s[0:3], 0 offset:360
	buffer_load_dword v228, off, s[0:3], 0 offset:364
	v_fmac_f32_e32 v158, v143, v33
	s_waitcnt vmcnt(36)
	v_fmac_f32_e32 v159, v145, v40
	v_add_f32_e32 v24, v24, v158
	v_fmac_f32_e32 v160, v147, v39
	v_add_f32_e32 v24, v24, v159
	;; [unrolled: 2-line block ×3, first 2 shown]
	v_add_f32_e32 v24, v24, v161
	ds_read_b128 v[158:161], v2 offset:736
	buffer_load_dword v229, off, s[0:3], 0 offset:368
	buffer_load_dword v230, off, s[0:3], 0 offset:372
	;; [unrolled: 1-line block ×16, first 2 shown]
	v_fmac_f32_e32 v162, v151, v37
	v_add_f32_e32 v24, v24, v162
	ds_read_b128 v[162:165], v2 offset:752
	buffer_load_dword v245, off, s[0:3], 0 offset:432
	buffer_load_dword v246, off, s[0:3], 0 offset:436
	;; [unrolled: 1-line block ×6, first 2 shown]
	ds_read_b128 v[166:169], v2 offset:768
	buffer_load_dword v251, off, s[0:3], 0 offset:460
	buffer_load_dword v252, off, s[0:3], 0 offset:464
	;; [unrolled: 1-line block ×4, first 2 shown]
	v_mul_f32_e32 v11, v13, v11
	v_fma_f32 v11, v12, v32, -v11
	v_mul_f32_e32 v10, v15, v10
	v_add_f32_e32 v11, 0, v11
	v_fma_f32 v10, v14, v31, -v10
	v_mul_f32_e32 v9, v17, v9
	v_add_f32_e32 v10, v11, v10
	;; [unrolled: 3-line block ×6, first 2 shown]
	v_fma_f32 v5, v142, v33, -v5
	v_add_f32_e32 v5, v6, v5
	v_mul_f32_e32 v6, v145, v26
	v_fma_f32 v6, v144, v40, -v6
	v_add_f32_e32 v5, v5, v6
	v_mul_f32_e32 v6, v147, v27
	;; [unrolled: 3-line block ×4, first 2 shown]
	s_waitcnt vmcnt(61)
	v_mul_f32_e32 v25, v152, v41
	v_fma_f32 v6, v150, v37, -v6
	s_waitcnt vmcnt(55)
	v_fmac_f32_e32 v25, v153, v47
	v_add_f32_e32 v5, v5, v6
	v_mul_f32_e32 v6, v153, v41
	v_add_f32_e32 v24, v24, v25
	s_waitcnt vmcnt(54) lgkmcnt(3)
	v_mul_f32_e32 v25, v154, v48
	v_fma_f32 v6, v152, v47, -v6
	v_fmac_f32_e32 v25, v155, v46
	v_add_f32_e32 v5, v5, v6
	v_mul_f32_e32 v6, v155, v48
	v_add_f32_e32 v24, v24, v25
	v_mul_f32_e32 v25, v156, v43
	v_fma_f32 v6, v154, v46, -v6
	v_fmac_f32_e32 v25, v157, v42
	v_add_f32_e32 v5, v5, v6
	v_mul_f32_e32 v6, v157, v43
	v_add_f32_e32 v24, v24, v25
	s_waitcnt lgkmcnt(2)
	v_mul_f32_e32 v25, v158, v45
	v_fma_f32 v6, v156, v42, -v6
	v_fmac_f32_e32 v25, v159, v44
	v_add_f32_e32 v5, v5, v6
	v_mul_f32_e32 v6, v159, v45
	v_add_f32_e32 v24, v24, v25
	s_waitcnt vmcnt(50)
	v_mul_f32_e32 v25, v160, v50
	v_fma_f32 v6, v158, v44, -v6
	v_fmac_f32_e32 v25, v161, v49
	v_add_f32_e32 v5, v5, v6
	v_mul_f32_e32 v6, v161, v50
	v_add_f32_e32 v24, v24, v25
	s_waitcnt vmcnt(48) lgkmcnt(1)
	v_mul_f32_e32 v25, v162, v52
	v_fma_f32 v6, v160, v49, -v6
	v_fmac_f32_e32 v25, v163, v51
	v_add_f32_e32 v5, v5, v6
	v_mul_f32_e32 v6, v163, v52
	v_add_f32_e32 v24, v24, v25
	s_waitcnt vmcnt(46)
	v_mul_f32_e32 v25, v164, v54
	v_fma_f32 v6, v162, v51, -v6
	v_fmac_f32_e32 v25, v165, v53
	ds_read_b128 v[170:173], v2 offset:784
	ds_read_b128 v[174:177], v2 offset:800
	v_add_f32_e32 v5, v5, v6
	v_mul_f32_e32 v6, v165, v54
	v_add_f32_e32 v24, v24, v25
	s_waitcnt vmcnt(44) lgkmcnt(2)
	v_mul_f32_e32 v25, v166, v210
	v_fma_f32 v6, v164, v53, -v6
	v_fmac_f32_e32 v25, v167, v55
	v_add_f32_e32 v5, v5, v6
	v_mul_f32_e32 v6, v167, v210
	v_add_f32_e32 v24, v24, v25
	s_waitcnt vmcnt(42)
	v_mul_f32_e32 v25, v168, v212
	v_fma_f32 v6, v166, v55, -v6
	v_fmac_f32_e32 v25, v169, v211
	v_add_f32_e32 v5, v5, v6
	v_mul_f32_e32 v6, v169, v212
	v_add_f32_e32 v24, v24, v25
	s_waitcnt vmcnt(40) lgkmcnt(1)
	v_mul_f32_e32 v25, v170, v214
	v_fma_f32 v6, v168, v211, -v6
	v_fmac_f32_e32 v25, v171, v213
	v_add_f32_e32 v5, v5, v6
	v_mul_f32_e32 v6, v171, v214
	v_add_f32_e32 v24, v24, v25
	s_waitcnt vmcnt(38)
	v_mul_f32_e32 v25, v172, v216
	v_fma_f32 v6, v170, v213, -v6
	v_fmac_f32_e32 v25, v173, v215
	ds_read_b128 v[178:181], v2 offset:816
	ds_read_b128 v[182:185], v2 offset:832
	v_add_f32_e32 v5, v5, v6
	v_mul_f32_e32 v6, v173, v216
	v_add_f32_e32 v24, v24, v25
	s_waitcnt vmcnt(36) lgkmcnt(2)
	v_mul_f32_e32 v25, v174, v218
	v_fma_f32 v6, v172, v215, -v6
	v_fmac_f32_e32 v25, v175, v217
	v_add_f32_e32 v5, v5, v6
	v_mul_f32_e32 v6, v175, v218
	v_add_f32_e32 v24, v24, v25
	s_waitcnt vmcnt(34)
	v_mul_f32_e32 v25, v176, v220
	v_fma_f32 v6, v174, v217, -v6
	v_fmac_f32_e32 v25, v177, v219
	v_add_f32_e32 v5, v5, v6
	v_mul_f32_e32 v6, v177, v220
	v_add_f32_e32 v24, v24, v25
	s_waitcnt vmcnt(32) lgkmcnt(1)
	v_mul_f32_e32 v25, v178, v222
	v_fma_f32 v6, v176, v219, -v6
	v_fmac_f32_e32 v25, v179, v221
	v_add_f32_e32 v5, v5, v6
	v_mul_f32_e32 v6, v179, v222
	v_add_f32_e32 v24, v24, v25
	s_waitcnt vmcnt(31)
	v_mul_f32_e32 v25, v180, v223
	v_fma_f32 v6, v178, v221, -v6
	s_waitcnt vmcnt(28)
	v_fmac_f32_e32 v25, v181, v226
	ds_read_b128 v[186:189], v2 offset:848
	ds_read_b128 v[190:193], v2 offset:864
	v_add_f32_e32 v5, v5, v6
	v_mul_f32_e32 v6, v181, v223
	v_add_f32_e32 v24, v24, v25
	s_waitcnt lgkmcnt(2)
	v_mul_f32_e32 v25, v182, v225
	v_fma_f32 v6, v180, v226, -v6
	v_fmac_f32_e32 v25, v183, v224
	v_add_f32_e32 v5, v5, v6
	v_mul_f32_e32 v6, v183, v225
	v_add_f32_e32 v24, v24, v25
	s_waitcnt vmcnt(26)
	v_mul_f32_e32 v25, v184, v228
	v_fma_f32 v6, v182, v224, -v6
	v_fmac_f32_e32 v25, v185, v227
	v_add_f32_e32 v5, v5, v6
	v_mul_f32_e32 v6, v185, v228
	v_add_f32_e32 v24, v24, v25
	s_waitcnt vmcnt(24) lgkmcnt(1)
	v_mul_f32_e32 v25, v186, v230
	v_fma_f32 v6, v184, v227, -v6
	v_fmac_f32_e32 v25, v187, v229
	v_add_f32_e32 v5, v5, v6
	v_mul_f32_e32 v6, v187, v230
	v_add_f32_e32 v24, v24, v25
	s_waitcnt vmcnt(23)
	v_mul_f32_e32 v25, v188, v231
	v_fma_f32 v6, v186, v229, -v6
	s_waitcnt vmcnt(20)
	v_fmac_f32_e32 v25, v189, v234
	ds_read_b128 v[194:197], v2 offset:880
	ds_read_b128 v[198:201], v2 offset:896
	v_add_f32_e32 v5, v5, v6
	v_mul_f32_e32 v6, v189, v231
	v_add_f32_e32 v24, v24, v25
	s_waitcnt lgkmcnt(2)
	;; [unrolled: 31-line block ×3, first 2 shown]
	v_mul_f32_e32 v25, v198, v241
	v_fma_f32 v6, v196, v242, -v6
	v_fmac_f32_e32 v25, v199, v240
	v_add_f32_e32 v5, v5, v6
	v_mul_f32_e32 v6, v199, v241
	v_add_f32_e32 v24, v24, v25
	s_waitcnt vmcnt(10)
	v_mul_f32_e32 v25, v200, v244
	v_fma_f32 v6, v198, v240, -v6
	v_fmac_f32_e32 v25, v201, v243
	v_add_f32_e32 v5, v5, v6
	v_mul_f32_e32 v6, v201, v244
	v_add_f32_e32 v24, v24, v25
	s_waitcnt vmcnt(8) lgkmcnt(1)
	v_mul_f32_e32 v25, v202, v246
	v_fma_f32 v6, v200, v243, -v6
	v_fmac_f32_e32 v25, v203, v245
	v_add_f32_e32 v5, v5, v6
	v_mul_f32_e32 v6, v203, v246
	v_add_f32_e32 v24, v24, v25
	s_waitcnt vmcnt(7)
	v_mul_f32_e32 v25, v204, v247
	v_fma_f32 v6, v202, v245, -v6
	s_waitcnt vmcnt(4)
	v_fmac_f32_e32 v25, v205, v250
	v_add_f32_e32 v5, v5, v6
	v_mul_f32_e32 v6, v205, v247
	v_add_f32_e32 v255, v24, v25
	ds_read_b64 v[24:25], v2 offset:944
	v_fma_f32 v6, v204, v250, -v6
	v_add_f32_e32 v5, v5, v6
	s_waitcnt lgkmcnt(1)
	v_mul_f32_e32 v6, v207, v249
	v_fma_f32 v6, v206, v248, -v6
	v_mul_f32_e32 v56, v206, v249
	v_add_f32_e32 v5, v5, v6
	s_waitcnt vmcnt(3)
	v_mul_f32_e32 v6, v209, v251
	v_fmac_f32_e32 v56, v207, v248
	v_mul_f32_e32 v57, v208, v251
	s_waitcnt vmcnt(0)
	v_fma_f32 v6, v208, v254, -v6
	v_add_f32_e32 v56, v255, v56
	v_fmac_f32_e32 v57, v209, v254
	v_add_f32_e32 v5, v5, v6
	s_waitcnt lgkmcnt(0)
	v_mul_f32_e32 v6, v25, v253
	v_add_f32_e32 v56, v56, v57
	v_mul_f32_e32 v57, v24, v253
	v_fma_f32 v6, v24, v252, -v6
	v_fmac_f32_e32 v57, v25, v252
	v_add_f32_e32 v5, v5, v6
	v_add_f32_e32 v56, v56, v57
	v_sub_f32_e32 v3, v3, v5
	v_sub_f32_e32 v4, v4, v56
	buffer_store_dword v3, off, s[0:3], 0 offset:136
	buffer_store_dword v4, off, s[0:3], 0 offset:140
	s_and_saveexec_b64 s[4:5], vcc
	s_cbranch_execz .LBB58_335
; %bb.334:
	buffer_load_dword v3, off, s[0:3], 0 offset:128
	buffer_load_dword v4, off, s[0:3], 0 offset:132
	s_waitcnt vmcnt(0)
	ds_write_b64 v1, v[3:4]
	buffer_store_dword v2, off, s[0:3], 0 offset:128
	buffer_store_dword v2, off, s[0:3], 0 offset:132
.LBB58_335:
	s_or_b64 exec, exec, s[4:5]
	s_waitcnt lgkmcnt(0)
	; wave barrier
	buffer_load_dword v23, off, s[0:3], 0 offset:140
	buffer_load_dword v24, off, s[0:3], 0 offset:148
	buffer_load_dword v25, off, s[0:3], 0 offset:156
	buffer_load_dword v26, off, s[0:3], 0 offset:164
	buffer_load_dword v27, off, s[0:3], 0 offset:172
	buffer_load_dword v28, off, s[0:3], 0 offset:180
	buffer_load_dword v29, off, s[0:3], 0 offset:188
	buffer_load_dword v30, off, s[0:3], 0 offset:196
	buffer_load_dword v31, off, s[0:3], 0 offset:204
	buffer_load_dword v32, off, s[0:3], 0 offset:212
	buffer_load_dword v33, off, s[0:3], 0 offset:220
	buffer_load_dword v34, off, s[0:3], 0 offset:228
	buffer_load_dword v35, off, s[0:3], 0 offset:152
	buffer_load_dword v36, off, s[0:3], 0 offset:144
	buffer_load_dword v37, off, s[0:3], 0 offset:136
	buffer_load_dword v38, off, s[0:3], 0 offset:184
	buffer_load_dword v39, off, s[0:3], 0 offset:176
	buffer_load_dword v40, off, s[0:3], 0 offset:168
	buffer_load_dword v41, off, s[0:3], 0 offset:160
	buffer_load_dword v42, off, s[0:3], 0 offset:216
	buffer_load_dword v43, off, s[0:3], 0 offset:208
	buffer_load_dword v44, off, s[0:3], 0 offset:200
	buffer_load_dword v45, off, s[0:3], 0 offset:192
	buffer_load_dword v46, off, s[0:3], 0 offset:240
	buffer_load_dword v47, off, s[0:3], 0 offset:244
	buffer_load_dword v48, off, s[0:3], 0 offset:248
	buffer_load_dword v49, off, s[0:3], 0 offset:252
	buffer_load_dword v50, off, s[0:3], 0 offset:232
	buffer_load_dword v51, off, s[0:3], 0 offset:224
	buffer_load_dword v52, off, s[0:3], 0 offset:236
	buffer_load_dword v53, off, s[0:3], 0 offset:128
	buffer_load_dword v54, off, s[0:3], 0 offset:132
	ds_read2_b64 v[3:6], v2 offset0:77 offset1:78
	ds_read2_b64 v[7:10], v2 offset0:79 offset1:80
	;; [unrolled: 1-line block ×6, first 2 shown]
	buffer_load_dword v55, off, s[0:3], 0 offset:256
	buffer_load_dword v56, off, s[0:3], 0 offset:260
	;; [unrolled: 1-line block ×18, first 2 shown]
	v_cmp_lt_u32_e32 vcc, 15, v0
	s_waitcnt vmcnt(49) lgkmcnt(5)
	v_mul_f32_e32 v146, v3, v23
	s_waitcnt vmcnt(48)
	v_mul_f32_e32 v147, v5, v24
	s_waitcnt vmcnt(47) lgkmcnt(4)
	v_mul_f32_e32 v148, v7, v25
	s_waitcnt vmcnt(46)
	v_mul_f32_e32 v149, v9, v26
	;; [unrolled: 4-line block ×6, first 2 shown]
	s_waitcnt vmcnt(37)
	v_fmac_f32_e32 v148, v8, v35
	s_waitcnt vmcnt(36)
	v_fmac_f32_e32 v147, v6, v36
	;; [unrolled: 2-line block ×3, first 2 shown]
	v_add_f32_e32 v146, 0, v146
	v_add_f32_e32 v146, v146, v147
	;; [unrolled: 1-line block ×3, first 2 shown]
	s_waitcnt vmcnt(31)
	v_fmac_f32_e32 v149, v10, v41
	v_fmac_f32_e32 v150, v12, v40
	v_add_f32_e32 v146, v146, v149
	v_fmac_f32_e32 v151, v14, v39
	v_add_f32_e32 v146, v146, v150
	;; [unrolled: 2-line block ×3, first 2 shown]
	s_waitcnt vmcnt(27)
	v_fmac_f32_e32 v153, v18, v45
	v_add_f32_e32 v146, v146, v152
	v_fmac_f32_e32 v154, v20, v44
	v_add_f32_e32 v146, v146, v153
	;; [unrolled: 2-line block ×3, first 2 shown]
	v_add_f32_e32 v150, v146, v155
	ds_read2_b64 v[146:149], v2 offset0:89 offset1:90
	buffer_load_dword v221, off, s[0:3], 0 offset:328
	buffer_load_dword v222, off, s[0:3], 0 offset:332
	;; [unrolled: 1-line block ×6, first 2 shown]
	v_fmac_f32_e32 v156, v143, v42
	s_waitcnt vmcnt(27)
	v_fmac_f32_e32 v157, v145, v51
	v_add_f32_e32 v150, v150, v156
	v_add_f32_e32 v154, v150, v157
	ds_read2_b64 v[150:153], v2 offset0:91 offset1:92
	buffer_load_dword v227, off, s[0:3], 0 offset:352
	buffer_load_dword v228, off, s[0:3], 0 offset:356
	;; [unrolled: 1-line block ×10, first 2 shown]
	s_waitcnt vmcnt(36) lgkmcnt(1)
	v_mul_f32_e32 v155, v146, v52
	buffer_load_dword v237, off, s[0:3], 0 offset:392
	buffer_load_dword v238, off, s[0:3], 0 offset:396
	;; [unrolled: 1-line block ×6, first 2 shown]
	v_fmac_f32_e32 v155, v147, v50
	v_add_f32_e32 v154, v154, v155
	v_mul_f32_e32 v155, v148, v47
	v_fmac_f32_e32 v155, v149, v46
	v_add_f32_e32 v154, v154, v155
	s_waitcnt lgkmcnt(0)
	v_mul_f32_e32 v155, v150, v49
	v_fmac_f32_e32 v155, v151, v48
	v_add_f32_e32 v158, v154, v155
	ds_read2_b64 v[154:157], v2 offset0:93 offset1:94
	buffer_load_dword v243, off, s[0:3], 0 offset:416
	buffer_load_dword v244, off, s[0:3], 0 offset:420
	s_waitcnt vmcnt(40)
	v_mul_f32_e32 v159, v152, v56
	v_fmac_f32_e32 v159, v153, v55
	v_add_f32_e32 v162, v158, v159
	ds_read2_b64 v[158:161], v2 offset0:95 offset1:96
	buffer_load_dword v245, off, s[0:3], 0 offset:424
	buffer_load_dword v246, off, s[0:3], 0 offset:428
	;; [unrolled: 1-line block ×12, first 2 shown]
	v_mul_f32_e32 v4, v4, v23
	v_fma_f32 v3, v3, v37, -v4
	v_mul_f32_e32 v4, v6, v24
	v_add_f32_e32 v3, 0, v3
	v_fma_f32 v4, v5, v36, -v4
	v_add_f32_e32 v3, v3, v4
	v_mul_f32_e32 v4, v8, v25
	v_fma_f32 v4, v7, v35, -v4
	v_add_f32_e32 v3, v3, v4
	v_mul_f32_e32 v4, v10, v26
	;; [unrolled: 3-line block ×6, first 2 shown]
	v_fma_f32 v4, v17, v45, -v4
	s_waitcnt vmcnt(50) lgkmcnt(1)
	v_mul_f32_e32 v163, v154, v206
	v_add_f32_e32 v3, v3, v4
	v_mul_f32_e32 v4, v20, v31
	v_fmac_f32_e32 v163, v155, v57
	v_fma_f32 v4, v19, v44, -v4
	v_add_f32_e32 v162, v162, v163
	s_waitcnt vmcnt(48)
	v_mul_f32_e32 v163, v156, v208
	v_add_f32_e32 v3, v3, v4
	v_mul_f32_e32 v4, v22, v32
	v_fmac_f32_e32 v163, v157, v207
	v_fma_f32 v4, v21, v43, -v4
	v_add_f32_e32 v59, v162, v163
	s_waitcnt vmcnt(46) lgkmcnt(0)
	v_mul_f32_e32 v162, v158, v210
	v_add_f32_e32 v3, v3, v4
	v_mul_f32_e32 v4, v143, v33
	v_fmac_f32_e32 v162, v159, v209
	v_fma_f32 v4, v142, v42, -v4
	v_add_f32_e32 v59, v59, v162
	ds_read2_b64 v[162:165], v2 offset0:97 offset1:98
	v_add_f32_e32 v3, v3, v4
	v_mul_f32_e32 v4, v145, v34
	v_fma_f32 v4, v144, v51, -v4
	s_waitcnt vmcnt(44)
	v_mul_f32_e32 v166, v160, v212
	v_add_f32_e32 v3, v3, v4
	v_mul_f32_e32 v4, v147, v52
	v_fmac_f32_e32 v166, v161, v211
	v_fma_f32 v4, v146, v50, -v4
	v_add_f32_e32 v59, v59, v166
	ds_read2_b64 v[166:169], v2 offset0:99 offset1:100
	v_add_f32_e32 v3, v3, v4
	v_mul_f32_e32 v4, v149, v47
	s_waitcnt vmcnt(42) lgkmcnt(1)
	v_mul_f32_e32 v170, v162, v214
	v_fma_f32 v4, v148, v46, -v4
	v_fmac_f32_e32 v170, v163, v213
	v_add_f32_e32 v3, v3, v4
	v_mul_f32_e32 v4, v151, v49
	v_add_f32_e32 v59, v59, v170
	s_waitcnt vmcnt(40)
	v_mul_f32_e32 v170, v164, v216
	v_fma_f32 v4, v150, v48, -v4
	v_fmac_f32_e32 v170, v165, v215
	v_add_f32_e32 v3, v3, v4
	v_mul_f32_e32 v4, v153, v56
	v_add_f32_e32 v59, v59, v170
	s_waitcnt vmcnt(38) lgkmcnt(0)
	v_mul_f32_e32 v170, v166, v218
	v_fma_f32 v4, v152, v55, -v4
	v_fmac_f32_e32 v170, v167, v217
	v_add_f32_e32 v3, v3, v4
	v_mul_f32_e32 v4, v155, v206
	v_add_f32_e32 v59, v59, v170
	ds_read2_b64 v[170:173], v2 offset0:101 offset1:102
	v_fma_f32 v4, v154, v57, -v4
	v_add_f32_e32 v3, v3, v4
	v_mul_f32_e32 v4, v157, v208
	s_waitcnt vmcnt(36)
	v_mul_f32_e32 v174, v168, v220
	v_fma_f32 v4, v156, v207, -v4
	v_fmac_f32_e32 v174, v169, v219
	v_add_f32_e32 v3, v3, v4
	v_mul_f32_e32 v4, v159, v210
	v_add_f32_e32 v59, v59, v174
	ds_read2_b64 v[174:177], v2 offset0:103 offset1:104
	v_fma_f32 v4, v158, v209, -v4
	s_waitcnt vmcnt(34) lgkmcnt(1)
	v_mul_f32_e32 v178, v170, v222
	v_add_f32_e32 v3, v3, v4
	v_mul_f32_e32 v4, v161, v212
	v_fmac_f32_e32 v178, v171, v221
	v_fma_f32 v4, v160, v211, -v4
	v_add_f32_e32 v59, v59, v178
	s_waitcnt vmcnt(33)
	v_mul_f32_e32 v178, v172, v223
	v_add_f32_e32 v3, v3, v4
	v_mul_f32_e32 v4, v163, v214
	s_waitcnt vmcnt(30)
	v_fmac_f32_e32 v178, v173, v226
	v_fma_f32 v4, v162, v213, -v4
	v_add_f32_e32 v59, v59, v178
	s_waitcnt lgkmcnt(0)
	v_mul_f32_e32 v178, v174, v225
	v_add_f32_e32 v3, v3, v4
	v_mul_f32_e32 v4, v165, v216
	v_fmac_f32_e32 v178, v175, v224
	v_fma_f32 v4, v164, v215, -v4
	v_add_f32_e32 v59, v59, v178
	ds_read2_b64 v[178:181], v2 offset0:105 offset1:106
	v_add_f32_e32 v3, v3, v4
	v_mul_f32_e32 v4, v167, v218
	v_fma_f32 v4, v166, v217, -v4
	s_waitcnt vmcnt(28)
	v_mul_f32_e32 v182, v176, v228
	v_add_f32_e32 v3, v3, v4
	v_mul_f32_e32 v4, v169, v220
	v_fmac_f32_e32 v182, v177, v227
	v_fma_f32 v4, v168, v219, -v4
	v_add_f32_e32 v59, v59, v182
	ds_read2_b64 v[182:185], v2 offset0:107 offset1:108
	v_add_f32_e32 v3, v3, v4
	v_mul_f32_e32 v4, v171, v222
	s_waitcnt vmcnt(26) lgkmcnt(1)
	v_mul_f32_e32 v186, v178, v230
	v_fma_f32 v4, v170, v221, -v4
	v_fmac_f32_e32 v186, v179, v229
	v_add_f32_e32 v3, v3, v4
	v_mul_f32_e32 v4, v173, v223
	v_add_f32_e32 v59, v59, v186
	s_waitcnt vmcnt(25)
	v_mul_f32_e32 v186, v180, v231
	v_fma_f32 v4, v172, v226, -v4
	s_waitcnt vmcnt(22)
	v_fmac_f32_e32 v186, v181, v234
	v_add_f32_e32 v3, v3, v4
	v_mul_f32_e32 v4, v175, v225
	v_add_f32_e32 v59, v59, v186
	s_waitcnt lgkmcnt(0)
	v_mul_f32_e32 v186, v182, v233
	v_fma_f32 v4, v174, v224, -v4
	v_fmac_f32_e32 v186, v183, v232
	v_add_f32_e32 v3, v3, v4
	v_mul_f32_e32 v4, v177, v228
	v_add_f32_e32 v59, v59, v186
	ds_read2_b64 v[186:189], v2 offset0:109 offset1:110
	v_fma_f32 v4, v176, v227, -v4
	v_add_f32_e32 v3, v3, v4
	v_mul_f32_e32 v4, v179, v230
	s_waitcnt vmcnt(20)
	v_mul_f32_e32 v190, v184, v236
	v_fma_f32 v4, v178, v229, -v4
	v_fmac_f32_e32 v190, v185, v235
	v_add_f32_e32 v3, v3, v4
	v_mul_f32_e32 v4, v181, v231
	v_add_f32_e32 v59, v59, v190
	ds_read2_b64 v[190:193], v2 offset0:111 offset1:112
	v_fma_f32 v4, v180, v234, -v4
	s_waitcnt vmcnt(18) lgkmcnt(1)
	v_mul_f32_e32 v194, v186, v238
	v_add_f32_e32 v3, v3, v4
	v_mul_f32_e32 v4, v183, v233
	v_fmac_f32_e32 v194, v187, v237
	v_fma_f32 v4, v182, v232, -v4
	v_add_f32_e32 v59, v59, v194
	s_waitcnt vmcnt(17)
	v_mul_f32_e32 v194, v188, v239
	v_add_f32_e32 v3, v3, v4
	v_mul_f32_e32 v4, v185, v236
	s_waitcnt vmcnt(14)
	v_fmac_f32_e32 v194, v189, v242
	v_fma_f32 v4, v184, v235, -v4
	v_add_f32_e32 v59, v59, v194
	s_waitcnt lgkmcnt(0)
	v_mul_f32_e32 v194, v190, v241
	v_add_f32_e32 v3, v3, v4
	v_mul_f32_e32 v4, v187, v238
	v_fmac_f32_e32 v194, v191, v240
	v_fma_f32 v4, v186, v237, -v4
	v_add_f32_e32 v59, v59, v194
	ds_read2_b64 v[194:197], v2 offset0:113 offset1:114
	v_add_f32_e32 v3, v3, v4
	v_mul_f32_e32 v4, v189, v239
	v_fma_f32 v4, v188, v242, -v4
	v_add_f32_e32 v3, v3, v4
	v_mul_f32_e32 v4, v191, v241
	s_waitcnt vmcnt(12)
	v_mul_f32_e32 v198, v192, v244
	v_fma_f32 v4, v190, v240, -v4
	v_fmac_f32_e32 v198, v193, v243
	v_add_f32_e32 v3, v3, v4
	v_mul_f32_e32 v4, v193, v244
	v_add_f32_e32 v59, v59, v198
	ds_read2_b64 v[198:201], v2 offset0:115 offset1:116
	s_waitcnt vmcnt(10) lgkmcnt(1)
	v_mul_f32_e32 v202, v194, v246
	v_fma_f32 v4, v192, v243, -v4
	v_fmac_f32_e32 v202, v195, v245
	v_add_f32_e32 v3, v3, v4
	v_mul_f32_e32 v4, v195, v246
	v_add_f32_e32 v59, v59, v202
	s_waitcnt vmcnt(9)
	v_mul_f32_e32 v202, v196, v247
	v_fma_f32 v4, v194, v245, -v4
	s_waitcnt vmcnt(6)
	v_fmac_f32_e32 v202, v197, v250
	v_add_f32_e32 v3, v3, v4
	v_mul_f32_e32 v4, v197, v247
	v_add_f32_e32 v59, v59, v202
	ds_read2_b64 v[202:205], v2 offset0:117 offset1:118
	v_fma_f32 v4, v196, v250, -v4
	v_add_f32_e32 v3, v3, v4
	s_waitcnt lgkmcnt(1)
	v_mul_f32_e32 v4, v199, v249
	v_mul_f32_e32 v60, v198, v249
	v_fma_f32 v4, v198, v248, -v4
	v_fmac_f32_e32 v60, v199, v248
	v_add_f32_e32 v3, v3, v4
	s_waitcnt vmcnt(4)
	v_mul_f32_e32 v4, v201, v252
	v_add_f32_e32 v2, v59, v60
	v_mul_f32_e32 v59, v200, v252
	v_fma_f32 v4, v200, v251, -v4
	v_fmac_f32_e32 v59, v201, v251
	v_add_f32_e32 v3, v3, v4
	s_waitcnt vmcnt(3) lgkmcnt(0)
	v_mul_f32_e32 v4, v203, v253
	v_add_f32_e32 v2, v2, v59
	v_mul_f32_e32 v59, v202, v253
	s_waitcnt vmcnt(0)
	v_fma_f32 v4, v202, v58, -v4
	v_fmac_f32_e32 v59, v203, v58
	v_add_f32_e32 v3, v3, v4
	v_mul_f32_e32 v4, v205, v255
	v_add_f32_e32 v2, v2, v59
	v_mul_f32_e32 v59, v204, v255
	v_fma_f32 v4, v204, v254, -v4
	v_fmac_f32_e32 v59, v205, v254
	v_add_f32_e32 v3, v3, v4
	v_add_f32_e32 v2, v2, v59
	v_sub_f32_e32 v3, v53, v3
	v_sub_f32_e32 v2, v54, v2
	buffer_store_dword v3, off, s[0:3], 0 offset:128
	buffer_store_dword v2, off, s[0:3], 0 offset:132
	s_and_saveexec_b64 s[4:5], vcc
	s_cbranch_execz .LBB58_337
; %bb.336:
	buffer_load_dword v2, off, s[0:3], 0 offset:120
	buffer_load_dword v3, off, s[0:3], 0 offset:124
	v_mov_b32_e32 v4, 0
	buffer_store_dword v4, off, s[0:3], 0 offset:120
	buffer_store_dword v4, off, s[0:3], 0 offset:124
	s_waitcnt vmcnt(2)
	ds_write_b64 v1, v[2:3]
.LBB58_337:
	s_or_b64 exec, exec, s[4:5]
	s_waitcnt lgkmcnt(0)
	; wave barrier
	buffer_load_dword v11, off, s[0:3], 0 offset:132
	buffer_load_dword v10, off, s[0:3], 0 offset:140
	;; [unrolled: 1-line block ×32, first 2 shown]
	v_mov_b32_e32 v2, 0
	buffer_load_dword v41, off, s[0:3], 0 offset:248
	buffer_load_dword v42, off, s[0:3], 0 offset:252
	;; [unrolled: 1-line block ×16, first 2 shown]
	ds_read_b128 v[17:20], v2 offset:608
	ds_read_b128 v[142:145], v2 offset:624
	;; [unrolled: 1-line block ×6, first 2 shown]
	v_cmp_lt_u32_e32 vcc, 14, v0
	s_waitcnt vmcnt(47) lgkmcnt(5)
	v_mul_f32_e32 v21, v17, v11
	s_waitcnt vmcnt(46)
	v_mul_f32_e32 v22, v19, v10
	s_waitcnt vmcnt(45) lgkmcnt(4)
	v_mul_f32_e32 v57, v142, v9
	s_waitcnt vmcnt(44)
	v_mul_f32_e32 v58, v144, v8
	;; [unrolled: 4-line block ×6, first 2 shown]
	s_waitcnt vmcnt(35)
	v_fmac_f32_e32 v57, v143, v23
	s_waitcnt vmcnt(34)
	v_fmac_f32_e32 v22, v20, v24
	;; [unrolled: 2-line block ×3, first 2 shown]
	v_add_f32_e32 v21, 0, v21
	v_add_f32_e32 v21, v21, v22
	;; [unrolled: 1-line block ×3, first 2 shown]
	s_waitcnt vmcnt(29)
	v_fmac_f32_e32 v58, v145, v29
	v_fmac_f32_e32 v59, v147, v28
	v_add_f32_e32 v21, v21, v58
	v_fmac_f32_e32 v60, v149, v27
	v_add_f32_e32 v21, v21, v59
	;; [unrolled: 2-line block ×3, first 2 shown]
	buffer_load_dword v57, off, s[0:3], 0 offset:312
	buffer_load_dword v58, off, s[0:3], 0 offset:316
	s_waitcnt vmcnt(27)
	v_fmac_f32_e32 v162, v153, v33
	v_add_f32_e32 v21, v21, v61
	v_fmac_f32_e32 v163, v155, v32
	v_add_f32_e32 v21, v21, v162
	;; [unrolled: 2-line block ×4, first 2 shown]
	v_add_f32_e32 v21, v21, v165
	ds_read_b128 v[162:165], v2 offset:704
	buffer_load_dword v59, off, s[0:3], 0 offset:320
	buffer_load_dword v60, off, s[0:3], 0 offset:324
	;; [unrolled: 1-line block ×6, first 2 shown]
	s_waitcnt vmcnt(28)
	v_fmac_f32_e32 v166, v161, v38
	v_add_f32_e32 v21, v21, v166
	ds_read_b128 v[166:169], v2 offset:720
	buffer_load_dword v225, off, s[0:3], 0 offset:344
	buffer_load_dword v226, off, s[0:3], 0 offset:348
	buffer_load_dword v227, off, s[0:3], 0 offset:352
	buffer_load_dword v228, off, s[0:3], 0 offset:356
	buffer_load_dword v229, off, s[0:3], 0 offset:364
	buffer_load_dword v230, off, s[0:3], 0 offset:368
	buffer_load_dword v231, off, s[0:3], 0 offset:372
	buffer_load_dword v232, off, s[0:3], 0 offset:360
	buffer_load_dword v233, off, s[0:3], 0 offset:376
	buffer_load_dword v234, off, s[0:3], 0 offset:380
	ds_read_b128 v[170:173], v2 offset:736
	buffer_load_dword v235, off, s[0:3], 0 offset:384
	buffer_load_dword v236, off, s[0:3], 0 offset:388
	;; [unrolled: 1-line block ×6, first 2 shown]
	ds_read_b128 v[174:177], v2 offset:752
	buffer_load_dword v241, off, s[0:3], 0 offset:408
	buffer_load_dword v242, off, s[0:3], 0 offset:412
	;; [unrolled: 1-line block ×16, first 2 shown]
	v_mul_f32_e32 v11, v18, v11
	v_fma_f32 v11, v17, v25, -v11
	v_mul_f32_e32 v10, v20, v10
	v_add_f32_e32 v11, 0, v11
	v_fma_f32 v10, v19, v24, -v10
	v_mul_f32_e32 v9, v143, v9
	v_add_f32_e32 v10, v11, v10
	;; [unrolled: 3-line block ×6, first 2 shown]
	v_fma_f32 v5, v150, v26, -v5
	v_add_f32_e32 v5, v6, v5
	v_mul_f32_e32 v6, v153, v12
	v_fma_f32 v6, v152, v33, -v6
	v_add_f32_e32 v5, v5, v6
	v_mul_f32_e32 v6, v155, v13
	;; [unrolled: 3-line block ×5, first 2 shown]
	s_waitcnt vmcnt(59) lgkmcnt(3)
	v_mul_f32_e32 v22, v162, v39
	v_fma_f32 v6, v160, v38, -v6
	v_fmac_f32_e32 v22, v163, v37
	v_add_f32_e32 v5, v5, v6
	v_mul_f32_e32 v6, v163, v39
	v_add_f32_e32 v21, v21, v22
	s_waitcnt vmcnt(58)
	v_mul_f32_e32 v22, v164, v40
	v_fma_f32 v6, v162, v37, -v6
	v_fmac_f32_e32 v22, v165, v36
	v_add_f32_e32 v5, v5, v6
	v_mul_f32_e32 v6, v165, v40
	v_add_f32_e32 v21, v21, v22
	s_waitcnt lgkmcnt(2)
	v_mul_f32_e32 v22, v166, v35
	v_fma_f32 v6, v164, v36, -v6
	v_fmac_f32_e32 v22, v167, v34
	v_add_f32_e32 v5, v5, v6
	v_mul_f32_e32 v6, v167, v35
	v_add_f32_e32 v21, v21, v22
	s_waitcnt vmcnt(54)
	v_mul_f32_e32 v22, v168, v42
	v_fma_f32 v6, v166, v34, -v6
	v_fmac_f32_e32 v22, v169, v41
	v_add_f32_e32 v5, v5, v6
	v_mul_f32_e32 v6, v169, v42
	v_add_f32_e32 v21, v21, v22
	s_waitcnt vmcnt(52) lgkmcnt(1)
	v_mul_f32_e32 v22, v170, v44
	v_fma_f32 v6, v168, v41, -v6
	v_fmac_f32_e32 v22, v171, v43
	v_add_f32_e32 v5, v5, v6
	v_mul_f32_e32 v6, v171, v44
	v_add_f32_e32 v21, v21, v22
	s_waitcnt vmcnt(50)
	v_mul_f32_e32 v22, v172, v46
	v_fma_f32 v6, v170, v43, -v6
	v_fmac_f32_e32 v22, v173, v45
	ds_read_b128 v[178:181], v2 offset:768
	ds_read_b128 v[182:185], v2 offset:784
	v_add_f32_e32 v5, v5, v6
	v_mul_f32_e32 v6, v173, v46
	v_add_f32_e32 v21, v21, v22
	s_waitcnt vmcnt(48) lgkmcnt(2)
	v_mul_f32_e32 v22, v174, v48
	v_fma_f32 v6, v172, v45, -v6
	v_fmac_f32_e32 v22, v175, v47
	v_add_f32_e32 v5, v5, v6
	v_mul_f32_e32 v6, v175, v48
	v_add_f32_e32 v21, v21, v22
	s_waitcnt vmcnt(46)
	v_mul_f32_e32 v22, v176, v50
	v_fma_f32 v6, v174, v47, -v6
	v_fmac_f32_e32 v22, v177, v49
	v_add_f32_e32 v5, v5, v6
	v_mul_f32_e32 v6, v177, v50
	v_add_f32_e32 v21, v21, v22
	s_waitcnt vmcnt(44) lgkmcnt(1)
	v_mul_f32_e32 v22, v178, v52
	v_fma_f32 v6, v176, v49, -v6
	v_fmac_f32_e32 v22, v179, v51
	v_add_f32_e32 v5, v5, v6
	v_mul_f32_e32 v6, v179, v52
	v_add_f32_e32 v21, v21, v22
	s_waitcnt vmcnt(42)
	v_mul_f32_e32 v22, v180, v54
	v_fma_f32 v6, v178, v51, -v6
	v_fmac_f32_e32 v22, v181, v53
	ds_read_b128 v[186:189], v2 offset:800
	ds_read_b128 v[190:193], v2 offset:816
	v_add_f32_e32 v5, v5, v6
	v_mul_f32_e32 v6, v181, v54
	v_add_f32_e32 v21, v21, v22
	s_waitcnt vmcnt(40) lgkmcnt(2)
	v_mul_f32_e32 v22, v182, v56
	v_fma_f32 v6, v180, v53, -v6
	v_fmac_f32_e32 v22, v183, v55
	v_add_f32_e32 v5, v5, v6
	v_mul_f32_e32 v6, v183, v56
	v_add_f32_e32 v21, v21, v22
	s_waitcnt vmcnt(38)
	v_mul_f32_e32 v22, v184, v58
	v_fma_f32 v6, v182, v55, -v6
	v_fmac_f32_e32 v22, v185, v57
	v_add_f32_e32 v5, v5, v6
	v_mul_f32_e32 v6, v185, v58
	v_add_f32_e32 v21, v21, v22
	s_waitcnt vmcnt(36) lgkmcnt(1)
	v_mul_f32_e32 v22, v186, v60
	v_fma_f32 v6, v184, v57, -v6
	v_fmac_f32_e32 v22, v187, v59
	v_add_f32_e32 v5, v5, v6
	v_mul_f32_e32 v6, v187, v60
	v_add_f32_e32 v21, v21, v22
	s_waitcnt vmcnt(35)
	v_mul_f32_e32 v22, v188, v61
	v_fma_f32 v6, v186, v59, -v6
	s_waitcnt vmcnt(32)
	v_fmac_f32_e32 v22, v189, v224
	ds_read_b128 v[194:197], v2 offset:832
	ds_read_b128 v[198:201], v2 offset:848
	v_add_f32_e32 v5, v5, v6
	v_mul_f32_e32 v6, v189, v61
	v_add_f32_e32 v21, v21, v22
	s_waitcnt lgkmcnt(2)
	v_mul_f32_e32 v22, v190, v223
	v_fma_f32 v6, v188, v224, -v6
	v_fmac_f32_e32 v22, v191, v222
	v_add_f32_e32 v5, v5, v6
	v_mul_f32_e32 v6, v191, v223
	v_add_f32_e32 v21, v21, v22
	s_waitcnt vmcnt(30)
	v_mul_f32_e32 v22, v192, v226
	v_fma_f32 v6, v190, v222, -v6
	v_fmac_f32_e32 v22, v193, v225
	v_add_f32_e32 v5, v5, v6
	v_mul_f32_e32 v6, v193, v226
	v_add_f32_e32 v21, v21, v22
	s_waitcnt vmcnt(28) lgkmcnt(1)
	v_mul_f32_e32 v22, v194, v228
	v_fma_f32 v6, v192, v225, -v6
	v_fmac_f32_e32 v22, v195, v227
	v_add_f32_e32 v5, v5, v6
	v_mul_f32_e32 v6, v195, v228
	v_add_f32_e32 v21, v21, v22
	s_waitcnt vmcnt(27)
	v_mul_f32_e32 v22, v196, v229
	v_fma_f32 v6, v194, v227, -v6
	s_waitcnt vmcnt(24)
	v_fmac_f32_e32 v22, v197, v232
	ds_read_b128 v[202:205], v2 offset:864
	ds_read_b128 v[206:209], v2 offset:880
	v_add_f32_e32 v5, v5, v6
	v_mul_f32_e32 v6, v197, v229
	v_add_f32_e32 v21, v21, v22
	s_waitcnt lgkmcnt(2)
	;; [unrolled: 31-line block ×3, first 2 shown]
	v_mul_f32_e32 v22, v206, v239
	v_fma_f32 v6, v204, v240, -v6
	v_fmac_f32_e32 v22, v207, v238
	v_add_f32_e32 v5, v5, v6
	v_mul_f32_e32 v6, v207, v239
	v_add_f32_e32 v21, v21, v22
	s_waitcnt vmcnt(14)
	v_mul_f32_e32 v22, v208, v242
	v_fma_f32 v6, v206, v238, -v6
	v_fmac_f32_e32 v22, v209, v241
	v_add_f32_e32 v5, v5, v6
	v_mul_f32_e32 v6, v209, v242
	v_add_f32_e32 v21, v21, v22
	s_waitcnt vmcnt(12) lgkmcnt(1)
	v_mul_f32_e32 v22, v210, v244
	v_fma_f32 v6, v208, v241, -v6
	v_fmac_f32_e32 v22, v211, v243
	v_add_f32_e32 v5, v5, v6
	v_mul_f32_e32 v6, v211, v244
	v_add_f32_e32 v21, v21, v22
	s_waitcnt vmcnt(11)
	v_mul_f32_e32 v22, v212, v245
	v_fma_f32 v6, v210, v243, -v6
	s_waitcnt vmcnt(8)
	v_fmac_f32_e32 v22, v213, v248
	v_add_f32_e32 v5, v5, v6
	v_mul_f32_e32 v6, v213, v245
	v_add_f32_e32 v21, v21, v22
	s_waitcnt lgkmcnt(0)
	v_mul_f32_e32 v22, v214, v247
	ds_read_b128 v[218:221], v2 offset:928
	v_fma_f32 v6, v212, v248, -v6
	v_fmac_f32_e32 v22, v215, v246
	v_add_f32_e32 v5, v5, v6
	v_mul_f32_e32 v6, v215, v247
	v_add_f32_e32 v21, v21, v22
	s_waitcnt vmcnt(6)
	v_mul_f32_e32 v22, v216, v250
	v_fma_f32 v6, v214, v246, -v6
	v_fmac_f32_e32 v22, v217, v249
	v_add_f32_e32 v5, v5, v6
	v_mul_f32_e32 v6, v217, v250
	v_add_f32_e32 v63, v21, v22
	ds_read_b64 v[21:22], v2 offset:944
	v_fma_f32 v6, v216, v249, -v6
	v_add_f32_e32 v5, v5, v6
	s_waitcnt vmcnt(4) lgkmcnt(1)
	v_mul_f32_e32 v6, v219, v252
	v_mul_f32_e32 v64, v218, v252
	v_fma_f32 v6, v218, v251, -v6
	v_fmac_f32_e32 v64, v219, v251
	v_add_f32_e32 v5, v5, v6
	s_waitcnt vmcnt(3)
	v_mul_f32_e32 v6, v221, v253
	v_add_f32_e32 v63, v63, v64
	v_mul_f32_e32 v64, v220, v253
	s_waitcnt vmcnt(0)
	v_fma_f32 v6, v220, v62, -v6
	v_fmac_f32_e32 v64, v221, v62
	v_add_f32_e32 v5, v5, v6
	s_waitcnt lgkmcnt(0)
	v_mul_f32_e32 v6, v22, v255
	v_add_f32_e32 v63, v63, v64
	v_mul_f32_e32 v64, v21, v255
	v_fma_f32 v6, v21, v254, -v6
	v_fmac_f32_e32 v64, v22, v254
	v_add_f32_e32 v5, v5, v6
	v_add_f32_e32 v63, v63, v64
	v_sub_f32_e32 v3, v3, v5
	v_sub_f32_e32 v4, v4, v63
	buffer_store_dword v3, off, s[0:3], 0 offset:120
	buffer_store_dword v4, off, s[0:3], 0 offset:124
	s_and_saveexec_b64 s[4:5], vcc
	s_cbranch_execz .LBB58_339
; %bb.338:
	buffer_load_dword v3, off, s[0:3], 0 offset:112
	buffer_load_dword v4, off, s[0:3], 0 offset:116
	s_waitcnt vmcnt(0)
	ds_write_b64 v1, v[3:4]
	buffer_store_dword v2, off, s[0:3], 0 offset:112
	buffer_store_dword v2, off, s[0:3], 0 offset:116
.LBB58_339:
	s_or_b64 exec, exec, s[4:5]
	s_waitcnt lgkmcnt(0)
	; wave barrier
	buffer_load_dword v11, off, s[0:3], 0 offset:124
	buffer_load_dword v10, off, s[0:3], 0 offset:132
	;; [unrolled: 1-line block ×32, first 2 shown]
	ds_read2_b64 v[17:20], v2 offset0:75 offset1:76
	ds_read2_b64 v[142:145], v2 offset0:77 offset1:78
	;; [unrolled: 1-line block ×4, first 2 shown]
	buffer_load_dword v39, off, s[0:3], 0 offset:240
	buffer_load_dword v40, off, s[0:3], 0 offset:244
	ds_read2_b64 v[154:157], v2 offset0:83 offset1:84
	ds_read2_b64 v[158:161], v2 offset0:85 offset1:86
	;; [unrolled: 1-line block ×3, first 2 shown]
	buffer_load_dword v41, off, s[0:3], 0 offset:248
	buffer_load_dword v42, off, s[0:3], 0 offset:252
	buffer_load_dword v43, off, s[0:3], 0 offset:256
	buffer_load_dword v44, off, s[0:3], 0 offset:260
	buffer_load_dword v45, off, s[0:3], 0 offset:264
	buffer_load_dword v46, off, s[0:3], 0 offset:268
	buffer_load_dword v47, off, s[0:3], 0 offset:272
	buffer_load_dword v48, off, s[0:3], 0 offset:276
	buffer_load_dword v49, off, s[0:3], 0 offset:280
	buffer_load_dword v50, off, s[0:3], 0 offset:284
	buffer_load_dword v51, off, s[0:3], 0 offset:288
	buffer_load_dword v52, off, s[0:3], 0 offset:292
	buffer_load_dword v53, off, s[0:3], 0 offset:296
	buffer_load_dword v54, off, s[0:3], 0 offset:300
	v_cmp_lt_u32_e32 vcc, 13, v0
	s_waitcnt vmcnt(47) lgkmcnt(6)
	v_mul_f32_e32 v55, v17, v11
	s_waitcnt vmcnt(46)
	v_mul_f32_e32 v56, v19, v10
	s_waitcnt vmcnt(45) lgkmcnt(5)
	v_mul_f32_e32 v57, v142, v9
	s_waitcnt vmcnt(44)
	v_mul_f32_e32 v58, v144, v8
	;; [unrolled: 4-line block ×6, first 2 shown]
	s_waitcnt vmcnt(35)
	v_fmac_f32_e32 v57, v143, v21
	s_waitcnt vmcnt(34)
	v_fmac_f32_e32 v56, v20, v22
	;; [unrolled: 2-line block ×3, first 2 shown]
	v_add_f32_e32 v55, 0, v55
	v_add_f32_e32 v55, v55, v56
	;; [unrolled: 1-line block ×3, first 2 shown]
	s_waitcnt vmcnt(29)
	v_fmac_f32_e32 v58, v145, v27
	v_fmac_f32_e32 v59, v147, v26
	v_add_f32_e32 v55, v55, v58
	v_fmac_f32_e32 v60, v149, v25
	v_add_f32_e32 v55, v55, v59
	;; [unrolled: 2-line block ×3, first 2 shown]
	buffer_load_dword v56, off, s[0:3], 0 offset:304
	buffer_load_dword v57, off, s[0:3], 0 offset:308
	s_waitcnt vmcnt(27)
	v_fmac_f32_e32 v62, v153, v31
	v_add_f32_e32 v55, v55, v61
	v_fmac_f32_e32 v63, v155, v30
	v_add_f32_e32 v55, v55, v62
	;; [unrolled: 2-line block ×4, first 2 shown]
	s_waitcnt vmcnt(23)
	v_fmac_f32_e32 v166, v161, v35
	v_add_f32_e32 v55, v55, v65
	v_add_f32_e32 v55, v55, v166
	ds_read2_b64 v[166:169], v2 offset0:89 offset1:90
	buffer_load_dword v59, off, s[0:3], 0 offset:312
	buffer_load_dword v60, off, s[0:3], 0 offset:316
	;; [unrolled: 1-line block ×14, first 2 shown]
	s_waitcnt vmcnt(36) lgkmcnt(1)
	v_mul_f32_e32 v58, v162, v36
	v_fmac_f32_e32 v58, v163, v34
	v_add_f32_e32 v55, v55, v58
	s_waitcnt vmcnt(35)
	v_mul_f32_e32 v58, v164, v37
	buffer_load_dword v233, off, s[0:3], 0 offset:368
	buffer_load_dword v234, off, s[0:3], 0 offset:372
	v_fmac_f32_e32 v58, v165, v33
	v_add_f32_e32 v55, v55, v58
	s_waitcnt vmcnt(36) lgkmcnt(0)
	v_mul_f32_e32 v58, v166, v38
	v_fmac_f32_e32 v58, v167, v32
	v_add_f32_e32 v55, v55, v58
	s_waitcnt vmcnt(32)
	v_mul_f32_e32 v58, v168, v40
	v_fmac_f32_e32 v58, v169, v39
	ds_read2_b64 v[170:173], v2 offset0:91 offset1:92
	v_add_f32_e32 v55, v55, v58
	buffer_load_dword v58, off, s[0:3], 0 offset:376
	buffer_load_dword v235, off, s[0:3], 0 offset:380
	;; [unrolled: 1-line block ×6, first 2 shown]
	ds_read2_b64 v[174:177], v2 offset0:93 offset1:94
	buffer_load_dword v240, off, s[0:3], 0 offset:400
	buffer_load_dword v241, off, s[0:3], 0 offset:404
	;; [unrolled: 1-line block ×10, first 2 shown]
	s_waitcnt vmcnt(46) lgkmcnt(1)
	v_mul_f32_e32 v178, v170, v42
	v_fmac_f32_e32 v178, v171, v41
	v_add_f32_e32 v55, v55, v178
	s_waitcnt vmcnt(44)
	v_mul_f32_e32 v178, v172, v44
	v_fmac_f32_e32 v178, v173, v43
	v_add_f32_e32 v55, v55, v178
	s_waitcnt vmcnt(42) lgkmcnt(0)
	v_mul_f32_e32 v178, v174, v46
	buffer_load_dword v250, off, s[0:3], 0 offset:440
	buffer_load_dword v251, off, s[0:3], 0 offset:444
	;; [unrolled: 1-line block ×6, first 2 shown]
	v_fmac_f32_e32 v178, v175, v45
	s_waitcnt vmcnt(46)
	v_mul_f32_e32 v182, v176, v48
	v_add_f32_e32 v55, v55, v178
	v_fmac_f32_e32 v182, v177, v47
	ds_read2_b64 v[178:181], v2 offset0:95 offset1:96
	v_add_f32_e32 v55, v55, v182
	ds_read2_b64 v[182:185], v2 offset0:97 offset1:98
	buffer_load_dword v66, off, s[0:3], 0 offset:464
	buffer_load_dword v67, off, s[0:3], 0 offset:468
	v_mul_f32_e32 v11, v18, v11
	v_fma_f32 v11, v17, v23, -v11
	v_mul_f32_e32 v10, v20, v10
	v_add_f32_e32 v11, 0, v11
	v_fma_f32 v10, v19, v22, -v10
	v_mul_f32_e32 v9, v143, v9
	v_add_f32_e32 v10, v11, v10
	;; [unrolled: 3-line block ×6, first 2 shown]
	v_fma_f32 v5, v150, v24, -v5
	v_add_f32_e32 v5, v6, v5
	v_mul_f32_e32 v6, v153, v12
	v_fma_f32 v6, v152, v31, -v6
	v_add_f32_e32 v5, v5, v6
	v_mul_f32_e32 v6, v155, v13
	;; [unrolled: 3-line block ×6, first 2 shown]
	s_waitcnt vmcnt(46) lgkmcnt(1)
	v_mul_f32_e32 v186, v178, v50
	v_fma_f32 v6, v162, v34, -v6
	v_fmac_f32_e32 v186, v179, v49
	v_add_f32_e32 v5, v5, v6
	v_mul_f32_e32 v6, v165, v37
	v_add_f32_e32 v55, v55, v186
	s_waitcnt vmcnt(44)
	v_mul_f32_e32 v186, v180, v52
	v_fma_f32 v6, v164, v33, -v6
	v_fmac_f32_e32 v186, v181, v51
	v_add_f32_e32 v5, v5, v6
	v_mul_f32_e32 v6, v167, v38
	v_add_f32_e32 v55, v55, v186
	s_waitcnt vmcnt(42) lgkmcnt(0)
	v_mul_f32_e32 v186, v182, v54
	v_fma_f32 v6, v166, v32, -v6
	v_fmac_f32_e32 v186, v183, v53
	v_add_f32_e32 v5, v5, v6
	v_mul_f32_e32 v6, v169, v40
	v_add_f32_e32 v55, v55, v186
	ds_read2_b64 v[186:189], v2 offset0:99 offset1:100
	v_fma_f32 v6, v168, v39, -v6
	v_add_f32_e32 v5, v5, v6
	v_mul_f32_e32 v6, v171, v42
	s_waitcnt vmcnt(40)
	v_mul_f32_e32 v190, v184, v57
	v_fma_f32 v6, v170, v41, -v6
	v_fmac_f32_e32 v190, v185, v56
	v_add_f32_e32 v5, v5, v6
	v_mul_f32_e32 v6, v173, v44
	v_add_f32_e32 v55, v55, v190
	ds_read2_b64 v[190:193], v2 offset0:101 offset1:102
	v_fma_f32 v6, v172, v43, -v6
	s_waitcnt vmcnt(38) lgkmcnt(1)
	v_mul_f32_e32 v194, v186, v60
	v_add_f32_e32 v5, v5, v6
	v_mul_f32_e32 v6, v175, v46
	v_fmac_f32_e32 v194, v187, v59
	v_fma_f32 v6, v174, v45, -v6
	v_add_f32_e32 v55, v55, v194
	s_waitcnt vmcnt(37)
	v_mul_f32_e32 v194, v188, v61
	v_add_f32_e32 v5, v5, v6
	v_mul_f32_e32 v6, v177, v48
	s_waitcnt vmcnt(34)
	v_fmac_f32_e32 v194, v189, v64
	v_fma_f32 v6, v176, v47, -v6
	v_add_f32_e32 v55, v55, v194
	s_waitcnt lgkmcnt(0)
	v_mul_f32_e32 v194, v190, v63
	v_add_f32_e32 v5, v5, v6
	v_mul_f32_e32 v6, v179, v50
	v_fmac_f32_e32 v194, v191, v62
	v_fma_f32 v6, v178, v49, -v6
	v_add_f32_e32 v55, v55, v194
	ds_read2_b64 v[194:197], v2 offset0:103 offset1:104
	v_add_f32_e32 v5, v5, v6
	v_mul_f32_e32 v6, v181, v52
	v_fma_f32 v6, v180, v51, -v6
	s_waitcnt vmcnt(32)
	v_mul_f32_e32 v198, v192, v226
	v_add_f32_e32 v5, v5, v6
	v_mul_f32_e32 v6, v183, v54
	v_fmac_f32_e32 v198, v193, v65
	v_fma_f32 v6, v182, v53, -v6
	v_add_f32_e32 v55, v55, v198
	ds_read2_b64 v[198:201], v2 offset0:105 offset1:106
	v_add_f32_e32 v5, v5, v6
	v_mul_f32_e32 v6, v185, v57
	s_waitcnt vmcnt(30) lgkmcnt(1)
	v_mul_f32_e32 v202, v194, v228
	v_fma_f32 v6, v184, v56, -v6
	v_fmac_f32_e32 v202, v195, v227
	v_add_f32_e32 v5, v5, v6
	v_mul_f32_e32 v6, v187, v60
	v_add_f32_e32 v55, v55, v202
	s_waitcnt vmcnt(29)
	v_mul_f32_e32 v202, v196, v229
	v_fma_f32 v6, v186, v59, -v6
	s_waitcnt vmcnt(26)
	v_fmac_f32_e32 v202, v197, v232
	v_add_f32_e32 v5, v5, v6
	v_mul_f32_e32 v6, v189, v61
	v_add_f32_e32 v55, v55, v202
	s_waitcnt lgkmcnt(0)
	v_mul_f32_e32 v202, v198, v231
	v_fma_f32 v6, v188, v64, -v6
	v_fmac_f32_e32 v202, v199, v230
	v_add_f32_e32 v5, v5, v6
	v_mul_f32_e32 v6, v191, v63
	v_add_f32_e32 v55, v55, v202
	ds_read2_b64 v[202:205], v2 offset0:107 offset1:108
	v_fma_f32 v6, v190, v62, -v6
	v_add_f32_e32 v5, v5, v6
	v_mul_f32_e32 v6, v193, v226
	s_waitcnt vmcnt(24)
	v_mul_f32_e32 v206, v200, v234
	v_fma_f32 v6, v192, v65, -v6
	v_fmac_f32_e32 v206, v201, v233
	v_add_f32_e32 v5, v5, v6
	v_mul_f32_e32 v6, v195, v228
	v_add_f32_e32 v55, v55, v206
	ds_read2_b64 v[206:209], v2 offset0:109 offset1:110
	v_fma_f32 v6, v194, v227, -v6
	s_waitcnt vmcnt(22) lgkmcnt(1)
	v_mul_f32_e32 v210, v202, v235
	v_add_f32_e32 v5, v5, v6
	v_mul_f32_e32 v6, v197, v229
	v_fmac_f32_e32 v210, v203, v58
	v_fma_f32 v6, v196, v232, -v6
	v_add_f32_e32 v55, v55, v210
	s_waitcnt vmcnt(21)
	v_mul_f32_e32 v210, v204, v236
	v_add_f32_e32 v5, v5, v6
	v_mul_f32_e32 v6, v199, v231
	s_waitcnt vmcnt(18)
	v_fmac_f32_e32 v210, v205, v239
	v_fma_f32 v6, v198, v230, -v6
	v_add_f32_e32 v55, v55, v210
	s_waitcnt lgkmcnt(0)
	v_mul_f32_e32 v210, v206, v238
	v_add_f32_e32 v5, v5, v6
	v_mul_f32_e32 v6, v201, v234
	v_fmac_f32_e32 v210, v207, v237
	v_fma_f32 v6, v200, v233, -v6
	v_add_f32_e32 v55, v55, v210
	ds_read2_b64 v[210:213], v2 offset0:111 offset1:112
	v_add_f32_e32 v5, v5, v6
	v_mul_f32_e32 v6, v203, v235
	v_fma_f32 v6, v202, v58, -v6
	s_waitcnt vmcnt(16)
	v_mul_f32_e32 v214, v208, v241
	v_add_f32_e32 v5, v5, v6
	v_mul_f32_e32 v6, v205, v236
	v_fmac_f32_e32 v214, v209, v240
	v_fma_f32 v6, v204, v239, -v6
	v_add_f32_e32 v55, v55, v214
	ds_read2_b64 v[214:217], v2 offset0:113 offset1:114
	v_add_f32_e32 v5, v5, v6
	v_mul_f32_e32 v6, v207, v238
	s_waitcnt vmcnt(14) lgkmcnt(1)
	v_mul_f32_e32 v218, v210, v243
	v_fma_f32 v6, v206, v237, -v6
	v_fmac_f32_e32 v218, v211, v242
	v_add_f32_e32 v5, v5, v6
	v_mul_f32_e32 v6, v209, v241
	v_add_f32_e32 v55, v55, v218
	s_waitcnt vmcnt(13)
	v_mul_f32_e32 v218, v212, v244
	v_fma_f32 v6, v208, v240, -v6
	s_waitcnt vmcnt(10)
	v_fmac_f32_e32 v218, v213, v247
	v_add_f32_e32 v5, v5, v6
	v_mul_f32_e32 v6, v211, v243
	v_add_f32_e32 v55, v55, v218
	s_waitcnt lgkmcnt(0)
	v_mul_f32_e32 v218, v214, v246
	v_fma_f32 v6, v210, v242, -v6
	v_fmac_f32_e32 v218, v215, v245
	v_add_f32_e32 v5, v5, v6
	v_mul_f32_e32 v6, v213, v244
	v_add_f32_e32 v55, v55, v218
	ds_read2_b64 v[218:221], v2 offset0:115 offset1:116
	v_fma_f32 v6, v212, v247, -v6
	v_add_f32_e32 v5, v5, v6
	v_mul_f32_e32 v6, v215, v246
	s_waitcnt vmcnt(8)
	v_mul_f32_e32 v222, v216, v249
	v_fma_f32 v6, v214, v245, -v6
	v_fmac_f32_e32 v222, v217, v248
	v_add_f32_e32 v5, v5, v6
	v_mul_f32_e32 v6, v217, v249
	v_add_f32_e32 v55, v55, v222
	ds_read2_b64 v[222:225], v2 offset0:117 offset1:118
	v_fma_f32 v6, v216, v248, -v6
	v_add_f32_e32 v5, v5, v6
	s_waitcnt vmcnt(6) lgkmcnt(1)
	v_mul_f32_e32 v6, v219, v251
	v_mul_f32_e32 v2, v218, v251
	v_fma_f32 v6, v218, v250, -v6
	v_fmac_f32_e32 v2, v219, v250
	v_add_f32_e32 v5, v5, v6
	s_waitcnt vmcnt(5)
	v_mul_f32_e32 v6, v221, v252
	v_add_f32_e32 v2, v55, v2
	v_mul_f32_e32 v55, v220, v252
	s_waitcnt vmcnt(2)
	v_fma_f32 v6, v220, v255, -v6
	v_fmac_f32_e32 v55, v221, v255
	v_add_f32_e32 v5, v5, v6
	s_waitcnt lgkmcnt(0)
	v_mul_f32_e32 v6, v223, v254
	v_add_f32_e32 v2, v2, v55
	v_mul_f32_e32 v55, v222, v254
	v_fma_f32 v6, v222, v253, -v6
	v_fmac_f32_e32 v55, v223, v253
	v_add_f32_e32 v5, v5, v6
	s_waitcnt vmcnt(0)
	v_mul_f32_e32 v6, v225, v67
	v_add_f32_e32 v2, v2, v55
	v_mul_f32_e32 v55, v224, v67
	v_fma_f32 v6, v224, v66, -v6
	v_fmac_f32_e32 v55, v225, v66
	v_add_f32_e32 v5, v5, v6
	v_add_f32_e32 v2, v2, v55
	v_sub_f32_e32 v3, v3, v5
	v_sub_f32_e32 v2, v4, v2
	buffer_store_dword v3, off, s[0:3], 0 offset:112
	buffer_store_dword v2, off, s[0:3], 0 offset:116
	s_and_saveexec_b64 s[4:5], vcc
	s_cbranch_execz .LBB58_341
; %bb.340:
	buffer_load_dword v2, off, s[0:3], 0 offset:104
	buffer_load_dword v3, off, s[0:3], 0 offset:108
	v_mov_b32_e32 v4, 0
	buffer_store_dword v4, off, s[0:3], 0 offset:104
	buffer_store_dword v4, off, s[0:3], 0 offset:108
	s_waitcnt vmcnt(2)
	ds_write_b64 v1, v[2:3]
.LBB58_341:
	s_or_b64 exec, exec, s[4:5]
	s_waitcnt lgkmcnt(0)
	; wave barrier
	buffer_load_dword v23, off, s[0:3], 0 offset:116
	buffer_load_dword v24, off, s[0:3], 0 offset:124
	;; [unrolled: 1-line block ×32, first 2 shown]
	v_mov_b32_e32 v2, 0
	buffer_load_dword v53, off, s[0:3], 0 offset:232
	buffer_load_dword v54, off, s[0:3], 0 offset:236
	;; [unrolled: 1-line block ×16, first 2 shown]
	ds_read_b128 v[5:8], v2 offset:592
	ds_read_b128 v[9:12], v2 offset:608
	;; [unrolled: 1-line block ×7, first 2 shown]
	v_cmp_lt_u32_e32 vcc, 12, v0
	s_waitcnt vmcnt(47) lgkmcnt(6)
	v_mul_f32_e32 v21, v5, v23
	s_waitcnt vmcnt(46)
	v_mul_f32_e32 v22, v7, v24
	s_waitcnt vmcnt(45) lgkmcnt(5)
	v_mul_f32_e32 v154, v9, v25
	s_waitcnt vmcnt(44)
	v_mul_f32_e32 v155, v11, v26
	;; [unrolled: 4-line block ×6, first 2 shown]
	s_waitcnt vmcnt(35)
	v_fmac_f32_e32 v154, v10, v35
	s_waitcnt vmcnt(34)
	v_fmac_f32_e32 v22, v8, v36
	;; [unrolled: 2-line block ×3, first 2 shown]
	v_add_f32_e32 v21, 0, v21
	v_add_f32_e32 v21, v21, v22
	;; [unrolled: 1-line block ×3, first 2 shown]
	s_waitcnt vmcnt(29)
	v_fmac_f32_e32 v155, v12, v41
	v_fmac_f32_e32 v156, v14, v40
	v_add_f32_e32 v21, v21, v155
	v_fmac_f32_e32 v157, v16, v39
	v_add_f32_e32 v21, v21, v156
	v_add_f32_e32 v21, v21, v157
	ds_read_b128 v[154:157], v2 offset:704
	buffer_load_dword v215, off, s[0:3], 0 offset:296
	buffer_load_dword v216, off, s[0:3], 0 offset:300
	;; [unrolled: 1-line block ×10, first 2 shown]
	v_fmac_f32_e32 v158, v18, v38
	s_waitcnt vmcnt(35)
	v_fmac_f32_e32 v159, v20, v45
	v_add_f32_e32 v21, v21, v158
	buffer_load_dword v225, off, s[0:3], 0 offset:336
	buffer_load_dword v226, off, s[0:3], 0 offset:340
	buffer_load_dword v227, off, s[0:3], 0 offset:348
	buffer_load_dword v228, off, s[0:3], 0 offset:352
	buffer_load_dword v229, off, s[0:3], 0 offset:356
	buffer_load_dword v230, off, s[0:3], 0 offset:344
	v_fmac_f32_e32 v160, v143, v44
	v_add_f32_e32 v21, v21, v159
	v_fmac_f32_e32 v161, v145, v43
	v_add_f32_e32 v21, v21, v160
	v_add_f32_e32 v21, v21, v161
	ds_read_b128 v[158:161], v2 offset:720
	buffer_load_dword v231, off, s[0:3], 0 offset:360
	buffer_load_dword v232, off, s[0:3], 0 offset:364
	v_fmac_f32_e32 v162, v147, v42
	s_waitcnt vmcnt(39)
	v_fmac_f32_e32 v163, v149, v49
	v_add_f32_e32 v21, v21, v162
	v_add_f32_e32 v21, v21, v163
	ds_read_b128 v[162:165], v2 offset:736
	buffer_load_dword v233, off, s[0:3], 0 offset:368
	buffer_load_dword v234, off, s[0:3], 0 offset:372
	;; [unrolled: 1-line block ×16, first 2 shown]
	v_mul_f32_e32 v6, v6, v23
	ds_read_b128 v[166:169], v2 offset:752
	buffer_load_dword v249, off, s[0:3], 0 offset:432
	buffer_load_dword v250, off, s[0:3], 0 offset:436
	;; [unrolled: 1-line block ×6, first 2 shown]
	v_fma_f32 v5, v5, v37, -v6
	v_mul_f32_e32 v6, v8, v24
	v_add_f32_e32 v5, 0, v5
	v_fma_f32 v6, v7, v36, -v6
	v_add_f32_e32 v5, v5, v6
	v_mul_f32_e32 v6, v10, v25
	v_fma_f32 v6, v9, v35, -v6
	v_add_f32_e32 v5, v5, v6
	v_mul_f32_e32 v6, v12, v26
	ds_read_b128 v[170:173], v2 offset:768
	buffer_load_dword v255, off, s[0:3], 0 offset:460
	buffer_load_dword v68, off, s[0:3], 0 offset:464
	;; [unrolled: 1-line block ×4, first 2 shown]
	v_fma_f32 v6, v11, v41, -v6
	v_add_f32_e32 v5, v5, v6
	v_mul_f32_e32 v6, v14, v27
	v_fma_f32 v6, v13, v40, -v6
	v_add_f32_e32 v5, v5, v6
	v_mul_f32_e32 v6, v16, v28
	;; [unrolled: 3-line block ×8, first 2 shown]
	s_waitcnt vmcnt(62) lgkmcnt(5)
	v_mul_f32_e32 v22, v150, v50
	v_fma_f32 v6, v148, v49, -v6
	v_fmac_f32_e32 v22, v151, v48
	v_add_f32_e32 v5, v5, v6
	v_mul_f32_e32 v6, v151, v50
	v_add_f32_e32 v21, v21, v22
	v_mul_f32_e32 v22, v152, v51
	v_fma_f32 v6, v150, v48, -v6
	v_fmac_f32_e32 v22, v153, v47
	v_add_f32_e32 v5, v5, v6
	v_mul_f32_e32 v6, v153, v51
	v_add_f32_e32 v21, v21, v22
	s_waitcnt lgkmcnt(4)
	v_mul_f32_e32 v22, v154, v52
	v_fma_f32 v6, v152, v47, -v6
	v_fmac_f32_e32 v22, v155, v46
	v_add_f32_e32 v5, v5, v6
	v_mul_f32_e32 v6, v155, v52
	v_add_f32_e32 v21, v21, v22
	s_waitcnt vmcnt(58)
	v_mul_f32_e32 v22, v156, v54
	v_fma_f32 v6, v154, v46, -v6
	v_fmac_f32_e32 v22, v157, v53
	v_add_f32_e32 v5, v5, v6
	v_mul_f32_e32 v6, v157, v54
	v_add_f32_e32 v21, v21, v22
	s_waitcnt vmcnt(56) lgkmcnt(3)
	v_mul_f32_e32 v22, v158, v56
	v_fma_f32 v6, v156, v53, -v6
	v_fmac_f32_e32 v22, v159, v55
	v_add_f32_e32 v5, v5, v6
	v_mul_f32_e32 v6, v159, v56
	v_add_f32_e32 v21, v21, v22
	s_waitcnt vmcnt(54)
	v_mul_f32_e32 v22, v160, v58
	v_fma_f32 v6, v158, v55, -v6
	v_fmac_f32_e32 v22, v161, v57
	v_add_f32_e32 v5, v5, v6
	v_mul_f32_e32 v6, v161, v58
	v_add_f32_e32 v21, v21, v22
	s_waitcnt vmcnt(52) lgkmcnt(2)
	;; [unrolled: 14-line block ×3, first 2 shown]
	v_mul_f32_e32 v22, v166, v64
	v_fma_f32 v6, v164, v61, -v6
	v_fmac_f32_e32 v22, v167, v63
	v_add_f32_e32 v5, v5, v6
	v_mul_f32_e32 v6, v167, v64
	v_add_f32_e32 v21, v21, v22
	s_waitcnt vmcnt(46)
	v_mul_f32_e32 v22, v168, v66
	v_fma_f32 v6, v166, v63, -v6
	v_fmac_f32_e32 v22, v169, v65
	ds_read_b128 v[174:177], v2 offset:784
	ds_read_b128 v[178:181], v2 offset:800
	v_add_f32_e32 v5, v5, v6
	v_mul_f32_e32 v6, v169, v66
	v_add_f32_e32 v21, v21, v22
	s_waitcnt vmcnt(44) lgkmcnt(2)
	v_mul_f32_e32 v22, v170, v214
	v_fma_f32 v6, v168, v65, -v6
	v_fmac_f32_e32 v22, v171, v67
	v_add_f32_e32 v5, v5, v6
	v_mul_f32_e32 v6, v171, v214
	v_add_f32_e32 v21, v21, v22
	s_waitcnt vmcnt(42)
	v_mul_f32_e32 v22, v172, v216
	v_fma_f32 v6, v170, v67, -v6
	v_fmac_f32_e32 v22, v173, v215
	v_add_f32_e32 v5, v5, v6
	v_mul_f32_e32 v6, v173, v216
	v_add_f32_e32 v21, v21, v22
	s_waitcnt vmcnt(40) lgkmcnt(1)
	v_mul_f32_e32 v22, v174, v218
	v_fma_f32 v6, v172, v215, -v6
	v_fmac_f32_e32 v22, v175, v217
	v_add_f32_e32 v5, v5, v6
	v_mul_f32_e32 v6, v175, v218
	v_add_f32_e32 v21, v21, v22
	s_waitcnt vmcnt(39)
	v_mul_f32_e32 v22, v176, v219
	v_fma_f32 v6, v174, v217, -v6
	s_waitcnt vmcnt(36)
	v_fmac_f32_e32 v22, v177, v222
	ds_read_b128 v[182:185], v2 offset:816
	ds_read_b128 v[186:189], v2 offset:832
	v_add_f32_e32 v5, v5, v6
	v_mul_f32_e32 v6, v177, v219
	v_add_f32_e32 v21, v21, v22
	s_waitcnt lgkmcnt(2)
	v_mul_f32_e32 v22, v178, v221
	v_fma_f32 v6, v176, v222, -v6
	v_fmac_f32_e32 v22, v179, v220
	v_add_f32_e32 v5, v5, v6
	v_mul_f32_e32 v6, v179, v221
	v_add_f32_e32 v21, v21, v22
	s_waitcnt vmcnt(34)
	v_mul_f32_e32 v22, v180, v224
	v_fma_f32 v6, v178, v220, -v6
	v_fmac_f32_e32 v22, v181, v223
	v_add_f32_e32 v5, v5, v6
	v_mul_f32_e32 v6, v181, v224
	v_add_f32_e32 v21, v21, v22
	s_waitcnt vmcnt(32) lgkmcnt(1)
	v_mul_f32_e32 v22, v182, v226
	v_fma_f32 v6, v180, v223, -v6
	v_fmac_f32_e32 v22, v183, v225
	v_add_f32_e32 v5, v5, v6
	v_mul_f32_e32 v6, v183, v226
	v_add_f32_e32 v21, v21, v22
	s_waitcnt vmcnt(31)
	v_mul_f32_e32 v22, v184, v227
	v_fma_f32 v6, v182, v225, -v6
	s_waitcnt vmcnt(28)
	v_fmac_f32_e32 v22, v185, v230
	ds_read_b128 v[190:193], v2 offset:848
	ds_read_b128 v[194:197], v2 offset:864
	v_add_f32_e32 v5, v5, v6
	v_mul_f32_e32 v6, v185, v227
	v_add_f32_e32 v21, v21, v22
	s_waitcnt lgkmcnt(2)
	v_mul_f32_e32 v22, v186, v229
	v_fma_f32 v6, v184, v230, -v6
	v_fmac_f32_e32 v22, v187, v228
	v_add_f32_e32 v5, v5, v6
	v_mul_f32_e32 v6, v187, v229
	v_add_f32_e32 v21, v21, v22
	s_waitcnt vmcnt(26)
	v_mul_f32_e32 v22, v188, v232
	v_fma_f32 v6, v186, v228, -v6
	v_fmac_f32_e32 v22, v189, v231
	v_add_f32_e32 v5, v5, v6
	v_mul_f32_e32 v6, v189, v232
	v_add_f32_e32 v21, v21, v22
	s_waitcnt vmcnt(24) lgkmcnt(1)
	v_mul_f32_e32 v22, v190, v234
	v_fma_f32 v6, v188, v231, -v6
	v_fmac_f32_e32 v22, v191, v233
	v_add_f32_e32 v5, v5, v6
	v_mul_f32_e32 v6, v191, v234
	v_add_f32_e32 v21, v21, v22
	s_waitcnt vmcnt(23)
	v_mul_f32_e32 v22, v192, v235
	v_fma_f32 v6, v190, v233, -v6
	s_waitcnt vmcnt(20)
	v_fmac_f32_e32 v22, v193, v238
	ds_read_b128 v[198:201], v2 offset:880
	ds_read_b128 v[202:205], v2 offset:896
	v_add_f32_e32 v5, v5, v6
	v_mul_f32_e32 v6, v193, v235
	v_add_f32_e32 v21, v21, v22
	s_waitcnt lgkmcnt(2)
	v_mul_f32_e32 v22, v194, v237
	v_fma_f32 v6, v192, v238, -v6
	v_fmac_f32_e32 v22, v195, v236
	v_add_f32_e32 v5, v5, v6
	v_mul_f32_e32 v6, v195, v237
	v_add_f32_e32 v21, v21, v22
	s_waitcnt vmcnt(18)
	v_mul_f32_e32 v22, v196, v240
	v_fma_f32 v6, v194, v236, -v6
	v_fmac_f32_e32 v22, v197, v239
	v_add_f32_e32 v5, v5, v6
	v_mul_f32_e32 v6, v197, v240
	v_add_f32_e32 v21, v21, v22
	s_waitcnt vmcnt(16) lgkmcnt(1)
	v_mul_f32_e32 v22, v198, v242
	v_fma_f32 v6, v196, v239, -v6
	v_fmac_f32_e32 v22, v199, v241
	v_add_f32_e32 v5, v5, v6
	v_mul_f32_e32 v6, v199, v242
	v_add_f32_e32 v21, v21, v22
	s_waitcnt vmcnt(15)
	v_mul_f32_e32 v22, v200, v243
	v_fma_f32 v6, v198, v241, -v6
	s_waitcnt vmcnt(12)
	v_fmac_f32_e32 v22, v201, v246
	ds_read_b128 v[206:209], v2 offset:912
	ds_read_b128 v[210:213], v2 offset:928
	v_add_f32_e32 v5, v5, v6
	v_mul_f32_e32 v6, v201, v243
	v_add_f32_e32 v21, v21, v22
	s_waitcnt lgkmcnt(2)
	v_mul_f32_e32 v22, v202, v245
	v_fma_f32 v6, v200, v246, -v6
	v_fmac_f32_e32 v22, v203, v244
	v_add_f32_e32 v5, v5, v6
	v_mul_f32_e32 v6, v203, v245
	v_add_f32_e32 v21, v21, v22
	s_waitcnt vmcnt(10)
	v_mul_f32_e32 v22, v204, v248
	v_fma_f32 v6, v202, v244, -v6
	v_fmac_f32_e32 v22, v205, v247
	v_add_f32_e32 v5, v5, v6
	v_mul_f32_e32 v6, v205, v248
	v_add_f32_e32 v21, v21, v22
	s_waitcnt vmcnt(8) lgkmcnt(1)
	v_mul_f32_e32 v22, v206, v250
	v_fma_f32 v6, v204, v247, -v6
	v_fmac_f32_e32 v22, v207, v249
	v_add_f32_e32 v5, v5, v6
	v_mul_f32_e32 v6, v207, v250
	v_add_f32_e32 v21, v21, v22
	s_waitcnt vmcnt(7)
	v_mul_f32_e32 v22, v208, v251
	v_fma_f32 v6, v206, v249, -v6
	s_waitcnt vmcnt(4)
	v_fmac_f32_e32 v22, v209, v254
	v_add_f32_e32 v5, v5, v6
	v_mul_f32_e32 v6, v209, v251
	v_add_f32_e32 v71, v21, v22
	ds_read_b64 v[21:22], v2 offset:944
	v_fma_f32 v6, v208, v254, -v6
	v_add_f32_e32 v5, v5, v6
	s_waitcnt lgkmcnt(1)
	v_mul_f32_e32 v6, v211, v253
	v_mul_f32_e32 v72, v210, v253
	v_fma_f32 v6, v210, v252, -v6
	v_fmac_f32_e32 v72, v211, v252
	v_add_f32_e32 v5, v5, v6
	s_waitcnt vmcnt(3)
	v_mul_f32_e32 v6, v213, v255
	v_add_f32_e32 v71, v71, v72
	v_mul_f32_e32 v72, v212, v255
	s_waitcnt vmcnt(0)
	v_fma_f32 v6, v212, v70, -v6
	v_fmac_f32_e32 v72, v213, v70
	v_add_f32_e32 v5, v5, v6
	s_waitcnt lgkmcnt(0)
	v_mul_f32_e32 v6, v22, v69
	v_add_f32_e32 v71, v71, v72
	v_mul_f32_e32 v72, v21, v69
	v_fma_f32 v6, v21, v68, -v6
	v_fmac_f32_e32 v72, v22, v68
	v_add_f32_e32 v5, v5, v6
	v_add_f32_e32 v71, v71, v72
	v_sub_f32_e32 v3, v3, v5
	v_sub_f32_e32 v4, v4, v71
	buffer_store_dword v3, off, s[0:3], 0 offset:104
	buffer_store_dword v4, off, s[0:3], 0 offset:108
	s_and_saveexec_b64 s[4:5], vcc
	s_cbranch_execz .LBB58_343
; %bb.342:
	buffer_load_dword v3, off, s[0:3], 0 offset:96
	buffer_load_dword v4, off, s[0:3], 0 offset:100
	s_waitcnt vmcnt(0)
	ds_write_b64 v1, v[3:4]
	buffer_store_dword v2, off, s[0:3], 0 offset:96
	buffer_store_dword v2, off, s[0:3], 0 offset:100
.LBB58_343:
	s_or_b64 exec, exec, s[4:5]
	s_waitcnt lgkmcnt(0)
	; wave barrier
	buffer_load_dword v11, off, s[0:3], 0 offset:108
	buffer_load_dword v10, off, s[0:3], 0 offset:116
	;; [unrolled: 1-line block ×33, first 2 shown]
	ds_read2_b64 v[12:15], v2 offset0:73 offset1:74
	ds_read2_b64 v[16:19], v2 offset0:75 offset1:76
	;; [unrolled: 1-line block ×6, first 2 shown]
	buffer_load_dword v48, off, s[0:3], 0 offset:224
	buffer_load_dword v49, off, s[0:3], 0 offset:236
	;; [unrolled: 1-line block ×7, first 2 shown]
	ds_read2_b64 v[154:157], v2 offset0:85 offset1:86
	ds_read2_b64 v[158:161], v2 offset0:87 offset1:88
	buffer_load_dword v55, off, s[0:3], 0 offset:256
	buffer_load_dword v56, off, s[0:3], 0 offset:260
	;; [unrolled: 1-line block ×8, first 2 shown]
	v_cmp_lt_u32_e32 vcc, 11, v0
	s_waitcnt vmcnt(47) lgkmcnt(7)
	v_mul_f32_e32 v63, v12, v11
	s_waitcnt vmcnt(46)
	v_mul_f32_e32 v64, v14, v10
	s_waitcnt vmcnt(45) lgkmcnt(6)
	v_mul_f32_e32 v65, v16, v9
	s_waitcnt vmcnt(44)
	v_mul_f32_e32 v66, v18, v8
	;; [unrolled: 4-line block ×6, first 2 shown]
	s_waitcnt vmcnt(35)
	v_fmac_f32_e32 v65, v17, v29
	s_waitcnt vmcnt(34)
	v_fmac_f32_e32 v64, v15, v30
	;; [unrolled: 2-line block ×3, first 2 shown]
	v_add_f32_e32 v63, 0, v63
	v_add_f32_e32 v63, v63, v64
	;; [unrolled: 1-line block ×3, first 2 shown]
	s_waitcnt vmcnt(29)
	v_fmac_f32_e32 v66, v19, v35
	v_fmac_f32_e32 v67, v21, v34
	v_add_f32_e32 v63, v63, v66
	v_fmac_f32_e32 v68, v23, v33
	v_add_f32_e32 v63, v63, v67
	;; [unrolled: 2-line block ×3, first 2 shown]
	s_waitcnt vmcnt(25)
	v_fmac_f32_e32 v70, v145, v39
	v_add_f32_e32 v63, v63, v69
	v_fmac_f32_e32 v71, v147, v38
	v_add_f32_e32 v63, v63, v70
	;; [unrolled: 2-line block ×4, first 2 shown]
	s_waitcnt vmcnt(21)
	v_fmac_f32_e32 v162, v153, v43
	v_add_f32_e32 v63, v63, v73
	s_waitcnt vmcnt(20) lgkmcnt(1)
	v_mul_f32_e32 v64, v154, v44
	v_add_f32_e32 v63, v63, v162
	v_fmac_f32_e32 v64, v155, v42
	v_add_f32_e32 v63, v63, v64
	buffer_load_dword v64, off, s[0:3], 0 offset:288
	buffer_load_dword v65, off, s[0:3], 0 offset:292
	;; [unrolled: 1-line block ×8, first 2 shown]
	s_waitcnt vmcnt(27)
	v_mul_f32_e32 v66, v156, v45
	v_fmac_f32_e32 v66, v157, v41
	v_add_f32_e32 v63, v63, v66
	s_waitcnt vmcnt(26) lgkmcnt(0)
	v_mul_f32_e32 v66, v158, v46
	v_fmac_f32_e32 v66, v159, v40
	v_add_f32_e32 v63, v63, v66
	buffer_load_dword v66, off, s[0:3], 0 offset:320
	buffer_load_dword v73, off, s[0:3], 0 offset:324
	ds_read2_b64 v[162:165], v2 offset0:89 offset1:90
	buffer_load_dword v222, off, s[0:3], 0 offset:328
	buffer_load_dword v223, off, s[0:3], 0 offset:332
	;; [unrolled: 1-line block ×6, first 2 shown]
	s_waitcnt vmcnt(33)
	v_mul_f32_e32 v166, v160, v47
	s_waitcnt vmcnt(30)
	v_fmac_f32_e32 v166, v161, v48
	v_add_f32_e32 v63, v63, v166
	ds_read2_b64 v[166:169], v2 offset0:91 offset1:92
	buffer_load_dword v228, off, s[0:3], 0 offset:352
	buffer_load_dword v229, off, s[0:3], 0 offset:356
	;; [unrolled: 1-line block ×10, first 2 shown]
	s_waitcnt vmcnt(39) lgkmcnt(1)
	v_mul_f32_e32 v170, v162, v49
	buffer_load_dword v238, off, s[0:3], 0 offset:392
	buffer_load_dword v239, off, s[0:3], 0 offset:396
	;; [unrolled: 1-line block ×6, first 2 shown]
	s_waitcnt vmcnt(40)
	v_fmac_f32_e32 v170, v163, v54
	v_add_f32_e32 v63, v63, v170
	v_mul_f32_e32 v170, v164, v51
	v_fmac_f32_e32 v170, v165, v50
	v_add_f32_e32 v63, v63, v170
	s_waitcnt lgkmcnt(0)
	v_mul_f32_e32 v170, v166, v53
	v_fmac_f32_e32 v170, v167, v52
	v_add_f32_e32 v63, v63, v170
	ds_read2_b64 v[170:173], v2 offset0:93 offset1:94
	buffer_load_dword v244, off, s[0:3], 0 offset:416
	buffer_load_dword v245, off, s[0:3], 0 offset:420
	s_waitcnt vmcnt(40)
	v_mul_f32_e32 v174, v168, v56
	v_fmac_f32_e32 v174, v169, v55
	v_add_f32_e32 v63, v63, v174
	ds_read2_b64 v[174:177], v2 offset0:95 offset1:96
	buffer_load_dword v246, off, s[0:3], 0 offset:424
	buffer_load_dword v247, off, s[0:3], 0 offset:428
	;; [unrolled: 1-line block ×6, first 2 shown]
	v_mul_f32_e32 v11, v13, v11
	v_fma_f32 v11, v12, v31, -v11
	v_mul_f32_e32 v10, v15, v10
	v_add_f32_e32 v11, 0, v11
	v_fma_f32 v10, v14, v30, -v10
	v_mul_f32_e32 v9, v17, v9
	buffer_load_dword v252, off, s[0:3], 0 offset:448
	buffer_load_dword v253, off, s[0:3], 0 offset:452
	;; [unrolled: 1-line block ×6, first 2 shown]
	v_add_f32_e32 v10, v11, v10
	v_fma_f32 v9, v16, v29, -v9
	v_mul_f32_e32 v8, v19, v8
	v_add_f32_e32 v9, v10, v9
	v_fma_f32 v8, v18, v35, -v8
	v_mul_f32_e32 v7, v21, v7
	;; [unrolled: 3-line block ×4, first 2 shown]
	v_add_f32_e32 v6, v7, v6
	v_fma_f32 v5, v142, v32, -v5
	v_add_f32_e32 v5, v6, v5
	v_mul_f32_e32 v6, v145, v24
	v_fma_f32 v6, v144, v39, -v6
	v_add_f32_e32 v5, v5, v6
	v_mul_f32_e32 v6, v147, v25
	;; [unrolled: 3-line block ×5, first 2 shown]
	v_fma_f32 v6, v152, v43, -v6
	s_waitcnt vmcnt(50) lgkmcnt(1)
	v_mul_f32_e32 v178, v170, v58
	v_add_f32_e32 v5, v5, v6
	v_mul_f32_e32 v6, v155, v44
	v_fmac_f32_e32 v178, v171, v57
	v_fma_f32 v6, v154, v42, -v6
	v_add_f32_e32 v63, v63, v178
	s_waitcnt vmcnt(48)
	v_mul_f32_e32 v178, v172, v60
	v_add_f32_e32 v5, v5, v6
	v_mul_f32_e32 v6, v157, v45
	v_fmac_f32_e32 v178, v173, v59
	v_fma_f32 v6, v156, v41, -v6
	v_add_f32_e32 v63, v63, v178
	s_waitcnt vmcnt(46) lgkmcnt(0)
	v_mul_f32_e32 v178, v174, v62
	v_add_f32_e32 v5, v5, v6
	v_mul_f32_e32 v6, v159, v46
	v_fmac_f32_e32 v178, v175, v61
	v_fma_f32 v6, v158, v40, -v6
	v_add_f32_e32 v63, v63, v178
	ds_read2_b64 v[178:181], v2 offset0:97 offset1:98
	v_add_f32_e32 v5, v5, v6
	v_mul_f32_e32 v6, v161, v47
	v_fma_f32 v6, v160, v48, -v6
	s_waitcnt vmcnt(44)
	v_mul_f32_e32 v182, v176, v65
	v_add_f32_e32 v5, v5, v6
	v_mul_f32_e32 v6, v163, v49
	v_fmac_f32_e32 v182, v177, v64
	v_fma_f32 v6, v162, v54, -v6
	v_add_f32_e32 v63, v63, v182
	ds_read2_b64 v[182:185], v2 offset0:99 offset1:100
	v_add_f32_e32 v5, v5, v6
	v_mul_f32_e32 v6, v165, v51
	s_waitcnt vmcnt(42) lgkmcnt(1)
	v_mul_f32_e32 v186, v178, v68
	v_fma_f32 v6, v164, v50, -v6
	v_fmac_f32_e32 v186, v179, v67
	v_add_f32_e32 v5, v5, v6
	v_mul_f32_e32 v6, v167, v53
	v_add_f32_e32 v63, v63, v186
	s_waitcnt vmcnt(41)
	v_mul_f32_e32 v186, v180, v69
	v_fma_f32 v6, v166, v52, -v6
	s_waitcnt vmcnt(38)
	v_fmac_f32_e32 v186, v181, v72
	v_add_f32_e32 v5, v5, v6
	v_mul_f32_e32 v6, v169, v56
	v_add_f32_e32 v63, v63, v186
	s_waitcnt lgkmcnt(0)
	v_mul_f32_e32 v186, v182, v71
	v_fma_f32 v6, v168, v55, -v6
	v_fmac_f32_e32 v186, v183, v70
	v_add_f32_e32 v5, v5, v6
	v_mul_f32_e32 v6, v171, v58
	v_add_f32_e32 v63, v63, v186
	ds_read2_b64 v[186:189], v2 offset0:101 offset1:102
	v_fma_f32 v6, v170, v57, -v6
	v_add_f32_e32 v5, v5, v6
	v_mul_f32_e32 v6, v173, v60
	s_waitcnt vmcnt(36)
	v_mul_f32_e32 v190, v184, v73
	v_fma_f32 v6, v172, v59, -v6
	v_fmac_f32_e32 v190, v185, v66
	v_add_f32_e32 v5, v5, v6
	v_mul_f32_e32 v6, v175, v62
	v_add_f32_e32 v63, v63, v190
	ds_read2_b64 v[190:193], v2 offset0:103 offset1:104
	v_fma_f32 v6, v174, v61, -v6
	s_waitcnt vmcnt(34) lgkmcnt(1)
	v_mul_f32_e32 v194, v186, v223
	v_add_f32_e32 v5, v5, v6
	v_mul_f32_e32 v6, v177, v65
	v_fmac_f32_e32 v194, v187, v222
	v_fma_f32 v6, v176, v64, -v6
	v_add_f32_e32 v63, v63, v194
	s_waitcnt vmcnt(33)
	v_mul_f32_e32 v194, v188, v224
	v_add_f32_e32 v5, v5, v6
	v_mul_f32_e32 v6, v179, v68
	s_waitcnt vmcnt(30)
	v_fmac_f32_e32 v194, v189, v227
	v_fma_f32 v6, v178, v67, -v6
	v_add_f32_e32 v63, v63, v194
	s_waitcnt lgkmcnt(0)
	v_mul_f32_e32 v194, v190, v226
	v_add_f32_e32 v5, v5, v6
	v_mul_f32_e32 v6, v181, v69
	v_fmac_f32_e32 v194, v191, v225
	v_fma_f32 v6, v180, v72, -v6
	v_add_f32_e32 v63, v63, v194
	ds_read2_b64 v[194:197], v2 offset0:105 offset1:106
	v_add_f32_e32 v5, v5, v6
	v_mul_f32_e32 v6, v183, v71
	v_fma_f32 v6, v182, v70, -v6
	s_waitcnt vmcnt(28)
	v_mul_f32_e32 v198, v192, v229
	v_add_f32_e32 v5, v5, v6
	v_mul_f32_e32 v6, v185, v73
	v_fmac_f32_e32 v198, v193, v228
	v_fma_f32 v6, v184, v66, -v6
	v_add_f32_e32 v63, v63, v198
	ds_read2_b64 v[198:201], v2 offset0:107 offset1:108
	v_add_f32_e32 v5, v5, v6
	v_mul_f32_e32 v6, v187, v223
	s_waitcnt vmcnt(26) lgkmcnt(1)
	v_mul_f32_e32 v202, v194, v231
	v_fma_f32 v6, v186, v222, -v6
	v_fmac_f32_e32 v202, v195, v230
	v_add_f32_e32 v5, v5, v6
	v_mul_f32_e32 v6, v189, v224
	v_add_f32_e32 v63, v63, v202
	s_waitcnt vmcnt(25)
	v_mul_f32_e32 v202, v196, v232
	v_fma_f32 v6, v188, v227, -v6
	s_waitcnt vmcnt(22)
	v_fmac_f32_e32 v202, v197, v235
	v_add_f32_e32 v5, v5, v6
	v_mul_f32_e32 v6, v191, v226
	v_add_f32_e32 v63, v63, v202
	s_waitcnt lgkmcnt(0)
	v_mul_f32_e32 v202, v198, v234
	v_fma_f32 v6, v190, v225, -v6
	v_fmac_f32_e32 v202, v199, v233
	v_add_f32_e32 v5, v5, v6
	v_mul_f32_e32 v6, v193, v229
	v_add_f32_e32 v63, v63, v202
	ds_read2_b64 v[202:205], v2 offset0:109 offset1:110
	v_fma_f32 v6, v192, v228, -v6
	v_add_f32_e32 v5, v5, v6
	v_mul_f32_e32 v6, v195, v231
	s_waitcnt vmcnt(20)
	v_mul_f32_e32 v206, v200, v237
	v_fma_f32 v6, v194, v230, -v6
	v_fmac_f32_e32 v206, v201, v236
	v_add_f32_e32 v5, v5, v6
	v_mul_f32_e32 v6, v197, v232
	v_add_f32_e32 v63, v63, v206
	ds_read2_b64 v[206:209], v2 offset0:111 offset1:112
	v_fma_f32 v6, v196, v235, -v6
	s_waitcnt vmcnt(18) lgkmcnt(1)
	v_mul_f32_e32 v210, v202, v239
	v_add_f32_e32 v5, v5, v6
	v_mul_f32_e32 v6, v199, v234
	v_fmac_f32_e32 v210, v203, v238
	v_fma_f32 v6, v198, v233, -v6
	v_add_f32_e32 v63, v63, v210
	s_waitcnt vmcnt(17)
	v_mul_f32_e32 v210, v204, v240
	v_add_f32_e32 v5, v5, v6
	v_mul_f32_e32 v6, v201, v237
	s_waitcnt vmcnt(14)
	v_fmac_f32_e32 v210, v205, v243
	v_fma_f32 v6, v200, v236, -v6
	v_add_f32_e32 v63, v63, v210
	s_waitcnt lgkmcnt(0)
	v_mul_f32_e32 v210, v206, v242
	v_add_f32_e32 v5, v5, v6
	v_mul_f32_e32 v6, v203, v239
	v_fmac_f32_e32 v210, v207, v241
	v_fma_f32 v6, v202, v238, -v6
	v_add_f32_e32 v63, v63, v210
	ds_read2_b64 v[210:213], v2 offset0:113 offset1:114
	v_add_f32_e32 v5, v5, v6
	v_mul_f32_e32 v6, v205, v240
	v_fma_f32 v6, v204, v243, -v6
	v_add_f32_e32 v5, v5, v6
	v_mul_f32_e32 v6, v207, v242
	s_waitcnt vmcnt(12)
	v_mul_f32_e32 v214, v208, v245
	v_fma_f32 v6, v206, v241, -v6
	v_fmac_f32_e32 v214, v209, v244
	v_add_f32_e32 v5, v5, v6
	v_mul_f32_e32 v6, v209, v245
	v_add_f32_e32 v63, v63, v214
	ds_read2_b64 v[214:217], v2 offset0:115 offset1:116
	s_waitcnt vmcnt(10) lgkmcnt(1)
	v_mul_f32_e32 v218, v210, v247
	v_fma_f32 v6, v208, v244, -v6
	v_fmac_f32_e32 v218, v211, v246
	v_add_f32_e32 v5, v5, v6
	v_mul_f32_e32 v6, v211, v247
	v_add_f32_e32 v63, v63, v218
	s_waitcnt vmcnt(9)
	v_mul_f32_e32 v218, v212, v248
	v_fma_f32 v6, v210, v246, -v6
	s_waitcnt vmcnt(6)
	v_fmac_f32_e32 v218, v213, v251
	v_add_f32_e32 v5, v5, v6
	v_mul_f32_e32 v6, v213, v248
	v_add_f32_e32 v63, v63, v218
	ds_read2_b64 v[218:221], v2 offset0:117 offset1:118
	v_fma_f32 v6, v212, v251, -v6
	v_add_f32_e32 v5, v5, v6
	s_waitcnt lgkmcnt(1)
	v_mul_f32_e32 v6, v215, v250
	v_mul_f32_e32 v76, v214, v250
	v_fma_f32 v6, v214, v249, -v6
	v_fmac_f32_e32 v76, v215, v249
	v_add_f32_e32 v5, v5, v6
	s_waitcnt vmcnt(4)
	v_mul_f32_e32 v6, v217, v253
	v_add_f32_e32 v2, v63, v76
	v_mul_f32_e32 v63, v216, v253
	v_fma_f32 v6, v216, v252, -v6
	v_fmac_f32_e32 v63, v217, v252
	v_add_f32_e32 v5, v5, v6
	s_waitcnt vmcnt(3) lgkmcnt(0)
	v_mul_f32_e32 v6, v219, v254
	v_add_f32_e32 v2, v2, v63
	v_mul_f32_e32 v63, v218, v254
	s_waitcnt vmcnt(0)
	v_fma_f32 v6, v218, v75, -v6
	v_fmac_f32_e32 v63, v219, v75
	v_add_f32_e32 v5, v5, v6
	v_mul_f32_e32 v6, v221, v74
	v_add_f32_e32 v2, v2, v63
	v_mul_f32_e32 v63, v220, v74
	v_fma_f32 v6, v220, v255, -v6
	v_fmac_f32_e32 v63, v221, v255
	v_add_f32_e32 v5, v5, v6
	v_add_f32_e32 v2, v2, v63
	v_sub_f32_e32 v3, v3, v5
	v_sub_f32_e32 v2, v4, v2
	buffer_store_dword v3, off, s[0:3], 0 offset:96
	buffer_store_dword v2, off, s[0:3], 0 offset:100
	s_and_saveexec_b64 s[4:5], vcc
	s_cbranch_execz .LBB58_345
; %bb.344:
	buffer_load_dword v2, off, s[0:3], 0 offset:88
	buffer_load_dword v3, off, s[0:3], 0 offset:92
	v_mov_b32_e32 v4, 0
	buffer_store_dword v4, off, s[0:3], 0 offset:88
	buffer_store_dword v4, off, s[0:3], 0 offset:92
	s_waitcnt vmcnt(2)
	ds_write_b64 v1, v[2:3]
.LBB58_345:
	s_or_b64 exec, exec, s[4:5]
	s_waitcnt lgkmcnt(0)
	; wave barrier
	buffer_load_dword v9, off, s[0:3], 0 offset:100
	buffer_load_dword v8, off, s[0:3], 0 offset:108
	;; [unrolled: 1-line block ×40, first 2 shown]
	v_mov_b32_e32 v2, 0
	buffer_load_dword v57, off, s[0:3], 0 offset:248
	buffer_load_dword v58, off, s[0:3], 0 offset:252
	;; [unrolled: 1-line block ×8, first 2 shown]
	ds_read_b128 v[12:15], v2 offset:576
	ds_read_b128 v[16:19], v2 offset:592
	;; [unrolled: 1-line block ×8, first 2 shown]
	v_cmp_lt_u32_e32 vcc, 10, v0
	s_waitcnt vmcnt(47) lgkmcnt(7)
	v_mul_f32_e32 v24, v12, v9
	s_waitcnt vmcnt(46)
	v_mul_f32_e32 v25, v14, v8
	s_waitcnt vmcnt(45) lgkmcnt(6)
	v_mul_f32_e32 v65, v16, v7
	s_waitcnt vmcnt(44)
	v_mul_f32_e32 v66, v18, v6
	;; [unrolled: 4-line block ×6, first 2 shown]
	s_waitcnt vmcnt(35)
	v_fmac_f32_e32 v65, v17, v31
	s_waitcnt vmcnt(34)
	v_fmac_f32_e32 v25, v15, v32
	;; [unrolled: 2-line block ×3, first 2 shown]
	v_add_f32_e32 v24, 0, v24
	v_add_f32_e32 v24, v24, v25
	;; [unrolled: 1-line block ×3, first 2 shown]
	s_waitcnt vmcnt(29)
	v_fmac_f32_e32 v66, v19, v37
	v_fmac_f32_e32 v67, v21, v36
	v_add_f32_e32 v24, v24, v66
	v_fmac_f32_e32 v68, v23, v35
	v_add_f32_e32 v24, v24, v67
	buffer_load_dword v65, off, s[0:3], 0 offset:280
	buffer_load_dword v66, off, s[0:3], 0 offset:284
	v_fmac_f32_e32 v69, v143, v34
	v_add_f32_e32 v24, v24, v68
	s_waitcnt vmcnt(27)
	v_fmac_f32_e32 v70, v145, v41
	v_add_f32_e32 v24, v24, v69
	v_fmac_f32_e32 v71, v147, v40
	v_add_f32_e32 v24, v24, v70
	v_fmac_f32_e32 v72, v149, v39
	v_add_f32_e32 v24, v24, v71
	v_add_f32_e32 v24, v24, v72
	buffer_load_dword v67, off, s[0:3], 0 offset:288
	buffer_load_dword v68, off, s[0:3], 0 offset:292
	;; [unrolled: 1-line block ×6, first 2 shown]
	v_fmac_f32_e32 v73, v151, v38
	s_waitcnt vmcnt(29)
	v_fmac_f32_e32 v74, v153, v45
	v_add_f32_e32 v24, v24, v73
	v_add_f32_e32 v24, v24, v74
	buffer_load_dword v73, off, s[0:3], 0 offset:312
	buffer_load_dword v74, off, s[0:3], 0 offset:316
	ds_read_b128 v[162:165], v2 offset:704
	buffer_load_dword v75, off, s[0:3], 0 offset:320
	buffer_load_dword v76, off, s[0:3], 0 offset:324
	;; [unrolled: 1-line block ×6, first 2 shown]
	ds_read_b128 v[166:169], v2 offset:720
	buffer_load_dword v225, off, s[0:3], 0 offset:344
	buffer_load_dword v226, off, s[0:3], 0 offset:348
	;; [unrolled: 1-line block ×10, first 2 shown]
	ds_read_b128 v[170:173], v2 offset:736
	buffer_load_dword v235, off, s[0:3], 0 offset:384
	buffer_load_dword v236, off, s[0:3], 0 offset:388
	;; [unrolled: 1-line block ×6, first 2 shown]
	ds_read_b128 v[174:177], v2 offset:752
	buffer_load_dword v241, off, s[0:3], 0 offset:408
	buffer_load_dword v242, off, s[0:3], 0 offset:412
	;; [unrolled: 1-line block ×10, first 2 shown]
	v_mul_f32_e32 v9, v13, v9
	v_fma_f32 v9, v12, v33, -v9
	v_mul_f32_e32 v8, v15, v8
	v_add_f32_e32 v9, 0, v9
	v_fma_f32 v8, v14, v32, -v8
	v_mul_f32_e32 v7, v17, v7
	v_add_f32_e32 v8, v9, v8
	;; [unrolled: 3-line block ×3, first 2 shown]
	v_fma_f32 v6, v18, v37, -v6
	v_mul_f32_e32 v5, v21, v5
	buffer_load_dword v251, off, s[0:3], 0 offset:448
	buffer_load_dword v252, off, s[0:3], 0 offset:452
	buffer_load_dword v253, off, s[0:3], 0 offset:460
	buffer_load_dword v254, off, s[0:3], 0 offset:464
	buffer_load_dword v255, off, s[0:3], 0 offset:468
	buffer_load_dword v78, off, s[0:3], 0 offset:456
	v_add_f32_e32 v6, v7, v6
	v_fma_f32 v5, v20, v36, -v5
	v_mul_f32_e32 v4, v23, v4
	v_add_f32_e32 v5, v6, v5
	v_fma_f32 v4, v22, v35, -v4
	v_mul_f32_e32 v3, v143, v3
	v_add_f32_e32 v4, v5, v4
	v_fma_f32 v3, v142, v34, -v3
	v_add_f32_e32 v3, v4, v3
	v_mul_f32_e32 v4, v145, v26
	v_fma_f32 v4, v144, v41, -v4
	v_add_f32_e32 v3, v3, v4
	v_mul_f32_e32 v4, v147, v27
	;; [unrolled: 3-line block ×5, first 2 shown]
	s_waitcnt vmcnt(62) lgkmcnt(5)
	v_mul_f32_e32 v25, v154, v46
	v_fma_f32 v4, v152, v45, -v4
	v_fmac_f32_e32 v25, v155, v44
	v_add_f32_e32 v3, v3, v4
	v_mul_f32_e32 v4, v155, v46
	v_add_f32_e32 v24, v24, v25
	v_mul_f32_e32 v25, v156, v47
	v_fma_f32 v4, v154, v44, -v4
	v_fmac_f32_e32 v25, v157, v43
	v_add_f32_e32 v3, v3, v4
	v_mul_f32_e32 v4, v157, v47
	v_add_f32_e32 v24, v24, v25
	s_waitcnt lgkmcnt(4)
	v_mul_f32_e32 v25, v158, v48
	v_fma_f32 v4, v156, v43, -v4
	v_fmac_f32_e32 v25, v159, v42
	v_add_f32_e32 v3, v3, v4
	v_mul_f32_e32 v4, v159, v48
	v_add_f32_e32 v24, v24, v25
	v_mul_f32_e32 v25, v160, v49
	v_fma_f32 v4, v158, v42, -v4
	s_waitcnt vmcnt(58)
	v_fmac_f32_e32 v25, v161, v56
	v_add_f32_e32 v3, v3, v4
	v_mul_f32_e32 v4, v161, v49
	v_add_f32_e32 v24, v24, v25
	s_waitcnt lgkmcnt(3)
	v_mul_f32_e32 v25, v162, v51
	v_fma_f32 v4, v160, v56, -v4
	v_fmac_f32_e32 v25, v163, v50
	v_add_f32_e32 v3, v3, v4
	v_mul_f32_e32 v4, v163, v51
	v_add_f32_e32 v24, v24, v25
	v_mul_f32_e32 v25, v164, v53
	v_fma_f32 v4, v162, v50, -v4
	v_fmac_f32_e32 v25, v165, v52
	v_add_f32_e32 v3, v3, v4
	v_mul_f32_e32 v4, v165, v53
	v_add_f32_e32 v24, v24, v25
	s_waitcnt lgkmcnt(2)
	v_mul_f32_e32 v25, v166, v55
	v_fma_f32 v4, v164, v52, -v4
	v_fmac_f32_e32 v25, v167, v54
	v_add_f32_e32 v3, v3, v4
	v_mul_f32_e32 v4, v167, v55
	v_add_f32_e32 v24, v24, v25
	s_waitcnt vmcnt(54)
	v_mul_f32_e32 v25, v168, v58
	v_fma_f32 v4, v166, v54, -v4
	v_fmac_f32_e32 v25, v169, v57
	v_add_f32_e32 v3, v3, v4
	v_mul_f32_e32 v4, v169, v58
	v_add_f32_e32 v24, v24, v25
	s_waitcnt vmcnt(52) lgkmcnt(1)
	v_mul_f32_e32 v25, v170, v60
	v_fma_f32 v4, v168, v57, -v4
	v_fmac_f32_e32 v25, v171, v59
	v_add_f32_e32 v3, v3, v4
	v_mul_f32_e32 v4, v171, v60
	v_add_f32_e32 v24, v24, v25
	s_waitcnt vmcnt(50)
	v_mul_f32_e32 v25, v172, v62
	v_fma_f32 v4, v170, v59, -v4
	v_fmac_f32_e32 v25, v173, v61
	ds_read_b128 v[178:181], v2 offset:768
	ds_read_b128 v[182:185], v2 offset:784
	v_add_f32_e32 v3, v3, v4
	v_mul_f32_e32 v4, v173, v62
	v_add_f32_e32 v24, v24, v25
	s_waitcnt vmcnt(48) lgkmcnt(2)
	v_mul_f32_e32 v25, v174, v64
	v_fma_f32 v4, v172, v61, -v4
	v_fmac_f32_e32 v25, v175, v63
	v_add_f32_e32 v3, v3, v4
	v_mul_f32_e32 v4, v175, v64
	v_add_f32_e32 v24, v24, v25
	s_waitcnt vmcnt(46)
	v_mul_f32_e32 v25, v176, v66
	v_fma_f32 v4, v174, v63, -v4
	v_fmac_f32_e32 v25, v177, v65
	v_add_f32_e32 v3, v3, v4
	v_mul_f32_e32 v4, v177, v66
	v_add_f32_e32 v24, v24, v25
	s_waitcnt vmcnt(44) lgkmcnt(1)
	v_mul_f32_e32 v25, v178, v68
	v_fma_f32 v4, v176, v65, -v4
	v_fmac_f32_e32 v25, v179, v67
	v_add_f32_e32 v3, v3, v4
	v_mul_f32_e32 v4, v179, v68
	v_add_f32_e32 v24, v24, v25
	s_waitcnt vmcnt(43)
	v_mul_f32_e32 v25, v180, v69
	v_fma_f32 v4, v178, v67, -v4
	s_waitcnt vmcnt(40)
	v_fmac_f32_e32 v25, v181, v72
	ds_read_b128 v[186:189], v2 offset:800
	ds_read_b128 v[190:193], v2 offset:816
	v_add_f32_e32 v3, v3, v4
	v_mul_f32_e32 v4, v181, v69
	v_add_f32_e32 v24, v24, v25
	s_waitcnt lgkmcnt(2)
	v_mul_f32_e32 v25, v182, v71
	v_fma_f32 v4, v180, v72, -v4
	v_fmac_f32_e32 v25, v183, v70
	v_add_f32_e32 v3, v3, v4
	v_mul_f32_e32 v4, v183, v71
	v_add_f32_e32 v24, v24, v25
	s_waitcnt vmcnt(38)
	v_mul_f32_e32 v25, v184, v74
	v_fma_f32 v4, v182, v70, -v4
	v_fmac_f32_e32 v25, v185, v73
	v_add_f32_e32 v3, v3, v4
	v_mul_f32_e32 v4, v185, v74
	v_add_f32_e32 v24, v24, v25
	s_waitcnt vmcnt(36) lgkmcnt(1)
	v_mul_f32_e32 v25, v186, v76
	v_fma_f32 v4, v184, v73, -v4
	v_fmac_f32_e32 v25, v187, v75
	v_add_f32_e32 v3, v3, v4
	v_mul_f32_e32 v4, v187, v76
	v_add_f32_e32 v24, v24, v25
	s_waitcnt vmcnt(35)
	v_mul_f32_e32 v25, v188, v77
	v_fma_f32 v4, v186, v75, -v4
	s_waitcnt vmcnt(32)
	v_fmac_f32_e32 v25, v189, v224
	ds_read_b128 v[194:197], v2 offset:832
	ds_read_b128 v[198:201], v2 offset:848
	v_add_f32_e32 v3, v3, v4
	v_mul_f32_e32 v4, v189, v77
	v_add_f32_e32 v24, v24, v25
	s_waitcnt lgkmcnt(2)
	;; [unrolled: 31-line block ×4, first 2 shown]
	v_mul_f32_e32 v25, v206, v239
	v_fma_f32 v4, v204, v240, -v4
	v_fmac_f32_e32 v25, v207, v238
	v_add_f32_e32 v3, v3, v4
	v_mul_f32_e32 v4, v207, v239
	v_add_f32_e32 v24, v24, v25
	s_waitcnt vmcnt(14)
	v_mul_f32_e32 v25, v208, v242
	v_fma_f32 v4, v206, v238, -v4
	v_fmac_f32_e32 v25, v209, v241
	v_add_f32_e32 v3, v3, v4
	v_mul_f32_e32 v4, v209, v242
	v_add_f32_e32 v24, v24, v25
	s_waitcnt vmcnt(12) lgkmcnt(1)
	v_mul_f32_e32 v25, v210, v244
	v_fma_f32 v4, v208, v241, -v4
	v_fmac_f32_e32 v25, v211, v243
	v_add_f32_e32 v3, v3, v4
	v_mul_f32_e32 v4, v211, v244
	v_add_f32_e32 v24, v24, v25
	s_waitcnt vmcnt(11)
	v_mul_f32_e32 v25, v212, v245
	v_fma_f32 v4, v210, v243, -v4
	s_waitcnt vmcnt(8)
	v_fmac_f32_e32 v25, v213, v248
	v_add_f32_e32 v3, v3, v4
	v_mul_f32_e32 v4, v213, v245
	v_add_f32_e32 v24, v24, v25
	s_waitcnt lgkmcnt(0)
	v_mul_f32_e32 v25, v214, v247
	ds_read_b128 v[218:221], v2 offset:928
	v_fma_f32 v4, v212, v248, -v4
	v_fmac_f32_e32 v25, v215, v246
	v_add_f32_e32 v3, v3, v4
	v_mul_f32_e32 v4, v215, v247
	v_add_f32_e32 v24, v24, v25
	s_waitcnt vmcnt(6)
	v_mul_f32_e32 v25, v216, v250
	v_fma_f32 v4, v214, v246, -v4
	v_fmac_f32_e32 v25, v217, v249
	v_add_f32_e32 v3, v3, v4
	v_mul_f32_e32 v4, v217, v250
	v_add_f32_e32 v79, v24, v25
	ds_read_b64 v[24:25], v2 offset:944
	v_fma_f32 v4, v216, v249, -v4
	v_add_f32_e32 v3, v3, v4
	s_waitcnt vmcnt(4) lgkmcnt(1)
	v_mul_f32_e32 v4, v219, v252
	v_mul_f32_e32 v80, v218, v252
	v_fma_f32 v4, v218, v251, -v4
	v_fmac_f32_e32 v80, v219, v251
	v_add_f32_e32 v3, v3, v4
	s_waitcnt vmcnt(3)
	v_mul_f32_e32 v4, v221, v253
	v_add_f32_e32 v79, v79, v80
	v_mul_f32_e32 v80, v220, v253
	s_waitcnt vmcnt(0)
	v_fma_f32 v4, v220, v78, -v4
	v_fmac_f32_e32 v80, v221, v78
	v_add_f32_e32 v3, v3, v4
	s_waitcnt lgkmcnt(0)
	v_mul_f32_e32 v4, v25, v255
	v_add_f32_e32 v79, v79, v80
	v_mul_f32_e32 v80, v24, v255
	v_fma_f32 v4, v24, v254, -v4
	v_fmac_f32_e32 v80, v25, v254
	v_add_f32_e32 v3, v3, v4
	v_add_f32_e32 v79, v79, v80
	v_sub_f32_e32 v3, v10, v3
	v_sub_f32_e32 v4, v11, v79
	buffer_store_dword v3, off, s[0:3], 0 offset:88
	buffer_store_dword v4, off, s[0:3], 0 offset:92
	s_and_saveexec_b64 s[4:5], vcc
	s_cbranch_execz .LBB58_347
; %bb.346:
	buffer_load_dword v3, off, s[0:3], 0 offset:80
	buffer_load_dword v4, off, s[0:3], 0 offset:84
	s_waitcnt vmcnt(0)
	ds_write_b64 v1, v[3:4]
	buffer_store_dword v2, off, s[0:3], 0 offset:80
	buffer_store_dword v2, off, s[0:3], 0 offset:84
.LBB58_347:
	s_or_b64 exec, exec, s[4:5]
	s_waitcnt lgkmcnt(0)
	; wave barrier
	buffer_load_dword v9, off, s[0:3], 0 offset:92
	buffer_load_dword v8, off, s[0:3], 0 offset:100
	;; [unrolled: 1-line block ×40, first 2 shown]
	ds_read2_b64 v[158:161], v2 offset0:71 offset1:72
	ds_read2_b64 v[162:165], v2 offset0:73 offset1:74
	;; [unrolled: 1-line block ×7, first 2 shown]
	buffer_load_dword v27, off, s[0:3], 0 offset:240
	buffer_load_dword v28, off, s[0:3], 0 offset:244
	;; [unrolled: 1-line block ×8, first 2 shown]
	v_cmp_lt_u32_e32 vcc, 9, v0
	s_waitcnt vmcnt(47) lgkmcnt(6)
	v_mul_f32_e32 v35, v158, v9
	s_waitcnt vmcnt(46)
	v_mul_f32_e32 v36, v160, v8
	s_waitcnt vmcnt(45) lgkmcnt(5)
	v_mul_f32_e32 v37, v162, v7
	s_waitcnt vmcnt(44)
	v_mul_f32_e32 v38, v164, v6
	;; [unrolled: 4-line block ×6, first 2 shown]
	s_waitcnt vmcnt(35)
	v_fmac_f32_e32 v37, v163, v22
	s_waitcnt vmcnt(34)
	v_fmac_f32_e32 v36, v161, v143
	;; [unrolled: 2-line block ×3, first 2 shown]
	v_add_f32_e32 v35, 0, v35
	v_add_f32_e32 v35, v35, v36
	;; [unrolled: 1-line block ×3, first 2 shown]
	buffer_load_dword v36, off, s[0:3], 0 offset:272
	buffer_load_dword v37, off, s[0:3], 0 offset:276
	s_waitcnt vmcnt(31)
	v_fmac_f32_e32 v38, v165, v145
	v_fmac_f32_e32 v39, v167, v142
	v_add_f32_e32 v35, v35, v38
	v_fmac_f32_e32 v40, v169, v21
	v_add_f32_e32 v35, v35, v39
	;; [unrolled: 2-line block ×3, first 2 shown]
	s_waitcnt vmcnt(27)
	v_fmac_f32_e32 v42, v173, v23
	v_add_f32_e32 v35, v35, v41
	v_fmac_f32_e32 v43, v175, v20
	v_add_f32_e32 v35, v35, v42
	v_fmac_f32_e32 v44, v177, v18
	v_add_f32_e32 v35, v35, v43
	v_fmac_f32_e32 v45, v179, v17
	v_add_f32_e32 v35, v35, v44
	ds_read2_b64 v[186:189], v2 offset0:85 offset1:86
	s_waitcnt vmcnt(23)
	v_fmac_f32_e32 v46, v181, v153
	v_add_f32_e32 v35, v35, v45
	s_waitcnt vmcnt(22) lgkmcnt(1)
	v_mul_f32_e32 v38, v182, v152
	v_add_f32_e32 v35, v35, v46
	v_fmac_f32_e32 v38, v183, v149
	v_add_f32_e32 v35, v35, v38
	s_waitcnt vmcnt(21)
	v_mul_f32_e32 v38, v184, v150
	v_fmac_f32_e32 v38, v185, v147
	v_add_f32_e32 v35, v35, v38
	s_waitcnt vmcnt(20) lgkmcnt(0)
	v_mul_f32_e32 v38, v186, v148
	v_fmac_f32_e32 v38, v187, v144
	v_add_f32_e32 v35, v35, v38
	buffer_load_dword v38, off, s[0:3], 0 offset:280
	buffer_load_dword v39, off, s[0:3], 0 offset:284
	;; [unrolled: 1-line block ×6, first 2 shown]
	s_waitcnt vmcnt(25)
	v_mul_f32_e32 v44, v188, v151
	s_waitcnt vmcnt(18)
	v_fmac_f32_e32 v44, v189, v26
	ds_read2_b64 v[190:193], v2 offset0:87 offset1:88
	v_add_f32_e32 v35, v35, v44
	buffer_load_dword v44, off, s[0:3], 0 offset:304
	buffer_load_dword v45, off, s[0:3], 0 offset:308
	ds_read2_b64 v[194:197], v2 offset0:89 offset1:90
	buffer_load_dword v47, off, s[0:3], 0 offset:312
	buffer_load_dword v48, off, s[0:3], 0 offset:316
	;; [unrolled: 1-line block ×14, first 2 shown]
	s_waitcnt lgkmcnt(1)
	v_mul_f32_e32 v46, v190, v155
	v_fmac_f32_e32 v46, v191, v154
	v_add_f32_e32 v35, v35, v46
	v_mul_f32_e32 v46, v192, v157
	buffer_load_dword v61, off, s[0:3], 0 offset:368
	buffer_load_dword v62, off, s[0:3], 0 offset:372
	v_fmac_f32_e32 v46, v193, v156
	v_add_f32_e32 v35, v35, v46
	s_waitcnt lgkmcnt(0)
	v_mul_f32_e32 v46, v194, v25
	v_fmac_f32_e32 v46, v195, v24
	v_add_f32_e32 v35, v35, v46
	s_waitcnt vmcnt(32)
	v_mul_f32_e32 v46, v196, v28
	ds_read2_b64 v[198:201], v2 offset0:91 offset1:92
	v_fmac_f32_e32 v46, v197, v27
	v_add_f32_e32 v35, v35, v46
	buffer_load_dword v46, off, s[0:3], 0 offset:376
	buffer_load_dword v63, off, s[0:3], 0 offset:380
	;; [unrolled: 1-line block ×6, first 2 shown]
	ds_read2_b64 v[202:205], v2 offset0:93 offset1:94
	s_waitcnt vmcnt(36) lgkmcnt(1)
	v_mul_f32_e32 v68, v198, v30
	v_fmac_f32_e32 v68, v199, v29
	v_add_f32_e32 v35, v35, v68
	buffer_load_dword v68, off, s[0:3], 0 offset:400
	buffer_load_dword v69, off, s[0:3], 0 offset:404
	;; [unrolled: 1-line block ×8, first 2 shown]
	s_waitcnt vmcnt(42)
	v_mul_f32_e32 v70, v200, v32
	v_fmac_f32_e32 v70, v201, v31
	v_add_f32_e32 v35, v35, v70
	s_waitcnt vmcnt(40) lgkmcnt(0)
	v_mul_f32_e32 v70, v202, v34
	v_fmac_f32_e32 v70, v203, v33
	v_add_f32_e32 v35, v35, v70
	buffer_load_dword v70, off, s[0:3], 0 offset:432
	buffer_load_dword v77, off, s[0:3], 0 offset:436
	v_mul_f32_e32 v9, v159, v9
	v_fma_f32 v9, v158, v146, -v9
	v_mul_f32_e32 v8, v161, v8
	v_add_f32_e32 v9, 0, v9
	v_fma_f32 v8, v160, v143, -v8
	v_mul_f32_e32 v7, v163, v7
	v_add_f32_e32 v8, v9, v8
	;; [unrolled: 3-line block ×3, first 2 shown]
	v_fma_f32 v6, v164, v145, -v6
	v_mul_f32_e32 v5, v167, v5
	buffer_load_dword v79, off, s[0:3], 0 offset:440
	buffer_load_dword v80, off, s[0:3], 0 offset:444
	;; [unrolled: 1-line block ×6, first 2 shown]
	v_add_f32_e32 v6, v7, v6
	v_fma_f32 v5, v166, v142, -v5
	v_mul_f32_e32 v4, v169, v4
	s_waitcnt vmcnt(46)
	v_mul_f32_e32 v78, v204, v37
	v_add_f32_e32 v5, v6, v5
	v_fma_f32 v4, v168, v21, -v4
	v_mul_f32_e32 v3, v171, v3
	v_fmac_f32_e32 v78, v205, v36
	v_add_f32_e32 v4, v5, v4
	v_fma_f32 v3, v170, v19, -v3
	ds_read2_b64 v[206:209], v2 offset0:95 offset1:96
	ds_read2_b64 v[210:213], v2 offset0:97 offset1:98
	v_add_f32_e32 v35, v35, v78
	buffer_load_dword v78, off, s[0:3], 0 offset:464
	buffer_load_dword v83, off, s[0:3], 0 offset:468
	v_add_f32_e32 v3, v4, v3
	v_mul_f32_e32 v4, v173, v12
	v_fma_f32 v4, v172, v23, -v4
	v_add_f32_e32 v3, v3, v4
	v_mul_f32_e32 v4, v175, v13
	v_fma_f32 v4, v174, v20, -v4
	;; [unrolled: 3-line block ×9, first 2 shown]
	v_add_f32_e32 v3, v3, v4
	v_mul_f32_e32 v4, v191, v155
	s_waitcnt vmcnt(46) lgkmcnt(1)
	v_mul_f32_e32 v214, v206, v39
	v_fma_f32 v4, v190, v154, -v4
	v_fmac_f32_e32 v214, v207, v38
	v_add_f32_e32 v3, v3, v4
	v_mul_f32_e32 v4, v193, v157
	v_add_f32_e32 v35, v35, v214
	s_waitcnt vmcnt(45)
	v_mul_f32_e32 v214, v208, v40
	v_fma_f32 v4, v192, v156, -v4
	s_waitcnt vmcnt(42)
	v_fmac_f32_e32 v214, v209, v43
	v_add_f32_e32 v3, v3, v4
	v_mul_f32_e32 v4, v195, v25
	v_add_f32_e32 v35, v35, v214
	s_waitcnt lgkmcnt(0)
	v_mul_f32_e32 v214, v210, v42
	v_fma_f32 v4, v194, v24, -v4
	v_fmac_f32_e32 v214, v211, v41
	v_add_f32_e32 v3, v3, v4
	v_mul_f32_e32 v4, v197, v28
	v_add_f32_e32 v35, v35, v214
	ds_read2_b64 v[214:217], v2 offset0:99 offset1:100
	v_fma_f32 v4, v196, v27, -v4
	v_add_f32_e32 v3, v3, v4
	v_mul_f32_e32 v4, v199, v30
	s_waitcnt vmcnt(40)
	v_mul_f32_e32 v218, v212, v45
	v_fma_f32 v4, v198, v29, -v4
	v_fmac_f32_e32 v218, v213, v44
	v_add_f32_e32 v3, v3, v4
	v_mul_f32_e32 v4, v201, v32
	v_add_f32_e32 v35, v35, v218
	ds_read2_b64 v[218:221], v2 offset0:101 offset1:102
	v_fma_f32 v4, v200, v31, -v4
	s_waitcnt vmcnt(38) lgkmcnt(1)
	v_mul_f32_e32 v222, v214, v48
	v_add_f32_e32 v3, v3, v4
	v_mul_f32_e32 v4, v203, v34
	v_fmac_f32_e32 v222, v215, v47
	v_fma_f32 v4, v202, v33, -v4
	v_add_f32_e32 v35, v35, v222
	s_waitcnt vmcnt(37)
	v_mul_f32_e32 v222, v216, v49
	v_add_f32_e32 v3, v3, v4
	v_mul_f32_e32 v4, v205, v37
	s_waitcnt vmcnt(34)
	v_fmac_f32_e32 v222, v217, v52
	v_fma_f32 v4, v204, v36, -v4
	v_add_f32_e32 v35, v35, v222
	s_waitcnt lgkmcnt(0)
	v_mul_f32_e32 v222, v218, v51
	v_add_f32_e32 v3, v3, v4
	v_mul_f32_e32 v4, v207, v39
	v_fmac_f32_e32 v222, v219, v50
	v_fma_f32 v4, v206, v38, -v4
	v_add_f32_e32 v35, v35, v222
	ds_read2_b64 v[222:225], v2 offset0:103 offset1:104
	v_add_f32_e32 v3, v3, v4
	v_mul_f32_e32 v4, v209, v40
	v_fma_f32 v4, v208, v43, -v4
	s_waitcnt vmcnt(32)
	v_mul_f32_e32 v226, v220, v54
	v_add_f32_e32 v3, v3, v4
	v_mul_f32_e32 v4, v211, v42
	v_fmac_f32_e32 v226, v221, v53
	v_fma_f32 v4, v210, v41, -v4
	v_add_f32_e32 v35, v35, v226
	ds_read2_b64 v[226:229], v2 offset0:105 offset1:106
	v_add_f32_e32 v3, v3, v4
	v_mul_f32_e32 v4, v213, v45
	s_waitcnt vmcnt(30) lgkmcnt(1)
	v_mul_f32_e32 v230, v222, v56
	v_fma_f32 v4, v212, v44, -v4
	v_fmac_f32_e32 v230, v223, v55
	v_add_f32_e32 v3, v3, v4
	v_mul_f32_e32 v4, v215, v48
	v_add_f32_e32 v35, v35, v230
	s_waitcnt vmcnt(29)
	v_mul_f32_e32 v230, v224, v57
	v_fma_f32 v4, v214, v47, -v4
	s_waitcnt vmcnt(26)
	v_fmac_f32_e32 v230, v225, v60
	v_add_f32_e32 v3, v3, v4
	v_mul_f32_e32 v4, v217, v49
	v_add_f32_e32 v35, v35, v230
	s_waitcnt lgkmcnt(0)
	v_mul_f32_e32 v230, v226, v59
	v_fma_f32 v4, v216, v52, -v4
	v_fmac_f32_e32 v230, v227, v58
	v_add_f32_e32 v3, v3, v4
	v_mul_f32_e32 v4, v219, v51
	v_add_f32_e32 v35, v35, v230
	ds_read2_b64 v[230:233], v2 offset0:107 offset1:108
	v_fma_f32 v4, v218, v50, -v4
	v_add_f32_e32 v3, v3, v4
	v_mul_f32_e32 v4, v221, v54
	s_waitcnt vmcnt(24)
	v_mul_f32_e32 v234, v228, v62
	v_fma_f32 v4, v220, v53, -v4
	v_fmac_f32_e32 v234, v229, v61
	v_add_f32_e32 v3, v3, v4
	v_mul_f32_e32 v4, v223, v56
	v_add_f32_e32 v35, v35, v234
	ds_read2_b64 v[234:237], v2 offset0:109 offset1:110
	v_fma_f32 v4, v222, v55, -v4
	s_waitcnt vmcnt(22) lgkmcnt(1)
	v_mul_f32_e32 v238, v230, v63
	v_add_f32_e32 v3, v3, v4
	v_mul_f32_e32 v4, v225, v57
	v_fmac_f32_e32 v238, v231, v46
	v_fma_f32 v4, v224, v60, -v4
	v_add_f32_e32 v35, v35, v238
	s_waitcnt vmcnt(21)
	v_mul_f32_e32 v238, v232, v64
	v_add_f32_e32 v3, v3, v4
	v_mul_f32_e32 v4, v227, v59
	s_waitcnt vmcnt(18)
	v_fmac_f32_e32 v238, v233, v67
	v_fma_f32 v4, v226, v58, -v4
	v_add_f32_e32 v35, v35, v238
	s_waitcnt lgkmcnt(0)
	v_mul_f32_e32 v238, v234, v66
	v_add_f32_e32 v3, v3, v4
	v_mul_f32_e32 v4, v229, v62
	v_fmac_f32_e32 v238, v235, v65
	v_fma_f32 v4, v228, v61, -v4
	v_add_f32_e32 v35, v35, v238
	ds_read2_b64 v[238:241], v2 offset0:111 offset1:112
	v_add_f32_e32 v3, v3, v4
	v_mul_f32_e32 v4, v231, v63
	v_fma_f32 v4, v230, v46, -v4
	s_waitcnt vmcnt(16)
	v_mul_f32_e32 v242, v236, v69
	v_add_f32_e32 v3, v3, v4
	v_mul_f32_e32 v4, v233, v64
	v_fmac_f32_e32 v242, v237, v68
	v_fma_f32 v4, v232, v67, -v4
	v_add_f32_e32 v35, v35, v242
	ds_read2_b64 v[242:245], v2 offset0:113 offset1:114
	v_add_f32_e32 v3, v3, v4
	v_mul_f32_e32 v4, v235, v66
	s_waitcnt vmcnt(14) lgkmcnt(1)
	v_mul_f32_e32 v246, v238, v72
	v_fma_f32 v4, v234, v65, -v4
	v_fmac_f32_e32 v246, v239, v71
	v_add_f32_e32 v3, v3, v4
	v_mul_f32_e32 v4, v237, v69
	v_add_f32_e32 v35, v35, v246
	s_waitcnt vmcnt(13)
	v_mul_f32_e32 v246, v240, v73
	v_fma_f32 v4, v236, v68, -v4
	s_waitcnt vmcnt(10)
	v_fmac_f32_e32 v246, v241, v76
	v_add_f32_e32 v3, v3, v4
	v_mul_f32_e32 v4, v239, v72
	v_add_f32_e32 v35, v35, v246
	s_waitcnt lgkmcnt(0)
	v_mul_f32_e32 v246, v242, v75
	v_fma_f32 v4, v238, v71, -v4
	v_fmac_f32_e32 v246, v243, v74
	v_add_f32_e32 v3, v3, v4
	v_mul_f32_e32 v4, v241, v73
	v_add_f32_e32 v35, v35, v246
	ds_read2_b64 v[246:249], v2 offset0:115 offset1:116
	v_fma_f32 v4, v240, v76, -v4
	v_add_f32_e32 v3, v3, v4
	v_mul_f32_e32 v4, v243, v75
	s_waitcnt vmcnt(8)
	v_mul_f32_e32 v250, v244, v77
	v_fma_f32 v4, v242, v74, -v4
	v_fmac_f32_e32 v250, v245, v70
	v_add_f32_e32 v3, v3, v4
	v_mul_f32_e32 v4, v245, v77
	v_add_f32_e32 v35, v35, v250
	ds_read2_b64 v[250:253], v2 offset0:117 offset1:118
	v_fma_f32 v4, v244, v70, -v4
	v_add_f32_e32 v3, v3, v4
	s_waitcnt vmcnt(6) lgkmcnt(1)
	v_mul_f32_e32 v4, v247, v80
	v_mul_f32_e32 v2, v246, v80
	v_fma_f32 v4, v246, v79, -v4
	v_fmac_f32_e32 v2, v247, v79
	v_add_f32_e32 v3, v3, v4
	s_waitcnt vmcnt(5)
	v_mul_f32_e32 v4, v249, v81
	v_add_f32_e32 v2, v35, v2
	v_mul_f32_e32 v35, v248, v81
	s_waitcnt vmcnt(2)
	v_fma_f32 v4, v248, v82, -v4
	v_fmac_f32_e32 v35, v249, v82
	v_add_f32_e32 v3, v3, v4
	s_waitcnt lgkmcnt(0)
	v_mul_f32_e32 v4, v251, v255
	v_add_f32_e32 v2, v2, v35
	v_mul_f32_e32 v35, v250, v255
	v_fma_f32 v4, v250, v254, -v4
	v_fmac_f32_e32 v35, v251, v254
	v_add_f32_e32 v3, v3, v4
	s_waitcnt vmcnt(0)
	v_mul_f32_e32 v4, v253, v83
	v_add_f32_e32 v2, v2, v35
	v_mul_f32_e32 v35, v252, v83
	v_fma_f32 v4, v252, v78, -v4
	v_fmac_f32_e32 v35, v253, v78
	v_add_f32_e32 v3, v3, v4
	v_add_f32_e32 v2, v2, v35
	v_sub_f32_e32 v3, v10, v3
	v_sub_f32_e32 v2, v11, v2
	buffer_store_dword v3, off, s[0:3], 0 offset:80
	buffer_store_dword v2, off, s[0:3], 0 offset:84
	s_and_saveexec_b64 s[4:5], vcc
	s_cbranch_execz .LBB58_349
; %bb.348:
	buffer_load_dword v2, off, s[0:3], 0 offset:72
	buffer_load_dword v3, off, s[0:3], 0 offset:76
	v_mov_b32_e32 v4, 0
	buffer_store_dword v4, off, s[0:3], 0 offset:72
	buffer_store_dword v4, off, s[0:3], 0 offset:76
	s_waitcnt vmcnt(2)
	ds_write_b64 v1, v[2:3]
.LBB58_349:
	s_or_b64 exec, exec, s[4:5]
	s_waitcnt lgkmcnt(0)
	; wave barrier
	buffer_load_dword v9, off, s[0:3], 0 offset:84
	buffer_load_dword v8, off, s[0:3], 0 offset:92
	;; [unrolled: 1-line block ×40, first 2 shown]
	v_mov_b32_e32 v2, 0
	buffer_load_dword v53, off, s[0:3], 0 offset:232
	buffer_load_dword v54, off, s[0:3], 0 offset:236
	;; [unrolled: 1-line block ×10, first 2 shown]
	ds_read_b128 v[16:19], v2 offset:560
	ds_read_b128 v[20:23], v2 offset:576
	;; [unrolled: 1-line block ×8, first 2 shown]
	v_cmp_lt_u32_e32 vcc, 8, v0
	s_waitcnt vmcnt(49) lgkmcnt(7)
	v_mul_f32_e32 v24, v16, v9
	s_waitcnt vmcnt(48)
	v_mul_f32_e32 v25, v18, v8
	s_waitcnt vmcnt(47) lgkmcnt(6)
	v_mul_f32_e32 v63, v20, v7
	s_waitcnt vmcnt(46)
	v_mul_f32_e32 v64, v22, v6
	;; [unrolled: 4-line block ×5, first 2 shown]
	s_waitcnt vmcnt(39) lgkmcnt(2)
	v_mul_f32_e32 v71, v154, v15
	s_waitcnt vmcnt(38)
	v_fmac_f32_e32 v63, v21, v26
	s_waitcnt vmcnt(37)
	v_fmac_f32_e32 v25, v19, v27
	;; [unrolled: 2-line block ×3, first 2 shown]
	v_add_f32_e32 v24, 0, v24
	v_add_f32_e32 v24, v24, v25
	;; [unrolled: 1-line block ×3, first 2 shown]
	s_waitcnt vmcnt(32)
	v_fmac_f32_e32 v64, v23, v32
	v_fmac_f32_e32 v65, v143, v31
	v_add_f32_e32 v24, v24, v64
	v_fmac_f32_e32 v66, v145, v30
	v_add_f32_e32 v24, v24, v65
	buffer_load_dword v63, off, s[0:3], 0 offset:272
	buffer_load_dword v64, off, s[0:3], 0 offset:276
	v_fmac_f32_e32 v67, v147, v29
	v_add_f32_e32 v24, v24, v66
	s_waitcnt vmcnt(30)
	v_fmac_f32_e32 v68, v149, v36
	v_add_f32_e32 v24, v24, v67
	v_add_f32_e32 v24, v24, v68
	ds_read_b128 v[166:169], v2 offset:688
	buffer_load_dword v65, off, s[0:3], 0 offset:284
	buffer_load_dword v66, off, s[0:3], 0 offset:288
	;; [unrolled: 1-line block ×4, first 2 shown]
	v_fmac_f32_e32 v69, v151, v35
	v_fmac_f32_e32 v70, v153, v34
	v_add_f32_e32 v24, v24, v69
	v_add_f32_e32 v24, v24, v70
	ds_read_b128 v[170:173], v2 offset:704
	buffer_load_dword v69, off, s[0:3], 0 offset:296
	buffer_load_dword v70, off, s[0:3], 0 offset:300
	v_fmac_f32_e32 v71, v155, v33
	v_add_f32_e32 v24, v24, v71
	buffer_load_dword v71, off, s[0:3], 0 offset:304
	buffer_load_dword v72, off, s[0:3], 0 offset:308
	;; [unrolled: 1-line block ×14, first 2 shown]
	ds_read_b128 v[174:177], v2 offset:720
	buffer_load_dword v231, off, s[0:3], 0 offset:360
	buffer_load_dword v232, off, s[0:3], 0 offset:364
	ds_read_b128 v[178:181], v2 offset:736
	buffer_load_dword v233, off, s[0:3], 0 offset:368
	buffer_load_dword v234, off, s[0:3], 0 offset:372
	;; [unrolled: 1-line block ×16, first 2 shown]
	v_mul_f32_e32 v9, v17, v9
	v_fma_f32 v9, v16, v28, -v9
	v_mul_f32_e32 v8, v19, v8
	v_add_f32_e32 v9, 0, v9
	v_fma_f32 v8, v18, v27, -v8
	v_mul_f32_e32 v7, v21, v7
	v_add_f32_e32 v8, v9, v8
	v_fma_f32 v7, v20, v26, -v7
	v_mul_f32_e32 v6, v23, v6
	ds_read_b128 v[182:185], v2 offset:752
	buffer_load_dword v249, off, s[0:3], 0 offset:432
	buffer_load_dword v250, off, s[0:3], 0 offset:436
	;; [unrolled: 1-line block ×6, first 2 shown]
	v_add_f32_e32 v7, v8, v7
	v_fma_f32 v6, v22, v32, -v6
	v_mul_f32_e32 v5, v143, v5
	v_add_f32_e32 v6, v7, v6
	v_fma_f32 v5, v142, v31, -v5
	v_mul_f32_e32 v4, v145, v4
	;; [unrolled: 3-line block ×3, first 2 shown]
	v_add_f32_e32 v4, v5, v4
	v_fma_f32 v3, v146, v29, -v3
	v_add_f32_e32 v3, v4, v3
	v_mul_f32_e32 v4, v149, v12
	ds_read_b128 v[186:189], v2 offset:768
	buffer_load_dword v255, off, s[0:3], 0 offset:460
	buffer_load_dword v84, off, s[0:3], 0 offset:464
	;; [unrolled: 1-line block ×4, first 2 shown]
	v_fma_f32 v4, v148, v36, -v4
	v_add_f32_e32 v3, v3, v4
	v_mul_f32_e32 v4, v151, v13
	v_fma_f32 v4, v150, v35, -v4
	v_add_f32_e32 v3, v3, v4
	v_mul_f32_e32 v4, v153, v14
	;; [unrolled: 3-line block ×3, first 2 shown]
	s_waitcnt vmcnt(62)
	v_mul_f32_e32 v25, v156, v37
	v_fma_f32 v4, v154, v33, -v4
	v_fmac_f32_e32 v25, v157, v41
	v_add_f32_e32 v3, v3, v4
	v_mul_f32_e32 v4, v157, v37
	v_add_f32_e32 v24, v24, v25
	s_waitcnt lgkmcnt(7)
	v_mul_f32_e32 v25, v158, v42
	v_fma_f32 v4, v156, v41, -v4
	v_fmac_f32_e32 v25, v159, v40
	v_add_f32_e32 v3, v3, v4
	v_mul_f32_e32 v4, v159, v42
	v_add_f32_e32 v24, v24, v25
	v_mul_f32_e32 v25, v160, v43
	v_fma_f32 v4, v158, v40, -v4
	v_fmac_f32_e32 v25, v161, v39
	v_add_f32_e32 v3, v3, v4
	v_mul_f32_e32 v4, v161, v43
	v_add_f32_e32 v24, v24, v25
	s_waitcnt lgkmcnt(6)
	v_mul_f32_e32 v25, v162, v44
	v_fma_f32 v4, v160, v39, -v4
	v_fmac_f32_e32 v25, v163, v38
	v_add_f32_e32 v3, v3, v4
	v_mul_f32_e32 v4, v163, v44
	v_add_f32_e32 v24, v24, v25
	;; [unrolled: 13-line block ×4, first 2 shown]
	s_waitcnt vmcnt(58)
	v_mul_f32_e32 v25, v172, v54
	v_fma_f32 v4, v170, v48, -v4
	v_fmac_f32_e32 v25, v173, v53
	v_add_f32_e32 v3, v3, v4
	v_mul_f32_e32 v4, v173, v54
	v_add_f32_e32 v24, v24, v25
	s_waitcnt vmcnt(56) lgkmcnt(3)
	v_mul_f32_e32 v25, v174, v56
	v_fma_f32 v4, v172, v53, -v4
	v_fmac_f32_e32 v25, v175, v55
	v_add_f32_e32 v3, v3, v4
	v_mul_f32_e32 v4, v175, v56
	v_add_f32_e32 v24, v24, v25
	s_waitcnt vmcnt(54)
	v_mul_f32_e32 v25, v176, v58
	v_fma_f32 v4, v174, v55, -v4
	v_fmac_f32_e32 v25, v177, v57
	v_add_f32_e32 v3, v3, v4
	v_mul_f32_e32 v4, v177, v58
	v_add_f32_e32 v24, v24, v25
	s_waitcnt vmcnt(52) lgkmcnt(2)
	v_mul_f32_e32 v25, v178, v60
	v_fma_f32 v4, v176, v57, -v4
	v_fmac_f32_e32 v25, v179, v59
	v_add_f32_e32 v3, v3, v4
	v_mul_f32_e32 v4, v179, v60
	v_add_f32_e32 v24, v24, v25
	;; [unrolled: 14-line block ×3, first 2 shown]
	s_waitcnt vmcnt(47)
	v_mul_f32_e32 v25, v184, v65
	v_fma_f32 v4, v182, v63, -v4
	s_waitcnt vmcnt(44)
	v_fmac_f32_e32 v25, v185, v68
	ds_read_b128 v[190:193], v2 offset:784
	ds_read_b128 v[194:197], v2 offset:800
	v_add_f32_e32 v3, v3, v4
	v_mul_f32_e32 v4, v185, v65
	v_add_f32_e32 v24, v24, v25
	s_waitcnt lgkmcnt(2)
	v_mul_f32_e32 v25, v186, v67
	v_fma_f32 v4, v184, v68, -v4
	v_fmac_f32_e32 v25, v187, v66
	v_add_f32_e32 v3, v3, v4
	v_mul_f32_e32 v4, v187, v67
	v_add_f32_e32 v24, v24, v25
	s_waitcnt vmcnt(42)
	v_mul_f32_e32 v25, v188, v70
	v_fma_f32 v4, v186, v66, -v4
	v_fmac_f32_e32 v25, v189, v69
	v_add_f32_e32 v3, v3, v4
	v_mul_f32_e32 v4, v189, v70
	v_add_f32_e32 v24, v24, v25
	s_waitcnt vmcnt(40) lgkmcnt(1)
	v_mul_f32_e32 v25, v190, v72
	v_fma_f32 v4, v188, v69, -v4
	v_fmac_f32_e32 v25, v191, v71
	v_add_f32_e32 v3, v3, v4
	v_mul_f32_e32 v4, v191, v72
	v_add_f32_e32 v24, v24, v25
	s_waitcnt vmcnt(39)
	v_mul_f32_e32 v25, v192, v73
	v_fma_f32 v4, v190, v71, -v4
	s_waitcnt vmcnt(36)
	v_fmac_f32_e32 v25, v193, v76
	ds_read_b128 v[198:201], v2 offset:816
	ds_read_b128 v[202:205], v2 offset:832
	v_add_f32_e32 v3, v3, v4
	v_mul_f32_e32 v4, v193, v73
	v_add_f32_e32 v24, v24, v25
	s_waitcnt lgkmcnt(2)
	v_mul_f32_e32 v25, v194, v75
	v_fma_f32 v4, v192, v76, -v4
	v_fmac_f32_e32 v25, v195, v74
	v_add_f32_e32 v3, v3, v4
	v_mul_f32_e32 v4, v195, v75
	v_add_f32_e32 v24, v24, v25
	s_waitcnt vmcnt(34)
	v_mul_f32_e32 v25, v196, v78
	v_fma_f32 v4, v194, v74, -v4
	v_fmac_f32_e32 v25, v197, v77
	v_add_f32_e32 v3, v3, v4
	v_mul_f32_e32 v4, v197, v78
	v_add_f32_e32 v24, v24, v25
	s_waitcnt vmcnt(32) lgkmcnt(1)
	v_mul_f32_e32 v25, v198, v80
	v_fma_f32 v4, v196, v77, -v4
	v_fmac_f32_e32 v25, v199, v79
	v_add_f32_e32 v3, v3, v4
	v_mul_f32_e32 v4, v199, v80
	v_add_f32_e32 v24, v24, v25
	;; [unrolled: 31-line block ×5, first 2 shown]
	s_waitcnt vmcnt(7)
	v_mul_f32_e32 v25, v224, v251
	v_fma_f32 v4, v222, v249, -v4
	s_waitcnt vmcnt(4)
	v_fmac_f32_e32 v25, v225, v254
	v_add_f32_e32 v3, v3, v4
	v_mul_f32_e32 v4, v225, v251
	v_add_f32_e32 v87, v24, v25
	ds_read_b64 v[24:25], v2 offset:944
	v_fma_f32 v4, v224, v254, -v4
	v_add_f32_e32 v3, v3, v4
	s_waitcnt lgkmcnt(1)
	v_mul_f32_e32 v4, v227, v253
	v_mul_f32_e32 v88, v226, v253
	v_fma_f32 v4, v226, v252, -v4
	v_fmac_f32_e32 v88, v227, v252
	v_add_f32_e32 v3, v3, v4
	s_waitcnt vmcnt(3)
	v_mul_f32_e32 v4, v229, v255
	v_add_f32_e32 v87, v87, v88
	v_mul_f32_e32 v88, v228, v255
	s_waitcnt vmcnt(0)
	v_fma_f32 v4, v228, v86, -v4
	v_fmac_f32_e32 v88, v229, v86
	v_add_f32_e32 v3, v3, v4
	s_waitcnt lgkmcnt(0)
	v_mul_f32_e32 v4, v25, v85
	v_add_f32_e32 v87, v87, v88
	v_mul_f32_e32 v88, v24, v85
	v_fma_f32 v4, v24, v84, -v4
	v_fmac_f32_e32 v88, v25, v84
	v_add_f32_e32 v3, v3, v4
	v_add_f32_e32 v87, v87, v88
	v_sub_f32_e32 v3, v10, v3
	v_sub_f32_e32 v4, v11, v87
	buffer_store_dword v3, off, s[0:3], 0 offset:72
	buffer_store_dword v4, off, s[0:3], 0 offset:76
	s_and_saveexec_b64 s[4:5], vcc
	s_cbranch_execz .LBB58_351
; %bb.350:
	buffer_load_dword v3, off, s[0:3], 0 offset:64
	buffer_load_dword v4, off, s[0:3], 0 offset:68
	s_waitcnt vmcnt(0)
	ds_write_b64 v1, v[3:4]
	buffer_store_dword v2, off, s[0:3], 0 offset:64
	buffer_store_dword v2, off, s[0:3], 0 offset:68
.LBB58_351:
	s_or_b64 exec, exec, s[4:5]
	s_waitcnt lgkmcnt(0)
	; wave barrier
	buffer_load_dword v9, off, s[0:3], 0 offset:76
	buffer_load_dword v8, off, s[0:3], 0 offset:84
	;; [unrolled: 1-line block ×40, first 2 shown]
	ds_read2_b64 v[17:20], v2 offset0:69 offset1:70
	ds_read2_b64 v[142:145], v2 offset0:71 offset1:72
	;; [unrolled: 1-line block ×7, first 2 shown]
	buffer_load_dword v47, off, s[0:3], 0 offset:224
	buffer_load_dword v48, off, s[0:3], 0 offset:228
	;; [unrolled: 1-line block ×10, first 2 shown]
	ds_read2_b64 v[166:169], v2 offset0:83 offset1:84
	v_cmp_lt_u32_e32 vcc, 7, v0
	s_waitcnt vmcnt(49) lgkmcnt(7)
	v_mul_f32_e32 v57, v17, v9
	s_waitcnt vmcnt(48)
	v_mul_f32_e32 v58, v19, v8
	s_waitcnt vmcnt(47) lgkmcnt(6)
	v_mul_f32_e32 v59, v142, v7
	s_waitcnt vmcnt(46)
	v_mul_f32_e32 v60, v144, v6
	;; [unrolled: 4-line block ×6, first 2 shown]
	s_waitcnt vmcnt(37)
	v_fmac_f32_e32 v59, v143, v21
	s_waitcnt vmcnt(36)
	v_fmac_f32_e32 v58, v20, v22
	;; [unrolled: 2-line block ×3, first 2 shown]
	v_add_f32_e32 v57, 0, v57
	v_add_f32_e32 v57, v57, v58
	;; [unrolled: 1-line block ×3, first 2 shown]
	s_waitcnt vmcnt(31)
	v_fmac_f32_e32 v60, v145, v27
	v_fmac_f32_e32 v61, v147, v26
	v_add_f32_e32 v57, v57, v60
	v_fmac_f32_e32 v62, v149, v25
	v_add_f32_e32 v57, v57, v61
	;; [unrolled: 2-line block ×3, first 2 shown]
	s_waitcnt vmcnt(27)
	v_fmac_f32_e32 v64, v153, v31
	v_add_f32_e32 v57, v57, v63
	v_fmac_f32_e32 v65, v155, v30
	v_add_f32_e32 v57, v57, v64
	;; [unrolled: 2-line block ×4, first 2 shown]
	v_add_f32_e32 v57, v57, v67
	s_waitcnt vmcnt(23)
	v_fmac_f32_e32 v68, v161, v35
	s_waitcnt vmcnt(22) lgkmcnt(1)
	v_mul_f32_e32 v58, v162, v36
	v_add_f32_e32 v57, v57, v68
	v_fmac_f32_e32 v58, v163, v34
	buffer_load_dword v59, off, s[0:3], 0 offset:268
	v_add_f32_e32 v57, v57, v58
	s_waitcnt vmcnt(22)
	v_mul_f32_e32 v58, v164, v37
	v_fmac_f32_e32 v58, v165, v33
	buffer_load_dword v60, off, s[0:3], 0 offset:264
	buffer_load_dword v61, off, s[0:3], 0 offset:272
	;; [unrolled: 1-line block ×3, first 2 shown]
	ds_read2_b64 v[170:173], v2 offset0:85 offset1:86
	v_add_f32_e32 v57, v57, v58
	s_waitcnt vmcnt(24) lgkmcnt(1)
	v_mul_f32_e32 v58, v166, v38
	v_fmac_f32_e32 v58, v167, v32
	v_add_f32_e32 v57, v57, v58
	s_waitcnt vmcnt(23)
	v_mul_f32_e32 v58, v168, v39
	buffer_load_dword v63, off, s[0:3], 0 offset:280
	buffer_load_dword v64, off, s[0:3], 0 offset:284
	s_waitcnt vmcnt(19)
	v_fmac_f32_e32 v58, v169, v45
	v_add_f32_e32 v57, v57, v58
	s_waitcnt vmcnt(18) lgkmcnt(0)
	v_mul_f32_e32 v58, v170, v46
	v_fmac_f32_e32 v58, v171, v44
	ds_read2_b64 v[174:177], v2 offset0:87 offset1:88
	v_add_f32_e32 v57, v57, v58
	buffer_load_dword v58, off, s[0:3], 0 offset:288
	buffer_load_dword v65, off, s[0:3], 0 offset:292
	;; [unrolled: 1-line block ×8, first 2 shown]
	v_mul_f32_e32 v66, v172, v41
	v_fmac_f32_e32 v66, v173, v40
	v_add_f32_e32 v57, v57, v66
	s_waitcnt lgkmcnt(0)
	v_mul_f32_e32 v66, v174, v43
	v_fmac_f32_e32 v66, v175, v42
	v_add_f32_e32 v57, v57, v66
	buffer_load_dword v66, off, s[0:3], 0 offset:320
	buffer_load_dword v73, off, s[0:3], 0 offset:324
	ds_read2_b64 v[178:181], v2 offset0:89 offset1:90
	buffer_load_dword v75, off, s[0:3], 0 offset:328
	buffer_load_dword v76, off, s[0:3], 0 offset:332
	;; [unrolled: 1-line block ×6, first 2 shown]
	ds_read2_b64 v[182:185], v2 offset0:91 offset1:92
	buffer_load_dword v81, off, s[0:3], 0 offset:352
	buffer_load_dword v82, off, s[0:3], 0 offset:356
	s_waitcnt vmcnt(32)
	v_mul_f32_e32 v74, v176, v48
	v_fmac_f32_e32 v74, v177, v47
	v_add_f32_e32 v57, v57, v74
	s_waitcnt vmcnt(30) lgkmcnt(1)
	v_mul_f32_e32 v74, v178, v50
	v_fmac_f32_e32 v74, v179, v49
	v_add_f32_e32 v57, v57, v74
	buffer_load_dword v74, off, s[0:3], 0 offset:360
	buffer_load_dword v83, off, s[0:3], 0 offset:364
	;; [unrolled: 1-line block ×8, first 2 shown]
	s_waitcnt vmcnt(36)
	v_mul_f32_e32 v88, v180, v52
	v_fmac_f32_e32 v88, v181, v51
	v_add_f32_e32 v57, v57, v88
	s_waitcnt vmcnt(34) lgkmcnt(0)
	v_mul_f32_e32 v88, v182, v54
	v_fmac_f32_e32 v88, v183, v53
	v_add_f32_e32 v57, v57, v88
	buffer_load_dword v88, off, s[0:3], 0 offset:392
	buffer_load_dword v239, off, s[0:3], 0 offset:396
	;; [unrolled: 1-line block ×6, first 2 shown]
	ds_read2_b64 v[186:189], v2 offset0:93 offset1:94
	buffer_load_dword v244, off, s[0:3], 0 offset:416
	buffer_load_dword v245, off, s[0:3], 0 offset:420
	v_mul_f32_e32 v9, v18, v9
	v_fma_f32 v9, v17, v23, -v9
	v_mul_f32_e32 v8, v20, v8
	s_waitcnt vmcnt(40)
	v_mul_f32_e32 v190, v184, v56
	v_add_f32_e32 v9, 0, v9
	v_fma_f32 v8, v19, v22, -v8
	v_mul_f32_e32 v7, v143, v7
	v_fmac_f32_e32 v190, v185, v55
	v_add_f32_e32 v8, v9, v8
	v_fma_f32 v7, v142, v21, -v7
	v_mul_f32_e32 v6, v145, v6
	v_add_f32_e32 v57, v57, v190
	ds_read2_b64 v[190:193], v2 offset0:95 offset1:96
	buffer_load_dword v246, off, s[0:3], 0 offset:424
	buffer_load_dword v247, off, s[0:3], 0 offset:428
	;; [unrolled: 1-line block ×6, first 2 shown]
	v_add_f32_e32 v7, v8, v7
	v_fma_f32 v6, v144, v27, -v6
	v_mul_f32_e32 v5, v147, v5
	v_add_f32_e32 v6, v7, v6
	v_fma_f32 v5, v146, v26, -v5
	v_mul_f32_e32 v4, v149, v4
	;; [unrolled: 3-line block ×3, first 2 shown]
	v_add_f32_e32 v4, v5, v4
	v_fma_f32 v3, v150, v24, -v3
	v_add_f32_e32 v3, v4, v3
	v_mul_f32_e32 v4, v153, v12
	v_fma_f32 v4, v152, v31, -v4
	v_add_f32_e32 v3, v3, v4
	v_mul_f32_e32 v4, v155, v13
	buffer_load_dword v252, off, s[0:3], 0 offset:448
	buffer_load_dword v253, off, s[0:3], 0 offset:452
	;; [unrolled: 1-line block ×6, first 2 shown]
	v_fma_f32 v4, v154, v30, -v4
	v_add_f32_e32 v3, v3, v4
	v_mul_f32_e32 v4, v157, v14
	v_fma_f32 v4, v156, v29, -v4
	v_add_f32_e32 v3, v3, v4
	v_mul_f32_e32 v4, v159, v15
	;; [unrolled: 3-line block ×7, first 2 shown]
	v_fma_f32 v4, v168, v45, -v4
	s_waitcnt vmcnt(51) lgkmcnt(1)
	v_mul_f32_e32 v194, v186, v59
	v_add_f32_e32 v3, v3, v4
	v_mul_f32_e32 v4, v171, v46
	s_waitcnt vmcnt(50)
	v_fmac_f32_e32 v194, v187, v60
	v_fma_f32 v4, v170, v44, -v4
	v_add_f32_e32 v57, v57, v194
	s_waitcnt vmcnt(48)
	v_mul_f32_e32 v194, v188, v62
	v_add_f32_e32 v3, v3, v4
	v_mul_f32_e32 v4, v173, v41
	v_fmac_f32_e32 v194, v189, v61
	v_fma_f32 v4, v172, v40, -v4
	v_add_f32_e32 v57, v57, v194
	s_waitcnt vmcnt(46) lgkmcnt(0)
	v_mul_f32_e32 v194, v190, v64
	v_add_f32_e32 v3, v3, v4
	v_mul_f32_e32 v4, v175, v43
	v_fmac_f32_e32 v194, v191, v63
	v_fma_f32 v4, v174, v42, -v4
	v_add_f32_e32 v57, v57, v194
	ds_read2_b64 v[194:197], v2 offset0:97 offset1:98
	v_add_f32_e32 v3, v3, v4
	v_mul_f32_e32 v4, v177, v48
	v_fma_f32 v4, v176, v47, -v4
	s_waitcnt vmcnt(44)
	v_mul_f32_e32 v198, v192, v65
	v_add_f32_e32 v3, v3, v4
	v_mul_f32_e32 v4, v179, v50
	v_fmac_f32_e32 v198, v193, v58
	v_fma_f32 v4, v178, v49, -v4
	v_add_f32_e32 v57, v57, v198
	ds_read2_b64 v[198:201], v2 offset0:99 offset1:100
	v_add_f32_e32 v3, v3, v4
	v_mul_f32_e32 v4, v181, v52
	s_waitcnt vmcnt(42) lgkmcnt(1)
	v_mul_f32_e32 v202, v194, v68
	v_fma_f32 v4, v180, v51, -v4
	v_fmac_f32_e32 v202, v195, v67
	v_add_f32_e32 v3, v3, v4
	v_mul_f32_e32 v4, v183, v54
	v_add_f32_e32 v57, v57, v202
	s_waitcnt vmcnt(41)
	v_mul_f32_e32 v202, v196, v69
	v_fma_f32 v4, v182, v53, -v4
	s_waitcnt vmcnt(38)
	v_fmac_f32_e32 v202, v197, v72
	v_add_f32_e32 v3, v3, v4
	v_mul_f32_e32 v4, v185, v56
	v_add_f32_e32 v57, v57, v202
	s_waitcnt lgkmcnt(0)
	v_mul_f32_e32 v202, v198, v71
	v_fma_f32 v4, v184, v55, -v4
	v_fmac_f32_e32 v202, v199, v70
	v_add_f32_e32 v3, v3, v4
	v_mul_f32_e32 v4, v187, v59
	v_add_f32_e32 v57, v57, v202
	ds_read2_b64 v[202:205], v2 offset0:101 offset1:102
	v_fma_f32 v4, v186, v60, -v4
	v_add_f32_e32 v3, v3, v4
	v_mul_f32_e32 v4, v189, v62
	s_waitcnt vmcnt(36)
	v_mul_f32_e32 v206, v200, v73
	v_fma_f32 v4, v188, v61, -v4
	v_fmac_f32_e32 v206, v201, v66
	v_add_f32_e32 v3, v3, v4
	v_mul_f32_e32 v4, v191, v64
	v_add_f32_e32 v57, v57, v206
	ds_read2_b64 v[206:209], v2 offset0:103 offset1:104
	v_fma_f32 v4, v190, v63, -v4
	s_waitcnt vmcnt(34) lgkmcnt(1)
	v_mul_f32_e32 v210, v202, v76
	v_add_f32_e32 v3, v3, v4
	v_mul_f32_e32 v4, v193, v65
	v_fmac_f32_e32 v210, v203, v75
	v_fma_f32 v4, v192, v58, -v4
	v_add_f32_e32 v57, v57, v210
	s_waitcnt vmcnt(33)
	v_mul_f32_e32 v210, v204, v77
	v_add_f32_e32 v3, v3, v4
	v_mul_f32_e32 v4, v195, v68
	s_waitcnt vmcnt(30)
	v_fmac_f32_e32 v210, v205, v80
	v_fma_f32 v4, v194, v67, -v4
	v_add_f32_e32 v57, v57, v210
	s_waitcnt lgkmcnt(0)
	v_mul_f32_e32 v210, v206, v79
	v_add_f32_e32 v3, v3, v4
	v_mul_f32_e32 v4, v197, v69
	v_fmac_f32_e32 v210, v207, v78
	v_fma_f32 v4, v196, v72, -v4
	v_add_f32_e32 v57, v57, v210
	ds_read2_b64 v[210:213], v2 offset0:105 offset1:106
	v_add_f32_e32 v3, v3, v4
	v_mul_f32_e32 v4, v199, v71
	v_fma_f32 v4, v198, v70, -v4
	s_waitcnt vmcnt(28)
	v_mul_f32_e32 v214, v208, v82
	v_add_f32_e32 v3, v3, v4
	v_mul_f32_e32 v4, v201, v73
	v_fmac_f32_e32 v214, v209, v81
	v_fma_f32 v4, v200, v66, -v4
	v_add_f32_e32 v57, v57, v214
	ds_read2_b64 v[214:217], v2 offset0:107 offset1:108
	v_add_f32_e32 v3, v3, v4
	v_mul_f32_e32 v4, v203, v76
	s_waitcnt vmcnt(26) lgkmcnt(1)
	v_mul_f32_e32 v218, v210, v83
	v_fma_f32 v4, v202, v75, -v4
	v_fmac_f32_e32 v218, v211, v74
	v_add_f32_e32 v3, v3, v4
	v_mul_f32_e32 v4, v205, v77
	v_add_f32_e32 v57, v57, v218
	s_waitcnt vmcnt(25)
	v_mul_f32_e32 v218, v212, v84
	v_fma_f32 v4, v204, v80, -v4
	s_waitcnt vmcnt(22)
	v_fmac_f32_e32 v218, v213, v87
	v_add_f32_e32 v3, v3, v4
	v_mul_f32_e32 v4, v207, v79
	v_add_f32_e32 v57, v57, v218
	s_waitcnt lgkmcnt(0)
	v_mul_f32_e32 v218, v214, v86
	v_fma_f32 v4, v206, v78, -v4
	v_fmac_f32_e32 v218, v215, v85
	v_add_f32_e32 v3, v3, v4
	v_mul_f32_e32 v4, v209, v82
	v_add_f32_e32 v57, v57, v218
	ds_read2_b64 v[218:221], v2 offset0:109 offset1:110
	v_fma_f32 v4, v208, v81, -v4
	v_add_f32_e32 v3, v3, v4
	v_mul_f32_e32 v4, v211, v83
	s_waitcnt vmcnt(20)
	v_mul_f32_e32 v222, v216, v238
	v_fma_f32 v4, v210, v74, -v4
	v_fmac_f32_e32 v222, v217, v89
	v_add_f32_e32 v3, v3, v4
	v_mul_f32_e32 v4, v213, v84
	v_add_f32_e32 v57, v57, v222
	ds_read2_b64 v[222:225], v2 offset0:111 offset1:112
	v_fma_f32 v4, v212, v87, -v4
	s_waitcnt vmcnt(18) lgkmcnt(1)
	v_mul_f32_e32 v226, v218, v239
	v_add_f32_e32 v3, v3, v4
	v_mul_f32_e32 v4, v215, v86
	v_fmac_f32_e32 v226, v219, v88
	v_fma_f32 v4, v214, v85, -v4
	v_add_f32_e32 v57, v57, v226
	s_waitcnt vmcnt(17)
	v_mul_f32_e32 v226, v220, v240
	v_add_f32_e32 v3, v3, v4
	v_mul_f32_e32 v4, v217, v238
	s_waitcnt vmcnt(14)
	v_fmac_f32_e32 v226, v221, v243
	v_fma_f32 v4, v216, v89, -v4
	v_add_f32_e32 v57, v57, v226
	s_waitcnt lgkmcnt(0)
	v_mul_f32_e32 v226, v222, v242
	v_add_f32_e32 v3, v3, v4
	v_mul_f32_e32 v4, v219, v239
	v_fmac_f32_e32 v226, v223, v241
	v_fma_f32 v4, v218, v88, -v4
	v_add_f32_e32 v57, v57, v226
	ds_read2_b64 v[226:229], v2 offset0:113 offset1:114
	v_add_f32_e32 v3, v3, v4
	v_mul_f32_e32 v4, v221, v240
	v_fma_f32 v4, v220, v243, -v4
	v_add_f32_e32 v3, v3, v4
	v_mul_f32_e32 v4, v223, v242
	s_waitcnt vmcnt(12)
	v_mul_f32_e32 v230, v224, v245
	v_fma_f32 v4, v222, v241, -v4
	v_fmac_f32_e32 v230, v225, v244
	v_add_f32_e32 v3, v3, v4
	v_mul_f32_e32 v4, v225, v245
	v_add_f32_e32 v57, v57, v230
	ds_read2_b64 v[230:233], v2 offset0:115 offset1:116
	s_waitcnt vmcnt(10) lgkmcnt(1)
	v_mul_f32_e32 v234, v226, v247
	v_fma_f32 v4, v224, v244, -v4
	v_fmac_f32_e32 v234, v227, v246
	v_add_f32_e32 v3, v3, v4
	v_mul_f32_e32 v4, v227, v247
	v_add_f32_e32 v57, v57, v234
	s_waitcnt vmcnt(9)
	v_mul_f32_e32 v234, v228, v248
	v_fma_f32 v4, v226, v246, -v4
	s_waitcnt vmcnt(6)
	v_fmac_f32_e32 v234, v229, v251
	v_add_f32_e32 v3, v3, v4
	v_mul_f32_e32 v4, v229, v248
	v_add_f32_e32 v57, v57, v234
	ds_read2_b64 v[234:237], v2 offset0:117 offset1:118
	v_fma_f32 v4, v228, v251, -v4
	v_add_f32_e32 v3, v3, v4
	s_waitcnt lgkmcnt(1)
	v_mul_f32_e32 v4, v231, v250
	v_mul_f32_e32 v92, v230, v250
	v_fma_f32 v4, v230, v249, -v4
	v_fmac_f32_e32 v92, v231, v249
	v_add_f32_e32 v3, v3, v4
	s_waitcnt vmcnt(4)
	v_mul_f32_e32 v4, v233, v253
	v_add_f32_e32 v2, v57, v92
	v_mul_f32_e32 v57, v232, v253
	v_fma_f32 v4, v232, v252, -v4
	v_fmac_f32_e32 v57, v233, v252
	v_add_f32_e32 v3, v3, v4
	s_waitcnt vmcnt(3) lgkmcnt(0)
	v_mul_f32_e32 v4, v235, v254
	v_add_f32_e32 v2, v2, v57
	v_mul_f32_e32 v57, v234, v254
	s_waitcnt vmcnt(0)
	v_fma_f32 v4, v234, v91, -v4
	v_fmac_f32_e32 v57, v235, v91
	v_add_f32_e32 v3, v3, v4
	v_mul_f32_e32 v4, v237, v90
	v_add_f32_e32 v2, v2, v57
	v_mul_f32_e32 v57, v236, v90
	v_fma_f32 v4, v236, v255, -v4
	v_fmac_f32_e32 v57, v237, v255
	v_add_f32_e32 v3, v3, v4
	v_add_f32_e32 v2, v2, v57
	v_sub_f32_e32 v3, v10, v3
	v_sub_f32_e32 v2, v11, v2
	buffer_store_dword v3, off, s[0:3], 0 offset:64
	buffer_store_dword v2, off, s[0:3], 0 offset:68
	s_and_saveexec_b64 s[4:5], vcc
	s_cbranch_execz .LBB58_353
; %bb.352:
	buffer_load_dword v2, off, s[0:3], 0 offset:56
	buffer_load_dword v3, off, s[0:3], 0 offset:60
	v_mov_b32_e32 v4, 0
	buffer_store_dword v4, off, s[0:3], 0 offset:56
	buffer_store_dword v4, off, s[0:3], 0 offset:60
	s_waitcnt vmcnt(2)
	ds_write_b64 v1, v[2:3]
.LBB58_353:
	s_or_b64 exec, exec, s[4:5]
	s_waitcnt lgkmcnt(0)
	; wave barrier
	buffer_load_dword v11, off, s[0:3], 0 offset:68
	buffer_load_dword v10, off, s[0:3], 0 offset:76
	;; [unrolled: 1-line block ×40, first 2 shown]
	v_mov_b32_e32 v2, 0
	buffer_load_dword v49, off, s[0:3], 0 offset:216
	buffer_load_dword v50, off, s[0:3], 0 offset:220
	;; [unrolled: 1-line block ×10, first 2 shown]
	ds_read_b128 v[18:21], v2 offset:544
	ds_read_b128 v[142:145], v2 offset:560
	;; [unrolled: 1-line block ×7, first 2 shown]
	v_cmp_lt_u32_e32 vcc, 6, v0
	s_waitcnt vmcnt(49) lgkmcnt(6)
	v_mul_f32_e32 v22, v18, v11
	s_waitcnt vmcnt(48)
	v_mul_f32_e32 v23, v20, v10
	s_waitcnt vmcnt(47) lgkmcnt(5)
	v_mul_f32_e32 v59, v142, v7
	s_waitcnt vmcnt(46)
	v_mul_f32_e32 v60, v144, v6
	;; [unrolled: 4-line block ×6, first 2 shown]
	s_waitcnt vmcnt(37)
	v_fmac_f32_e32 v59, v143, v24
	s_waitcnt vmcnt(36)
	v_fmac_f32_e32 v23, v21, v25
	;; [unrolled: 2-line block ×3, first 2 shown]
	v_add_f32_e32 v22, 0, v22
	v_add_f32_e32 v22, v22, v23
	;; [unrolled: 1-line block ×3, first 2 shown]
	s_waitcnt vmcnt(31)
	v_fmac_f32_e32 v60, v145, v30
	v_fmac_f32_e32 v61, v147, v29
	v_add_f32_e32 v22, v22, v60
	buffer_load_dword v59, off, s[0:3], 0 offset:256
	buffer_load_dword v60, off, s[0:3], 0 offset:260
	v_fmac_f32_e32 v62, v149, v28
	v_add_f32_e32 v22, v22, v61
	v_fmac_f32_e32 v63, v151, v27
	v_add_f32_e32 v22, v22, v62
	s_waitcnt vmcnt(29)
	v_fmac_f32_e32 v64, v153, v33
	v_add_f32_e32 v22, v22, v63
	v_fmac_f32_e32 v65, v155, v32
	v_add_f32_e32 v22, v22, v64
	ds_read_b128 v[166:169], v2 offset:656
	buffer_load_dword v61, off, s[0:3], 0 offset:268
	buffer_load_dword v62, off, s[0:3], 0 offset:264
	;; [unrolled: 1-line block ×4, first 2 shown]
	v_fmac_f32_e32 v66, v157, v31
	v_add_f32_e32 v22, v22, v65
	v_add_f32_e32 v22, v22, v66
	ds_read_b128 v[170:173], v2 offset:672
	ds_read_b128 v[174:177], v2 offset:688
	buffer_load_dword v65, off, s[0:3], 0 offset:280
	buffer_load_dword v66, off, s[0:3], 0 offset:284
	v_fmac_f32_e32 v67, v159, v17
	v_add_f32_e32 v22, v22, v67
	s_waitcnt vmcnt(31)
	v_fmac_f32_e32 v68, v161, v37
	v_add_f32_e32 v22, v22, v68
	buffer_load_dword v67, off, s[0:3], 0 offset:288
	buffer_load_dword v68, off, s[0:3], 0 offset:292
	;; [unrolled: 1-line block ×8, first 2 shown]
	ds_read_b128 v[178:181], v2 offset:704
	buffer_load_dword v75, off, s[0:3], 0 offset:320
	buffer_load_dword v76, off, s[0:3], 0 offset:324
	;; [unrolled: 1-line block ×6, first 2 shown]
	ds_read_b128 v[182:185], v2 offset:720
	buffer_load_dword v81, off, s[0:3], 0 offset:344
	buffer_load_dword v82, off, s[0:3], 0 offset:348
	;; [unrolled: 1-line block ×10, first 2 shown]
	ds_read_b128 v[186:189], v2 offset:736
	buffer_load_dword v91, off, s[0:3], 0 offset:384
	buffer_load_dword v92, off, s[0:3], 0 offset:388
	;; [unrolled: 1-line block ×6, first 2 shown]
	ds_read_b128 v[190:193], v2 offset:752
	buffer_load_dword v241, off, s[0:3], 0 offset:408
	buffer_load_dword v242, off, s[0:3], 0 offset:412
	v_mul_f32_e32 v11, v19, v11
	v_fma_f32 v11, v18, v26, -v11
	v_mul_f32_e32 v10, v21, v10
	v_add_f32_e32 v11, 0, v11
	v_fma_f32 v10, v20, v25, -v10
	v_mul_f32_e32 v7, v143, v7
	v_add_f32_e32 v10, v11, v10
	v_fma_f32 v7, v142, v24, -v7
	v_mul_f32_e32 v6, v145, v6
	buffer_load_dword v243, off, s[0:3], 0 offset:416
	buffer_load_dword v244, off, s[0:3], 0 offset:420
	;; [unrolled: 1-line block ×6, first 2 shown]
	v_add_f32_e32 v7, v10, v7
	v_fma_f32 v6, v144, v30, -v6
	v_mul_f32_e32 v5, v147, v5
	v_add_f32_e32 v6, v7, v6
	v_fma_f32 v5, v146, v29, -v5
	v_mul_f32_e32 v4, v149, v4
	;; [unrolled: 3-line block ×3, first 2 shown]
	buffer_load_dword v249, off, s[0:3], 0 offset:440
	buffer_load_dword v250, off, s[0:3], 0 offset:444
	v_add_f32_e32 v4, v5, v4
	v_fma_f32 v3, v150, v27, -v3
	v_add_f32_e32 v3, v4, v3
	v_mul_f32_e32 v4, v153, v12
	v_fma_f32 v4, v152, v33, -v4
	v_add_f32_e32 v3, v3, v4
	v_mul_f32_e32 v4, v155, v13
	;; [unrolled: 3-line block ×3, first 2 shown]
	buffer_load_dword v251, off, s[0:3], 0 offset:448
	buffer_load_dword v252, off, s[0:3], 0 offset:452
	;; [unrolled: 1-line block ×6, first 2 shown]
	v_fma_f32 v4, v156, v31, -v4
	v_add_f32_e32 v3, v3, v4
	v_mul_f32_e32 v4, v159, v15
	v_fma_f32 v4, v158, v17, -v4
	v_add_f32_e32 v3, v3, v4
	v_mul_f32_e32 v4, v161, v16
	s_waitcnt vmcnt(62) lgkmcnt(7)
	v_mul_f32_e32 v23, v162, v38
	v_fma_f32 v4, v160, v37, -v4
	v_fmac_f32_e32 v23, v163, v36
	v_add_f32_e32 v3, v3, v4
	v_mul_f32_e32 v4, v163, v38
	v_add_f32_e32 v22, v22, v23
	v_mul_f32_e32 v23, v164, v39
	v_fma_f32 v4, v162, v36, -v4
	v_fmac_f32_e32 v23, v165, v35
	v_add_f32_e32 v3, v3, v4
	v_mul_f32_e32 v4, v165, v39
	v_add_f32_e32 v22, v22, v23
	s_waitcnt lgkmcnt(6)
	v_mul_f32_e32 v23, v166, v40
	v_fma_f32 v4, v164, v35, -v4
	v_fmac_f32_e32 v23, v167, v34
	v_add_f32_e32 v3, v3, v4
	v_mul_f32_e32 v4, v167, v40
	v_add_f32_e32 v22, v22, v23
	v_mul_f32_e32 v23, v168, v41
	v_fma_f32 v4, v166, v34, -v4
	v_fmac_f32_e32 v23, v169, v48
	v_add_f32_e32 v3, v3, v4
	v_mul_f32_e32 v4, v169, v41
	v_add_f32_e32 v22, v22, v23
	s_waitcnt lgkmcnt(5)
	;; [unrolled: 13-line block ×3, first 2 shown]
	v_mul_f32_e32 v23, v174, v47
	v_fma_f32 v4, v172, v44, -v4
	v_fmac_f32_e32 v23, v175, v46
	v_add_f32_e32 v3, v3, v4
	v_mul_f32_e32 v4, v175, v47
	v_add_f32_e32 v22, v22, v23
	v_mul_f32_e32 v23, v176, v50
	v_fma_f32 v4, v174, v46, -v4
	v_fmac_f32_e32 v23, v177, v49
	v_add_f32_e32 v3, v3, v4
	v_mul_f32_e32 v4, v177, v50
	v_add_f32_e32 v22, v22, v23
	s_waitcnt vmcnt(60) lgkmcnt(3)
	v_mul_f32_e32 v23, v178, v52
	v_fma_f32 v4, v176, v49, -v4
	v_fmac_f32_e32 v23, v179, v51
	v_add_f32_e32 v3, v3, v4
	v_mul_f32_e32 v4, v179, v52
	v_add_f32_e32 v22, v22, v23
	s_waitcnt vmcnt(58)
	v_mul_f32_e32 v23, v180, v54
	v_fma_f32 v4, v178, v51, -v4
	v_fmac_f32_e32 v23, v181, v53
	v_add_f32_e32 v3, v3, v4
	v_mul_f32_e32 v4, v181, v54
	v_add_f32_e32 v22, v22, v23
	s_waitcnt vmcnt(56) lgkmcnt(2)
	v_mul_f32_e32 v23, v182, v56
	v_fma_f32 v4, v180, v53, -v4
	v_fmac_f32_e32 v23, v183, v55
	v_add_f32_e32 v3, v3, v4
	v_mul_f32_e32 v4, v183, v56
	v_add_f32_e32 v22, v22, v23
	s_waitcnt vmcnt(54)
	;; [unrolled: 14-line block ×3, first 2 shown]
	v_mul_f32_e32 v23, v188, v61
	v_fma_f32 v4, v186, v59, -v4
	s_waitcnt vmcnt(50)
	v_fmac_f32_e32 v23, v189, v62
	ds_read_b128 v[194:197], v2 offset:768
	ds_read_b128 v[198:201], v2 offset:784
	v_add_f32_e32 v3, v3, v4
	v_mul_f32_e32 v4, v189, v61
	v_add_f32_e32 v22, v22, v23
	s_waitcnt vmcnt(48) lgkmcnt(2)
	v_mul_f32_e32 v23, v190, v64
	v_fma_f32 v4, v188, v62, -v4
	v_fmac_f32_e32 v23, v191, v63
	v_add_f32_e32 v3, v3, v4
	v_mul_f32_e32 v4, v191, v64
	v_add_f32_e32 v22, v22, v23
	s_waitcnt vmcnt(46)
	v_mul_f32_e32 v23, v192, v66
	v_fma_f32 v4, v190, v63, -v4
	v_fmac_f32_e32 v23, v193, v65
	v_add_f32_e32 v3, v3, v4
	v_mul_f32_e32 v4, v193, v66
	v_add_f32_e32 v22, v22, v23
	s_waitcnt vmcnt(44) lgkmcnt(1)
	v_mul_f32_e32 v23, v194, v68
	v_fma_f32 v4, v192, v65, -v4
	v_fmac_f32_e32 v23, v195, v67
	v_add_f32_e32 v3, v3, v4
	v_mul_f32_e32 v4, v195, v68
	v_add_f32_e32 v22, v22, v23
	s_waitcnt vmcnt(43)
	v_mul_f32_e32 v23, v196, v69
	v_fma_f32 v4, v194, v67, -v4
	s_waitcnt vmcnt(40)
	v_fmac_f32_e32 v23, v197, v72
	ds_read_b128 v[202:205], v2 offset:800
	ds_read_b128 v[206:209], v2 offset:816
	v_add_f32_e32 v3, v3, v4
	v_mul_f32_e32 v4, v197, v69
	v_add_f32_e32 v22, v22, v23
	s_waitcnt lgkmcnt(2)
	v_mul_f32_e32 v23, v198, v71
	v_fma_f32 v4, v196, v72, -v4
	v_fmac_f32_e32 v23, v199, v70
	v_add_f32_e32 v3, v3, v4
	v_mul_f32_e32 v4, v199, v71
	v_add_f32_e32 v22, v22, v23
	s_waitcnt vmcnt(38)
	v_mul_f32_e32 v23, v200, v74
	v_fma_f32 v4, v198, v70, -v4
	v_fmac_f32_e32 v23, v201, v73
	v_add_f32_e32 v3, v3, v4
	v_mul_f32_e32 v4, v201, v74
	v_add_f32_e32 v22, v22, v23
	s_waitcnt vmcnt(36) lgkmcnt(1)
	v_mul_f32_e32 v23, v202, v76
	v_fma_f32 v4, v200, v73, -v4
	v_fmac_f32_e32 v23, v203, v75
	v_add_f32_e32 v3, v3, v4
	v_mul_f32_e32 v4, v203, v76
	v_add_f32_e32 v22, v22, v23
	s_waitcnt vmcnt(35)
	v_mul_f32_e32 v23, v204, v77
	v_fma_f32 v4, v202, v75, -v4
	s_waitcnt vmcnt(32)
	v_fmac_f32_e32 v23, v205, v80
	ds_read_b128 v[210:213], v2 offset:832
	ds_read_b128 v[214:217], v2 offset:848
	v_add_f32_e32 v3, v3, v4
	v_mul_f32_e32 v4, v205, v77
	v_add_f32_e32 v22, v22, v23
	s_waitcnt lgkmcnt(2)
	;; [unrolled: 31-line block ×4, first 2 shown]
	v_mul_f32_e32 v23, v222, v239
	v_fma_f32 v4, v220, v240, -v4
	v_fmac_f32_e32 v23, v223, v238
	v_add_f32_e32 v3, v3, v4
	v_mul_f32_e32 v4, v223, v239
	v_add_f32_e32 v22, v22, v23
	s_waitcnt vmcnt(14)
	v_mul_f32_e32 v23, v224, v242
	v_fma_f32 v4, v222, v238, -v4
	v_fmac_f32_e32 v23, v225, v241
	v_add_f32_e32 v3, v3, v4
	v_mul_f32_e32 v4, v225, v242
	v_add_f32_e32 v22, v22, v23
	s_waitcnt vmcnt(12) lgkmcnt(1)
	v_mul_f32_e32 v23, v226, v244
	v_fma_f32 v4, v224, v241, -v4
	v_fmac_f32_e32 v23, v227, v243
	v_add_f32_e32 v3, v3, v4
	v_mul_f32_e32 v4, v227, v244
	v_add_f32_e32 v22, v22, v23
	s_waitcnt vmcnt(11)
	v_mul_f32_e32 v23, v228, v245
	v_fma_f32 v4, v226, v243, -v4
	s_waitcnt vmcnt(8)
	v_fmac_f32_e32 v23, v229, v248
	v_add_f32_e32 v3, v3, v4
	v_mul_f32_e32 v4, v229, v245
	v_add_f32_e32 v22, v22, v23
	s_waitcnt lgkmcnt(0)
	v_mul_f32_e32 v23, v230, v247
	ds_read_b128 v[234:237], v2 offset:928
	v_fma_f32 v4, v228, v248, -v4
	v_fmac_f32_e32 v23, v231, v246
	v_add_f32_e32 v3, v3, v4
	v_mul_f32_e32 v4, v231, v247
	v_add_f32_e32 v22, v22, v23
	s_waitcnt vmcnt(6)
	v_mul_f32_e32 v23, v232, v250
	v_fma_f32 v4, v230, v246, -v4
	v_fmac_f32_e32 v23, v233, v249
	v_add_f32_e32 v3, v3, v4
	v_mul_f32_e32 v4, v233, v250
	v_add_f32_e32 v95, v22, v23
	ds_read_b64 v[22:23], v2 offset:944
	v_fma_f32 v4, v232, v249, -v4
	v_add_f32_e32 v3, v3, v4
	s_waitcnt vmcnt(4) lgkmcnt(1)
	v_mul_f32_e32 v4, v235, v252
	v_mul_f32_e32 v96, v234, v252
	v_fma_f32 v4, v234, v251, -v4
	v_fmac_f32_e32 v96, v235, v251
	v_add_f32_e32 v3, v3, v4
	s_waitcnt vmcnt(3)
	v_mul_f32_e32 v4, v237, v253
	v_add_f32_e32 v95, v95, v96
	v_mul_f32_e32 v96, v236, v253
	s_waitcnt vmcnt(0)
	v_fma_f32 v4, v236, v94, -v4
	v_fmac_f32_e32 v96, v237, v94
	v_add_f32_e32 v3, v3, v4
	s_waitcnt lgkmcnt(0)
	v_mul_f32_e32 v4, v23, v255
	v_add_f32_e32 v95, v95, v96
	v_mul_f32_e32 v96, v22, v255
	v_fma_f32 v4, v22, v254, -v4
	v_fmac_f32_e32 v96, v23, v254
	v_add_f32_e32 v3, v3, v4
	v_add_f32_e32 v95, v95, v96
	v_sub_f32_e32 v3, v8, v3
	v_sub_f32_e32 v4, v9, v95
	buffer_store_dword v3, off, s[0:3], 0 offset:56
	buffer_store_dword v4, off, s[0:3], 0 offset:60
	s_and_saveexec_b64 s[4:5], vcc
	s_cbranch_execz .LBB58_355
; %bb.354:
	buffer_load_dword v3, off, s[0:3], 0 offset:48
	buffer_load_dword v4, off, s[0:3], 0 offset:52
	s_waitcnt vmcnt(0)
	ds_write_b64 v1, v[3:4]
	buffer_store_dword v2, off, s[0:3], 0 offset:48
	buffer_store_dword v2, off, s[0:3], 0 offset:52
.LBB58_355:
	s_or_b64 exec, exec, s[4:5]
	s_waitcnt lgkmcnt(0)
	; wave barrier
	buffer_load_dword v11, off, s[0:3], 0 offset:60
	buffer_load_dword v8, off, s[0:3], 0 offset:68
	;; [unrolled: 1-line block ×40, first 2 shown]
	ds_read2_b64 v[144:147], v2 offset0:67 offset1:68
	ds_read2_b64 v[148:151], v2 offset0:69 offset1:70
	;; [unrolled: 1-line block ×6, first 2 shown]
	buffer_load_dword v41, off, s[0:3], 0 offset:208
	buffer_load_dword v42, off, s[0:3], 0 offset:212
	;; [unrolled: 1-line block ×12, first 2 shown]
	ds_read2_b64 v[168:171], v2 offset0:79 offset1:80
	ds_read2_b64 v[172:175], v2 offset0:81 offset1:82
	v_cmp_lt_u32_e32 vcc, 5, v0
	s_waitcnt vmcnt(51) lgkmcnt(7)
	v_mul_f32_e32 v53, v144, v11
	s_waitcnt vmcnt(50)
	v_mul_f32_e32 v54, v146, v8
	s_waitcnt vmcnt(49) lgkmcnt(6)
	v_mul_f32_e32 v55, v148, v7
	s_waitcnt vmcnt(48)
	v_mul_f32_e32 v56, v150, v6
	;; [unrolled: 4-line block ×5, first 2 shown]
	s_waitcnt vmcnt(41) lgkmcnt(2)
	v_mul_f32_e32 v63, v164, v15
	s_waitcnt vmcnt(40)
	v_fmac_f32_e32 v55, v149, v22
	s_waitcnt vmcnt(39)
	v_fmac_f32_e32 v54, v147, v143
	;; [unrolled: 2-line block ×3, first 2 shown]
	v_add_f32_e32 v53, 0, v53
	v_add_f32_e32 v53, v53, v54
	;; [unrolled: 1-line block ×3, first 2 shown]
	s_waitcnt vmcnt(34)
	v_fmac_f32_e32 v56, v151, v25
	v_fmac_f32_e32 v57, v153, v142
	v_add_f32_e32 v53, v53, v56
	buffer_load_dword v55, off, s[0:3], 0 offset:256
	buffer_load_dword v56, off, s[0:3], 0 offset:260
	v_fmac_f32_e32 v58, v155, v21
	v_add_f32_e32 v53, v53, v57
	v_add_f32_e32 v53, v53, v58
	buffer_load_dword v57, off, s[0:3], 0 offset:264
	buffer_load_dword v58, off, s[0:3], 0 offset:268
	v_fmac_f32_e32 v59, v157, v18
	s_waitcnt vmcnt(34)
	v_fmac_f32_e32 v60, v159, v23
	v_add_f32_e32 v53, v53, v59
	v_add_f32_e32 v53, v53, v60
	ds_read2_b64 v[176:179], v2 offset0:83 offset1:84
	buffer_load_dword v59, off, s[0:3], 0 offset:272
	buffer_load_dword v60, off, s[0:3], 0 offset:276
	v_fmac_f32_e32 v61, v161, v20
	v_fmac_f32_e32 v62, v163, v17
	v_add_f32_e32 v53, v53, v61
	v_fmac_f32_e32 v63, v165, v16
	v_add_f32_e32 v53, v53, v62
	s_waitcnt vmcnt(35)
	v_mul_f32_e32 v54, v166, v19
	v_add_f32_e32 v53, v53, v63
	s_waitcnt vmcnt(31)
	v_fmac_f32_e32 v54, v167, v29
	v_add_f32_e32 v53, v53, v54
	s_waitcnt vmcnt(30) lgkmcnt(2)
	v_mul_f32_e32 v54, v168, v30
	v_fmac_f32_e32 v54, v169, v28
	v_add_f32_e32 v53, v53, v54
	s_waitcnt vmcnt(29)
	v_mul_f32_e32 v54, v170, v31
	v_fmac_f32_e32 v54, v171, v27
	v_add_f32_e32 v53, v53, v54
	s_waitcnt vmcnt(28) lgkmcnt(1)
	v_mul_f32_e32 v54, v172, v32
	v_fmac_f32_e32 v54, v173, v26
	v_add_f32_e32 v53, v53, v54
	s_waitcnt vmcnt(27)
	v_mul_f32_e32 v54, v174, v33
	s_waitcnt vmcnt(21)
	v_fmac_f32_e32 v54, v175, v39
	ds_read2_b64 v[180:183], v2 offset0:85 offset1:86
	v_add_f32_e32 v53, v53, v54
	s_waitcnt vmcnt(20) lgkmcnt(1)
	v_mul_f32_e32 v54, v176, v40
	v_fmac_f32_e32 v54, v177, v38
	v_add_f32_e32 v53, v53, v54
	v_mul_f32_e32 v54, v178, v35
	v_fmac_f32_e32 v54, v179, v34
	v_add_f32_e32 v53, v53, v54
	s_waitcnt lgkmcnt(0)
	v_mul_f32_e32 v54, v180, v37
	v_fmac_f32_e32 v54, v181, v36
	v_add_f32_e32 v53, v53, v54
	buffer_load_dword v54, off, s[0:3], 0 offset:280
	buffer_load_dword v61, off, s[0:3], 0 offset:284
	buffer_load_dword v62, off, s[0:3], 0 offset:292
	buffer_load_dword v63, off, s[0:3], 0 offset:296
	buffer_load_dword v64, off, s[0:3], 0 offset:300
	buffer_load_dword v65, off, s[0:3], 0 offset:288
	s_waitcnt vmcnt(22)
	v_mul_f32_e32 v66, v182, v42
	v_fmac_f32_e32 v66, v183, v41
	ds_read2_b64 v[184:187], v2 offset0:87 offset1:88
	v_add_f32_e32 v53, v53, v66
	buffer_load_dword v66, off, s[0:3], 0 offset:304
	buffer_load_dword v67, off, s[0:3], 0 offset:308
	ds_read2_b64 v[188:191], v2 offset0:89 offset1:90
	buffer_load_dword v69, off, s[0:3], 0 offset:312
	buffer_load_dword v70, off, s[0:3], 0 offset:316
	;; [unrolled: 1-line block ×14, first 2 shown]
	s_waitcnt vmcnt(36) lgkmcnt(1)
	v_mul_f32_e32 v68, v184, v44
	v_fmac_f32_e32 v68, v185, v43
	v_add_f32_e32 v53, v53, v68
	s_waitcnt vmcnt(34)
	v_mul_f32_e32 v68, v186, v46
	buffer_load_dword v83, off, s[0:3], 0 offset:368
	buffer_load_dword v84, off, s[0:3], 0 offset:372
	v_fmac_f32_e32 v68, v187, v45
	v_add_f32_e32 v53, v53, v68
	s_waitcnt vmcnt(34) lgkmcnt(0)
	v_mul_f32_e32 v68, v188, v48
	v_fmac_f32_e32 v68, v189, v47
	v_add_f32_e32 v53, v53, v68
	s_waitcnt vmcnt(32)
	v_mul_f32_e32 v68, v190, v50
	ds_read2_b64 v[192:195], v2 offset0:91 offset1:92
	v_fmac_f32_e32 v68, v191, v49
	v_add_f32_e32 v53, v53, v68
	buffer_load_dword v68, off, s[0:3], 0 offset:376
	buffer_load_dword v85, off, s[0:3], 0 offset:380
	;; [unrolled: 1-line block ×6, first 2 shown]
	ds_read2_b64 v[196:199], v2 offset0:93 offset1:94
	s_waitcnt vmcnt(36) lgkmcnt(1)
	v_mul_f32_e32 v90, v192, v52
	v_fmac_f32_e32 v90, v193, v51
	v_add_f32_e32 v53, v53, v90
	buffer_load_dword v90, off, s[0:3], 0 offset:400
	buffer_load_dword v91, off, s[0:3], 0 offset:404
	v_mul_f32_e32 v11, v145, v11
	v_fma_f32 v11, v144, v24, -v11
	v_mul_f32_e32 v8, v147, v8
	buffer_load_dword v93, off, s[0:3], 0 offset:408
	buffer_load_dword v94, off, s[0:3], 0 offset:412
	buffer_load_dword v95, off, s[0:3], 0 offset:420
	buffer_load_dword v96, off, s[0:3], 0 offset:424
	buffer_load_dword v97, off, s[0:3], 0 offset:428
	buffer_load_dword v248, off, s[0:3], 0 offset:416
	v_add_f32_e32 v11, 0, v11
	v_fma_f32 v8, v146, v143, -v8
	v_mul_f32_e32 v7, v149, v7
	v_add_f32_e32 v8, v11, v8
	s_waitcnt vmcnt(42)
	v_mul_f32_e32 v92, v194, v56
	v_fma_f32 v7, v148, v22, -v7
	v_mul_f32_e32 v6, v151, v6
	v_fmac_f32_e32 v92, v195, v55
	v_add_f32_e32 v7, v8, v7
	v_fma_f32 v6, v150, v25, -v6
	v_mul_f32_e32 v5, v153, v5
	v_add_f32_e32 v53, v53, v92
	s_waitcnt vmcnt(40) lgkmcnt(0)
	v_mul_f32_e32 v92, v196, v58
	v_add_f32_e32 v6, v7, v6
	v_fma_f32 v5, v152, v142, -v5
	v_mul_f32_e32 v4, v155, v4
	v_fmac_f32_e32 v92, v197, v57
	v_add_f32_e32 v5, v6, v5
	v_fma_f32 v4, v154, v21, -v4
	v_mul_f32_e32 v3, v157, v3
	v_add_f32_e32 v53, v53, v92
	buffer_load_dword v92, off, s[0:3], 0 offset:432
	buffer_load_dword v249, off, s[0:3], 0 offset:436
	v_add_f32_e32 v4, v5, v4
	v_fma_f32 v3, v156, v18, -v3
	v_add_f32_e32 v3, v4, v3
	v_mul_f32_e32 v4, v159, v12
	v_fma_f32 v4, v158, v23, -v4
	v_add_f32_e32 v3, v3, v4
	v_mul_f32_e32 v4, v161, v13
	;; [unrolled: 3-line block ×3, first 2 shown]
	buffer_load_dword v250, off, s[0:3], 0 offset:440
	buffer_load_dword v251, off, s[0:3], 0 offset:444
	;; [unrolled: 1-line block ×6, first 2 shown]
	v_fma_f32 v4, v162, v17, -v4
	s_waitcnt vmcnt(46)
	v_mul_f32_e32 v204, v198, v60
	v_add_f32_e32 v3, v3, v4
	v_mul_f32_e32 v4, v165, v15
	v_fmac_f32_e32 v204, v199, v59
	v_fma_f32 v4, v164, v16, -v4
	ds_read2_b64 v[200:203], v2 offset0:95 offset1:96
	v_add_f32_e32 v53, v53, v204
	ds_read2_b64 v[204:207], v2 offset0:97 offset1:98
	buffer_load_dword v98, off, s[0:3], 0 offset:464
	buffer_load_dword v99, off, s[0:3], 0 offset:468
	v_add_f32_e32 v3, v3, v4
	v_mul_f32_e32 v4, v167, v19
	v_fma_f32 v4, v166, v29, -v4
	v_add_f32_e32 v3, v3, v4
	v_mul_f32_e32 v4, v169, v30
	v_fma_f32 v4, v168, v28, -v4
	;; [unrolled: 3-line block ×9, first 2 shown]
	v_add_f32_e32 v3, v3, v4
	v_mul_f32_e32 v4, v185, v44
	s_waitcnt vmcnt(46) lgkmcnt(1)
	v_mul_f32_e32 v208, v200, v61
	v_fma_f32 v4, v184, v43, -v4
	v_fmac_f32_e32 v208, v201, v54
	v_add_f32_e32 v3, v3, v4
	v_mul_f32_e32 v4, v187, v46
	v_add_f32_e32 v53, v53, v208
	s_waitcnt vmcnt(45)
	v_mul_f32_e32 v208, v202, v62
	v_fma_f32 v4, v186, v45, -v4
	s_waitcnt vmcnt(42)
	v_fmac_f32_e32 v208, v203, v65
	v_add_f32_e32 v3, v3, v4
	v_mul_f32_e32 v4, v189, v48
	v_add_f32_e32 v53, v53, v208
	s_waitcnt lgkmcnt(0)
	v_mul_f32_e32 v208, v204, v64
	v_fma_f32 v4, v188, v47, -v4
	v_fmac_f32_e32 v208, v205, v63
	v_add_f32_e32 v3, v3, v4
	v_mul_f32_e32 v4, v191, v50
	v_add_f32_e32 v53, v53, v208
	ds_read2_b64 v[208:211], v2 offset0:99 offset1:100
	v_fma_f32 v4, v190, v49, -v4
	v_add_f32_e32 v3, v3, v4
	v_mul_f32_e32 v4, v193, v52
	s_waitcnt vmcnt(40)
	v_mul_f32_e32 v212, v206, v67
	v_fma_f32 v4, v192, v51, -v4
	v_fmac_f32_e32 v212, v207, v66
	v_add_f32_e32 v3, v3, v4
	v_mul_f32_e32 v4, v195, v56
	v_add_f32_e32 v53, v53, v212
	ds_read2_b64 v[212:215], v2 offset0:101 offset1:102
	v_fma_f32 v4, v194, v55, -v4
	s_waitcnt vmcnt(38) lgkmcnt(1)
	v_mul_f32_e32 v216, v208, v70
	v_add_f32_e32 v3, v3, v4
	v_mul_f32_e32 v4, v197, v58
	v_fmac_f32_e32 v216, v209, v69
	v_fma_f32 v4, v196, v57, -v4
	v_add_f32_e32 v53, v53, v216
	s_waitcnt vmcnt(37)
	v_mul_f32_e32 v216, v210, v71
	v_add_f32_e32 v3, v3, v4
	v_mul_f32_e32 v4, v199, v60
	s_waitcnt vmcnt(34)
	v_fmac_f32_e32 v216, v211, v74
	v_fma_f32 v4, v198, v59, -v4
	v_add_f32_e32 v53, v53, v216
	s_waitcnt lgkmcnt(0)
	v_mul_f32_e32 v216, v212, v73
	v_add_f32_e32 v3, v3, v4
	v_mul_f32_e32 v4, v201, v61
	v_fmac_f32_e32 v216, v213, v72
	v_fma_f32 v4, v200, v54, -v4
	v_add_f32_e32 v53, v53, v216
	ds_read2_b64 v[216:219], v2 offset0:103 offset1:104
	v_add_f32_e32 v3, v3, v4
	v_mul_f32_e32 v4, v203, v62
	v_fma_f32 v4, v202, v65, -v4
	s_waitcnt vmcnt(32)
	v_mul_f32_e32 v220, v214, v76
	v_add_f32_e32 v3, v3, v4
	v_mul_f32_e32 v4, v205, v64
	v_fmac_f32_e32 v220, v215, v75
	v_fma_f32 v4, v204, v63, -v4
	v_add_f32_e32 v53, v53, v220
	ds_read2_b64 v[220:223], v2 offset0:105 offset1:106
	v_add_f32_e32 v3, v3, v4
	v_mul_f32_e32 v4, v207, v67
	s_waitcnt vmcnt(30) lgkmcnt(1)
	v_mul_f32_e32 v224, v216, v78
	v_fma_f32 v4, v206, v66, -v4
	v_fmac_f32_e32 v224, v217, v77
	v_add_f32_e32 v3, v3, v4
	v_mul_f32_e32 v4, v209, v70
	v_add_f32_e32 v53, v53, v224
	s_waitcnt vmcnt(29)
	v_mul_f32_e32 v224, v218, v79
	v_fma_f32 v4, v208, v69, -v4
	s_waitcnt vmcnt(26)
	v_fmac_f32_e32 v224, v219, v82
	v_add_f32_e32 v3, v3, v4
	v_mul_f32_e32 v4, v211, v71
	v_add_f32_e32 v53, v53, v224
	s_waitcnt lgkmcnt(0)
	v_mul_f32_e32 v224, v220, v81
	v_fma_f32 v4, v210, v74, -v4
	v_fmac_f32_e32 v224, v221, v80
	v_add_f32_e32 v3, v3, v4
	v_mul_f32_e32 v4, v213, v73
	v_add_f32_e32 v53, v53, v224
	ds_read2_b64 v[224:227], v2 offset0:107 offset1:108
	v_fma_f32 v4, v212, v72, -v4
	v_add_f32_e32 v3, v3, v4
	v_mul_f32_e32 v4, v215, v76
	s_waitcnt vmcnt(24)
	v_mul_f32_e32 v228, v222, v84
	v_fma_f32 v4, v214, v75, -v4
	v_fmac_f32_e32 v228, v223, v83
	v_add_f32_e32 v3, v3, v4
	v_mul_f32_e32 v4, v217, v78
	v_add_f32_e32 v53, v53, v228
	ds_read2_b64 v[228:231], v2 offset0:109 offset1:110
	v_fma_f32 v4, v216, v77, -v4
	s_waitcnt vmcnt(22) lgkmcnt(1)
	v_mul_f32_e32 v232, v224, v85
	v_add_f32_e32 v3, v3, v4
	v_mul_f32_e32 v4, v219, v79
	v_fmac_f32_e32 v232, v225, v68
	v_fma_f32 v4, v218, v82, -v4
	v_add_f32_e32 v53, v53, v232
	s_waitcnt vmcnt(21)
	v_mul_f32_e32 v232, v226, v86
	v_add_f32_e32 v3, v3, v4
	v_mul_f32_e32 v4, v221, v81
	s_waitcnt vmcnt(18)
	v_fmac_f32_e32 v232, v227, v89
	v_fma_f32 v4, v220, v80, -v4
	v_add_f32_e32 v53, v53, v232
	s_waitcnt lgkmcnt(0)
	v_mul_f32_e32 v232, v228, v88
	v_add_f32_e32 v3, v3, v4
	v_mul_f32_e32 v4, v223, v84
	v_fmac_f32_e32 v232, v229, v87
	v_fma_f32 v4, v222, v83, -v4
	v_add_f32_e32 v53, v53, v232
	ds_read2_b64 v[232:235], v2 offset0:111 offset1:112
	v_add_f32_e32 v3, v3, v4
	v_mul_f32_e32 v4, v225, v85
	v_fma_f32 v4, v224, v68, -v4
	s_waitcnt vmcnt(16)
	v_mul_f32_e32 v236, v230, v91
	v_add_f32_e32 v3, v3, v4
	v_mul_f32_e32 v4, v227, v86
	v_fmac_f32_e32 v236, v231, v90
	v_fma_f32 v4, v226, v89, -v4
	v_add_f32_e32 v53, v53, v236
	ds_read2_b64 v[236:239], v2 offset0:113 offset1:114
	v_add_f32_e32 v3, v3, v4
	v_mul_f32_e32 v4, v229, v88
	s_waitcnt vmcnt(14) lgkmcnt(1)
	v_mul_f32_e32 v240, v232, v94
	v_fma_f32 v4, v228, v87, -v4
	v_fmac_f32_e32 v240, v233, v93
	v_add_f32_e32 v3, v3, v4
	v_mul_f32_e32 v4, v231, v91
	v_add_f32_e32 v53, v53, v240
	s_waitcnt vmcnt(13)
	v_mul_f32_e32 v240, v234, v95
	v_fma_f32 v4, v230, v90, -v4
	s_waitcnt vmcnt(10)
	v_fmac_f32_e32 v240, v235, v248
	v_add_f32_e32 v3, v3, v4
	v_mul_f32_e32 v4, v233, v94
	v_add_f32_e32 v53, v53, v240
	s_waitcnt lgkmcnt(0)
	v_mul_f32_e32 v240, v236, v97
	v_fma_f32 v4, v232, v93, -v4
	v_fmac_f32_e32 v240, v237, v96
	v_add_f32_e32 v3, v3, v4
	v_mul_f32_e32 v4, v235, v95
	v_add_f32_e32 v53, v53, v240
	ds_read2_b64 v[240:243], v2 offset0:115 offset1:116
	v_fma_f32 v4, v234, v248, -v4
	v_add_f32_e32 v3, v3, v4
	v_mul_f32_e32 v4, v237, v97
	s_waitcnt vmcnt(8)
	v_mul_f32_e32 v244, v238, v249
	v_fma_f32 v4, v236, v96, -v4
	v_fmac_f32_e32 v244, v239, v92
	v_add_f32_e32 v3, v3, v4
	v_mul_f32_e32 v4, v239, v249
	v_add_f32_e32 v53, v53, v244
	ds_read2_b64 v[244:247], v2 offset0:117 offset1:118
	v_fma_f32 v4, v238, v92, -v4
	v_add_f32_e32 v3, v3, v4
	s_waitcnt vmcnt(6) lgkmcnt(1)
	v_mul_f32_e32 v4, v241, v251
	v_mul_f32_e32 v2, v240, v251
	v_fma_f32 v4, v240, v250, -v4
	v_fmac_f32_e32 v2, v241, v250
	v_add_f32_e32 v3, v3, v4
	s_waitcnt vmcnt(5)
	v_mul_f32_e32 v4, v243, v252
	v_add_f32_e32 v2, v53, v2
	v_mul_f32_e32 v53, v242, v252
	s_waitcnt vmcnt(2)
	v_fma_f32 v4, v242, v255, -v4
	v_fmac_f32_e32 v53, v243, v255
	v_add_f32_e32 v3, v3, v4
	s_waitcnt lgkmcnt(0)
	v_mul_f32_e32 v4, v245, v254
	v_add_f32_e32 v2, v2, v53
	v_mul_f32_e32 v53, v244, v254
	v_fma_f32 v4, v244, v253, -v4
	v_fmac_f32_e32 v53, v245, v253
	v_add_f32_e32 v3, v3, v4
	s_waitcnt vmcnt(0)
	v_mul_f32_e32 v4, v247, v99
	v_add_f32_e32 v2, v2, v53
	v_mul_f32_e32 v53, v246, v99
	v_fma_f32 v4, v246, v98, -v4
	v_fmac_f32_e32 v53, v247, v98
	v_add_f32_e32 v3, v3, v4
	v_add_f32_e32 v2, v2, v53
	v_sub_f32_e32 v3, v9, v3
	v_sub_f32_e32 v2, v10, v2
	buffer_store_dword v3, off, s[0:3], 0 offset:48
	buffer_store_dword v2, off, s[0:3], 0 offset:52
	s_and_saveexec_b64 s[4:5], vcc
	s_cbranch_execz .LBB58_357
; %bb.356:
	buffer_load_dword v2, off, s[0:3], 0 offset:40
	buffer_load_dword v3, off, s[0:3], 0 offset:44
	v_mov_b32_e32 v4, 0
	buffer_store_dword v4, off, s[0:3], 0 offset:40
	buffer_store_dword v4, off, s[0:3], 0 offset:44
	s_waitcnt vmcnt(2)
	ds_write_b64 v1, v[2:3]
.LBB58_357:
	s_or_b64 exec, exec, s[4:5]
	s_waitcnt lgkmcnt(0)
	; wave barrier
	buffer_load_dword v11, off, s[0:3], 0 offset:52
	buffer_load_dword v10, off, s[0:3], 0 offset:60
	;; [unrolled: 1-line block ×40, first 2 shown]
	v_mov_b32_e32 v2, 0
	buffer_load_dword v38, off, s[0:3], 0 offset:200
	buffer_load_dword v39, off, s[0:3], 0 offset:204
	;; [unrolled: 1-line block ×11, first 2 shown]
	ds_read_b128 v[157:160], v2 offset:528
	ds_read_b128 v[161:164], v2 offset:544
	;; [unrolled: 1-line block ×8, first 2 shown]
	v_cmp_lt_u32_e32 vcc, 4, v0
	s_waitcnt vmcnt(50) lgkmcnt(7)
	v_mul_f32_e32 v24, v157, v11
	s_waitcnt vmcnt(49)
	v_mul_f32_e32 v25, v159, v10
	s_waitcnt vmcnt(48) lgkmcnt(6)
	v_mul_f32_e32 v26, v161, v9
	s_waitcnt vmcnt(47)
	v_mul_f32_e32 v27, v163, v8
	;; [unrolled: 4-line block ×5, first 2 shown]
	s_waitcnt vmcnt(40) lgkmcnt(2)
	v_mul_f32_e32 v49, v177, v15
	s_waitcnt vmcnt(39)
	v_fmac_f32_e32 v26, v162, v22
	s_waitcnt vmcnt(38)
	v_fmac_f32_e32 v25, v160, v143
	;; [unrolled: 2-line block ×3, first 2 shown]
	v_add_f32_e32 v24, 0, v24
	v_add_f32_e32 v24, v24, v25
	;; [unrolled: 1-line block ×3, first 2 shown]
	s_waitcnt vmcnt(33)
	v_fmac_f32_e32 v27, v164, v144
	v_fmac_f32_e32 v28, v166, v142
	v_add_f32_e32 v24, v24, v27
	v_fmac_f32_e32 v29, v168, v21
	v_add_f32_e32 v24, v24, v28
	;; [unrolled: 2-line block ×3, first 2 shown]
	s_waitcnt vmcnt(29)
	v_fmac_f32_e32 v31, v172, v23
	v_add_f32_e32 v24, v24, v30
	v_fmac_f32_e32 v32, v174, v20
	v_add_f32_e32 v24, v24, v31
	;; [unrolled: 2-line block ×4, first 2 shown]
	v_add_f32_e32 v24, v24, v49
	buffer_load_dword v49, off, s[0:3], 0 offset:240
	buffer_load_dword v50, off, s[0:3], 0 offset:248
	;; [unrolled: 1-line block ×5, first 2 shown]
	ds_read_b128 v[189:192], v2 offset:656
	buffer_load_dword v54, off, s[0:3], 0 offset:264
	buffer_load_dword v55, off, s[0:3], 0 offset:268
	ds_read_b128 v[193:196], v2 offset:672
	buffer_load_dword v56, off, s[0:3], 0 offset:272
	buffer_load_dword v57, off, s[0:3], 0 offset:276
	;; [unrolled: 3-line block ×3, first 2 shown]
	buffer_load_dword v60, off, s[0:3], 0 offset:292
	buffer_load_dword v61, off, s[0:3], 0 offset:280
	ds_read_b128 v[201:204], v2 offset:704
	buffer_load_dword v62, off, s[0:3], 0 offset:296
	buffer_load_dword v63, off, s[0:3], 0 offset:300
	;; [unrolled: 1-line block ×16, first 2 shown]
	ds_read_b128 v[205:208], v2 offset:720
	buffer_load_dword v78, off, s[0:3], 0 offset:360
	buffer_load_dword v79, off, s[0:3], 0 offset:364
	ds_read_b128 v[209:212], v2 offset:736
	buffer_load_dword v80, off, s[0:3], 0 offset:368
	buffer_load_dword v81, off, s[0:3], 0 offset:372
	;; [unrolled: 1-line block ×8, first 2 shown]
	v_mul_f32_e32 v11, v158, v11
	buffer_load_dword v88, off, s[0:3], 0 offset:400
	buffer_load_dword v89, off, s[0:3], 0 offset:404
	;; [unrolled: 1-line block ×6, first 2 shown]
	v_fma_f32 v11, v157, v145, -v11
	v_mul_f32_e32 v10, v160, v10
	v_add_f32_e32 v11, 0, v11
	v_fma_f32 v10, v159, v143, -v10
	v_mul_f32_e32 v9, v162, v9
	v_add_f32_e32 v10, v11, v10
	;; [unrolled: 3-line block ×5, first 2 shown]
	v_fma_f32 v6, v167, v21, -v6
	v_mul_f32_e32 v5, v170, v5
	buffer_load_dword v94, off, s[0:3], 0 offset:424
	buffer_load_dword v95, off, s[0:3], 0 offset:428
	v_add_f32_e32 v6, v7, v6
	v_fma_f32 v5, v169, v18, -v5
	v_add_f32_e32 v5, v6, v5
	v_mul_f32_e32 v6, v172, v12
	v_fma_f32 v6, v171, v23, -v6
	v_add_f32_e32 v5, v5, v6
	v_mul_f32_e32 v6, v174, v13
	v_fma_f32 v6, v173, v20, -v6
	s_waitcnt vmcnt(62)
	v_mul_f32_e32 v25, v179, v19
	ds_read_b128 v[213:216], v2 offset:752
	buffer_load_dword v96, off, s[0:3], 0 offset:432
	buffer_load_dword v97, off, s[0:3], 0 offset:436
	;; [unrolled: 1-line block ×6, first 2 shown]
	v_add_f32_e32 v5, v5, v6
	v_mul_f32_e32 v6, v176, v14
	v_fmac_f32_e32 v25, v180, v152
	v_fma_f32 v6, v175, v17, -v6
	v_add_f32_e32 v24, v24, v25
	s_waitcnt lgkmcnt(8)
	v_mul_f32_e32 v25, v181, v151
	v_add_f32_e32 v5, v5, v6
	v_mul_f32_e32 v6, v178, v15
	v_fmac_f32_e32 v25, v182, v149
	v_fma_f32 v6, v177, v16, -v6
	v_add_f32_e32 v24, v24, v25
	v_mul_f32_e32 v25, v183, v150
	v_add_f32_e32 v5, v5, v6
	v_mul_f32_e32 v6, v180, v19
	v_fmac_f32_e32 v25, v184, v147
	ds_read_b128 v[217:220], v2 offset:768
	buffer_load_dword v255, off, s[0:3], 0 offset:460
	buffer_load_dword v100, off, s[0:3], 0 offset:464
	;; [unrolled: 1-line block ×4, first 2 shown]
	v_fma_f32 v6, v179, v152, -v6
	v_add_f32_e32 v24, v24, v25
	s_waitcnt lgkmcnt(8)
	v_mul_f32_e32 v25, v185, v148
	v_add_f32_e32 v5, v5, v6
	v_mul_f32_e32 v6, v182, v151
	v_fmac_f32_e32 v25, v186, v146
	v_fma_f32 v6, v181, v149, -v6
	v_add_f32_e32 v24, v24, v25
	v_mul_f32_e32 v25, v187, v153
	v_add_f32_e32 v5, v5, v6
	v_mul_f32_e32 v6, v184, v150
	s_waitcnt vmcnt(62)
	v_fmac_f32_e32 v25, v188, v37
	v_fma_f32 v6, v183, v147, -v6
	v_add_f32_e32 v24, v24, v25
	s_waitcnt lgkmcnt(7)
	v_mul_f32_e32 v25, v189, v155
	v_add_f32_e32 v5, v5, v6
	v_mul_f32_e32 v6, v186, v148
	v_fmac_f32_e32 v25, v190, v154
	v_fma_f32 v6, v185, v146, -v6
	v_add_f32_e32 v24, v24, v25
	v_mul_f32_e32 v25, v191, v34
	v_add_f32_e32 v5, v5, v6
	v_mul_f32_e32 v6, v188, v153
	v_fmac_f32_e32 v25, v192, v156
	v_fma_f32 v6, v187, v37, -v6
	v_add_f32_e32 v24, v24, v25
	s_waitcnt lgkmcnt(6)
	v_mul_f32_e32 v25, v193, v36
	v_add_f32_e32 v5, v5, v6
	v_mul_f32_e32 v6, v190, v155
	v_fmac_f32_e32 v25, v194, v35
	v_fma_f32 v6, v189, v154, -v6
	v_add_f32_e32 v24, v24, v25
	v_mul_f32_e32 v25, v195, v39
	v_add_f32_e32 v5, v5, v6
	v_mul_f32_e32 v6, v192, v34
	;; [unrolled: 13-line block ×3, first 2 shown]
	v_fmac_f32_e32 v25, v200, v42
	v_fma_f32 v6, v195, v38, -v6
	v_add_f32_e32 v24, v24, v25
	s_waitcnt vmcnt(60) lgkmcnt(4)
	v_mul_f32_e32 v25, v201, v45
	v_add_f32_e32 v5, v5, v6
	v_mul_f32_e32 v6, v198, v41
	v_fmac_f32_e32 v25, v202, v44
	v_fma_f32 v6, v197, v40, -v6
	v_add_f32_e32 v24, v24, v25
	s_waitcnt vmcnt(58)
	v_mul_f32_e32 v25, v203, v47
	v_add_f32_e32 v5, v5, v6
	v_mul_f32_e32 v6, v200, v43
	v_fmac_f32_e32 v25, v204, v46
	v_fma_f32 v6, v199, v42, -v6
	v_add_f32_e32 v24, v24, v25
	s_waitcnt vmcnt(57) lgkmcnt(3)
	v_mul_f32_e32 v25, v205, v48
	v_add_f32_e32 v5, v5, v6
	v_mul_f32_e32 v6, v202, v45
	s_waitcnt vmcnt(56)
	v_fmac_f32_e32 v25, v206, v49
	v_fma_f32 v6, v201, v44, -v6
	v_add_f32_e32 v24, v24, v25
	s_waitcnt vmcnt(54)
	v_mul_f32_e32 v25, v207, v51
	v_add_f32_e32 v5, v5, v6
	v_mul_f32_e32 v6, v204, v47
	v_fmac_f32_e32 v25, v208, v50
	v_fma_f32 v6, v203, v46, -v6
	v_add_f32_e32 v24, v24, v25
	s_waitcnt vmcnt(52) lgkmcnt(2)
	v_mul_f32_e32 v25, v209, v53
	v_add_f32_e32 v5, v5, v6
	v_mul_f32_e32 v6, v206, v48
	v_fmac_f32_e32 v25, v210, v52
	v_fma_f32 v6, v205, v49, -v6
	v_add_f32_e32 v24, v24, v25
	s_waitcnt vmcnt(50)
	v_mul_f32_e32 v25, v211, v55
	v_add_f32_e32 v5, v5, v6
	v_mul_f32_e32 v6, v208, v51
	v_fmac_f32_e32 v25, v212, v54
	v_fma_f32 v6, v207, v50, -v6
	v_add_f32_e32 v24, v24, v25
	s_waitcnt vmcnt(48) lgkmcnt(1)
	v_mul_f32_e32 v25, v213, v57
	v_add_f32_e32 v5, v5, v6
	v_mul_f32_e32 v6, v210, v53
	v_fmac_f32_e32 v25, v214, v56
	v_fma_f32 v6, v209, v52, -v6
	v_add_f32_e32 v24, v24, v25
	s_waitcnt vmcnt(47)
	v_mul_f32_e32 v25, v215, v58
	v_add_f32_e32 v5, v5, v6
	v_mul_f32_e32 v6, v212, v55
	s_waitcnt vmcnt(44)
	v_fmac_f32_e32 v25, v216, v61
	ds_read_b128 v[221:224], v2 offset:784
	ds_read_b128 v[225:228], v2 offset:800
	v_fma_f32 v6, v211, v54, -v6
	v_add_f32_e32 v24, v24, v25
	s_waitcnt lgkmcnt(2)
	v_mul_f32_e32 v25, v217, v60
	v_add_f32_e32 v5, v5, v6
	v_mul_f32_e32 v6, v214, v57
	v_fmac_f32_e32 v25, v218, v59
	v_fma_f32 v6, v213, v56, -v6
	v_add_f32_e32 v24, v24, v25
	s_waitcnt vmcnt(42)
	v_mul_f32_e32 v25, v219, v63
	v_add_f32_e32 v5, v5, v6
	v_mul_f32_e32 v6, v216, v58
	v_fmac_f32_e32 v25, v220, v62
	v_fma_f32 v6, v215, v61, -v6
	v_add_f32_e32 v24, v24, v25
	s_waitcnt vmcnt(40) lgkmcnt(1)
	v_mul_f32_e32 v25, v221, v65
	v_add_f32_e32 v5, v5, v6
	v_mul_f32_e32 v6, v218, v60
	v_fmac_f32_e32 v25, v222, v64
	v_fma_f32 v6, v217, v59, -v6
	v_add_f32_e32 v24, v24, v25
	s_waitcnt vmcnt(39)
	v_mul_f32_e32 v25, v223, v66
	v_add_f32_e32 v5, v5, v6
	v_mul_f32_e32 v6, v220, v63
	s_waitcnt vmcnt(36)
	v_fmac_f32_e32 v25, v224, v69
	ds_read_b128 v[229:232], v2 offset:816
	ds_read_b128 v[233:236], v2 offset:832
	v_fma_f32 v6, v219, v62, -v6
	v_add_f32_e32 v24, v24, v25
	s_waitcnt lgkmcnt(2)
	;; [unrolled: 31-line block ×4, first 2 shown]
	v_mul_f32_e32 v25, v241, v84
	v_add_f32_e32 v5, v5, v6
	v_mul_f32_e32 v6, v238, v81
	v_fmac_f32_e32 v25, v242, v83
	v_fma_f32 v6, v237, v80, -v6
	v_add_f32_e32 v24, v24, v25
	s_waitcnt vmcnt(18)
	v_mul_f32_e32 v25, v243, v87
	v_add_f32_e32 v5, v5, v6
	v_mul_f32_e32 v6, v240, v82
	v_fmac_f32_e32 v25, v244, v86
	v_fma_f32 v6, v239, v85, -v6
	v_add_f32_e32 v24, v24, v25
	s_waitcnt vmcnt(16) lgkmcnt(1)
	v_mul_f32_e32 v25, v245, v89
	v_add_f32_e32 v5, v5, v6
	v_mul_f32_e32 v6, v242, v84
	v_fmac_f32_e32 v25, v246, v88
	v_fma_f32 v6, v241, v83, -v6
	v_add_f32_e32 v24, v24, v25
	s_waitcnt vmcnt(15)
	v_mul_f32_e32 v25, v247, v90
	v_add_f32_e32 v5, v5, v6
	v_mul_f32_e32 v6, v244, v87
	s_waitcnt vmcnt(12)
	v_fmac_f32_e32 v25, v248, v93
	v_fma_f32 v6, v243, v86, -v6
	v_add_f32_e32 v24, v24, v25
	s_waitcnt lgkmcnt(0)
	v_mul_f32_e32 v25, v249, v92
	v_add_f32_e32 v5, v5, v6
	v_mul_f32_e32 v6, v246, v89
	v_fmac_f32_e32 v25, v250, v91
	v_fma_f32 v6, v245, v88, -v6
	v_add_f32_e32 v28, v24, v25
	ds_read_b128 v[24:27], v2 offset:912
	v_add_f32_e32 v5, v5, v6
	v_mul_f32_e32 v6, v248, v90
	v_fma_f32 v6, v247, v93, -v6
	v_add_f32_e32 v5, v5, v6
	v_mul_f32_e32 v6, v250, v92
	s_waitcnt vmcnt(10)
	v_mul_f32_e32 v29, v251, v95
	v_fma_f32 v6, v249, v91, -v6
	v_fmac_f32_e32 v29, v252, v94
	v_add_f32_e32 v5, v5, v6
	v_mul_f32_e32 v6, v252, v95
	v_add_f32_e32 v32, v28, v29
	ds_read_b128 v[28:31], v2 offset:928
	s_waitcnt vmcnt(8) lgkmcnt(1)
	v_mul_f32_e32 v33, v24, v97
	v_fma_f32 v6, v251, v94, -v6
	v_fmac_f32_e32 v33, v25, v96
	v_add_f32_e32 v5, v5, v6
	v_mul_f32_e32 v6, v25, v97
	v_add_f32_e32 v32, v32, v33
	s_waitcnt vmcnt(7)
	v_mul_f32_e32 v33, v26, v98
	v_fma_f32 v6, v24, v96, -v6
	s_waitcnt vmcnt(4)
	v_fmac_f32_e32 v33, v27, v254
	v_add_f32_e32 v5, v5, v6
	v_mul_f32_e32 v6, v27, v98
	v_add_f32_e32 v103, v32, v33
	ds_read_b64 v[32:33], v2 offset:944
	v_fma_f32 v6, v26, v254, -v6
	v_add_f32_e32 v5, v5, v6
	s_waitcnt lgkmcnt(1)
	v_mul_f32_e32 v6, v29, v253
	v_mul_f32_e32 v104, v28, v253
	v_fma_f32 v6, v28, v99, -v6
	v_fmac_f32_e32 v104, v29, v99
	v_add_f32_e32 v5, v5, v6
	s_waitcnt vmcnt(3)
	v_mul_f32_e32 v6, v31, v255
	v_add_f32_e32 v103, v103, v104
	v_mul_f32_e32 v104, v30, v255
	s_waitcnt vmcnt(0)
	v_fma_f32 v6, v30, v102, -v6
	v_fmac_f32_e32 v104, v31, v102
	v_add_f32_e32 v5, v5, v6
	s_waitcnt lgkmcnt(0)
	v_mul_f32_e32 v6, v33, v101
	v_add_f32_e32 v103, v103, v104
	v_mul_f32_e32 v104, v32, v101
	v_fma_f32 v6, v32, v100, -v6
	v_fmac_f32_e32 v104, v33, v100
	v_add_f32_e32 v5, v5, v6
	v_add_f32_e32 v103, v103, v104
	v_sub_f32_e32 v3, v3, v5
	v_sub_f32_e32 v4, v4, v103
	buffer_store_dword v3, off, s[0:3], 0 offset:40
	buffer_store_dword v4, off, s[0:3], 0 offset:44
	s_and_saveexec_b64 s[4:5], vcc
	s_cbranch_execz .LBB58_359
; %bb.358:
	buffer_load_dword v3, off, s[0:3], 0 offset:32
	buffer_load_dword v4, off, s[0:3], 0 offset:36
	s_waitcnt vmcnt(0)
	ds_write_b64 v1, v[3:4]
	buffer_store_dword v2, off, s[0:3], 0 offset:32
	buffer_store_dword v2, off, s[0:3], 0 offset:36
.LBB58_359:
	s_or_b64 exec, exec, s[4:5]
	s_waitcnt lgkmcnt(0)
	; wave barrier
	buffer_load_dword v11, off, s[0:3], 0 offset:44
	buffer_load_dword v10, off, s[0:3], 0 offset:52
	;; [unrolled: 1-line block ×40, first 2 shown]
	ds_read2_b64 v[24:27], v2 offset0:65 offset1:66
	ds_read2_b64 v[28:31], v2 offset0:67 offset1:68
	;; [unrolled: 1-line block ×6, first 2 shown]
	buffer_load_dword v39, off, s[0:3], 0 offset:192
	buffer_load_dword v40, off, s[0:3], 0 offset:196
	;; [unrolled: 1-line block ×12, first 2 shown]
	ds_read2_b64 v[170:173], v2 offset0:77 offset1:78
	ds_read2_b64 v[174:177], v2 offset0:79 offset1:80
	v_cmp_lt_u32_e32 vcc, 3, v0
	s_waitcnt vmcnt(51) lgkmcnt(7)
	v_mul_f32_e32 v51, v24, v11
	s_waitcnt vmcnt(50)
	v_mul_f32_e32 v52, v26, v10
	s_waitcnt vmcnt(49) lgkmcnt(6)
	v_mul_f32_e32 v53, v28, v9
	s_waitcnt vmcnt(48)
	v_mul_f32_e32 v54, v30, v8
	;; [unrolled: 4-line block ×5, first 2 shown]
	s_waitcnt vmcnt(41) lgkmcnt(2)
	v_mul_f32_e32 v61, v166, v15
	s_waitcnt vmcnt(40)
	v_fmac_f32_e32 v53, v29, v22
	s_waitcnt vmcnt(39)
	v_fmac_f32_e32 v52, v27, v143
	;; [unrolled: 2-line block ×3, first 2 shown]
	v_add_f32_e32 v51, 0, v51
	v_add_f32_e32 v51, v51, v52
	;; [unrolled: 1-line block ×3, first 2 shown]
	s_waitcnt vmcnt(34)
	v_fmac_f32_e32 v54, v31, v144
	v_fmac_f32_e32 v55, v155, v142
	v_add_f32_e32 v51, v51, v54
	v_fmac_f32_e32 v56, v157, v21
	v_add_f32_e32 v51, v51, v55
	;; [unrolled: 2-line block ×3, first 2 shown]
	s_waitcnt vmcnt(30)
	v_fmac_f32_e32 v58, v161, v23
	v_add_f32_e32 v51, v51, v57
	v_fmac_f32_e32 v59, v163, v20
	v_add_f32_e32 v51, v51, v58
	;; [unrolled: 2-line block ×4, first 2 shown]
	s_waitcnt vmcnt(29)
	v_mul_f32_e32 v52, v168, v19
	v_add_f32_e32 v51, v51, v61
	s_waitcnt vmcnt(25)
	v_fmac_f32_e32 v52, v169, v152
	v_add_f32_e32 v51, v51, v52
	s_waitcnt vmcnt(24) lgkmcnt(1)
	v_mul_f32_e32 v52, v170, v151
	buffer_load_dword v53, off, s[0:3], 0 offset:244
	buffer_load_dword v54, off, s[0:3], 0 offset:240
	;; [unrolled: 1-line block ×4, first 2 shown]
	v_fmac_f32_e32 v52, v171, v149
	v_add_f32_e32 v51, v51, v52
	s_waitcnt vmcnt(27)
	v_mul_f32_e32 v52, v172, v150
	v_fmac_f32_e32 v52, v173, v147
	v_add_f32_e32 v51, v51, v52
	buffer_load_dword v52, off, s[0:3], 0 offset:256
	buffer_load_dword v57, off, s[0:3], 0 offset:260
	ds_read2_b64 v[178:181], v2 offset0:81 offset1:82
	ds_read2_b64 v[182:185], v2 offset0:83 offset1:84
	s_waitcnt vmcnt(28) lgkmcnt(2)
	v_mul_f32_e32 v58, v174, v148
	v_fmac_f32_e32 v58, v175, v146
	v_add_f32_e32 v51, v51, v58
	s_waitcnt vmcnt(27)
	v_mul_f32_e32 v58, v176, v153
	s_waitcnt vmcnt(21)
	v_fmac_f32_e32 v58, v177, v37
	v_add_f32_e32 v51, v51, v58
	s_waitcnt vmcnt(20) lgkmcnt(1)
	v_mul_f32_e32 v58, v178, v38
	v_fmac_f32_e32 v58, v179, v36
	v_add_f32_e32 v51, v51, v58
	v_mul_f32_e32 v58, v180, v33
	buffer_load_dword v59, off, s[0:3], 0 offset:268
	v_fmac_f32_e32 v58, v181, v32
	buffer_load_dword v60, off, s[0:3], 0 offset:264
	buffer_load_dword v61, off, s[0:3], 0 offset:272
	;; [unrolled: 1-line block ×3, first 2 shown]
	ds_read2_b64 v[186:189], v2 offset0:85 offset1:86
	v_add_f32_e32 v51, v51, v58
	s_waitcnt lgkmcnt(1)
	v_mul_f32_e32 v58, v182, v35
	v_fmac_f32_e32 v58, v183, v34
	v_add_f32_e32 v51, v51, v58
	s_waitcnt vmcnt(20)
	v_mul_f32_e32 v58, v184, v40
	v_fmac_f32_e32 v58, v185, v39
	buffer_load_dword v63, off, s[0:3], 0 offset:280
	buffer_load_dword v64, off, s[0:3], 0 offset:284
	v_add_f32_e32 v51, v51, v58
	s_waitcnt vmcnt(20) lgkmcnt(0)
	v_mul_f32_e32 v58, v186, v42
	v_fmac_f32_e32 v58, v187, v41
	ds_read2_b64 v[190:193], v2 offset0:87 offset1:88
	v_add_f32_e32 v51, v51, v58
	buffer_load_dword v58, off, s[0:3], 0 offset:288
	buffer_load_dword v65, off, s[0:3], 0 offset:292
	s_waitcnt vmcnt(20)
	v_mul_f32_e32 v66, v188, v44
	v_fmac_f32_e32 v66, v189, v43
	buffer_load_dword v67, off, s[0:3], 0 offset:296
	buffer_load_dword v68, off, s[0:3], 0 offset:300
	;; [unrolled: 1-line block ×6, first 2 shown]
	v_add_f32_e32 v51, v51, v66
	s_waitcnt vmcnt(24) lgkmcnt(0)
	v_mul_f32_e32 v66, v190, v46
	v_fmac_f32_e32 v66, v191, v45
	v_add_f32_e32 v51, v51, v66
	buffer_load_dword v66, off, s[0:3], 0 offset:320
	buffer_load_dword v73, off, s[0:3], 0 offset:324
	ds_read2_b64 v[194:197], v2 offset0:89 offset1:90
	buffer_load_dword v75, off, s[0:3], 0 offset:328
	buffer_load_dword v76, off, s[0:3], 0 offset:332
	;; [unrolled: 1-line block ×6, first 2 shown]
	ds_read2_b64 v[198:201], v2 offset0:91 offset1:92
	buffer_load_dword v81, off, s[0:3], 0 offset:352
	buffer_load_dword v82, off, s[0:3], 0 offset:356
	s_waitcnt vmcnt(32)
	v_mul_f32_e32 v74, v192, v48
	v_fmac_f32_e32 v74, v193, v47
	v_add_f32_e32 v51, v51, v74
	s_waitcnt vmcnt(30) lgkmcnt(1)
	v_mul_f32_e32 v74, v194, v50
	v_fmac_f32_e32 v74, v195, v49
	v_add_f32_e32 v51, v51, v74
	buffer_load_dword v74, off, s[0:3], 0 offset:360
	buffer_load_dword v83, off, s[0:3], 0 offset:364
	;; [unrolled: 1-line block ×8, first 2 shown]
	v_mul_f32_e32 v11, v25, v11
	v_fma_f32 v11, v24, v145, -v11
	v_mul_f32_e32 v10, v27, v10
	v_add_f32_e32 v11, 0, v11
	v_fma_f32 v10, v26, v143, -v10
	v_mul_f32_e32 v9, v29, v9
	v_add_f32_e32 v10, v11, v10
	v_fma_f32 v9, v28, v22, -v9
	v_mul_f32_e32 v8, v31, v8
	v_add_f32_e32 v9, v10, v9
	v_fma_f32 v8, v30, v144, -v8
	v_mul_f32_e32 v7, v155, v7
	v_add_f32_e32 v8, v9, v8
	v_fma_f32 v7, v154, v142, -v7
	v_mul_f32_e32 v4, v157, v4
	v_add_f32_e32 v7, v8, v7
	v_fma_f32 v4, v156, v21, -v4
	v_mul_f32_e32 v3, v159, v3
	v_add_f32_e32 v4, v7, v4
	v_fma_f32 v3, v158, v18, -v3
	v_add_f32_e32 v3, v4, v3
	s_waitcnt vmcnt(37)
	v_mul_f32_e32 v88, v196, v53
	s_waitcnt vmcnt(36)
	v_fmac_f32_e32 v88, v197, v54
	v_add_f32_e32 v51, v51, v88
	s_waitcnt vmcnt(34) lgkmcnt(0)
	v_mul_f32_e32 v88, v198, v56
	v_fmac_f32_e32 v88, v199, v55
	v_add_f32_e32 v51, v51, v88
	buffer_load_dword v88, off, s[0:3], 0 offset:392
	buffer_load_dword v91, off, s[0:3], 0 offset:396
	;; [unrolled: 1-line block ×6, first 2 shown]
	ds_read2_b64 v[202:205], v2 offset0:93 offset1:94
	v_mul_f32_e32 v4, v161, v12
	s_waitcnt vmcnt(38)
	v_mul_f32_e32 v96, v200, v57
	v_fmac_f32_e32 v96, v201, v52
	v_add_f32_e32 v51, v51, v96
	buffer_load_dword v96, off, s[0:3], 0 offset:416
	buffer_load_dword v97, off, s[0:3], 0 offset:420
	v_fma_f32 v4, v160, v23, -v4
	v_add_f32_e32 v3, v3, v4
	v_mul_f32_e32 v4, v163, v13
	v_fma_f32 v4, v162, v20, -v4
	v_add_f32_e32 v3, v3, v4
	v_mul_f32_e32 v4, v165, v14
	ds_read2_b64 v[206:209], v2 offset0:95 offset1:96
	buffer_load_dword v99, off, s[0:3], 0 offset:424
	buffer_load_dword v100, off, s[0:3], 0 offset:428
	;; [unrolled: 1-line block ×6, first 2 shown]
	v_fma_f32 v4, v164, v17, -v4
	v_add_f32_e32 v3, v3, v4
	v_mul_f32_e32 v4, v167, v15
	v_fma_f32 v4, v166, v16, -v4
	v_add_f32_e32 v3, v3, v4
	v_mul_f32_e32 v4, v169, v19
	;; [unrolled: 3-line block ×3, first 2 shown]
	buffer_load_dword v105, off, s[0:3], 0 offset:448
	buffer_load_dword v254, off, s[0:3], 0 offset:452
	;; [unrolled: 1-line block ×6, first 2 shown]
	v_fma_f32 v4, v170, v149, -v4
	v_add_f32_e32 v3, v3, v4
	v_mul_f32_e32 v4, v173, v150
	v_fma_f32 v4, v172, v147, -v4
	v_add_f32_e32 v3, v3, v4
	v_mul_f32_e32 v4, v175, v148
	;; [unrolled: 3-line block ×15, first 2 shown]
	v_fma_f32 v4, v200, v52, -v4
	v_add_f32_e32 v3, v3, v4
	s_waitcnt vmcnt(51) lgkmcnt(1)
	v_mul_f32_e32 v4, v203, v59
	v_mul_f32_e32 v98, v202, v59
	s_waitcnt vmcnt(50)
	v_fma_f32 v4, v202, v60, -v4
	v_fmac_f32_e32 v98, v203, v60
	v_add_f32_e32 v3, v3, v4
	s_waitcnt vmcnt(48)
	v_mul_f32_e32 v4, v205, v62
	v_add_f32_e32 v51, v51, v98
	v_mul_f32_e32 v98, v204, v62
	ds_read2_b64 v[210:213], v2 offset0:97 offset1:98
	ds_read2_b64 v[214:217], v2 offset0:99 offset1:100
	v_fma_f32 v4, v204, v61, -v4
	v_fmac_f32_e32 v98, v205, v61
	v_add_f32_e32 v3, v3, v4
	s_waitcnt vmcnt(46) lgkmcnt(2)
	v_mul_f32_e32 v4, v207, v64
	v_add_f32_e32 v51, v51, v98
	v_mul_f32_e32 v98, v206, v64
	v_fma_f32 v4, v206, v63, -v4
	v_fmac_f32_e32 v98, v207, v63
	v_add_f32_e32 v3, v3, v4
	s_waitcnt vmcnt(44)
	v_mul_f32_e32 v4, v209, v65
	v_add_f32_e32 v51, v51, v98
	v_mul_f32_e32 v98, v208, v65
	v_fma_f32 v4, v208, v58, -v4
	v_fmac_f32_e32 v98, v209, v58
	v_add_f32_e32 v3, v3, v4
	s_waitcnt vmcnt(42) lgkmcnt(1)
	v_mul_f32_e32 v4, v211, v68
	v_add_f32_e32 v51, v51, v98
	v_mul_f32_e32 v98, v210, v68
	v_fma_f32 v4, v210, v67, -v4
	v_fmac_f32_e32 v98, v211, v67
	v_add_f32_e32 v3, v3, v4
	s_waitcnt vmcnt(41)
	v_mul_f32_e32 v4, v213, v69
	v_add_f32_e32 v51, v51, v98
	v_mul_f32_e32 v98, v212, v69
	ds_read2_b64 v[218:221], v2 offset0:101 offset1:102
	ds_read2_b64 v[222:225], v2 offset0:103 offset1:104
	s_waitcnt vmcnt(38)
	v_fma_f32 v4, v212, v72, -v4
	v_fmac_f32_e32 v98, v213, v72
	v_add_f32_e32 v3, v3, v4
	s_waitcnt lgkmcnt(2)
	v_mul_f32_e32 v4, v215, v71
	v_add_f32_e32 v51, v51, v98
	v_mul_f32_e32 v98, v214, v71
	v_fma_f32 v4, v214, v70, -v4
	v_fmac_f32_e32 v98, v215, v70
	v_add_f32_e32 v3, v3, v4
	s_waitcnt vmcnt(36)
	v_mul_f32_e32 v4, v217, v73
	v_add_f32_e32 v51, v51, v98
	v_mul_f32_e32 v98, v216, v73
	v_fma_f32 v4, v216, v66, -v4
	v_fmac_f32_e32 v98, v217, v66
	v_add_f32_e32 v3, v3, v4
	s_waitcnt vmcnt(34) lgkmcnt(1)
	v_mul_f32_e32 v4, v219, v76
	v_add_f32_e32 v51, v51, v98
	v_mul_f32_e32 v98, v218, v76
	v_fma_f32 v4, v218, v75, -v4
	v_fmac_f32_e32 v98, v219, v75
	v_add_f32_e32 v3, v3, v4
	s_waitcnt vmcnt(33)
	v_mul_f32_e32 v4, v221, v77
	v_add_f32_e32 v51, v51, v98
	v_mul_f32_e32 v98, v220, v77
	ds_read2_b64 v[226:229], v2 offset0:105 offset1:106
	ds_read2_b64 v[230:233], v2 offset0:107 offset1:108
	s_waitcnt vmcnt(30)
	v_fma_f32 v4, v220, v80, -v4
	v_fmac_f32_e32 v98, v221, v80
	v_add_f32_e32 v3, v3, v4
	s_waitcnt lgkmcnt(2)
	;; [unrolled: 31-line block ×4, first 2 shown]
	v_mul_f32_e32 v4, v239, v94
	v_add_f32_e32 v51, v51, v98
	v_mul_f32_e32 v98, v238, v94
	v_fma_f32 v4, v238, v93, -v4
	v_fmac_f32_e32 v98, v239, v93
	v_add_f32_e32 v3, v3, v4
	s_waitcnt vmcnt(12)
	v_mul_f32_e32 v4, v241, v97
	v_add_f32_e32 v51, v51, v98
	v_mul_f32_e32 v98, v240, v97
	v_fma_f32 v4, v240, v96, -v4
	v_fmac_f32_e32 v98, v241, v96
	v_add_f32_e32 v3, v3, v4
	s_waitcnt vmcnt(10) lgkmcnt(1)
	v_mul_f32_e32 v4, v243, v100
	v_add_f32_e32 v51, v51, v98
	v_mul_f32_e32 v98, v242, v100
	v_fma_f32 v4, v242, v99, -v4
	v_fmac_f32_e32 v98, v243, v99
	v_add_f32_e32 v3, v3, v4
	s_waitcnt vmcnt(9)
	v_mul_f32_e32 v4, v245, v101
	v_add_f32_e32 v51, v51, v98
	v_mul_f32_e32 v98, v244, v101
	ds_read2_b64 v[250:253], v2 offset0:117 offset1:118
	s_waitcnt vmcnt(6)
	v_fma_f32 v4, v244, v104, -v4
	v_fmac_f32_e32 v98, v245, v104
	v_add_f32_e32 v3, v3, v4
	s_waitcnt lgkmcnt(1)
	v_mul_f32_e32 v4, v247, v103
	v_add_f32_e32 v51, v51, v98
	v_mul_f32_e32 v98, v246, v103
	v_fma_f32 v4, v246, v102, -v4
	v_fmac_f32_e32 v98, v247, v102
	v_add_f32_e32 v3, v3, v4
	s_waitcnt vmcnt(4)
	v_mul_f32_e32 v4, v249, v254
	v_add_f32_e32 v2, v51, v98
	v_mul_f32_e32 v51, v248, v254
	v_fma_f32 v4, v248, v105, -v4
	v_fmac_f32_e32 v51, v249, v105
	v_add_f32_e32 v3, v3, v4
	s_waitcnt vmcnt(3) lgkmcnt(0)
	v_mul_f32_e32 v4, v251, v255
	v_add_f32_e32 v2, v2, v51
	v_mul_f32_e32 v51, v250, v255
	s_waitcnt vmcnt(0)
	v_fma_f32 v4, v250, v108, -v4
	v_fmac_f32_e32 v51, v251, v108
	v_add_f32_e32 v3, v3, v4
	v_mul_f32_e32 v4, v253, v107
	v_add_f32_e32 v2, v2, v51
	v_mul_f32_e32 v51, v252, v107
	v_fma_f32 v4, v252, v106, -v4
	v_fmac_f32_e32 v51, v253, v106
	v_add_f32_e32 v3, v3, v4
	v_add_f32_e32 v2, v2, v51
	v_sub_f32_e32 v3, v5, v3
	v_sub_f32_e32 v2, v6, v2
	buffer_store_dword v3, off, s[0:3], 0 offset:32
	buffer_store_dword v2, off, s[0:3], 0 offset:36
	s_and_saveexec_b64 s[4:5], vcc
	s_cbranch_execz .LBB58_361
; %bb.360:
	buffer_load_dword v2, off, s[0:3], 0 offset:24
	buffer_load_dword v3, off, s[0:3], 0 offset:28
	v_mov_b32_e32 v4, 0
	buffer_store_dword v4, off, s[0:3], 0 offset:24
	buffer_store_dword v4, off, s[0:3], 0 offset:28
	s_waitcnt vmcnt(2)
	ds_write_b64 v1, v[2:3]
.LBB58_361:
	s_or_b64 exec, exec, s[4:5]
	s_waitcnt lgkmcnt(0)
	; wave barrier
	buffer_load_dword v11, off, s[0:3], 0 offset:36
	buffer_load_dword v10, off, s[0:3], 0 offset:44
	;; [unrolled: 1-line block ×40, first 2 shown]
	v_mov_b32_e32 v2, 0
	buffer_load_dword v39, off, s[0:3], 0 offset:184
	buffer_load_dword v40, off, s[0:3], 0 offset:188
	;; [unrolled: 1-line block ×12, first 2 shown]
	ds_read_b128 v[24:27], v2 offset:512
	ds_read_b128 v[28:31], v2 offset:528
	;; [unrolled: 1-line block ×6, first 2 shown]
	v_cmp_lt_u32_e32 vcc, 2, v0
	s_waitcnt vmcnt(51) lgkmcnt(5)
	v_mul_f32_e32 v32, v24, v11
	s_waitcnt vmcnt(50)
	v_mul_f32_e32 v33, v26, v10
	s_waitcnt vmcnt(49) lgkmcnt(4)
	v_mul_f32_e32 v34, v28, v9
	s_waitcnt vmcnt(48)
	v_mul_f32_e32 v35, v30, v8
	;; [unrolled: 4-line block ×5, first 2 shown]
	s_waitcnt vmcnt(41) lgkmcnt(0)
	v_mul_f32_e32 v55, v172, v15
	s_waitcnt vmcnt(40)
	v_fmac_f32_e32 v34, v29, v22
	s_waitcnt vmcnt(39)
	v_fmac_f32_e32 v33, v27, v143
	;; [unrolled: 2-line block ×3, first 2 shown]
	v_add_f32_e32 v32, 0, v32
	v_add_f32_e32 v32, v32, v33
	;; [unrolled: 1-line block ×3, first 2 shown]
	s_waitcnt vmcnt(34)
	v_fmac_f32_e32 v35, v31, v144
	v_fmac_f32_e32 v36, v161, v142
	v_add_f32_e32 v32, v32, v35
	v_fmac_f32_e32 v37, v163, v21
	v_add_f32_e32 v32, v32, v36
	;; [unrolled: 2-line block ×3, first 2 shown]
	s_waitcnt vmcnt(30)
	v_fmac_f32_e32 v52, v167, v23
	v_add_f32_e32 v32, v32, v51
	v_fmac_f32_e32 v53, v169, v20
	v_add_f32_e32 v32, v32, v52
	buffer_load_dword v51, off, s[0:3], 0 offset:232
	buffer_load_dword v52, off, s[0:3], 0 offset:236
	v_fmac_f32_e32 v54, v171, v17
	v_add_f32_e32 v32, v32, v53
	v_add_f32_e32 v32, v32, v54
	ds_read_b128 v[176:179], v2 offset:608
	buffer_load_dword v53, off, s[0:3], 0 offset:240
	buffer_load_dword v54, off, s[0:3], 0 offset:244
	v_fmac_f32_e32 v55, v173, v16
	v_add_f32_e32 v32, v32, v55
	ds_read_b128 v[180:183], v2 offset:624
	buffer_load_dword v55, off, s[0:3], 0 offset:248
	buffer_load_dword v56, off, s[0:3], 0 offset:252
	ds_read_b128 v[184:187], v2 offset:640
	buffer_load_dword v57, off, s[0:3], 0 offset:256
	buffer_load_dword v58, off, s[0:3], 0 offset:260
	;; [unrolled: 3-line block ×3, first 2 shown]
	buffer_load_dword v61, off, s[0:3], 0 offset:272
	buffer_load_dword v62, off, s[0:3], 0 offset:276
	ds_read_b128 v[192:195], v2 offset:672
	ds_read_b128 v[196:199], v2 offset:688
	buffer_load_dword v63, off, s[0:3], 0 offset:280
	buffer_load_dword v64, off, s[0:3], 0 offset:284
	;; [unrolled: 1-line block ×10, first 2 shown]
	ds_read_b128 v[200:203], v2 offset:704
	buffer_load_dword v73, off, s[0:3], 0 offset:320
	buffer_load_dword v74, off, s[0:3], 0 offset:324
	;; [unrolled: 1-line block ×6, first 2 shown]
	ds_read_b128 v[204:207], v2 offset:720
	buffer_load_dword v79, off, s[0:3], 0 offset:344
	buffer_load_dword v80, off, s[0:3], 0 offset:348
	;; [unrolled: 1-line block ×10, first 2 shown]
	v_mul_f32_e32 v11, v25, v11
	v_fma_f32 v11, v24, v145, -v11
	v_mul_f32_e32 v10, v27, v10
	ds_read_b128 v[208:211], v2 offset:736
	buffer_load_dword v89, off, s[0:3], 0 offset:384
	buffer_load_dword v90, off, s[0:3], 0 offset:388
	;; [unrolled: 1-line block ×6, first 2 shown]
	v_add_f32_e32 v11, 0, v11
	v_fma_f32 v10, v26, v143, -v10
	v_mul_f32_e32 v9, v29, v9
	v_add_f32_e32 v10, v11, v10
	v_fma_f32 v9, v28, v22, -v9
	v_mul_f32_e32 v8, v31, v8
	v_add_f32_e32 v9, v10, v9
	v_fma_f32 v8, v30, v144, -v8
	v_mul_f32_e32 v7, v161, v7
	ds_read_b128 v[212:215], v2 offset:752
	buffer_load_dword v95, off, s[0:3], 0 offset:408
	buffer_load_dword v96, off, s[0:3], 0 offset:412
	v_add_f32_e32 v8, v9, v8
	v_fma_f32 v7, v160, v142, -v7
	v_mul_f32_e32 v6, v163, v6
	v_add_f32_e32 v7, v8, v7
	v_fma_f32 v6, v162, v21, -v6
	v_mul_f32_e32 v5, v165, v5
	v_add_f32_e32 v6, v7, v6
	v_fma_f32 v5, v164, v18, -v5
	v_add_f32_e32 v5, v6, v5
	v_mul_f32_e32 v6, v167, v12
	v_fma_f32 v6, v166, v23, -v6
	buffer_load_dword v97, off, s[0:3], 0 offset:416
	buffer_load_dword v98, off, s[0:3], 0 offset:420
	;; [unrolled: 1-line block ×6, first 2 shown]
	v_add_f32_e32 v5, v5, v6
	v_mul_f32_e32 v6, v169, v13
	v_fma_f32 v6, v168, v20, -v6
	v_add_f32_e32 v5, v5, v6
	v_mul_f32_e32 v6, v171, v14
	s_waitcnt vmcnt(62)
	v_mul_f32_e32 v33, v174, v19
	v_fma_f32 v6, v170, v17, -v6
	v_fmac_f32_e32 v33, v175, v153
	v_add_f32_e32 v5, v5, v6
	v_mul_f32_e32 v6, v173, v15
	v_add_f32_e32 v32, v32, v33
	s_waitcnt lgkmcnt(9)
	v_mul_f32_e32 v33, v176, v151
	buffer_load_dword v103, off, s[0:3], 0 offset:440
	buffer_load_dword v104, off, s[0:3], 0 offset:444
	v_fma_f32 v6, v172, v16, -v6
	v_fmac_f32_e32 v33, v177, v149
	v_add_f32_e32 v5, v5, v6
	v_mul_f32_e32 v6, v175, v19
	v_add_f32_e32 v32, v32, v33
	v_mul_f32_e32 v33, v178, v150
	v_fma_f32 v6, v174, v153, -v6
	v_fmac_f32_e32 v33, v179, v148
	v_add_f32_e32 v5, v5, v6
	v_mul_f32_e32 v6, v177, v151
	v_add_f32_e32 v32, v32, v33
	s_waitcnt lgkmcnt(8)
	v_mul_f32_e32 v33, v180, v147
	v_fma_f32 v6, v176, v149, -v6
	v_fmac_f32_e32 v33, v181, v146
	v_add_f32_e32 v5, v5, v6
	v_mul_f32_e32 v6, v179, v150
	v_add_f32_e32 v32, v32, v33
	v_mul_f32_e32 v33, v182, v152
	buffer_load_dword v105, off, s[0:3], 0 offset:448
	buffer_load_dword v106, off, s[0:3], 0 offset:452
	;; [unrolled: 1-line block ×6, first 2 shown]
	v_fma_f32 v6, v178, v148, -v6
	v_fmac_f32_e32 v33, v183, v38
	v_add_f32_e32 v5, v5, v6
	v_mul_f32_e32 v6, v181, v147
	v_add_f32_e32 v32, v32, v33
	s_waitcnt lgkmcnt(7)
	v_mul_f32_e32 v33, v184, v155
	v_fma_f32 v6, v180, v146, -v6
	v_fmac_f32_e32 v33, v185, v154
	v_add_f32_e32 v5, v5, v6
	v_mul_f32_e32 v6, v183, v152
	v_add_f32_e32 v32, v32, v33
	v_mul_f32_e32 v33, v186, v157
	v_fma_f32 v6, v182, v38, -v6
	v_fmac_f32_e32 v33, v187, v156
	v_add_f32_e32 v5, v5, v6
	v_mul_f32_e32 v6, v185, v155
	v_add_f32_e32 v32, v32, v33
	s_waitcnt lgkmcnt(6)
	v_mul_f32_e32 v33, v188, v159
	v_fma_f32 v6, v184, v154, -v6
	v_fmac_f32_e32 v33, v189, v158
	v_add_f32_e32 v5, v5, v6
	v_mul_f32_e32 v6, v187, v157
	v_add_f32_e32 v32, v32, v33
	v_mul_f32_e32 v33, v190, v40
	v_fma_f32 v6, v186, v156, -v6
	v_fmac_f32_e32 v33, v191, v39
	v_add_f32_e32 v5, v5, v6
	v_mul_f32_e32 v6, v189, v159
	v_add_f32_e32 v32, v32, v33
	s_waitcnt vmcnt(62) lgkmcnt(5)
	v_mul_f32_e32 v33, v192, v42
	v_fma_f32 v6, v188, v158, -v6
	v_fmac_f32_e32 v33, v193, v41
	v_add_f32_e32 v5, v5, v6
	v_mul_f32_e32 v6, v191, v40
	v_add_f32_e32 v32, v32, v33
	v_mul_f32_e32 v33, v194, v44
	v_fma_f32 v6, v190, v39, -v6
	v_fmac_f32_e32 v33, v195, v43
	v_add_f32_e32 v5, v5, v6
	v_mul_f32_e32 v6, v193, v42
	v_add_f32_e32 v32, v32, v33
	s_waitcnt lgkmcnt(4)
	v_mul_f32_e32 v33, v196, v46
	v_fma_f32 v6, v192, v41, -v6
	v_fmac_f32_e32 v33, v197, v45
	v_add_f32_e32 v5, v5, v6
	v_mul_f32_e32 v6, v195, v44
	v_add_f32_e32 v32, v32, v33
	v_mul_f32_e32 v33, v198, v48
	v_fma_f32 v6, v194, v43, -v6
	v_fmac_f32_e32 v33, v199, v47
	v_add_f32_e32 v5, v5, v6
	v_mul_f32_e32 v6, v197, v46
	v_add_f32_e32 v32, v32, v33
	s_waitcnt vmcnt(60) lgkmcnt(3)
	v_mul_f32_e32 v33, v200, v50
	v_fma_f32 v6, v196, v45, -v6
	v_fmac_f32_e32 v33, v201, v49
	v_add_f32_e32 v5, v5, v6
	v_mul_f32_e32 v6, v199, v48
	v_add_f32_e32 v32, v32, v33
	s_waitcnt vmcnt(58)
	v_mul_f32_e32 v33, v202, v52
	v_fma_f32 v6, v198, v47, -v6
	v_fmac_f32_e32 v33, v203, v51
	v_add_f32_e32 v5, v5, v6
	v_mul_f32_e32 v6, v201, v50
	v_add_f32_e32 v32, v32, v33
	s_waitcnt vmcnt(56) lgkmcnt(2)
	v_mul_f32_e32 v33, v204, v54
	v_fma_f32 v6, v200, v49, -v6
	v_fmac_f32_e32 v33, v205, v53
	v_add_f32_e32 v5, v5, v6
	v_mul_f32_e32 v6, v203, v52
	v_add_f32_e32 v32, v32, v33
	s_waitcnt vmcnt(54)
	;; [unrolled: 14-line block ×3, first 2 shown]
	v_mul_f32_e32 v33, v210, v59
	v_fma_f32 v6, v206, v55, -v6
	s_waitcnt vmcnt(50)
	v_fmac_f32_e32 v33, v211, v60
	ds_read_b128 v[216:219], v2 offset:768
	ds_read_b128 v[220:223], v2 offset:784
	v_add_f32_e32 v5, v5, v6
	v_mul_f32_e32 v6, v209, v58
	v_add_f32_e32 v32, v32, v33
	s_waitcnt vmcnt(48) lgkmcnt(2)
	v_mul_f32_e32 v33, v212, v62
	v_fma_f32 v6, v208, v57, -v6
	v_fmac_f32_e32 v33, v213, v61
	v_add_f32_e32 v5, v5, v6
	v_mul_f32_e32 v6, v211, v59
	v_add_f32_e32 v32, v32, v33
	s_waitcnt vmcnt(46)
	v_mul_f32_e32 v33, v214, v64
	v_fma_f32 v6, v210, v60, -v6
	v_fmac_f32_e32 v33, v215, v63
	v_add_f32_e32 v5, v5, v6
	v_mul_f32_e32 v6, v213, v62
	v_add_f32_e32 v32, v32, v33
	s_waitcnt vmcnt(44) lgkmcnt(1)
	v_mul_f32_e32 v33, v216, v66
	v_fma_f32 v6, v212, v61, -v6
	v_fmac_f32_e32 v33, v217, v65
	v_add_f32_e32 v5, v5, v6
	v_mul_f32_e32 v6, v215, v64
	v_add_f32_e32 v32, v32, v33
	s_waitcnt vmcnt(43)
	v_mul_f32_e32 v33, v218, v67
	v_fma_f32 v6, v214, v63, -v6
	s_waitcnt vmcnt(40)
	v_fmac_f32_e32 v33, v219, v70
	ds_read_b128 v[224:227], v2 offset:800
	ds_read_b128 v[228:231], v2 offset:816
	v_add_f32_e32 v5, v5, v6
	v_mul_f32_e32 v6, v217, v66
	v_add_f32_e32 v32, v32, v33
	s_waitcnt lgkmcnt(2)
	v_mul_f32_e32 v33, v220, v69
	v_fma_f32 v6, v216, v65, -v6
	v_fmac_f32_e32 v33, v221, v68
	v_add_f32_e32 v5, v5, v6
	v_mul_f32_e32 v6, v219, v67
	v_add_f32_e32 v32, v32, v33
	s_waitcnt vmcnt(38)
	v_mul_f32_e32 v33, v222, v72
	v_fma_f32 v6, v218, v70, -v6
	v_fmac_f32_e32 v33, v223, v71
	v_add_f32_e32 v5, v5, v6
	v_mul_f32_e32 v6, v221, v69
	v_add_f32_e32 v32, v32, v33
	s_waitcnt vmcnt(36) lgkmcnt(1)
	v_mul_f32_e32 v33, v224, v74
	v_fma_f32 v6, v220, v68, -v6
	v_fmac_f32_e32 v33, v225, v73
	v_add_f32_e32 v5, v5, v6
	v_mul_f32_e32 v6, v223, v72
	v_add_f32_e32 v32, v32, v33
	s_waitcnt vmcnt(35)
	v_mul_f32_e32 v33, v226, v75
	v_fma_f32 v6, v222, v71, -v6
	s_waitcnt vmcnt(32)
	v_fmac_f32_e32 v33, v227, v78
	ds_read_b128 v[232:235], v2 offset:832
	ds_read_b128 v[236:239], v2 offset:848
	v_add_f32_e32 v5, v5, v6
	v_mul_f32_e32 v6, v225, v74
	v_add_f32_e32 v32, v32, v33
	s_waitcnt lgkmcnt(2)
	v_mul_f32_e32 v33, v228, v77
	v_fma_f32 v6, v224, v73, -v6
	v_fmac_f32_e32 v33, v229, v76
	v_add_f32_e32 v5, v5, v6
	v_mul_f32_e32 v6, v227, v75
	v_add_f32_e32 v32, v32, v33
	s_waitcnt vmcnt(30)
	v_mul_f32_e32 v33, v230, v80
	v_fma_f32 v6, v226, v78, -v6
	v_fmac_f32_e32 v33, v231, v79
	v_add_f32_e32 v5, v5, v6
	v_mul_f32_e32 v6, v229, v77
	v_add_f32_e32 v32, v32, v33
	s_waitcnt vmcnt(28) lgkmcnt(1)
	v_mul_f32_e32 v33, v232, v82
	v_fma_f32 v6, v228, v76, -v6
	v_fmac_f32_e32 v33, v233, v81
	v_add_f32_e32 v5, v5, v6
	v_mul_f32_e32 v6, v231, v80
	v_add_f32_e32 v32, v32, v33
	s_waitcnt vmcnt(27)
	v_mul_f32_e32 v33, v234, v83
	v_fma_f32 v6, v230, v79, -v6
	s_waitcnt vmcnt(24)
	v_fmac_f32_e32 v33, v235, v86
	ds_read_b128 v[240:243], v2 offset:864
	ds_read_b128 v[244:247], v2 offset:880
	v_add_f32_e32 v5, v5, v6
	v_mul_f32_e32 v6, v233, v82
	v_add_f32_e32 v32, v32, v33
	s_waitcnt lgkmcnt(2)
	v_mul_f32_e32 v33, v236, v85
	v_fma_f32 v6, v232, v81, -v6
	v_fmac_f32_e32 v33, v237, v84
	v_add_f32_e32 v5, v5, v6
	v_mul_f32_e32 v6, v235, v83
	v_add_f32_e32 v32, v32, v33
	s_waitcnt vmcnt(22)
	v_mul_f32_e32 v33, v238, v88
	v_fma_f32 v6, v234, v86, -v6
	v_fmac_f32_e32 v33, v239, v87
	v_add_f32_e32 v5, v5, v6
	v_mul_f32_e32 v6, v237, v85
	v_add_f32_e32 v32, v32, v33
	s_waitcnt vmcnt(20) lgkmcnt(1)
	v_mul_f32_e32 v33, v240, v90
	v_fma_f32 v6, v236, v84, -v6
	v_fmac_f32_e32 v33, v241, v89
	v_add_f32_e32 v5, v5, v6
	v_mul_f32_e32 v6, v239, v88
	v_add_f32_e32 v32, v32, v33
	s_waitcnt vmcnt(19)
	v_mul_f32_e32 v33, v242, v91
	v_fma_f32 v6, v238, v87, -v6
	s_waitcnt vmcnt(16)
	v_fmac_f32_e32 v33, v243, v94
	ds_read_b128 v[248:251], v2 offset:896
	ds_read_b128 v[252:255], v2 offset:912
	v_add_f32_e32 v5, v5, v6
	v_mul_f32_e32 v6, v241, v90
	v_add_f32_e32 v32, v32, v33
	s_waitcnt lgkmcnt(2)
	v_mul_f32_e32 v33, v244, v93
	v_fma_f32 v6, v240, v89, -v6
	v_fmac_f32_e32 v33, v245, v92
	v_add_f32_e32 v5, v5, v6
	v_mul_f32_e32 v6, v243, v91
	v_add_f32_e32 v32, v32, v33
	s_waitcnt vmcnt(14)
	v_mul_f32_e32 v33, v246, v96
	v_fma_f32 v6, v242, v94, -v6
	v_fmac_f32_e32 v33, v247, v95
	v_add_f32_e32 v5, v5, v6
	v_mul_f32_e32 v6, v245, v93
	v_add_f32_e32 v32, v32, v33
	s_waitcnt vmcnt(12) lgkmcnt(1)
	v_mul_f32_e32 v33, v248, v98
	v_fma_f32 v6, v244, v92, -v6
	v_fmac_f32_e32 v33, v249, v97
	v_add_f32_e32 v5, v5, v6
	v_mul_f32_e32 v6, v247, v96
	v_add_f32_e32 v32, v32, v33
	s_waitcnt vmcnt(11)
	v_mul_f32_e32 v33, v250, v99
	v_fma_f32 v6, v246, v95, -v6
	s_waitcnt vmcnt(8)
	v_fmac_f32_e32 v33, v251, v102
	v_add_f32_e32 v5, v5, v6
	v_mul_f32_e32 v6, v249, v98
	v_add_f32_e32 v32, v32, v33
	s_waitcnt lgkmcnt(0)
	v_mul_f32_e32 v33, v252, v101
	v_fma_f32 v6, v248, v97, -v6
	v_fmac_f32_e32 v33, v253, v100
	v_add_f32_e32 v5, v5, v6
	v_mul_f32_e32 v6, v251, v99
	v_add_f32_e32 v36, v32, v33
	ds_read_b128 v[32:35], v2 offset:928
	v_fma_f32 v6, v250, v102, -v6
	v_add_f32_e32 v5, v5, v6
	v_mul_f32_e32 v6, v253, v101
	s_waitcnt vmcnt(6)
	v_mul_f32_e32 v37, v254, v104
	v_fma_f32 v6, v252, v100, -v6
	v_fmac_f32_e32 v37, v255, v103
	v_add_f32_e32 v5, v5, v6
	v_mul_f32_e32 v6, v255, v104
	v_add_f32_e32 v111, v36, v37
	ds_read_b64 v[36:37], v2 offset:944
	v_fma_f32 v6, v254, v103, -v6
	v_add_f32_e32 v5, v5, v6
	s_waitcnt vmcnt(4) lgkmcnt(1)
	v_mul_f32_e32 v6, v33, v106
	v_mul_f32_e32 v112, v32, v106
	v_fma_f32 v6, v32, v105, -v6
	v_fmac_f32_e32 v112, v33, v105
	v_add_f32_e32 v5, v5, v6
	s_waitcnt vmcnt(3)
	v_mul_f32_e32 v6, v35, v107
	v_add_f32_e32 v111, v111, v112
	v_mul_f32_e32 v112, v34, v107
	s_waitcnt vmcnt(0)
	v_fma_f32 v6, v34, v110, -v6
	v_fmac_f32_e32 v112, v35, v110
	v_add_f32_e32 v5, v5, v6
	s_waitcnt lgkmcnt(0)
	v_mul_f32_e32 v6, v37, v109
	v_add_f32_e32 v111, v111, v112
	v_mul_f32_e32 v112, v36, v109
	v_fma_f32 v6, v36, v108, -v6
	v_fmac_f32_e32 v112, v37, v108
	v_add_f32_e32 v5, v5, v6
	v_add_f32_e32 v111, v111, v112
	v_sub_f32_e32 v3, v3, v5
	v_sub_f32_e32 v4, v4, v111
	buffer_store_dword v3, off, s[0:3], 0 offset:24
	buffer_store_dword v4, off, s[0:3], 0 offset:28
	s_and_saveexec_b64 s[4:5], vcc
	s_cbranch_execz .LBB58_363
; %bb.362:
	buffer_load_dword v3, off, s[0:3], 0 offset:16
	buffer_load_dword v4, off, s[0:3], 0 offset:20
	s_waitcnt vmcnt(0)
	ds_write_b64 v1, v[3:4]
	buffer_store_dword v2, off, s[0:3], 0 offset:16
	buffer_store_dword v2, off, s[0:3], 0 offset:20
.LBB58_363:
	s_or_b64 exec, exec, s[4:5]
	s_waitcnt lgkmcnt(0)
	; wave barrier
	buffer_load_dword v11, off, s[0:3], 0 offset:28
	buffer_load_dword v10, off, s[0:3], 0 offset:36
	;; [unrolled: 1-line block ×40, first 2 shown]
	ds_read2_b64 v[24:27], v2 offset0:63 offset1:64
	ds_read2_b64 v[28:31], v2 offset0:65 offset1:66
	;; [unrolled: 1-line block ×6, first 2 shown]
	buffer_load_dword v41, off, s[0:3], 0 offset:176
	buffer_load_dword v42, off, s[0:3], 0 offset:180
	;; [unrolled: 1-line block ×14, first 2 shown]
	v_cmp_lt_u32_e32 vcc, 1, v0
	s_waitcnt vmcnt(53) lgkmcnt(5)
	v_mul_f32_e32 v36, v24, v11
	s_waitcnt vmcnt(52)
	v_mul_f32_e32 v37, v26, v10
	s_waitcnt vmcnt(51) lgkmcnt(4)
	v_mul_f32_e32 v38, v28, v9
	s_waitcnt vmcnt(50)
	v_mul_f32_e32 v39, v30, v8
	;; [unrolled: 4-line block ×5, first 2 shown]
	s_waitcnt vmcnt(43)
	v_fmac_f32_e32 v38, v29, v18
	s_waitcnt vmcnt(42)
	v_fmac_f32_e32 v37, v27, v22
	;; [unrolled: 2-line block ×3, first 2 shown]
	v_add_f32_e32 v36, 0, v36
	v_add_f32_e32 v36, v36, v37
	;; [unrolled: 1-line block ×3, first 2 shown]
	s_waitcnt vmcnt(37)
	v_fmac_f32_e32 v39, v31, v143
	v_fmac_f32_e32 v55, v33, v21
	v_add_f32_e32 v36, v36, v39
	v_fmac_f32_e32 v56, v35, v17
	v_add_f32_e32 v36, v36, v55
	;; [unrolled: 2-line block ×3, first 2 shown]
	buffer_load_dword v55, off, s[0:3], 0 offset:232
	buffer_load_dword v56, off, s[0:3], 0 offset:236
	s_waitcnt vmcnt(35)
	v_fmac_f32_e32 v58, v163, v145
	v_add_f32_e32 v36, v36, v57
	v_fmac_f32_e32 v59, v165, v23
	v_add_f32_e32 v36, v36, v58
	ds_read2_b64 v[172:175], v2 offset0:75 offset1:76
	ds_read2_b64 v[176:179], v2 offset0:77 offset1:78
	buffer_load_dword v57, off, s[0:3], 0 offset:240
	buffer_load_dword v58, off, s[0:3], 0 offset:244
	v_fmac_f32_e32 v60, v167, v19
	v_add_f32_e32 v36, v36, v59
	v_add_f32_e32 v36, v36, v60
	buffer_load_dword v59, off, s[0:3], 0 offset:248
	buffer_load_dword v60, off, s[0:3], 0 offset:252
	ds_read2_b64 v[180:183], v2 offset0:79 offset1:80
	ds_read2_b64 v[184:187], v2 offset0:81 offset1:82
	buffer_load_dword v61, off, s[0:3], 0 offset:256
	buffer_load_dword v62, off, s[0:3], 0 offset:260
	;; [unrolled: 1-line block ×4, first 2 shown]
	ds_read2_b64 v[188:191], v2 offset0:83 offset1:84
	buffer_load_dword v65, off, s[0:3], 0 offset:272
	buffer_load_dword v66, off, s[0:3], 0 offset:276
	ds_read2_b64 v[192:195], v2 offset0:85 offset1:86
	buffer_load_dword v67, off, s[0:3], 0 offset:280
	buffer_load_dword v68, off, s[0:3], 0 offset:284
	;; [unrolled: 1-line block ×6, first 2 shown]
	ds_read2_b64 v[196:199], v2 offset0:87 offset1:88
	buffer_load_dword v73, off, s[0:3], 0 offset:304
	buffer_load_dword v74, off, s[0:3], 0 offset:308
	ds_read2_b64 v[200:203], v2 offset0:89 offset1:90
	buffer_load_dword v75, off, s[0:3], 0 offset:312
	buffer_load_dword v76, off, s[0:3], 0 offset:316
	;; [unrolled: 1-line block ×16, first 2 shown]
	v_mul_f32_e32 v11, v25, v11
	v_fma_f32 v11, v24, v144, -v11
	v_mul_f32_e32 v10, v27, v10
	v_add_f32_e32 v11, 0, v11
	v_fma_f32 v10, v26, v22, -v10
	v_mul_f32_e32 v9, v29, v9
	v_add_f32_e32 v10, v11, v10
	v_fma_f32 v9, v28, v18, -v9
	v_mul_f32_e32 v8, v31, v8
	ds_read2_b64 v[204:207], v2 offset0:91 offset1:92
	buffer_load_dword v91, off, s[0:3], 0 offset:376
	buffer_load_dword v92, off, s[0:3], 0 offset:380
	;; [unrolled: 1-line block ×6, first 2 shown]
	v_add_f32_e32 v9, v10, v9
	v_fma_f32 v8, v30, v143, -v8
	v_mul_f32_e32 v7, v33, v7
	v_add_f32_e32 v8, v9, v8
	v_fma_f32 v7, v32, v21, -v7
	v_mul_f32_e32 v6, v35, v6
	v_add_f32_e32 v7, v8, v7
	v_fma_f32 v6, v34, v17, -v6
	v_mul_f32_e32 v5, v161, v5
	ds_read2_b64 v[208:211], v2 offset0:93 offset1:94
	buffer_load_dword v97, off, s[0:3], 0 offset:400
	buffer_load_dword v98, off, s[0:3], 0 offset:404
	v_add_f32_e32 v6, v7, v6
	v_fma_f32 v5, v160, v15, -v5
	v_add_f32_e32 v5, v6, v5
	v_mul_f32_e32 v6, v163, v12
	v_fma_f32 v6, v162, v145, -v6
	v_add_f32_e32 v5, v5, v6
	v_mul_f32_e32 v6, v165, v13
	v_fma_f32 v6, v164, v23, -v6
	buffer_load_dword v99, off, s[0:3], 0 offset:408
	buffer_load_dword v100, off, s[0:3], 0 offset:412
	;; [unrolled: 1-line block ×6, first 2 shown]
	v_add_f32_e32 v5, v5, v6
	v_mul_f32_e32 v6, v167, v14
	s_waitcnt vmcnt(62) lgkmcnt(10)
	v_mul_f32_e32 v37, v168, v20
	v_fma_f32 v6, v166, v19, -v6
	v_fmac_f32_e32 v37, v169, v16
	v_add_f32_e32 v5, v5, v6
	v_mul_f32_e32 v6, v169, v20
	v_add_f32_e32 v36, v36, v37
	v_mul_f32_e32 v37, v170, v142
	buffer_load_dword v105, off, s[0:3], 0 offset:432
	buffer_load_dword v106, off, s[0:3], 0 offset:436
	v_fma_f32 v6, v168, v16, -v6
	v_fmac_f32_e32 v37, v171, v152
	v_add_f32_e32 v5, v5, v6
	v_mul_f32_e32 v6, v171, v142
	v_add_f32_e32 v36, v36, v37
	s_waitcnt lgkmcnt(9)
	v_mul_f32_e32 v37, v172, v151
	v_fma_f32 v6, v170, v152, -v6
	v_fmac_f32_e32 v37, v173, v149
	v_add_f32_e32 v5, v5, v6
	v_mul_f32_e32 v6, v173, v151
	v_add_f32_e32 v36, v36, v37
	v_mul_f32_e32 v37, v174, v150
	v_fma_f32 v6, v172, v149, -v6
	v_fmac_f32_e32 v37, v175, v147
	v_add_f32_e32 v5, v5, v6
	v_mul_f32_e32 v6, v175, v150
	v_add_f32_e32 v36, v36, v37
	s_waitcnt lgkmcnt(8)
	v_mul_f32_e32 v37, v176, v148
	buffer_load_dword v107, off, s[0:3], 0 offset:440
	buffer_load_dword v108, off, s[0:3], 0 offset:444
	;; [unrolled: 1-line block ×6, first 2 shown]
	v_fma_f32 v6, v174, v147, -v6
	v_fmac_f32_e32 v37, v177, v146
	v_add_f32_e32 v5, v5, v6
	v_mul_f32_e32 v6, v177, v148
	v_add_f32_e32 v36, v36, v37
	v_mul_f32_e32 v37, v178, v153
	v_fma_f32 v6, v176, v146, -v6
	v_fmac_f32_e32 v37, v179, v40
	ds_read2_b64 v[212:215], v2 offset0:95 offset1:96
	ds_read2_b64 v[216:219], v2 offset0:97 offset1:98
	buffer_load_dword v113, off, s[0:3], 0 offset:464
	buffer_load_dword v114, off, s[0:3], 0 offset:468
	v_add_f32_e32 v5, v5, v6
	v_mul_f32_e32 v6, v179, v153
	v_add_f32_e32 v36, v36, v37
	s_waitcnt lgkmcnt(9)
	v_mul_f32_e32 v37, v180, v155
	v_fma_f32 v6, v178, v40, -v6
	v_fmac_f32_e32 v37, v181, v154
	v_add_f32_e32 v5, v5, v6
	v_mul_f32_e32 v6, v181, v155
	v_add_f32_e32 v36, v36, v37
	v_mul_f32_e32 v37, v182, v157
	v_fma_f32 v6, v180, v154, -v6
	v_fmac_f32_e32 v37, v183, v156
	v_add_f32_e32 v5, v5, v6
	v_mul_f32_e32 v6, v183, v157
	v_add_f32_e32 v36, v36, v37
	s_waitcnt lgkmcnt(8)
	v_mul_f32_e32 v37, v184, v159
	v_fma_f32 v6, v182, v156, -v6
	v_fmac_f32_e32 v37, v185, v158
	v_add_f32_e32 v5, v5, v6
	v_mul_f32_e32 v6, v185, v159
	v_add_f32_e32 v36, v36, v37
	v_mul_f32_e32 v37, v186, v42
	v_fma_f32 v6, v184, v158, -v6
	v_fmac_f32_e32 v37, v187, v41
	v_add_f32_e32 v5, v5, v6
	v_mul_f32_e32 v6, v187, v42
	v_add_f32_e32 v36, v36, v37
	s_waitcnt vmcnt(62) lgkmcnt(7)
	v_mul_f32_e32 v37, v188, v44
	v_fma_f32 v6, v186, v41, -v6
	v_fmac_f32_e32 v37, v189, v43
	v_add_f32_e32 v5, v5, v6
	v_mul_f32_e32 v6, v189, v44
	v_add_f32_e32 v36, v36, v37
	v_mul_f32_e32 v37, v190, v46
	v_fma_f32 v6, v188, v43, -v6
	v_fmac_f32_e32 v37, v191, v45
	v_add_f32_e32 v5, v5, v6
	v_mul_f32_e32 v6, v191, v46
	v_add_f32_e32 v36, v36, v37
	s_waitcnt lgkmcnt(6)
	v_mul_f32_e32 v37, v192, v48
	v_fma_f32 v6, v190, v45, -v6
	v_fmac_f32_e32 v37, v193, v47
	v_add_f32_e32 v5, v5, v6
	v_mul_f32_e32 v6, v193, v48
	v_add_f32_e32 v36, v36, v37
	v_mul_f32_e32 v37, v194, v50
	v_fma_f32 v6, v192, v47, -v6
	v_fmac_f32_e32 v37, v195, v49
	v_add_f32_e32 v5, v5, v6
	v_mul_f32_e32 v6, v195, v50
	v_add_f32_e32 v36, v36, v37
	s_waitcnt lgkmcnt(5)
	v_mul_f32_e32 v37, v196, v52
	v_fma_f32 v6, v194, v49, -v6
	v_fmac_f32_e32 v37, v197, v51
	v_add_f32_e32 v5, v5, v6
	v_mul_f32_e32 v6, v197, v52
	v_add_f32_e32 v36, v36, v37
	s_waitcnt vmcnt(60)
	v_mul_f32_e32 v37, v198, v54
	v_fma_f32 v6, v196, v51, -v6
	v_fmac_f32_e32 v37, v199, v53
	v_add_f32_e32 v5, v5, v6
	v_mul_f32_e32 v6, v199, v54
	v_add_f32_e32 v36, v36, v37
	s_waitcnt vmcnt(58) lgkmcnt(4)
	v_mul_f32_e32 v37, v200, v56
	v_fma_f32 v6, v198, v53, -v6
	v_fmac_f32_e32 v37, v201, v55
	v_add_f32_e32 v5, v5, v6
	v_mul_f32_e32 v6, v201, v56
	v_add_f32_e32 v36, v36, v37
	s_waitcnt vmcnt(56)
	v_mul_f32_e32 v37, v202, v58
	v_fma_f32 v6, v200, v55, -v6
	v_fmac_f32_e32 v37, v203, v57
	v_add_f32_e32 v5, v5, v6
	v_mul_f32_e32 v6, v203, v58
	v_add_f32_e32 v36, v36, v37
	s_waitcnt vmcnt(54) lgkmcnt(3)
	;; [unrolled: 14-line block ×4, first 2 shown]
	v_mul_f32_e32 v37, v212, v68
	v_fma_f32 v6, v210, v65, -v6
	v_fmac_f32_e32 v37, v213, v67
	v_add_f32_e32 v5, v5, v6
	v_mul_f32_e32 v6, v213, v68
	v_add_f32_e32 v36, v36, v37
	s_waitcnt vmcnt(45)
	v_mul_f32_e32 v37, v214, v69
	v_fma_f32 v6, v212, v67, -v6
	s_waitcnt vmcnt(42)
	v_fmac_f32_e32 v37, v215, v72
	ds_read2_b64 v[220:223], v2 offset0:99 offset1:100
	ds_read2_b64 v[224:227], v2 offset0:101 offset1:102
	v_add_f32_e32 v5, v5, v6
	v_mul_f32_e32 v6, v215, v69
	v_add_f32_e32 v36, v36, v37
	s_waitcnt lgkmcnt(2)
	v_mul_f32_e32 v37, v216, v71
	v_fma_f32 v6, v214, v72, -v6
	v_fmac_f32_e32 v37, v217, v70
	v_add_f32_e32 v5, v5, v6
	v_mul_f32_e32 v6, v217, v71
	v_add_f32_e32 v36, v36, v37
	s_waitcnt vmcnt(40)
	v_mul_f32_e32 v37, v218, v74
	v_fma_f32 v6, v216, v70, -v6
	v_fmac_f32_e32 v37, v219, v73
	v_add_f32_e32 v5, v5, v6
	v_mul_f32_e32 v6, v219, v74
	v_add_f32_e32 v36, v36, v37
	s_waitcnt vmcnt(38) lgkmcnt(1)
	v_mul_f32_e32 v37, v220, v76
	v_fma_f32 v6, v218, v73, -v6
	v_fmac_f32_e32 v37, v221, v75
	v_add_f32_e32 v5, v5, v6
	v_mul_f32_e32 v6, v221, v76
	v_add_f32_e32 v36, v36, v37
	s_waitcnt vmcnt(37)
	v_mul_f32_e32 v37, v222, v77
	v_fma_f32 v6, v220, v75, -v6
	s_waitcnt vmcnt(34)
	v_fmac_f32_e32 v37, v223, v80
	ds_read2_b64 v[228:231], v2 offset0:103 offset1:104
	ds_read2_b64 v[232:235], v2 offset0:105 offset1:106
	v_add_f32_e32 v5, v5, v6
	v_mul_f32_e32 v6, v223, v77
	v_add_f32_e32 v36, v36, v37
	s_waitcnt lgkmcnt(2)
	v_mul_f32_e32 v37, v224, v79
	v_fma_f32 v6, v222, v80, -v6
	v_fmac_f32_e32 v37, v225, v78
	v_add_f32_e32 v5, v5, v6
	v_mul_f32_e32 v6, v225, v79
	v_add_f32_e32 v36, v36, v37
	s_waitcnt vmcnt(32)
	v_mul_f32_e32 v37, v226, v82
	v_fma_f32 v6, v224, v78, -v6
	v_fmac_f32_e32 v37, v227, v81
	v_add_f32_e32 v5, v5, v6
	v_mul_f32_e32 v6, v227, v82
	v_add_f32_e32 v36, v36, v37
	s_waitcnt vmcnt(30) lgkmcnt(1)
	;; [unrolled: 31-line block ×4, first 2 shown]
	v_mul_f32_e32 v37, v244, v100
	v_fma_f32 v6, v242, v97, -v6
	v_fmac_f32_e32 v37, v245, v99
	v_add_f32_e32 v5, v5, v6
	v_mul_f32_e32 v6, v245, v100
	v_add_f32_e32 v36, v36, v37
	s_waitcnt vmcnt(13)
	v_mul_f32_e32 v37, v246, v101
	v_fma_f32 v6, v244, v99, -v6
	s_waitcnt vmcnt(10)
	v_fmac_f32_e32 v37, v247, v104
	v_add_f32_e32 v5, v5, v6
	v_mul_f32_e32 v6, v247, v101
	v_add_f32_e32 v36, v36, v37
	s_waitcnt lgkmcnt(0)
	v_mul_f32_e32 v37, v248, v103
	ds_read2_b64 v[252:255], v2 offset0:115 offset1:116
	v_fma_f32 v6, v246, v104, -v6
	v_fmac_f32_e32 v37, v249, v102
	v_add_f32_e32 v5, v5, v6
	v_mul_f32_e32 v6, v249, v103
	v_add_f32_e32 v36, v36, v37
	s_waitcnt vmcnt(8)
	v_mul_f32_e32 v37, v250, v106
	v_fma_f32 v6, v248, v102, -v6
	v_fmac_f32_e32 v37, v251, v105
	v_add_f32_e32 v5, v5, v6
	v_mul_f32_e32 v6, v251, v106
	v_add_f32_e32 v115, v36, v37
	ds_read2_b64 v[36:39], v2 offset0:117 offset1:118
	v_fma_f32 v6, v250, v105, -v6
	v_add_f32_e32 v5, v5, v6
	s_waitcnt vmcnt(6) lgkmcnt(1)
	v_mul_f32_e32 v6, v253, v108
	v_mul_f32_e32 v2, v252, v108
	v_fma_f32 v6, v252, v107, -v6
	v_fmac_f32_e32 v2, v253, v107
	v_add_f32_e32 v5, v5, v6
	s_waitcnt vmcnt(5)
	v_mul_f32_e32 v6, v255, v109
	v_add_f32_e32 v2, v115, v2
	v_mul_f32_e32 v115, v254, v109
	s_waitcnt vmcnt(2)
	v_fma_f32 v6, v254, v112, -v6
	v_fmac_f32_e32 v115, v255, v112
	v_add_f32_e32 v5, v5, v6
	s_waitcnt lgkmcnt(0)
	v_mul_f32_e32 v6, v37, v111
	v_add_f32_e32 v2, v2, v115
	v_mul_f32_e32 v115, v36, v111
	v_fma_f32 v6, v36, v110, -v6
	v_fmac_f32_e32 v115, v37, v110
	v_add_f32_e32 v5, v5, v6
	s_waitcnt vmcnt(0)
	v_mul_f32_e32 v6, v39, v114
	v_add_f32_e32 v2, v2, v115
	v_mul_f32_e32 v115, v38, v114
	v_fma_f32 v6, v38, v113, -v6
	v_fmac_f32_e32 v115, v39, v113
	v_add_f32_e32 v5, v5, v6
	v_add_f32_e32 v2, v2, v115
	v_sub_f32_e32 v3, v3, v5
	v_sub_f32_e32 v2, v4, v2
	buffer_store_dword v3, off, s[0:3], 0 offset:16
	buffer_store_dword v2, off, s[0:3], 0 offset:20
	s_and_saveexec_b64 s[4:5], vcc
	s_cbranch_execz .LBB58_365
; %bb.364:
	buffer_load_dword v2, off, s[0:3], 0 offset:8
	buffer_load_dword v3, off, s[0:3], 0 offset:12
	v_mov_b32_e32 v4, 0
	buffer_store_dword v4, off, s[0:3], 0 offset:8
	buffer_store_dword v4, off, s[0:3], 0 offset:12
	s_waitcnt vmcnt(2)
	ds_write_b64 v1, v[2:3]
.LBB58_365:
	s_or_b64 exec, exec, s[4:5]
	s_waitcnt lgkmcnt(0)
	; wave barrier
	buffer_load_dword v10, off, s[0:3], 0 offset:20
	buffer_load_dword v9, off, s[0:3], 0 offset:28
	;; [unrolled: 1-line block ×52, first 2 shown]
	v_mov_b32_e32 v142, 0
	ds_read_b128 v[24:27], v142 offset:496
	ds_read_b128 v[28:31], v142 offset:512
	;; [unrolled: 1-line block ×6, first 2 shown]
	buffer_load_dword v56, off, s[0:3], 0 offset:220
	buffer_load_dword v57, off, s[0:3], 0 offset:216
	;; [unrolled: 1-line block ×4, first 2 shown]
	ds_read_b128 v[181:184], v142 offset:592
	buffer_load_dword v60, off, s[0:3], 0 offset:232
	buffer_load_dword v61, off, s[0:3], 0 offset:236
	;; [unrolled: 1-line block ×3, first 2 shown]
	ds_read_b128 v[185:188], v142 offset:608
	ds_read_b128 v[189:192], v142 offset:624
	;; [unrolled: 1-line block ×3, first 2 shown]
	buffer_load_dword v63, off, s[0:3], 0 offset:240
	buffer_load_dword v64, off, s[0:3], 0 offset:248
	;; [unrolled: 1-line block ×5, first 2 shown]
	ds_read_b128 v[197:200], v142 offset:656
	buffer_load_dword v68, off, s[0:3], 0 offset:264
	buffer_load_dword v69, off, s[0:3], 0 offset:268
	ds_read_b128 v[201:204], v142 offset:672
	buffer_load_dword v70, off, s[0:3], 0 offset:272
	buffer_load_dword v71, off, s[0:3], 0 offset:276
	;; [unrolled: 3-line block ×3, first 2 shown]
	buffer_load_dword v74, off, s[0:3], 0 offset:292
	buffer_load_dword v75, off, s[0:3], 0 offset:280
	ds_read_b128 v[209:212], v142 offset:704
	buffer_load_dword v76, off, s[0:3], 0 offset:296
	buffer_load_dword v77, off, s[0:3], 0 offset:300
	;; [unrolled: 1-line block ×16, first 2 shown]
	ds_read_b128 v[213:216], v142 offset:720
	buffer_load_dword v92, off, s[0:3], 0 offset:360
	buffer_load_dword v93, off, s[0:3], 0 offset:364
	ds_read_b128 v[217:220], v142 offset:736
	buffer_load_dword v94, off, s[0:3], 0 offset:368
	buffer_load_dword v95, off, s[0:3], 0 offset:372
	;; [unrolled: 1-line block ×16, first 2 shown]
	ds_read_b128 v[221:224], v142 offset:752
	buffer_load_dword v110, off, s[0:3], 0 offset:432
	buffer_load_dword v111, off, s[0:3], 0 offset:436
	;; [unrolled: 1-line block ×6, first 2 shown]
	ds_read_b128 v[225:228], v142 offset:768
	buffer_load_dword v255, off, s[0:3], 0 offset:460
	buffer_load_dword v116, off, s[0:3], 0 offset:464
	;; [unrolled: 1-line block ×4, first 2 shown]
	ds_read_b128 v[229:232], v142 offset:784
	ds_read_b128 v[233:236], v142 offset:800
	;; [unrolled: 1-line block ×6, first 2 shown]
	v_cmp_ne_u32_e32 vcc, 0, v0
	s_waitcnt vmcnt(62) lgkmcnt(14)
	v_mul_f32_e32 v40, v24, v10
	v_mul_f32_e32 v41, v26, v9
	;; [unrolled: 1-line block ×7, first 2 shown]
	v_fmac_f32_e32 v42, v29, v15
	v_fmac_f32_e32 v41, v27, v17
	;; [unrolled: 1-line block ×3, first 2 shown]
	v_add_f32_e32 v40, 0, v40
	v_add_f32_e32 v40, v40, v41
	v_fma_f32 v10, v24, v20, -v10
	v_add_f32_e32 v40, v40, v42
	v_add_f32_e32 v10, 0, v10
	v_fma_f32 v9, v26, v17, -v9
	v_mul_f32_e32 v8, v29, v8
	v_fmac_f32_e32 v43, v31, v145
	v_mul_f32_e32 v45, v34, v5
	v_fmac_f32_e32 v44, v33, v144
	v_add_f32_e32 v40, v40, v43
	v_add_f32_e32 v9, v10, v9
	v_fma_f32 v8, v28, v15, -v8
	v_mul_f32_e32 v7, v31, v7
	v_mul_f32_e32 v46, v36, v4
	v_fmac_f32_e32 v45, v35, v23
	v_add_f32_e32 v40, v40, v44
	v_add_f32_e32 v8, v9, v8
	v_fma_f32 v7, v30, v145, -v7
	v_mul_f32_e32 v6, v33, v6
	;; [unrolled: 6-line block ×5, first 2 shown]
	v_fmac_f32_e32 v49, v176, v18
	v_add_f32_e32 v40, v40, v48
	v_add_f32_e32 v4, v5, v4
	v_mul_f32_e32 v5, v39, v13
	v_add_f32_e32 v40, v40, v49
	v_fmac_f32_e32 v50, v178, v16
	v_mul_f32_e32 v41, v179, v19
	v_fma_f32 v5, v38, v143, -v5
	v_add_f32_e32 v40, v40, v50
	v_fmac_f32_e32 v41, v180, v152
	v_add_f32_e32 v4, v4, v5
	v_mul_f32_e32 v5, v174, v12
	v_add_f32_e32 v40, v40, v41
	v_mul_f32_e32 v41, v181, v151
	v_fma_f32 v5, v173, v22, -v5
	v_fmac_f32_e32 v41, v182, v149
	v_add_f32_e32 v4, v4, v5
	v_mul_f32_e32 v5, v176, v11
	v_add_f32_e32 v40, v40, v41
	v_mul_f32_e32 v41, v183, v150
	v_fma_f32 v5, v175, v18, -v5
	;; [unrolled: 6-line block ×8, first 2 shown]
	v_fmac_f32_e32 v41, v196, v161
	v_add_f32_e32 v4, v4, v5
	v_mul_f32_e32 v5, v190, v156
	v_add_f32_e32 v40, v40, v41
	s_waitcnt lgkmcnt(13)
	v_mul_f32_e32 v41, v197, v164
	v_fma_f32 v5, v189, v155, -v5
	v_fmac_f32_e32 v41, v198, v163
	v_add_f32_e32 v4, v4, v5
	v_mul_f32_e32 v5, v192, v158
	v_add_f32_e32 v40, v40, v41
	v_mul_f32_e32 v41, v199, v166
	v_fma_f32 v5, v191, v157, -v5
	v_fmac_f32_e32 v41, v200, v165
	v_add_f32_e32 v4, v4, v5
	v_mul_f32_e32 v5, v194, v160
	v_add_f32_e32 v40, v40, v41
	s_waitcnt lgkmcnt(12)
	v_mul_f32_e32 v41, v201, v168
	v_fma_f32 v5, v193, v159, -v5
	v_fmac_f32_e32 v41, v202, v167
	v_add_f32_e32 v4, v4, v5
	v_mul_f32_e32 v5, v196, v162
	v_add_f32_e32 v40, v40, v41
	v_mul_f32_e32 v41, v203, v170
	v_fma_f32 v5, v195, v161, -v5
	;; [unrolled: 13-line block ×3, first 2 shown]
	v_fmac_f32_e32 v41, v208, v57
	v_add_f32_e32 v4, v4, v5
	v_mul_f32_e32 v5, v202, v168
	v_add_f32_e32 v40, v40, v41
	s_waitcnt vmcnt(60) lgkmcnt(10)
	v_mul_f32_e32 v41, v209, v59
	v_fma_f32 v5, v201, v167, -v5
	v_fmac_f32_e32 v41, v210, v58
	v_add_f32_e32 v4, v4, v5
	v_mul_f32_e32 v5, v204, v170
	v_add_f32_e32 v40, v40, v41
	s_waitcnt vmcnt(58)
	v_mul_f32_e32 v41, v211, v61
	v_fma_f32 v5, v203, v169, -v5
	v_fmac_f32_e32 v41, v212, v60
	v_add_f32_e32 v4, v4, v5
	v_mul_f32_e32 v5, v206, v172
	v_add_f32_e32 v40, v40, v41
	s_waitcnt vmcnt(57) lgkmcnt(9)
	v_mul_f32_e32 v41, v213, v62
	v_fma_f32 v5, v205, v171, -v5
	s_waitcnt vmcnt(56)
	v_fmac_f32_e32 v41, v214, v63
	v_add_f32_e32 v4, v4, v5
	v_mul_f32_e32 v5, v208, v56
	v_add_f32_e32 v40, v40, v41
	s_waitcnt vmcnt(54)
	v_mul_f32_e32 v41, v215, v65
	v_fma_f32 v5, v207, v57, -v5
	v_fmac_f32_e32 v41, v216, v64
	v_add_f32_e32 v4, v4, v5
	v_mul_f32_e32 v5, v210, v59
	v_add_f32_e32 v40, v40, v41
	s_waitcnt vmcnt(52) lgkmcnt(8)
	v_mul_f32_e32 v41, v217, v67
	v_fma_f32 v5, v209, v58, -v5
	v_fmac_f32_e32 v41, v218, v66
	v_add_f32_e32 v4, v4, v5
	v_mul_f32_e32 v5, v212, v61
	v_add_f32_e32 v40, v40, v41
	s_waitcnt vmcnt(50)
	v_mul_f32_e32 v41, v219, v69
	v_fma_f32 v5, v211, v60, -v5
	v_fmac_f32_e32 v41, v220, v68
	v_add_f32_e32 v4, v4, v5
	v_mul_f32_e32 v5, v214, v62
	v_add_f32_e32 v40, v40, v41
	s_waitcnt vmcnt(48) lgkmcnt(7)
	v_mul_f32_e32 v41, v221, v71
	v_fma_f32 v5, v213, v63, -v5
	v_fmac_f32_e32 v41, v222, v70
	v_add_f32_e32 v4, v4, v5
	v_mul_f32_e32 v5, v216, v65
	v_add_f32_e32 v40, v40, v41
	s_waitcnt vmcnt(47)
	v_mul_f32_e32 v41, v223, v72
	v_fma_f32 v5, v215, v64, -v5
	s_waitcnt vmcnt(44)
	v_fmac_f32_e32 v41, v224, v75
	v_add_f32_e32 v4, v4, v5
	v_mul_f32_e32 v5, v218, v67
	v_add_f32_e32 v40, v40, v41
	s_waitcnt lgkmcnt(6)
	v_mul_f32_e32 v41, v225, v74
	v_fma_f32 v5, v217, v66, -v5
	v_fmac_f32_e32 v41, v226, v73
	v_add_f32_e32 v4, v4, v5
	v_mul_f32_e32 v5, v220, v69
	v_add_f32_e32 v40, v40, v41
	s_waitcnt vmcnt(42)
	v_mul_f32_e32 v41, v227, v77
	v_fma_f32 v5, v219, v68, -v5
	v_fmac_f32_e32 v41, v228, v76
	v_add_f32_e32 v4, v4, v5
	v_mul_f32_e32 v5, v222, v71
	v_add_f32_e32 v40, v40, v41
	s_waitcnt vmcnt(40) lgkmcnt(5)
	v_mul_f32_e32 v41, v229, v79
	v_fma_f32 v5, v221, v70, -v5
	v_fmac_f32_e32 v41, v230, v78
	v_add_f32_e32 v4, v4, v5
	v_mul_f32_e32 v5, v224, v72
	v_add_f32_e32 v40, v40, v41
	s_waitcnt vmcnt(39)
	v_mul_f32_e32 v41, v231, v80
	v_fma_f32 v5, v223, v75, -v5
	s_waitcnt vmcnt(36)
	v_fmac_f32_e32 v41, v232, v83
	v_add_f32_e32 v4, v4, v5
	v_mul_f32_e32 v5, v226, v74
	v_add_f32_e32 v40, v40, v41
	s_waitcnt lgkmcnt(4)
	;; [unrolled: 29-line block ×4, first 2 shown]
	v_mul_f32_e32 v41, v249, v98
	v_fma_f32 v5, v241, v89, -v5
	v_fmac_f32_e32 v41, v250, v97
	v_add_f32_e32 v4, v4, v5
	v_mul_f32_e32 v5, v244, v93
	v_add_f32_e32 v44, v40, v41
	ds_read_b128 v[40:43], v142 offset:880
	v_fma_f32 v5, v243, v92, -v5
	v_add_f32_e32 v4, v4, v5
	v_mul_f32_e32 v5, v246, v95
	s_waitcnt vmcnt(18)
	v_mul_f32_e32 v45, v251, v101
	v_fma_f32 v5, v245, v94, -v5
	v_fmac_f32_e32 v45, v252, v100
	v_add_f32_e32 v4, v4, v5
	v_mul_f32_e32 v5, v248, v96
	v_add_f32_e32 v48, v44, v45
	ds_read_b128 v[44:47], v142 offset:896
	v_fma_f32 v5, v247, v99, -v5
	s_waitcnt vmcnt(16) lgkmcnt(1)
	v_mul_f32_e32 v49, v40, v103
	v_add_f32_e32 v4, v4, v5
	v_mul_f32_e32 v5, v250, v98
	v_fmac_f32_e32 v49, v41, v102
	v_fma_f32 v5, v249, v97, -v5
	v_add_f32_e32 v48, v48, v49
	s_waitcnt vmcnt(15)
	v_mul_f32_e32 v49, v42, v104
	v_add_f32_e32 v4, v4, v5
	v_mul_f32_e32 v5, v252, v101
	s_waitcnt vmcnt(12)
	v_fmac_f32_e32 v49, v43, v107
	v_fma_f32 v5, v251, v100, -v5
	v_add_f32_e32 v48, v48, v49
	s_waitcnt lgkmcnt(0)
	v_mul_f32_e32 v49, v44, v106
	v_add_f32_e32 v4, v4, v5
	v_mul_f32_e32 v5, v41, v103
	v_fmac_f32_e32 v49, v45, v105
	v_fma_f32 v5, v40, v102, -v5
	v_add_f32_e32 v52, v48, v49
	ds_read_b128 v[48:51], v142 offset:912
	v_add_f32_e32 v4, v4, v5
	v_mul_f32_e32 v5, v43, v104
	v_fma_f32 v5, v42, v107, -v5
	v_add_f32_e32 v4, v4, v5
	v_mul_f32_e32 v5, v45, v106
	s_waitcnt vmcnt(10)
	v_mul_f32_e32 v53, v46, v109
	v_fma_f32 v5, v44, v105, -v5
	v_fmac_f32_e32 v53, v47, v108
	v_add_f32_e32 v4, v4, v5
	v_mul_f32_e32 v5, v47, v109
	v_add_f32_e32 v119, v52, v53
	ds_read_b128 v[52:55], v142 offset:928
	s_waitcnt vmcnt(8) lgkmcnt(1)
	v_mul_f32_e32 v253, v48, v111
	v_fma_f32 v5, v46, v108, -v5
	v_fmac_f32_e32 v253, v49, v110
	v_add_f32_e32 v4, v4, v5
	v_mul_f32_e32 v5, v49, v111
	v_add_f32_e32 v119, v119, v253
	s_waitcnt vmcnt(7)
	v_mul_f32_e32 v253, v50, v112
	v_fma_f32 v5, v48, v110, -v5
	s_waitcnt vmcnt(4)
	v_fmac_f32_e32 v253, v51, v115
	v_add_f32_e32 v4, v4, v5
	v_mul_f32_e32 v5, v51, v112
	v_add_f32_e32 v119, v119, v253
	ds_read_b64 v[253:254], v142 offset:944
	v_fma_f32 v5, v50, v115, -v5
	v_add_f32_e32 v4, v4, v5
	s_waitcnt lgkmcnt(1)
	v_mul_f32_e32 v5, v53, v114
	v_mul_f32_e32 v120, v52, v114
	v_fma_f32 v5, v52, v113, -v5
	v_fmac_f32_e32 v120, v53, v113
	v_add_f32_e32 v4, v4, v5
	s_waitcnt vmcnt(3)
	v_mul_f32_e32 v5, v55, v255
	v_add_f32_e32 v119, v119, v120
	v_mul_f32_e32 v120, v54, v255
	s_waitcnt vmcnt(0)
	v_fma_f32 v5, v54, v118, -v5
	v_fmac_f32_e32 v120, v55, v118
	v_add_f32_e32 v4, v4, v5
	s_waitcnt lgkmcnt(0)
	v_mul_f32_e32 v5, v254, v117
	v_add_f32_e32 v119, v119, v120
	v_mul_f32_e32 v120, v253, v117
	v_fma_f32 v5, v253, v116, -v5
	v_fmac_f32_e32 v120, v254, v116
	v_add_f32_e32 v4, v4, v5
	v_add_f32_e32 v119, v119, v120
	v_sub_f32_e32 v2, v2, v4
	v_sub_f32_e32 v3, v3, v119
	buffer_store_dword v2, off, s[0:3], 0 offset:8
	buffer_store_dword v3, off, s[0:3], 0 offset:12
	s_and_saveexec_b64 s[4:5], vcc
	s_cbranch_execz .LBB58_367
; %bb.366:
	buffer_load_dword v2, off, s[0:3], 0
	buffer_load_dword v3, off, s[0:3], 0 offset:4
	s_waitcnt vmcnt(0)
	ds_write_b64 v1, v[2:3]
	buffer_store_dword v142, off, s[0:3], 0
	buffer_store_dword v142, off, s[0:3], 0 offset:4
.LBB58_367:
	s_or_b64 exec, exec, s[4:5]
	s_waitcnt lgkmcnt(0)
	; wave barrier
	buffer_load_dword v151, off, s[0:3], 0 offset:12
	buffer_load_dword v150, off, s[0:3], 0 offset:20
	;; [unrolled: 1-line block ×30, first 2 shown]
	buffer_load_dword v143, off, s[0:3], 0
	buffer_load_dword v144, off, s[0:3], 0 offset:4
	buffer_load_dword v175, off, s[0:3], 0 offset:128
	buffer_load_dword v176, off, s[0:3], 0 offset:132
	ds_read2_b64 v[16:19], v142 offset0:61 offset1:62
	ds_read2_b64 v[8:11], v142 offset0:63 offset1:64
	;; [unrolled: 1-line block ×4, first 2 shown]
	buffer_load_dword v177, off, s[0:3], 0 offset:140
	buffer_load_dword v178, off, s[0:3], 0 offset:144
	;; [unrolled: 1-line block ×6, first 2 shown]
	ds_read2_b64 v[20:23], v142 offset0:69 offset1:70
	ds_read2_b64 v[12:15], v142 offset0:71 offset1:72
	buffer_load_dword v182, off, s[0:3], 0 offset:160
	buffer_load_dword v184, off, s[0:3], 0 offset:164
	;; [unrolled: 1-line block ×16, first 2 shown]
	s_and_b64 vcc, exec, s[22:23]
	s_waitcnt vmcnt(55) lgkmcnt(5)
	v_mul_f32_e32 v24, v16, v151
	s_waitcnt vmcnt(54)
	v_mul_f32_e32 v25, v18, v150
	s_waitcnt vmcnt(53) lgkmcnt(4)
	v_mul_f32_e32 v26, v8, v149
	s_waitcnt vmcnt(52)
	v_mul_f32_e32 v27, v10, v148
	;; [unrolled: 4-line block ×4, first 2 shown]
	s_waitcnt vmcnt(47) lgkmcnt(1)
	v_mul_f32_e32 v32, v20, v153
	s_waitcnt vmcnt(46)
	v_fmac_f32_e32 v26, v9, v156
	s_waitcnt vmcnt(45)
	v_fmac_f32_e32 v25, v19, v159
	;; [unrolled: 2-line block ×3, first 2 shown]
	v_add_f32_e32 v24, 0, v24
	v_add_f32_e32 v24, v24, v25
	;; [unrolled: 1-line block ×3, first 2 shown]
	s_waitcnt vmcnt(40)
	v_fmac_f32_e32 v27, v11, v160
	v_fmac_f32_e32 v28, v5, v157
	v_add_f32_e32 v24, v24, v27
	v_fmac_f32_e32 v29, v7, v155
	v_add_f32_e32 v24, v24, v28
	;; [unrolled: 2-line block ×3, first 2 shown]
	s_waitcnt vmcnt(36)
	v_fmac_f32_e32 v31, v3, v167
	v_add_f32_e32 v24, v24, v30
	v_fmac_f32_e32 v32, v21, v164
	v_add_f32_e32 v24, v24, v31
	s_waitcnt vmcnt(35)
	v_mul_f32_e32 v25, v22, v165
	v_add_f32_e32 v24, v24, v32
	v_fmac_f32_e32 v25, v23, v161
	v_add_f32_e32 v24, v24, v25
	s_waitcnt vmcnt(34) lgkmcnt(0)
	v_mul_f32_e32 v25, v12, v163
	v_fmac_f32_e32 v25, v13, v158
	v_add_f32_e32 v28, v24, v25
	ds_read2_b64 v[24:27], v142 offset0:73 offset1:74
	buffer_load_dword v59, off, s[0:3], 0 offset:224
	buffer_load_dword v60, off, s[0:3], 0 offset:228
	s_waitcnt vmcnt(35)
	v_mul_f32_e32 v29, v14, v166
	s_waitcnt vmcnt(31)
	v_fmac_f32_e32 v29, v15, v174
	v_add_f32_e32 v32, v28, v29
	ds_read2_b64 v[28:31], v142 offset0:75 offset1:76
	buffer_load_dword v61, off, s[0:3], 0 offset:232
	buffer_load_dword v62, off, s[0:3], 0 offset:236
	s_waitcnt vmcnt(32) lgkmcnt(1)
	v_mul_f32_e32 v33, v24, v173
	v_fmac_f32_e32 v33, v25, v171
	v_add_f32_e32 v32, v32, v33
	s_waitcnt vmcnt(31)
	v_mul_f32_e32 v33, v26, v172
	v_fmac_f32_e32 v33, v27, v169
	v_add_f32_e32 v32, v32, v33
	s_waitcnt vmcnt(30) lgkmcnt(0)
	v_mul_f32_e32 v33, v28, v170
	v_fmac_f32_e32 v33, v29, v168
	s_waitcnt vmcnt(26)
	v_mul_f32_e32 v37, v30, v176
	v_add_f32_e32 v36, v32, v33
	v_fmac_f32_e32 v37, v31, v175
	ds_read2_b64 v[32:35], v142 offset0:77 offset1:78
	v_add_f32_e32 v40, v36, v37
	ds_read2_b64 v[36:39], v142 offset0:79 offset1:80
	buffer_load_dword v63, off, s[0:3], 0 offset:244
	buffer_load_dword v64, off, s[0:3], 0 offset:240
	;; [unrolled: 1-line block ×6, first 2 shown]
	s_waitcnt vmcnt(31) lgkmcnt(1)
	v_mul_f32_e32 v41, v32, v177
	s_waitcnt vmcnt(26)
	v_fmac_f32_e32 v41, v33, v183
	v_add_f32_e32 v40, v40, v41
	v_mul_f32_e32 v41, v34, v179
	v_fmac_f32_e32 v41, v35, v178
	v_add_f32_e32 v40, v40, v41
	s_waitcnt lgkmcnt(0)
	v_mul_f32_e32 v41, v36, v181
	v_fmac_f32_e32 v41, v37, v180
	v_add_f32_e32 v44, v40, v41
	ds_read2_b64 v[40:43], v142 offset0:81 offset1:82
	s_waitcnt vmcnt(24)
	v_mul_f32_e32 v45, v38, v184
	v_fmac_f32_e32 v45, v39, v182
	v_add_f32_e32 v48, v44, v45
	ds_read2_b64 v[44:47], v142 offset0:83 offset1:84
	s_waitcnt vmcnt(22) lgkmcnt(1)
	v_mul_f32_e32 v49, v40, v186
	v_fmac_f32_e32 v49, v41, v185
	v_add_f32_e32 v48, v48, v49
	s_waitcnt vmcnt(20)
	v_mul_f32_e32 v49, v42, v188
	v_fmac_f32_e32 v49, v43, v187
	v_add_f32_e32 v48, v48, v49
	s_waitcnt vmcnt(18) lgkmcnt(0)
	v_mul_f32_e32 v49, v44, v190
	v_fmac_f32_e32 v49, v45, v189
	buffer_load_dword v69, off, s[0:3], 0 offset:268
	buffer_load_dword v70, off, s[0:3], 0 offset:264
	;; [unrolled: 1-line block ×4, first 2 shown]
	v_add_f32_e32 v52, v48, v49
	ds_read2_b64 v[48:51], v142 offset0:85 offset1:86
	s_waitcnt vmcnt(20)
	v_mul_f32_e32 v53, v46, v192
	buffer_load_dword v73, off, s[0:3], 0 offset:280
	buffer_load_dword v74, off, s[0:3], 0 offset:284
	v_fmac_f32_e32 v53, v47, v191
	v_add_f32_e32 v75, v52, v53
	s_waitcnt vmcnt(20) lgkmcnt(0)
	v_mul_f32_e32 v76, v48, v194
	v_fmac_f32_e32 v76, v49, v193
	ds_read2_b64 v[52:55], v142 offset0:87 offset1:88
	v_add_f32_e32 v75, v75, v76
	buffer_load_dword v76, off, s[0:3], 0 offset:288
	buffer_load_dword v77, off, s[0:3], 0 offset:292
	s_waitcnt vmcnt(20)
	v_mul_f32_e32 v78, v50, v56
	v_fmac_f32_e32 v78, v51, v195
	buffer_load_dword v79, off, s[0:3], 0 offset:296
	buffer_load_dword v80, off, s[0:3], 0 offset:300
	;; [unrolled: 1-line block ×6, first 2 shown]
	v_add_f32_e32 v75, v75, v78
	s_waitcnt vmcnt(24) lgkmcnt(0)
	v_mul_f32_e32 v78, v52, v58
	v_fmac_f32_e32 v78, v53, v57
	v_add_f32_e32 v75, v75, v78
	buffer_load_dword v78, off, s[0:3], 0 offset:320
	buffer_load_dword v85, off, s[0:3], 0 offset:324
	ds_read2_b64 v[196:199], v142 offset0:89 offset1:90
	buffer_load_dword v87, off, s[0:3], 0 offset:328
	buffer_load_dword v88, off, s[0:3], 0 offset:332
	;; [unrolled: 1-line block ×6, first 2 shown]
	ds_read2_b64 v[200:203], v142 offset0:91 offset1:92
	buffer_load_dword v93, off, s[0:3], 0 offset:352
	buffer_load_dword v94, off, s[0:3], 0 offset:356
	v_mul_f32_e32 v17, v17, v151
	v_fma_f32 v16, v16, v162, -v17
	v_mul_f32_e32 v17, v19, v150
	v_add_f32_e32 v16, 0, v16
	v_fma_f32 v17, v18, v159, -v17
	v_mul_f32_e32 v9, v9, v149
	v_add_f32_e32 v16, v16, v17
	;; [unrolled: 3-line block ×3, first 2 shown]
	v_fma_f32 v9, v10, v160, -v9
	s_waitcnt vmcnt(32)
	v_mul_f32_e32 v86, v54, v60
	v_fmac_f32_e32 v86, v55, v59
	v_add_f32_e32 v75, v75, v86
	v_mul_f32_e32 v5, v5, v147
	v_add_f32_e32 v8, v8, v9
	s_waitcnt vmcnt(30) lgkmcnt(1)
	v_mul_f32_e32 v86, v196, v62
	v_fmac_f32_e32 v86, v197, v61
	v_add_f32_e32 v75, v75, v86
	buffer_load_dword v86, off, s[0:3], 0 offset:360
	buffer_load_dword v95, off, s[0:3], 0 offset:364
	;; [unrolled: 1-line block ×6, first 2 shown]
	v_fma_f32 v4, v4, v157, -v5
	v_mul_f32_e32 v5, v7, v146
	v_add_f32_e32 v4, v8, v4
	v_fma_f32 v5, v6, v155, -v5
	v_mul_f32_e32 v1, v1, v145
	buffer_load_dword v101, off, s[0:3], 0 offset:384
	buffer_load_dword v102, off, s[0:3], 0 offset:388
	v_add_f32_e32 v4, v4, v5
	v_fma_f32 v0, v0, v154, -v1
	v_mul_f32_e32 v1, v3, v152
	s_waitcnt vmcnt(37)
	v_mul_f32_e32 v100, v198, v63
	v_add_f32_e32 v0, v4, v0
	v_fma_f32 v1, v2, v167, -v1
	s_waitcnt vmcnt(36)
	v_fmac_f32_e32 v100, v199, v64
	v_add_f32_e32 v0, v0, v1
	v_mul_f32_e32 v1, v21, v153
	v_add_f32_e32 v75, v75, v100
	s_waitcnt vmcnt(34) lgkmcnt(0)
	v_mul_f32_e32 v100, v200, v66
	v_fma_f32 v1, v20, v164, -v1
	v_fmac_f32_e32 v100, v201, v65
	v_add_f32_e32 v0, v0, v1
	v_mul_f32_e32 v1, v23, v165
	v_add_f32_e32 v75, v75, v100
	buffer_load_dword v100, off, s[0:3], 0 offset:392
	buffer_load_dword v103, off, s[0:3], 0 offset:396
	;; [unrolled: 1-line block ×6, first 2 shown]
	v_fma_f32 v1, v22, v161, -v1
	s_waitcnt vmcnt(38)
	v_mul_f32_e32 v108, v202, v68
	v_add_f32_e32 v0, v0, v1
	v_mul_f32_e32 v1, v13, v163
	v_fmac_f32_e32 v108, v203, v67
	v_fma_f32 v1, v12, v158, -v1
	ds_read2_b64 v[204:207], v142 offset0:93 offset1:94
	v_add_f32_e32 v75, v75, v108
	buffer_load_dword v108, off, s[0:3], 0 offset:416
	buffer_load_dword v109, off, s[0:3], 0 offset:420
	v_add_f32_e32 v0, v0, v1
	v_mul_f32_e32 v1, v15, v166
	v_fma_f32 v1, v14, v174, -v1
	v_add_f32_e32 v0, v0, v1
	v_mul_f32_e32 v1, v25, v173
	v_fma_f32 v1, v24, v171, -v1
	v_add_f32_e32 v0, v0, v1
	v_mul_f32_e32 v1, v27, v172
	ds_read2_b64 v[208:211], v142 offset0:95 offset1:96
	buffer_load_dword v111, off, s[0:3], 0 offset:424
	buffer_load_dword v112, off, s[0:3], 0 offset:428
	;; [unrolled: 1-line block ×6, first 2 shown]
	v_fma_f32 v1, v26, v169, -v1
	v_add_f32_e32 v0, v0, v1
	v_mul_f32_e32 v1, v29, v170
	v_fma_f32 v1, v28, v168, -v1
	v_add_f32_e32 v0, v0, v1
	v_mul_f32_e32 v1, v31, v176
	;; [unrolled: 3-line block ×3, first 2 shown]
	buffer_load_dword v117, off, s[0:3], 0 offset:448
	buffer_load_dword v118, off, s[0:3], 0 offset:452
	;; [unrolled: 1-line block ×6, first 2 shown]
	v_fma_f32 v1, v32, v183, -v1
	v_add_f32_e32 v0, v0, v1
	v_mul_f32_e32 v1, v35, v179
	v_fma_f32 v1, v34, v178, -v1
	v_add_f32_e32 v0, v0, v1
	v_mul_f32_e32 v1, v37, v181
	;; [unrolled: 3-line block ×15, first 2 shown]
	v_fma_f32 v1, v202, v67, -v1
	v_add_f32_e32 v0, v0, v1
	s_waitcnt vmcnt(51) lgkmcnt(1)
	v_mul_f32_e32 v1, v205, v69
	v_mul_f32_e32 v110, v204, v69
	s_waitcnt vmcnt(50)
	v_fma_f32 v1, v204, v70, -v1
	v_fmac_f32_e32 v110, v205, v70
	v_add_f32_e32 v0, v0, v1
	s_waitcnt vmcnt(48)
	v_mul_f32_e32 v1, v207, v72
	v_add_f32_e32 v75, v75, v110
	v_mul_f32_e32 v110, v206, v72
	ds_read2_b64 v[212:215], v142 offset0:97 offset1:98
	ds_read2_b64 v[216:219], v142 offset0:99 offset1:100
	v_fma_f32 v1, v206, v71, -v1
	v_fmac_f32_e32 v110, v207, v71
	v_add_f32_e32 v0, v0, v1
	s_waitcnt vmcnt(46) lgkmcnt(2)
	v_mul_f32_e32 v1, v209, v74
	v_add_f32_e32 v75, v75, v110
	v_mul_f32_e32 v110, v208, v74
	v_fma_f32 v1, v208, v73, -v1
	v_fmac_f32_e32 v110, v209, v73
	v_add_f32_e32 v0, v0, v1
	s_waitcnt vmcnt(44)
	v_mul_f32_e32 v1, v211, v77
	v_add_f32_e32 v75, v75, v110
	v_mul_f32_e32 v110, v210, v77
	v_fma_f32 v1, v210, v76, -v1
	v_fmac_f32_e32 v110, v211, v76
	v_add_f32_e32 v0, v0, v1
	s_waitcnt vmcnt(42) lgkmcnt(1)
	v_mul_f32_e32 v1, v213, v80
	v_add_f32_e32 v75, v75, v110
	v_mul_f32_e32 v110, v212, v80
	v_fma_f32 v1, v212, v79, -v1
	v_fmac_f32_e32 v110, v213, v79
	v_add_f32_e32 v0, v0, v1
	s_waitcnt vmcnt(41)
	v_mul_f32_e32 v1, v215, v81
	v_add_f32_e32 v75, v75, v110
	v_mul_f32_e32 v110, v214, v81
	ds_read2_b64 v[220:223], v142 offset0:101 offset1:102
	ds_read2_b64 v[224:227], v142 offset0:103 offset1:104
	s_waitcnt vmcnt(38)
	v_fma_f32 v1, v214, v84, -v1
	v_fmac_f32_e32 v110, v215, v84
	v_add_f32_e32 v0, v0, v1
	s_waitcnt lgkmcnt(2)
	v_mul_f32_e32 v1, v217, v83
	v_add_f32_e32 v75, v75, v110
	v_mul_f32_e32 v110, v216, v83
	v_fma_f32 v1, v216, v82, -v1
	v_fmac_f32_e32 v110, v217, v82
	v_add_f32_e32 v0, v0, v1
	s_waitcnt vmcnt(36)
	v_mul_f32_e32 v1, v219, v85
	v_add_f32_e32 v75, v75, v110
	v_mul_f32_e32 v110, v218, v85
	v_fma_f32 v1, v218, v78, -v1
	v_fmac_f32_e32 v110, v219, v78
	v_add_f32_e32 v0, v0, v1
	s_waitcnt vmcnt(34) lgkmcnt(1)
	v_mul_f32_e32 v1, v221, v88
	v_add_f32_e32 v75, v75, v110
	v_mul_f32_e32 v110, v220, v88
	v_fma_f32 v1, v220, v87, -v1
	v_fmac_f32_e32 v110, v221, v87
	v_add_f32_e32 v0, v0, v1
	s_waitcnt vmcnt(33)
	v_mul_f32_e32 v1, v223, v89
	v_add_f32_e32 v75, v75, v110
	v_mul_f32_e32 v110, v222, v89
	ds_read2_b64 v[228:231], v142 offset0:105 offset1:106
	ds_read2_b64 v[232:235], v142 offset0:107 offset1:108
	s_waitcnt vmcnt(30)
	v_fma_f32 v1, v222, v92, -v1
	v_fmac_f32_e32 v110, v223, v92
	v_add_f32_e32 v0, v0, v1
	s_waitcnt lgkmcnt(2)
	;; [unrolled: 31-line block ×4, first 2 shown]
	v_mul_f32_e32 v1, v241, v106
	v_add_f32_e32 v75, v75, v110
	v_mul_f32_e32 v110, v240, v106
	v_fma_f32 v1, v240, v105, -v1
	v_fmac_f32_e32 v110, v241, v105
	v_add_f32_e32 v0, v0, v1
	s_waitcnt vmcnt(12)
	v_mul_f32_e32 v1, v243, v109
	v_add_f32_e32 v75, v75, v110
	v_mul_f32_e32 v110, v242, v109
	v_fma_f32 v1, v242, v108, -v1
	v_fmac_f32_e32 v110, v243, v108
	v_add_f32_e32 v0, v0, v1
	s_waitcnt vmcnt(10) lgkmcnt(1)
	v_mul_f32_e32 v1, v245, v112
	v_add_f32_e32 v75, v75, v110
	v_mul_f32_e32 v110, v244, v112
	v_fma_f32 v1, v244, v111, -v1
	v_fmac_f32_e32 v110, v245, v111
	v_add_f32_e32 v0, v0, v1
	s_waitcnt vmcnt(9)
	v_mul_f32_e32 v1, v247, v113
	v_add_f32_e32 v75, v75, v110
	v_mul_f32_e32 v110, v246, v113
	ds_read2_b64 v[252:255], v142 offset0:117 offset1:118
	s_waitcnt vmcnt(6)
	v_fma_f32 v1, v246, v116, -v1
	v_fmac_f32_e32 v110, v247, v116
	v_add_f32_e32 v0, v0, v1
	s_waitcnt lgkmcnt(1)
	v_mul_f32_e32 v1, v249, v115
	v_add_f32_e32 v75, v75, v110
	v_mul_f32_e32 v110, v248, v115
	v_fma_f32 v1, v248, v114, -v1
	v_fmac_f32_e32 v110, v249, v114
	v_add_f32_e32 v0, v0, v1
	s_waitcnt vmcnt(4)
	v_mul_f32_e32 v1, v251, v118
	v_add_f32_e32 v75, v75, v110
	v_mul_f32_e32 v110, v250, v118
	v_fma_f32 v1, v250, v117, -v1
	v_fmac_f32_e32 v110, v251, v117
	v_add_f32_e32 v0, v0, v1
	s_waitcnt vmcnt(3) lgkmcnt(0)
	v_mul_f32_e32 v1, v253, v119
	v_add_f32_e32 v75, v75, v110
	v_mul_f32_e32 v110, v252, v119
	s_waitcnt vmcnt(0)
	v_fma_f32 v1, v252, v122, -v1
	v_fmac_f32_e32 v110, v253, v122
	v_add_f32_e32 v0, v0, v1
	v_mul_f32_e32 v1, v255, v121
	v_add_f32_e32 v75, v75, v110
	v_mul_f32_e32 v110, v254, v121
	v_fma_f32 v1, v254, v120, -v1
	v_fmac_f32_e32 v110, v255, v120
	v_add_f32_e32 v0, v0, v1
	v_add_f32_e32 v75, v75, v110
	v_sub_f32_e32 v0, v143, v0
	v_sub_f32_e32 v1, v144, v75
	buffer_store_dword v0, off, s[0:3], 0
	buffer_store_dword v1, off, s[0:3], 0 offset:4
	s_cbranch_vccz .LBB58_484
; %bb.368:
	v_mov_b32_e32 v0, 0
	global_load_dword v1, v0, s[20:21] offset:228
	s_waitcnt vmcnt(0)
	v_add_u32_e32 v1, -1, v1
	v_cmp_ne_u32_e32 vcc, 57, v1
	s_cbranch_vccz .LBB58_370
; %bb.369:
	v_lshlrev_b32_e32 v1, 3, v1
	buffer_load_dword v2, v1, s[0:3], 0 offen
	buffer_load_dword v3, v1, s[0:3], 0 offen offset:4
	buffer_load_dword v4, off, s[0:3], 0 offset:456
	buffer_load_dword v5, off, s[0:3], 0 offset:460
	s_waitcnt vmcnt(3)
	buffer_store_dword v2, off, s[0:3], 0 offset:456
	s_waitcnt vmcnt(3)
	buffer_store_dword v3, off, s[0:3], 0 offset:460
	s_waitcnt vmcnt(3)
	buffer_store_dword v4, v1, s[0:3], 0 offen
	s_waitcnt vmcnt(3)
	buffer_store_dword v5, v1, s[0:3], 0 offen offset:4
.LBB58_370:
	global_load_dword v0, v0, s[20:21] offset:224
	s_waitcnt vmcnt(0)
	v_add_u32_e32 v0, -1, v0
	v_cmp_eq_u32_e32 vcc, 56, v0
	s_cbranch_vccnz .LBB58_372
; %bb.371:
	v_lshlrev_b32_e32 v0, 3, v0
	buffer_load_dword v1, v0, s[0:3], 0 offen
	buffer_load_dword v2, v0, s[0:3], 0 offen offset:4
	buffer_load_dword v3, off, s[0:3], 0 offset:452
	buffer_load_dword v4, off, s[0:3], 0 offset:448
	s_waitcnt vmcnt(3)
	buffer_store_dword v1, off, s[0:3], 0 offset:448
	s_waitcnt vmcnt(3)
	buffer_store_dword v2, off, s[0:3], 0 offset:452
	s_waitcnt vmcnt(3)
	buffer_store_dword v3, v0, s[0:3], 0 offen offset:4
	s_waitcnt vmcnt(3)
	buffer_store_dword v4, v0, s[0:3], 0 offen
.LBB58_372:
	v_mov_b32_e32 v0, 0
	global_load_dword v1, v0, s[20:21] offset:220
	s_waitcnt vmcnt(0)
	v_add_u32_e32 v1, -1, v1
	v_cmp_eq_u32_e32 vcc, 55, v1
	s_cbranch_vccnz .LBB58_374
; %bb.373:
	v_lshlrev_b32_e32 v1, 3, v1
	buffer_load_dword v2, v1, s[0:3], 0 offen
	buffer_load_dword v3, v1, s[0:3], 0 offen offset:4
	buffer_load_dword v4, off, s[0:3], 0 offset:440
	buffer_load_dword v5, off, s[0:3], 0 offset:444
	s_waitcnt vmcnt(3)
	buffer_store_dword v2, off, s[0:3], 0 offset:440
	s_waitcnt vmcnt(3)
	buffer_store_dword v3, off, s[0:3], 0 offset:444
	s_waitcnt vmcnt(3)
	buffer_store_dword v4, v1, s[0:3], 0 offen
	s_waitcnt vmcnt(3)
	buffer_store_dword v5, v1, s[0:3], 0 offen offset:4
.LBB58_374:
	global_load_dword v0, v0, s[20:21] offset:216
	s_waitcnt vmcnt(0)
	v_add_u32_e32 v0, -1, v0
	v_cmp_eq_u32_e32 vcc, 54, v0
	s_cbranch_vccnz .LBB58_376
; %bb.375:
	v_lshlrev_b32_e32 v0, 3, v0
	buffer_load_dword v1, v0, s[0:3], 0 offen
	buffer_load_dword v2, v0, s[0:3], 0 offen offset:4
	buffer_load_dword v3, off, s[0:3], 0 offset:436
	buffer_load_dword v4, off, s[0:3], 0 offset:432
	s_waitcnt vmcnt(3)
	buffer_store_dword v1, off, s[0:3], 0 offset:432
	s_waitcnt vmcnt(3)
	buffer_store_dword v2, off, s[0:3], 0 offset:436
	s_waitcnt vmcnt(3)
	buffer_store_dword v3, v0, s[0:3], 0 offen offset:4
	s_waitcnt vmcnt(3)
	buffer_store_dword v4, v0, s[0:3], 0 offen
.LBB58_376:
	v_mov_b32_e32 v0, 0
	global_load_dword v1, v0, s[20:21] offset:212
	s_waitcnt vmcnt(0)
	v_add_u32_e32 v1, -1, v1
	v_cmp_eq_u32_e32 vcc, 53, v1
	s_cbranch_vccnz .LBB58_378
; %bb.377:
	v_lshlrev_b32_e32 v1, 3, v1
	buffer_load_dword v2, v1, s[0:3], 0 offen
	buffer_load_dword v3, v1, s[0:3], 0 offen offset:4
	buffer_load_dword v4, off, s[0:3], 0 offset:424
	buffer_load_dword v5, off, s[0:3], 0 offset:428
	s_waitcnt vmcnt(3)
	buffer_store_dword v2, off, s[0:3], 0 offset:424
	s_waitcnt vmcnt(3)
	buffer_store_dword v3, off, s[0:3], 0 offset:428
	s_waitcnt vmcnt(3)
	buffer_store_dword v4, v1, s[0:3], 0 offen
	s_waitcnt vmcnt(3)
	buffer_store_dword v5, v1, s[0:3], 0 offen offset:4
.LBB58_378:
	;; [unrolled: 41-line block ×28, first 2 shown]
	global_load_dword v0, v0, s[20:21]
	s_waitcnt vmcnt(0)
	v_add_u32_e32 v0, -1, v0
	v_cmp_eq_u32_e32 vcc, 0, v0
	s_cbranch_vccnz .LBB58_484
; %bb.483:
	v_lshlrev_b32_e32 v0, 3, v0
	buffer_load_dword v1, v0, s[0:3], 0 offen
	buffer_load_dword v2, v0, s[0:3], 0 offen offset:4
	buffer_load_dword v3, off, s[0:3], 0 offset:4
	buffer_load_dword v4, off, s[0:3], 0
	s_waitcnt vmcnt(3)
	buffer_store_dword v1, off, s[0:3], 0
	s_waitcnt vmcnt(3)
	buffer_store_dword v2, off, s[0:3], 0 offset:4
	s_waitcnt vmcnt(3)
	buffer_store_dword v3, v0, s[0:3], 0 offen offset:4
	s_waitcnt vmcnt(3)
	buffer_store_dword v4, v0, s[0:3], 0 offen
.LBB58_484:
	buffer_load_dword v0, off, s[0:3], 0
	s_nop 0
	buffer_load_dword v1, off, s[0:3], 0 offset:4
	buffer_load_dword v2, off, s[0:3], 0 offset:8
	buffer_load_dword v3, off, s[0:3], 0 offset:12
	buffer_load_dword v4, off, s[0:3], 0 offset:16
	buffer_load_dword v5, off, s[0:3], 0 offset:20
	buffer_load_dword v6, off, s[0:3], 0 offset:24
	buffer_load_dword v7, off, s[0:3], 0 offset:28
	buffer_load_dword v8, off, s[0:3], 0 offset:32
	buffer_load_dword v9, off, s[0:3], 0 offset:36
	buffer_load_dword v10, off, s[0:3], 0 offset:40
	buffer_load_dword v11, off, s[0:3], 0 offset:44
	buffer_load_dword v12, off, s[0:3], 0 offset:48
	buffer_load_dword v13, off, s[0:3], 0 offset:52
	buffer_load_dword v14, off, s[0:3], 0 offset:56
	buffer_load_dword v15, off, s[0:3], 0 offset:60
	buffer_load_dword v17, off, s[0:3], 0 offset:68
	buffer_load_dword v18, off, s[0:3], 0 offset:72
	buffer_load_dword v19, off, s[0:3], 0 offset:76
	buffer_load_dword v20, off, s[0:3], 0 offset:80
	buffer_load_dword v21, off, s[0:3], 0 offset:84
	buffer_load_dword v22, off, s[0:3], 0 offset:88
	buffer_load_dword v23, off, s[0:3], 0 offset:92
	buffer_load_dword v16, off, s[0:3], 0 offset:64
	buffer_load_dword v24, off, s[0:3], 0 offset:96
	buffer_load_dword v25, off, s[0:3], 0 offset:100
	buffer_load_dword v26, off, s[0:3], 0 offset:104
	buffer_load_dword v27, off, s[0:3], 0 offset:108
	buffer_load_dword v28, off, s[0:3], 0 offset:112
	buffer_load_dword v29, off, s[0:3], 0 offset:116
	buffer_load_dword v30, off, s[0:3], 0 offset:120
	buffer_load_dword v31, off, s[0:3], 0 offset:124
	buffer_load_dword v32, off, s[0:3], 0 offset:128
	buffer_load_dword v33, off, s[0:3], 0 offset:132
	buffer_load_dword v34, off, s[0:3], 0 offset:136
	buffer_load_dword v35, off, s[0:3], 0 offset:140
	buffer_load_dword v36, off, s[0:3], 0 offset:144
	buffer_load_dword v37, off, s[0:3], 0 offset:148
	buffer_load_dword v38, off, s[0:3], 0 offset:152
	buffer_load_dword v39, off, s[0:3], 0 offset:156
	buffer_load_dword v40, off, s[0:3], 0 offset:160
	buffer_load_dword v41, off, s[0:3], 0 offset:164
	buffer_load_dword v42, off, s[0:3], 0 offset:168
	buffer_load_dword v43, off, s[0:3], 0 offset:172
	buffer_load_dword v44, off, s[0:3], 0 offset:176
	buffer_load_dword v45, off, s[0:3], 0 offset:180
	buffer_load_dword v46, off, s[0:3], 0 offset:184
	buffer_load_dword v47, off, s[0:3], 0 offset:188
	buffer_load_dword v48, off, s[0:3], 0 offset:192
	buffer_load_dword v49, off, s[0:3], 0 offset:196
	buffer_load_dword v50, off, s[0:3], 0 offset:200
	buffer_load_dword v51, off, s[0:3], 0 offset:204
	buffer_load_dword v52, off, s[0:3], 0 offset:208
	buffer_load_dword v53, off, s[0:3], 0 offset:212
	buffer_load_dword v54, off, s[0:3], 0 offset:216
	buffer_load_dword v55, off, s[0:3], 0 offset:220
	buffer_load_dword v142, off, s[0:3], 0 offset:224
	buffer_load_dword v143, off, s[0:3], 0 offset:228
	buffer_load_dword v144, off, s[0:3], 0 offset:232
	buffer_load_dword v145, off, s[0:3], 0 offset:236
	buffer_load_dword v146, off, s[0:3], 0 offset:240
	buffer_load_dword v147, off, s[0:3], 0 offset:244
	buffer_load_dword v148, off, s[0:3], 0 offset:248
	buffer_load_dword v149, off, s[0:3], 0 offset:252
	buffer_load_dword v150, off, s[0:3], 0 offset:256
	buffer_load_dword v151, off, s[0:3], 0 offset:260
	buffer_load_dword v152, off, s[0:3], 0 offset:264
	buffer_load_dword v153, off, s[0:3], 0 offset:268
	buffer_load_dword v154, off, s[0:3], 0 offset:272
	buffer_load_dword v155, off, s[0:3], 0 offset:276
	buffer_load_dword v156, off, s[0:3], 0 offset:280
	buffer_load_dword v157, off, s[0:3], 0 offset:284
	buffer_load_dword v158, off, s[0:3], 0 offset:288
	buffer_load_dword v159, off, s[0:3], 0 offset:292
	buffer_load_dword v160, off, s[0:3], 0 offset:296
	buffer_load_dword v161, off, s[0:3], 0 offset:300
	buffer_load_dword v162, off, s[0:3], 0 offset:304
	buffer_load_dword v163, off, s[0:3], 0 offset:308
	buffer_load_dword v164, off, s[0:3], 0 offset:312
	buffer_load_dword v165, off, s[0:3], 0 offset:316
	buffer_load_dword v166, off, s[0:3], 0 offset:320
	buffer_load_dword v167, off, s[0:3], 0 offset:324
	buffer_load_dword v168, off, s[0:3], 0 offset:328
	buffer_load_dword v169, off, s[0:3], 0 offset:332
	buffer_load_dword v170, off, s[0:3], 0 offset:336
	buffer_load_dword v171, off, s[0:3], 0 offset:340
	buffer_load_dword v172, off, s[0:3], 0 offset:344
	buffer_load_dword v173, off, s[0:3], 0 offset:348
	buffer_load_dword v174, off, s[0:3], 0 offset:352
	buffer_load_dword v175, off, s[0:3], 0 offset:356
	buffer_load_dword v176, off, s[0:3], 0 offset:360
	buffer_load_dword v177, off, s[0:3], 0 offset:364
	buffer_load_dword v178, off, s[0:3], 0 offset:368
	buffer_load_dword v179, off, s[0:3], 0 offset:372
	buffer_load_dword v180, off, s[0:3], 0 offset:376
	buffer_load_dword v181, off, s[0:3], 0 offset:380
	buffer_load_dword v182, off, s[0:3], 0 offset:384
	buffer_load_dword v183, off, s[0:3], 0 offset:388
	buffer_load_dword v184, off, s[0:3], 0 offset:392
	buffer_load_dword v185, off, s[0:3], 0 offset:396
	buffer_load_dword v186, off, s[0:3], 0 offset:400
	buffer_load_dword v187, off, s[0:3], 0 offset:404
	buffer_load_dword v188, off, s[0:3], 0 offset:408
	buffer_load_dword v189, off, s[0:3], 0 offset:412
	buffer_load_dword v190, off, s[0:3], 0 offset:416
	buffer_load_dword v191, off, s[0:3], 0 offset:420
	buffer_load_dword v192, off, s[0:3], 0 offset:424
	buffer_load_dword v193, off, s[0:3], 0 offset:428
	buffer_load_dword v194, off, s[0:3], 0 offset:432
	buffer_load_dword v195, off, s[0:3], 0 offset:436
	buffer_load_dword v196, off, s[0:3], 0 offset:440
	buffer_load_dword v197, off, s[0:3], 0 offset:444
	buffer_load_dword v198, off, s[0:3], 0 offset:448
	buffer_load_dword v199, off, s[0:3], 0 offset:452
	buffer_load_dword v200, off, s[0:3], 0 offset:456
	buffer_load_dword v201, off, s[0:3], 0 offset:460
	buffer_load_dword v202, off, s[0:3], 0 offset:464
	buffer_load_dword v203, off, s[0:3], 0 offset:468
	s_waitcnt vmcnt(62)
	global_store_dwordx2 v[130:131], v[0:1], off
	global_store_dwordx2 v[134:135], v[2:3], off
	buffer_load_dword v0, off, s[0:3], 0 offset:472 ; 4-byte Folded Reload
	s_nop 0
	buffer_load_dword v1, off, s[0:3], 0 offset:476 ; 4-byte Folded Reload
	s_waitcnt vmcnt(0)
	global_store_dwordx2 v[0:1], v[4:5], off
	buffer_load_dword v0, off, s[0:3], 0 offset:480 ; 4-byte Folded Reload
	s_nop 0
	buffer_load_dword v1, off, s[0:3], 0 offset:484 ; 4-byte Folded Reload
	s_waitcnt vmcnt(0)
	;; [unrolled: 5-line block ×50, first 2 shown]
	global_store_dwordx2 v[0:1], v[188:189], off
	global_store_dwordx2 v[124:125], v[190:191], off
	;; [unrolled: 1-line block ×8, first 2 shown]
	s_endpgm
	.section	.rodata,"a",@progbits
	.p2align	6, 0x0
	.amdhsa_kernel _ZN9rocsolver6v33100L18getri_kernel_smallILi59E19rocblas_complex_numIfEPS3_EEvT1_iilPiilS6_bb
		.amdhsa_group_segment_fixed_size 952
		.amdhsa_private_segment_fixed_size 880
		.amdhsa_kernarg_size 60
		.amdhsa_user_sgpr_count 6
		.amdhsa_user_sgpr_private_segment_buffer 1
		.amdhsa_user_sgpr_dispatch_ptr 0
		.amdhsa_user_sgpr_queue_ptr 0
		.amdhsa_user_sgpr_kernarg_segment_ptr 1
		.amdhsa_user_sgpr_dispatch_id 0
		.amdhsa_user_sgpr_flat_scratch_init 0
		.amdhsa_user_sgpr_private_segment_size 0
		.amdhsa_uses_dynamic_stack 0
		.amdhsa_system_sgpr_private_segment_wavefront_offset 1
		.amdhsa_system_sgpr_workgroup_id_x 1
		.amdhsa_system_sgpr_workgroup_id_y 0
		.amdhsa_system_sgpr_workgroup_id_z 0
		.amdhsa_system_sgpr_workgroup_info 0
		.amdhsa_system_vgpr_workitem_id 0
		.amdhsa_next_free_vgpr 256
		.amdhsa_next_free_sgpr 24
		.amdhsa_reserve_vcc 1
		.amdhsa_reserve_flat_scratch 0
		.amdhsa_float_round_mode_32 0
		.amdhsa_float_round_mode_16_64 0
		.amdhsa_float_denorm_mode_32 3
		.amdhsa_float_denorm_mode_16_64 3
		.amdhsa_dx10_clamp 1
		.amdhsa_ieee_mode 1
		.amdhsa_fp16_overflow 0
		.amdhsa_exception_fp_ieee_invalid_op 0
		.amdhsa_exception_fp_denorm_src 0
		.amdhsa_exception_fp_ieee_div_zero 0
		.amdhsa_exception_fp_ieee_overflow 0
		.amdhsa_exception_fp_ieee_underflow 0
		.amdhsa_exception_fp_ieee_inexact 0
		.amdhsa_exception_int_div_zero 0
	.end_amdhsa_kernel
	.section	.text._ZN9rocsolver6v33100L18getri_kernel_smallILi59E19rocblas_complex_numIfEPS3_EEvT1_iilPiilS6_bb,"axG",@progbits,_ZN9rocsolver6v33100L18getri_kernel_smallILi59E19rocblas_complex_numIfEPS3_EEvT1_iilPiilS6_bb,comdat
.Lfunc_end58:
	.size	_ZN9rocsolver6v33100L18getri_kernel_smallILi59E19rocblas_complex_numIfEPS3_EEvT1_iilPiilS6_bb, .Lfunc_end58-_ZN9rocsolver6v33100L18getri_kernel_smallILi59E19rocblas_complex_numIfEPS3_EEvT1_iilPiilS6_bb
                                        ; -- End function
	.set _ZN9rocsolver6v33100L18getri_kernel_smallILi59E19rocblas_complex_numIfEPS3_EEvT1_iilPiilS6_bb.num_vgpr, 256
	.set _ZN9rocsolver6v33100L18getri_kernel_smallILi59E19rocblas_complex_numIfEPS3_EEvT1_iilPiilS6_bb.num_agpr, 0
	.set _ZN9rocsolver6v33100L18getri_kernel_smallILi59E19rocblas_complex_numIfEPS3_EEvT1_iilPiilS6_bb.numbered_sgpr, 24
	.set _ZN9rocsolver6v33100L18getri_kernel_smallILi59E19rocblas_complex_numIfEPS3_EEvT1_iilPiilS6_bb.num_named_barrier, 0
	.set _ZN9rocsolver6v33100L18getri_kernel_smallILi59E19rocblas_complex_numIfEPS3_EEvT1_iilPiilS6_bb.private_seg_size, 880
	.set _ZN9rocsolver6v33100L18getri_kernel_smallILi59E19rocblas_complex_numIfEPS3_EEvT1_iilPiilS6_bb.uses_vcc, 1
	.set _ZN9rocsolver6v33100L18getri_kernel_smallILi59E19rocblas_complex_numIfEPS3_EEvT1_iilPiilS6_bb.uses_flat_scratch, 0
	.set _ZN9rocsolver6v33100L18getri_kernel_smallILi59E19rocblas_complex_numIfEPS3_EEvT1_iilPiilS6_bb.has_dyn_sized_stack, 0
	.set _ZN9rocsolver6v33100L18getri_kernel_smallILi59E19rocblas_complex_numIfEPS3_EEvT1_iilPiilS6_bb.has_recursion, 0
	.set _ZN9rocsolver6v33100L18getri_kernel_smallILi59E19rocblas_complex_numIfEPS3_EEvT1_iilPiilS6_bb.has_indirect_call, 0
	.section	.AMDGPU.csdata,"",@progbits
; Kernel info:
; codeLenInByte = 124668
; TotalNumSgprs: 28
; NumVgprs: 256
; ScratchSize: 880
; MemoryBound: 0
; FloatMode: 240
; IeeeMode: 1
; LDSByteSize: 952 bytes/workgroup (compile time only)
; SGPRBlocks: 3
; VGPRBlocks: 63
; NumSGPRsForWavesPerEU: 28
; NumVGPRsForWavesPerEU: 256
; Occupancy: 1
; WaveLimiterHint : 1
; COMPUTE_PGM_RSRC2:SCRATCH_EN: 1
; COMPUTE_PGM_RSRC2:USER_SGPR: 6
; COMPUTE_PGM_RSRC2:TRAP_HANDLER: 0
; COMPUTE_PGM_RSRC2:TGID_X_EN: 1
; COMPUTE_PGM_RSRC2:TGID_Y_EN: 0
; COMPUTE_PGM_RSRC2:TGID_Z_EN: 0
; COMPUTE_PGM_RSRC2:TIDIG_COMP_CNT: 0
	.section	.text._ZN9rocsolver6v33100L18getri_kernel_smallILi60E19rocblas_complex_numIfEPS3_EEvT1_iilPiilS6_bb,"axG",@progbits,_ZN9rocsolver6v33100L18getri_kernel_smallILi60E19rocblas_complex_numIfEPS3_EEvT1_iilPiilS6_bb,comdat
	.globl	_ZN9rocsolver6v33100L18getri_kernel_smallILi60E19rocblas_complex_numIfEPS3_EEvT1_iilPiilS6_bb ; -- Begin function _ZN9rocsolver6v33100L18getri_kernel_smallILi60E19rocblas_complex_numIfEPS3_EEvT1_iilPiilS6_bb
	.p2align	8
	.type	_ZN9rocsolver6v33100L18getri_kernel_smallILi60E19rocblas_complex_numIfEPS3_EEvT1_iilPiilS6_bb,@function
_ZN9rocsolver6v33100L18getri_kernel_smallILi60E19rocblas_complex_numIfEPS3_EEvT1_iilPiilS6_bb: ; @_ZN9rocsolver6v33100L18getri_kernel_smallILi60E19rocblas_complex_numIfEPS3_EEvT1_iilPiilS6_bb
; %bb.0:
	s_add_u32 s0, s0, s7
	s_addc_u32 s1, s1, 0
	v_cmp_gt_u32_e32 vcc, 60, v0
	s_and_saveexec_b64 s[8:9], vcc
	s_cbranch_execz .LBB59_254
; %bb.1:
	s_load_dword s12, s[4:5], 0x38
	s_load_dwordx4 s[16:19], s[4:5], 0x10
	s_load_dwordx4 s[8:11], s[4:5], 0x28
                                        ; implicit-def: $sgpr20_sgpr21
	s_waitcnt lgkmcnt(0)
	s_bitcmp1_b32 s12, 8
	s_cselect_b64 s[22:23], -1, 0
	s_ashr_i32 s7, s6, 31
	s_bfe_u32 s12, s12, 0x10008
	s_cmp_eq_u32 s12, 0
	s_cbranch_scc1 .LBB59_3
; %bb.2:
	s_load_dword s12, s[4:5], 0x20
	s_mul_i32 s13, s8, s7
	s_mul_hi_u32 s14, s8, s6
	s_mul_i32 s9, s9, s6
	s_add_i32 s14, s14, s13
	s_add_i32 s9, s14, s9
	s_mul_i32 s8, s8, s6
	s_waitcnt lgkmcnt(0)
	s_ashr_i32 s13, s12, 31
	s_lshl_b64 s[8:9], s[8:9], 2
	s_add_u32 s14, s18, s8
	s_addc_u32 s15, s19, s9
	s_lshl_b64 s[8:9], s[12:13], 2
	s_add_u32 s20, s14, s8
	s_addc_u32 s21, s15, s9
.LBB59_3:
	s_load_dwordx4 s[12:15], s[4:5], 0x0
	s_load_dword s8, s[4:5], 0x38
	s_mul_i32 s9, s16, s7
	s_mul_hi_u32 s18, s16, s6
	s_add_i32 s9, s18, s9
	s_waitcnt lgkmcnt(0)
	s_ashr_i32 s5, s14, 31
	s_mov_b32 s4, s14
	s_mul_i32 s14, s17, s6
	s_add_i32 s17, s9, s14
	s_mul_i32 s16, s16, s6
	s_lshl_b64 s[16:17], s[16:17], 3
	s_add_u32 s9, s12, s16
	s_addc_u32 s12, s13, s17
	s_lshl_b64 s[4:5], s[4:5], 3
	s_add_u32 s4, s9, s4
	s_addc_u32 s5, s12, s5
	v_lshlrev_b32_e32 v173, 3, v0
	v_mov_b32_e32 v1, s5
	v_add_co_u32_e32 v25, vcc, s4, v173
	s_ashr_i32 s13, s15, 31
	s_mov_b32 s12, s15
	v_addc_co_u32_e32 v26, vcc, 0, v1, vcc
	s_lshl_b64 s[12:13], s[12:13], 3
	v_mov_b32_e32 v1, s13
	v_add_co_u32_e32 v7, vcc, s12, v25
	v_addc_co_u32_e32 v8, vcc, v26, v1, vcc
	global_load_dwordx2 v[3:4], v173, s[4:5]
	s_nop 0
	buffer_store_dword v7, off, s[0:3], 0 offset:480 ; 4-byte Folded Spill
	s_nop 0
	buffer_store_dword v8, off, s[0:3], 0 offset:484 ; 4-byte Folded Spill
	s_add_i32 s9, s15, s15
	v_add_u32_e32 v1, s9, v0
	v_ashrrev_i32_e32 v2, 31, v1
	v_lshlrev_b64 v[5:6], 3, v[1:2]
	v_mov_b32_e32 v2, s5
	v_add_co_u32_e32 v9, vcc, s4, v5
	v_add_u32_e32 v1, s15, v1
	v_addc_co_u32_e32 v10, vcc, v2, v6, vcc
	v_ashrrev_i32_e32 v2, 31, v1
	v_lshlrev_b64 v[5:6], 3, v[1:2]
	v_mov_b32_e32 v2, s5
	v_add_co_u32_e32 v11, vcc, s4, v5
	v_add_u32_e32 v1, s15, v1
	v_addc_co_u32_e32 v12, vcc, v2, v6, vcc
	v_ashrrev_i32_e32 v2, 31, v1
	v_lshlrev_b64 v[5:6], 3, v[1:2]
	v_mov_b32_e32 v2, s5
	v_add_co_u32_e32 v13, vcc, s4, v5
	v_addc_co_u32_e32 v14, vcc, v2, v6, vcc
	v_add_u32_e32 v1, s15, v1
	v_ashrrev_i32_e32 v2, 31, v1
	s_bitcmp0_b32 s8, 0
	s_mov_b64 s[8:9], -1
	global_load_dwordx2 v[5:6], v[7:8], off
	s_nop 0
	buffer_store_dword v9, off, s[0:3], 0 offset:488 ; 4-byte Folded Spill
	s_nop 0
	buffer_store_dword v10, off, s[0:3], 0 offset:492 ; 4-byte Folded Spill
	global_load_dwordx2 v[7:8], v[9:10], off
	s_nop 0
	buffer_store_dword v11, off, s[0:3], 0 offset:496 ; 4-byte Folded Spill
	s_nop 0
	buffer_store_dword v12, off, s[0:3], 0 offset:500 ; 4-byte Folded Spill
	global_load_dwordx2 v[9:10], v[11:12], off
	s_nop 0
	buffer_store_dword v13, off, s[0:3], 0 offset:504 ; 4-byte Folded Spill
	s_nop 0
	buffer_store_dword v14, off, s[0:3], 0 offset:508 ; 4-byte Folded Spill
	global_load_dwordx2 v[11:12], v[13:14], off
	v_lshlrev_b64 v[13:14], 3, v[1:2]
	v_mov_b32_e32 v2, s5
	v_add_co_u32_e32 v15, vcc, s4, v13
	v_addc_co_u32_e32 v16, vcc, v2, v14, vcc
	buffer_store_dword v15, off, s[0:3], 0 offset:512 ; 4-byte Folded Spill
	s_nop 0
	buffer_store_dword v16, off, s[0:3], 0 offset:516 ; 4-byte Folded Spill
	v_add_u32_e32 v1, s15, v1
	v_ashrrev_i32_e32 v2, 31, v1
	v_lshlrev_b64 v[13:14], 3, v[1:2]
	v_mov_b32_e32 v2, s5
	v_add_co_u32_e32 v17, vcc, s4, v13
	v_add_u32_e32 v1, s15, v1
	v_addc_co_u32_e32 v18, vcc, v2, v14, vcc
	v_ashrrev_i32_e32 v2, 31, v1
	v_lshlrev_b64 v[13:14], 3, v[1:2]
	v_mov_b32_e32 v2, s5
	v_add_co_u32_e32 v19, vcc, s4, v13
	v_add_u32_e32 v1, s15, v1
	v_addc_co_u32_e32 v20, vcc, v2, v14, vcc
	v_ashrrev_i32_e32 v2, 31, v1
	v_lshlrev_b64 v[13:14], 3, v[1:2]
	v_mov_b32_e32 v2, s5
	v_add_co_u32_e32 v21, vcc, s4, v13
	v_addc_co_u32_e32 v22, vcc, v2, v14, vcc
	v_add_u32_e32 v1, s15, v1
	v_ashrrev_i32_e32 v2, 31, v1
	global_load_dwordx2 v[13:14], v[15:16], off
	s_nop 0
	buffer_store_dword v17, off, s[0:3], 0 offset:520 ; 4-byte Folded Spill
	s_nop 0
	buffer_store_dword v18, off, s[0:3], 0 offset:524 ; 4-byte Folded Spill
	global_load_dwordx2 v[15:16], v[17:18], off
	s_nop 0
	buffer_store_dword v19, off, s[0:3], 0 offset:528 ; 4-byte Folded Spill
	s_nop 0
	buffer_store_dword v20, off, s[0:3], 0 offset:532 ; 4-byte Folded Spill
	global_load_dwordx2 v[17:18], v[19:20], off
	s_nop 0
	buffer_store_dword v21, off, s[0:3], 0 offset:536 ; 4-byte Folded Spill
	s_nop 0
	buffer_store_dword v22, off, s[0:3], 0 offset:540 ; 4-byte Folded Spill
	global_load_dwordx2 v[19:20], v[21:22], off
	v_lshlrev_b64 v[21:22], 3, v[1:2]
	v_mov_b32_e32 v2, s5
	v_add_co_u32_e32 v23, vcc, s4, v21
	v_addc_co_u32_e32 v24, vcc, v2, v22, vcc
	buffer_store_dword v23, off, s[0:3], 0 offset:544 ; 4-byte Folded Spill
	s_nop 0
	buffer_store_dword v24, off, s[0:3], 0 offset:548 ; 4-byte Folded Spill
	v_add_u32_e32 v1, s15, v1
	v_ashrrev_i32_e32 v2, 31, v1
	v_lshlrev_b64 v[21:22], 3, v[1:2]
	v_mov_b32_e32 v2, s5
	v_add_co_u32_e32 v27, vcc, s4, v21
	v_add_u32_e32 v1, s15, v1
	v_addc_co_u32_e32 v28, vcc, v2, v22, vcc
	v_ashrrev_i32_e32 v2, 31, v1
	v_lshlrev_b64 v[21:22], 3, v[1:2]
	v_mov_b32_e32 v2, s5
	v_add_co_u32_e32 v29, vcc, s4, v21
	v_add_u32_e32 v1, s15, v1
	v_addc_co_u32_e32 v30, vcc, v2, v22, vcc
	v_ashrrev_i32_e32 v2, 31, v1
	v_lshlrev_b64 v[21:22], 3, v[1:2]
	v_mov_b32_e32 v2, s5
	v_add_co_u32_e32 v31, vcc, s4, v21
	v_addc_co_u32_e32 v32, vcc, v2, v22, vcc
	v_add_u32_e32 v1, s15, v1
	v_ashrrev_i32_e32 v2, 31, v1
	;; [unrolled: 43-line block ×3, first 2 shown]
	global_load_dwordx2 v[31:32], v[33:34], off
	s_nop 0
	buffer_store_dword v35, off, s[0:3], 0 offset:584 ; 4-byte Folded Spill
	s_nop 0
	buffer_store_dword v36, off, s[0:3], 0 offset:588 ; 4-byte Folded Spill
	global_load_dwordx2 v[33:34], v[35:36], off
	s_nop 0
	buffer_store_dword v37, off, s[0:3], 0 offset:592 ; 4-byte Folded Spill
	s_nop 0
	buffer_store_dword v38, off, s[0:3], 0 offset:596 ; 4-byte Folded Spill
	;; [unrolled: 5-line block ×3, first 2 shown]
	global_load_dwordx2 v[37:38], v[39:40], off
	v_lshlrev_b64 v[39:40], 3, v[1:2]
	v_mov_b32_e32 v2, s5
	v_add_co_u32_e32 v41, vcc, s4, v39
	v_addc_co_u32_e32 v42, vcc, v2, v40, vcc
	buffer_store_dword v41, off, s[0:3], 0 offset:608 ; 4-byte Folded Spill
	s_nop 0
	buffer_store_dword v42, off, s[0:3], 0 offset:612 ; 4-byte Folded Spill
	v_add_u32_e32 v1, s15, v1
	v_ashrrev_i32_e32 v2, 31, v1
	v_lshlrev_b64 v[39:40], 3, v[1:2]
	v_mov_b32_e32 v2, s5
	v_add_co_u32_e32 v43, vcc, s4, v39
	v_addc_co_u32_e32 v44, vcc, v2, v40, vcc
	global_load_dwordx2 v[39:40], v[41:42], off
	s_nop 0
	buffer_store_dword v43, off, s[0:3], 0 offset:616 ; 4-byte Folded Spill
	s_nop 0
	buffer_store_dword v44, off, s[0:3], 0 offset:620 ; 4-byte Folded Spill
	global_load_dwordx2 v[41:42], v[43:44], off
	v_add_u32_e32 v43, s15, v1
	v_ashrrev_i32_e32 v44, 31, v43
	v_lshlrev_b64 v[1:2], 3, v[43:44]
	v_mov_b32_e32 v44, s5
	v_add_co_u32_e32 v1, vcc, s4, v1
	v_addc_co_u32_e32 v2, vcc, v44, v2, vcc
	buffer_store_dword v1, off, s[0:3], 0 offset:624 ; 4-byte Folded Spill
	s_nop 0
	buffer_store_dword v2, off, s[0:3], 0 offset:628 ; 4-byte Folded Spill
	global_load_dwordx2 v[1:2], v[1:2], off
	s_waitcnt vmcnt(57)
	buffer_store_dword v4, off, s[0:3], 0 offset:4
	buffer_store_dword v3, off, s[0:3], 0
	s_waitcnt vmcnt(56)
	buffer_store_dword v6, off, s[0:3], 0 offset:12
	buffer_store_dword v5, off, s[0:3], 0 offset:8
	s_waitcnt vmcnt(55)
	buffer_store_dword v8, off, s[0:3], 0 offset:20
	buffer_store_dword v7, off, s[0:3], 0 offset:16
	;; [unrolled: 3-line block ×16, first 2 shown]
	v_add_u32_e32 v5, s15, v43
	v_ashrrev_i32_e32 v6, 31, v5
	v_lshlrev_b64 v[3:4], 3, v[5:6]
	v_mov_b32_e32 v6, s5
	v_add_co_u32_e32 v3, vcc, s4, v3
	v_addc_co_u32_e32 v4, vcc, v6, v4, vcc
	buffer_store_dword v3, off, s[0:3], 0 offset:632 ; 4-byte Folded Spill
	s_nop 0
	buffer_store_dword v4, off, s[0:3], 0 offset:636 ; 4-byte Folded Spill
	v_add_u32_e32 v5, s15, v5
	v_ashrrev_i32_e32 v6, 31, v5
	v_lshlrev_b64 v[6:7], 3, v[5:6]
	v_add_u32_e32 v5, s15, v5
	v_add_co_u32_e32 v8, vcc, s4, v6
	v_ashrrev_i32_e32 v6, 31, v5
	global_load_dwordx2 v[3:4], v[3:4], off
	s_waitcnt vmcnt(43)
	buffer_store_dword v39, off, s[0:3], 0 offset:136
	buffer_store_dword v40, off, s[0:3], 0 offset:140
	s_waitcnt vmcnt(42)
	buffer_store_dword v41, off, s[0:3], 0 offset:144
	buffer_store_dword v42, off, s[0:3], 0 offset:148
	s_waitcnt vmcnt(41)
	buffer_store_dword v2, off, s[0:3], 0 offset:156
	v_mov_b32_e32 v2, s5
	v_addc_co_u32_e32 v9, vcc, v2, v7, vcc
	buffer_store_dword v8, off, s[0:3], 0 offset:640 ; 4-byte Folded Spill
	s_nop 0
	buffer_store_dword v9, off, s[0:3], 0 offset:644 ; 4-byte Folded Spill
	v_lshlrev_b64 v[6:7], 3, v[5:6]
	v_add_u32_e32 v5, s15, v5
	v_add_co_u32_e32 v15, vcc, s4, v6
	v_addc_co_u32_e32 v16, vcc, v2, v7, vcc
	v_ashrrev_i32_e32 v6, 31, v5
	v_lshlrev_b64 v[6:7], 3, v[5:6]
	v_add_u32_e32 v13, s15, v5
	v_add_co_u32_e32 v17, vcc, s4, v6
	v_addc_co_u32_e32 v18, vcc, v2, v7, vcc
	v_ashrrev_i32_e32 v14, 31, v13
	;; [unrolled: 5-line block ×3, first 2 shown]
	global_load_dwordx2 v[11:12], v[8:9], off
	s_nop 0
	buffer_store_dword v15, off, s[0:3], 0 offset:648 ; 4-byte Folded Spill
	s_nop 0
	buffer_store_dword v16, off, s[0:3], 0 offset:652 ; 4-byte Folded Spill
	global_load_dwordx2 v[9:10], v[15:16], off
	s_nop 0
	buffer_store_dword v17, off, s[0:3], 0 offset:656 ; 4-byte Folded Spill
	s_nop 0
	buffer_store_dword v18, off, s[0:3], 0 offset:660 ; 4-byte Folded Spill
	v_lshlrev_b64 v[14:15], 3, v[13:14]
	v_add_u32_e32 v13, s15, v13
	v_add_co_u32_e32 v16, vcc, s4, v14
	v_ashrrev_i32_e32 v14, 31, v13
	global_load_dwordx2 v[7:8], v[17:18], off
	s_nop 0
	buffer_store_dword v5, off, s[0:3], 0 offset:664 ; 4-byte Folded Spill
	s_nop 0
	buffer_store_dword v6, off, s[0:3], 0 offset:668 ; 4-byte Folded Spill
	v_addc_co_u32_e32 v17, vcc, v2, v15, vcc
	v_lshlrev_b64 v[14:15], 3, v[13:14]
	v_add_u32_e32 v13, s15, v13
	v_add_co_u32_e32 v23, vcc, s4, v14
	v_addc_co_u32_e32 v24, vcc, v2, v15, vcc
	v_ashrrev_i32_e32 v14, 31, v13
	v_lshlrev_b64 v[14:15], 3, v[13:14]
	v_add_u32_e32 v21, s15, v13
	v_add_co_u32_e32 v27, vcc, s4, v14
	v_addc_co_u32_e32 v28, vcc, v2, v15, vcc
	v_ashrrev_i32_e32 v22, 31, v21
	;; [unrolled: 5-line block ×3, first 2 shown]
	global_load_dwordx2 v[5:6], v[5:6], off
	s_nop 0
	buffer_store_dword v16, off, s[0:3], 0 offset:672 ; 4-byte Folded Spill
	s_nop 0
	buffer_store_dword v17, off, s[0:3], 0 offset:676 ; 4-byte Folded Spill
	global_load_dwordx2 v[19:20], v[16:17], off
	s_nop 0
	buffer_store_dword v23, off, s[0:3], 0 offset:680 ; 4-byte Folded Spill
	s_nop 0
	buffer_store_dword v24, off, s[0:3], 0 offset:684 ; 4-byte Folded Spill
	;; [unrolled: 5-line block ×3, first 2 shown]
	v_lshlrev_b64 v[22:23], 3, v[21:22]
	v_add_u32_e32 v21, s15, v21
	v_add_co_u32_e32 v29, vcc, s4, v22
	v_addc_co_u32_e32 v30, vcc, v2, v23, vcc
	v_ashrrev_i32_e32 v22, 31, v21
	v_lshlrev_b64 v[22:23], 3, v[21:22]
	v_add_u32_e32 v21, s15, v21
	v_add_co_u32_e32 v31, vcc, s4, v22
	v_addc_co_u32_e32 v32, vcc, v2, v23, vcc
	v_ashrrev_i32_e32 v22, 31, v21
	v_lshlrev_b64 v[22:23], 3, v[21:22]
	v_add_co_u32_e32 v33, vcc, s4, v22
	v_addc_co_u32_e32 v34, vcc, v2, v23, vcc
	global_load_dwordx2 v[15:16], v[27:28], off
	s_nop 0
	buffer_store_dword v13, off, s[0:3], 0 offset:696 ; 4-byte Folded Spill
	s_nop 0
	buffer_store_dword v14, off, s[0:3], 0 offset:700 ; 4-byte Folded Spill
	v_add_u32_e32 v27, s15, v21
	v_ashrrev_i32_e32 v28, 31, v27
	v_lshlrev_b64 v[21:22], 3, v[27:28]
	v_add_u32_e32 v27, s15, v27
	v_add_co_u32_e32 v21, vcc, s4, v21
	v_addc_co_u32_e32 v22, vcc, v2, v22, vcc
	v_ashrrev_i32_e32 v28, 31, v27
	global_load_dwordx2 v[13:14], v[13:14], off
	s_nop 0
	buffer_store_dword v29, off, s[0:3], 0 offset:704 ; 4-byte Folded Spill
	s_nop 0
	buffer_store_dword v30, off, s[0:3], 0 offset:708 ; 4-byte Folded Spill
	global_load_dwordx2 v[147:148], v[29:30], off
	s_nop 0
	buffer_store_dword v31, off, s[0:3], 0 offset:712 ; 4-byte Folded Spill
	s_nop 0
	buffer_store_dword v32, off, s[0:3], 0 offset:716 ; 4-byte Folded Spill
	v_lshlrev_b64 v[28:29], 3, v[27:28]
	v_add_u32_e32 v27, s15, v27
	v_add_co_u32_e32 v30, vcc, s4, v28
	v_ashrrev_i32_e32 v28, 31, v27
	global_load_dwordx2 v[145:146], v[31:32], off
	s_nop 0
	buffer_store_dword v33, off, s[0:3], 0 offset:720 ; 4-byte Folded Spill
	s_nop 0
	buffer_store_dword v34, off, s[0:3], 0 offset:724 ; 4-byte Folded Spill
	v_addc_co_u32_e32 v31, vcc, v2, v29, vcc
	v_lshlrev_b64 v[28:29], 3, v[27:28]
	v_add_u32_e32 v27, s15, v27
	v_add_co_u32_e32 v32, vcc, s4, v28
	v_ashrrev_i32_e32 v28, 31, v27
	global_load_dwordx2 v[23:24], v[33:34], off
	s_nop 0
	buffer_store_dword v21, off, s[0:3], 0 offset:728 ; 4-byte Folded Spill
	s_nop 0
	buffer_store_dword v22, off, s[0:3], 0 offset:732 ; 4-byte Folded Spill
	v_addc_co_u32_e32 v33, vcc, v2, v29, vcc
	v_lshlrev_b64 v[28:29], 3, v[27:28]
	v_add_u32_e32 v27, s15, v27
	v_add_co_u32_e32 v34, vcc, s4, v28
	v_addc_co_u32_e32 v35, vcc, v2, v29, vcc
	v_ashrrev_i32_e32 v28, 31, v27
	v_lshlrev_b64 v[28:29], 3, v[27:28]
	v_add_u32_e32 v27, s15, v27
	v_add_co_u32_e32 v28, vcc, s4, v28
	v_addc_co_u32_e32 v29, vcc, v2, v29, vcc
	global_load_dwordx2 v[21:22], v[21:22], off
	s_nop 0
	buffer_store_dword v30, off, s[0:3], 0 offset:736 ; 4-byte Folded Spill
	s_nop 0
	buffer_store_dword v31, off, s[0:3], 0 offset:740 ; 4-byte Folded Spill
	global_load_dwordx2 v[155:156], v[30:31], off
	s_nop 0
	buffer_store_dword v32, off, s[0:3], 0 offset:744 ; 4-byte Folded Spill
	s_nop 0
	buffer_store_dword v33, off, s[0:3], 0 offset:748 ; 4-byte Folded Spill
	;; [unrolled: 5-line block ×4, first 2 shown]
	global_load_dwordx2 v[149:150], v[28:29], off
	v_ashrrev_i32_e32 v28, 31, v27
	v_lshlrev_b64 v[28:29], 3, v[27:28]
	v_add_u32_e32 v27, s15, v27
	v_add_co_u32_e32 v30, vcc, s4, v28
	v_addc_co_u32_e32 v31, vcc, v2, v29, vcc
	buffer_store_dword v30, off, s[0:3], 0 offset:768 ; 4-byte Folded Spill
	s_nop 0
	buffer_store_dword v31, off, s[0:3], 0 offset:772 ; 4-byte Folded Spill
	v_ashrrev_i32_e32 v28, 31, v27
	v_lshlrev_b64 v[28:29], 3, v[27:28]
	v_add_u32_e32 v27, s15, v27
	v_add_co_u32_e32 v32, vcc, s4, v28
	v_addc_co_u32_e32 v33, vcc, v2, v29, vcc
	v_ashrrev_i32_e32 v28, 31, v27
	v_lshlrev_b64 v[28:29], 3, v[27:28]
	v_add_u32_e32 v27, s15, v27
	v_add_co_u32_e32 v34, vcc, s4, v28
	v_addc_co_u32_e32 v35, vcc, v2, v29, vcc
	;; [unrolled: 5-line block ×3, first 2 shown]
	global_load_dwordx2 v[163:164], v[30:31], off
	s_nop 0
	buffer_store_dword v32, off, s[0:3], 0 offset:776 ; 4-byte Folded Spill
	s_nop 0
	buffer_store_dword v33, off, s[0:3], 0 offset:780 ; 4-byte Folded Spill
	global_load_dwordx2 v[161:162], v[32:33], off
	s_nop 0
	buffer_store_dword v34, off, s[0:3], 0 offset:784 ; 4-byte Folded Spill
	s_nop 0
	buffer_store_dword v35, off, s[0:3], 0 offset:788 ; 4-byte Folded Spill
	;; [unrolled: 5-line block ×3, first 2 shown]
	global_load_dwordx2 v[157:158], v[28:29], off
	v_ashrrev_i32_e32 v28, 31, v27
	v_lshlrev_b64 v[28:29], 3, v[27:28]
	v_add_u32_e32 v27, s15, v27
	v_add_co_u32_e32 v30, vcc, s4, v28
	v_addc_co_u32_e32 v31, vcc, v2, v29, vcc
	buffer_store_dword v30, off, s[0:3], 0 offset:800 ; 4-byte Folded Spill
	s_nop 0
	buffer_store_dword v31, off, s[0:3], 0 offset:804 ; 4-byte Folded Spill
	v_ashrrev_i32_e32 v28, 31, v27
	v_lshlrev_b64 v[28:29], 3, v[27:28]
	v_add_u32_e32 v27, s15, v27
	v_add_co_u32_e32 v32, vcc, s4, v28
	v_addc_co_u32_e32 v33, vcc, v2, v29, vcc
	v_ashrrev_i32_e32 v28, 31, v27
	v_lshlrev_b64 v[28:29], 3, v[27:28]
	v_add_u32_e32 v27, s15, v27
	v_add_co_u32_e32 v34, vcc, s4, v28
	v_addc_co_u32_e32 v35, vcc, v2, v29, vcc
	;; [unrolled: 5-line block ×3, first 2 shown]
	global_load_dwordx2 v[171:172], v[30:31], off
	s_nop 0
	buffer_store_dword v32, off, s[0:3], 0 offset:808 ; 4-byte Folded Spill
	s_nop 0
	buffer_store_dword v33, off, s[0:3], 0 offset:812 ; 4-byte Folded Spill
	global_load_dwordx2 v[169:170], v[32:33], off
	s_nop 0
	buffer_store_dword v34, off, s[0:3], 0 offset:816 ; 4-byte Folded Spill
	s_nop 0
	buffer_store_dword v35, off, s[0:3], 0 offset:820 ; 4-byte Folded Spill
	;; [unrolled: 5-line block ×3, first 2 shown]
	global_load_dwordx2 v[165:166], v[28:29], off
	v_ashrrev_i32_e32 v28, 31, v27
	v_lshlrev_b64 v[28:29], 3, v[27:28]
	v_add_u32_e32 v27, s15, v27
	v_add_co_u32_e32 v30, vcc, s4, v28
	v_addc_co_u32_e32 v31, vcc, v2, v29, vcc
	buffer_store_dword v30, off, s[0:3], 0 offset:832 ; 4-byte Folded Spill
	s_nop 0
	buffer_store_dword v31, off, s[0:3], 0 offset:836 ; 4-byte Folded Spill
	v_ashrrev_i32_e32 v28, 31, v27
	v_lshlrev_b64 v[28:29], 3, v[27:28]
	v_add_u32_e32 v27, s15, v27
	v_add_co_u32_e32 v32, vcc, s4, v28
	v_ashrrev_i32_e32 v28, 31, v27
	v_addc_co_u32_e32 v33, vcc, v2, v29, vcc
	v_lshlrev_b64 v[28:29], 3, v[27:28]
	v_add_u32_e32 v27, s15, v27
	v_add_co_u32_e32 v34, vcc, s4, v28
	v_ashrrev_i32_e32 v28, 31, v27
	v_addc_co_u32_e32 v35, vcc, v2, v29, vcc
	v_lshlrev_b64 v[28:29], 3, v[27:28]
	v_add_co_u32_e32 v36, vcc, s4, v28
	v_addc_co_u32_e32 v37, vcc, v2, v29, vcc
	global_load_dwordx2 v[28:29], v[30:31], off
	s_nop 0
	buffer_store_dword v32, off, s[0:3], 0 offset:840 ; 4-byte Folded Spill
	s_nop 0
	buffer_store_dword v33, off, s[0:3], 0 offset:844 ; 4-byte Folded Spill
	global_load_dwordx2 v[30:31], v[32:33], off
	s_nop 0
	buffer_store_dword v34, off, s[0:3], 0 offset:848 ; 4-byte Folded Spill
	s_nop 0
	buffer_store_dword v35, off, s[0:3], 0 offset:852 ; 4-byte Folded Spill
	;; [unrolled: 5-line block ×3, first 2 shown]
	global_load_dwordx2 v[34:35], v[36:37], off
	v_add_u32_e32 v36, s15, v27
	v_ashrrev_i32_e32 v37, 31, v36
	v_lshlrev_b64 v[37:38], 3, v[36:37]
	v_add_u32_e32 v36, s15, v36
	v_add_co_u32_e32 v39, vcc, s4, v37
	v_addc_co_u32_e32 v40, vcc, v2, v38, vcc
	buffer_store_dword v39, off, s[0:3], 0 offset:864 ; 4-byte Folded Spill
	s_nop 0
	buffer_store_dword v40, off, s[0:3], 0 offset:868 ; 4-byte Folded Spill
	v_ashrrev_i32_e32 v37, 31, v36
	v_lshlrev_b64 v[37:38], 3, v[36:37]
	v_add_u32_e32 v36, s15, v36
	v_add_co_u32_e32 v41, vcc, s4, v37
	v_ashrrev_i32_e32 v37, 31, v36
	v_addc_co_u32_e32 v42, vcc, v2, v38, vcc
	v_lshlrev_b64 v[37:38], 3, v[36:37]
	v_add_u32_e32 v36, s15, v36
	v_add_co_u32_e32 v43, vcc, s4, v37
	v_ashrrev_i32_e32 v37, 31, v36
	v_addc_co_u32_e32 v44, vcc, v2, v38, vcc
	v_lshlrev_b64 v[37:38], 3, v[36:37]
	v_add_co_u32_e32 v45, vcc, s4, v37
	v_addc_co_u32_e32 v46, vcc, v2, v38, vcc
	global_load_dwordx2 v[37:38], v[39:40], off
	s_nop 0
	buffer_store_dword v41, off, s[0:3], 0 offset:872 ; 4-byte Folded Spill
	s_nop 0
	buffer_store_dword v42, off, s[0:3], 0 offset:876 ; 4-byte Folded Spill
	global_load_dwordx2 v[39:40], v[41:42], off
	s_nop 0
	buffer_store_dword v43, off, s[0:3], 0 offset:880 ; 4-byte Folded Spill
	s_nop 0
	buffer_store_dword v44, off, s[0:3], 0 offset:884 ; 4-byte Folded Spill
	;; [unrolled: 5-line block ×3, first 2 shown]
	global_load_dwordx2 v[43:44], v[45:46], off
	v_add_u32_e32 v45, s15, v36
	v_ashrrev_i32_e32 v46, 31, v45
	v_lshlrev_b64 v[46:47], 3, v[45:46]
	v_add_u32_e32 v45, s15, v45
	v_add_co_u32_e32 v48, vcc, s4, v46
	v_addc_co_u32_e32 v49, vcc, v2, v47, vcc
	buffer_store_dword v48, off, s[0:3], 0 offset:896 ; 4-byte Folded Spill
	s_nop 0
	buffer_store_dword v49, off, s[0:3], 0 offset:900 ; 4-byte Folded Spill
	v_ashrrev_i32_e32 v46, 31, v45
	v_lshlrev_b64 v[46:47], 3, v[45:46]
	v_add_u32_e32 v45, s15, v45
	v_add_co_u32_e32 v133, vcc, s4, v46
	v_ashrrev_i32_e32 v46, 31, v45
	v_addc_co_u32_e32 v134, vcc, v2, v47, vcc
	v_lshlrev_b64 v[46:47], 3, v[45:46]
	v_add_u32_e32 v45, s15, v45
	v_add_co_u32_e32 v135, vcc, s4, v46
	v_ashrrev_i32_e32 v46, 31, v45
	v_addc_co_u32_e32 v136, vcc, v2, v47, vcc
	v_lshlrev_b64 v[46:47], 3, v[45:46]
	v_add_u32_e32 v54, s15, v45
	v_ashrrev_i32_e32 v55, 31, v54
	v_add_co_u32_e32 v137, vcc, s4, v46
	v_lshlrev_b64 v[55:56], 3, v[54:55]
	v_addc_co_u32_e32 v138, vcc, v2, v47, vcc
	v_add_u32_e32 v54, s15, v54
	v_add_co_u32_e32 v139, vcc, s4, v55
	v_ashrrev_i32_e32 v55, 31, v54
	v_addc_co_u32_e32 v140, vcc, v2, v56, vcc
	v_lshlrev_b64 v[55:56], 3, v[54:55]
	global_load_dwordx2 v[46:47], v[48:49], off
	s_nop 0
	global_load_dwordx2 v[48:49], v[133:134], off
	global_load_dwordx2 v[50:51], v[135:136], off
	;; [unrolled: 1-line block ×3, first 2 shown]
	v_add_co_u32_e32 v141, vcc, s4, v55
	v_addc_co_u32_e32 v142, vcc, v2, v56, vcc
	global_load_dwordx2 v[55:56], v[139:140], off
	global_load_dwordx2 v[57:58], v[141:142], off
	v_add_u32_e32 v59, s15, v54
	v_ashrrev_i32_e32 v60, 31, v59
	v_lshlrev_b64 v[59:60], 3, v[59:60]
	v_add_co_u32_e32 v143, vcc, s4, v59
	v_addc_co_u32_e32 v144, vcc, v2, v60, vcc
	global_load_dwordx2 v[59:60], v[143:144], off
	s_nop 0
	buffer_store_dword v1, off, s[0:3], 0 offset:152
	s_waitcnt vmcnt(62)
	buffer_store_dword v4, off, s[0:3], 0 offset:164
	buffer_store_dword v3, off, s[0:3], 0 offset:160
	;; [unrolled: 1-line block ×30, first 2 shown]
	s_waitcnt vmcnt(62)
	buffer_store_dword v151, off, s[0:3], 0 offset:280
	buffer_store_dword v152, off, s[0:3], 0 offset:284
	;; [unrolled: 1-line block ×20, first 2 shown]
	s_waitcnt vmcnt(62)
	buffer_store_dword v28, off, s[0:3], 0 offset:360
	buffer_store_dword v29, off, s[0:3], 0 offset:364
	;; [unrolled: 1-line block ×14, first 2 shown]
	s_waitcnt vmcnt(62)
	buffer_store_dword v43, off, s[0:3], 0 offset:416
	buffer_store_dword v44, off, s[0:3], 0 offset:420
	;; [unrolled: 1-line block ×16, first 2 shown]
	s_cbranch_scc1 .LBB59_252
; %bb.4:
	v_cmp_eq_u32_e64 s[4:5], 0, v0
	s_and_saveexec_b64 s[8:9], s[4:5]
; %bb.5:
	v_mov_b32_e32 v1, 0
	ds_write_b32 v1, v1 offset:960
; %bb.6:
	s_or_b64 exec, exec, s[8:9]
	v_mov_b32_e32 v1, 0
	v_lshl_add_u32 v4, v0, 3, v1
	s_waitcnt lgkmcnt(0)
	; wave barrier
	buffer_load_dword v1, v4, s[0:3], 0 offen
	buffer_load_dword v2, v4, s[0:3], 0 offen offset:4
	s_waitcnt vmcnt(1)
	v_cmp_eq_f32_e32 vcc, 0, v1
	s_waitcnt vmcnt(0)
	v_cmp_eq_f32_e64 s[8:9], 0, v2
	s_and_b64 s[8:9], vcc, s[8:9]
	s_and_saveexec_b64 s[12:13], s[8:9]
	s_cbranch_execz .LBB59_10
; %bb.7:
	v_mov_b32_e32 v1, 0
	ds_read_b32 v3, v1 offset:960
	v_add_u32_e32 v2, 1, v0
	s_waitcnt lgkmcnt(0)
	v_readfirstlane_b32 s8, v3
	s_cmp_eq_u32 s8, 0
	s_cselect_b64 s[14:15], -1, 0
	v_cmp_gt_i32_e32 vcc, s8, v2
	s_or_b64 s[14:15], s[14:15], vcc
	s_and_b64 exec, exec, s[14:15]
	s_cbranch_execz .LBB59_10
; %bb.8:
	s_mov_b64 s[14:15], 0
	v_mov_b32_e32 v3, s8
.LBB59_9:                               ; =>This Inner Loop Header: Depth=1
	ds_cmpst_rtn_b32 v3, v1, v3, v2 offset:960
	s_waitcnt lgkmcnt(0)
	v_cmp_ne_u32_e32 vcc, 0, v3
	v_cmp_le_i32_e64 s[8:9], v3, v2
	s_and_b64 s[8:9], vcc, s[8:9]
	s_and_b64 s[8:9], exec, s[8:9]
	s_or_b64 s[14:15], s[8:9], s[14:15]
	s_andn2_b64 exec, exec, s[14:15]
	s_cbranch_execnz .LBB59_9
.LBB59_10:
	s_or_b64 exec, exec, s[12:13]
	v_mov_b32_e32 v2, 0
	; wave barrier
	ds_read_b32 v1, v2 offset:960
	s_and_saveexec_b64 s[8:9], s[4:5]
	s_cbranch_execz .LBB59_12
; %bb.11:
	s_lshl_b64 s[12:13], s[6:7], 2
	s_add_u32 s12, s10, s12
	s_addc_u32 s13, s11, s13
	s_waitcnt lgkmcnt(0)
	global_store_dword v2, v1, s[12:13]
.LBB59_12:
	s_or_b64 exec, exec, s[8:9]
	s_waitcnt lgkmcnt(0)
	v_cmp_ne_u32_e32 vcc, 0, v1
	s_mov_b64 s[8:9], 0
	s_cbranch_vccnz .LBB59_252
; %bb.13:
	buffer_load_dword v2, v4, s[0:3], 0 offen
	buffer_load_dword v3, v4, s[0:3], 0 offen offset:4
                                        ; implicit-def: $vgpr6
                                        ; implicit-def: $vgpr5
                                        ; implicit-def: $vgpr1
	s_waitcnt vmcnt(0)
	v_cmp_ngt_f32_e64 s[8:9], |v2|, |v3|
	s_and_saveexec_b64 s[12:13], s[8:9]
	s_xor_b64 s[8:9], exec, s[12:13]
	s_cbranch_execz .LBB59_15
; %bb.14:
	v_div_scale_f32 v1, s[12:13], v3, v3, v2
	v_div_scale_f32 v5, vcc, v2, v3, v2
	v_rcp_f32_e32 v6, v1
	v_fma_f32 v7, -v1, v6, 1.0
	v_fmac_f32_e32 v6, v7, v6
	v_mul_f32_e32 v7, v5, v6
	v_fma_f32 v8, -v1, v7, v5
	v_fmac_f32_e32 v7, v8, v6
	v_fma_f32 v1, -v1, v7, v5
	v_div_fmas_f32 v1, v1, v6, v7
	v_div_fixup_f32 v1, v1, v3, v2
	v_fmac_f32_e32 v3, v2, v1
	v_div_scale_f32 v2, s[12:13], v3, v3, 1.0
	v_div_scale_f32 v5, vcc, 1.0, v3, 1.0
	v_rcp_f32_e32 v6, v2
	v_fma_f32 v7, -v2, v6, 1.0
	v_fmac_f32_e32 v6, v7, v6
	v_mul_f32_e32 v7, v5, v6
	v_fma_f32 v8, -v2, v7, v5
	v_fmac_f32_e32 v7, v8, v6
	v_fma_f32 v2, -v2, v7, v5
	v_div_fmas_f32 v2, v2, v6, v7
	v_div_fixup_f32 v2, v2, v3, 1.0
	v_mul_f32_e32 v6, v1, v2
	v_xor_b32_e32 v5, 0x80000000, v2
	v_xor_b32_e32 v1, 0x80000000, v6
                                        ; implicit-def: $vgpr2
                                        ; implicit-def: $vgpr3
.LBB59_15:
	s_andn2_saveexec_b64 s[8:9], s[8:9]
	s_cbranch_execz .LBB59_17
; %bb.16:
	v_div_scale_f32 v1, s[12:13], v2, v2, v3
	v_div_scale_f32 v5, vcc, v3, v2, v3
	v_rcp_f32_e32 v6, v1
	v_fma_f32 v7, -v1, v6, 1.0
	v_fmac_f32_e32 v6, v7, v6
	v_mul_f32_e32 v7, v5, v6
	v_fma_f32 v8, -v1, v7, v5
	v_fmac_f32_e32 v7, v8, v6
	v_fma_f32 v1, -v1, v7, v5
	v_div_fmas_f32 v1, v1, v6, v7
	v_div_fixup_f32 v5, v1, v2, v3
	v_fmac_f32_e32 v2, v3, v5
	v_div_scale_f32 v1, s[12:13], v2, v2, 1.0
	v_div_scale_f32 v3, vcc, 1.0, v2, 1.0
	v_rcp_f32_e32 v6, v1
	v_fma_f32 v7, -v1, v6, 1.0
	v_fmac_f32_e32 v6, v7, v6
	v_mul_f32_e32 v7, v3, v6
	v_fma_f32 v8, -v1, v7, v3
	v_fmac_f32_e32 v7, v8, v6
	v_fma_f32 v1, -v1, v7, v3
	v_div_fmas_f32 v1, v1, v6, v7
	v_div_fixup_f32 v6, v1, v2, 1.0
	v_xor_b32_e32 v1, 0x80000000, v6
	v_mul_f32_e64 v5, v5, -v6
.LBB59_17:
	s_or_b64 exec, exec, s[8:9]
	buffer_store_dword v6, v4, s[0:3], 0 offen
	buffer_store_dword v5, v4, s[0:3], 0 offen offset:4
	buffer_load_dword v7, off, s[0:3], 0 offset:12
	s_nop 0
	buffer_load_dword v6, off, s[0:3], 0 offset:8
	v_xor_b32_e32 v2, 0x80000000, v5
	v_add_u32_e32 v3, 0x1e0, v173
	s_waitcnt vmcnt(0)
	ds_write2_b64 v173, v[1:2], v[6:7] offset1:60
	s_waitcnt lgkmcnt(0)
	; wave barrier
	s_and_saveexec_b64 s[8:9], s[4:5]
	s_cbranch_execz .LBB59_19
; %bb.18:
	buffer_load_dword v7, v4, s[0:3], 0 offen offset:4
	buffer_load_dword v8, v4, s[0:3], 0 offen
	ds_read_b64 v[1:2], v3
	v_mov_b32_e32 v5, 0
	ds_read_b64 v[5:6], v5 offset:8
	s_waitcnt vmcnt(1) lgkmcnt(1)
	v_mul_f32_e32 v9, v2, v7
	v_mul_f32_e32 v7, v1, v7
	s_waitcnt vmcnt(0)
	v_fmac_f32_e32 v7, v2, v8
	v_fma_f32 v1, v1, v8, -v9
	v_add_f32_e32 v2, 0, v7
	v_add_f32_e32 v1, 0, v1
	s_waitcnt lgkmcnt(0)
	v_mul_f32_e32 v7, v2, v6
	v_mul_f32_e32 v6, v1, v6
	v_fma_f32 v1, v1, v5, -v7
	v_fmac_f32_e32 v6, v2, v5
	buffer_store_dword v1, off, s[0:3], 0 offset:8
	buffer_store_dword v6, off, s[0:3], 0 offset:12
.LBB59_19:
	s_or_b64 exec, exec, s[8:9]
	; wave barrier
	buffer_load_dword v1, off, s[0:3], 0 offset:16
	buffer_load_dword v2, off, s[0:3], 0 offset:20
	v_cmp_gt_u32_e32 vcc, 2, v0
	s_waitcnt vmcnt(0)
	ds_write_b64 v3, v[1:2]
	s_waitcnt lgkmcnt(0)
	; wave barrier
	s_and_saveexec_b64 s[8:9], vcc
	s_cbranch_execz .LBB59_23
; %bb.20:
	buffer_load_dword v5, v4, s[0:3], 0 offen offset:4
	buffer_load_dword v6, v4, s[0:3], 0 offen
	ds_read_b64 v[1:2], v3
	s_waitcnt vmcnt(1) lgkmcnt(0)
	v_mul_f32_e32 v4, v2, v5
	v_mul_f32_e32 v5, v1, v5
	s_waitcnt vmcnt(0)
	v_fma_f32 v1, v1, v6, -v4
	v_fmac_f32_e32 v5, v2, v6
	v_add_f32_e32 v2, 0, v1
	v_add_f32_e32 v1, 0, v5
	s_and_saveexec_b64 s[12:13], s[4:5]
	s_cbranch_execz .LBB59_22
; %bb.21:
	buffer_load_dword v6, off, s[0:3], 0 offset:12
	buffer_load_dword v7, off, s[0:3], 0 offset:8
	v_mov_b32_e32 v4, 0
	ds_read_b64 v[4:5], v4 offset:488
	s_waitcnt vmcnt(1) lgkmcnt(0)
	v_mul_f32_e32 v8, v4, v6
	v_mul_f32_e32 v6, v5, v6
	s_waitcnt vmcnt(0)
	v_fmac_f32_e32 v8, v5, v7
	v_fma_f32 v4, v4, v7, -v6
	v_add_f32_e32 v1, v1, v8
	v_add_f32_e32 v2, v2, v4
.LBB59_22:
	s_or_b64 exec, exec, s[12:13]
	v_mov_b32_e32 v4, 0
	ds_read_b64 v[4:5], v4 offset:16
	s_waitcnt lgkmcnt(0)
	v_mul_f32_e32 v6, v1, v5
	v_mul_f32_e32 v5, v2, v5
	v_fma_f32 v2, v2, v4, -v6
	v_fmac_f32_e32 v5, v1, v4
	buffer_store_dword v2, off, s[0:3], 0 offset:16
	buffer_store_dword v5, off, s[0:3], 0 offset:20
.LBB59_23:
	s_or_b64 exec, exec, s[8:9]
	; wave barrier
	buffer_load_dword v1, off, s[0:3], 0 offset:24
	buffer_load_dword v2, off, s[0:3], 0 offset:28
	v_cmp_gt_u32_e32 vcc, 3, v0
	s_waitcnt vmcnt(0)
	ds_write_b64 v3, v[1:2]
	v_add_u32_e32 v1, -1, v0
	s_waitcnt lgkmcnt(0)
	; wave barrier
	s_and_saveexec_b64 s[4:5], vcc
	s_cbranch_execz .LBB59_27
; %bb.24:
	v_add_u32_e32 v4, -1, v0
	v_add_u32_e32 v5, 0x1e0, v173
	v_mov_b32_e32 v6, v173
	v_mov_b32_e32 v2, 0
	s_mov_b64 s[8:9], 0
	v_mov_b32_e32 v7, 0
.LBB59_25:                              ; =>This Inner Loop Header: Depth=1
	buffer_load_dword v10, v6, s[0:3], 0 offen offset:4
	buffer_load_dword v11, v6, s[0:3], 0 offen
	ds_read_b64 v[8:9], v5
	v_add_u32_e32 v4, 1, v4
	v_cmp_lt_u32_e32 vcc, 1, v4
	v_add_u32_e32 v5, 8, v5
	v_add_u32_e32 v6, 8, v6
	s_or_b64 s[8:9], vcc, s[8:9]
	s_waitcnt vmcnt(1) lgkmcnt(0)
	v_mul_f32_e32 v12, v9, v10
	v_mul_f32_e32 v10, v8, v10
	s_waitcnt vmcnt(0)
	v_fma_f32 v8, v8, v11, -v12
	v_fmac_f32_e32 v10, v9, v11
	v_add_f32_e32 v7, v7, v8
	v_add_f32_e32 v2, v2, v10
	s_andn2_b64 exec, exec, s[8:9]
	s_cbranch_execnz .LBB59_25
; %bb.26:
	s_or_b64 exec, exec, s[8:9]
	v_mov_b32_e32 v4, 0
	ds_read_b64 v[4:5], v4 offset:24
	s_waitcnt lgkmcnt(0)
	v_mul_f32_e32 v6, v2, v5
	v_mul_f32_e32 v5, v7, v5
	v_fma_f32 v6, v7, v4, -v6
	v_fmac_f32_e32 v5, v2, v4
	buffer_store_dword v6, off, s[0:3], 0 offset:24
	buffer_store_dword v5, off, s[0:3], 0 offset:28
.LBB59_27:
	s_or_b64 exec, exec, s[4:5]
	; wave barrier
	buffer_load_dword v4, off, s[0:3], 0 offset:32
	buffer_load_dword v5, off, s[0:3], 0 offset:36
	v_cmp_gt_u32_e32 vcc, 4, v0
	s_waitcnt vmcnt(0)
	ds_write_b64 v3, v[4:5]
	s_waitcnt lgkmcnt(0)
	; wave barrier
	s_and_saveexec_b64 s[4:5], vcc
	s_cbranch_execz .LBB59_31
; %bb.28:
	v_add_u32_e32 v4, -1, v0
	v_add_u32_e32 v5, 0x1e0, v173
	v_mov_b32_e32 v6, v173
	v_mov_b32_e32 v2, 0
	s_mov_b64 s[8:9], 0
	v_mov_b32_e32 v7, 0
.LBB59_29:                              ; =>This Inner Loop Header: Depth=1
	buffer_load_dword v10, v6, s[0:3], 0 offen offset:4
	buffer_load_dword v11, v6, s[0:3], 0 offen
	ds_read_b64 v[8:9], v5
	v_add_u32_e32 v4, 1, v4
	v_cmp_lt_u32_e32 vcc, 2, v4
	v_add_u32_e32 v5, 8, v5
	v_add_u32_e32 v6, 8, v6
	s_or_b64 s[8:9], vcc, s[8:9]
	s_waitcnt vmcnt(1) lgkmcnt(0)
	v_mul_f32_e32 v12, v9, v10
	v_mul_f32_e32 v10, v8, v10
	s_waitcnt vmcnt(0)
	v_fma_f32 v8, v8, v11, -v12
	v_fmac_f32_e32 v10, v9, v11
	v_add_f32_e32 v7, v7, v8
	v_add_f32_e32 v2, v2, v10
	s_andn2_b64 exec, exec, s[8:9]
	s_cbranch_execnz .LBB59_29
; %bb.30:
	s_or_b64 exec, exec, s[8:9]
	v_mov_b32_e32 v4, 0
	ds_read_b64 v[4:5], v4 offset:32
	s_waitcnt lgkmcnt(0)
	v_mul_f32_e32 v6, v2, v5
	v_mul_f32_e32 v5, v7, v5
	v_fma_f32 v6, v7, v4, -v6
	v_fmac_f32_e32 v5, v2, v4
	buffer_store_dword v6, off, s[0:3], 0 offset:32
	buffer_store_dword v5, off, s[0:3], 0 offset:36
.LBB59_31:
	s_or_b64 exec, exec, s[4:5]
	; wave barrier
	buffer_load_dword v4, off, s[0:3], 0 offset:40
	buffer_load_dword v5, off, s[0:3], 0 offset:44
	v_cmp_gt_u32_e32 vcc, 5, v0
	s_waitcnt vmcnt(0)
	ds_write_b64 v3, v[4:5]
	;; [unrolled: 49-line block ×19, first 2 shown]
	s_waitcnt lgkmcnt(0)
	; wave barrier
	s_and_saveexec_b64 s[4:5], vcc
	s_cbranch_execz .LBB59_103
; %bb.100:
	v_add_u32_e32 v4, -1, v0
	v_add_u32_e32 v5, 0x1e0, v173
	v_mov_b32_e32 v6, v173
	v_mov_b32_e32 v2, 0
	s_mov_b64 s[8:9], 0
	v_mov_b32_e32 v7, 0
.LBB59_101:                             ; =>This Inner Loop Header: Depth=1
	buffer_load_dword v10, v6, s[0:3], 0 offen offset:4
	buffer_load_dword v11, v6, s[0:3], 0 offen
	ds_read_b64 v[8:9], v5
	v_add_u32_e32 v4, 1, v4
	v_cmp_lt_u32_e32 vcc, 20, v4
	v_add_u32_e32 v5, 8, v5
	v_add_u32_e32 v6, 8, v6
	s_or_b64 s[8:9], vcc, s[8:9]
	s_waitcnt vmcnt(1) lgkmcnt(0)
	v_mul_f32_e32 v12, v9, v10
	v_mul_f32_e32 v10, v8, v10
	s_waitcnt vmcnt(0)
	v_fma_f32 v8, v8, v11, -v12
	v_fmac_f32_e32 v10, v9, v11
	v_add_f32_e32 v7, v7, v8
	v_add_f32_e32 v2, v2, v10
	s_andn2_b64 exec, exec, s[8:9]
	s_cbranch_execnz .LBB59_101
; %bb.102:
	s_or_b64 exec, exec, s[8:9]
	v_mov_b32_e32 v4, 0
	ds_read_b64 v[4:5], v4 offset:176
	s_waitcnt lgkmcnt(0)
	v_mul_f32_e32 v6, v2, v5
	v_mul_f32_e32 v5, v7, v5
	v_fma_f32 v6, v7, v4, -v6
	v_fmac_f32_e32 v5, v2, v4
	buffer_store_dword v6, off, s[0:3], 0 offset:176
	buffer_store_dword v5, off, s[0:3], 0 offset:180
.LBB59_103:
	s_or_b64 exec, exec, s[4:5]
	; wave barrier
	buffer_load_dword v4, off, s[0:3], 0 offset:184
	buffer_load_dword v5, off, s[0:3], 0 offset:188
	v_cmp_gt_u32_e32 vcc, 23, v0
	s_waitcnt vmcnt(0)
	ds_write_b64 v3, v[4:5]
	s_waitcnt lgkmcnt(0)
	; wave barrier
	s_and_saveexec_b64 s[4:5], vcc
	s_cbranch_execz .LBB59_107
; %bb.104:
	v_add_u32_e32 v4, -1, v0
	v_add_u32_e32 v5, 0x1e0, v173
	v_mov_b32_e32 v6, v173
	v_mov_b32_e32 v2, 0
	s_mov_b64 s[8:9], 0
	v_mov_b32_e32 v7, 0
.LBB59_105:                             ; =>This Inner Loop Header: Depth=1
	buffer_load_dword v10, v6, s[0:3], 0 offen offset:4
	buffer_load_dword v11, v6, s[0:3], 0 offen
	ds_read_b64 v[8:9], v5
	v_add_u32_e32 v4, 1, v4
	v_cmp_lt_u32_e32 vcc, 21, v4
	v_add_u32_e32 v5, 8, v5
	v_add_u32_e32 v6, 8, v6
	s_or_b64 s[8:9], vcc, s[8:9]
	s_waitcnt vmcnt(1) lgkmcnt(0)
	v_mul_f32_e32 v12, v9, v10
	v_mul_f32_e32 v10, v8, v10
	s_waitcnt vmcnt(0)
	v_fma_f32 v8, v8, v11, -v12
	v_fmac_f32_e32 v10, v9, v11
	v_add_f32_e32 v7, v7, v8
	v_add_f32_e32 v2, v2, v10
	s_andn2_b64 exec, exec, s[8:9]
	s_cbranch_execnz .LBB59_105
; %bb.106:
	s_or_b64 exec, exec, s[8:9]
	v_mov_b32_e32 v4, 0
	ds_read_b64 v[4:5], v4 offset:184
	s_waitcnt lgkmcnt(0)
	v_mul_f32_e32 v6, v2, v5
	v_mul_f32_e32 v5, v7, v5
	v_fma_f32 v6, v7, v4, -v6
	v_fmac_f32_e32 v5, v2, v4
	buffer_store_dword v6, off, s[0:3], 0 offset:184
	buffer_store_dword v5, off, s[0:3], 0 offset:188
.LBB59_107:
	s_or_b64 exec, exec, s[4:5]
	; wave barrier
	buffer_load_dword v4, off, s[0:3], 0 offset:192
	buffer_load_dword v5, off, s[0:3], 0 offset:196
	v_cmp_gt_u32_e32 vcc, 24, v0
	s_waitcnt vmcnt(0)
	ds_write_b64 v3, v[4:5]
	;; [unrolled: 49-line block ×36, first 2 shown]
	s_waitcnt lgkmcnt(0)
	; wave barrier
	s_and_saveexec_b64 s[4:5], vcc
	s_cbranch_execz .LBB59_247
; %bb.244:
	v_add_u32_e32 v4, -1, v0
	v_add_u32_e32 v5, 0x1e0, v173
	v_mov_b32_e32 v6, v173
	v_mov_b32_e32 v2, 0
	s_mov_b64 s[8:9], 0
	v_mov_b32_e32 v7, 0
.LBB59_245:                             ; =>This Inner Loop Header: Depth=1
	buffer_load_dword v10, v6, s[0:3], 0 offen offset:4
	buffer_load_dword v11, v6, s[0:3], 0 offen
	ds_read_b64 v[8:9], v5
	v_add_u32_e32 v4, 1, v4
	v_cmp_lt_u32_e32 vcc, 56, v4
	v_add_u32_e32 v5, 8, v5
	v_add_u32_e32 v6, 8, v6
	s_or_b64 s[8:9], vcc, s[8:9]
	s_waitcnt vmcnt(1) lgkmcnt(0)
	v_mul_f32_e32 v12, v9, v10
	v_mul_f32_e32 v10, v8, v10
	s_waitcnt vmcnt(0)
	v_fma_f32 v8, v8, v11, -v12
	v_fmac_f32_e32 v10, v9, v11
	v_add_f32_e32 v7, v7, v8
	v_add_f32_e32 v2, v2, v10
	s_andn2_b64 exec, exec, s[8:9]
	s_cbranch_execnz .LBB59_245
; %bb.246:
	s_or_b64 exec, exec, s[8:9]
	v_mov_b32_e32 v4, 0
	ds_read_b64 v[4:5], v4 offset:464
	s_waitcnt lgkmcnt(0)
	v_mul_f32_e32 v6, v2, v5
	v_mul_f32_e32 v5, v7, v5
	v_fma_f32 v6, v7, v4, -v6
	v_fmac_f32_e32 v5, v2, v4
	buffer_store_dword v6, off, s[0:3], 0 offset:464
	buffer_store_dword v5, off, s[0:3], 0 offset:468
.LBB59_247:
	s_or_b64 exec, exec, s[4:5]
	; wave barrier
	buffer_load_dword v4, off, s[0:3], 0 offset:472
	buffer_load_dword v5, off, s[0:3], 0 offset:476
	v_cmp_ne_u32_e32 vcc, 59, v0
	s_waitcnt vmcnt(0)
	ds_write_b64 v3, v[4:5]
	s_waitcnt lgkmcnt(0)
	; wave barrier
	s_and_saveexec_b64 s[4:5], vcc
	s_cbranch_execz .LBB59_251
; %bb.248:
	v_add_u32_e32 v3, 0x1e0, v173
	v_mov_b32_e32 v4, v173
	v_mov_b32_e32 v2, 0
	s_mov_b64 s[8:9], 0
	v_mov_b32_e32 v5, 0
.LBB59_249:                             ; =>This Inner Loop Header: Depth=1
	buffer_load_dword v8, v4, s[0:3], 0 offen offset:4
	buffer_load_dword v9, v4, s[0:3], 0 offen
	ds_read_b64 v[6:7], v3
	v_add_u32_e32 v1, 1, v1
	v_cmp_lt_u32_e32 vcc, 57, v1
	v_add_u32_e32 v3, 8, v3
	v_add_u32_e32 v4, 8, v4
	s_or_b64 s[8:9], vcc, s[8:9]
	s_waitcnt vmcnt(1) lgkmcnt(0)
	v_mul_f32_e32 v10, v7, v8
	v_mul_f32_e32 v8, v6, v8
	s_waitcnt vmcnt(0)
	v_fma_f32 v6, v6, v9, -v10
	v_fmac_f32_e32 v8, v7, v9
	v_add_f32_e32 v5, v5, v6
	v_add_f32_e32 v2, v2, v8
	s_andn2_b64 exec, exec, s[8:9]
	s_cbranch_execnz .LBB59_249
; %bb.250:
	s_or_b64 exec, exec, s[8:9]
	v_mov_b32_e32 v1, 0
	ds_read_b64 v[3:4], v1 offset:472
	s_waitcnt lgkmcnt(0)
	v_mul_f32_e32 v1, v2, v4
	v_mul_f32_e32 v4, v5, v4
	v_fma_f32 v1, v5, v3, -v1
	v_fmac_f32_e32 v4, v2, v3
	buffer_store_dword v1, off, s[0:3], 0 offset:472
	buffer_store_dword v4, off, s[0:3], 0 offset:476
.LBB59_251:
	s_or_b64 exec, exec, s[4:5]
	s_mov_b64 s[8:9], -1
	; wave barrier
.LBB59_252:
	s_and_b64 vcc, exec, s[8:9]
	s_cbranch_vccz .LBB59_254
; %bb.253:
	s_lshl_b64 s[4:5], s[6:7], 2
	s_add_u32 s4, s10, s4
	s_addc_u32 s5, s11, s5
	v_mov_b32_e32 v1, 0
	global_load_dword v1, v1, s[4:5]
	s_waitcnt vmcnt(0)
	v_cmp_ne_u32_e32 vcc, 0, v1
	s_cbranch_vccz .LBB59_255
.LBB59_254:
	s_endpgm
.LBB59_255:
	v_mov_b32_e32 v1, 0x1e0
	v_lshl_add_u32 v145, v0, 3, v1
	v_cmp_eq_u32_e32 vcc, 59, v0
	s_and_saveexec_b64 s[4:5], vcc
	s_cbranch_execz .LBB59_257
; %bb.256:
	buffer_load_dword v1, off, s[0:3], 0 offset:464
	buffer_load_dword v2, off, s[0:3], 0 offset:468
	v_mov_b32_e32 v3, 0
	buffer_store_dword v3, off, s[0:3], 0 offset:464
	buffer_store_dword v3, off, s[0:3], 0 offset:468
	s_waitcnt vmcnt(2)
	ds_write_b64 v145, v[1:2]
.LBB59_257:
	s_or_b64 exec, exec, s[4:5]
	s_waitcnt lgkmcnt(0)
	; wave barrier
	buffer_load_dword v4, off, s[0:3], 0 offset:476
	buffer_load_dword v5, off, s[0:3], 0 offset:472
	;; [unrolled: 1-line block ×4, first 2 shown]
	v_mov_b32_e32 v1, 0
	ds_read_b64 v[2:3], v1 offset:952
	v_cmp_lt_u32_e32 vcc, 57, v0
	s_waitcnt vmcnt(3) lgkmcnt(0)
	v_mul_f32_e32 v8, v2, v4
	v_mul_f32_e32 v4, v3, v4
	s_waitcnt vmcnt(2)
	v_fma_f32 v2, v2, v5, -v4
	v_fmac_f32_e32 v8, v3, v5
	v_add_f32_e32 v2, 0, v2
	v_add_f32_e32 v3, 0, v8
	s_waitcnt vmcnt(1)
	v_sub_f32_e32 v2, v6, v2
	s_waitcnt vmcnt(0)
	v_sub_f32_e32 v3, v7, v3
	buffer_store_dword v2, off, s[0:3], 0 offset:464
	buffer_store_dword v3, off, s[0:3], 0 offset:468
	s_and_saveexec_b64 s[4:5], vcc
	s_cbranch_execz .LBB59_259
; %bb.258:
	buffer_load_dword v2, off, s[0:3], 0 offset:456
	buffer_load_dword v3, off, s[0:3], 0 offset:460
	s_waitcnt vmcnt(0)
	ds_write_b64 v145, v[2:3]
	buffer_store_dword v1, off, s[0:3], 0 offset:456
	buffer_store_dword v1, off, s[0:3], 0 offset:460
.LBB59_259:
	s_or_b64 exec, exec, s[4:5]
	s_waitcnt lgkmcnt(0)
	; wave barrier
	buffer_load_dword v5, off, s[0:3], 0 offset:468
	buffer_load_dword v6, off, s[0:3], 0 offset:476
	;; [unrolled: 1-line block ×6, first 2 shown]
	ds_read_b128 v[1:4], v1 offset:944
	v_cmp_lt_u32_e32 vcc, 56, v0
	s_waitcnt vmcnt(5) lgkmcnt(0)
	v_mul_f32_e32 v11, v1, v5
	v_mul_f32_e32 v5, v2, v5
	s_waitcnt vmcnt(4)
	v_mul_f32_e32 v12, v3, v6
	v_mul_f32_e32 v6, v4, v6
	s_waitcnt vmcnt(3)
	v_fma_f32 v1, v1, v7, -v5
	v_fmac_f32_e32 v11, v2, v7
	s_waitcnt vmcnt(2)
	v_fma_f32 v2, v3, v8, -v6
	v_add_f32_e32 v1, 0, v1
	v_fmac_f32_e32 v12, v4, v8
	v_add_f32_e32 v3, 0, v11
	v_add_f32_e32 v1, v1, v2
	;; [unrolled: 1-line block ×3, first 2 shown]
	s_waitcnt vmcnt(1)
	v_sub_f32_e32 v1, v9, v1
	s_waitcnt vmcnt(0)
	v_sub_f32_e32 v2, v10, v3
	buffer_store_dword v1, off, s[0:3], 0 offset:456
	buffer_store_dword v2, off, s[0:3], 0 offset:460
	s_and_saveexec_b64 s[4:5], vcc
	s_cbranch_execz .LBB59_261
; %bb.260:
	buffer_load_dword v1, off, s[0:3], 0 offset:448
	buffer_load_dword v2, off, s[0:3], 0 offset:452
	v_mov_b32_e32 v3, 0
	buffer_store_dword v3, off, s[0:3], 0 offset:448
	buffer_store_dword v3, off, s[0:3], 0 offset:452
	s_waitcnt vmcnt(2)
	ds_write_b64 v145, v[1:2]
.LBB59_261:
	s_or_b64 exec, exec, s[4:5]
	s_waitcnt lgkmcnt(0)
	; wave barrier
	buffer_load_dword v8, off, s[0:3], 0 offset:460
	buffer_load_dword v9, off, s[0:3], 0 offset:468
	;; [unrolled: 1-line block ×8, first 2 shown]
	v_mov_b32_e32 v1, 0
	ds_read2_b64 v[2:5], v1 offset0:117 offset1:118
	ds_read_b64 v[6:7], v1 offset:952
	v_cmp_lt_u32_e32 vcc, 55, v0
	s_waitcnt vmcnt(7) lgkmcnt(1)
	v_mul_f32_e32 v16, v2, v8
	v_mul_f32_e32 v8, v3, v8
	s_waitcnt vmcnt(6)
	v_mul_f32_e32 v17, v4, v9
	v_mul_f32_e32 v9, v5, v9
	s_waitcnt vmcnt(4)
	v_fma_f32 v2, v2, v11, -v8
	s_waitcnt lgkmcnt(0)
	v_mul_f32_e32 v18, v6, v10
	v_mul_f32_e32 v10, v7, v10
	v_fmac_f32_e32 v16, v3, v11
	s_waitcnt vmcnt(3)
	v_fma_f32 v3, v4, v12, -v9
	v_add_f32_e32 v2, 0, v2
	v_fmac_f32_e32 v17, v5, v12
	s_waitcnt vmcnt(2)
	v_fma_f32 v4, v6, v13, -v10
	v_add_f32_e32 v5, 0, v16
	v_add_f32_e32 v2, v2, v3
	v_fmac_f32_e32 v18, v7, v13
	v_add_f32_e32 v5, v5, v17
	v_add_f32_e32 v2, v2, v4
	;; [unrolled: 1-line block ×3, first 2 shown]
	s_waitcnt vmcnt(1)
	v_sub_f32_e32 v2, v14, v2
	s_waitcnt vmcnt(0)
	v_sub_f32_e32 v3, v15, v3
	buffer_store_dword v2, off, s[0:3], 0 offset:448
	buffer_store_dword v3, off, s[0:3], 0 offset:452
	s_and_saveexec_b64 s[4:5], vcc
	s_cbranch_execz .LBB59_263
; %bb.262:
	buffer_load_dword v2, off, s[0:3], 0 offset:440
	buffer_load_dword v3, off, s[0:3], 0 offset:444
	s_waitcnt vmcnt(0)
	ds_write_b64 v145, v[2:3]
	buffer_store_dword v1, off, s[0:3], 0 offset:440
	buffer_store_dword v1, off, s[0:3], 0 offset:444
.LBB59_263:
	s_or_b64 exec, exec, s[4:5]
	s_waitcnt lgkmcnt(0)
	; wave barrier
	buffer_load_dword v10, off, s[0:3], 0 offset:452
	buffer_load_dword v11, off, s[0:3], 0 offset:460
	;; [unrolled: 1-line block ×10, first 2 shown]
	ds_read_b128 v[2:5], v1 offset:928
	ds_read_b128 v[6:9], v1 offset:944
	v_cmp_lt_u32_e32 vcc, 54, v0
	s_waitcnt vmcnt(9) lgkmcnt(1)
	v_mul_f32_e32 v1, v2, v10
	v_mul_f32_e32 v10, v3, v10
	s_waitcnt vmcnt(8)
	v_mul_f32_e32 v20, v4, v11
	v_mul_f32_e32 v11, v5, v11
	s_waitcnt vmcnt(5)
	v_fma_f32 v2, v2, v14, -v10
	s_waitcnt lgkmcnt(0)
	v_mul_f32_e32 v21, v6, v12
	v_mul_f32_e32 v12, v7, v12
	v_fmac_f32_e32 v1, v3, v14
	s_waitcnt vmcnt(4)
	v_fma_f32 v3, v4, v15, -v11
	v_add_f32_e32 v2, 0, v2
	v_mul_f32_e32 v22, v8, v13
	v_mul_f32_e32 v13, v9, v13
	v_fmac_f32_e32 v20, v5, v15
	s_waitcnt vmcnt(3)
	v_fma_f32 v4, v6, v16, -v12
	v_add_f32_e32 v1, 0, v1
	v_add_f32_e32 v2, v2, v3
	v_fmac_f32_e32 v21, v7, v16
	s_waitcnt vmcnt(2)
	v_fma_f32 v5, v8, v17, -v13
	v_add_f32_e32 v1, v1, v20
	v_add_f32_e32 v2, v2, v4
	v_fmac_f32_e32 v22, v9, v17
	v_add_f32_e32 v1, v1, v21
	v_add_f32_e32 v2, v2, v5
	;; [unrolled: 1-line block ×3, first 2 shown]
	s_waitcnt vmcnt(1)
	v_sub_f32_e32 v2, v18, v2
	s_waitcnt vmcnt(0)
	v_sub_f32_e32 v1, v19, v1
	buffer_store_dword v2, off, s[0:3], 0 offset:440
	buffer_store_dword v1, off, s[0:3], 0 offset:444
	s_and_saveexec_b64 s[4:5], vcc
	s_cbranch_execz .LBB59_265
; %bb.264:
	buffer_load_dword v1, off, s[0:3], 0 offset:432
	buffer_load_dword v2, off, s[0:3], 0 offset:436
	v_mov_b32_e32 v3, 0
	buffer_store_dword v3, off, s[0:3], 0 offset:432
	buffer_store_dword v3, off, s[0:3], 0 offset:436
	s_waitcnt vmcnt(2)
	ds_write_b64 v145, v[1:2]
.LBB59_265:
	s_or_b64 exec, exec, s[4:5]
	s_waitcnt lgkmcnt(0)
	; wave barrier
	buffer_load_dword v12, off, s[0:3], 0 offset:444
	buffer_load_dword v13, off, s[0:3], 0 offset:452
	;; [unrolled: 1-line block ×12, first 2 shown]
	v_mov_b32_e32 v1, 0
	ds_read2_b64 v[2:5], v1 offset0:115 offset1:116
	ds_read2_b64 v[6:9], v1 offset0:117 offset1:118
	ds_read_b64 v[10:11], v1 offset:952
	v_cmp_lt_u32_e32 vcc, 53, v0
	s_waitcnt vmcnt(11) lgkmcnt(2)
	v_mul_f32_e32 v24, v2, v12
	v_mul_f32_e32 v12, v3, v12
	s_waitcnt vmcnt(10)
	v_mul_f32_e32 v27, v4, v13
	v_mul_f32_e32 v13, v5, v13
	s_waitcnt vmcnt(9) lgkmcnt(1)
	v_mul_f32_e32 v28, v6, v14
	s_waitcnt vmcnt(6)
	v_fma_f32 v2, v2, v17, -v12
	v_mul_f32_e32 v14, v7, v14
	v_fmac_f32_e32 v24, v3, v17
	s_waitcnt vmcnt(5)
	v_fma_f32 v3, v4, v18, -v13
	v_add_f32_e32 v2, 0, v2
	v_mul_f32_e32 v29, v8, v15
	v_mul_f32_e32 v15, v9, v15
	v_fmac_f32_e32 v27, v5, v18
	s_waitcnt vmcnt(4)
	v_fmac_f32_e32 v28, v7, v19
	v_fma_f32 v4, v6, v19, -v14
	v_add_f32_e32 v7, 0, v24
	v_add_f32_e32 v2, v2, v3
	s_waitcnt lgkmcnt(0)
	v_mul_f32_e32 v30, v10, v16
	v_mul_f32_e32 v16, v11, v16
	s_waitcnt vmcnt(3)
	v_fma_f32 v5, v8, v20, -v15
	v_add_f32_e32 v7, v7, v27
	v_add_f32_e32 v2, v2, v4
	v_fmac_f32_e32 v29, v9, v20
	s_waitcnt vmcnt(2)
	v_fma_f32 v6, v10, v21, -v16
	v_add_f32_e32 v3, v7, v28
	v_add_f32_e32 v2, v2, v5
	v_fmac_f32_e32 v30, v11, v21
	v_add_f32_e32 v3, v3, v29
	v_add_f32_e32 v2, v2, v6
	;; [unrolled: 1-line block ×3, first 2 shown]
	s_waitcnt vmcnt(1)
	v_sub_f32_e32 v2, v22, v2
	s_waitcnt vmcnt(0)
	v_sub_f32_e32 v3, v23, v3
	buffer_store_dword v2, off, s[0:3], 0 offset:432
	buffer_store_dword v3, off, s[0:3], 0 offset:436
	s_and_saveexec_b64 s[4:5], vcc
	s_cbranch_execz .LBB59_267
; %bb.266:
	buffer_load_dword v2, off, s[0:3], 0 offset:424
	buffer_load_dword v3, off, s[0:3], 0 offset:428
	s_waitcnt vmcnt(0)
	ds_write_b64 v145, v[2:3]
	buffer_store_dword v1, off, s[0:3], 0 offset:424
	buffer_store_dword v1, off, s[0:3], 0 offset:428
.LBB59_267:
	s_or_b64 exec, exec, s[4:5]
	s_waitcnt lgkmcnt(0)
	; wave barrier
	buffer_load_dword v14, off, s[0:3], 0 offset:436
	buffer_load_dword v15, off, s[0:3], 0 offset:444
	buffer_load_dword v16, off, s[0:3], 0 offset:452
	buffer_load_dword v17, off, s[0:3], 0 offset:460
	buffer_load_dword v18, off, s[0:3], 0 offset:468
	buffer_load_dword v19, off, s[0:3], 0 offset:476
	buffer_load_dword v20, off, s[0:3], 0 offset:432
	buffer_load_dword v21, off, s[0:3], 0 offset:440
	buffer_load_dword v22, off, s[0:3], 0 offset:448
	buffer_load_dword v23, off, s[0:3], 0 offset:456
	buffer_load_dword v24, off, s[0:3], 0 offset:464
	buffer_load_dword v27, off, s[0:3], 0 offset:472
	buffer_load_dword v28, off, s[0:3], 0 offset:424
	buffer_load_dword v29, off, s[0:3], 0 offset:428
	ds_read_b128 v[2:5], v1 offset:912
	ds_read_b128 v[6:9], v1 offset:928
	;; [unrolled: 1-line block ×3, first 2 shown]
	v_cmp_lt_u32_e32 vcc, 52, v0
	s_waitcnt vmcnt(13) lgkmcnt(2)
	v_mul_f32_e32 v1, v2, v14
	v_mul_f32_e32 v14, v3, v14
	s_waitcnt vmcnt(12)
	v_mul_f32_e32 v30, v4, v15
	v_mul_f32_e32 v15, v5, v15
	s_waitcnt vmcnt(11) lgkmcnt(1)
	v_mul_f32_e32 v31, v6, v16
	v_mul_f32_e32 v16, v7, v16
	s_waitcnt vmcnt(7)
	v_fma_f32 v2, v2, v20, -v14
	v_fmac_f32_e32 v1, v3, v20
	s_waitcnt vmcnt(6)
	v_fma_f32 v3, v4, v21, -v15
	v_add_f32_e32 v2, 0, v2
	v_mul_f32_e32 v32, v8, v17
	v_mul_f32_e32 v17, v9, v17
	v_fmac_f32_e32 v30, v5, v21
	s_waitcnt vmcnt(5)
	v_fma_f32 v4, v6, v22, -v16
	v_add_f32_e32 v1, 0, v1
	v_add_f32_e32 v2, v2, v3
	s_waitcnt lgkmcnt(0)
	v_mul_f32_e32 v33, v10, v18
	v_mul_f32_e32 v18, v11, v18
	v_fmac_f32_e32 v31, v7, v22
	s_waitcnt vmcnt(4)
	v_fma_f32 v5, v8, v23, -v17
	v_add_f32_e32 v1, v1, v30
	v_add_f32_e32 v2, v2, v4
	v_mul_f32_e32 v34, v12, v19
	v_mul_f32_e32 v19, v13, v19
	v_fmac_f32_e32 v32, v9, v23
	s_waitcnt vmcnt(3)
	v_fma_f32 v6, v10, v24, -v18
	v_add_f32_e32 v1, v1, v31
	v_add_f32_e32 v2, v2, v5
	v_fmac_f32_e32 v33, v11, v24
	s_waitcnt vmcnt(2)
	v_fma_f32 v7, v12, v27, -v19
	v_add_f32_e32 v1, v1, v32
	v_add_f32_e32 v2, v2, v6
	v_fmac_f32_e32 v34, v13, v27
	v_add_f32_e32 v1, v1, v33
	v_add_f32_e32 v2, v2, v7
	;; [unrolled: 1-line block ×3, first 2 shown]
	s_waitcnt vmcnt(1)
	v_sub_f32_e32 v2, v28, v2
	s_waitcnt vmcnt(0)
	v_sub_f32_e32 v1, v29, v1
	buffer_store_dword v2, off, s[0:3], 0 offset:424
	buffer_store_dword v1, off, s[0:3], 0 offset:428
	s_and_saveexec_b64 s[4:5], vcc
	s_cbranch_execz .LBB59_269
; %bb.268:
	buffer_load_dword v1, off, s[0:3], 0 offset:416
	buffer_load_dword v2, off, s[0:3], 0 offset:420
	v_mov_b32_e32 v3, 0
	buffer_store_dword v3, off, s[0:3], 0 offset:416
	buffer_store_dword v3, off, s[0:3], 0 offset:420
	s_waitcnt vmcnt(2)
	ds_write_b64 v145, v[1:2]
.LBB59_269:
	s_or_b64 exec, exec, s[4:5]
	s_waitcnt lgkmcnt(0)
	; wave barrier
	buffer_load_dword v16, off, s[0:3], 0 offset:428
	buffer_load_dword v17, off, s[0:3], 0 offset:436
	;; [unrolled: 1-line block ×16, first 2 shown]
	v_mov_b32_e32 v1, 0
	ds_read2_b64 v[2:5], v1 offset0:113 offset1:114
	ds_read2_b64 v[6:9], v1 offset0:115 offset1:116
	;; [unrolled: 1-line block ×3, first 2 shown]
	ds_read_b64 v[14:15], v1 offset:952
	v_cmp_lt_u32_e32 vcc, 51, v0
	s_waitcnt vmcnt(15) lgkmcnt(3)
	v_mul_f32_e32 v34, v2, v16
	v_mul_f32_e32 v16, v3, v16
	s_waitcnt vmcnt(14)
	v_mul_f32_e32 v35, v4, v17
	v_mul_f32_e32 v17, v5, v17
	s_waitcnt vmcnt(13) lgkmcnt(2)
	v_mul_f32_e32 v36, v6, v18
	s_waitcnt vmcnt(12)
	v_mul_f32_e32 v37, v8, v19
	v_mul_f32_e32 v18, v7, v18
	s_waitcnt vmcnt(8)
	v_fma_f32 v2, v2, v23, -v16
	v_fmac_f32_e32 v34, v3, v23
	s_waitcnt vmcnt(7)
	v_fma_f32 v3, v4, v24, -v17
	v_add_f32_e32 v2, 0, v2
	v_mul_f32_e32 v19, v9, v19
	v_fmac_f32_e32 v35, v5, v24
	s_waitcnt vmcnt(5)
	v_fmac_f32_e32 v37, v9, v28
	v_fma_f32 v4, v6, v27, -v18
	v_add_f32_e32 v9, 0, v34
	v_add_f32_e32 v2, v2, v3
	s_waitcnt lgkmcnt(1)
	v_mul_f32_e32 v38, v10, v20
	v_mul_f32_e32 v20, v11, v20
	v_fmac_f32_e32 v36, v7, v27
	v_fma_f32 v5, v8, v28, -v19
	v_add_f32_e32 v9, v9, v35
	v_add_f32_e32 v2, v2, v4
	v_mul_f32_e32 v39, v12, v21
	v_mul_f32_e32 v21, v13, v21
	s_waitcnt vmcnt(4)
	v_fma_f32 v6, v10, v29, -v20
	v_add_f32_e32 v3, v9, v36
	v_add_f32_e32 v2, v2, v5
	s_waitcnt lgkmcnt(0)
	v_mul_f32_e32 v40, v14, v22
	v_mul_f32_e32 v22, v15, v22
	v_fmac_f32_e32 v38, v11, v29
	s_waitcnt vmcnt(3)
	v_fma_f32 v7, v12, v30, -v21
	v_add_f32_e32 v3, v3, v37
	v_add_f32_e32 v2, v2, v6
	v_fmac_f32_e32 v39, v13, v30
	s_waitcnt vmcnt(2)
	v_fma_f32 v8, v14, v31, -v22
	v_add_f32_e32 v3, v3, v38
	v_add_f32_e32 v2, v2, v7
	v_fmac_f32_e32 v40, v15, v31
	v_add_f32_e32 v3, v3, v39
	v_add_f32_e32 v2, v2, v8
	;; [unrolled: 1-line block ×3, first 2 shown]
	s_waitcnt vmcnt(1)
	v_sub_f32_e32 v2, v32, v2
	s_waitcnt vmcnt(0)
	v_sub_f32_e32 v3, v33, v3
	buffer_store_dword v2, off, s[0:3], 0 offset:416
	buffer_store_dword v3, off, s[0:3], 0 offset:420
	s_and_saveexec_b64 s[4:5], vcc
	s_cbranch_execz .LBB59_271
; %bb.270:
	buffer_load_dword v2, off, s[0:3], 0 offset:408
	buffer_load_dword v3, off, s[0:3], 0 offset:412
	s_waitcnt vmcnt(0)
	ds_write_b64 v145, v[2:3]
	buffer_store_dword v1, off, s[0:3], 0 offset:408
	buffer_store_dword v1, off, s[0:3], 0 offset:412
.LBB59_271:
	s_or_b64 exec, exec, s[4:5]
	s_waitcnt lgkmcnt(0)
	; wave barrier
	buffer_load_dword v18, off, s[0:3], 0 offset:420
	buffer_load_dword v19, off, s[0:3], 0 offset:428
	;; [unrolled: 1-line block ×18, first 2 shown]
	ds_read_b128 v[2:5], v1 offset:896
	ds_read_b128 v[6:9], v1 offset:912
	;; [unrolled: 1-line block ×4, first 2 shown]
	v_cmp_lt_u32_e32 vcc, 50, v0
	s_waitcnt vmcnt(17) lgkmcnt(3)
	v_mul_f32_e32 v1, v2, v18
	v_mul_f32_e32 v18, v3, v18
	s_waitcnt vmcnt(16)
	v_mul_f32_e32 v38, v4, v19
	v_mul_f32_e32 v19, v5, v19
	s_waitcnt vmcnt(15) lgkmcnt(2)
	v_mul_f32_e32 v39, v6, v20
	v_mul_f32_e32 v20, v7, v20
	s_waitcnt vmcnt(14)
	v_mul_f32_e32 v40, v8, v21
	v_mul_f32_e32 v21, v9, v21
	s_waitcnt vmcnt(9)
	v_fma_f32 v2, v2, v28, -v18
	v_fmac_f32_e32 v1, v3, v28
	s_waitcnt vmcnt(8)
	v_fma_f32 v3, v4, v29, -v19
	v_add_f32_e32 v2, 0, v2
	v_fmac_f32_e32 v38, v5, v29
	s_waitcnt vmcnt(7)
	v_fma_f32 v4, v6, v30, -v20
	v_add_f32_e32 v1, 0, v1
	v_add_f32_e32 v2, v2, v3
	s_waitcnt lgkmcnt(1)
	v_mul_f32_e32 v41, v10, v22
	v_mul_f32_e32 v22, v11, v22
	v_fmac_f32_e32 v39, v7, v30
	s_waitcnt vmcnt(6)
	v_fma_f32 v5, v8, v31, -v21
	v_add_f32_e32 v1, v1, v38
	v_add_f32_e32 v2, v2, v4
	v_mul_f32_e32 v42, v12, v23
	v_mul_f32_e32 v23, v13, v23
	v_fmac_f32_e32 v40, v9, v31
	s_waitcnt vmcnt(5)
	v_fma_f32 v6, v10, v32, -v22
	v_add_f32_e32 v1, v1, v39
	v_add_f32_e32 v2, v2, v5
	s_waitcnt lgkmcnt(0)
	v_mul_f32_e32 v43, v14, v24
	v_mul_f32_e32 v24, v15, v24
	v_fmac_f32_e32 v41, v11, v32
	s_waitcnt vmcnt(4)
	v_fma_f32 v7, v12, v33, -v23
	v_add_f32_e32 v1, v1, v40
	v_add_f32_e32 v2, v2, v6
	v_mul_f32_e32 v44, v16, v27
	v_mul_f32_e32 v27, v17, v27
	v_fmac_f32_e32 v42, v13, v33
	s_waitcnt vmcnt(3)
	v_fma_f32 v8, v14, v34, -v24
	v_add_f32_e32 v1, v1, v41
	v_add_f32_e32 v2, v2, v7
	v_fmac_f32_e32 v43, v15, v34
	s_waitcnt vmcnt(2)
	v_fma_f32 v9, v16, v35, -v27
	v_add_f32_e32 v1, v1, v42
	v_add_f32_e32 v2, v2, v8
	v_fmac_f32_e32 v44, v17, v35
	v_add_f32_e32 v1, v1, v43
	v_add_f32_e32 v2, v2, v9
	v_add_f32_e32 v1, v1, v44
	s_waitcnt vmcnt(1)
	v_sub_f32_e32 v2, v36, v2
	s_waitcnt vmcnt(0)
	v_sub_f32_e32 v1, v37, v1
	buffer_store_dword v2, off, s[0:3], 0 offset:408
	buffer_store_dword v1, off, s[0:3], 0 offset:412
	s_and_saveexec_b64 s[4:5], vcc
	s_cbranch_execz .LBB59_273
; %bb.272:
	buffer_load_dword v1, off, s[0:3], 0 offset:400
	buffer_load_dword v2, off, s[0:3], 0 offset:404
	v_mov_b32_e32 v3, 0
	buffer_store_dword v3, off, s[0:3], 0 offset:400
	buffer_store_dword v3, off, s[0:3], 0 offset:404
	s_waitcnt vmcnt(2)
	ds_write_b64 v145, v[1:2]
.LBB59_273:
	s_or_b64 exec, exec, s[4:5]
	s_waitcnt lgkmcnt(0)
	; wave barrier
	buffer_load_dword v20, off, s[0:3], 0 offset:412
	buffer_load_dword v21, off, s[0:3], 0 offset:420
	;; [unrolled: 1-line block ×20, first 2 shown]
	v_mov_b32_e32 v1, 0
	ds_read2_b64 v[2:5], v1 offset0:111 offset1:112
	ds_read2_b64 v[6:9], v1 offset0:113 offset1:114
	;; [unrolled: 1-line block ×4, first 2 shown]
	ds_read_b64 v[18:19], v1 offset:952
	v_cmp_lt_u32_e32 vcc, 49, v0
	s_waitcnt vmcnt(19) lgkmcnt(4)
	v_mul_f32_e32 v42, v2, v20
	v_mul_f32_e32 v20, v3, v20
	s_waitcnt vmcnt(18)
	v_mul_f32_e32 v43, v4, v21
	v_mul_f32_e32 v21, v5, v21
	s_waitcnt vmcnt(17) lgkmcnt(3)
	v_mul_f32_e32 v44, v6, v22
	s_waitcnt vmcnt(15) lgkmcnt(2)
	v_mul_f32_e32 v46, v10, v24
	v_mul_f32_e32 v22, v7, v22
	;; [unrolled: 1-line block ×4, first 2 shown]
	s_waitcnt vmcnt(10)
	v_fma_f32 v2, v2, v31, -v20
	v_fmac_f32_e32 v42, v3, v31
	s_waitcnt vmcnt(9)
	v_fma_f32 v3, v4, v32, -v21
	v_add_f32_e32 v2, 0, v2
	v_mul_f32_e32 v24, v11, v24
	v_fmac_f32_e32 v43, v5, v32
	s_waitcnt vmcnt(6)
	v_fmac_f32_e32 v46, v11, v35
	v_fma_f32 v4, v6, v33, -v22
	v_add_f32_e32 v11, 0, v42
	v_add_f32_e32 v2, v2, v3
	v_fmac_f32_e32 v44, v7, v33
	v_fma_f32 v5, v8, v34, -v23
	v_add_f32_e32 v11, v11, v43
	v_add_f32_e32 v2, v2, v4
	v_mul_f32_e32 v47, v12, v27
	v_mul_f32_e32 v27, v13, v27
	v_fmac_f32_e32 v45, v9, v34
	v_fma_f32 v6, v10, v35, -v24
	v_add_f32_e32 v3, v11, v44
	v_add_f32_e32 v2, v2, v5
	s_waitcnt lgkmcnt(1)
	v_mul_f32_e32 v48, v14, v28
	v_mul_f32_e32 v28, v15, v28
	s_waitcnt vmcnt(5)
	v_fma_f32 v7, v12, v36, -v27
	v_add_f32_e32 v3, v3, v45
	v_add_f32_e32 v2, v2, v6
	v_mul_f32_e32 v49, v16, v29
	v_mul_f32_e32 v29, v17, v29
	v_fmac_f32_e32 v47, v13, v36
	s_waitcnt vmcnt(4)
	v_fma_f32 v8, v14, v37, -v28
	v_add_f32_e32 v3, v3, v46
	v_add_f32_e32 v2, v2, v7
	s_waitcnt lgkmcnt(0)
	v_mul_f32_e32 v50, v18, v30
	v_mul_f32_e32 v30, v19, v30
	v_fmac_f32_e32 v48, v15, v37
	s_waitcnt vmcnt(3)
	v_fma_f32 v9, v16, v38, -v29
	v_add_f32_e32 v3, v3, v47
	v_add_f32_e32 v2, v2, v8
	v_fmac_f32_e32 v49, v17, v38
	s_waitcnt vmcnt(2)
	v_fma_f32 v10, v18, v39, -v30
	v_add_f32_e32 v3, v3, v48
	v_add_f32_e32 v2, v2, v9
	v_fmac_f32_e32 v50, v19, v39
	v_add_f32_e32 v3, v3, v49
	v_add_f32_e32 v2, v2, v10
	;; [unrolled: 1-line block ×3, first 2 shown]
	s_waitcnt vmcnt(1)
	v_sub_f32_e32 v2, v40, v2
	s_waitcnt vmcnt(0)
	v_sub_f32_e32 v3, v41, v3
	buffer_store_dword v2, off, s[0:3], 0 offset:400
	buffer_store_dword v3, off, s[0:3], 0 offset:404
	s_and_saveexec_b64 s[4:5], vcc
	s_cbranch_execz .LBB59_275
; %bb.274:
	buffer_load_dword v2, off, s[0:3], 0 offset:392
	buffer_load_dword v3, off, s[0:3], 0 offset:396
	s_waitcnt vmcnt(0)
	ds_write_b64 v145, v[2:3]
	buffer_store_dword v1, off, s[0:3], 0 offset:392
	buffer_store_dword v1, off, s[0:3], 0 offset:396
.LBB59_275:
	s_or_b64 exec, exec, s[4:5]
	s_waitcnt lgkmcnt(0)
	; wave barrier
	buffer_load_dword v22, off, s[0:3], 0 offset:404
	buffer_load_dword v23, off, s[0:3], 0 offset:412
	buffer_load_dword v24, off, s[0:3], 0 offset:420
	buffer_load_dword v27, off, s[0:3], 0 offset:428
	buffer_load_dword v28, off, s[0:3], 0 offset:436
	buffer_load_dword v29, off, s[0:3], 0 offset:444
	buffer_load_dword v30, off, s[0:3], 0 offset:452
	buffer_load_dword v31, off, s[0:3], 0 offset:460
	buffer_load_dword v32, off, s[0:3], 0 offset:468
	buffer_load_dword v33, off, s[0:3], 0 offset:476
	buffer_load_dword v34, off, s[0:3], 0 offset:400
	buffer_load_dword v35, off, s[0:3], 0 offset:408
	buffer_load_dword v36, off, s[0:3], 0 offset:416
	buffer_load_dword v37, off, s[0:3], 0 offset:424
	buffer_load_dword v38, off, s[0:3], 0 offset:432
	buffer_load_dword v39, off, s[0:3], 0 offset:440
	buffer_load_dword v40, off, s[0:3], 0 offset:448
	buffer_load_dword v41, off, s[0:3], 0 offset:456
	buffer_load_dword v42, off, s[0:3], 0 offset:464
	buffer_load_dword v43, off, s[0:3], 0 offset:472
	buffer_load_dword v44, off, s[0:3], 0 offset:392
	buffer_load_dword v45, off, s[0:3], 0 offset:396
	ds_read_b128 v[2:5], v1 offset:880
	ds_read_b128 v[6:9], v1 offset:896
	;; [unrolled: 1-line block ×5, first 2 shown]
	v_cmp_lt_u32_e32 vcc, 48, v0
	s_waitcnt vmcnt(21) lgkmcnt(4)
	v_mul_f32_e32 v1, v2, v22
	v_mul_f32_e32 v22, v3, v22
	s_waitcnt vmcnt(20)
	v_mul_f32_e32 v46, v4, v23
	v_mul_f32_e32 v23, v5, v23
	s_waitcnt vmcnt(19) lgkmcnt(3)
	v_mul_f32_e32 v47, v6, v24
	v_mul_f32_e32 v24, v7, v24
	s_waitcnt vmcnt(18)
	v_mul_f32_e32 v48, v8, v27
	v_mul_f32_e32 v27, v9, v27
	s_waitcnt vmcnt(17) lgkmcnt(2)
	v_mul_f32_e32 v49, v10, v28
	v_mul_f32_e32 v28, v11, v28
	s_waitcnt vmcnt(11)
	v_fma_f32 v2, v2, v34, -v22
	v_fmac_f32_e32 v1, v3, v34
	s_waitcnt vmcnt(10)
	v_fma_f32 v3, v4, v35, -v23
	v_add_f32_e32 v2, 0, v2
	v_fmac_f32_e32 v46, v5, v35
	s_waitcnt vmcnt(9)
	v_fma_f32 v4, v6, v36, -v24
	v_add_f32_e32 v1, 0, v1
	v_add_f32_e32 v2, v2, v3
	v_fmac_f32_e32 v47, v7, v36
	s_waitcnt vmcnt(8)
	v_fma_f32 v5, v8, v37, -v27
	v_add_f32_e32 v1, v1, v46
	v_add_f32_e32 v2, v2, v4
	v_mul_f32_e32 v50, v12, v29
	v_mul_f32_e32 v29, v13, v29
	v_fmac_f32_e32 v48, v9, v37
	s_waitcnt vmcnt(7)
	v_fma_f32 v6, v10, v38, -v28
	v_add_f32_e32 v1, v1, v47
	v_add_f32_e32 v2, v2, v5
	s_waitcnt lgkmcnt(1)
	v_mul_f32_e32 v51, v14, v30
	v_mul_f32_e32 v30, v15, v30
	v_fmac_f32_e32 v49, v11, v38
	s_waitcnt vmcnt(6)
	v_fma_f32 v7, v12, v39, -v29
	v_add_f32_e32 v1, v1, v48
	v_add_f32_e32 v2, v2, v6
	v_mul_f32_e32 v52, v16, v31
	v_mul_f32_e32 v31, v17, v31
	v_fmac_f32_e32 v50, v13, v39
	s_waitcnt vmcnt(5)
	v_fma_f32 v8, v14, v40, -v30
	v_add_f32_e32 v1, v1, v49
	v_add_f32_e32 v2, v2, v7
	s_waitcnt lgkmcnt(0)
	v_mul_f32_e32 v53, v18, v32
	v_mul_f32_e32 v32, v19, v32
	v_fmac_f32_e32 v51, v15, v40
	s_waitcnt vmcnt(4)
	v_fma_f32 v9, v16, v41, -v31
	v_add_f32_e32 v1, v1, v50
	v_add_f32_e32 v2, v2, v8
	v_mul_f32_e32 v54, v20, v33
	v_mul_f32_e32 v33, v21, v33
	v_fmac_f32_e32 v52, v17, v41
	s_waitcnt vmcnt(3)
	v_fma_f32 v10, v18, v42, -v32
	v_add_f32_e32 v1, v1, v51
	v_add_f32_e32 v2, v2, v9
	v_fmac_f32_e32 v53, v19, v42
	s_waitcnt vmcnt(2)
	v_fma_f32 v11, v20, v43, -v33
	v_add_f32_e32 v1, v1, v52
	v_add_f32_e32 v2, v2, v10
	v_fmac_f32_e32 v54, v21, v43
	v_add_f32_e32 v1, v1, v53
	v_add_f32_e32 v2, v2, v11
	;; [unrolled: 1-line block ×3, first 2 shown]
	s_waitcnt vmcnt(1)
	v_sub_f32_e32 v2, v44, v2
	s_waitcnt vmcnt(0)
	v_sub_f32_e32 v1, v45, v1
	buffer_store_dword v2, off, s[0:3], 0 offset:392
	buffer_store_dword v1, off, s[0:3], 0 offset:396
	s_and_saveexec_b64 s[4:5], vcc
	s_cbranch_execz .LBB59_277
; %bb.276:
	buffer_load_dword v1, off, s[0:3], 0 offset:384
	buffer_load_dword v2, off, s[0:3], 0 offset:388
	v_mov_b32_e32 v3, 0
	buffer_store_dword v3, off, s[0:3], 0 offset:384
	buffer_store_dword v3, off, s[0:3], 0 offset:388
	s_waitcnt vmcnt(2)
	ds_write_b64 v145, v[1:2]
.LBB59_277:
	s_or_b64 exec, exec, s[4:5]
	s_waitcnt lgkmcnt(0)
	; wave barrier
	buffer_load_dword v24, off, s[0:3], 0 offset:396
	buffer_load_dword v27, off, s[0:3], 0 offset:404
	;; [unrolled: 1-line block ×24, first 2 shown]
	v_mov_b32_e32 v1, 0
	ds_read2_b64 v[2:5], v1 offset0:109 offset1:110
	ds_read2_b64 v[6:9], v1 offset0:111 offset1:112
	;; [unrolled: 1-line block ×5, first 2 shown]
	ds_read_b64 v[22:23], v1 offset:952
	v_cmp_lt_u32_e32 vcc, 47, v0
	s_waitcnt vmcnt(23) lgkmcnt(5)
	v_mul_f32_e32 v50, v2, v24
	v_mul_f32_e32 v24, v3, v24
	s_waitcnt vmcnt(22)
	v_mul_f32_e32 v51, v4, v27
	v_mul_f32_e32 v27, v5, v27
	s_waitcnt vmcnt(21) lgkmcnt(4)
	v_mul_f32_e32 v52, v6, v28
	v_mul_f32_e32 v28, v7, v28
	s_waitcnt vmcnt(20)
	v_mul_f32_e32 v53, v8, v29
	s_waitcnt vmcnt(19) lgkmcnt(3)
	v_mul_f32_e32 v54, v10, v30
	v_mul_f32_e32 v29, v9, v29
	;; [unrolled: 1-line block ×3, first 2 shown]
	s_waitcnt vmcnt(18)
	v_mul_f32_e32 v55, v12, v31
	s_waitcnt vmcnt(12)
	v_fma_f32 v2, v2, v37, -v24
	v_fmac_f32_e32 v50, v3, v37
	s_waitcnt vmcnt(11)
	v_fma_f32 v3, v4, v38, -v27
	v_add_f32_e32 v2, 0, v2
	s_waitcnt vmcnt(10)
	v_fma_f32 v4, v6, v39, -v28
	v_add_f32_e32 v2, v2, v3
	v_fmac_f32_e32 v51, v5, v38
	s_waitcnt vmcnt(8)
	v_fmac_f32_e32 v54, v11, v41
	v_fma_f32 v5, v8, v40, -v29
	v_add_f32_e32 v11, 0, v50
	v_add_f32_e32 v2, v2, v4
	v_mul_f32_e32 v31, v13, v31
	v_fmac_f32_e32 v52, v7, v39
	v_fma_f32 v6, v10, v41, -v30
	v_add_f32_e32 v11, v11, v51
	v_add_f32_e32 v2, v2, v5
	s_waitcnt lgkmcnt(2)
	v_mul_f32_e32 v56, v14, v32
	v_mul_f32_e32 v32, v15, v32
	v_fmac_f32_e32 v53, v9, v40
	s_waitcnt vmcnt(7)
	v_fma_f32 v7, v12, v42, -v31
	v_add_f32_e32 v3, v11, v52
	v_add_f32_e32 v2, v2, v6
	v_mul_f32_e32 v57, v16, v33
	v_mul_f32_e32 v33, v17, v33
	s_waitcnt vmcnt(6)
	v_fma_f32 v8, v14, v43, -v32
	v_add_f32_e32 v3, v3, v53
	v_add_f32_e32 v2, v2, v7
	s_waitcnt lgkmcnt(1)
	v_mul_f32_e32 v58, v18, v34
	v_mul_f32_e32 v34, v19, v34
	v_fmac_f32_e32 v55, v13, v42
	s_waitcnt vmcnt(5)
	v_fma_f32 v9, v16, v44, -v33
	v_add_f32_e32 v3, v3, v54
	v_add_f32_e32 v2, v2, v8
	v_fmac_f32_e32 v56, v15, v43
	s_waitcnt vmcnt(4)
	v_fma_f32 v10, v18, v45, -v34
	v_add_f32_e32 v3, v3, v55
	v_add_f32_e32 v2, v2, v9
	v_mul_f32_e32 v4, v21, v35
	v_fmac_f32_e32 v57, v17, v44
	v_add_f32_e32 v3, v3, v56
	v_add_f32_e32 v2, v2, v10
	s_waitcnt vmcnt(3)
	v_fma_f32 v4, v20, v46, -v4
	v_mul_f32_e32 v59, v20, v35
	v_fmac_f32_e32 v58, v19, v45
	v_add_f32_e32 v3, v3, v57
	v_add_f32_e32 v2, v2, v4
	s_waitcnt lgkmcnt(0)
	v_mul_f32_e32 v4, v23, v36
	v_mul_f32_e32 v60, v22, v36
	v_fmac_f32_e32 v59, v21, v46
	v_add_f32_e32 v3, v3, v58
	s_waitcnt vmcnt(2)
	v_fma_f32 v4, v22, v47, -v4
	v_fmac_f32_e32 v60, v23, v47
	v_add_f32_e32 v3, v3, v59
	v_add_f32_e32 v2, v2, v4
	;; [unrolled: 1-line block ×3, first 2 shown]
	s_waitcnt vmcnt(1)
	v_sub_f32_e32 v2, v48, v2
	s_waitcnt vmcnt(0)
	v_sub_f32_e32 v3, v49, v3
	buffer_store_dword v2, off, s[0:3], 0 offset:384
	buffer_store_dword v3, off, s[0:3], 0 offset:388
	s_and_saveexec_b64 s[4:5], vcc
	s_cbranch_execz .LBB59_279
; %bb.278:
	buffer_load_dword v2, off, s[0:3], 0 offset:376
	buffer_load_dword v3, off, s[0:3], 0 offset:380
	s_waitcnt vmcnt(0)
	ds_write_b64 v145, v[2:3]
	buffer_store_dword v1, off, s[0:3], 0 offset:376
	buffer_store_dword v1, off, s[0:3], 0 offset:380
.LBB59_279:
	s_or_b64 exec, exec, s[4:5]
	s_waitcnt lgkmcnt(0)
	; wave barrier
	buffer_load_dword v22, off, s[0:3], 0 offset:388
	buffer_load_dword v23, off, s[0:3], 0 offset:396
	;; [unrolled: 1-line block ×26, first 2 shown]
	ds_read_b128 v[2:5], v1 offset:864
	ds_read_b128 v[6:9], v1 offset:880
	;; [unrolled: 1-line block ×6, first 2 shown]
	v_cmp_lt_u32_e32 vcc, 46, v0
	s_waitcnt vmcnt(25) lgkmcnt(5)
	v_mul_f32_e32 v1, v2, v22
	v_mul_f32_e32 v22, v3, v22
	s_waitcnt vmcnt(24)
	v_mul_f32_e32 v50, v4, v23
	v_mul_f32_e32 v23, v5, v23
	s_waitcnt vmcnt(23) lgkmcnt(4)
	v_mul_f32_e32 v51, v6, v24
	v_mul_f32_e32 v24, v7, v24
	s_waitcnt vmcnt(22)
	v_mul_f32_e32 v52, v8, v27
	v_mul_f32_e32 v27, v9, v27
	;; [unrolled: 6-line block ×3, first 2 shown]
	s_waitcnt vmcnt(13)
	v_fma_f32 v2, v2, v36, -v22
	v_fmac_f32_e32 v1, v3, v36
	s_waitcnt vmcnt(12)
	v_fma_f32 v3, v4, v37, -v23
	v_add_f32_e32 v2, 0, v2
	s_waitcnt vmcnt(11)
	v_fma_f32 v4, v6, v38, -v24
	v_add_f32_e32 v2, v2, v3
	v_fmac_f32_e32 v50, v5, v37
	s_waitcnt vmcnt(10)
	v_fma_f32 v5, v8, v39, -v27
	v_add_f32_e32 v2, v2, v4
	s_waitcnt vmcnt(9)
	v_fma_f32 v6, v10, v40, -v28
	v_add_f32_e32 v2, v2, v5
	s_waitcnt lgkmcnt(2)
	v_mul_f32_e32 v55, v14, v30
	v_mul_f32_e32 v30, v15, v30
	v_fmac_f32_e32 v51, v7, v38
	s_waitcnt vmcnt(8)
	v_fma_f32 v7, v12, v41, -v29
	v_add_f32_e32 v1, 0, v1
	v_add_f32_e32 v2, v2, v6
	v_mul_f32_e32 v56, v16, v31
	v_mul_f32_e32 v31, v17, v31
	s_waitcnt vmcnt(7)
	v_fma_f32 v8, v14, v42, -v30
	v_add_f32_e32 v1, v1, v50
	v_add_f32_e32 v2, v2, v7
	v_fmac_f32_e32 v52, v9, v39
	s_waitcnt vmcnt(6)
	v_fma_f32 v9, v16, v43, -v31
	v_add_f32_e32 v1, v1, v51
	v_add_f32_e32 v2, v2, v8
	s_waitcnt lgkmcnt(1)
	v_mul_f32_e32 v3, v19, v32
	v_fmac_f32_e32 v53, v11, v40
	v_add_f32_e32 v1, v1, v52
	v_add_f32_e32 v2, v2, v9
	s_waitcnt vmcnt(5)
	v_fma_f32 v3, v18, v44, -v3
	v_fmac_f32_e32 v54, v13, v41
	v_add_f32_e32 v1, v1, v53
	v_add_f32_e32 v2, v2, v3
	v_mul_f32_e32 v3, v21, v33
	v_fmac_f32_e32 v55, v15, v42
	v_add_f32_e32 v1, v1, v54
	s_waitcnt vmcnt(4)
	v_fma_f32 v3, v20, v45, -v3
	v_mul_f32_e32 v57, v18, v32
	v_fmac_f32_e32 v56, v17, v43
	v_add_f32_e32 v1, v1, v55
	v_add_f32_e32 v2, v2, v3
	s_waitcnt lgkmcnt(0)
	v_mul_f32_e32 v3, v147, v34
	v_mul_f32_e32 v58, v20, v33
	v_fmac_f32_e32 v57, v19, v44
	v_add_f32_e32 v1, v1, v56
	s_waitcnt vmcnt(3)
	v_fma_f32 v3, v146, v46, -v3
	v_mul_f32_e32 v59, v146, v34
	v_fmac_f32_e32 v58, v21, v45
	v_add_f32_e32 v1, v1, v57
	v_add_f32_e32 v2, v2, v3
	v_mul_f32_e32 v3, v149, v35
	v_mul_f32_e32 v60, v148, v35
	v_fmac_f32_e32 v59, v147, v46
	v_add_f32_e32 v1, v1, v58
	s_waitcnt vmcnt(2)
	v_fma_f32 v3, v148, v47, -v3
	v_fmac_f32_e32 v60, v149, v47
	v_add_f32_e32 v1, v1, v59
	v_add_f32_e32 v2, v2, v3
	;; [unrolled: 1-line block ×3, first 2 shown]
	s_waitcnt vmcnt(1)
	v_sub_f32_e32 v2, v48, v2
	s_waitcnt vmcnt(0)
	v_sub_f32_e32 v1, v49, v1
	buffer_store_dword v2, off, s[0:3], 0 offset:376
	buffer_store_dword v1, off, s[0:3], 0 offset:380
	s_and_saveexec_b64 s[4:5], vcc
	s_cbranch_execz .LBB59_281
; %bb.280:
	buffer_load_dword v1, off, s[0:3], 0 offset:368
	buffer_load_dword v2, off, s[0:3], 0 offset:372
	v_mov_b32_e32 v3, 0
	buffer_store_dword v3, off, s[0:3], 0 offset:368
	buffer_store_dword v3, off, s[0:3], 0 offset:372
	s_waitcnt vmcnt(2)
	ds_write_b64 v145, v[1:2]
.LBB59_281:
	s_or_b64 exec, exec, s[4:5]
	s_waitcnt lgkmcnt(0)
	; wave barrier
	buffer_load_dword v24, off, s[0:3], 0 offset:380
	buffer_load_dword v27, off, s[0:3], 0 offset:388
	;; [unrolled: 1-line block ×28, first 2 shown]
	v_mov_b32_e32 v1, 0
	ds_read2_b64 v[2:5], v1 offset0:107 offset1:108
	ds_read2_b64 v[6:9], v1 offset0:109 offset1:110
	;; [unrolled: 1-line block ×6, first 2 shown]
	ds_read_b64 v[22:23], v1 offset:952
	v_cmp_lt_u32_e32 vcc, 45, v0
	s_waitcnt vmcnt(27) lgkmcnt(6)
	v_mul_f32_e32 v54, v2, v24
	v_mul_f32_e32 v24, v3, v24
	s_waitcnt vmcnt(26)
	v_mul_f32_e32 v55, v4, v27
	v_mul_f32_e32 v27, v5, v27
	s_waitcnt vmcnt(25) lgkmcnt(5)
	v_mul_f32_e32 v56, v6, v28
	v_mul_f32_e32 v28, v7, v28
	s_waitcnt vmcnt(24)
	v_mul_f32_e32 v57, v8, v29
	v_mul_f32_e32 v29, v9, v29
	;; [unrolled: 6-line block ×3, first 2 shown]
	s_waitcnt vmcnt(21) lgkmcnt(3)
	v_mul_f32_e32 v60, v14, v32
	s_waitcnt vmcnt(14)
	v_fma_f32 v2, v2, v39, -v24
	v_fmac_f32_e32 v54, v3, v39
	s_waitcnt vmcnt(13)
	v_fma_f32 v3, v4, v40, -v27
	v_add_f32_e32 v2, 0, v2
	s_waitcnt vmcnt(12)
	v_fma_f32 v4, v6, v41, -v28
	v_add_f32_e32 v2, v2, v3
	v_fmac_f32_e32 v55, v5, v40
	s_waitcnt vmcnt(11)
	v_fma_f32 v5, v8, v42, -v29
	v_add_f32_e32 v2, v2, v4
	s_waitcnt vmcnt(10)
	v_fma_f32 v6, v10, v43, -v30
	v_add_f32_e32 v2, v2, v5
	v_fmac_f32_e32 v56, v7, v41
	s_waitcnt vmcnt(9)
	v_fma_f32 v7, v12, v44, -v31
	v_add_f32_e32 v2, v2, v6
	v_mul_f32_e32 v4, v15, v32
	v_add_f32_e32 v2, v2, v7
	s_waitcnt vmcnt(8)
	v_fma_f32 v4, v14, v45, -v4
	v_add_f32_e32 v2, v2, v4
	v_mul_f32_e32 v4, v17, v33
	v_add_f32_e32 v8, 0, v54
	s_waitcnt vmcnt(7)
	v_fma_f32 v4, v16, v46, -v4
	v_add_f32_e32 v8, v8, v55
	v_add_f32_e32 v2, v2, v4
	s_waitcnt lgkmcnt(2)
	v_mul_f32_e32 v4, v19, v34
	v_fmac_f32_e32 v57, v9, v42
	v_add_f32_e32 v3, v8, v56
	s_waitcnt vmcnt(6)
	v_fma_f32 v4, v18, v47, -v4
	v_fmac_f32_e32 v58, v11, v43
	v_add_f32_e32 v3, v3, v57
	v_add_f32_e32 v2, v2, v4
	v_mul_f32_e32 v4, v21, v35
	v_fmac_f32_e32 v59, v13, v44
	v_add_f32_e32 v3, v3, v58
	s_waitcnt vmcnt(5)
	v_fma_f32 v4, v20, v48, -v4
	v_mul_f32_e32 v61, v16, v33
	v_fmac_f32_e32 v60, v15, v45
	v_add_f32_e32 v3, v3, v59
	v_add_f32_e32 v2, v2, v4
	s_waitcnt lgkmcnt(1)
	v_mul_f32_e32 v4, v147, v36
	v_mul_f32_e32 v62, v18, v34
	v_fmac_f32_e32 v61, v17, v46
	v_add_f32_e32 v3, v3, v60
	s_waitcnt vmcnt(4)
	v_fma_f32 v4, v146, v49, -v4
	v_mul_f32_e32 v63, v20, v35
	v_fmac_f32_e32 v62, v19, v47
	v_add_f32_e32 v3, v3, v61
	v_add_f32_e32 v2, v2, v4
	v_mul_f32_e32 v4, v149, v37
	v_mul_f32_e32 v64, v146, v36
	v_fmac_f32_e32 v63, v21, v48
	v_add_f32_e32 v3, v3, v62
	s_waitcnt vmcnt(3)
	v_fma_f32 v4, v148, v50, -v4
	v_mul_f32_e32 v65, v148, v37
	v_fmac_f32_e32 v64, v147, v49
	v_add_f32_e32 v3, v3, v63
	v_add_f32_e32 v2, v2, v4
	s_waitcnt lgkmcnt(0)
	v_mul_f32_e32 v4, v23, v38
	v_mul_f32_e32 v66, v22, v38
	v_fmac_f32_e32 v65, v149, v50
	v_add_f32_e32 v3, v3, v64
	s_waitcnt vmcnt(2)
	v_fma_f32 v4, v22, v51, -v4
	v_fmac_f32_e32 v66, v23, v51
	v_add_f32_e32 v3, v3, v65
	v_add_f32_e32 v2, v2, v4
	;; [unrolled: 1-line block ×3, first 2 shown]
	s_waitcnt vmcnt(1)
	v_sub_f32_e32 v2, v52, v2
	s_waitcnt vmcnt(0)
	v_sub_f32_e32 v3, v53, v3
	buffer_store_dword v2, off, s[0:3], 0 offset:368
	buffer_store_dword v3, off, s[0:3], 0 offset:372
	s_and_saveexec_b64 s[4:5], vcc
	s_cbranch_execz .LBB59_283
; %bb.282:
	buffer_load_dword v2, off, s[0:3], 0 offset:360
	buffer_load_dword v3, off, s[0:3], 0 offset:364
	s_waitcnt vmcnt(0)
	ds_write_b64 v145, v[2:3]
	buffer_store_dword v1, off, s[0:3], 0 offset:360
	buffer_store_dword v1, off, s[0:3], 0 offset:364
.LBB59_283:
	s_or_b64 exec, exec, s[4:5]
	s_waitcnt lgkmcnt(0)
	; wave barrier
	buffer_load_dword v22, off, s[0:3], 0 offset:372
	buffer_load_dword v23, off, s[0:3], 0 offset:380
	;; [unrolled: 1-line block ×30, first 2 shown]
	ds_read_b128 v[2:5], v1 offset:848
	ds_read_b128 v[6:9], v1 offset:864
	;; [unrolled: 1-line block ×7, first 2 shown]
	v_cmp_lt_u32_e32 vcc, 44, v0
	s_waitcnt vmcnt(29) lgkmcnt(6)
	v_mul_f32_e32 v1, v2, v22
	v_mul_f32_e32 v22, v3, v22
	s_waitcnt vmcnt(28)
	v_mul_f32_e32 v54, v4, v23
	v_mul_f32_e32 v23, v5, v23
	s_waitcnt vmcnt(27) lgkmcnt(5)
	v_mul_f32_e32 v55, v6, v24
	v_mul_f32_e32 v24, v7, v24
	s_waitcnt vmcnt(26)
	v_mul_f32_e32 v56, v8, v27
	v_mul_f32_e32 v27, v9, v27
	s_waitcnt vmcnt(25) lgkmcnt(4)
	v_mul_f32_e32 v57, v10, v28
	v_mul_f32_e32 v28, v11, v28
	s_waitcnt vmcnt(24)
	v_mul_f32_e32 v58, v12, v29
	s_waitcnt vmcnt(23) lgkmcnt(3)
	v_mul_f32_e32 v59, v14, v30
	s_waitcnt vmcnt(22)
	v_mul_f32_e32 v60, v16, v31
	s_waitcnt vmcnt(21) lgkmcnt(2)
	v_mul_f32_e32 v61, v18, v32
	s_waitcnt vmcnt(15)
	v_fma_f32 v2, v2, v38, -v22
	v_fmac_f32_e32 v1, v3, v38
	s_waitcnt vmcnt(14)
	v_fma_f32 v3, v4, v39, -v23
	v_add_f32_e32 v2, 0, v2
	s_waitcnt vmcnt(13)
	v_fma_f32 v4, v6, v40, -v24
	v_add_f32_e32 v2, v2, v3
	v_fmac_f32_e32 v54, v5, v39
	s_waitcnt vmcnt(12)
	v_fma_f32 v5, v8, v41, -v27
	v_add_f32_e32 v2, v2, v4
	s_waitcnt vmcnt(11)
	v_fma_f32 v6, v10, v42, -v28
	v_add_f32_e32 v2, v2, v5
	v_mul_f32_e32 v3, v13, v29
	v_add_f32_e32 v2, v2, v6
	s_waitcnt vmcnt(10)
	v_fma_f32 v3, v12, v43, -v3
	v_add_f32_e32 v2, v2, v3
	v_mul_f32_e32 v3, v15, v30
	s_waitcnt vmcnt(9)
	v_fma_f32 v3, v14, v44, -v3
	v_add_f32_e32 v2, v2, v3
	v_mul_f32_e32 v3, v17, v31
	s_waitcnt vmcnt(8)
	v_fma_f32 v3, v16, v45, -v3
	v_add_f32_e32 v1, 0, v1
	v_add_f32_e32 v2, v2, v3
	v_mul_f32_e32 v3, v19, v32
	v_fmac_f32_e32 v55, v7, v40
	v_add_f32_e32 v1, v1, v54
	s_waitcnt vmcnt(7)
	v_fma_f32 v3, v18, v46, -v3
	v_fmac_f32_e32 v56, v9, v41
	v_add_f32_e32 v1, v1, v55
	v_add_f32_e32 v2, v2, v3
	v_mul_f32_e32 v3, v21, v33
	v_fmac_f32_e32 v57, v11, v42
	v_add_f32_e32 v1, v1, v56
	s_waitcnt vmcnt(6)
	v_fma_f32 v3, v20, v47, -v3
	v_fmac_f32_e32 v58, v13, v43
	v_add_f32_e32 v1, v1, v57
	v_add_f32_e32 v2, v2, v3
	s_waitcnt lgkmcnt(1)
	v_mul_f32_e32 v3, v147, v34
	v_fmac_f32_e32 v59, v15, v44
	v_add_f32_e32 v1, v1, v58
	s_waitcnt vmcnt(5)
	v_fma_f32 v3, v146, v48, -v3
	v_fmac_f32_e32 v60, v17, v45
	v_add_f32_e32 v1, v1, v59
	v_add_f32_e32 v2, v2, v3
	v_mul_f32_e32 v3, v149, v35
	v_mul_f32_e32 v62, v20, v33
	v_fmac_f32_e32 v61, v19, v46
	v_add_f32_e32 v1, v1, v60
	s_waitcnt vmcnt(4)
	v_fma_f32 v3, v148, v49, -v3
	v_mul_f32_e32 v63, v146, v34
	v_fmac_f32_e32 v62, v21, v47
	v_add_f32_e32 v1, v1, v61
	v_add_f32_e32 v2, v2, v3
	s_waitcnt lgkmcnt(0)
	v_mul_f32_e32 v3, v151, v36
	v_mul_f32_e32 v64, v148, v35
	v_fmac_f32_e32 v63, v147, v48
	v_add_f32_e32 v1, v1, v62
	s_waitcnt vmcnt(3)
	v_fma_f32 v3, v150, v50, -v3
	v_mul_f32_e32 v65, v150, v36
	v_fmac_f32_e32 v64, v149, v49
	v_add_f32_e32 v1, v1, v63
	v_add_f32_e32 v2, v2, v3
	v_mul_f32_e32 v3, v153, v37
	v_mul_f32_e32 v66, v152, v37
	v_fmac_f32_e32 v65, v151, v50
	v_add_f32_e32 v1, v1, v64
	s_waitcnt vmcnt(2)
	v_fma_f32 v3, v152, v51, -v3
	v_fmac_f32_e32 v66, v153, v51
	v_add_f32_e32 v1, v1, v65
	v_add_f32_e32 v2, v2, v3
	;; [unrolled: 1-line block ×3, first 2 shown]
	s_waitcnt vmcnt(1)
	v_sub_f32_e32 v2, v52, v2
	s_waitcnt vmcnt(0)
	v_sub_f32_e32 v1, v53, v1
	buffer_store_dword v2, off, s[0:3], 0 offset:360
	buffer_store_dword v1, off, s[0:3], 0 offset:364
	s_and_saveexec_b64 s[4:5], vcc
	s_cbranch_execz .LBB59_285
; %bb.284:
	buffer_load_dword v1, off, s[0:3], 0 offset:352
	buffer_load_dword v2, off, s[0:3], 0 offset:356
	v_mov_b32_e32 v3, 0
	buffer_store_dword v3, off, s[0:3], 0 offset:352
	buffer_store_dword v3, off, s[0:3], 0 offset:356
	s_waitcnt vmcnt(2)
	ds_write_b64 v145, v[1:2]
.LBB59_285:
	s_or_b64 exec, exec, s[4:5]
	s_waitcnt lgkmcnt(0)
	; wave barrier
	buffer_load_dword v24, off, s[0:3], 0 offset:364
	buffer_load_dword v27, off, s[0:3], 0 offset:372
	;; [unrolled: 1-line block ×32, first 2 shown]
	v_mov_b32_e32 v1, 0
	ds_read2_b64 v[2:5], v1 offset0:105 offset1:106
	ds_read2_b64 v[6:9], v1 offset0:107 offset1:108
	;; [unrolled: 1-line block ×7, first 2 shown]
	ds_read_b64 v[22:23], v1 offset:952
	v_cmp_lt_u32_e32 vcc, 43, v0
	s_waitcnt vmcnt(31) lgkmcnt(7)
	v_mul_f32_e32 v58, v2, v24
	v_mul_f32_e32 v24, v3, v24
	s_waitcnt vmcnt(30)
	v_mul_f32_e32 v59, v4, v27
	v_mul_f32_e32 v27, v5, v27
	s_waitcnt vmcnt(29) lgkmcnt(6)
	v_mul_f32_e32 v60, v6, v28
	v_mul_f32_e32 v28, v7, v28
	s_waitcnt vmcnt(28)
	v_mul_f32_e32 v61, v8, v29
	s_waitcnt vmcnt(27) lgkmcnt(5)
	v_mul_f32_e32 v62, v10, v30
	s_waitcnt vmcnt(26)
	v_mul_f32_e32 v63, v12, v31
	s_waitcnt vmcnt(25) lgkmcnt(4)
	;; [unrolled: 4-line block ×4, first 2 shown]
	v_mul_f32_e32 v155, v146, v36
	s_waitcnt vmcnt(20)
	v_mul_f32_e32 v156, v148, v37
	s_waitcnt vmcnt(16)
	v_fma_f32 v2, v2, v41, -v24
	v_fmac_f32_e32 v58, v3, v41
	s_waitcnt vmcnt(15)
	v_fma_f32 v3, v4, v42, -v27
	v_add_f32_e32 v2, 0, v2
	s_waitcnt vmcnt(14)
	v_fma_f32 v4, v6, v43, -v28
	v_add_f32_e32 v2, v2, v3
	v_add_f32_e32 v2, v2, v4
	v_mul_f32_e32 v4, v9, v29
	s_waitcnt vmcnt(13)
	v_fma_f32 v4, v8, v44, -v4
	v_add_f32_e32 v2, v2, v4
	v_mul_f32_e32 v4, v11, v30
	s_waitcnt vmcnt(12)
	v_fma_f32 v4, v10, v45, -v4
	v_add_f32_e32 v2, v2, v4
	v_mul_f32_e32 v4, v13, v31
	s_waitcnt vmcnt(11)
	v_fma_f32 v4, v12, v46, -v4
	v_add_f32_e32 v2, v2, v4
	v_mul_f32_e32 v4, v15, v32
	s_waitcnt vmcnt(10)
	v_fma_f32 v4, v14, v47, -v4
	v_add_f32_e32 v2, v2, v4
	v_mul_f32_e32 v4, v17, v33
	s_waitcnt vmcnt(9)
	v_fma_f32 v4, v16, v48, -v4
	v_add_f32_e32 v2, v2, v4
	v_mul_f32_e32 v4, v19, v34
	v_fmac_f32_e32 v59, v5, v42
	v_add_f32_e32 v5, 0, v58
	s_waitcnt vmcnt(8)
	v_fma_f32 v4, v18, v49, -v4
	v_fmac_f32_e32 v60, v7, v43
	v_add_f32_e32 v5, v5, v59
	v_add_f32_e32 v2, v2, v4
	v_mul_f32_e32 v4, v21, v35
	v_fmac_f32_e32 v61, v9, v44
	v_add_f32_e32 v3, v5, v60
	s_waitcnt vmcnt(7)
	v_fma_f32 v4, v20, v50, -v4
	v_fmac_f32_e32 v62, v11, v45
	v_add_f32_e32 v3, v3, v61
	;; [unrolled: 8-line block ×4, first 2 shown]
	v_add_f32_e32 v2, v2, v4
	s_waitcnt lgkmcnt(1)
	v_mul_f32_e32 v4, v151, v38
	v_fmac_f32_e32 v154, v21, v50
	v_add_f32_e32 v3, v3, v66
	s_waitcnt vmcnt(4)
	v_fma_f32 v4, v150, v53, -v4
	v_fmac_f32_e32 v155, v147, v51
	v_add_f32_e32 v3, v3, v154
	v_add_f32_e32 v2, v2, v4
	v_mul_f32_e32 v4, v153, v39
	v_mul_f32_e32 v157, v150, v38
	v_fmac_f32_e32 v156, v149, v52
	v_add_f32_e32 v3, v3, v155
	s_waitcnt vmcnt(3)
	v_fma_f32 v4, v152, v54, -v4
	v_mul_f32_e32 v158, v152, v39
	v_fmac_f32_e32 v157, v151, v53
	v_add_f32_e32 v3, v3, v156
	v_add_f32_e32 v2, v2, v4
	s_waitcnt lgkmcnt(0)
	v_mul_f32_e32 v4, v23, v40
	v_mul_f32_e32 v159, v22, v40
	v_fmac_f32_e32 v158, v153, v54
	v_add_f32_e32 v3, v3, v157
	s_waitcnt vmcnt(2)
	v_fma_f32 v4, v22, v55, -v4
	v_fmac_f32_e32 v159, v23, v55
	v_add_f32_e32 v3, v3, v158
	v_add_f32_e32 v2, v2, v4
	;; [unrolled: 1-line block ×3, first 2 shown]
	s_waitcnt vmcnt(1)
	v_sub_f32_e32 v2, v56, v2
	s_waitcnt vmcnt(0)
	v_sub_f32_e32 v3, v57, v3
	buffer_store_dword v2, off, s[0:3], 0 offset:352
	buffer_store_dword v3, off, s[0:3], 0 offset:356
	s_and_saveexec_b64 s[4:5], vcc
	s_cbranch_execz .LBB59_287
; %bb.286:
	buffer_load_dword v2, off, s[0:3], 0 offset:344
	buffer_load_dword v3, off, s[0:3], 0 offset:348
	s_waitcnt vmcnt(0)
	ds_write_b64 v145, v[2:3]
	buffer_store_dword v1, off, s[0:3], 0 offset:344
	buffer_store_dword v1, off, s[0:3], 0 offset:348
.LBB59_287:
	s_or_b64 exec, exec, s[4:5]
	s_waitcnt lgkmcnt(0)
	; wave barrier
	buffer_load_dword v22, off, s[0:3], 0 offset:356
	buffer_load_dword v23, off, s[0:3], 0 offset:364
	;; [unrolled: 1-line block ×34, first 2 shown]
	ds_read_b128 v[2:5], v1 offset:832
	ds_read_b128 v[6:9], v1 offset:848
	;; [unrolled: 1-line block ×8, first 2 shown]
	v_cmp_lt_u32_e32 vcc, 42, v0
	s_waitcnt vmcnt(33) lgkmcnt(7)
	v_mul_f32_e32 v1, v2, v22
	v_mul_f32_e32 v22, v3, v22
	s_waitcnt vmcnt(32)
	v_mul_f32_e32 v58, v4, v23
	v_mul_f32_e32 v23, v5, v23
	s_waitcnt vmcnt(31) lgkmcnt(6)
	v_mul_f32_e32 v59, v6, v24
	s_waitcnt vmcnt(30)
	v_mul_f32_e32 v60, v8, v27
	s_waitcnt vmcnt(29) lgkmcnt(5)
	v_mul_f32_e32 v61, v10, v28
	s_waitcnt vmcnt(28)
	;; [unrolled: 4-line block ×6, first 2 shown]
	v_mul_f32_e32 v161, v152, v37
	s_waitcnt vmcnt(17)
	v_fma_f32 v2, v2, v40, -v22
	v_fmac_f32_e32 v1, v3, v40
	s_waitcnt vmcnt(16)
	v_fma_f32 v3, v4, v41, -v23
	v_add_f32_e32 v2, 0, v2
	v_add_f32_e32 v2, v2, v3
	v_mul_f32_e32 v3, v7, v24
	s_waitcnt vmcnt(15)
	v_fma_f32 v3, v6, v42, -v3
	v_add_f32_e32 v2, v2, v3
	v_mul_f32_e32 v3, v9, v27
	s_waitcnt vmcnt(14)
	v_fma_f32 v3, v8, v43, -v3
	v_add_f32_e32 v2, v2, v3
	v_mul_f32_e32 v3, v11, v28
	s_waitcnt vmcnt(13)
	v_fma_f32 v3, v10, v44, -v3
	v_add_f32_e32 v2, v2, v3
	v_mul_f32_e32 v3, v13, v29
	s_waitcnt vmcnt(12)
	v_fma_f32 v3, v12, v45, -v3
	v_add_f32_e32 v2, v2, v3
	v_mul_f32_e32 v3, v15, v30
	s_waitcnt vmcnt(11)
	v_fma_f32 v3, v14, v46, -v3
	v_add_f32_e32 v2, v2, v3
	v_mul_f32_e32 v3, v17, v31
	s_waitcnt vmcnt(10)
	v_fma_f32 v3, v16, v47, -v3
	v_add_f32_e32 v2, v2, v3
	v_mul_f32_e32 v3, v19, v32
	s_waitcnt vmcnt(9)
	v_fma_f32 v3, v18, v48, -v3
	v_fmac_f32_e32 v58, v5, v41
	v_add_f32_e32 v1, 0, v1
	v_add_f32_e32 v2, v2, v3
	v_mul_f32_e32 v3, v21, v33
	v_fmac_f32_e32 v59, v7, v42
	v_add_f32_e32 v1, v1, v58
	s_waitcnt vmcnt(8)
	v_fma_f32 v3, v20, v49, -v3
	v_fmac_f32_e32 v60, v9, v43
	v_add_f32_e32 v1, v1, v59
	v_add_f32_e32 v2, v2, v3
	v_mul_f32_e32 v3, v147, v34
	v_fmac_f32_e32 v61, v11, v44
	v_add_f32_e32 v1, v1, v60
	s_waitcnt vmcnt(7)
	v_fma_f32 v3, v146, v50, -v3
	;; [unrolled: 8-line block ×5, first 2 shown]
	v_fmac_f32_e32 v159, v149, v51
	v_add_f32_e32 v1, v1, v158
	v_add_f32_e32 v2, v2, v3
	s_waitcnt lgkmcnt(0)
	v_mul_f32_e32 v3, v155, v38
	v_fmac_f32_e32 v160, v151, v52
	v_add_f32_e32 v1, v1, v159
	s_waitcnt vmcnt(3)
	v_fma_f32 v3, v154, v54, -v3
	v_mul_f32_e32 v162, v154, v38
	v_fmac_f32_e32 v161, v153, v53
	v_add_f32_e32 v1, v1, v160
	v_add_f32_e32 v2, v2, v3
	v_mul_f32_e32 v3, v157, v39
	v_mul_f32_e32 v163, v156, v39
	v_fmac_f32_e32 v162, v155, v54
	v_add_f32_e32 v1, v1, v161
	s_waitcnt vmcnt(2)
	v_fma_f32 v3, v156, v55, -v3
	v_fmac_f32_e32 v163, v157, v55
	v_add_f32_e32 v1, v1, v162
	v_add_f32_e32 v2, v2, v3
	;; [unrolled: 1-line block ×3, first 2 shown]
	s_waitcnt vmcnt(1)
	v_sub_f32_e32 v2, v56, v2
	s_waitcnt vmcnt(0)
	v_sub_f32_e32 v1, v57, v1
	buffer_store_dword v2, off, s[0:3], 0 offset:344
	buffer_store_dword v1, off, s[0:3], 0 offset:348
	s_and_saveexec_b64 s[4:5], vcc
	s_cbranch_execz .LBB59_289
; %bb.288:
	buffer_load_dword v1, off, s[0:3], 0 offset:336
	buffer_load_dword v2, off, s[0:3], 0 offset:340
	v_mov_b32_e32 v3, 0
	buffer_store_dword v3, off, s[0:3], 0 offset:336
	buffer_store_dword v3, off, s[0:3], 0 offset:340
	s_waitcnt vmcnt(2)
	ds_write_b64 v145, v[1:2]
.LBB59_289:
	s_or_b64 exec, exec, s[4:5]
	s_waitcnt lgkmcnt(0)
	; wave barrier
	buffer_load_dword v24, off, s[0:3], 0 offset:348
	buffer_load_dword v27, off, s[0:3], 0 offset:356
	;; [unrolled: 1-line block ×36, first 2 shown]
	v_mov_b32_e32 v1, 0
	ds_read2_b64 v[2:5], v1 offset0:103 offset1:104
	ds_read2_b64 v[6:9], v1 offset0:105 offset1:106
	;; [unrolled: 1-line block ×8, first 2 shown]
	ds_read_b64 v[22:23], v1 offset:952
	v_cmp_lt_u32_e32 vcc, 41, v0
	s_waitcnt vmcnt(35) lgkmcnt(8)
	v_mul_f32_e32 v62, v2, v24
	s_waitcnt vmcnt(34)
	v_mul_f32_e32 v63, v4, v27
	s_waitcnt vmcnt(33) lgkmcnt(7)
	v_mul_f32_e32 v64, v6, v28
	s_waitcnt vmcnt(32)
	v_mul_f32_e32 v65, v8, v29
	;; [unrolled: 4-line block ×8, first 2 shown]
	s_waitcnt vmcnt(19) lgkmcnt(0)
	v_mul_f32_e32 v169, v22, v42
	s_waitcnt vmcnt(18)
	v_fmac_f32_e32 v62, v3, v43
	v_mul_f32_e32 v3, v3, v24
	v_fma_f32 v2, v2, v43, -v3
	v_mul_f32_e32 v3, v5, v27
	v_add_f32_e32 v2, 0, v2
	s_waitcnt vmcnt(17)
	v_fma_f32 v3, v4, v44, -v3
	v_add_f32_e32 v2, v2, v3
	v_mul_f32_e32 v3, v7, v28
	s_waitcnt vmcnt(16)
	v_fma_f32 v3, v6, v45, -v3
	v_add_f32_e32 v2, v2, v3
	v_mul_f32_e32 v3, v9, v29
	;; [unrolled: 4-line block ×8, first 2 shown]
	v_fmac_f32_e32 v63, v5, v44
	v_add_f32_e32 v62, 0, v62
	s_waitcnt vmcnt(9)
	v_fma_f32 v3, v20, v52, -v3
	v_fmac_f32_e32 v64, v7, v45
	v_add_f32_e32 v62, v62, v63
	v_add_f32_e32 v2, v2, v3
	v_mul_f32_e32 v3, v147, v36
	v_fmac_f32_e32 v65, v9, v46
	v_add_f32_e32 v62, v62, v64
	s_waitcnt vmcnt(8)
	v_fma_f32 v3, v146, v53, -v3
	v_fmac_f32_e32 v66, v11, v47
	v_add_f32_e32 v62, v62, v65
	v_add_f32_e32 v2, v2, v3
	v_mul_f32_e32 v3, v149, v37
	;; [unrolled: 8-line block ×7, first 2 shown]
	v_fmac_f32_e32 v168, v157, v58
	v_add_f32_e32 v62, v62, v167
	s_waitcnt vmcnt(2)
	v_fma_f32 v3, v22, v59, -v3
	v_fmac_f32_e32 v169, v23, v59
	v_add_f32_e32 v62, v62, v168
	v_add_f32_e32 v2, v2, v3
	;; [unrolled: 1-line block ×3, first 2 shown]
	s_waitcnt vmcnt(1)
	v_sub_f32_e32 v2, v60, v2
	s_waitcnt vmcnt(0)
	v_sub_f32_e32 v3, v61, v62
	buffer_store_dword v2, off, s[0:3], 0 offset:336
	buffer_store_dword v3, off, s[0:3], 0 offset:340
	s_and_saveexec_b64 s[4:5], vcc
	s_cbranch_execz .LBB59_291
; %bb.290:
	buffer_load_dword v2, off, s[0:3], 0 offset:328
	buffer_load_dword v3, off, s[0:3], 0 offset:332
	s_waitcnt vmcnt(0)
	ds_write_b64 v145, v[2:3]
	buffer_store_dword v1, off, s[0:3], 0 offset:328
	buffer_store_dword v1, off, s[0:3], 0 offset:332
.LBB59_291:
	s_or_b64 exec, exec, s[4:5]
	s_waitcnt lgkmcnt(0)
	; wave barrier
	buffer_load_dword v22, off, s[0:3], 0 offset:340
	buffer_load_dword v23, off, s[0:3], 0 offset:348
	buffer_load_dword v24, off, s[0:3], 0 offset:356
	buffer_load_dword v27, off, s[0:3], 0 offset:364
	buffer_load_dword v28, off, s[0:3], 0 offset:372
	buffer_load_dword v29, off, s[0:3], 0 offset:380
	buffer_load_dword v30, off, s[0:3], 0 offset:388
	buffer_load_dword v31, off, s[0:3], 0 offset:396
	buffer_load_dword v32, off, s[0:3], 0 offset:404
	buffer_load_dword v33, off, s[0:3], 0 offset:412
	buffer_load_dword v34, off, s[0:3], 0 offset:420
	buffer_load_dword v35, off, s[0:3], 0 offset:428
	buffer_load_dword v36, off, s[0:3], 0 offset:436
	buffer_load_dword v37, off, s[0:3], 0 offset:444
	buffer_load_dword v38, off, s[0:3], 0 offset:452
	buffer_load_dword v39, off, s[0:3], 0 offset:460
	buffer_load_dword v40, off, s[0:3], 0 offset:468
	buffer_load_dword v41, off, s[0:3], 0 offset:336
	buffer_load_dword v42, off, s[0:3], 0 offset:344
	buffer_load_dword v43, off, s[0:3], 0 offset:352
	buffer_load_dword v44, off, s[0:3], 0 offset:360
	buffer_load_dword v45, off, s[0:3], 0 offset:368
	buffer_load_dword v46, off, s[0:3], 0 offset:376
	buffer_load_dword v47, off, s[0:3], 0 offset:384
	buffer_load_dword v48, off, s[0:3], 0 offset:392
	buffer_load_dword v49, off, s[0:3], 0 offset:400
	buffer_load_dword v50, off, s[0:3], 0 offset:408
	buffer_load_dword v51, off, s[0:3], 0 offset:416
	buffer_load_dword v52, off, s[0:3], 0 offset:424
	buffer_load_dword v53, off, s[0:3], 0 offset:432
	buffer_load_dword v54, off, s[0:3], 0 offset:440
	buffer_load_dword v55, off, s[0:3], 0 offset:448
	buffer_load_dword v56, off, s[0:3], 0 offset:456
	buffer_load_dword v57, off, s[0:3], 0 offset:464
	buffer_load_dword v58, off, s[0:3], 0 offset:476
	buffer_load_dword v59, off, s[0:3], 0 offset:472
	buffer_load_dword v60, off, s[0:3], 0 offset:328
	buffer_load_dword v61, off, s[0:3], 0 offset:332
	ds_read_b128 v[2:5], v1 offset:816
	ds_read_b128 v[6:9], v1 offset:832
	;; [unrolled: 1-line block ×9, first 2 shown]
	v_cmp_lt_u32_e32 vcc, 40, v0
	s_waitcnt vmcnt(37) lgkmcnt(8)
	v_mul_f32_e32 v1, v2, v22
	s_waitcnt vmcnt(36)
	v_mul_f32_e32 v62, v4, v23
	s_waitcnt vmcnt(35) lgkmcnt(7)
	v_mul_f32_e32 v63, v6, v24
	s_waitcnt vmcnt(34)
	v_mul_f32_e32 v64, v8, v27
	;; [unrolled: 4-line block ×8, first 2 shown]
	s_waitcnt vmcnt(21) lgkmcnt(0)
	v_mul_f32_e32 v172, v158, v40
	s_waitcnt vmcnt(20)
	v_fmac_f32_e32 v1, v3, v41
	v_mul_f32_e32 v3, v3, v22
	v_fma_f32 v2, v2, v41, -v3
	v_mul_f32_e32 v3, v5, v23
	v_add_f32_e32 v2, 0, v2
	s_waitcnt vmcnt(19)
	v_fma_f32 v3, v4, v42, -v3
	v_add_f32_e32 v2, v2, v3
	v_mul_f32_e32 v3, v7, v24
	s_waitcnt vmcnt(18)
	v_fma_f32 v3, v6, v43, -v3
	v_add_f32_e32 v2, v2, v3
	v_mul_f32_e32 v3, v9, v27
	;; [unrolled: 4-line block ×8, first 2 shown]
	s_waitcnt vmcnt(11)
	v_fma_f32 v3, v20, v50, -v3
	v_fmac_f32_e32 v62, v5, v42
	v_add_f32_e32 v1, 0, v1
	v_add_f32_e32 v2, v2, v3
	v_mul_f32_e32 v3, v147, v34
	v_fmac_f32_e32 v63, v7, v43
	v_add_f32_e32 v1, v1, v62
	s_waitcnt vmcnt(10)
	v_fma_f32 v3, v146, v51, -v3
	v_fmac_f32_e32 v64, v9, v44
	v_add_f32_e32 v1, v1, v63
	v_add_f32_e32 v2, v2, v3
	v_mul_f32_e32 v3, v149, v35
	v_fmac_f32_e32 v65, v11, v45
	v_add_f32_e32 v1, v1, v64
	;; [unrolled: 8-line block ×7, first 2 shown]
	s_waitcnt vmcnt(4)
	v_fma_f32 v3, v158, v57, -v3
	v_fmac_f32_e32 v171, v157, v56
	v_add_f32_e32 v1, v1, v170
	v_add_f32_e32 v2, v2, v3
	s_waitcnt vmcnt(3)
	v_mul_f32_e32 v3, v161, v58
	v_add_f32_e32 v1, v1, v171
	v_fmac_f32_e32 v172, v159, v57
	v_mul_f32_e32 v62, v160, v58
	s_waitcnt vmcnt(2)
	v_fma_f32 v3, v160, v59, -v3
	v_add_f32_e32 v1, v1, v172
	v_fmac_f32_e32 v62, v161, v59
	v_add_f32_e32 v2, v2, v3
	v_add_f32_e32 v1, v1, v62
	s_waitcnt vmcnt(1)
	v_sub_f32_e32 v2, v60, v2
	s_waitcnt vmcnt(0)
	v_sub_f32_e32 v1, v61, v1
	buffer_store_dword v2, off, s[0:3], 0 offset:328
	buffer_store_dword v1, off, s[0:3], 0 offset:332
	s_and_saveexec_b64 s[4:5], vcc
	s_cbranch_execz .LBB59_293
; %bb.292:
	buffer_load_dword v1, off, s[0:3], 0 offset:320
	buffer_load_dword v2, off, s[0:3], 0 offset:324
	v_mov_b32_e32 v3, 0
	buffer_store_dword v3, off, s[0:3], 0 offset:320
	buffer_store_dword v3, off, s[0:3], 0 offset:324
	s_waitcnt vmcnt(2)
	ds_write_b64 v145, v[1:2]
.LBB59_293:
	s_or_b64 exec, exec, s[4:5]
	s_waitcnt lgkmcnt(0)
	; wave barrier
	buffer_load_dword v24, off, s[0:3], 0 offset:332
	buffer_load_dword v27, off, s[0:3], 0 offset:340
	;; [unrolled: 1-line block ×40, first 2 shown]
	v_mov_b32_e32 v1, 0
	ds_read2_b64 v[2:5], v1 offset0:101 offset1:102
	ds_read2_b64 v[6:9], v1 offset0:103 offset1:104
	;; [unrolled: 1-line block ×9, first 2 shown]
	v_cmp_lt_u32_e32 vcc, 39, v0
	s_waitcnt vmcnt(39) lgkmcnt(8)
	v_mul_f32_e32 v22, v2, v24
	s_waitcnt vmcnt(38)
	v_mul_f32_e32 v23, v4, v27
	s_waitcnt vmcnt(37) lgkmcnt(7)
	v_mul_f32_e32 v66, v6, v28
	s_waitcnt vmcnt(36)
	v_mul_f32_e32 v162, v8, v29
	;; [unrolled: 4-line block ×7, first 2 shown]
	s_waitcnt vmcnt(25) lgkmcnt(1)
	v_mul_f32_e32 v173, v154, v40
	s_waitcnt vmcnt(24)
	v_fmac_f32_e32 v22, v3, v41
	v_mul_f32_e32 v3, v3, v24
	v_fma_f32 v2, v2, v41, -v3
	v_mul_f32_e32 v3, v5, v27
	v_add_f32_e32 v2, 0, v2
	s_waitcnt vmcnt(23)
	v_fma_f32 v3, v4, v42, -v3
	v_add_f32_e32 v2, v2, v3
	v_mul_f32_e32 v3, v7, v28
	s_waitcnt vmcnt(22)
	v_fma_f32 v3, v6, v43, -v3
	v_add_f32_e32 v2, v2, v3
	v_mul_f32_e32 v3, v9, v29
	;; [unrolled: 4-line block ×6, first 2 shown]
	s_waitcnt vmcnt(17)
	v_fma_f32 v3, v16, v48, -v3
	v_fmac_f32_e32 v23, v5, v42
	v_add_f32_e32 v22, 0, v22
	v_add_f32_e32 v2, v2, v3
	v_mul_f32_e32 v3, v19, v34
	v_fmac_f32_e32 v66, v7, v43
	v_add_f32_e32 v22, v22, v23
	s_waitcnt vmcnt(16)
	v_fma_f32 v3, v18, v49, -v3
	v_fmac_f32_e32 v162, v9, v44
	v_add_f32_e32 v22, v22, v66
	v_add_f32_e32 v2, v2, v3
	v_mul_f32_e32 v3, v21, v35
	v_fmac_f32_e32 v163, v11, v45
	v_add_f32_e32 v22, v22, v162
	;; [unrolled: 8-line block ×6, first 2 shown]
	s_waitcnt vmcnt(11)
	v_fma_f32 v3, v152, v54, -v3
	v_fmac_f32_e32 v172, v153, v54
	v_add_f32_e32 v22, v22, v171
	v_add_f32_e32 v2, v2, v3
	v_mul_f32_e32 v3, v155, v40
	s_waitcnt vmcnt(10)
	v_fmac_f32_e32 v173, v155, v55
	v_add_f32_e32 v22, v22, v172
	s_waitcnt vmcnt(9)
	v_mul_f32_e32 v23, v156, v56
	v_fma_f32 v3, v154, v55, -v3
	v_add_f32_e32 v22, v22, v173
	s_waitcnt vmcnt(8)
	v_fmac_f32_e32 v23, v157, v57
	v_add_f32_e32 v2, v2, v3
	v_mul_f32_e32 v3, v157, v56
	v_add_f32_e32 v66, v22, v23
	ds_read_b64 v[22:23], v1 offset:952
	v_fma_f32 v3, v156, v57, -v3
	v_add_f32_e32 v2, v2, v3
	s_waitcnt vmcnt(7) lgkmcnt(1)
	v_mul_f32_e32 v3, v159, v58
	v_mul_f32_e32 v162, v158, v58
	s_waitcnt vmcnt(6)
	v_fma_f32 v3, v158, v59, -v3
	v_fmac_f32_e32 v162, v159, v59
	v_add_f32_e32 v2, v2, v3
	s_waitcnt vmcnt(5)
	v_mul_f32_e32 v3, v161, v60
	v_add_f32_e32 v66, v66, v162
	v_mul_f32_e32 v162, v160, v60
	s_waitcnt vmcnt(4)
	v_fma_f32 v3, v160, v61, -v3
	v_fmac_f32_e32 v162, v161, v61
	v_add_f32_e32 v2, v2, v3
	s_waitcnt vmcnt(3) lgkmcnt(0)
	v_mul_f32_e32 v3, v23, v62
	v_add_f32_e32 v66, v66, v162
	v_mul_f32_e32 v162, v22, v62
	s_waitcnt vmcnt(2)
	v_fma_f32 v3, v22, v63, -v3
	v_fmac_f32_e32 v162, v23, v63
	v_add_f32_e32 v2, v2, v3
	v_add_f32_e32 v66, v66, v162
	s_waitcnt vmcnt(1)
	v_sub_f32_e32 v2, v64, v2
	s_waitcnt vmcnt(0)
	v_sub_f32_e32 v3, v65, v66
	buffer_store_dword v2, off, s[0:3], 0 offset:320
	buffer_store_dword v3, off, s[0:3], 0 offset:324
	s_and_saveexec_b64 s[4:5], vcc
	s_cbranch_execz .LBB59_295
; %bb.294:
	buffer_load_dword v2, off, s[0:3], 0 offset:312
	buffer_load_dword v3, off, s[0:3], 0 offset:316
	s_waitcnt vmcnt(0)
	ds_write_b64 v145, v[2:3]
	buffer_store_dword v1, off, s[0:3], 0 offset:312
	buffer_store_dword v1, off, s[0:3], 0 offset:316
.LBB59_295:
	s_or_b64 exec, exec, s[4:5]
	s_waitcnt lgkmcnt(0)
	; wave barrier
	buffer_load_dword v22, off, s[0:3], 0 offset:324
	buffer_load_dword v23, off, s[0:3], 0 offset:332
	buffer_load_dword v24, off, s[0:3], 0 offset:340
	buffer_load_dword v27, off, s[0:3], 0 offset:348
	buffer_load_dword v28, off, s[0:3], 0 offset:356
	buffer_load_dword v29, off, s[0:3], 0 offset:364
	buffer_load_dword v30, off, s[0:3], 0 offset:372
	buffer_load_dword v31, off, s[0:3], 0 offset:380
	buffer_load_dword v32, off, s[0:3], 0 offset:388
	buffer_load_dword v33, off, s[0:3], 0 offset:396
	buffer_load_dword v34, off, s[0:3], 0 offset:404
	buffer_load_dword v35, off, s[0:3], 0 offset:412
	buffer_load_dword v36, off, s[0:3], 0 offset:420
	buffer_load_dword v37, off, s[0:3], 0 offset:428
	buffer_load_dword v38, off, s[0:3], 0 offset:436
	buffer_load_dword v39, off, s[0:3], 0 offset:320
	buffer_load_dword v40, off, s[0:3], 0 offset:328
	buffer_load_dword v41, off, s[0:3], 0 offset:336
	buffer_load_dword v42, off, s[0:3], 0 offset:344
	buffer_load_dword v43, off, s[0:3], 0 offset:352
	buffer_load_dword v44, off, s[0:3], 0 offset:360
	buffer_load_dword v45, off, s[0:3], 0 offset:368
	buffer_load_dword v46, off, s[0:3], 0 offset:376
	buffer_load_dword v47, off, s[0:3], 0 offset:384
	buffer_load_dword v48, off, s[0:3], 0 offset:392
	buffer_load_dword v49, off, s[0:3], 0 offset:400
	buffer_load_dword v50, off, s[0:3], 0 offset:408
	buffer_load_dword v51, off, s[0:3], 0 offset:416
	buffer_load_dword v52, off, s[0:3], 0 offset:424
	buffer_load_dword v53, off, s[0:3], 0 offset:432
	buffer_load_dword v54, off, s[0:3], 0 offset:444
	buffer_load_dword v55, off, s[0:3], 0 offset:440
	buffer_load_dword v56, off, s[0:3], 0 offset:452
	buffer_load_dword v57, off, s[0:3], 0 offset:448
	buffer_load_dword v58, off, s[0:3], 0 offset:460
	buffer_load_dword v59, off, s[0:3], 0 offset:456
	buffer_load_dword v60, off, s[0:3], 0 offset:468
	buffer_load_dword v61, off, s[0:3], 0 offset:464
	buffer_load_dword v62, off, s[0:3], 0 offset:476
	buffer_load_dword v63, off, s[0:3], 0 offset:472
	buffer_load_dword v64, off, s[0:3], 0 offset:312
	buffer_load_dword v65, off, s[0:3], 0 offset:316
	ds_read_b128 v[2:5], v1 offset:800
	ds_read_b128 v[6:9], v1 offset:816
	;; [unrolled: 1-line block ×8, first 2 shown]
	v_cmp_lt_u32_e32 vcc, 38, v0
	s_waitcnt vmcnt(41) lgkmcnt(7)
	v_mul_f32_e32 v66, v2, v22
	s_waitcnt vmcnt(40)
	v_mul_f32_e32 v158, v4, v23
	s_waitcnt vmcnt(39) lgkmcnt(6)
	v_mul_f32_e32 v159, v6, v24
	s_waitcnt vmcnt(38)
	v_mul_f32_e32 v160, v8, v27
	;; [unrolled: 4-line block ×7, first 2 shown]
	s_waitcnt vmcnt(27) lgkmcnt(0)
	v_mul_f32_e32 v171, v154, v38
	s_waitcnt vmcnt(26)
	v_fmac_f32_e32 v66, v3, v39
	v_mul_f32_e32 v3, v3, v22
	v_fma_f32 v2, v2, v39, -v3
	v_mul_f32_e32 v3, v5, v23
	v_add_f32_e32 v2, 0, v2
	s_waitcnt vmcnt(25)
	v_fma_f32 v3, v4, v40, -v3
	v_add_f32_e32 v2, v2, v3
	v_mul_f32_e32 v3, v7, v24
	s_waitcnt vmcnt(24)
	v_fma_f32 v3, v6, v41, -v3
	v_add_f32_e32 v2, v2, v3
	v_mul_f32_e32 v3, v9, v27
	;; [unrolled: 4-line block ×6, first 2 shown]
	s_waitcnt vmcnt(19)
	v_fma_f32 v3, v16, v46, -v3
	v_fmac_f32_e32 v158, v5, v40
	v_add_f32_e32 v66, 0, v66
	v_add_f32_e32 v2, v2, v3
	v_mul_f32_e32 v3, v19, v32
	v_fmac_f32_e32 v159, v7, v41
	v_add_f32_e32 v66, v66, v158
	s_waitcnt vmcnt(18)
	v_fma_f32 v3, v18, v47, -v3
	v_fmac_f32_e32 v160, v9, v42
	v_add_f32_e32 v66, v66, v159
	v_add_f32_e32 v2, v2, v3
	v_mul_f32_e32 v3, v21, v33
	v_fmac_f32_e32 v161, v11, v43
	v_add_f32_e32 v66, v66, v160
	;; [unrolled: 8-line block ×6, first 2 shown]
	ds_read_b128 v[158:161], v1 offset:928
	s_waitcnt vmcnt(13)
	v_fma_f32 v3, v152, v52, -v3
	v_fmac_f32_e32 v170, v153, v52
	v_add_f32_e32 v66, v66, v169
	v_add_f32_e32 v2, v2, v3
	v_mul_f32_e32 v3, v155, v38
	s_waitcnt vmcnt(12)
	v_fmac_f32_e32 v171, v155, v53
	v_add_f32_e32 v66, v66, v170
	s_waitcnt vmcnt(11)
	v_mul_f32_e32 v162, v156, v54
	v_fma_f32 v3, v154, v53, -v3
	v_add_f32_e32 v66, v66, v171
	s_waitcnt vmcnt(10)
	v_fmac_f32_e32 v162, v157, v55
	v_add_f32_e32 v2, v2, v3
	v_mul_f32_e32 v3, v157, v54
	v_add_f32_e32 v66, v66, v162
	ds_read_b128 v[162:165], v1 offset:944
	v_fma_f32 v3, v156, v55, -v3
	v_add_f32_e32 v2, v2, v3
	s_waitcnt vmcnt(9) lgkmcnt(1)
	v_mul_f32_e32 v3, v159, v56
	v_mul_f32_e32 v1, v158, v56
	s_waitcnt vmcnt(8)
	v_fma_f32 v3, v158, v57, -v3
	v_fmac_f32_e32 v1, v159, v57
	v_add_f32_e32 v2, v2, v3
	s_waitcnt vmcnt(7)
	v_mul_f32_e32 v3, v161, v58
	v_add_f32_e32 v1, v66, v1
	v_mul_f32_e32 v66, v160, v58
	s_waitcnt vmcnt(6)
	v_fma_f32 v3, v160, v59, -v3
	v_fmac_f32_e32 v66, v161, v59
	v_add_f32_e32 v2, v2, v3
	s_waitcnt vmcnt(5) lgkmcnt(0)
	v_mul_f32_e32 v3, v163, v60
	v_add_f32_e32 v1, v1, v66
	v_mul_f32_e32 v66, v162, v60
	s_waitcnt vmcnt(4)
	v_fma_f32 v3, v162, v61, -v3
	v_fmac_f32_e32 v66, v163, v61
	v_add_f32_e32 v2, v2, v3
	s_waitcnt vmcnt(3)
	v_mul_f32_e32 v3, v165, v62
	v_add_f32_e32 v1, v1, v66
	v_mul_f32_e32 v66, v164, v62
	s_waitcnt vmcnt(2)
	v_fma_f32 v3, v164, v63, -v3
	v_fmac_f32_e32 v66, v165, v63
	v_add_f32_e32 v2, v2, v3
	v_add_f32_e32 v1, v1, v66
	s_waitcnt vmcnt(1)
	v_sub_f32_e32 v2, v64, v2
	s_waitcnt vmcnt(0)
	v_sub_f32_e32 v1, v65, v1
	buffer_store_dword v2, off, s[0:3], 0 offset:312
	buffer_store_dword v1, off, s[0:3], 0 offset:316
	s_and_saveexec_b64 s[4:5], vcc
	s_cbranch_execz .LBB59_297
; %bb.296:
	buffer_load_dword v1, off, s[0:3], 0 offset:304
	buffer_load_dword v2, off, s[0:3], 0 offset:308
	v_mov_b32_e32 v3, 0
	buffer_store_dword v3, off, s[0:3], 0 offset:304
	buffer_store_dword v3, off, s[0:3], 0 offset:308
	s_waitcnt vmcnt(2)
	ds_write_b64 v145, v[1:2]
.LBB59_297:
	s_or_b64 exec, exec, s[4:5]
	s_waitcnt lgkmcnt(0)
	; wave barrier
	buffer_load_dword v24, off, s[0:3], 0 offset:316
	buffer_load_dword v27, off, s[0:3], 0 offset:324
	;; [unrolled: 1-line block ×44, first 2 shown]
	v_mov_b32_e32 v1, 0
	ds_read2_b64 v[2:5], v1 offset0:99 offset1:100
	ds_read2_b64 v[6:9], v1 offset0:101 offset1:102
	;; [unrolled: 1-line block ×8, first 2 shown]
	v_cmp_lt_u32_e32 vcc, 37, v0
	s_waitcnt vmcnt(43) lgkmcnt(7)
	v_mul_f32_e32 v22, v2, v24
	s_waitcnt vmcnt(42)
	v_mul_f32_e32 v23, v4, v27
	s_waitcnt vmcnt(41) lgkmcnt(6)
	v_mul_f32_e32 v158, v6, v28
	s_waitcnt vmcnt(40)
	v_mul_f32_e32 v159, v8, v29
	;; [unrolled: 4-line block ×7, first 2 shown]
	s_waitcnt vmcnt(29)
	v_fmac_f32_e32 v22, v3, v40
	v_mul_f32_e32 v3, v3, v24
	v_fma_f32 v2, v2, v40, -v3
	v_mul_f32_e32 v3, v5, v27
	v_add_f32_e32 v2, 0, v2
	s_waitcnt vmcnt(28)
	v_fma_f32 v3, v4, v41, -v3
	v_add_f32_e32 v2, v2, v3
	v_mul_f32_e32 v3, v7, v28
	s_waitcnt vmcnt(27)
	v_fma_f32 v3, v6, v42, -v3
	v_add_f32_e32 v2, v2, v3
	v_mul_f32_e32 v3, v9, v29
	;; [unrolled: 4-line block ×6, first 2 shown]
	v_fmac_f32_e32 v23, v5, v41
	v_add_f32_e32 v22, 0, v22
	s_waitcnt vmcnt(22)
	v_fma_f32 v3, v16, v47, -v3
	v_fmac_f32_e32 v158, v7, v42
	v_add_f32_e32 v22, v22, v23
	v_add_f32_e32 v2, v2, v3
	v_mul_f32_e32 v3, v19, v34
	v_fmac_f32_e32 v159, v9, v43
	v_add_f32_e32 v22, v22, v158
	s_waitcnt vmcnt(21)
	v_fma_f32 v3, v18, v48, -v3
	v_fmac_f32_e32 v160, v11, v44
	v_add_f32_e32 v22, v22, v159
	v_add_f32_e32 v2, v2, v3
	v_mul_f32_e32 v3, v21, v35
	;; [unrolled: 8-line block ×5, first 2 shown]
	v_fmac_f32_e32 v170, v149, v51
	v_add_f32_e32 v22, v22, v169
	s_waitcnt vmcnt(17)
	v_fma_f32 v3, v150, v52, -v3
	v_fmac_f32_e32 v171, v151, v52
	v_add_f32_e32 v22, v22, v170
	ds_read2_b64 v[158:161], v1 offset0:115 offset1:116
	ds_read2_b64 v[162:165], v1 offset0:117 offset1:118
	v_add_f32_e32 v2, v2, v3
	v_mul_f32_e32 v3, v153, v39
	v_add_f32_e32 v22, v22, v171
	s_waitcnt vmcnt(16)
	v_fmac_f32_e32 v172, v153, v53
	s_waitcnt vmcnt(15) lgkmcnt(2)
	v_mul_f32_e32 v23, v154, v54
	v_fma_f32 v3, v152, v53, -v3
	v_add_f32_e32 v22, v22, v172
	s_waitcnt vmcnt(14)
	v_fmac_f32_e32 v23, v155, v55
	v_add_f32_e32 v2, v2, v3
	v_mul_f32_e32 v3, v155, v54
	v_add_f32_e32 v22, v22, v23
	s_waitcnt vmcnt(13)
	v_mul_f32_e32 v23, v156, v56
	v_fma_f32 v3, v154, v55, -v3
	s_waitcnt vmcnt(12)
	v_fmac_f32_e32 v23, v157, v57
	v_add_f32_e32 v2, v2, v3
	v_mul_f32_e32 v3, v157, v56
	v_add_f32_e32 v22, v22, v23
	s_waitcnt vmcnt(11) lgkmcnt(1)
	v_mul_f32_e32 v23, v158, v58
	v_fma_f32 v3, v156, v57, -v3
	s_waitcnt vmcnt(10)
	v_fmac_f32_e32 v23, v159, v59
	v_add_f32_e32 v2, v2, v3
	v_mul_f32_e32 v3, v159, v58
	v_add_f32_e32 v22, v22, v23
	s_waitcnt vmcnt(9)
	v_mul_f32_e32 v23, v160, v60
	v_fma_f32 v3, v158, v59, -v3
	s_waitcnt vmcnt(8)
	v_fmac_f32_e32 v23, v161, v61
	v_add_f32_e32 v2, v2, v3
	v_mul_f32_e32 v3, v161, v60
	v_add_f32_e32 v169, v22, v23
	ds_read_b64 v[22:23], v1 offset:952
	v_fma_f32 v3, v160, v61, -v3
	v_add_f32_e32 v2, v2, v3
	s_waitcnt vmcnt(7) lgkmcnt(1)
	v_mul_f32_e32 v3, v163, v62
	v_mul_f32_e32 v170, v162, v62
	s_waitcnt vmcnt(6)
	v_fma_f32 v3, v162, v63, -v3
	v_fmac_f32_e32 v170, v163, v63
	v_add_f32_e32 v2, v2, v3
	s_waitcnt vmcnt(5)
	v_mul_f32_e32 v3, v165, v64
	v_add_f32_e32 v169, v169, v170
	v_mul_f32_e32 v170, v164, v64
	s_waitcnt vmcnt(4)
	v_fma_f32 v3, v164, v65, -v3
	v_fmac_f32_e32 v170, v165, v65
	v_add_f32_e32 v2, v2, v3
	s_waitcnt vmcnt(3) lgkmcnt(0)
	v_mul_f32_e32 v3, v23, v66
	v_add_f32_e32 v169, v169, v170
	v_mul_f32_e32 v170, v22, v66
	s_waitcnt vmcnt(2)
	v_fma_f32 v3, v22, v166, -v3
	v_fmac_f32_e32 v170, v23, v166
	v_add_f32_e32 v2, v2, v3
	v_add_f32_e32 v169, v169, v170
	s_waitcnt vmcnt(1)
	v_sub_f32_e32 v2, v167, v2
	s_waitcnt vmcnt(0)
	v_sub_f32_e32 v3, v168, v169
	buffer_store_dword v2, off, s[0:3], 0 offset:304
	buffer_store_dword v3, off, s[0:3], 0 offset:308
	s_and_saveexec_b64 s[4:5], vcc
	s_cbranch_execz .LBB59_299
; %bb.298:
	buffer_load_dword v2, off, s[0:3], 0 offset:296
	buffer_load_dword v3, off, s[0:3], 0 offset:300
	s_waitcnt vmcnt(0)
	ds_write_b64 v145, v[2:3]
	buffer_store_dword v1, off, s[0:3], 0 offset:296
	buffer_store_dword v1, off, s[0:3], 0 offset:300
.LBB59_299:
	s_or_b64 exec, exec, s[4:5]
	s_waitcnt lgkmcnt(0)
	; wave barrier
	buffer_load_dword v22, off, s[0:3], 0 offset:308
	buffer_load_dword v23, off, s[0:3], 0 offset:316
	;; [unrolled: 1-line block ×46, first 2 shown]
	ds_read_b128 v[2:5], v1 offset:784
	ds_read_b128 v[6:9], v1 offset:800
	;; [unrolled: 1-line block ×8, first 2 shown]
	v_cmp_lt_u32_e32 vcc, 36, v0
	s_waitcnt vmcnt(45) lgkmcnt(7)
	v_mul_f32_e32 v158, v2, v22
	s_waitcnt vmcnt(44)
	v_mul_f32_e32 v159, v4, v23
	s_waitcnt vmcnt(43) lgkmcnt(6)
	v_mul_f32_e32 v160, v6, v24
	s_waitcnt vmcnt(42)
	v_mul_f32_e32 v161, v8, v27
	;; [unrolled: 4-line block ×6, first 2 shown]
	s_waitcnt vmcnt(33) lgkmcnt(1)
	v_mul_f32_e32 v173, v150, v36
	s_waitcnt vmcnt(32)
	v_fmac_f32_e32 v158, v3, v37
	v_mul_f32_e32 v3, v3, v22
	v_fma_f32 v2, v2, v37, -v3
	v_mul_f32_e32 v3, v5, v23
	v_add_f32_e32 v2, 0, v2
	s_waitcnt vmcnt(31)
	v_fma_f32 v3, v4, v38, -v3
	v_add_f32_e32 v2, v2, v3
	v_mul_f32_e32 v3, v7, v24
	s_waitcnt vmcnt(30)
	v_fma_f32 v3, v6, v39, -v3
	v_add_f32_e32 v2, v2, v3
	v_mul_f32_e32 v3, v9, v27
	;; [unrolled: 4-line block ×4, first 2 shown]
	v_fmac_f32_e32 v159, v5, v38
	v_add_f32_e32 v158, 0, v158
	s_waitcnt vmcnt(27)
	v_fma_f32 v3, v12, v42, -v3
	v_fmac_f32_e32 v160, v7, v39
	v_add_f32_e32 v158, v158, v159
	v_add_f32_e32 v2, v2, v3
	v_mul_f32_e32 v3, v15, v30
	v_fmac_f32_e32 v161, v9, v40
	v_add_f32_e32 v158, v158, v160
	s_waitcnt vmcnt(26)
	v_fma_f32 v3, v14, v43, -v3
	v_fmac_f32_e32 v162, v11, v41
	v_add_f32_e32 v158, v158, v161
	v_add_f32_e32 v2, v2, v3
	v_mul_f32_e32 v3, v17, v31
	;; [unrolled: 8-line block ×4, first 2 shown]
	s_waitcnt vmcnt(23)
	v_fmac_f32_e32 v167, v21, v46
	v_add_f32_e32 v158, v158, v166
	v_fma_f32 v3, v20, v46, -v3
	s_waitcnt vmcnt(22)
	v_fmac_f32_e32 v168, v147, v47
	v_add_f32_e32 v158, v158, v167
	v_add_f32_e32 v2, v2, v3
	v_mul_f32_e32 v3, v147, v34
	s_waitcnt vmcnt(21)
	v_fmac_f32_e32 v169, v149, v48
	v_add_f32_e32 v158, v158, v168
	v_fma_f32 v3, v146, v47, -v3
	s_waitcnt vmcnt(20)
	v_fmac_f32_e32 v173, v151, v49
	v_add_f32_e32 v158, v158, v169
	s_waitcnt vmcnt(19)
	v_mul_f32_e32 v159, v152, v50
	v_add_f32_e32 v2, v2, v3
	v_mul_f32_e32 v3, v149, v35
	v_add_f32_e32 v158, v158, v173
	s_waitcnt vmcnt(18)
	v_fmac_f32_e32 v159, v153, v51
	v_fma_f32 v3, v148, v48, -v3
	v_add_f32_e32 v158, v158, v159
	s_waitcnt vmcnt(17) lgkmcnt(0)
	v_mul_f32_e32 v159, v154, v52
	v_add_f32_e32 v2, v2, v3
	v_mul_f32_e32 v3, v151, v36
	s_waitcnt vmcnt(16)
	v_fmac_f32_e32 v159, v155, v53
	v_fma_f32 v3, v150, v49, -v3
	v_add_f32_e32 v162, v158, v159
	ds_read_b128 v[158:161], v1 offset:912
	v_add_f32_e32 v2, v2, v3
	v_mul_f32_e32 v3, v153, v50
	v_fma_f32 v3, v152, v51, -v3
	v_add_f32_e32 v2, v2, v3
	v_mul_f32_e32 v3, v155, v52
	s_waitcnt vmcnt(15)
	v_mul_f32_e32 v163, v156, v54
	v_fma_f32 v3, v154, v53, -v3
	s_waitcnt vmcnt(14)
	v_fmac_f32_e32 v163, v157, v55
	v_add_f32_e32 v2, v2, v3
	v_mul_f32_e32 v3, v157, v54
	v_add_f32_e32 v166, v162, v163
	ds_read_b128 v[162:165], v1 offset:928
	s_waitcnt vmcnt(13) lgkmcnt(1)
	v_mul_f32_e32 v167, v158, v56
	v_fma_f32 v3, v156, v55, -v3
	s_waitcnt vmcnt(12)
	v_fmac_f32_e32 v167, v159, v57
	v_add_f32_e32 v2, v2, v3
	v_mul_f32_e32 v3, v159, v56
	v_add_f32_e32 v166, v166, v167
	s_waitcnt vmcnt(11)
	v_mul_f32_e32 v167, v160, v58
	v_fma_f32 v3, v158, v57, -v3
	s_waitcnt vmcnt(10)
	v_fmac_f32_e32 v167, v161, v59
	v_add_f32_e32 v2, v2, v3
	v_mul_f32_e32 v3, v161, v58
	v_add_f32_e32 v173, v166, v167
	ds_read_b128 v[166:169], v1 offset:944
	v_fma_f32 v3, v160, v59, -v3
	v_add_f32_e32 v2, v2, v3
	s_waitcnt vmcnt(9) lgkmcnt(1)
	v_mul_f32_e32 v3, v163, v60
	v_mul_f32_e32 v174, v162, v60
	s_waitcnt vmcnt(8)
	v_fma_f32 v3, v162, v61, -v3
	v_fmac_f32_e32 v174, v163, v61
	v_add_f32_e32 v2, v2, v3
	s_waitcnt vmcnt(7)
	v_mul_f32_e32 v3, v165, v62
	v_add_f32_e32 v1, v173, v174
	v_mul_f32_e32 v173, v164, v62
	s_waitcnt vmcnt(6)
	v_fma_f32 v3, v164, v63, -v3
	v_fmac_f32_e32 v173, v165, v63
	v_add_f32_e32 v2, v2, v3
	s_waitcnt vmcnt(5) lgkmcnt(0)
	v_mul_f32_e32 v3, v167, v64
	v_add_f32_e32 v1, v1, v173
	v_mul_f32_e32 v173, v166, v64
	s_waitcnt vmcnt(4)
	v_fma_f32 v3, v166, v65, -v3
	v_fmac_f32_e32 v173, v167, v65
	v_add_f32_e32 v2, v2, v3
	s_waitcnt vmcnt(3)
	v_mul_f32_e32 v3, v169, v66
	v_add_f32_e32 v1, v1, v173
	v_mul_f32_e32 v173, v168, v66
	s_waitcnt vmcnt(2)
	v_fma_f32 v3, v168, v170, -v3
	v_fmac_f32_e32 v173, v169, v170
	v_add_f32_e32 v2, v2, v3
	v_add_f32_e32 v1, v1, v173
	s_waitcnt vmcnt(1)
	v_sub_f32_e32 v2, v171, v2
	s_waitcnt vmcnt(0)
	v_sub_f32_e32 v1, v172, v1
	buffer_store_dword v2, off, s[0:3], 0 offset:296
	buffer_store_dword v1, off, s[0:3], 0 offset:300
	s_and_saveexec_b64 s[4:5], vcc
	s_cbranch_execz .LBB59_301
; %bb.300:
	buffer_load_dword v1, off, s[0:3], 0 offset:288
	buffer_load_dword v2, off, s[0:3], 0 offset:292
	v_mov_b32_e32 v3, 0
	buffer_store_dword v3, off, s[0:3], 0 offset:288
	buffer_store_dword v3, off, s[0:3], 0 offset:292
	s_waitcnt vmcnt(2)
	ds_write_b64 v145, v[1:2]
.LBB59_301:
	s_or_b64 exec, exec, s[4:5]
	s_waitcnt lgkmcnt(0)
	; wave barrier
	buffer_load_dword v24, off, s[0:3], 0 offset:300
	buffer_load_dword v27, off, s[0:3], 0 offset:308
	;; [unrolled: 1-line block ×48, first 2 shown]
	v_mov_b32_e32 v1, 0
	ds_read2_b64 v[2:5], v1 offset0:97 offset1:98
	ds_read2_b64 v[6:9], v1 offset0:99 offset1:100
	;; [unrolled: 1-line block ×7, first 2 shown]
	v_cmp_lt_u32_e32 vcc, 35, v0
	ds_read2_b64 v[166:169], v1 offset0:117 offset1:118
	s_waitcnt vmcnt(47) lgkmcnt(7)
	v_mul_f32_e32 v22, v2, v24
	s_waitcnt vmcnt(46)
	v_mul_f32_e32 v23, v4, v27
	s_waitcnt vmcnt(45) lgkmcnt(6)
	v_mul_f32_e32 v154, v6, v28
	s_waitcnt vmcnt(44)
	v_mul_f32_e32 v155, v8, v29
	s_waitcnt vmcnt(43) lgkmcnt(5)
	v_mul_f32_e32 v156, v10, v30
	s_waitcnt vmcnt(42)
	v_mul_f32_e32 v157, v12, v31
	s_waitcnt vmcnt(41) lgkmcnt(4)
	v_mul_f32_e32 v158, v14, v32
	s_waitcnt vmcnt(40)
	v_mul_f32_e32 v159, v16, v33
	s_waitcnt vmcnt(39) lgkmcnt(3)
	v_mul_f32_e32 v160, v18, v34
	s_waitcnt vmcnt(38)
	v_mul_f32_e32 v161, v20, v35
	s_waitcnt vmcnt(37) lgkmcnt(2)
	v_mul_f32_e32 v162, v146, v36
	s_waitcnt vmcnt(36)
	v_mul_f32_e32 v163, v148, v37
	s_waitcnt vmcnt(35)
	v_fmac_f32_e32 v22, v3, v38
	v_mul_f32_e32 v3, v3, v24
	v_fma_f32 v2, v2, v38, -v3
	v_mul_f32_e32 v3, v5, v27
	v_add_f32_e32 v2, 0, v2
	s_waitcnt vmcnt(34)
	v_fma_f32 v3, v4, v39, -v3
	v_add_f32_e32 v2, v2, v3
	v_mul_f32_e32 v3, v7, v28
	s_waitcnt vmcnt(33)
	v_fma_f32 v3, v6, v40, -v3
	v_add_f32_e32 v2, v2, v3
	v_mul_f32_e32 v3, v9, v29
	;; [unrolled: 4-line block ×5, first 2 shown]
	v_fmac_f32_e32 v23, v5, v39
	v_add_f32_e32 v22, 0, v22
	s_waitcnt vmcnt(29)
	v_fma_f32 v3, v14, v44, -v3
	v_fmac_f32_e32 v154, v7, v40
	v_add_f32_e32 v22, v22, v23
	v_add_f32_e32 v2, v2, v3
	v_mul_f32_e32 v3, v17, v33
	v_fmac_f32_e32 v155, v9, v41
	v_add_f32_e32 v22, v22, v154
	s_waitcnt vmcnt(28)
	v_fma_f32 v3, v16, v45, -v3
	v_fmac_f32_e32 v156, v11, v42
	v_add_f32_e32 v22, v22, v155
	v_add_f32_e32 v2, v2, v3
	v_mul_f32_e32 v3, v19, v34
	;; [unrolled: 8-line block ×4, first 2 shown]
	v_fmac_f32_e32 v161, v21, v47
	v_add_f32_e32 v22, v22, v160
	s_waitcnt vmcnt(25)
	v_fma_f32 v3, v146, v48, -v3
	v_fmac_f32_e32 v162, v147, v48
	v_add_f32_e32 v22, v22, v161
	ds_read2_b64 v[154:157], v1 offset0:111 offset1:112
	ds_read2_b64 v[158:161], v1 offset0:113 offset1:114
	v_add_f32_e32 v2, v2, v3
	v_mul_f32_e32 v3, v149, v37
	s_waitcnt vmcnt(24)
	v_fmac_f32_e32 v163, v149, v49
	v_add_f32_e32 v22, v22, v162
	s_waitcnt vmcnt(23) lgkmcnt(3)
	v_mul_f32_e32 v23, v150, v50
	v_fma_f32 v3, v148, v49, -v3
	v_add_f32_e32 v22, v22, v163
	s_waitcnt vmcnt(22)
	v_fmac_f32_e32 v23, v151, v51
	v_add_f32_e32 v2, v2, v3
	v_mul_f32_e32 v3, v151, v50
	v_add_f32_e32 v22, v22, v23
	s_waitcnt vmcnt(21)
	v_mul_f32_e32 v23, v152, v52
	v_fma_f32 v3, v150, v51, -v3
	s_waitcnt vmcnt(20)
	v_fmac_f32_e32 v23, v153, v53
	v_add_f32_e32 v2, v2, v3
	v_mul_f32_e32 v3, v153, v52
	v_add_f32_e32 v22, v22, v23
	s_waitcnt vmcnt(19) lgkmcnt(1)
	v_mul_f32_e32 v23, v154, v54
	v_fma_f32 v3, v152, v53, -v3
	s_waitcnt vmcnt(18)
	v_fmac_f32_e32 v23, v155, v55
	v_add_f32_e32 v2, v2, v3
	v_mul_f32_e32 v3, v155, v54
	v_add_f32_e32 v22, v22, v23
	s_waitcnt vmcnt(17)
	v_mul_f32_e32 v23, v156, v56
	v_fma_f32 v3, v154, v55, -v3
	s_waitcnt vmcnt(16)
	v_fmac_f32_e32 v23, v157, v57
	ds_read2_b64 v[162:165], v1 offset0:115 offset1:116
	v_add_f32_e32 v2, v2, v3
	v_mul_f32_e32 v3, v157, v56
	v_add_f32_e32 v22, v22, v23
	s_waitcnt vmcnt(15) lgkmcnt(1)
	v_mul_f32_e32 v23, v158, v58
	v_fma_f32 v3, v156, v57, -v3
	s_waitcnt vmcnt(14)
	v_fmac_f32_e32 v23, v159, v59
	v_add_f32_e32 v2, v2, v3
	v_mul_f32_e32 v3, v159, v58
	v_add_f32_e32 v22, v22, v23
	s_waitcnt vmcnt(13)
	v_mul_f32_e32 v23, v160, v60
	v_fma_f32 v3, v158, v59, -v3
	s_waitcnt vmcnt(12)
	v_fmac_f32_e32 v23, v161, v61
	v_add_f32_e32 v2, v2, v3
	v_mul_f32_e32 v3, v161, v60
	v_add_f32_e32 v22, v22, v23
	s_waitcnt vmcnt(11) lgkmcnt(0)
	v_mul_f32_e32 v23, v162, v62
	v_fma_f32 v3, v160, v61, -v3
	s_waitcnt vmcnt(10)
	v_fmac_f32_e32 v23, v163, v63
	v_add_f32_e32 v2, v2, v3
	v_mul_f32_e32 v3, v163, v62
	v_add_f32_e32 v22, v22, v23
	s_waitcnt vmcnt(9)
	v_mul_f32_e32 v23, v164, v64
	v_fma_f32 v3, v162, v63, -v3
	s_waitcnt vmcnt(8)
	v_fmac_f32_e32 v23, v165, v65
	v_add_f32_e32 v2, v2, v3
	v_mul_f32_e32 v3, v165, v64
	v_add_f32_e32 v177, v22, v23
	ds_read_b64 v[22:23], v1 offset:952
	v_fma_f32 v3, v164, v65, -v3
	v_add_f32_e32 v2, v2, v3
	s_waitcnt vmcnt(6)
	v_mul_f32_e32 v3, v167, v170
	v_mul_f32_e32 v178, v166, v170
	v_fma_f32 v3, v166, v66, -v3
	v_fmac_f32_e32 v178, v167, v66
	v_add_f32_e32 v2, v2, v3
	s_waitcnt vmcnt(3)
	v_mul_f32_e32 v3, v169, v173
	v_add_f32_e32 v177, v177, v178
	v_mul_f32_e32 v178, v168, v173
	s_waitcnt vmcnt(2)
	v_fma_f32 v3, v168, v174, -v3
	v_fmac_f32_e32 v178, v169, v174
	v_add_f32_e32 v2, v2, v3
	s_waitcnt vmcnt(0) lgkmcnt(0)
	v_mul_f32_e32 v3, v23, v176
	v_add_f32_e32 v177, v177, v178
	v_mul_f32_e32 v178, v22, v176
	v_fma_f32 v3, v22, v175, -v3
	v_fmac_f32_e32 v178, v23, v175
	v_add_f32_e32 v2, v2, v3
	v_add_f32_e32 v177, v177, v178
	v_sub_f32_e32 v2, v171, v2
	v_sub_f32_e32 v3, v172, v177
	buffer_store_dword v2, off, s[0:3], 0 offset:288
	buffer_store_dword v3, off, s[0:3], 0 offset:292
	s_and_saveexec_b64 s[4:5], vcc
	s_cbranch_execz .LBB59_303
; %bb.302:
	buffer_load_dword v2, off, s[0:3], 0 offset:280
	buffer_load_dword v3, off, s[0:3], 0 offset:284
	s_waitcnt vmcnt(0)
	ds_write_b64 v145, v[2:3]
	buffer_store_dword v1, off, s[0:3], 0 offset:280
	buffer_store_dword v1, off, s[0:3], 0 offset:284
.LBB59_303:
	s_or_b64 exec, exec, s[4:5]
	s_waitcnt lgkmcnt(0)
	; wave barrier
	buffer_load_dword v22, off, s[0:3], 0 offset:292
	buffer_load_dword v23, off, s[0:3], 0 offset:300
	;; [unrolled: 1-line block ×48, first 2 shown]
	ds_read_b128 v[2:5], v1 offset:768
	ds_read_b128 v[6:9], v1 offset:784
	buffer_load_dword v179, off, s[0:3], 0 offset:472
	buffer_load_dword v180, off, s[0:3], 0 offset:476
	ds_read_b128 v[10:13], v1 offset:800
	ds_read_b128 v[14:17], v1 offset:816
	;; [unrolled: 1-line block ×5, first 2 shown]
	v_cmp_lt_u32_e32 vcc, 34, v0
	s_waitcnt vmcnt(49) lgkmcnt(6)
	v_mul_f32_e32 v154, v2, v22
	s_waitcnt vmcnt(48)
	v_mul_f32_e32 v155, v4, v23
	s_waitcnt vmcnt(47) lgkmcnt(5)
	v_mul_f32_e32 v156, v6, v24
	s_waitcnt vmcnt(46)
	v_mul_f32_e32 v157, v8, v27
	s_waitcnt vmcnt(45) lgkmcnt(4)
	v_mul_f32_e32 v158, v10, v28
	s_waitcnt vmcnt(44)
	v_mul_f32_e32 v159, v12, v29
	s_waitcnt vmcnt(43) lgkmcnt(3)
	v_mul_f32_e32 v160, v14, v30
	s_waitcnt vmcnt(42)
	v_mul_f32_e32 v161, v16, v31
	s_waitcnt vmcnt(41) lgkmcnt(2)
	v_mul_f32_e32 v162, v18, v32
	s_waitcnt vmcnt(40)
	v_mul_f32_e32 v163, v20, v33
	s_waitcnt vmcnt(39) lgkmcnt(1)
	v_mul_f32_e32 v164, v146, v34
	s_waitcnt vmcnt(38)
	v_mul_f32_e32 v165, v148, v35
	s_waitcnt vmcnt(37)
	v_fmac_f32_e32 v154, v3, v36
	v_mul_f32_e32 v3, v3, v22
	v_fma_f32 v2, v2, v36, -v3
	v_mul_f32_e32 v3, v5, v23
	v_add_f32_e32 v2, 0, v2
	s_waitcnt vmcnt(36)
	v_fma_f32 v3, v4, v37, -v3
	v_add_f32_e32 v2, v2, v3
	v_mul_f32_e32 v3, v7, v24
	s_waitcnt vmcnt(35)
	v_fma_f32 v3, v6, v38, -v3
	v_fmac_f32_e32 v155, v5, v37
	v_add_f32_e32 v154, 0, v154
	v_add_f32_e32 v2, v2, v3
	v_mul_f32_e32 v3, v9, v27
	v_fmac_f32_e32 v156, v7, v38
	v_add_f32_e32 v154, v154, v155
	s_waitcnt vmcnt(34)
	v_fma_f32 v3, v8, v39, -v3
	v_fmac_f32_e32 v157, v9, v39
	v_add_f32_e32 v154, v154, v156
	v_add_f32_e32 v2, v2, v3
	v_mul_f32_e32 v3, v11, v28
	s_waitcnt vmcnt(33)
	v_fmac_f32_e32 v158, v11, v40
	v_add_f32_e32 v154, v154, v157
	v_fma_f32 v3, v10, v40, -v3
	s_waitcnt vmcnt(32)
	v_fmac_f32_e32 v159, v13, v41
	v_add_f32_e32 v154, v154, v158
	v_add_f32_e32 v2, v2, v3
	v_mul_f32_e32 v3, v13, v29
	s_waitcnt vmcnt(31)
	v_fmac_f32_e32 v160, v15, v42
	v_add_f32_e32 v154, v154, v159
	v_fma_f32 v3, v12, v41, -v3
	s_waitcnt vmcnt(30)
	;; [unrolled: 9-line block ×3, first 2 shown]
	v_fmac_f32_e32 v163, v21, v45
	v_add_f32_e32 v154, v154, v162
	v_add_f32_e32 v2, v2, v3
	v_mul_f32_e32 v3, v17, v31
	s_waitcnt vmcnt(27)
	v_fmac_f32_e32 v164, v147, v46
	v_add_f32_e32 v154, v154, v163
	v_fma_f32 v3, v16, v43, -v3
	v_add_f32_e32 v154, v154, v164
	s_waitcnt vmcnt(26)
	v_fmac_f32_e32 v165, v149, v47
	v_add_f32_e32 v2, v2, v3
	v_mul_f32_e32 v3, v19, v32
	v_add_f32_e32 v158, v154, v165
	ds_read_b128 v[154:157], v1 offset:880
	v_fma_f32 v3, v18, v44, -v3
	s_waitcnt vmcnt(25) lgkmcnt(1)
	v_mul_f32_e32 v159, v150, v48
	v_add_f32_e32 v2, v2, v3
	v_mul_f32_e32 v3, v21, v33
	s_waitcnt vmcnt(24)
	v_fmac_f32_e32 v159, v151, v49
	v_fma_f32 v3, v20, v45, -v3
	v_add_f32_e32 v158, v158, v159
	s_waitcnt vmcnt(23)
	v_mul_f32_e32 v159, v152, v50
	v_add_f32_e32 v2, v2, v3
	v_mul_f32_e32 v3, v147, v34
	s_waitcnt vmcnt(22)
	v_fmac_f32_e32 v159, v153, v51
	v_fma_f32 v3, v146, v46, -v3
	v_add_f32_e32 v158, v158, v159
	s_waitcnt vmcnt(21) lgkmcnt(0)
	v_mul_f32_e32 v159, v154, v52
	v_add_f32_e32 v2, v2, v3
	v_mul_f32_e32 v3, v149, v35
	s_waitcnt vmcnt(20)
	v_fmac_f32_e32 v159, v155, v53
	v_fma_f32 v3, v148, v47, -v3
	v_add_f32_e32 v162, v158, v159
	ds_read_b128 v[158:161], v1 offset:896
	v_add_f32_e32 v2, v2, v3
	v_mul_f32_e32 v3, v151, v48
	v_fma_f32 v3, v150, v49, -v3
	s_waitcnt vmcnt(19)
	v_mul_f32_e32 v163, v156, v54
	v_add_f32_e32 v2, v2, v3
	v_mul_f32_e32 v3, v153, v50
	s_waitcnt vmcnt(18)
	v_fmac_f32_e32 v163, v157, v55
	v_fma_f32 v3, v152, v51, -v3
	v_add_f32_e32 v166, v162, v163
	ds_read_b128 v[162:165], v1 offset:912
	v_add_f32_e32 v2, v2, v3
	v_mul_f32_e32 v3, v155, v52
	s_waitcnt vmcnt(17) lgkmcnt(1)
	v_mul_f32_e32 v167, v158, v56
	v_fma_f32 v3, v154, v53, -v3
	s_waitcnt vmcnt(16)
	v_fmac_f32_e32 v167, v159, v57
	v_add_f32_e32 v2, v2, v3
	v_mul_f32_e32 v3, v157, v54
	v_add_f32_e32 v166, v166, v167
	s_waitcnt vmcnt(15)
	v_mul_f32_e32 v167, v160, v58
	v_fma_f32 v3, v156, v55, -v3
	s_waitcnt vmcnt(14)
	v_fmac_f32_e32 v167, v161, v59
	v_add_f32_e32 v2, v2, v3
	v_mul_f32_e32 v3, v159, v56
	v_add_f32_e32 v166, v166, v167
	s_waitcnt vmcnt(13) lgkmcnt(0)
	v_mul_f32_e32 v167, v162, v60
	v_fma_f32 v3, v158, v57, -v3
	s_waitcnt vmcnt(12)
	v_fmac_f32_e32 v167, v163, v61
	v_add_f32_e32 v2, v2, v3
	v_mul_f32_e32 v3, v161, v58
	v_add_f32_e32 v170, v166, v167
	ds_read_b128 v[166:169], v1 offset:928
	v_fma_f32 v3, v160, v59, -v3
	v_add_f32_e32 v2, v2, v3
	v_mul_f32_e32 v3, v163, v60
	s_waitcnt vmcnt(11)
	v_mul_f32_e32 v171, v164, v62
	v_fma_f32 v3, v162, v61, -v3
	s_waitcnt vmcnt(10)
	v_fmac_f32_e32 v171, v165, v63
	v_add_f32_e32 v2, v2, v3
	v_mul_f32_e32 v3, v165, v62
	v_add_f32_e32 v181, v170, v171
	ds_read_b128 v[170:173], v1 offset:944
	v_fma_f32 v3, v164, v63, -v3
	v_add_f32_e32 v2, v2, v3
	s_waitcnt vmcnt(7) lgkmcnt(1)
	v_mul_f32_e32 v3, v167, v66
	v_mul_f32_e32 v1, v166, v66
	s_waitcnt vmcnt(6)
	v_fma_f32 v3, v166, v174, -v3
	v_fmac_f32_e32 v1, v167, v174
	v_add_f32_e32 v2, v2, v3
	s_waitcnt vmcnt(4)
	v_mul_f32_e32 v3, v169, v176
	v_add_f32_e32 v1, v181, v1
	v_mul_f32_e32 v181, v168, v176
	v_fma_f32 v3, v168, v175, -v3
	v_fmac_f32_e32 v181, v169, v175
	v_add_f32_e32 v2, v2, v3
	s_waitcnt vmcnt(2) lgkmcnt(0)
	v_mul_f32_e32 v3, v171, v178
	v_add_f32_e32 v1, v1, v181
	v_mul_f32_e32 v181, v170, v178
	v_fma_f32 v3, v170, v177, -v3
	v_fmac_f32_e32 v181, v171, v177
	v_add_f32_e32 v2, v2, v3
	s_waitcnt vmcnt(0)
	v_mul_f32_e32 v3, v173, v180
	v_add_f32_e32 v1, v1, v181
	v_mul_f32_e32 v181, v172, v180
	v_fma_f32 v3, v172, v179, -v3
	v_fmac_f32_e32 v181, v173, v179
	v_add_f32_e32 v2, v2, v3
	v_add_f32_e32 v1, v1, v181
	v_sub_f32_e32 v2, v64, v2
	v_sub_f32_e32 v1, v65, v1
	buffer_store_dword v2, off, s[0:3], 0 offset:280
	buffer_store_dword v1, off, s[0:3], 0 offset:284
	s_and_saveexec_b64 s[4:5], vcc
	s_cbranch_execz .LBB59_305
; %bb.304:
	buffer_load_dword v1, off, s[0:3], 0 offset:272
	buffer_load_dword v2, off, s[0:3], 0 offset:276
	v_mov_b32_e32 v3, 0
	buffer_store_dword v3, off, s[0:3], 0 offset:272
	buffer_store_dword v3, off, s[0:3], 0 offset:276
	s_waitcnt vmcnt(2)
	ds_write_b64 v145, v[1:2]
.LBB59_305:
	s_or_b64 exec, exec, s[4:5]
	s_waitcnt lgkmcnt(0)
	; wave barrier
	buffer_load_dword v24, off, s[0:3], 0 offset:284
	buffer_load_dword v27, off, s[0:3], 0 offset:292
	;; [unrolled: 1-line block ×52, first 2 shown]
	v_mov_b32_e32 v1, 0
	ds_read2_b64 v[2:5], v1 offset0:95 offset1:96
	ds_read2_b64 v[6:9], v1 offset0:97 offset1:98
	;; [unrolled: 1-line block ×8, first 2 shown]
	v_cmp_lt_u32_e32 vcc, 33, v0
	ds_read2_b64 v[162:165], v1 offset0:113 offset1:114
	s_waitcnt vmcnt(51) lgkmcnt(8)
	v_mul_f32_e32 v22, v2, v24
	s_waitcnt vmcnt(50)
	v_mul_f32_e32 v23, v4, v27
	s_waitcnt vmcnt(49) lgkmcnt(7)
	v_mul_f32_e32 v150, v6, v28
	s_waitcnt vmcnt(48)
	v_mul_f32_e32 v151, v8, v29
	;; [unrolled: 4-line block ×5, first 2 shown]
	s_waitcnt vmcnt(41) lgkmcnt(3)
	v_mul_f32_e32 v158, v146, v36
	s_waitcnt vmcnt(40)
	v_fmac_f32_e32 v22, v3, v37
	v_mul_f32_e32 v3, v3, v24
	v_fma_f32 v2, v2, v37, -v3
	v_mul_f32_e32 v3, v5, v27
	v_add_f32_e32 v2, 0, v2
	s_waitcnt vmcnt(39)
	v_fma_f32 v3, v4, v38, -v3
	v_add_f32_e32 v2, v2, v3
	v_mul_f32_e32 v3, v7, v28
	s_waitcnt vmcnt(38)
	v_fma_f32 v3, v6, v39, -v3
	v_add_f32_e32 v2, v2, v3
	v_mul_f32_e32 v3, v9, v29
	;; [unrolled: 4-line block ×4, first 2 shown]
	s_waitcnt vmcnt(35)
	v_fma_f32 v3, v12, v42, -v3
	v_fmac_f32_e32 v23, v5, v38
	v_add_f32_e32 v22, 0, v22
	v_add_f32_e32 v2, v2, v3
	v_mul_f32_e32 v3, v15, v32
	v_fmac_f32_e32 v150, v7, v39
	v_add_f32_e32 v22, v22, v23
	s_waitcnt vmcnt(34)
	v_fma_f32 v3, v14, v43, -v3
	v_fmac_f32_e32 v151, v9, v40
	v_add_f32_e32 v22, v22, v150
	v_add_f32_e32 v2, v2, v3
	v_mul_f32_e32 v3, v17, v33
	v_fmac_f32_e32 v152, v11, v41
	v_add_f32_e32 v22, v22, v151
	;; [unrolled: 8-line block ×3, first 2 shown]
	s_waitcnt vmcnt(32)
	v_fma_f32 v3, v18, v45, -v3
	v_fmac_f32_e32 v155, v17, v44
	v_add_f32_e32 v22, v22, v154
	ds_read2_b64 v[150:153], v1 offset0:107 offset1:108
	v_add_f32_e32 v2, v2, v3
	v_mul_f32_e32 v3, v21, v35
	v_fmac_f32_e32 v156, v19, v45
	v_add_f32_e32 v22, v22, v155
	s_waitcnt vmcnt(31)
	v_fma_f32 v3, v20, v46, -v3
	v_fmac_f32_e32 v157, v21, v46
	v_add_f32_e32 v22, v22, v156
	v_add_f32_e32 v2, v2, v3
	v_mul_f32_e32 v3, v147, v36
	v_add_f32_e32 v22, v22, v157
	s_waitcnt vmcnt(30)
	v_fmac_f32_e32 v158, v147, v47
	s_waitcnt vmcnt(29)
	v_mul_f32_e32 v23, v148, v48
	v_fma_f32 v3, v146, v47, -v3
	v_add_f32_e32 v22, v22, v158
	s_waitcnt vmcnt(28)
	v_fmac_f32_e32 v23, v149, v49
	ds_read2_b64 v[154:157], v1 offset0:109 offset1:110
	v_add_f32_e32 v2, v2, v3
	v_mul_f32_e32 v3, v149, v48
	v_add_f32_e32 v22, v22, v23
	s_waitcnt vmcnt(27) lgkmcnt(1)
	v_mul_f32_e32 v23, v150, v50
	v_fma_f32 v3, v148, v49, -v3
	s_waitcnt vmcnt(26)
	v_fmac_f32_e32 v23, v151, v51
	v_add_f32_e32 v2, v2, v3
	v_mul_f32_e32 v3, v151, v50
	v_add_f32_e32 v22, v22, v23
	s_waitcnt vmcnt(25)
	v_mul_f32_e32 v23, v152, v52
	v_fma_f32 v3, v150, v51, -v3
	s_waitcnt vmcnt(24)
	v_fmac_f32_e32 v23, v153, v53
	ds_read2_b64 v[158:161], v1 offset0:111 offset1:112
	v_add_f32_e32 v2, v2, v3
	v_mul_f32_e32 v3, v153, v52
	v_add_f32_e32 v22, v22, v23
	s_waitcnt vmcnt(23) lgkmcnt(1)
	v_mul_f32_e32 v23, v154, v54
	v_fma_f32 v3, v152, v53, -v3
	s_waitcnt vmcnt(22)
	v_fmac_f32_e32 v23, v155, v55
	v_add_f32_e32 v2, v2, v3
	v_mul_f32_e32 v3, v155, v54
	v_add_f32_e32 v22, v22, v23
	s_waitcnt vmcnt(21)
	v_mul_f32_e32 v23, v156, v56
	v_fma_f32 v3, v154, v55, -v3
	s_waitcnt vmcnt(20)
	v_fmac_f32_e32 v23, v157, v57
	v_add_f32_e32 v2, v2, v3
	v_mul_f32_e32 v3, v157, v56
	v_add_f32_e32 v22, v22, v23
	s_waitcnt vmcnt(19) lgkmcnt(0)
	v_mul_f32_e32 v23, v158, v58
	v_fma_f32 v3, v156, v57, -v3
	s_waitcnt vmcnt(18)
	v_fmac_f32_e32 v23, v159, v59
	v_add_f32_e32 v2, v2, v3
	v_mul_f32_e32 v3, v159, v58
	v_add_f32_e32 v22, v22, v23
	s_waitcnt vmcnt(17)
	v_mul_f32_e32 v23, v160, v60
	v_fma_f32 v3, v158, v59, -v3
	s_waitcnt vmcnt(16)
	v_fmac_f32_e32 v23, v161, v61
	v_add_f32_e32 v2, v2, v3
	v_mul_f32_e32 v3, v161, v60
	v_add_f32_e32 v22, v22, v23
	s_waitcnt vmcnt(14)
	v_mul_f32_e32 v23, v162, v63
	v_fma_f32 v3, v160, v61, -v3
	v_fmac_f32_e32 v23, v163, v62
	v_add_f32_e32 v2, v2, v3
	v_mul_f32_e32 v3, v163, v63
	v_add_f32_e32 v22, v22, v23
	s_waitcnt vmcnt(11)
	v_mul_f32_e32 v23, v164, v66
	v_fma_f32 v3, v162, v62, -v3
	s_waitcnt vmcnt(10)
	v_fmac_f32_e32 v23, v165, v174
	v_add_f32_e32 v2, v2, v3
	v_mul_f32_e32 v3, v165, v66
	v_add_f32_e32 v22, v22, v23
	s_waitcnt vmcnt(8)
	v_mul_f32_e32 v23, v166, v176
	v_fma_f32 v3, v164, v174, -v3
	v_fmac_f32_e32 v23, v167, v175
	v_add_f32_e32 v2, v2, v3
	v_mul_f32_e32 v3, v167, v176
	v_add_f32_e32 v22, v22, v23
	s_waitcnt vmcnt(6)
	v_mul_f32_e32 v23, v168, v178
	v_fma_f32 v3, v166, v175, -v3
	v_fmac_f32_e32 v23, v169, v177
	v_add_f32_e32 v2, v2, v3
	v_mul_f32_e32 v3, v169, v178
	v_add_f32_e32 v185, v22, v23
	ds_read_b64 v[22:23], v1 offset:952
	v_fma_f32 v3, v168, v177, -v3
	v_add_f32_e32 v2, v2, v3
	s_waitcnt vmcnt(4)
	v_mul_f32_e32 v3, v171, v180
	v_mul_f32_e32 v186, v170, v180
	v_fma_f32 v3, v170, v179, -v3
	v_fmac_f32_e32 v186, v171, v179
	v_add_f32_e32 v2, v2, v3
	s_waitcnt vmcnt(2)
	v_mul_f32_e32 v3, v173, v182
	v_add_f32_e32 v185, v185, v186
	v_mul_f32_e32 v186, v172, v182
	v_fma_f32 v3, v172, v181, -v3
	v_fmac_f32_e32 v186, v173, v181
	v_add_f32_e32 v2, v2, v3
	s_waitcnt vmcnt(0) lgkmcnt(0)
	v_mul_f32_e32 v3, v23, v184
	v_add_f32_e32 v185, v185, v186
	v_mul_f32_e32 v186, v22, v184
	v_fma_f32 v3, v22, v183, -v3
	v_fmac_f32_e32 v186, v23, v183
	v_add_f32_e32 v2, v2, v3
	v_add_f32_e32 v185, v185, v186
	v_sub_f32_e32 v2, v64, v2
	v_sub_f32_e32 v3, v65, v185
	buffer_store_dword v2, off, s[0:3], 0 offset:272
	buffer_store_dword v3, off, s[0:3], 0 offset:276
	s_and_saveexec_b64 s[4:5], vcc
	s_cbranch_execz .LBB59_307
; %bb.306:
	buffer_load_dword v2, off, s[0:3], 0 offset:264
	buffer_load_dword v3, off, s[0:3], 0 offset:268
	s_waitcnt vmcnt(0)
	ds_write_b64 v145, v[2:3]
	buffer_store_dword v1, off, s[0:3], 0 offset:264
	buffer_store_dword v1, off, s[0:3], 0 offset:268
.LBB59_307:
	s_or_b64 exec, exec, s[4:5]
	s_waitcnt lgkmcnt(0)
	; wave barrier
	buffer_load_dword v22, off, s[0:3], 0 offset:276
	buffer_load_dword v23, off, s[0:3], 0 offset:284
	;; [unrolled: 1-line block ×42, first 2 shown]
	ds_read_b128 v[2:5], v1 offset:752
	ds_read_b128 v[6:9], v1 offset:768
	;; [unrolled: 1-line block ×4, first 2 shown]
	buffer_load_dword v66, off, s[0:3], 0 offset:436
	buffer_load_dword v178, off, s[0:3], 0 offset:432
	;; [unrolled: 1-line block ×6, first 2 shown]
	ds_read_b128 v[18:21], v1 offset:816
	ds_read_b128 v[146:149], v1 offset:832
	buffer_load_dword v183, off, s[0:3], 0 offset:456
	buffer_load_dword v184, off, s[0:3], 0 offset:460
	;; [unrolled: 1-line block ×6, first 2 shown]
	v_cmp_lt_u32_e32 vcc, 32, v0
	s_waitcnt vmcnt(53) lgkmcnt(5)
	v_mul_f32_e32 v150, v2, v22
	s_waitcnt vmcnt(52)
	v_mul_f32_e32 v151, v4, v23
	s_waitcnt vmcnt(51) lgkmcnt(4)
	v_mul_f32_e32 v152, v6, v24
	s_waitcnt vmcnt(50)
	v_mul_f32_e32 v153, v8, v27
	;; [unrolled: 4-line block ×5, first 2 shown]
	s_waitcnt vmcnt(43)
	v_fmac_f32_e32 v150, v3, v34
	v_mul_f32_e32 v3, v3, v22
	s_waitcnt vmcnt(42)
	v_fmac_f32_e32 v151, v5, v35
	v_add_f32_e32 v150, 0, v150
	v_fma_f32 v2, v2, v34, -v3
	v_mul_f32_e32 v3, v5, v23
	s_waitcnt vmcnt(41)
	v_fmac_f32_e32 v152, v7, v36
	v_add_f32_e32 v150, v150, v151
	v_add_f32_e32 v2, 0, v2
	v_fma_f32 v3, v4, v35, -v3
	s_waitcnt vmcnt(40)
	v_fmac_f32_e32 v153, v9, v37
	v_add_f32_e32 v150, v150, v152
	v_add_f32_e32 v2, v2, v3
	v_mul_f32_e32 v3, v7, v24
	s_waitcnt vmcnt(39)
	v_fmac_f32_e32 v154, v11, v38
	v_add_f32_e32 v150, v150, v153
	v_fma_f32 v3, v6, v36, -v3
	s_waitcnt vmcnt(38)
	v_fmac_f32_e32 v155, v13, v39
	v_add_f32_e32 v150, v150, v154
	v_add_f32_e32 v2, v2, v3
	v_mul_f32_e32 v3, v9, v27
	s_waitcnt vmcnt(37)
	v_fmac_f32_e32 v156, v15, v40
	;; [unrolled: 9-line block ×3, first 2 shown]
	v_add_f32_e32 v150, v150, v157
	v_fma_f32 v3, v10, v38, -v3
	s_waitcnt vmcnt(34)
	v_fmac_f32_e32 v159, v21, v43
	v_add_f32_e32 v150, v150, v158
	s_waitcnt vmcnt(33) lgkmcnt(0)
	v_mul_f32_e32 v151, v146, v44
	v_add_f32_e32 v2, v2, v3
	v_mul_f32_e32 v3, v13, v29
	v_add_f32_e32 v150, v150, v159
	s_waitcnt vmcnt(32)
	v_fmac_f32_e32 v151, v147, v45
	v_fma_f32 v3, v12, v39, -v3
	v_add_f32_e32 v154, v150, v151
	ds_read_b128 v[150:153], v1 offset:848
	v_add_f32_e32 v2, v2, v3
	v_mul_f32_e32 v3, v15, v30
	v_fma_f32 v3, v14, v40, -v3
	s_waitcnt vmcnt(31)
	v_mul_f32_e32 v155, v148, v46
	v_add_f32_e32 v2, v2, v3
	v_mul_f32_e32 v3, v17, v31
	s_waitcnt vmcnt(30)
	v_fmac_f32_e32 v155, v149, v47
	v_fma_f32 v3, v16, v41, -v3
	v_add_f32_e32 v158, v154, v155
	ds_read_b128 v[154:157], v1 offset:864
	v_add_f32_e32 v2, v2, v3
	v_mul_f32_e32 v3, v19, v32
	s_waitcnt vmcnt(29) lgkmcnt(1)
	v_mul_f32_e32 v159, v150, v48
	v_fma_f32 v3, v18, v42, -v3
	s_waitcnt vmcnt(28)
	v_fmac_f32_e32 v159, v151, v49
	v_add_f32_e32 v2, v2, v3
	v_mul_f32_e32 v3, v21, v33
	v_add_f32_e32 v158, v158, v159
	s_waitcnt vmcnt(27)
	v_mul_f32_e32 v159, v152, v50
	v_fma_f32 v3, v20, v43, -v3
	s_waitcnt vmcnt(26)
	v_fmac_f32_e32 v159, v153, v51
	v_add_f32_e32 v2, v2, v3
	v_mul_f32_e32 v3, v147, v44
	v_add_f32_e32 v158, v158, v159
	s_waitcnt vmcnt(25) lgkmcnt(0)
	v_mul_f32_e32 v159, v154, v52
	v_fma_f32 v3, v146, v45, -v3
	s_waitcnt vmcnt(24)
	v_fmac_f32_e32 v159, v155, v53
	v_add_f32_e32 v2, v2, v3
	v_mul_f32_e32 v3, v149, v46
	v_add_f32_e32 v162, v158, v159
	ds_read_b128 v[158:161], v1 offset:880
	v_fma_f32 v3, v148, v47, -v3
	v_add_f32_e32 v2, v2, v3
	v_mul_f32_e32 v3, v151, v48
	s_waitcnt vmcnt(23)
	v_mul_f32_e32 v163, v156, v54
	v_fma_f32 v3, v150, v49, -v3
	s_waitcnt vmcnt(22)
	v_fmac_f32_e32 v163, v157, v55
	v_add_f32_e32 v2, v2, v3
	v_mul_f32_e32 v3, v153, v50
	v_add_f32_e32 v166, v162, v163
	ds_read_b128 v[162:165], v1 offset:896
	v_fma_f32 v3, v152, v51, -v3
	s_waitcnt vmcnt(21) lgkmcnt(1)
	v_mul_f32_e32 v167, v158, v56
	v_add_f32_e32 v2, v2, v3
	v_mul_f32_e32 v3, v155, v52
	s_waitcnt vmcnt(20)
	v_fmac_f32_e32 v167, v159, v57
	v_fma_f32 v3, v154, v53, -v3
	v_add_f32_e32 v166, v166, v167
	s_waitcnt vmcnt(18)
	v_mul_f32_e32 v167, v160, v59
	v_add_f32_e32 v2, v2, v3
	v_mul_f32_e32 v3, v157, v54
	v_fmac_f32_e32 v167, v161, v58
	v_fma_f32 v3, v156, v55, -v3
	v_add_f32_e32 v166, v166, v167
	s_waitcnt vmcnt(15) lgkmcnt(0)
	v_mul_f32_e32 v167, v162, v62
	v_add_f32_e32 v2, v2, v3
	v_mul_f32_e32 v3, v159, v56
	s_waitcnt vmcnt(14)
	v_fmac_f32_e32 v167, v163, v63
	v_fma_f32 v3, v158, v57, -v3
	v_add_f32_e32 v170, v166, v167
	ds_read_b128 v[166:169], v1 offset:912
	v_add_f32_e32 v2, v2, v3
	v_mul_f32_e32 v3, v161, v59
	v_fma_f32 v3, v160, v58, -v3
	v_add_f32_e32 v2, v2, v3
	v_mul_f32_e32 v3, v163, v62
	s_waitcnt vmcnt(12)
	v_mul_f32_e32 v171, v164, v65
	v_fma_f32 v3, v162, v63, -v3
	v_fmac_f32_e32 v171, v165, v64
	v_add_f32_e32 v2, v2, v3
	v_mul_f32_e32 v3, v165, v65
	v_add_f32_e32 v174, v170, v171
	ds_read_b128 v[170:173], v1 offset:928
	s_waitcnt vmcnt(11) lgkmcnt(1)
	v_mul_f32_e32 v175, v166, v66
	v_fma_f32 v3, v164, v64, -v3
	s_waitcnt vmcnt(10)
	v_fmac_f32_e32 v175, v167, v178
	v_add_f32_e32 v2, v2, v3
	v_mul_f32_e32 v3, v167, v66
	v_add_f32_e32 v174, v174, v175
	s_waitcnt vmcnt(8)
	v_mul_f32_e32 v175, v168, v180
	v_fma_f32 v3, v166, v178, -v3
	v_fmac_f32_e32 v175, v169, v179
	v_add_f32_e32 v2, v2, v3
	v_mul_f32_e32 v3, v169, v180
	v_add_f32_e32 v189, v174, v175
	ds_read_b128 v[174:177], v1 offset:944
	v_fma_f32 v3, v168, v179, -v3
	v_add_f32_e32 v2, v2, v3
	s_waitcnt vmcnt(6) lgkmcnt(1)
	v_mul_f32_e32 v3, v171, v182
	v_mul_f32_e32 v190, v170, v182
	v_fma_f32 v3, v170, v181, -v3
	v_fmac_f32_e32 v190, v171, v181
	v_add_f32_e32 v2, v2, v3
	s_waitcnt vmcnt(4)
	v_mul_f32_e32 v3, v173, v184
	v_add_f32_e32 v1, v189, v190
	v_mul_f32_e32 v189, v172, v184
	v_fma_f32 v3, v172, v183, -v3
	v_fmac_f32_e32 v189, v173, v183
	v_add_f32_e32 v2, v2, v3
	s_waitcnt vmcnt(2) lgkmcnt(0)
	v_mul_f32_e32 v3, v175, v186
	v_add_f32_e32 v1, v1, v189
	v_mul_f32_e32 v189, v174, v186
	v_fma_f32 v3, v174, v185, -v3
	v_fmac_f32_e32 v189, v175, v185
	v_add_f32_e32 v2, v2, v3
	s_waitcnt vmcnt(0)
	v_mul_f32_e32 v3, v177, v188
	v_add_f32_e32 v1, v1, v189
	v_mul_f32_e32 v189, v176, v188
	v_fma_f32 v3, v176, v187, -v3
	v_fmac_f32_e32 v189, v177, v187
	v_add_f32_e32 v2, v2, v3
	v_add_f32_e32 v1, v1, v189
	v_sub_f32_e32 v2, v60, v2
	v_sub_f32_e32 v1, v61, v1
	buffer_store_dword v2, off, s[0:3], 0 offset:264
	buffer_store_dword v1, off, s[0:3], 0 offset:268
	s_and_saveexec_b64 s[4:5], vcc
	s_cbranch_execz .LBB59_309
; %bb.308:
	buffer_load_dword v1, off, s[0:3], 0 offset:256
	buffer_load_dword v2, off, s[0:3], 0 offset:260
	v_mov_b32_e32 v3, 0
	buffer_store_dword v3, off, s[0:3], 0 offset:256
	buffer_store_dword v3, off, s[0:3], 0 offset:260
	s_waitcnt vmcnt(2)
	ds_write_b64 v145, v[1:2]
.LBB59_309:
	s_or_b64 exec, exec, s[4:5]
	s_waitcnt lgkmcnt(0)
	; wave barrier
	buffer_load_dword v24, off, s[0:3], 0 offset:268
	buffer_load_dword v27, off, s[0:3], 0 offset:276
	;; [unrolled: 1-line block ×56, first 2 shown]
	v_mov_b32_e32 v1, 0
	ds_read2_b64 v[2:5], v1 offset0:93 offset1:94
	ds_read2_b64 v[6:9], v1 offset0:95 offset1:96
	;; [unrolled: 1-line block ×11, first 2 shown]
	v_cmp_lt_u32_e32 vcc, 31, v0
	s_waitcnt vmcnt(55) lgkmcnt(10)
	v_mul_f32_e32 v22, v2, v24
	s_waitcnt vmcnt(54)
	v_mul_f32_e32 v23, v4, v27
	s_waitcnt vmcnt(53) lgkmcnt(9)
	v_mul_f32_e32 v150, v6, v28
	s_waitcnt vmcnt(52)
	v_mul_f32_e32 v151, v8, v29
	;; [unrolled: 4-line block ×4, first 2 shown]
	s_waitcnt vmcnt(47) lgkmcnt(6)
	v_mul_f32_e32 v156, v18, v34
	s_waitcnt vmcnt(46)
	v_fmac_f32_e32 v22, v3, v35
	v_mul_f32_e32 v3, v3, v24
	v_fma_f32 v2, v2, v35, -v3
	v_mul_f32_e32 v3, v5, v27
	v_add_f32_e32 v2, 0, v2
	s_waitcnt vmcnt(45)
	v_fma_f32 v3, v4, v36, -v3
	v_add_f32_e32 v2, v2, v3
	v_mul_f32_e32 v3, v7, v28
	s_waitcnt vmcnt(44)
	v_fma_f32 v3, v6, v37, -v3
	v_add_f32_e32 v2, v2, v3
	v_mul_f32_e32 v3, v9, v29
	;; [unrolled: 4-line block ×3, first 2 shown]
	s_waitcnt vmcnt(42)
	v_fma_f32 v3, v10, v39, -v3
	v_fmac_f32_e32 v23, v5, v36
	v_add_f32_e32 v22, 0, v22
	v_add_f32_e32 v2, v2, v3
	v_mul_f32_e32 v3, v13, v31
	v_fmac_f32_e32 v150, v7, v37
	v_add_f32_e32 v22, v22, v23
	s_waitcnt vmcnt(41)
	v_fma_f32 v3, v12, v40, -v3
	v_fmac_f32_e32 v151, v9, v38
	v_add_f32_e32 v22, v22, v150
	v_add_f32_e32 v2, v2, v3
	v_mul_f32_e32 v3, v15, v32
	v_fmac_f32_e32 v152, v11, v39
	v_add_f32_e32 v22, v22, v151
	;; [unrolled: 8-line block ×3, first 2 shown]
	s_waitcnt vmcnt(39)
	v_fma_f32 v3, v16, v42, -v3
	v_fmac_f32_e32 v155, v17, v42
	v_add_f32_e32 v22, v22, v154
	v_add_f32_e32 v2, v2, v3
	v_mul_f32_e32 v3, v19, v34
	v_add_f32_e32 v22, v22, v155
	s_waitcnt vmcnt(38)
	v_fmac_f32_e32 v156, v19, v43
	s_waitcnt vmcnt(37)
	v_mul_f32_e32 v23, v20, v44
	v_fma_f32 v3, v18, v43, -v3
	v_add_f32_e32 v22, v22, v156
	s_waitcnt vmcnt(36)
	v_fmac_f32_e32 v23, v21, v45
	ds_read2_b64 v[150:153], v1 offset0:105 offset1:106
	ds_read2_b64 v[154:157], v1 offset0:107 offset1:108
	v_add_f32_e32 v2, v2, v3
	v_mul_f32_e32 v3, v21, v44
	v_add_f32_e32 v22, v22, v23
	s_waitcnt vmcnt(35) lgkmcnt(7)
	v_mul_f32_e32 v23, v146, v46
	v_fma_f32 v3, v20, v45, -v3
	s_waitcnt vmcnt(34)
	v_fmac_f32_e32 v23, v147, v47
	v_add_f32_e32 v2, v2, v3
	v_mul_f32_e32 v3, v147, v46
	v_add_f32_e32 v22, v22, v23
	s_waitcnt vmcnt(33)
	v_mul_f32_e32 v23, v148, v48
	v_fma_f32 v3, v146, v47, -v3
	s_waitcnt vmcnt(32)
	v_fmac_f32_e32 v23, v149, v49
	v_add_f32_e32 v2, v2, v3
	v_mul_f32_e32 v3, v149, v48
	v_add_f32_e32 v22, v22, v23
	s_waitcnt vmcnt(31) lgkmcnt(1)
	v_mul_f32_e32 v23, v150, v50
	v_fma_f32 v3, v148, v49, -v3
	s_waitcnt vmcnt(30)
	v_fmac_f32_e32 v23, v151, v51
	v_add_f32_e32 v2, v2, v3
	v_mul_f32_e32 v3, v151, v50
	v_add_f32_e32 v22, v22, v23
	s_waitcnt vmcnt(29)
	v_mul_f32_e32 v23, v152, v52
	v_fma_f32 v3, v150, v51, -v3
	s_waitcnt vmcnt(28)
	v_fmac_f32_e32 v23, v153, v53
	v_add_f32_e32 v2, v2, v3
	v_mul_f32_e32 v3, v153, v52
	v_add_f32_e32 v22, v22, v23
	s_waitcnt vmcnt(27) lgkmcnt(0)
	v_mul_f32_e32 v23, v154, v54
	v_fma_f32 v3, v152, v53, -v3
	s_waitcnt vmcnt(26)
	v_fmac_f32_e32 v23, v155, v55
	v_add_f32_e32 v2, v2, v3
	v_mul_f32_e32 v3, v155, v54
	v_add_f32_e32 v22, v22, v23
	s_waitcnt vmcnt(24)
	v_mul_f32_e32 v23, v156, v57
	v_fma_f32 v3, v154, v55, -v3
	v_fmac_f32_e32 v23, v157, v56
	v_add_f32_e32 v2, v2, v3
	v_mul_f32_e32 v3, v157, v57
	v_add_f32_e32 v22, v22, v23
	s_waitcnt vmcnt(21)
	v_mul_f32_e32 v23, v158, v60
	v_fma_f32 v3, v156, v56, -v3
	s_waitcnt vmcnt(20)
	v_fmac_f32_e32 v23, v159, v61
	v_add_f32_e32 v2, v2, v3
	v_mul_f32_e32 v3, v159, v60
	v_add_f32_e32 v22, v22, v23
	s_waitcnt vmcnt(18)
	v_mul_f32_e32 v23, v160, v63
	v_fma_f32 v3, v158, v61, -v3
	v_fmac_f32_e32 v23, v161, v62
	v_add_f32_e32 v2, v2, v3
	v_mul_f32_e32 v3, v161, v63
	v_add_f32_e32 v22, v22, v23
	s_waitcnt vmcnt(16)
	v_mul_f32_e32 v23, v162, v65
	v_fma_f32 v3, v160, v62, -v3
	;; [unrolled: 7-line block ×7, first 2 shown]
	v_fmac_f32_e32 v23, v173, v185
	v_add_f32_e32 v2, v2, v3
	v_mul_f32_e32 v3, v173, v186
	v_add_f32_e32 v193, v22, v23
	ds_read_b64 v[22:23], v1 offset:952
	v_fma_f32 v3, v172, v185, -v3
	v_add_f32_e32 v2, v2, v3
	s_waitcnt vmcnt(4)
	v_mul_f32_e32 v3, v175, v188
	v_mul_f32_e32 v194, v174, v188
	v_fma_f32 v3, v174, v187, -v3
	v_fmac_f32_e32 v194, v175, v187
	v_add_f32_e32 v2, v2, v3
	s_waitcnt vmcnt(2)
	v_mul_f32_e32 v3, v177, v190
	v_add_f32_e32 v193, v193, v194
	v_mul_f32_e32 v194, v176, v190
	v_fma_f32 v3, v176, v189, -v3
	v_fmac_f32_e32 v194, v177, v189
	v_add_f32_e32 v2, v2, v3
	s_waitcnt vmcnt(0) lgkmcnt(0)
	v_mul_f32_e32 v3, v23, v192
	v_add_f32_e32 v193, v193, v194
	v_mul_f32_e32 v194, v22, v192
	v_fma_f32 v3, v22, v191, -v3
	v_fmac_f32_e32 v194, v23, v191
	v_add_f32_e32 v2, v2, v3
	v_add_f32_e32 v193, v193, v194
	v_sub_f32_e32 v2, v58, v2
	v_sub_f32_e32 v3, v59, v193
	buffer_store_dword v2, off, s[0:3], 0 offset:256
	buffer_store_dword v3, off, s[0:3], 0 offset:260
	s_and_saveexec_b64 s[4:5], vcc
	s_cbranch_execz .LBB59_311
; %bb.310:
	buffer_load_dword v2, off, s[0:3], 0 offset:248
	buffer_load_dword v3, off, s[0:3], 0 offset:252
	s_waitcnt vmcnt(0)
	ds_write_b64 v145, v[2:3]
	buffer_store_dword v1, off, s[0:3], 0 offset:248
	buffer_store_dword v1, off, s[0:3], 0 offset:252
.LBB59_311:
	s_or_b64 exec, exec, s[4:5]
	s_waitcnt lgkmcnt(0)
	; wave barrier
	buffer_load_dword v22, off, s[0:3], 0 offset:260
	buffer_load_dword v23, off, s[0:3], 0 offset:268
	;; [unrolled: 1-line block ×34, first 2 shown]
	ds_read_b128 v[2:5], v1 offset:736
	ds_read_b128 v[6:9], v1 offset:752
	buffer_load_dword v58, off, s[0:3], 0 offset:388
	buffer_load_dword v59, off, s[0:3], 0 offset:384
	;; [unrolled: 1-line block ×6, first 2 shown]
	ds_read_b128 v[10:13], v1 offset:768
	ds_read_b128 v[14:17], v1 offset:784
	;; [unrolled: 1-line block ×4, first 2 shown]
	buffer_load_dword v64, off, s[0:3], 0 offset:412
	buffer_load_dword v65, off, s[0:3], 0 offset:408
	;; [unrolled: 1-line block ×18, first 2 shown]
	v_cmp_lt_u32_e32 vcc, 30, v0
	s_waitcnt vmcnt(57) lgkmcnt(5)
	v_mul_f32_e32 v150, v2, v22
	s_waitcnt vmcnt(56)
	v_mul_f32_e32 v151, v4, v23
	s_waitcnt vmcnt(55) lgkmcnt(4)
	v_mul_f32_e32 v152, v6, v24
	s_waitcnt vmcnt(54)
	v_mul_f32_e32 v153, v8, v27
	s_waitcnt vmcnt(53) lgkmcnt(3)
	v_mul_f32_e32 v154, v10, v28
	s_waitcnt vmcnt(52)
	v_mul_f32_e32 v155, v12, v29
	s_waitcnt vmcnt(51) lgkmcnt(2)
	v_mul_f32_e32 v156, v14, v30
	s_waitcnt vmcnt(50)
	v_mul_f32_e32 v157, v16, v31
	s_waitcnt vmcnt(49)
	v_fmac_f32_e32 v150, v3, v32
	s_waitcnt vmcnt(48)
	v_fmac_f32_e32 v151, v5, v33
	v_add_f32_e32 v150, 0, v150
	s_waitcnt vmcnt(47)
	v_fmac_f32_e32 v152, v7, v34
	v_add_f32_e32 v150, v150, v151
	;; [unrolled: 3-line block ×4, first 2 shown]
	v_mul_f32_e32 v3, v3, v22
	s_waitcnt vmcnt(44)
	v_fmac_f32_e32 v155, v13, v37
	v_add_f32_e32 v150, v150, v154
	v_fma_f32 v2, v2, v32, -v3
	v_mul_f32_e32 v3, v5, v23
	s_waitcnt vmcnt(43)
	v_fmac_f32_e32 v156, v15, v38
	v_add_f32_e32 v150, v150, v155
	v_add_f32_e32 v2, 0, v2
	v_fma_f32 v3, v4, v33, -v3
	s_waitcnt vmcnt(42)
	v_fmac_f32_e32 v157, v17, v39
	v_add_f32_e32 v150, v150, v156
	s_waitcnt vmcnt(41) lgkmcnt(1)
	v_mul_f32_e32 v151, v18, v40
	v_add_f32_e32 v2, v2, v3
	v_mul_f32_e32 v3, v7, v24
	v_add_f32_e32 v150, v150, v157
	s_waitcnt vmcnt(40)
	v_fmac_f32_e32 v151, v19, v41
	v_fma_f32 v3, v6, v34, -v3
	v_add_f32_e32 v150, v150, v151
	s_waitcnt vmcnt(39)
	v_mul_f32_e32 v151, v20, v42
	v_add_f32_e32 v2, v2, v3
	v_mul_f32_e32 v3, v9, v27
	s_waitcnt vmcnt(38)
	v_fmac_f32_e32 v151, v21, v43
	v_fma_f32 v3, v8, v35, -v3
	v_add_f32_e32 v150, v150, v151
	s_waitcnt vmcnt(37) lgkmcnt(0)
	v_mul_f32_e32 v151, v146, v44
	v_add_f32_e32 v2, v2, v3
	v_mul_f32_e32 v3, v11, v28
	s_waitcnt vmcnt(36)
	v_fmac_f32_e32 v151, v147, v45
	v_fma_f32 v3, v10, v36, -v3
	v_add_f32_e32 v154, v150, v151
	ds_read_b128 v[150:153], v1 offset:832
	v_add_f32_e32 v2, v2, v3
	v_mul_f32_e32 v3, v13, v29
	v_fma_f32 v3, v12, v37, -v3
	s_waitcnt vmcnt(35)
	v_mul_f32_e32 v155, v148, v46
	v_add_f32_e32 v2, v2, v3
	v_mul_f32_e32 v3, v15, v30
	s_waitcnt vmcnt(34)
	v_fmac_f32_e32 v155, v149, v47
	v_fma_f32 v3, v14, v38, -v3
	v_add_f32_e32 v158, v154, v155
	ds_read_b128 v[154:157], v1 offset:848
	v_add_f32_e32 v2, v2, v3
	v_mul_f32_e32 v3, v17, v31
	s_waitcnt vmcnt(33) lgkmcnt(1)
	v_mul_f32_e32 v159, v150, v48
	v_fma_f32 v3, v16, v39, -v3
	s_waitcnt vmcnt(32)
	v_fmac_f32_e32 v159, v151, v49
	v_add_f32_e32 v2, v2, v3
	v_mul_f32_e32 v3, v19, v40
	v_add_f32_e32 v158, v158, v159
	s_waitcnt vmcnt(31)
	v_mul_f32_e32 v159, v152, v50
	v_fma_f32 v3, v18, v41, -v3
	s_waitcnt vmcnt(30)
	v_fmac_f32_e32 v159, v153, v51
	v_add_f32_e32 v2, v2, v3
	v_mul_f32_e32 v3, v21, v42
	v_add_f32_e32 v158, v158, v159
	s_waitcnt vmcnt(29) lgkmcnt(0)
	v_mul_f32_e32 v159, v154, v52
	v_fma_f32 v3, v20, v43, -v3
	s_waitcnt vmcnt(28)
	v_fmac_f32_e32 v159, v155, v53
	v_add_f32_e32 v2, v2, v3
	v_mul_f32_e32 v3, v147, v44
	v_add_f32_e32 v162, v158, v159
	ds_read_b128 v[158:161], v1 offset:864
	v_fma_f32 v3, v146, v45, -v3
	v_add_f32_e32 v2, v2, v3
	v_mul_f32_e32 v3, v149, v46
	s_waitcnt vmcnt(25)
	v_mul_f32_e32 v163, v156, v56
	v_fma_f32 v3, v148, v47, -v3
	s_waitcnt vmcnt(24)
	v_fmac_f32_e32 v163, v157, v57
	v_add_f32_e32 v2, v2, v3
	v_mul_f32_e32 v3, v151, v48
	v_add_f32_e32 v166, v162, v163
	ds_read_b128 v[162:165], v1 offset:880
	v_fma_f32 v3, v150, v49, -v3
	s_waitcnt vmcnt(23) lgkmcnt(1)
	v_mul_f32_e32 v167, v158, v58
	v_add_f32_e32 v2, v2, v3
	v_mul_f32_e32 v3, v153, v50
	s_waitcnt vmcnt(22)
	v_fmac_f32_e32 v167, v159, v59
	v_fma_f32 v3, v152, v51, -v3
	v_add_f32_e32 v166, v166, v167
	s_waitcnt vmcnt(20)
	v_mul_f32_e32 v167, v160, v61
	v_add_f32_e32 v2, v2, v3
	v_mul_f32_e32 v3, v155, v52
	v_fmac_f32_e32 v167, v161, v60
	v_fma_f32 v3, v154, v53, -v3
	v_add_f32_e32 v166, v166, v167
	s_waitcnt vmcnt(18) lgkmcnt(0)
	v_mul_f32_e32 v167, v162, v63
	v_add_f32_e32 v2, v2, v3
	v_mul_f32_e32 v3, v157, v56
	v_fmac_f32_e32 v167, v163, v62
	v_fma_f32 v3, v156, v57, -v3
	v_add_f32_e32 v170, v166, v167
	ds_read_b128 v[166:169], v1 offset:896
	v_add_f32_e32 v2, v2, v3
	v_mul_f32_e32 v3, v159, v58
	v_fma_f32 v3, v158, v59, -v3
	s_waitcnt vmcnt(17)
	v_mul_f32_e32 v171, v164, v64
	v_add_f32_e32 v2, v2, v3
	v_mul_f32_e32 v3, v161, v61
	s_waitcnt vmcnt(16)
	v_fmac_f32_e32 v171, v165, v65
	v_fma_f32 v3, v160, v60, -v3
	v_add_f32_e32 v174, v170, v171
	ds_read_b128 v[170:173], v1 offset:912
	v_add_f32_e32 v2, v2, v3
	v_mul_f32_e32 v3, v163, v63
	s_waitcnt vmcnt(14) lgkmcnt(1)
	v_mul_f32_e32 v175, v166, v182
	v_fma_f32 v3, v162, v62, -v3
	v_fmac_f32_e32 v175, v167, v66
	v_add_f32_e32 v2, v2, v3
	v_mul_f32_e32 v3, v165, v64
	v_add_f32_e32 v174, v174, v175
	s_waitcnt vmcnt(12)
	v_mul_f32_e32 v175, v168, v184
	v_fma_f32 v3, v164, v65, -v3
	v_fmac_f32_e32 v175, v169, v183
	v_add_f32_e32 v2, v2, v3
	v_mul_f32_e32 v3, v167, v182
	v_add_f32_e32 v174, v174, v175
	s_waitcnt vmcnt(10) lgkmcnt(0)
	v_mul_f32_e32 v175, v170, v186
	v_fma_f32 v3, v166, v66, -v3
	v_fmac_f32_e32 v175, v171, v185
	v_add_f32_e32 v2, v2, v3
	v_mul_f32_e32 v3, v169, v184
	v_add_f32_e32 v178, v174, v175
	ds_read_b128 v[174:177], v1 offset:928
	v_fma_f32 v3, v168, v183, -v3
	v_add_f32_e32 v2, v2, v3
	v_mul_f32_e32 v3, v171, v186
	s_waitcnt vmcnt(8)
	v_mul_f32_e32 v179, v172, v188
	v_fma_f32 v3, v170, v185, -v3
	v_fmac_f32_e32 v179, v173, v187
	v_add_f32_e32 v2, v2, v3
	v_mul_f32_e32 v3, v173, v188
	v_add_f32_e32 v197, v178, v179
	ds_read_b128 v[178:181], v1 offset:944
	v_fma_f32 v3, v172, v187, -v3
	v_add_f32_e32 v2, v2, v3
	s_waitcnt vmcnt(6) lgkmcnt(1)
	v_mul_f32_e32 v3, v175, v190
	v_mul_f32_e32 v1, v174, v190
	v_fma_f32 v3, v174, v189, -v3
	v_fmac_f32_e32 v1, v175, v189
	v_add_f32_e32 v2, v2, v3
	s_waitcnt vmcnt(4)
	v_mul_f32_e32 v3, v177, v192
	v_add_f32_e32 v1, v197, v1
	v_mul_f32_e32 v197, v176, v192
	v_fma_f32 v3, v176, v191, -v3
	v_fmac_f32_e32 v197, v177, v191
	v_add_f32_e32 v2, v2, v3
	s_waitcnt vmcnt(2) lgkmcnt(0)
	v_mul_f32_e32 v3, v179, v194
	v_add_f32_e32 v1, v1, v197
	v_mul_f32_e32 v197, v178, v194
	v_fma_f32 v3, v178, v193, -v3
	v_fmac_f32_e32 v197, v179, v193
	v_add_f32_e32 v2, v2, v3
	s_waitcnt vmcnt(0)
	v_mul_f32_e32 v3, v181, v196
	v_add_f32_e32 v1, v1, v197
	v_mul_f32_e32 v197, v180, v196
	v_fma_f32 v3, v180, v195, -v3
	v_fmac_f32_e32 v197, v181, v195
	v_add_f32_e32 v2, v2, v3
	v_add_f32_e32 v1, v1, v197
	v_sub_f32_e32 v2, v54, v2
	v_sub_f32_e32 v1, v55, v1
	buffer_store_dword v2, off, s[0:3], 0 offset:248
	buffer_store_dword v1, off, s[0:3], 0 offset:252
	s_and_saveexec_b64 s[4:5], vcc
	s_cbranch_execz .LBB59_313
; %bb.312:
	buffer_load_dword v1, off, s[0:3], 0 offset:240
	buffer_load_dword v2, off, s[0:3], 0 offset:244
	v_mov_b32_e32 v3, 0
	buffer_store_dword v3, off, s[0:3], 0 offset:240
	buffer_store_dword v3, off, s[0:3], 0 offset:244
	s_waitcnt vmcnt(2)
	ds_write_b64 v145, v[1:2]
.LBB59_313:
	s_or_b64 exec, exec, s[4:5]
	s_waitcnt lgkmcnt(0)
	; wave barrier
	buffer_load_dword v24, off, s[0:3], 0 offset:252
	buffer_load_dword v27, off, s[0:3], 0 offset:260
	;; [unrolled: 1-line block ×60, first 2 shown]
	v_mov_b32_e32 v1, 0
	ds_read2_b64 v[2:5], v1 offset0:91 offset1:92
	ds_read2_b64 v[6:9], v1 offset0:93 offset1:94
	;; [unrolled: 1-line block ×12, first 2 shown]
	v_cmp_lt_u32_e32 vcc, 29, v0
	s_waitcnt vmcnt(59) lgkmcnt(11)
	v_mul_f32_e32 v22, v2, v24
	s_waitcnt vmcnt(58)
	v_mul_f32_e32 v23, v4, v27
	s_waitcnt vmcnt(57) lgkmcnt(10)
	v_mul_f32_e32 v146, v6, v28
	s_waitcnt vmcnt(56)
	v_mul_f32_e32 v147, v8, v29
	;; [unrolled: 4-line block ×3, first 2 shown]
	s_waitcnt vmcnt(53) lgkmcnt(8)
	v_mul_f32_e32 v150, v14, v32
	s_waitcnt vmcnt(52)
	v_fmac_f32_e32 v22, v3, v33
	v_mul_f32_e32 v3, v3, v24
	v_fma_f32 v2, v2, v33, -v3
	v_mul_f32_e32 v3, v5, v27
	v_add_f32_e32 v2, 0, v2
	s_waitcnt vmcnt(51)
	v_fma_f32 v3, v4, v34, -v3
	v_add_f32_e32 v2, v2, v3
	v_mul_f32_e32 v3, v7, v28
	s_waitcnt vmcnt(50)
	v_fma_f32 v3, v6, v35, -v3
	v_add_f32_e32 v2, v2, v3
	v_mul_f32_e32 v3, v9, v29
	s_waitcnt vmcnt(49)
	v_fma_f32 v3, v8, v36, -v3
	v_fmac_f32_e32 v23, v5, v34
	v_add_f32_e32 v22, 0, v22
	v_add_f32_e32 v2, v2, v3
	v_mul_f32_e32 v3, v11, v30
	v_fmac_f32_e32 v146, v7, v35
	v_add_f32_e32 v22, v22, v23
	s_waitcnt vmcnt(48)
	v_fma_f32 v3, v10, v37, -v3
	v_fmac_f32_e32 v147, v9, v36
	v_add_f32_e32 v22, v22, v146
	v_add_f32_e32 v2, v2, v3
	v_mul_f32_e32 v3, v13, v31
	v_fmac_f32_e32 v148, v11, v37
	v_add_f32_e32 v22, v22, v147
	s_waitcnt vmcnt(47)
	v_fma_f32 v3, v12, v38, -v3
	v_fmac_f32_e32 v149, v13, v38
	v_add_f32_e32 v22, v22, v148
	v_add_f32_e32 v2, v2, v3
	v_mul_f32_e32 v3, v15, v32
	s_waitcnt vmcnt(46)
	v_fmac_f32_e32 v150, v15, v39
	v_add_f32_e32 v22, v22, v149
	s_waitcnt vmcnt(45)
	v_mul_f32_e32 v23, v16, v40
	v_fma_f32 v3, v14, v39, -v3
	v_add_f32_e32 v22, v22, v150
	s_waitcnt vmcnt(44)
	v_fmac_f32_e32 v23, v17, v41
	ds_read2_b64 v[146:149], v1 offset0:101 offset1:102
	ds_read2_b64 v[150:153], v1 offset0:103 offset1:104
	v_add_f32_e32 v2, v2, v3
	v_mul_f32_e32 v3, v17, v40
	v_add_f32_e32 v22, v22, v23
	s_waitcnt vmcnt(43) lgkmcnt(9)
	v_mul_f32_e32 v23, v18, v42
	v_fma_f32 v3, v16, v41, -v3
	s_waitcnt vmcnt(42)
	v_fmac_f32_e32 v23, v19, v43
	v_add_f32_e32 v2, v2, v3
	v_mul_f32_e32 v3, v19, v42
	v_add_f32_e32 v22, v22, v23
	s_waitcnt vmcnt(41)
	v_mul_f32_e32 v23, v20, v44
	v_fma_f32 v3, v18, v43, -v3
	s_waitcnt vmcnt(40)
	v_fmac_f32_e32 v23, v21, v45
	v_add_f32_e32 v2, v2, v3
	v_mul_f32_e32 v3, v21, v44
	v_add_f32_e32 v22, v22, v23
	s_waitcnt vmcnt(39) lgkmcnt(1)
	v_mul_f32_e32 v23, v146, v46
	v_fma_f32 v3, v20, v45, -v3
	s_waitcnt vmcnt(38)
	v_fmac_f32_e32 v23, v147, v47
	v_add_f32_e32 v2, v2, v3
	v_mul_f32_e32 v3, v147, v46
	v_add_f32_e32 v22, v22, v23
	s_waitcnt vmcnt(37)
	v_mul_f32_e32 v23, v148, v48
	v_fma_f32 v3, v146, v47, -v3
	s_waitcnt vmcnt(36)
	v_fmac_f32_e32 v23, v149, v49
	v_add_f32_e32 v2, v2, v3
	v_mul_f32_e32 v3, v149, v48
	v_add_f32_e32 v22, v22, v23
	s_waitcnt vmcnt(34) lgkmcnt(0)
	v_mul_f32_e32 v23, v150, v51
	v_fma_f32 v3, v148, v49, -v3
	v_fmac_f32_e32 v23, v151, v50
	v_add_f32_e32 v2, v2, v3
	v_mul_f32_e32 v3, v151, v51
	v_add_f32_e32 v22, v22, v23
	s_waitcnt vmcnt(31)
	v_mul_f32_e32 v23, v152, v54
	v_fma_f32 v3, v150, v50, -v3
	s_waitcnt vmcnt(30)
	v_fmac_f32_e32 v23, v153, v55
	v_add_f32_e32 v2, v2, v3
	v_mul_f32_e32 v3, v153, v54
	v_add_f32_e32 v22, v22, v23
	s_waitcnt vmcnt(28)
	v_mul_f32_e32 v23, v154, v57
	v_fma_f32 v3, v152, v55, -v3
	v_fmac_f32_e32 v23, v155, v56
	v_add_f32_e32 v2, v2, v3
	v_mul_f32_e32 v3, v155, v57
	v_add_f32_e32 v22, v22, v23
	s_waitcnt vmcnt(26)
	v_mul_f32_e32 v23, v156, v59
	v_fma_f32 v3, v154, v56, -v3
	;; [unrolled: 7-line block ×12, first 2 shown]
	v_fmac_f32_e32 v23, v177, v193
	v_add_f32_e32 v2, v2, v3
	v_mul_f32_e32 v3, v177, v194
	v_add_f32_e32 v201, v22, v23
	ds_read_b64 v[22:23], v1 offset:952
	v_fma_f32 v3, v176, v193, -v3
	v_add_f32_e32 v2, v2, v3
	s_waitcnt vmcnt(4)
	v_mul_f32_e32 v3, v179, v196
	v_mul_f32_e32 v202, v178, v196
	v_fma_f32 v3, v178, v195, -v3
	v_fmac_f32_e32 v202, v179, v195
	v_add_f32_e32 v2, v2, v3
	s_waitcnt vmcnt(2)
	v_mul_f32_e32 v3, v181, v198
	v_add_f32_e32 v201, v201, v202
	v_mul_f32_e32 v202, v180, v198
	v_fma_f32 v3, v180, v197, -v3
	v_fmac_f32_e32 v202, v181, v197
	v_add_f32_e32 v2, v2, v3
	s_waitcnt vmcnt(0) lgkmcnt(0)
	v_mul_f32_e32 v3, v23, v200
	v_add_f32_e32 v201, v201, v202
	v_mul_f32_e32 v202, v22, v200
	v_fma_f32 v3, v22, v199, -v3
	v_fmac_f32_e32 v202, v23, v199
	v_add_f32_e32 v2, v2, v3
	v_add_f32_e32 v201, v201, v202
	v_sub_f32_e32 v2, v52, v2
	v_sub_f32_e32 v3, v53, v201
	buffer_store_dword v2, off, s[0:3], 0 offset:240
	buffer_store_dword v3, off, s[0:3], 0 offset:244
	s_and_saveexec_b64 s[4:5], vcc
	s_cbranch_execz .LBB59_315
; %bb.314:
	buffer_load_dword v2, off, s[0:3], 0 offset:232
	buffer_load_dword v3, off, s[0:3], 0 offset:236
	s_waitcnt vmcnt(0)
	ds_write_b64 v145, v[2:3]
	buffer_store_dword v1, off, s[0:3], 0 offset:232
	buffer_store_dword v1, off, s[0:3], 0 offset:236
.LBB59_315:
	s_or_b64 exec, exec, s[4:5]
	s_waitcnt lgkmcnt(0)
	; wave barrier
	buffer_load_dword v22, off, s[0:3], 0 offset:244
	buffer_load_dword v23, off, s[0:3], 0 offset:252
	;; [unrolled: 1-line block ×32, first 2 shown]
	ds_read_b128 v[2:5], v1 offset:720
	ds_read_b128 v[6:9], v1 offset:736
	;; [unrolled: 1-line block ×4, first 2 shown]
	buffer_load_dword v56, off, s[0:3], 0 offset:364
	buffer_load_dword v57, off, s[0:3], 0 offset:360
	;; [unrolled: 1-line block ×30, first 2 shown]
	v_cmp_lt_u32_e32 vcc, 28, v0
	s_waitcnt vmcnt(61) lgkmcnt(3)
	v_mul_f32_e32 v18, v2, v22
	s_waitcnt vmcnt(60)
	v_mul_f32_e32 v19, v4, v23
	s_waitcnt vmcnt(59) lgkmcnt(2)
	v_mul_f32_e32 v20, v6, v24
	s_waitcnt vmcnt(58)
	v_mul_f32_e32 v21, v8, v27
	;; [unrolled: 4-line block ×3, first 2 shown]
	s_waitcnt vmcnt(55) lgkmcnt(0)
	v_mul_f32_e32 v148, v14, v30
	s_waitcnt vmcnt(54)
	v_fmac_f32_e32 v18, v3, v31
	s_waitcnt vmcnt(53)
	v_fmac_f32_e32 v19, v5, v32
	v_add_f32_e32 v18, 0, v18
	s_waitcnt vmcnt(52)
	v_fmac_f32_e32 v20, v7, v33
	v_add_f32_e32 v18, v18, v19
	;; [unrolled: 3-line block ×6, first 2 shown]
	v_add_f32_e32 v146, v18, v148
	ds_read_b128 v[18:21], v1 offset:784
	s_waitcnt vmcnt(47)
	v_mul_f32_e32 v147, v16, v38
	s_waitcnt vmcnt(46)
	v_fmac_f32_e32 v147, v17, v39
	v_mul_f32_e32 v3, v3, v22
	v_add_f32_e32 v150, v146, v147
	ds_read_b128 v[146:149], v1 offset:800
	v_fma_f32 v2, v2, v31, -v3
	v_mul_f32_e32 v3, v5, v23
	s_waitcnt vmcnt(45) lgkmcnt(1)
	v_mul_f32_e32 v151, v18, v40
	v_add_f32_e32 v2, 0, v2
	v_fma_f32 v3, v4, v32, -v3
	s_waitcnt vmcnt(44)
	v_fmac_f32_e32 v151, v19, v41
	v_add_f32_e32 v2, v2, v3
	v_mul_f32_e32 v3, v7, v24
	v_add_f32_e32 v150, v150, v151
	s_waitcnt vmcnt(43)
	v_mul_f32_e32 v151, v20, v42
	v_fma_f32 v3, v6, v33, -v3
	s_waitcnt vmcnt(42)
	v_fmac_f32_e32 v151, v21, v43
	v_add_f32_e32 v2, v2, v3
	v_mul_f32_e32 v3, v9, v27
	v_add_f32_e32 v150, v150, v151
	s_waitcnt vmcnt(41) lgkmcnt(0)
	v_mul_f32_e32 v151, v146, v44
	v_fma_f32 v3, v8, v34, -v3
	s_waitcnt vmcnt(40)
	v_fmac_f32_e32 v151, v147, v45
	v_add_f32_e32 v2, v2, v3
	v_mul_f32_e32 v3, v11, v28
	v_add_f32_e32 v154, v150, v151
	ds_read_b128 v[150:153], v1 offset:816
	v_fma_f32 v3, v10, v35, -v3
	v_add_f32_e32 v2, v2, v3
	v_mul_f32_e32 v3, v13, v29
	s_waitcnt vmcnt(39)
	v_mul_f32_e32 v155, v148, v46
	v_fma_f32 v3, v12, v36, -v3
	s_waitcnt vmcnt(38)
	v_fmac_f32_e32 v155, v149, v47
	v_add_f32_e32 v2, v2, v3
	v_mul_f32_e32 v3, v15, v30
	v_add_f32_e32 v158, v154, v155
	ds_read_b128 v[154:157], v1 offset:832
	v_fma_f32 v3, v14, v37, -v3
	s_waitcnt vmcnt(35) lgkmcnt(1)
	v_mul_f32_e32 v159, v150, v50
	v_add_f32_e32 v2, v2, v3
	v_mul_f32_e32 v3, v17, v38
	s_waitcnt vmcnt(34)
	v_fmac_f32_e32 v159, v151, v51
	v_fma_f32 v3, v16, v39, -v3
	v_add_f32_e32 v158, v158, v159
	s_waitcnt vmcnt(32)
	v_mul_f32_e32 v159, v152, v53
	v_add_f32_e32 v2, v2, v3
	v_mul_f32_e32 v3, v19, v40
	v_fmac_f32_e32 v159, v153, v52
	v_fma_f32 v3, v18, v41, -v3
	v_add_f32_e32 v158, v158, v159
	s_waitcnt vmcnt(30) lgkmcnt(0)
	v_mul_f32_e32 v159, v154, v55
	v_add_f32_e32 v2, v2, v3
	v_mul_f32_e32 v3, v21, v42
	v_fmac_f32_e32 v159, v155, v54
	v_fma_f32 v3, v20, v43, -v3
	v_add_f32_e32 v162, v158, v159
	ds_read_b128 v[158:161], v1 offset:848
	v_add_f32_e32 v2, v2, v3
	v_mul_f32_e32 v3, v147, v44
	v_fma_f32 v3, v146, v45, -v3
	s_waitcnt vmcnt(29)
	v_mul_f32_e32 v163, v156, v56
	v_add_f32_e32 v2, v2, v3
	v_mul_f32_e32 v3, v149, v46
	s_waitcnt vmcnt(28)
	v_fmac_f32_e32 v163, v157, v57
	v_fma_f32 v3, v148, v47, -v3
	v_add_f32_e32 v166, v162, v163
	ds_read_b128 v[162:165], v1 offset:864
	v_add_f32_e32 v2, v2, v3
	v_mul_f32_e32 v3, v151, v50
	s_waitcnt vmcnt(26) lgkmcnt(1)
	v_mul_f32_e32 v167, v158, v59
	v_fma_f32 v3, v150, v51, -v3
	v_fmac_f32_e32 v167, v159, v58
	v_add_f32_e32 v2, v2, v3
	v_mul_f32_e32 v3, v153, v53
	v_add_f32_e32 v166, v166, v167
	s_waitcnt vmcnt(24)
	v_mul_f32_e32 v167, v160, v61
	v_fma_f32 v3, v152, v52, -v3
	v_fmac_f32_e32 v167, v161, v60
	v_add_f32_e32 v2, v2, v3
	v_mul_f32_e32 v3, v155, v55
	v_add_f32_e32 v166, v166, v167
	s_waitcnt vmcnt(22) lgkmcnt(0)
	v_mul_f32_e32 v167, v162, v63
	v_fma_f32 v3, v154, v54, -v3
	v_fmac_f32_e32 v167, v163, v62
	v_add_f32_e32 v2, v2, v3
	v_mul_f32_e32 v3, v157, v56
	v_add_f32_e32 v170, v166, v167
	ds_read_b128 v[166:169], v1 offset:880
	v_fma_f32 v3, v156, v57, -v3
	v_add_f32_e32 v2, v2, v3
	v_mul_f32_e32 v3, v159, v59
	s_waitcnt vmcnt(20)
	v_mul_f32_e32 v171, v164, v65
	v_fma_f32 v3, v158, v58, -v3
	v_fmac_f32_e32 v171, v165, v64
	v_add_f32_e32 v2, v2, v3
	v_mul_f32_e32 v3, v161, v61
	v_add_f32_e32 v174, v170, v171
	ds_read_b128 v[170:173], v1 offset:896
	v_fma_f32 v3, v160, v60, -v3
	s_waitcnt vmcnt(18) lgkmcnt(1)
	v_mul_f32_e32 v175, v166, v186
	v_add_f32_e32 v2, v2, v3
	v_mul_f32_e32 v3, v163, v63
	v_fmac_f32_e32 v175, v167, v66
	v_fma_f32 v3, v162, v62, -v3
	v_add_f32_e32 v174, v174, v175
	s_waitcnt vmcnt(16)
	v_mul_f32_e32 v175, v168, v188
	v_add_f32_e32 v2, v2, v3
	v_mul_f32_e32 v3, v165, v65
	v_fmac_f32_e32 v175, v169, v187
	v_fma_f32 v3, v164, v64, -v3
	v_add_f32_e32 v174, v174, v175
	s_waitcnt vmcnt(14) lgkmcnt(0)
	v_mul_f32_e32 v175, v170, v190
	v_add_f32_e32 v2, v2, v3
	v_mul_f32_e32 v3, v167, v186
	v_fmac_f32_e32 v175, v171, v189
	v_fma_f32 v3, v166, v66, -v3
	v_add_f32_e32 v178, v174, v175
	ds_read_b128 v[174:177], v1 offset:912
	v_add_f32_e32 v2, v2, v3
	v_mul_f32_e32 v3, v169, v188
	v_fma_f32 v3, v168, v187, -v3
	v_add_f32_e32 v2, v2, v3
	v_mul_f32_e32 v3, v171, v190
	s_waitcnt vmcnt(12)
	v_mul_f32_e32 v179, v172, v192
	v_fma_f32 v3, v170, v189, -v3
	v_fmac_f32_e32 v179, v173, v191
	v_add_f32_e32 v2, v2, v3
	v_mul_f32_e32 v3, v173, v192
	v_add_f32_e32 v182, v178, v179
	ds_read_b128 v[178:181], v1 offset:928
	s_waitcnt vmcnt(10) lgkmcnt(1)
	v_mul_f32_e32 v183, v174, v194
	v_fma_f32 v3, v172, v191, -v3
	v_fmac_f32_e32 v183, v175, v193
	v_add_f32_e32 v2, v2, v3
	v_mul_f32_e32 v3, v175, v194
	v_add_f32_e32 v182, v182, v183
	s_waitcnt vmcnt(8)
	v_mul_f32_e32 v183, v176, v196
	v_fma_f32 v3, v174, v193, -v3
	v_fmac_f32_e32 v183, v177, v195
	v_add_f32_e32 v2, v2, v3
	v_mul_f32_e32 v3, v177, v196
	v_add_f32_e32 v205, v182, v183
	ds_read_b128 v[182:185], v1 offset:944
	v_fma_f32 v3, v176, v195, -v3
	v_add_f32_e32 v2, v2, v3
	s_waitcnt vmcnt(6) lgkmcnt(1)
	v_mul_f32_e32 v3, v179, v198
	v_mul_f32_e32 v206, v178, v198
	v_fma_f32 v3, v178, v197, -v3
	v_fmac_f32_e32 v206, v179, v197
	v_add_f32_e32 v2, v2, v3
	s_waitcnt vmcnt(4)
	v_mul_f32_e32 v3, v181, v200
	v_add_f32_e32 v1, v205, v206
	v_mul_f32_e32 v205, v180, v200
	v_fma_f32 v3, v180, v199, -v3
	v_fmac_f32_e32 v205, v181, v199
	v_add_f32_e32 v2, v2, v3
	s_waitcnt vmcnt(2) lgkmcnt(0)
	v_mul_f32_e32 v3, v183, v202
	v_add_f32_e32 v1, v1, v205
	v_mul_f32_e32 v205, v182, v202
	v_fma_f32 v3, v182, v201, -v3
	v_fmac_f32_e32 v205, v183, v201
	v_add_f32_e32 v2, v2, v3
	s_waitcnt vmcnt(0)
	v_mul_f32_e32 v3, v185, v204
	v_add_f32_e32 v1, v1, v205
	v_mul_f32_e32 v205, v184, v204
	v_fma_f32 v3, v184, v203, -v3
	v_fmac_f32_e32 v205, v185, v203
	v_add_f32_e32 v2, v2, v3
	v_add_f32_e32 v1, v1, v205
	v_sub_f32_e32 v2, v48, v2
	v_sub_f32_e32 v1, v49, v1
	buffer_store_dword v2, off, s[0:3], 0 offset:232
	buffer_store_dword v1, off, s[0:3], 0 offset:236
	s_and_saveexec_b64 s[4:5], vcc
	s_cbranch_execz .LBB59_317
; %bb.316:
	buffer_load_dword v1, off, s[0:3], 0 offset:224
	buffer_load_dword v2, off, s[0:3], 0 offset:228
	v_mov_b32_e32 v3, 0
	buffer_store_dword v3, off, s[0:3], 0 offset:224
	buffer_store_dword v3, off, s[0:3], 0 offset:228
	s_waitcnt vmcnt(2)
	ds_write_b64 v145, v[1:2]
.LBB59_317:
	s_or_b64 exec, exec, s[4:5]
	s_waitcnt lgkmcnt(0)
	; wave barrier
	buffer_load_dword v24, off, s[0:3], 0 offset:236
	buffer_load_dword v27, off, s[0:3], 0 offset:244
	;; [unrolled: 1-line block ×24, first 2 shown]
	v_mov_b32_e32 v1, 0
	buffer_load_dword v50, off, s[0:3], 0 offset:324
	buffer_load_dword v51, off, s[0:3], 0 offset:320
	;; [unrolled: 1-line block ×32, first 2 shown]
	ds_read2_b64 v[2:5], v1 offset0:89 offset1:90
	buffer_load_dword v201, off, s[0:3], 0 offset:448
	buffer_load_dword v202, off, s[0:3], 0 offset:452
	;; [unrolled: 1-line block ×4, first 2 shown]
	ds_read2_b64 v[6:9], v1 offset0:91 offset1:92
	ds_read2_b64 v[10:13], v1 offset0:93 offset1:94
	;; [unrolled: 1-line block ×3, first 2 shown]
	v_cmp_lt_u32_e32 vcc, 27, v0
	s_waitcnt vmcnt(59) lgkmcnt(3)
	v_mul_f32_e32 v18, v2, v24
	s_waitcnt vmcnt(58)
	v_mul_f32_e32 v19, v4, v27
	s_waitcnt vmcnt(57) lgkmcnt(2)
	v_mul_f32_e32 v20, v6, v28
	s_waitcnt vmcnt(56)
	v_mul_f32_e32 v21, v8, v29
	;; [unrolled: 4-line block ×4, first 2 shown]
	s_waitcnt vmcnt(51)
	v_fmac_f32_e32 v18, v3, v34
	s_waitcnt vmcnt(50)
	v_fmac_f32_e32 v19, v5, v35
	v_add_f32_e32 v18, 0, v18
	s_waitcnt vmcnt(49)
	v_fmac_f32_e32 v20, v7, v36
	v_add_f32_e32 v18, v18, v19
	;; [unrolled: 3-line block ×6, first 2 shown]
	v_add_f32_e32 v22, v18, v146
	ds_read2_b64 v[18:21], v1 offset0:97 offset1:98
	buffer_load_dword v205, off, s[0:3], 0 offset:468
	buffer_load_dword v206, off, s[0:3], 0 offset:464
	;; [unrolled: 1-line block ×4, first 2 shown]
	v_mul_f32_e32 v3, v3, v24
	v_fma_f32 v2, v2, v34, -v3
	v_mul_f32_e32 v3, v5, v27
	v_add_f32_e32 v2, 0, v2
	v_fma_f32 v3, v4, v35, -v3
	v_add_f32_e32 v2, v2, v3
	v_mul_f32_e32 v3, v7, v28
	v_fma_f32 v3, v6, v36, -v3
	v_add_f32_e32 v2, v2, v3
	v_mul_f32_e32 v3, v9, v29
	;; [unrolled: 3-line block ×5, first 2 shown]
	s_waitcnt vmcnt(48)
	v_fmac_f32_e32 v147, v17, v41
	v_fma_f32 v3, v14, v40, -v3
	v_add_f32_e32 v22, v22, v147
	ds_read2_b64 v[146:149], v1 offset0:99 offset1:100
	ds_read2_b64 v[150:153], v1 offset0:101 offset1:102
	v_add_f32_e32 v2, v2, v3
	v_mul_f32_e32 v3, v17, v33
	s_waitcnt vmcnt(47) lgkmcnt(2)
	v_mul_f32_e32 v23, v18, v42
	v_fma_f32 v3, v16, v41, -v3
	s_waitcnt vmcnt(46)
	v_fmac_f32_e32 v23, v19, v43
	v_add_f32_e32 v2, v2, v3
	v_mul_f32_e32 v3, v19, v42
	v_add_f32_e32 v22, v22, v23
	s_waitcnt vmcnt(45)
	v_mul_f32_e32 v23, v20, v44
	v_fma_f32 v3, v18, v43, -v3
	s_waitcnt vmcnt(44)
	v_fmac_f32_e32 v23, v21, v45
	v_add_f32_e32 v2, v2, v3
	v_mul_f32_e32 v3, v21, v44
	v_add_f32_e32 v22, v22, v23
	s_waitcnt vmcnt(42) lgkmcnt(1)
	v_mul_f32_e32 v23, v146, v47
	v_fma_f32 v3, v20, v45, -v3
	v_fmac_f32_e32 v23, v147, v46
	v_add_f32_e32 v2, v2, v3
	v_mul_f32_e32 v3, v147, v47
	v_add_f32_e32 v22, v22, v23
	s_waitcnt vmcnt(39)
	v_mul_f32_e32 v23, v148, v50
	v_fma_f32 v3, v146, v46, -v3
	s_waitcnt vmcnt(38)
	v_fmac_f32_e32 v23, v149, v51
	ds_read2_b64 v[154:157], v1 offset0:103 offset1:104
	ds_read2_b64 v[158:161], v1 offset0:105 offset1:106
	v_add_f32_e32 v2, v2, v3
	v_mul_f32_e32 v3, v149, v50
	v_add_f32_e32 v22, v22, v23
	s_waitcnt vmcnt(36) lgkmcnt(2)
	v_mul_f32_e32 v23, v150, v53
	v_fma_f32 v3, v148, v51, -v3
	v_fmac_f32_e32 v23, v151, v52
	v_add_f32_e32 v2, v2, v3
	v_mul_f32_e32 v3, v151, v53
	v_add_f32_e32 v22, v22, v23
	s_waitcnt vmcnt(34)
	v_mul_f32_e32 v23, v152, v55
	v_fma_f32 v3, v150, v52, -v3
	v_fmac_f32_e32 v23, v153, v54
	v_add_f32_e32 v2, v2, v3
	v_mul_f32_e32 v3, v153, v55
	v_add_f32_e32 v22, v22, v23
	s_waitcnt vmcnt(32) lgkmcnt(1)
	v_mul_f32_e32 v23, v154, v57
	v_fma_f32 v3, v152, v54, -v3
	v_fmac_f32_e32 v23, v155, v56
	v_add_f32_e32 v2, v2, v3
	v_mul_f32_e32 v3, v155, v57
	v_add_f32_e32 v22, v22, v23
	s_waitcnt vmcnt(30)
	v_mul_f32_e32 v23, v156, v59
	v_fma_f32 v3, v154, v56, -v3
	v_fmac_f32_e32 v23, v157, v58
	ds_read2_b64 v[162:165], v1 offset0:107 offset1:108
	ds_read2_b64 v[166:169], v1 offset0:109 offset1:110
	v_add_f32_e32 v2, v2, v3
	v_mul_f32_e32 v3, v157, v59
	v_add_f32_e32 v22, v22, v23
	s_waitcnt vmcnt(28) lgkmcnt(2)
	v_mul_f32_e32 v23, v158, v61
	v_fma_f32 v3, v156, v58, -v3
	v_fmac_f32_e32 v23, v159, v60
	v_add_f32_e32 v2, v2, v3
	v_mul_f32_e32 v3, v159, v61
	v_add_f32_e32 v22, v22, v23
	s_waitcnt vmcnt(26)
	v_mul_f32_e32 v23, v160, v63
	v_fma_f32 v3, v158, v60, -v3
	v_fmac_f32_e32 v23, v161, v62
	v_add_f32_e32 v2, v2, v3
	v_mul_f32_e32 v3, v161, v63
	v_add_f32_e32 v22, v22, v23
	s_waitcnt vmcnt(24) lgkmcnt(1)
	v_mul_f32_e32 v23, v162, v65
	v_fma_f32 v3, v160, v62, -v3
	v_fmac_f32_e32 v23, v163, v64
	v_add_f32_e32 v2, v2, v3
	v_mul_f32_e32 v3, v163, v65
	v_add_f32_e32 v22, v22, v23
	s_waitcnt vmcnt(22)
	v_mul_f32_e32 v23, v164, v186
	v_fma_f32 v3, v162, v64, -v3
	;; [unrolled: 30-line block ×4, first 2 shown]
	v_fmac_f32_e32 v23, v181, v201
	v_add_f32_e32 v2, v2, v3
	v_mul_f32_e32 v3, v181, v202
	v_add_f32_e32 v209, v22, v23
	ds_read_b64 v[22:23], v1 offset:952
	v_fma_f32 v3, v180, v201, -v3
	v_add_f32_e32 v2, v2, v3
	s_waitcnt vmcnt(4) lgkmcnt(1)
	v_mul_f32_e32 v3, v183, v204
	v_mul_f32_e32 v210, v182, v204
	v_fma_f32 v3, v182, v203, -v3
	v_fmac_f32_e32 v210, v183, v203
	v_add_f32_e32 v2, v2, v3
	s_waitcnt vmcnt(3)
	v_mul_f32_e32 v3, v185, v205
	v_add_f32_e32 v209, v209, v210
	v_mul_f32_e32 v210, v184, v205
	s_waitcnt vmcnt(2)
	v_fma_f32 v3, v184, v206, -v3
	v_fmac_f32_e32 v210, v185, v206
	v_add_f32_e32 v2, v2, v3
	s_waitcnt vmcnt(0) lgkmcnt(0)
	v_mul_f32_e32 v3, v23, v208
	v_add_f32_e32 v209, v209, v210
	v_mul_f32_e32 v210, v22, v208
	v_fma_f32 v3, v22, v207, -v3
	v_fmac_f32_e32 v210, v23, v207
	v_add_f32_e32 v2, v2, v3
	v_add_f32_e32 v209, v209, v210
	v_sub_f32_e32 v2, v48, v2
	v_sub_f32_e32 v3, v49, v209
	buffer_store_dword v2, off, s[0:3], 0 offset:224
	buffer_store_dword v3, off, s[0:3], 0 offset:228
	s_and_saveexec_b64 s[4:5], vcc
	s_cbranch_execz .LBB59_319
; %bb.318:
	buffer_load_dword v2, off, s[0:3], 0 offset:216
	buffer_load_dword v3, off, s[0:3], 0 offset:220
	s_waitcnt vmcnt(0)
	ds_write_b64 v145, v[2:3]
	buffer_store_dword v1, off, s[0:3], 0 offset:216
	buffer_store_dword v1, off, s[0:3], 0 offset:220
.LBB59_319:
	s_or_b64 exec, exec, s[4:5]
	s_waitcnt lgkmcnt(0)
	; wave barrier
	buffer_load_dword v22, off, s[0:3], 0 offset:228
	buffer_load_dword v23, off, s[0:3], 0 offset:236
	;; [unrolled: 1-line block ×26, first 2 shown]
	ds_read_b128 v[2:5], v1 offset:704
	ds_read_b128 v[6:9], v1 offset:720
	;; [unrolled: 1-line block ×4, first 2 shown]
	buffer_load_dword v50, off, s[0:3], 0 offset:324
	buffer_load_dword v51, off, s[0:3], 0 offset:320
	;; [unrolled: 1-line block ×34, first 2 shown]
	v_cmp_lt_u32_e32 vcc, 26, v0
	s_waitcnt vmcnt(59) lgkmcnt(3)
	v_mul_f32_e32 v18, v2, v22
	s_waitcnt vmcnt(58)
	v_mul_f32_e32 v19, v4, v23
	s_waitcnt vmcnt(57) lgkmcnt(2)
	v_mul_f32_e32 v20, v6, v24
	s_waitcnt vmcnt(56)
	v_mul_f32_e32 v21, v8, v27
	;; [unrolled: 4-line block ×4, first 2 shown]
	s_waitcnt vmcnt(51)
	v_fmac_f32_e32 v18, v3, v32
	s_waitcnt vmcnt(50)
	v_fmac_f32_e32 v19, v5, v33
	v_add_f32_e32 v18, 0, v18
	s_waitcnt vmcnt(49)
	v_fmac_f32_e32 v20, v7, v34
	v_add_f32_e32 v18, v18, v19
	;; [unrolled: 3-line block ×7, first 2 shown]
	v_add_f32_e32 v150, v18, v149
	ds_read_b128 v[18:21], v1 offset:768
	buffer_load_dword v207, off, s[0:3], 0 offset:460
	buffer_load_dword v208, off, s[0:3], 0 offset:456
	buffer_load_dword v209, off, s[0:3], 0 offset:464
	buffer_load_dword v210, off, s[0:3], 0 offset:468
	ds_read_b128 v[146:149], v1 offset:784
	buffer_load_dword v211, off, s[0:3], 0 offset:472
	buffer_load_dword v212, off, s[0:3], 0 offset:476
	v_mul_f32_e32 v3, v3, v22
	s_waitcnt vmcnt(49) lgkmcnt(1)
	v_mul_f32_e32 v151, v18, v40
	s_waitcnt vmcnt(48)
	v_fmac_f32_e32 v151, v19, v41
	v_fma_f32 v2, v2, v32, -v3
	v_mul_f32_e32 v3, v5, v23
	v_add_f32_e32 v150, v150, v151
	s_waitcnt vmcnt(46)
	v_mul_f32_e32 v151, v20, v43
	v_add_f32_e32 v2, 0, v2
	v_fma_f32 v3, v4, v33, -v3
	v_fmac_f32_e32 v151, v21, v42
	v_add_f32_e32 v2, v2, v3
	v_mul_f32_e32 v3, v7, v24
	v_add_f32_e32 v150, v150, v151
	s_waitcnt vmcnt(43) lgkmcnt(0)
	v_mul_f32_e32 v151, v146, v46
	v_fma_f32 v3, v6, v34, -v3
	s_waitcnt vmcnt(42)
	v_fmac_f32_e32 v151, v147, v47
	v_add_f32_e32 v2, v2, v3
	v_mul_f32_e32 v3, v9, v27
	v_add_f32_e32 v154, v150, v151
	ds_read_b128 v[150:153], v1 offset:800
	v_fma_f32 v3, v8, v35, -v3
	v_add_f32_e32 v2, v2, v3
	v_mul_f32_e32 v3, v11, v28
	s_waitcnt vmcnt(40)
	v_mul_f32_e32 v155, v148, v49
	v_fma_f32 v3, v10, v36, -v3
	v_fmac_f32_e32 v155, v149, v48
	v_add_f32_e32 v2, v2, v3
	v_mul_f32_e32 v3, v13, v29
	v_add_f32_e32 v158, v154, v155
	ds_read_b128 v[154:157], v1 offset:816
	v_fma_f32 v3, v12, v37, -v3
	s_waitcnt vmcnt(39) lgkmcnt(1)
	v_mul_f32_e32 v159, v150, v50
	v_add_f32_e32 v2, v2, v3
	v_mul_f32_e32 v3, v15, v30
	s_waitcnt vmcnt(38)
	v_fmac_f32_e32 v159, v151, v51
	v_fma_f32 v3, v14, v38, -v3
	v_add_f32_e32 v158, v158, v159
	s_waitcnt vmcnt(36)
	v_mul_f32_e32 v159, v152, v53
	v_add_f32_e32 v2, v2, v3
	v_mul_f32_e32 v3, v17, v31
	v_fmac_f32_e32 v159, v153, v52
	v_fma_f32 v3, v16, v39, -v3
	v_add_f32_e32 v158, v158, v159
	s_waitcnt vmcnt(34) lgkmcnt(0)
	v_mul_f32_e32 v159, v154, v55
	v_add_f32_e32 v2, v2, v3
	v_mul_f32_e32 v3, v19, v40
	v_fmac_f32_e32 v159, v155, v54
	v_fma_f32 v3, v18, v41, -v3
	v_add_f32_e32 v162, v158, v159
	ds_read_b128 v[158:161], v1 offset:832
	v_add_f32_e32 v2, v2, v3
	v_mul_f32_e32 v3, v21, v43
	v_fma_f32 v3, v20, v42, -v3
	s_waitcnt vmcnt(32)
	v_mul_f32_e32 v163, v156, v57
	v_add_f32_e32 v2, v2, v3
	v_mul_f32_e32 v3, v147, v46
	v_fmac_f32_e32 v163, v157, v56
	v_fma_f32 v3, v146, v47, -v3
	v_add_f32_e32 v166, v162, v163
	ds_read_b128 v[162:165], v1 offset:848
	v_add_f32_e32 v2, v2, v3
	v_mul_f32_e32 v3, v149, v49
	s_waitcnt vmcnt(30) lgkmcnt(1)
	v_mul_f32_e32 v167, v158, v59
	v_fma_f32 v3, v148, v48, -v3
	v_fmac_f32_e32 v167, v159, v58
	v_add_f32_e32 v2, v2, v3
	v_mul_f32_e32 v3, v151, v50
	v_add_f32_e32 v166, v166, v167
	s_waitcnt vmcnt(28)
	v_mul_f32_e32 v167, v160, v61
	v_fma_f32 v3, v150, v51, -v3
	v_fmac_f32_e32 v167, v161, v60
	v_add_f32_e32 v2, v2, v3
	v_mul_f32_e32 v3, v153, v53
	v_add_f32_e32 v166, v166, v167
	s_waitcnt vmcnt(26) lgkmcnt(0)
	v_mul_f32_e32 v167, v162, v63
	v_fma_f32 v3, v152, v52, -v3
	v_fmac_f32_e32 v167, v163, v62
	v_add_f32_e32 v2, v2, v3
	v_mul_f32_e32 v3, v155, v55
	v_add_f32_e32 v170, v166, v167
	ds_read_b128 v[166:169], v1 offset:864
	v_fma_f32 v3, v154, v54, -v3
	v_add_f32_e32 v2, v2, v3
	v_mul_f32_e32 v3, v157, v57
	s_waitcnt vmcnt(24)
	v_mul_f32_e32 v171, v164, v65
	v_fma_f32 v3, v156, v56, -v3
	v_fmac_f32_e32 v171, v165, v64
	v_add_f32_e32 v2, v2, v3
	v_mul_f32_e32 v3, v159, v59
	v_add_f32_e32 v174, v170, v171
	ds_read_b128 v[170:173], v1 offset:880
	v_fma_f32 v3, v158, v58, -v3
	s_waitcnt vmcnt(22) lgkmcnt(1)
	v_mul_f32_e32 v175, v166, v190
	v_add_f32_e32 v2, v2, v3
	v_mul_f32_e32 v3, v161, v61
	v_fmac_f32_e32 v175, v167, v66
	v_fma_f32 v3, v160, v60, -v3
	v_add_f32_e32 v174, v174, v175
	s_waitcnt vmcnt(20)
	v_mul_f32_e32 v175, v168, v192
	v_add_f32_e32 v2, v2, v3
	v_mul_f32_e32 v3, v163, v63
	v_fmac_f32_e32 v175, v169, v191
	v_fma_f32 v3, v162, v62, -v3
	v_add_f32_e32 v174, v174, v175
	s_waitcnt vmcnt(18) lgkmcnt(0)
	v_mul_f32_e32 v175, v170, v194
	v_add_f32_e32 v2, v2, v3
	v_mul_f32_e32 v3, v165, v65
	v_fmac_f32_e32 v175, v171, v193
	v_fma_f32 v3, v164, v64, -v3
	v_add_f32_e32 v178, v174, v175
	ds_read_b128 v[174:177], v1 offset:896
	v_add_f32_e32 v2, v2, v3
	v_mul_f32_e32 v3, v167, v190
	v_fma_f32 v3, v166, v66, -v3
	s_waitcnt vmcnt(16)
	v_mul_f32_e32 v179, v172, v196
	v_add_f32_e32 v2, v2, v3
	v_mul_f32_e32 v3, v169, v192
	v_fmac_f32_e32 v179, v173, v195
	v_fma_f32 v3, v168, v191, -v3
	v_add_f32_e32 v182, v178, v179
	ds_read_b128 v[178:181], v1 offset:912
	v_add_f32_e32 v2, v2, v3
	v_mul_f32_e32 v3, v171, v194
	s_waitcnt vmcnt(14) lgkmcnt(1)
	v_mul_f32_e32 v183, v174, v198
	v_fma_f32 v3, v170, v193, -v3
	v_fmac_f32_e32 v183, v175, v197
	v_add_f32_e32 v2, v2, v3
	v_mul_f32_e32 v3, v173, v196
	v_add_f32_e32 v182, v182, v183
	s_waitcnt vmcnt(12)
	v_mul_f32_e32 v183, v176, v200
	v_fma_f32 v3, v172, v195, -v3
	v_fmac_f32_e32 v183, v177, v199
	v_add_f32_e32 v2, v2, v3
	v_mul_f32_e32 v3, v175, v198
	v_add_f32_e32 v182, v182, v183
	s_waitcnt vmcnt(10) lgkmcnt(0)
	v_mul_f32_e32 v183, v178, v202
	v_fma_f32 v3, v174, v197, -v3
	v_fmac_f32_e32 v183, v179, v201
	v_add_f32_e32 v2, v2, v3
	v_mul_f32_e32 v3, v177, v200
	v_add_f32_e32 v186, v182, v183
	ds_read_b128 v[182:185], v1 offset:928
	v_fma_f32 v3, v176, v199, -v3
	v_add_f32_e32 v2, v2, v3
	v_mul_f32_e32 v3, v179, v202
	s_waitcnt vmcnt(8)
	v_mul_f32_e32 v187, v180, v204
	v_fma_f32 v3, v178, v201, -v3
	v_fmac_f32_e32 v187, v181, v203
	v_add_f32_e32 v2, v2, v3
	v_mul_f32_e32 v3, v181, v204
	v_add_f32_e32 v213, v186, v187
	ds_read_b128 v[186:189], v1 offset:944
	v_fma_f32 v3, v180, v203, -v3
	v_add_f32_e32 v2, v2, v3
	s_waitcnt vmcnt(6) lgkmcnt(1)
	v_mul_f32_e32 v3, v183, v206
	v_mul_f32_e32 v1, v182, v206
	v_fma_f32 v3, v182, v205, -v3
	v_fmac_f32_e32 v1, v183, v205
	v_add_f32_e32 v2, v2, v3
	s_waitcnt vmcnt(5)
	v_mul_f32_e32 v3, v185, v207
	v_add_f32_e32 v1, v213, v1
	v_mul_f32_e32 v213, v184, v207
	s_waitcnt vmcnt(4)
	v_fma_f32 v3, v184, v208, -v3
	v_fmac_f32_e32 v213, v185, v208
	v_add_f32_e32 v2, v2, v3
	s_waitcnt vmcnt(2) lgkmcnt(0)
	v_mul_f32_e32 v3, v187, v210
	v_add_f32_e32 v1, v1, v213
	v_mul_f32_e32 v213, v186, v210
	v_fma_f32 v3, v186, v209, -v3
	v_fmac_f32_e32 v213, v187, v209
	v_add_f32_e32 v2, v2, v3
	s_waitcnt vmcnt(0)
	v_mul_f32_e32 v3, v189, v212
	v_add_f32_e32 v1, v1, v213
	v_mul_f32_e32 v213, v188, v212
	v_fma_f32 v3, v188, v211, -v3
	v_fmac_f32_e32 v213, v189, v211
	v_add_f32_e32 v2, v2, v3
	v_add_f32_e32 v1, v1, v213
	v_sub_f32_e32 v2, v44, v2
	v_sub_f32_e32 v1, v45, v1
	buffer_store_dword v2, off, s[0:3], 0 offset:216
	buffer_store_dword v1, off, s[0:3], 0 offset:220
	s_and_saveexec_b64 s[4:5], vcc
	s_cbranch_execz .LBB59_321
; %bb.320:
	buffer_load_dword v1, off, s[0:3], 0 offset:208
	buffer_load_dword v2, off, s[0:3], 0 offset:212
	v_mov_b32_e32 v3, 0
	buffer_store_dword v3, off, s[0:3], 0 offset:208
	buffer_store_dword v3, off, s[0:3], 0 offset:212
	s_waitcnt vmcnt(2)
	ds_write_b64 v145, v[1:2]
.LBB59_321:
	s_or_b64 exec, exec, s[4:5]
	s_waitcnt lgkmcnt(0)
	; wave barrier
	buffer_load_dword v24, off, s[0:3], 0 offset:276
	buffer_load_dword v27, off, s[0:3], 0 offset:220
	;; [unrolled: 1-line block ×58, first 2 shown]
	v_mov_b32_e32 v1, 0
	ds_read2_b64 v[2:5], v1 offset0:87 offset1:88
	ds_read2_b64 v[6:9], v1 offset0:89 offset1:90
	;; [unrolled: 1-line block ×5, first 2 shown]
	buffer_load_dword v207, off, s[0:3], 0 offset:440
	buffer_load_dword v208, off, s[0:3], 0 offset:444
	;; [unrolled: 1-line block ×6, first 2 shown]
	v_cmp_lt_u32_e32 vcc, 25, v0
	s_waitcnt vmcnt(62) lgkmcnt(1)
	v_mul_f32_e32 v151, v16, v24
	v_mul_f32_e32 v22, v2, v27
	s_waitcnt vmcnt(61)
	v_mul_f32_e32 v23, v4, v28
	s_waitcnt vmcnt(60)
	;; [unrolled: 2-line block ×3, first 2 shown]
	v_fmac_f32_e32 v146, v7, v30
	s_waitcnt vmcnt(58)
	v_fmac_f32_e32 v23, v5, v31
	s_waitcnt vmcnt(57)
	v_fmac_f32_e32 v22, v3, v32
	v_add_f32_e32 v22, 0, v22
	s_waitcnt vmcnt(56)
	v_mul_f32_e32 v147, v8, v33
	v_add_f32_e32 v22, v22, v23
	s_waitcnt vmcnt(55)
	v_mul_f32_e32 v148, v10, v34
	;; [unrolled: 3-line block ×3, first 2 shown]
	s_waitcnt vmcnt(50)
	v_fmac_f32_e32 v148, v11, v39
	s_waitcnt vmcnt(49)
	v_fmac_f32_e32 v147, v9, v40
	v_add_f32_e32 v22, v22, v147
	v_fmac_f32_e32 v149, v13, v38
	v_add_f32_e32 v22, v22, v148
	v_add_f32_e32 v22, v22, v149
	ds_read2_b64 v[146:149], v1 offset0:97 offset1:98
	buffer_load_dword v213, off, s[0:3], 0 offset:468
	buffer_load_dword v214, off, s[0:3], 0 offset:472
	;; [unrolled: 1-line block ×4, first 2 shown]
	v_mul_f32_e32 v3, v3, v27
	v_fma_f32 v2, v2, v32, -v3
	v_mul_f32_e32 v3, v5, v28
	v_add_f32_e32 v2, 0, v2
	v_fma_f32 v3, v4, v31, -v3
	v_add_f32_e32 v2, v2, v3
	v_mul_f32_e32 v3, v7, v29
	v_fma_f32 v3, v6, v30, -v3
	v_add_f32_e32 v2, v2, v3
	v_mul_f32_e32 v3, v9, v33
	v_fma_f32 v3, v8, v40, -v3
	v_add_f32_e32 v2, v2, v3
	v_mul_f32_e32 v3, v11, v34
	v_fma_f32 v3, v10, v39, -v3
	v_add_f32_e32 v2, v2, v3
	v_mul_f32_e32 v3, v13, v35
	v_fma_f32 v3, v12, v38, -v3
	v_add_f32_e32 v2, v2, v3
	v_mul_f32_e32 v3, v15, v36
	v_mul_f32_e32 v150, v14, v36
	v_fma_f32 v3, v14, v37, -v3
	v_fmac_f32_e32 v150, v15, v37
	v_add_f32_e32 v2, v2, v3
	v_mul_f32_e32 v3, v17, v24
	s_waitcnt vmcnt(48)
	v_fmac_f32_e32 v151, v17, v45
	v_add_f32_e32 v22, v22, v150
	s_waitcnt vmcnt(47) lgkmcnt(1)
	v_mul_f32_e32 v23, v18, v46
	v_fma_f32 v3, v16, v45, -v3
	v_add_f32_e32 v22, v22, v151
	v_fmac_f32_e32 v23, v19, v44
	v_add_f32_e32 v2, v2, v3
	v_mul_f32_e32 v3, v19, v46
	v_add_f32_e32 v22, v22, v23
	s_waitcnt vmcnt(46)
	v_mul_f32_e32 v23, v20, v47
	v_fma_f32 v3, v18, v44, -v3
	v_fmac_f32_e32 v23, v21, v43
	ds_read2_b64 v[150:153], v1 offset0:99 offset1:100
	ds_read2_b64 v[154:157], v1 offset0:101 offset1:102
	v_add_f32_e32 v2, v2, v3
	v_mul_f32_e32 v3, v21, v47
	v_add_f32_e32 v22, v22, v23
	s_waitcnt lgkmcnt(2)
	v_mul_f32_e32 v23, v146, v42
	v_fma_f32 v3, v20, v43, -v3
	v_fmac_f32_e32 v23, v147, v41
	v_add_f32_e32 v2, v2, v3
	v_mul_f32_e32 v3, v147, v42
	v_add_f32_e32 v22, v22, v23
	s_waitcnt vmcnt(42)
	v_mul_f32_e32 v23, v148, v51
	v_fma_f32 v3, v146, v41, -v3
	v_fmac_f32_e32 v23, v149, v50
	v_add_f32_e32 v2, v2, v3
	v_mul_f32_e32 v3, v149, v51
	v_add_f32_e32 v22, v22, v23
	s_waitcnt vmcnt(40) lgkmcnt(1)
	v_mul_f32_e32 v23, v150, v53
	v_fma_f32 v3, v148, v50, -v3
	v_fmac_f32_e32 v23, v151, v52
	v_add_f32_e32 v2, v2, v3
	v_mul_f32_e32 v3, v151, v53
	v_add_f32_e32 v22, v22, v23
	s_waitcnt vmcnt(38)
	v_mul_f32_e32 v23, v152, v55
	v_fma_f32 v3, v150, v52, -v3
	v_fmac_f32_e32 v23, v153, v54
	ds_read2_b64 v[158:161], v1 offset0:103 offset1:104
	ds_read2_b64 v[162:165], v1 offset0:105 offset1:106
	v_add_f32_e32 v2, v2, v3
	v_mul_f32_e32 v3, v153, v55
	v_add_f32_e32 v22, v22, v23
	s_waitcnt vmcnt(36) lgkmcnt(2)
	v_mul_f32_e32 v23, v154, v57
	v_fma_f32 v3, v152, v54, -v3
	v_fmac_f32_e32 v23, v155, v56
	v_add_f32_e32 v2, v2, v3
	v_mul_f32_e32 v3, v155, v57
	v_add_f32_e32 v22, v22, v23
	s_waitcnt vmcnt(34)
	v_mul_f32_e32 v23, v156, v59
	v_fma_f32 v3, v154, v56, -v3
	v_fmac_f32_e32 v23, v157, v58
	v_add_f32_e32 v2, v2, v3
	v_mul_f32_e32 v3, v157, v59
	v_add_f32_e32 v22, v22, v23
	s_waitcnt vmcnt(32) lgkmcnt(1)
	v_mul_f32_e32 v23, v158, v61
	v_fma_f32 v3, v156, v58, -v3
	v_fmac_f32_e32 v23, v159, v60
	v_add_f32_e32 v2, v2, v3
	v_mul_f32_e32 v3, v159, v61
	v_add_f32_e32 v22, v22, v23
	s_waitcnt vmcnt(30)
	v_mul_f32_e32 v23, v160, v63
	v_fma_f32 v3, v158, v60, -v3
	v_fmac_f32_e32 v23, v161, v62
	ds_read2_b64 v[166:169], v1 offset0:107 offset1:108
	ds_read2_b64 v[170:173], v1 offset0:109 offset1:110
	v_add_f32_e32 v2, v2, v3
	v_mul_f32_e32 v3, v161, v63
	v_add_f32_e32 v22, v22, v23
	s_waitcnt vmcnt(28) lgkmcnt(2)
	;; [unrolled: 30-line block ×4, first 2 shown]
	v_mul_f32_e32 v23, v178, v204
	v_fma_f32 v3, v176, v201, -v3
	v_fmac_f32_e32 v23, v179, v203
	v_add_f32_e32 v2, v2, v3
	v_mul_f32_e32 v3, v179, v204
	v_add_f32_e32 v22, v22, v23
	s_waitcnt vmcnt(10)
	v_mul_f32_e32 v23, v180, v206
	v_fma_f32 v3, v178, v203, -v3
	v_fmac_f32_e32 v23, v181, v205
	v_add_f32_e32 v2, v2, v3
	v_mul_f32_e32 v3, v181, v206
	v_add_f32_e32 v22, v22, v23
	s_waitcnt vmcnt(8) lgkmcnt(1)
	v_mul_f32_e32 v23, v182, v208
	v_fma_f32 v3, v180, v205, -v3
	v_fmac_f32_e32 v23, v183, v207
	v_add_f32_e32 v2, v2, v3
	v_mul_f32_e32 v3, v183, v208
	v_add_f32_e32 v22, v22, v23
	s_waitcnt vmcnt(7)
	v_mul_f32_e32 v23, v184, v209
	v_fma_f32 v3, v182, v207, -v3
	s_waitcnt vmcnt(4)
	v_fmac_f32_e32 v23, v185, v212
	v_add_f32_e32 v2, v2, v3
	v_mul_f32_e32 v3, v185, v209
	v_add_f32_e32 v217, v22, v23
	ds_read_b64 v[22:23], v1 offset:952
	v_fma_f32 v3, v184, v212, -v3
	v_add_f32_e32 v2, v2, v3
	s_waitcnt lgkmcnt(1)
	v_mul_f32_e32 v3, v187, v211
	v_mul_f32_e32 v218, v186, v211
	v_fma_f32 v3, v186, v210, -v3
	v_fmac_f32_e32 v218, v187, v210
	v_add_f32_e32 v2, v2, v3
	s_waitcnt vmcnt(3)
	v_mul_f32_e32 v3, v189, v213
	v_add_f32_e32 v217, v217, v218
	v_mul_f32_e32 v218, v188, v213
	s_waitcnt vmcnt(0)
	v_fma_f32 v3, v188, v216, -v3
	v_fmac_f32_e32 v218, v189, v216
	v_add_f32_e32 v2, v2, v3
	s_waitcnt lgkmcnt(0)
	v_mul_f32_e32 v3, v23, v215
	v_add_f32_e32 v217, v217, v218
	v_mul_f32_e32 v218, v22, v215
	v_fma_f32 v3, v22, v214, -v3
	v_fmac_f32_e32 v218, v23, v214
	v_add_f32_e32 v2, v2, v3
	v_add_f32_e32 v217, v217, v218
	v_sub_f32_e32 v2, v48, v2
	v_sub_f32_e32 v3, v49, v217
	buffer_store_dword v2, off, s[0:3], 0 offset:208
	buffer_store_dword v3, off, s[0:3], 0 offset:212
	s_and_saveexec_b64 s[4:5], vcc
	s_cbranch_execz .LBB59_323
; %bb.322:
	buffer_load_dword v2, off, s[0:3], 0 offset:200
	buffer_load_dword v3, off, s[0:3], 0 offset:204
	s_waitcnt vmcnt(0)
	ds_write_b64 v145, v[2:3]
	buffer_store_dword v1, off, s[0:3], 0 offset:200
	buffer_store_dword v1, off, s[0:3], 0 offset:204
.LBB59_323:
	s_or_b64 exec, exec, s[4:5]
	s_waitcnt lgkmcnt(0)
	; wave barrier
	buffer_load_dword v22, off, s[0:3], 0 offset:212
	buffer_load_dword v23, off, s[0:3], 0 offset:220
	;; [unrolled: 1-line block ×32, first 2 shown]
	ds_read_b128 v[2:5], v1 offset:688
	ds_read_b128 v[6:9], v1 offset:704
	;; [unrolled: 1-line block ×6, first 2 shown]
	buffer_load_dword v56, off, s[0:3], 0 offset:328
	buffer_load_dword v57, off, s[0:3], 0 offset:332
	;; [unrolled: 1-line block ×38, first 2 shown]
	v_cmp_lt_u32_e32 vcc, 24, v0
	s_waitcnt vmcnt(62) lgkmcnt(5)
	v_mul_f32_e32 v150, v2, v22
	v_mul_f32_e32 v151, v4, v23
	s_waitcnt lgkmcnt(4)
	v_mul_f32_e32 v152, v6, v24
	v_mul_f32_e32 v153, v8, v27
	s_waitcnt lgkmcnt(3)
	;; [unrolled: 3-line block ×3, first 2 shown]
	v_mul_f32_e32 v156, v14, v30
	v_mul_f32_e32 v157, v16, v31
	s_waitcnt vmcnt(61)
	v_fmac_f32_e32 v152, v7, v32
	s_waitcnt vmcnt(60)
	v_fmac_f32_e32 v151, v5, v33
	;; [unrolled: 2-line block ×3, first 2 shown]
	v_add_f32_e32 v150, 0, v150
	v_add_f32_e32 v150, v150, v151
	;; [unrolled: 1-line block ×3, first 2 shown]
	s_waitcnt vmcnt(55)
	v_fmac_f32_e32 v153, v9, v38
	v_fmac_f32_e32 v154, v11, v37
	v_add_f32_e32 v150, v150, v153
	v_fmac_f32_e32 v155, v13, v36
	v_add_f32_e32 v150, v150, v154
	;; [unrolled: 2-line block ×3, first 2 shown]
	s_waitcnt vmcnt(51)
	v_fmac_f32_e32 v157, v17, v42
	v_add_f32_e32 v150, v150, v156
	s_waitcnt vmcnt(50) lgkmcnt(1)
	v_mul_f32_e32 v151, v18, v43
	v_add_f32_e32 v150, v150, v157
	v_fmac_f32_e32 v151, v19, v41
	v_mul_f32_e32 v3, v3, v22
	v_add_f32_e32 v150, v150, v151
	s_waitcnt vmcnt(49)
	v_mul_f32_e32 v151, v20, v44
	v_fma_f32 v2, v2, v34, -v3
	v_mul_f32_e32 v3, v5, v23
	v_fmac_f32_e32 v151, v21, v40
	v_add_f32_e32 v2, 0, v2
	v_fma_f32 v3, v4, v33, -v3
	v_add_f32_e32 v150, v150, v151
	s_waitcnt vmcnt(48) lgkmcnt(0)
	v_mul_f32_e32 v151, v146, v45
	v_add_f32_e32 v2, v2, v3
	v_mul_f32_e32 v3, v7, v24
	v_fmac_f32_e32 v151, v147, v39
	v_fma_f32 v3, v6, v32, -v3
	v_add_f32_e32 v154, v150, v151
	ds_read_b128 v[150:153], v1 offset:784
	v_add_f32_e32 v2, v2, v3
	v_mul_f32_e32 v3, v9, v27
	v_fma_f32 v3, v8, v38, -v3
	s_waitcnt vmcnt(45)
	v_mul_f32_e32 v155, v148, v48
	v_add_f32_e32 v2, v2, v3
	v_mul_f32_e32 v3, v11, v28
	s_waitcnt vmcnt(38)
	v_fmac_f32_e32 v155, v149, v55
	v_fma_f32 v3, v10, v37, -v3
	v_add_f32_e32 v158, v154, v155
	ds_read_b128 v[154:157], v1 offset:800
	v_add_f32_e32 v2, v2, v3
	v_mul_f32_e32 v3, v13, v29
	s_waitcnt lgkmcnt(1)
	v_mul_f32_e32 v159, v150, v50
	v_fma_f32 v3, v12, v36, -v3
	v_fmac_f32_e32 v159, v151, v49
	v_add_f32_e32 v2, v2, v3
	v_mul_f32_e32 v3, v15, v30
	v_add_f32_e32 v158, v158, v159
	v_mul_f32_e32 v159, v152, v52
	v_fma_f32 v3, v14, v35, -v3
	v_fmac_f32_e32 v159, v153, v51
	v_add_f32_e32 v2, v2, v3
	v_mul_f32_e32 v3, v17, v31
	v_add_f32_e32 v158, v158, v159
	s_waitcnt lgkmcnt(0)
	v_mul_f32_e32 v159, v154, v54
	v_fma_f32 v3, v16, v42, -v3
	v_fmac_f32_e32 v159, v155, v53
	v_add_f32_e32 v2, v2, v3
	v_mul_f32_e32 v3, v19, v43
	v_add_f32_e32 v162, v158, v159
	ds_read_b128 v[158:161], v1 offset:816
	v_fma_f32 v3, v18, v41, -v3
	v_add_f32_e32 v2, v2, v3
	v_mul_f32_e32 v3, v21, v44
	s_waitcnt vmcnt(36)
	v_mul_f32_e32 v163, v156, v57
	v_fma_f32 v3, v20, v40, -v3
	v_fmac_f32_e32 v163, v157, v56
	v_add_f32_e32 v2, v2, v3
	v_mul_f32_e32 v3, v147, v45
	v_add_f32_e32 v166, v162, v163
	ds_read_b128 v[162:165], v1 offset:832
	v_fma_f32 v3, v146, v39, -v3
	s_waitcnt vmcnt(34) lgkmcnt(1)
	v_mul_f32_e32 v167, v158, v59
	v_add_f32_e32 v2, v2, v3
	v_mul_f32_e32 v3, v149, v48
	v_fmac_f32_e32 v167, v159, v58
	v_fma_f32 v3, v148, v55, -v3
	v_add_f32_e32 v166, v166, v167
	s_waitcnt vmcnt(32)
	v_mul_f32_e32 v167, v160, v61
	v_add_f32_e32 v2, v2, v3
	v_mul_f32_e32 v3, v151, v50
	v_fmac_f32_e32 v167, v161, v60
	v_fma_f32 v3, v150, v49, -v3
	v_add_f32_e32 v166, v166, v167
	s_waitcnt vmcnt(30) lgkmcnt(0)
	v_mul_f32_e32 v167, v162, v63
	v_add_f32_e32 v2, v2, v3
	v_mul_f32_e32 v3, v153, v52
	v_fmac_f32_e32 v167, v163, v62
	v_fma_f32 v3, v152, v51, -v3
	v_add_f32_e32 v170, v166, v167
	ds_read_b128 v[166:169], v1 offset:848
	v_add_f32_e32 v2, v2, v3
	v_mul_f32_e32 v3, v155, v54
	v_fma_f32 v3, v154, v53, -v3
	s_waitcnt vmcnt(28)
	v_mul_f32_e32 v171, v164, v65
	v_add_f32_e32 v2, v2, v3
	v_mul_f32_e32 v3, v157, v57
	v_fmac_f32_e32 v171, v165, v64
	v_fma_f32 v3, v156, v56, -v3
	v_add_f32_e32 v174, v170, v171
	ds_read_b128 v[170:173], v1 offset:864
	v_add_f32_e32 v2, v2, v3
	v_mul_f32_e32 v3, v159, v59
	s_waitcnt vmcnt(26) lgkmcnt(1)
	v_mul_f32_e32 v175, v166, v194
	v_fma_f32 v3, v158, v58, -v3
	v_fmac_f32_e32 v175, v167, v66
	v_add_f32_e32 v2, v2, v3
	v_mul_f32_e32 v3, v161, v61
	v_add_f32_e32 v174, v174, v175
	s_waitcnt vmcnt(24)
	v_mul_f32_e32 v175, v168, v196
	v_fma_f32 v3, v160, v60, -v3
	v_fmac_f32_e32 v175, v169, v195
	v_add_f32_e32 v2, v2, v3
	v_mul_f32_e32 v3, v163, v63
	v_add_f32_e32 v174, v174, v175
	s_waitcnt vmcnt(22) lgkmcnt(0)
	v_mul_f32_e32 v175, v170, v198
	v_fma_f32 v3, v162, v62, -v3
	v_fmac_f32_e32 v175, v171, v197
	v_add_f32_e32 v2, v2, v3
	v_mul_f32_e32 v3, v165, v65
	v_add_f32_e32 v178, v174, v175
	ds_read_b128 v[174:177], v1 offset:880
	v_fma_f32 v3, v164, v64, -v3
	v_add_f32_e32 v2, v2, v3
	v_mul_f32_e32 v3, v167, v194
	s_waitcnt vmcnt(20)
	v_mul_f32_e32 v179, v172, v200
	v_fma_f32 v3, v166, v66, -v3
	v_fmac_f32_e32 v179, v173, v199
	v_add_f32_e32 v2, v2, v3
	v_mul_f32_e32 v3, v169, v196
	v_add_f32_e32 v182, v178, v179
	ds_read_b128 v[178:181], v1 offset:896
	v_fma_f32 v3, v168, v195, -v3
	s_waitcnt vmcnt(18) lgkmcnt(1)
	v_mul_f32_e32 v183, v174, v202
	v_add_f32_e32 v2, v2, v3
	v_mul_f32_e32 v3, v171, v198
	v_fmac_f32_e32 v183, v175, v201
	v_fma_f32 v3, v170, v197, -v3
	v_add_f32_e32 v182, v182, v183
	s_waitcnt vmcnt(16)
	v_mul_f32_e32 v183, v176, v204
	v_add_f32_e32 v2, v2, v3
	v_mul_f32_e32 v3, v173, v200
	v_fmac_f32_e32 v183, v177, v203
	v_fma_f32 v3, v172, v199, -v3
	v_add_f32_e32 v182, v182, v183
	s_waitcnt vmcnt(14) lgkmcnt(0)
	v_mul_f32_e32 v183, v178, v206
	v_add_f32_e32 v2, v2, v3
	v_mul_f32_e32 v3, v175, v202
	v_fmac_f32_e32 v183, v179, v205
	v_fma_f32 v3, v174, v201, -v3
	v_add_f32_e32 v186, v182, v183
	ds_read_b128 v[182:185], v1 offset:912
	v_add_f32_e32 v2, v2, v3
	v_mul_f32_e32 v3, v177, v204
	v_fma_f32 v3, v176, v203, -v3
	v_add_f32_e32 v2, v2, v3
	v_mul_f32_e32 v3, v179, v206
	s_waitcnt vmcnt(12)
	v_mul_f32_e32 v187, v180, v208
	v_fma_f32 v3, v178, v205, -v3
	v_fmac_f32_e32 v187, v181, v207
	v_add_f32_e32 v2, v2, v3
	v_mul_f32_e32 v3, v181, v208
	v_add_f32_e32 v190, v186, v187
	ds_read_b128 v[186:189], v1 offset:928
	s_waitcnt vmcnt(10) lgkmcnt(1)
	v_mul_f32_e32 v191, v182, v210
	v_fma_f32 v3, v180, v207, -v3
	v_fmac_f32_e32 v191, v183, v209
	v_add_f32_e32 v2, v2, v3
	v_mul_f32_e32 v3, v183, v210
	v_add_f32_e32 v190, v190, v191
	s_waitcnt vmcnt(9)
	v_mul_f32_e32 v191, v184, v211
	v_fma_f32 v3, v182, v209, -v3
	s_waitcnt vmcnt(6)
	v_fmac_f32_e32 v191, v185, v214
	v_add_f32_e32 v2, v2, v3
	v_mul_f32_e32 v3, v185, v211
	v_add_f32_e32 v221, v190, v191
	ds_read_b128 v[190:193], v1 offset:944
	v_fma_f32 v3, v184, v214, -v3
	v_add_f32_e32 v2, v2, v3
	s_waitcnt lgkmcnt(1)
	v_mul_f32_e32 v3, v187, v213
	v_mul_f32_e32 v222, v186, v213
	v_fma_f32 v3, v186, v212, -v3
	v_fmac_f32_e32 v222, v187, v212
	v_add_f32_e32 v2, v2, v3
	s_waitcnt vmcnt(4)
	v_mul_f32_e32 v3, v189, v216
	v_add_f32_e32 v1, v221, v222
	v_mul_f32_e32 v221, v188, v216
	v_fma_f32 v3, v188, v215, -v3
	v_fmac_f32_e32 v221, v189, v215
	v_add_f32_e32 v2, v2, v3
	s_waitcnt vmcnt(3) lgkmcnt(0)
	v_mul_f32_e32 v3, v191, v217
	v_add_f32_e32 v1, v1, v221
	v_mul_f32_e32 v221, v190, v217
	s_waitcnt vmcnt(0)
	v_fma_f32 v3, v190, v220, -v3
	v_fmac_f32_e32 v221, v191, v220
	v_add_f32_e32 v2, v2, v3
	v_mul_f32_e32 v3, v193, v219
	v_add_f32_e32 v1, v1, v221
	v_mul_f32_e32 v221, v192, v219
	v_fma_f32 v3, v192, v218, -v3
	v_fmac_f32_e32 v221, v193, v218
	v_add_f32_e32 v2, v2, v3
	v_add_f32_e32 v1, v1, v221
	v_sub_f32_e32 v2, v46, v2
	v_sub_f32_e32 v1, v47, v1
	buffer_store_dword v2, off, s[0:3], 0 offset:200
	buffer_store_dword v1, off, s[0:3], 0 offset:204
	s_and_saveexec_b64 s[4:5], vcc
	s_cbranch_execz .LBB59_325
; %bb.324:
	buffer_load_dword v1, off, s[0:3], 0 offset:192
	buffer_load_dword v2, off, s[0:3], 0 offset:196
	v_mov_b32_e32 v3, 0
	buffer_store_dword v3, off, s[0:3], 0 offset:192
	buffer_store_dword v3, off, s[0:3], 0 offset:196
	s_waitcnt vmcnt(2)
	ds_write_b64 v145, v[1:2]
.LBB59_325:
	s_or_b64 exec, exec, s[4:5]
	s_waitcnt lgkmcnt(0)
	; wave barrier
	buffer_load_dword v24, off, s[0:3], 0 offset:204
	buffer_load_dword v27, off, s[0:3], 0 offset:212
	;; [unrolled: 1-line block ×56, first 2 shown]
	v_mov_b32_e32 v1, 0
	ds_read2_b64 v[2:5], v1 offset0:85 offset1:86
	ds_read2_b64 v[6:9], v1 offset0:87 offset1:88
	;; [unrolled: 1-line block ×6, first 2 shown]
	buffer_load_dword v209, off, s[0:3], 0 offset:416
	buffer_load_dword v210, off, s[0:3], 0 offset:420
	;; [unrolled: 1-line block ×16, first 2 shown]
	ds_read2_b64 v[158:161], v1 offset0:101 offset1:102
	ds_read2_b64 v[162:165], v1 offset0:103 offset1:104
	;; [unrolled: 1-line block ×9, first 2 shown]
	v_cmp_lt_u32_e32 vcc, 23, v0
	s_waitcnt vmcnt(62) lgkmcnt(14)
	v_mul_f32_e32 v22, v2, v24
	v_mul_f32_e32 v23, v4, v27
	s_waitcnt lgkmcnt(13)
	v_mul_f32_e32 v150, v6, v28
	v_mul_f32_e32 v151, v8, v29
	s_waitcnt lgkmcnt(12)
	;; [unrolled: 3-line block ×4, first 2 shown]
	v_mul_f32_e32 v156, v18, v34
	v_fmac_f32_e32 v150, v7, v35
	s_waitcnt vmcnt(61)
	v_fmac_f32_e32 v23, v5, v36
	s_waitcnt vmcnt(60)
	v_fmac_f32_e32 v22, v3, v37
	v_mul_f32_e32 v3, v3, v24
	v_fma_f32 v2, v2, v37, -v3
	v_mul_f32_e32 v3, v5, v27
	v_add_f32_e32 v2, 0, v2
	v_fma_f32 v3, v4, v36, -v3
	v_add_f32_e32 v2, v2, v3
	v_mul_f32_e32 v3, v7, v28
	v_fma_f32 v3, v6, v35, -v3
	v_add_f32_e32 v2, v2, v3
	v_mul_f32_e32 v3, v9, v29
	s_waitcnt vmcnt(56)
	v_fma_f32 v3, v8, v41, -v3
	v_add_f32_e32 v2, v2, v3
	v_mul_f32_e32 v3, v11, v30
	v_fma_f32 v3, v10, v40, -v3
	v_add_f32_e32 v22, 0, v22
	v_add_f32_e32 v2, v2, v3
	v_mul_f32_e32 v3, v13, v31
	v_add_f32_e32 v22, v22, v23
	v_fma_f32 v3, v12, v39, -v3
	v_fmac_f32_e32 v151, v9, v41
	v_add_f32_e32 v22, v22, v150
	v_add_f32_e32 v2, v2, v3
	v_mul_f32_e32 v3, v15, v32
	v_fmac_f32_e32 v152, v11, v40
	v_add_f32_e32 v22, v22, v151
	v_fma_f32 v3, v14, v38, -v3
	v_fmac_f32_e32 v153, v13, v39
	v_add_f32_e32 v22, v22, v152
	v_add_f32_e32 v2, v2, v3
	v_mul_f32_e32 v3, v17, v33
	v_fmac_f32_e32 v154, v15, v38
	v_add_f32_e32 v22, v22, v153
	s_waitcnt vmcnt(52)
	v_fma_f32 v3, v16, v45, -v3
	v_fmac_f32_e32 v155, v17, v45
	v_add_f32_e32 v22, v22, v154
	v_add_f32_e32 v2, v2, v3
	v_mul_f32_e32 v3, v19, v34
	v_add_f32_e32 v22, v22, v155
	v_fmac_f32_e32 v156, v19, v44
	s_waitcnt vmcnt(51)
	v_mul_f32_e32 v23, v20, v46
	v_fma_f32 v3, v18, v44, -v3
	v_add_f32_e32 v22, v22, v156
	v_fmac_f32_e32 v23, v21, v43
	ds_read2_b64 v[150:153], v1 offset0:97 offset1:98
	ds_read2_b64 v[154:157], v1 offset0:99 offset1:100
	v_add_f32_e32 v2, v2, v3
	v_mul_f32_e32 v3, v21, v46
	v_add_f32_e32 v22, v22, v23
	s_waitcnt vmcnt(50) lgkmcnt(11)
	v_mul_f32_e32 v23, v146, v47
	v_fma_f32 v3, v20, v43, -v3
	v_fmac_f32_e32 v23, v147, v42
	v_add_f32_e32 v2, v2, v3
	v_mul_f32_e32 v3, v147, v47
	v_add_f32_e32 v22, v22, v23
	s_waitcnt vmcnt(46)
	v_mul_f32_e32 v23, v148, v51
	v_fma_f32 v3, v146, v42, -v3
	v_fmac_f32_e32 v23, v149, v50
	v_add_f32_e32 v2, v2, v3
	v_mul_f32_e32 v3, v149, v51
	v_add_f32_e32 v22, v22, v23
	s_waitcnt vmcnt(44) lgkmcnt(1)
	v_mul_f32_e32 v23, v150, v53
	v_fma_f32 v3, v148, v50, -v3
	v_fmac_f32_e32 v23, v151, v52
	v_add_f32_e32 v2, v2, v3
	v_mul_f32_e32 v3, v151, v53
	v_add_f32_e32 v22, v22, v23
	s_waitcnt vmcnt(42)
	v_mul_f32_e32 v23, v152, v55
	v_fma_f32 v3, v150, v52, -v3
	v_fmac_f32_e32 v23, v153, v54
	;; [unrolled: 14-line block ×3, first 2 shown]
	v_add_f32_e32 v2, v2, v3
	v_mul_f32_e32 v3, v157, v59
	v_add_f32_e32 v22, v22, v23
	s_waitcnt vmcnt(36)
	v_mul_f32_e32 v23, v158, v61
	v_fma_f32 v3, v156, v58, -v3
	v_fmac_f32_e32 v23, v159, v60
	v_add_f32_e32 v2, v2, v3
	v_mul_f32_e32 v3, v159, v61
	v_add_f32_e32 v22, v22, v23
	s_waitcnt vmcnt(34)
	v_mul_f32_e32 v23, v160, v63
	v_fma_f32 v3, v158, v60, -v3
	v_fmac_f32_e32 v23, v161, v62
	;; [unrolled: 7-line block ×13, first 2 shown]
	v_add_f32_e32 v2, v2, v3
	v_mul_f32_e32 v3, v183, v212
	v_add_f32_e32 v22, v22, v23
	s_waitcnt vmcnt(11)
	v_mul_f32_e32 v23, v184, v213
	v_fma_f32 v3, v182, v211, -v3
	s_waitcnt vmcnt(8)
	v_fmac_f32_e32 v23, v185, v216
	v_add_f32_e32 v2, v2, v3
	v_mul_f32_e32 v3, v185, v213
	v_add_f32_e32 v22, v22, v23
	v_mul_f32_e32 v23, v186, v215
	v_fma_f32 v3, v184, v216, -v3
	v_fmac_f32_e32 v23, v187, v214
	v_add_f32_e32 v2, v2, v3
	v_mul_f32_e32 v3, v187, v215
	v_add_f32_e32 v22, v22, v23
	s_waitcnt vmcnt(6)
	v_mul_f32_e32 v23, v188, v218
	v_fma_f32 v3, v186, v214, -v3
	v_fmac_f32_e32 v23, v189, v217
	v_add_f32_e32 v2, v2, v3
	v_mul_f32_e32 v3, v189, v218
	v_add_f32_e32 v225, v22, v23
	ds_read_b64 v[22:23], v1 offset:952
	v_fma_f32 v3, v188, v217, -v3
	v_add_f32_e32 v2, v2, v3
	s_waitcnt vmcnt(4)
	v_mul_f32_e32 v3, v191, v220
	v_mul_f32_e32 v226, v190, v220
	v_fma_f32 v3, v190, v219, -v3
	v_fmac_f32_e32 v226, v191, v219
	v_add_f32_e32 v2, v2, v3
	s_waitcnt vmcnt(3)
	v_mul_f32_e32 v3, v193, v221
	v_add_f32_e32 v225, v225, v226
	v_mul_f32_e32 v226, v192, v221
	s_waitcnt vmcnt(0)
	v_fma_f32 v3, v192, v224, -v3
	v_fmac_f32_e32 v226, v193, v224
	v_add_f32_e32 v2, v2, v3
	s_waitcnt lgkmcnt(0)
	v_mul_f32_e32 v3, v23, v223
	v_add_f32_e32 v225, v225, v226
	v_mul_f32_e32 v226, v22, v223
	v_fma_f32 v3, v22, v222, -v3
	v_fmac_f32_e32 v226, v23, v222
	v_add_f32_e32 v2, v2, v3
	v_add_f32_e32 v225, v225, v226
	v_sub_f32_e32 v2, v48, v2
	v_sub_f32_e32 v3, v49, v225
	buffer_store_dword v2, off, s[0:3], 0 offset:192
	buffer_store_dword v3, off, s[0:3], 0 offset:196
	s_and_saveexec_b64 s[4:5], vcc
	s_cbranch_execz .LBB59_327
; %bb.326:
	buffer_load_dword v2, off, s[0:3], 0 offset:184
	buffer_load_dword v3, off, s[0:3], 0 offset:188
	s_waitcnt vmcnt(0)
	ds_write_b64 v145, v[2:3]
	buffer_store_dword v1, off, s[0:3], 0 offset:184
	buffer_store_dword v1, off, s[0:3], 0 offset:188
.LBB59_327:
	s_or_b64 exec, exec, s[4:5]
	s_waitcnt lgkmcnt(0)
	; wave barrier
	buffer_load_dword v22, off, s[0:3], 0 offset:196
	buffer_load_dword v23, off, s[0:3], 0 offset:204
	;; [unrolled: 1-line block ×26, first 2 shown]
	ds_read_b128 v[2:5], v1 offset:672
	ds_read_b128 v[6:9], v1 offset:688
	;; [unrolled: 1-line block ×6, first 2 shown]
	buffer_load_dword v50, off, s[0:3], 0 offset:288
	buffer_load_dword v51, off, s[0:3], 0 offset:292
	;; [unrolled: 1-line block ×46, first 2 shown]
	v_cmp_lt_u32_e32 vcc, 22, v0
	s_waitcnt vmcnt(62) lgkmcnt(5)
	v_mul_f32_e32 v150, v2, v22
	v_mul_f32_e32 v151, v4, v23
	s_waitcnt lgkmcnt(4)
	v_mul_f32_e32 v152, v6, v24
	v_mul_f32_e32 v153, v8, v27
	s_waitcnt lgkmcnt(3)
	;; [unrolled: 3-line block ×4, first 2 shown]
	v_mul_f32_e32 v158, v18, v32
	v_fmac_f32_e32 v152, v7, v33
	s_waitcnt vmcnt(61)
	v_fmac_f32_e32 v151, v5, v34
	s_waitcnt vmcnt(60)
	v_fmac_f32_e32 v150, v3, v35
	v_add_f32_e32 v150, 0, v150
	v_add_f32_e32 v150, v150, v151
	;; [unrolled: 1-line block ×3, first 2 shown]
	s_waitcnt vmcnt(56)
	v_fmac_f32_e32 v153, v9, v39
	v_fmac_f32_e32 v154, v11, v38
	v_add_f32_e32 v150, v150, v153
	v_fmac_f32_e32 v155, v13, v37
	v_add_f32_e32 v150, v150, v154
	;; [unrolled: 2-line block ×3, first 2 shown]
	s_waitcnt vmcnt(52)
	v_fmac_f32_e32 v157, v17, v43
	v_add_f32_e32 v150, v150, v156
	v_fmac_f32_e32 v158, v19, v42
	v_add_f32_e32 v150, v150, v157
	s_waitcnt vmcnt(51)
	v_mul_f32_e32 v151, v20, v44
	v_add_f32_e32 v150, v150, v158
	v_fmac_f32_e32 v151, v21, v41
	v_add_f32_e32 v150, v150, v151
	s_waitcnt vmcnt(50) lgkmcnt(0)
	v_mul_f32_e32 v151, v146, v45
	v_fmac_f32_e32 v151, v147, v40
	s_waitcnt vmcnt(46)
	v_mul_f32_e32 v155, v148, v49
	v_add_f32_e32 v154, v150, v151
	v_fmac_f32_e32 v155, v149, v48
	ds_read_b128 v[150:153], v1 offset:768
	v_add_f32_e32 v158, v154, v155
	ds_read_b128 v[154:157], v1 offset:784
	buffer_load_dword v227, off, s[0:3], 0 offset:472
	buffer_load_dword v228, off, s[0:3], 0 offset:476
	v_mul_f32_e32 v3, v3, v22
	v_fma_f32 v2, v2, v35, -v3
	v_mul_f32_e32 v3, v5, v23
	v_add_f32_e32 v2, 0, v2
	v_fma_f32 v3, v4, v34, -v3
	v_add_f32_e32 v2, v2, v3
	v_mul_f32_e32 v3, v7, v24
	v_fma_f32 v3, v6, v33, -v3
	v_add_f32_e32 v2, v2, v3
	v_mul_f32_e32 v3, v9, v27
	;; [unrolled: 3-line block ×3, first 2 shown]
	s_waitcnt vmcnt(46) lgkmcnt(1)
	v_mul_f32_e32 v159, v150, v51
	v_fma_f32 v3, v10, v38, -v3
	v_fmac_f32_e32 v159, v151, v50
	v_add_f32_e32 v2, v2, v3
	v_mul_f32_e32 v3, v13, v29
	v_add_f32_e32 v158, v158, v159
	s_waitcnt vmcnt(44)
	v_mul_f32_e32 v159, v152, v53
	v_fma_f32 v3, v12, v37, -v3
	v_fmac_f32_e32 v159, v153, v52
	v_add_f32_e32 v2, v2, v3
	v_mul_f32_e32 v3, v15, v30
	v_add_f32_e32 v158, v158, v159
	s_waitcnt vmcnt(42) lgkmcnt(0)
	v_mul_f32_e32 v159, v154, v55
	v_fma_f32 v3, v14, v36, -v3
	v_fmac_f32_e32 v159, v155, v54
	v_add_f32_e32 v2, v2, v3
	v_mul_f32_e32 v3, v17, v31
	v_add_f32_e32 v162, v158, v159
	ds_read_b128 v[158:161], v1 offset:800
	v_fma_f32 v3, v16, v43, -v3
	v_add_f32_e32 v2, v2, v3
	v_mul_f32_e32 v3, v19, v32
	s_waitcnt vmcnt(40)
	v_mul_f32_e32 v163, v156, v57
	v_fma_f32 v3, v18, v42, -v3
	v_fmac_f32_e32 v163, v157, v56
	v_add_f32_e32 v2, v2, v3
	v_mul_f32_e32 v3, v21, v44
	v_add_f32_e32 v166, v162, v163
	ds_read_b128 v[162:165], v1 offset:816
	v_fma_f32 v3, v20, v41, -v3
	s_waitcnt vmcnt(38) lgkmcnt(1)
	v_mul_f32_e32 v167, v158, v59
	v_add_f32_e32 v2, v2, v3
	v_mul_f32_e32 v3, v147, v45
	v_fmac_f32_e32 v167, v159, v58
	v_fma_f32 v3, v146, v40, -v3
	v_add_f32_e32 v166, v166, v167
	s_waitcnt vmcnt(36)
	v_mul_f32_e32 v167, v160, v61
	v_add_f32_e32 v2, v2, v3
	v_mul_f32_e32 v3, v149, v49
	v_fmac_f32_e32 v167, v161, v60
	v_fma_f32 v3, v148, v48, -v3
	v_add_f32_e32 v166, v166, v167
	s_waitcnt vmcnt(34) lgkmcnt(0)
	v_mul_f32_e32 v167, v162, v63
	v_add_f32_e32 v2, v2, v3
	v_mul_f32_e32 v3, v151, v51
	v_fmac_f32_e32 v167, v163, v62
	v_fma_f32 v3, v150, v50, -v3
	v_add_f32_e32 v170, v166, v167
	ds_read_b128 v[166:169], v1 offset:832
	v_add_f32_e32 v2, v2, v3
	v_mul_f32_e32 v3, v153, v53
	v_fma_f32 v3, v152, v52, -v3
	s_waitcnt vmcnt(32)
	v_mul_f32_e32 v171, v164, v65
	v_add_f32_e32 v2, v2, v3
	v_mul_f32_e32 v3, v155, v55
	v_fmac_f32_e32 v171, v165, v64
	v_fma_f32 v3, v154, v54, -v3
	v_add_f32_e32 v174, v170, v171
	ds_read_b128 v[170:173], v1 offset:848
	v_add_f32_e32 v2, v2, v3
	v_mul_f32_e32 v3, v157, v57
	s_waitcnt vmcnt(30) lgkmcnt(1)
	v_mul_f32_e32 v175, v166, v198
	v_fma_f32 v3, v156, v56, -v3
	v_fmac_f32_e32 v175, v167, v66
	v_add_f32_e32 v2, v2, v3
	v_mul_f32_e32 v3, v159, v59
	v_add_f32_e32 v174, v174, v175
	s_waitcnt vmcnt(28)
	v_mul_f32_e32 v175, v168, v200
	v_fma_f32 v3, v158, v58, -v3
	v_fmac_f32_e32 v175, v169, v199
	v_add_f32_e32 v2, v2, v3
	v_mul_f32_e32 v3, v161, v61
	v_add_f32_e32 v174, v174, v175
	s_waitcnt vmcnt(26) lgkmcnt(0)
	v_mul_f32_e32 v175, v170, v202
	v_fma_f32 v3, v160, v60, -v3
	v_fmac_f32_e32 v175, v171, v201
	v_add_f32_e32 v2, v2, v3
	v_mul_f32_e32 v3, v163, v63
	v_add_f32_e32 v178, v174, v175
	ds_read_b128 v[174:177], v1 offset:864
	v_fma_f32 v3, v162, v62, -v3
	v_add_f32_e32 v2, v2, v3
	v_mul_f32_e32 v3, v165, v65
	s_waitcnt vmcnt(24)
	v_mul_f32_e32 v179, v172, v204
	v_fma_f32 v3, v164, v64, -v3
	v_fmac_f32_e32 v179, v173, v203
	v_add_f32_e32 v2, v2, v3
	v_mul_f32_e32 v3, v167, v198
	v_add_f32_e32 v182, v178, v179
	ds_read_b128 v[178:181], v1 offset:880
	v_fma_f32 v3, v166, v66, -v3
	s_waitcnt vmcnt(22) lgkmcnt(1)
	v_mul_f32_e32 v183, v174, v206
	v_add_f32_e32 v2, v2, v3
	v_mul_f32_e32 v3, v169, v200
	v_fmac_f32_e32 v183, v175, v205
	v_fma_f32 v3, v168, v199, -v3
	v_add_f32_e32 v182, v182, v183
	s_waitcnt vmcnt(20)
	v_mul_f32_e32 v183, v176, v208
	v_add_f32_e32 v2, v2, v3
	v_mul_f32_e32 v3, v171, v202
	v_fmac_f32_e32 v183, v177, v207
	v_fma_f32 v3, v170, v201, -v3
	v_add_f32_e32 v182, v182, v183
	s_waitcnt vmcnt(18) lgkmcnt(0)
	v_mul_f32_e32 v183, v178, v210
	v_add_f32_e32 v2, v2, v3
	v_mul_f32_e32 v3, v173, v204
	v_fmac_f32_e32 v183, v179, v209
	v_fma_f32 v3, v172, v203, -v3
	v_add_f32_e32 v186, v182, v183
	ds_read_b128 v[182:185], v1 offset:896
	v_add_f32_e32 v2, v2, v3
	v_mul_f32_e32 v3, v175, v206
	v_fma_f32 v3, v174, v205, -v3
	s_waitcnt vmcnt(16)
	v_mul_f32_e32 v187, v180, v212
	v_add_f32_e32 v2, v2, v3
	v_mul_f32_e32 v3, v177, v208
	v_fmac_f32_e32 v187, v181, v211
	v_fma_f32 v3, v176, v207, -v3
	v_add_f32_e32 v190, v186, v187
	ds_read_b128 v[186:189], v1 offset:912
	v_add_f32_e32 v2, v2, v3
	v_mul_f32_e32 v3, v179, v210
	s_waitcnt vmcnt(14) lgkmcnt(1)
	v_mul_f32_e32 v191, v182, v214
	v_fma_f32 v3, v178, v209, -v3
	v_fmac_f32_e32 v191, v183, v213
	v_add_f32_e32 v2, v2, v3
	v_mul_f32_e32 v3, v181, v212
	v_add_f32_e32 v190, v190, v191
	s_waitcnt vmcnt(13)
	v_mul_f32_e32 v191, v184, v215
	v_fma_f32 v3, v180, v211, -v3
	s_waitcnt vmcnt(10)
	v_fmac_f32_e32 v191, v185, v218
	v_add_f32_e32 v2, v2, v3
	v_mul_f32_e32 v3, v183, v214
	v_add_f32_e32 v190, v190, v191
	s_waitcnt lgkmcnt(0)
	v_mul_f32_e32 v191, v186, v217
	v_fma_f32 v3, v182, v213, -v3
	v_fmac_f32_e32 v191, v187, v216
	v_add_f32_e32 v2, v2, v3
	v_mul_f32_e32 v3, v185, v215
	v_add_f32_e32 v194, v190, v191
	ds_read_b128 v[190:193], v1 offset:928
	v_fma_f32 v3, v184, v218, -v3
	v_add_f32_e32 v2, v2, v3
	v_mul_f32_e32 v3, v187, v217
	s_waitcnt vmcnt(8)
	v_mul_f32_e32 v195, v188, v220
	v_fma_f32 v3, v186, v216, -v3
	v_fmac_f32_e32 v195, v189, v219
	v_add_f32_e32 v2, v2, v3
	v_mul_f32_e32 v3, v189, v220
	v_add_f32_e32 v229, v194, v195
	ds_read_b128 v[194:197], v1 offset:944
	v_fma_f32 v3, v188, v219, -v3
	v_add_f32_e32 v2, v2, v3
	s_waitcnt vmcnt(6) lgkmcnt(1)
	v_mul_f32_e32 v3, v191, v222
	v_mul_f32_e32 v1, v190, v222
	v_fma_f32 v3, v190, v221, -v3
	v_fmac_f32_e32 v1, v191, v221
	v_add_f32_e32 v2, v2, v3
	s_waitcnt vmcnt(5)
	v_mul_f32_e32 v3, v193, v223
	v_add_f32_e32 v1, v229, v1
	v_mul_f32_e32 v229, v192, v223
	s_waitcnt vmcnt(2)
	v_fma_f32 v3, v192, v226, -v3
	v_fmac_f32_e32 v229, v193, v226
	v_add_f32_e32 v2, v2, v3
	s_waitcnt lgkmcnt(0)
	v_mul_f32_e32 v3, v195, v225
	v_add_f32_e32 v1, v1, v229
	v_mul_f32_e32 v229, v194, v225
	v_fma_f32 v3, v194, v224, -v3
	v_fmac_f32_e32 v229, v195, v224
	v_add_f32_e32 v2, v2, v3
	s_waitcnt vmcnt(0)
	v_mul_f32_e32 v3, v197, v228
	v_add_f32_e32 v1, v1, v229
	v_mul_f32_e32 v229, v196, v228
	v_fma_f32 v3, v196, v227, -v3
	v_fmac_f32_e32 v229, v197, v227
	v_add_f32_e32 v2, v2, v3
	v_add_f32_e32 v1, v1, v229
	v_sub_f32_e32 v2, v46, v2
	v_sub_f32_e32 v1, v47, v1
	buffer_store_dword v2, off, s[0:3], 0 offset:184
	buffer_store_dword v1, off, s[0:3], 0 offset:188
	s_and_saveexec_b64 s[4:5], vcc
	s_cbranch_execz .LBB59_329
; %bb.328:
	buffer_load_dword v1, off, s[0:3], 0 offset:176
	buffer_load_dword v2, off, s[0:3], 0 offset:180
	v_mov_b32_e32 v3, 0
	buffer_store_dword v3, off, s[0:3], 0 offset:176
	buffer_store_dword v3, off, s[0:3], 0 offset:180
	s_waitcnt vmcnt(2)
	ds_write_b64 v145, v[1:2]
.LBB59_329:
	s_or_b64 exec, exec, s[4:5]
	s_waitcnt lgkmcnt(0)
	; wave barrier
	buffer_load_dword v24, off, s[0:3], 0 offset:188
	buffer_load_dword v27, off, s[0:3], 0 offset:196
	;; [unrolled: 1-line block ×50, first 2 shown]
	v_mov_b32_e32 v1, 0
	ds_read2_b64 v[2:5], v1 offset0:83 offset1:84
	ds_read2_b64 v[6:9], v1 offset0:85 offset1:86
	;; [unrolled: 1-line block ×6, first 2 shown]
	buffer_load_dword v207, off, s[0:3], 0 offset:376
	buffer_load_dword v208, off, s[0:3], 0 offset:380
	;; [unrolled: 1-line block ×16, first 2 shown]
	v_cmp_lt_u32_e32 vcc, 21, v0
	s_waitcnt vmcnt(62) lgkmcnt(5)
	v_mul_f32_e32 v22, v2, v24
	v_mul_f32_e32 v23, v4, v27
	s_waitcnt lgkmcnt(4)
	v_mul_f32_e32 v150, v6, v28
	v_mul_f32_e32 v151, v8, v29
	s_waitcnt vmcnt(61) lgkmcnt(3)
	v_mul_f32_e32 v152, v10, v30
	s_waitcnt vmcnt(60)
	v_mul_f32_e32 v153, v12, v31
	s_waitcnt vmcnt(59) lgkmcnt(2)
	v_mul_f32_e32 v154, v14, v32
	s_waitcnt vmcnt(58)
	;; [unrolled: 4-line block ×3, first 2 shown]
	v_fmac_f32_e32 v150, v7, v35
	s_waitcnt vmcnt(55)
	v_fmac_f32_e32 v23, v5, v36
	s_waitcnt vmcnt(54)
	v_fmac_f32_e32 v22, v3, v37
	v_add_f32_e32 v22, 0, v22
	v_add_f32_e32 v22, v22, v23
	;; [unrolled: 1-line block ×3, first 2 shown]
	s_waitcnt vmcnt(50)
	v_fmac_f32_e32 v151, v9, v41
	v_fmac_f32_e32 v152, v11, v40
	v_add_f32_e32 v22, v22, v151
	v_fmac_f32_e32 v153, v13, v39
	v_add_f32_e32 v22, v22, v152
	v_add_f32_e32 v22, v22, v153
	ds_read2_b64 v[150:153], v1 offset0:95 offset1:96
	buffer_load_dword v223, off, s[0:3], 0 offset:440
	buffer_load_dword v224, off, s[0:3], 0 offset:444
	;; [unrolled: 1-line block ×6, first 2 shown]
	v_fmac_f32_e32 v154, v15, v38
	s_waitcnt vmcnt(52)
	v_fmac_f32_e32 v155, v17, v45
	v_add_f32_e32 v22, v22, v154
	v_fmac_f32_e32 v156, v19, v44
	v_add_f32_e32 v22, v22, v155
	v_add_f32_e32 v22, v22, v156
	ds_read2_b64 v[154:157], v1 offset0:97 offset1:98
	buffer_load_dword v229, off, s[0:3], 0 offset:468
	buffer_load_dword v230, off, s[0:3], 0 offset:472
	;; [unrolled: 1-line block ×4, first 2 shown]
	v_mul_f32_e32 v3, v3, v24
	v_fma_f32 v2, v2, v37, -v3
	v_mul_f32_e32 v3, v5, v27
	v_add_f32_e32 v2, 0, v2
	v_fma_f32 v3, v4, v36, -v3
	v_add_f32_e32 v2, v2, v3
	v_mul_f32_e32 v3, v7, v28
	v_fma_f32 v3, v6, v35, -v3
	v_add_f32_e32 v2, v2, v3
	v_mul_f32_e32 v3, v9, v29
	;; [unrolled: 3-line block ×7, first 2 shown]
	s_waitcnt vmcnt(55)
	v_mul_f32_e32 v23, v20, v46
	v_fma_f32 v3, v18, v44, -v3
	v_fmac_f32_e32 v23, v21, v43
	v_add_f32_e32 v2, v2, v3
	v_mul_f32_e32 v3, v21, v46
	v_add_f32_e32 v22, v22, v23
	s_waitcnt vmcnt(54) lgkmcnt(2)
	v_mul_f32_e32 v23, v146, v47
	v_fma_f32 v3, v20, v43, -v3
	v_fmac_f32_e32 v23, v147, v42
	v_add_f32_e32 v2, v2, v3
	v_mul_f32_e32 v3, v147, v47
	v_add_f32_e32 v22, v22, v23
	s_waitcnt vmcnt(53)
	v_mul_f32_e32 v23, v148, v48
	v_fma_f32 v3, v146, v42, -v3
	s_waitcnt vmcnt(46)
	v_fmac_f32_e32 v23, v149, v55
	v_add_f32_e32 v2, v2, v3
	v_mul_f32_e32 v3, v149, v48
	v_add_f32_e32 v22, v22, v23
	s_waitcnt lgkmcnt(1)
	v_mul_f32_e32 v23, v150, v50
	v_fma_f32 v3, v148, v55, -v3
	v_fmac_f32_e32 v23, v151, v49
	v_add_f32_e32 v2, v2, v3
	v_mul_f32_e32 v3, v151, v50
	v_add_f32_e32 v22, v22, v23
	v_mul_f32_e32 v23, v152, v52
	v_fma_f32 v3, v150, v49, -v3
	v_fmac_f32_e32 v23, v153, v51
	ds_read2_b64 v[158:161], v1 offset0:99 offset1:100
	ds_read2_b64 v[162:165], v1 offset0:101 offset1:102
	v_add_f32_e32 v2, v2, v3
	v_mul_f32_e32 v3, v153, v52
	v_add_f32_e32 v22, v22, v23
	s_waitcnt lgkmcnt(2)
	v_mul_f32_e32 v23, v154, v54
	v_fma_f32 v3, v152, v51, -v3
	v_fmac_f32_e32 v23, v155, v53
	v_add_f32_e32 v2, v2, v3
	v_mul_f32_e32 v3, v155, v54
	v_add_f32_e32 v22, v22, v23
	s_waitcnt vmcnt(42)
	v_mul_f32_e32 v23, v156, v59
	v_fma_f32 v3, v154, v53, -v3
	v_fmac_f32_e32 v23, v157, v58
	v_add_f32_e32 v2, v2, v3
	v_mul_f32_e32 v3, v157, v59
	v_add_f32_e32 v22, v22, v23
	s_waitcnt vmcnt(40) lgkmcnt(1)
	v_mul_f32_e32 v23, v158, v61
	v_fma_f32 v3, v156, v58, -v3
	v_fmac_f32_e32 v23, v159, v60
	v_add_f32_e32 v2, v2, v3
	v_mul_f32_e32 v3, v159, v61
	v_add_f32_e32 v22, v22, v23
	s_waitcnt vmcnt(38)
	v_mul_f32_e32 v23, v160, v63
	v_fma_f32 v3, v158, v60, -v3
	v_fmac_f32_e32 v23, v161, v62
	ds_read2_b64 v[166:169], v1 offset0:103 offset1:104
	ds_read2_b64 v[170:173], v1 offset0:105 offset1:106
	v_add_f32_e32 v2, v2, v3
	v_mul_f32_e32 v3, v161, v63
	v_add_f32_e32 v22, v22, v23
	s_waitcnt vmcnt(36) lgkmcnt(2)
	v_mul_f32_e32 v23, v162, v65
	v_fma_f32 v3, v160, v62, -v3
	v_fmac_f32_e32 v23, v163, v64
	v_add_f32_e32 v2, v2, v3
	v_mul_f32_e32 v3, v163, v65
	v_add_f32_e32 v22, v22, v23
	s_waitcnt vmcnt(34)
	v_mul_f32_e32 v23, v164, v198
	v_fma_f32 v3, v162, v64, -v3
	v_fmac_f32_e32 v23, v165, v66
	v_add_f32_e32 v2, v2, v3
	v_mul_f32_e32 v3, v165, v198
	v_add_f32_e32 v22, v22, v23
	s_waitcnt vmcnt(32) lgkmcnt(1)
	v_mul_f32_e32 v23, v166, v200
	v_fma_f32 v3, v164, v66, -v3
	v_fmac_f32_e32 v23, v167, v199
	v_add_f32_e32 v2, v2, v3
	v_mul_f32_e32 v3, v167, v200
	v_add_f32_e32 v22, v22, v23
	s_waitcnt vmcnt(30)
	v_mul_f32_e32 v23, v168, v202
	v_fma_f32 v3, v166, v199, -v3
	v_fmac_f32_e32 v23, v169, v201
	ds_read2_b64 v[174:177], v1 offset0:107 offset1:108
	ds_read2_b64 v[178:181], v1 offset0:109 offset1:110
	v_add_f32_e32 v2, v2, v3
	v_mul_f32_e32 v3, v169, v202
	v_add_f32_e32 v22, v22, v23
	s_waitcnt vmcnt(28) lgkmcnt(2)
	v_mul_f32_e32 v23, v170, v204
	v_fma_f32 v3, v168, v201, -v3
	v_fmac_f32_e32 v23, v171, v203
	v_add_f32_e32 v2, v2, v3
	v_mul_f32_e32 v3, v171, v204
	v_add_f32_e32 v22, v22, v23
	s_waitcnt vmcnt(26)
	v_mul_f32_e32 v23, v172, v206
	v_fma_f32 v3, v170, v203, -v3
	v_fmac_f32_e32 v23, v173, v205
	v_add_f32_e32 v2, v2, v3
	v_mul_f32_e32 v3, v173, v206
	v_add_f32_e32 v22, v22, v23
	s_waitcnt vmcnt(24) lgkmcnt(1)
	v_mul_f32_e32 v23, v174, v208
	v_fma_f32 v3, v172, v205, -v3
	v_fmac_f32_e32 v23, v175, v207
	v_add_f32_e32 v2, v2, v3
	v_mul_f32_e32 v3, v175, v208
	v_add_f32_e32 v22, v22, v23
	s_waitcnt vmcnt(23)
	v_mul_f32_e32 v23, v176, v209
	v_fma_f32 v3, v174, v207, -v3
	s_waitcnt vmcnt(20)
	v_fmac_f32_e32 v23, v177, v212
	ds_read2_b64 v[182:185], v1 offset0:111 offset1:112
	ds_read2_b64 v[186:189], v1 offset0:113 offset1:114
	v_add_f32_e32 v2, v2, v3
	v_mul_f32_e32 v3, v177, v209
	v_add_f32_e32 v22, v22, v23
	s_waitcnt lgkmcnt(2)
	v_mul_f32_e32 v23, v178, v211
	v_fma_f32 v3, v176, v212, -v3
	v_fmac_f32_e32 v23, v179, v210
	v_add_f32_e32 v2, v2, v3
	v_mul_f32_e32 v3, v179, v211
	v_add_f32_e32 v22, v22, v23
	s_waitcnt vmcnt(18)
	v_mul_f32_e32 v23, v180, v214
	v_fma_f32 v3, v178, v210, -v3
	v_fmac_f32_e32 v23, v181, v213
	v_add_f32_e32 v2, v2, v3
	v_mul_f32_e32 v3, v181, v214
	v_add_f32_e32 v22, v22, v23
	s_waitcnt vmcnt(16) lgkmcnt(1)
	v_mul_f32_e32 v23, v182, v216
	v_fma_f32 v3, v180, v213, -v3
	v_fmac_f32_e32 v23, v183, v215
	v_add_f32_e32 v2, v2, v3
	v_mul_f32_e32 v3, v183, v216
	v_add_f32_e32 v22, v22, v23
	s_waitcnt vmcnt(15)
	v_mul_f32_e32 v23, v184, v217
	v_fma_f32 v3, v182, v215, -v3
	s_waitcnt vmcnt(12)
	v_fmac_f32_e32 v23, v185, v220
	ds_read2_b64 v[190:193], v1 offset0:115 offset1:116
	ds_read2_b64 v[194:197], v1 offset0:117 offset1:118
	v_add_f32_e32 v2, v2, v3
	v_mul_f32_e32 v3, v185, v217
	v_add_f32_e32 v22, v22, v23
	s_waitcnt lgkmcnt(2)
	v_mul_f32_e32 v23, v186, v219
	v_fma_f32 v3, v184, v220, -v3
	v_fmac_f32_e32 v23, v187, v218
	v_add_f32_e32 v2, v2, v3
	v_mul_f32_e32 v3, v187, v219
	v_add_f32_e32 v22, v22, v23
	s_waitcnt vmcnt(10)
	v_mul_f32_e32 v23, v188, v222
	v_fma_f32 v3, v186, v218, -v3
	v_fmac_f32_e32 v23, v189, v221
	v_add_f32_e32 v2, v2, v3
	v_mul_f32_e32 v3, v189, v222
	v_add_f32_e32 v22, v22, v23
	s_waitcnt vmcnt(8) lgkmcnt(1)
	v_mul_f32_e32 v23, v190, v224
	v_fma_f32 v3, v188, v221, -v3
	v_fmac_f32_e32 v23, v191, v223
	v_add_f32_e32 v2, v2, v3
	v_mul_f32_e32 v3, v191, v224
	v_add_f32_e32 v22, v22, v23
	s_waitcnt vmcnt(7)
	v_mul_f32_e32 v23, v192, v225
	v_fma_f32 v3, v190, v223, -v3
	s_waitcnt vmcnt(4)
	v_fmac_f32_e32 v23, v193, v228
	v_add_f32_e32 v2, v2, v3
	v_mul_f32_e32 v3, v193, v225
	v_add_f32_e32 v233, v22, v23
	ds_read_b64 v[22:23], v1 offset:952
	v_fma_f32 v3, v192, v228, -v3
	v_add_f32_e32 v2, v2, v3
	s_waitcnt lgkmcnt(1)
	v_mul_f32_e32 v3, v195, v227
	v_mul_f32_e32 v234, v194, v227
	v_fma_f32 v3, v194, v226, -v3
	v_fmac_f32_e32 v234, v195, v226
	v_add_f32_e32 v2, v2, v3
	s_waitcnt vmcnt(3)
	v_mul_f32_e32 v3, v197, v229
	v_add_f32_e32 v233, v233, v234
	v_mul_f32_e32 v234, v196, v229
	s_waitcnt vmcnt(0)
	v_fma_f32 v3, v196, v232, -v3
	v_fmac_f32_e32 v234, v197, v232
	v_add_f32_e32 v2, v2, v3
	s_waitcnt lgkmcnt(0)
	v_mul_f32_e32 v3, v23, v231
	v_add_f32_e32 v233, v233, v234
	v_mul_f32_e32 v234, v22, v231
	v_fma_f32 v3, v22, v230, -v3
	v_fmac_f32_e32 v234, v23, v230
	v_add_f32_e32 v2, v2, v3
	v_add_f32_e32 v233, v233, v234
	v_sub_f32_e32 v2, v56, v2
	v_sub_f32_e32 v3, v57, v233
	buffer_store_dword v2, off, s[0:3], 0 offset:176
	buffer_store_dword v3, off, s[0:3], 0 offset:180
	s_and_saveexec_b64 s[4:5], vcc
	s_cbranch_execz .LBB59_331
; %bb.330:
	buffer_load_dword v2, off, s[0:3], 0 offset:168
	buffer_load_dword v3, off, s[0:3], 0 offset:172
	s_waitcnt vmcnt(0)
	ds_write_b64 v145, v[2:3]
	buffer_store_dword v1, off, s[0:3], 0 offset:168
	buffer_store_dword v1, off, s[0:3], 0 offset:172
.LBB59_331:
	s_or_b64 exec, exec, s[4:5]
	s_waitcnt lgkmcnt(0)
	; wave barrier
	buffer_load_dword v22, off, s[0:3], 0 offset:180
	buffer_load_dword v23, off, s[0:3], 0 offset:188
	;; [unrolled: 1-line block ×32, first 2 shown]
	ds_read_b128 v[2:5], v1 offset:656
	ds_read_b128 v[6:9], v1 offset:672
	;; [unrolled: 1-line block ×6, first 2 shown]
	buffer_load_dword v56, off, s[0:3], 0 offset:296
	buffer_load_dword v57, off, s[0:3], 0 offset:300
	;; [unrolled: 1-line block ×32, first 2 shown]
	v_cmp_lt_u32_e32 vcc, 20, v0
	s_waitcnt vmcnt(62) lgkmcnt(5)
	v_mul_f32_e32 v150, v2, v22
	v_mul_f32_e32 v151, v4, v23
	s_waitcnt vmcnt(61) lgkmcnt(4)
	v_mul_f32_e32 v152, v6, v24
	s_waitcnt vmcnt(60)
	v_mul_f32_e32 v153, v8, v27
	s_waitcnt vmcnt(59) lgkmcnt(3)
	v_mul_f32_e32 v154, v10, v28
	s_waitcnt vmcnt(58)
	;; [unrolled: 4-line block ×4, first 2 shown]
	v_mul_f32_e32 v159, v20, v33
	s_waitcnt vmcnt(53)
	v_fmac_f32_e32 v152, v7, v34
	s_waitcnt vmcnt(52)
	v_fmac_f32_e32 v151, v5, v35
	;; [unrolled: 2-line block ×3, first 2 shown]
	v_add_f32_e32 v150, 0, v150
	v_add_f32_e32 v150, v150, v151
	;; [unrolled: 1-line block ×3, first 2 shown]
	s_waitcnt vmcnt(47)
	v_fmac_f32_e32 v153, v9, v40
	v_fmac_f32_e32 v154, v11, v39
	v_add_f32_e32 v150, v150, v153
	v_fmac_f32_e32 v155, v13, v38
	v_add_f32_e32 v150, v150, v154
	;; [unrolled: 2-line block ×3, first 2 shown]
	s_waitcnt vmcnt(43)
	v_fmac_f32_e32 v157, v17, v44
	v_add_f32_e32 v150, v150, v156
	v_fmac_f32_e32 v158, v19, v43
	v_add_f32_e32 v150, v150, v157
	;; [unrolled: 2-line block ×3, first 2 shown]
	s_waitcnt vmcnt(42) lgkmcnt(0)
	v_mul_f32_e32 v151, v146, v45
	v_add_f32_e32 v150, v150, v159
	v_fmac_f32_e32 v151, v147, v41
	v_add_f32_e32 v154, v150, v151
	ds_read_b128 v[150:153], v1 offset:752
	buffer_load_dword v223, off, s[0:3], 0 offset:424
	buffer_load_dword v224, off, s[0:3], 0 offset:428
	s_waitcnt vmcnt(43)
	v_mul_f32_e32 v155, v148, v46
	s_waitcnt vmcnt(37)
	v_fmac_f32_e32 v155, v149, v52
	v_add_f32_e32 v158, v154, v155
	ds_read_b128 v[154:157], v1 offset:768
	buffer_load_dword v225, off, s[0:3], 0 offset:432
	buffer_load_dword v226, off, s[0:3], 0 offset:436
	;; [unrolled: 1-line block ×12, first 2 shown]
	v_mul_f32_e32 v3, v3, v22
	v_fma_f32 v2, v2, v36, -v3
	v_mul_f32_e32 v3, v5, v23
	v_add_f32_e32 v2, 0, v2
	v_fma_f32 v3, v4, v35, -v3
	v_add_f32_e32 v2, v2, v3
	v_mul_f32_e32 v3, v7, v24
	v_fma_f32 v3, v6, v34, -v3
	v_add_f32_e32 v2, v2, v3
	v_mul_f32_e32 v3, v9, v27
	v_fma_f32 v3, v8, v40, -v3
	s_waitcnt vmcnt(48) lgkmcnt(1)
	v_mul_f32_e32 v159, v150, v53
	v_add_f32_e32 v2, v2, v3
	v_mul_f32_e32 v3, v11, v28
	v_fmac_f32_e32 v159, v151, v51
	v_fma_f32 v3, v10, v39, -v3
	v_add_f32_e32 v158, v158, v159
	v_mul_f32_e32 v159, v152, v48
	v_add_f32_e32 v2, v2, v3
	v_mul_f32_e32 v3, v13, v29
	v_fmac_f32_e32 v159, v153, v47
	v_fma_f32 v3, v12, v38, -v3
	v_add_f32_e32 v158, v158, v159
	s_waitcnt lgkmcnt(0)
	v_mul_f32_e32 v159, v154, v50
	v_add_f32_e32 v2, v2, v3
	v_mul_f32_e32 v3, v15, v30
	v_fmac_f32_e32 v159, v155, v49
	v_fma_f32 v3, v14, v37, -v3
	v_add_f32_e32 v162, v158, v159
	ds_read_b128 v[158:161], v1 offset:784
	v_add_f32_e32 v2, v2, v3
	v_mul_f32_e32 v3, v17, v31
	v_fma_f32 v3, v16, v44, -v3
	s_waitcnt vmcnt(44)
	v_mul_f32_e32 v163, v156, v57
	v_add_f32_e32 v2, v2, v3
	v_mul_f32_e32 v3, v19, v32
	v_fmac_f32_e32 v163, v157, v56
	v_fma_f32 v3, v18, v43, -v3
	v_add_f32_e32 v166, v162, v163
	ds_read_b128 v[162:165], v1 offset:800
	v_add_f32_e32 v2, v2, v3
	v_mul_f32_e32 v3, v21, v33
	s_waitcnt vmcnt(42) lgkmcnt(1)
	v_mul_f32_e32 v167, v158, v59
	v_fma_f32 v3, v20, v42, -v3
	v_fmac_f32_e32 v167, v159, v58
	v_add_f32_e32 v2, v2, v3
	v_mul_f32_e32 v3, v147, v45
	v_add_f32_e32 v166, v166, v167
	s_waitcnt vmcnt(40)
	v_mul_f32_e32 v167, v160, v61
	v_fma_f32 v3, v146, v41, -v3
	v_fmac_f32_e32 v167, v161, v60
	v_add_f32_e32 v2, v2, v3
	v_mul_f32_e32 v3, v149, v46
	v_add_f32_e32 v166, v166, v167
	s_waitcnt vmcnt(38) lgkmcnt(0)
	v_mul_f32_e32 v167, v162, v63
	v_fma_f32 v3, v148, v52, -v3
	v_fmac_f32_e32 v167, v163, v62
	v_add_f32_e32 v2, v2, v3
	v_mul_f32_e32 v3, v151, v53
	v_add_f32_e32 v170, v166, v167
	ds_read_b128 v[166:169], v1 offset:816
	v_fma_f32 v3, v150, v51, -v3
	v_add_f32_e32 v2, v2, v3
	v_mul_f32_e32 v3, v153, v48
	s_waitcnt vmcnt(36)
	v_mul_f32_e32 v171, v164, v65
	v_fma_f32 v3, v152, v47, -v3
	v_fmac_f32_e32 v171, v165, v64
	v_add_f32_e32 v2, v2, v3
	v_mul_f32_e32 v3, v155, v50
	v_add_f32_e32 v174, v170, v171
	ds_read_b128 v[170:173], v1 offset:832
	v_fma_f32 v3, v154, v49, -v3
	s_waitcnt vmcnt(34) lgkmcnt(1)
	v_mul_f32_e32 v175, v166, v202
	v_add_f32_e32 v2, v2, v3
	v_mul_f32_e32 v3, v157, v57
	v_fmac_f32_e32 v175, v167, v66
	v_fma_f32 v3, v156, v56, -v3
	v_add_f32_e32 v174, v174, v175
	s_waitcnt vmcnt(32)
	v_mul_f32_e32 v175, v168, v204
	v_add_f32_e32 v2, v2, v3
	v_mul_f32_e32 v3, v159, v59
	v_fmac_f32_e32 v175, v169, v203
	v_fma_f32 v3, v158, v58, -v3
	v_add_f32_e32 v174, v174, v175
	s_waitcnt vmcnt(30) lgkmcnt(0)
	v_mul_f32_e32 v175, v170, v206
	v_add_f32_e32 v2, v2, v3
	v_mul_f32_e32 v3, v161, v61
	v_fmac_f32_e32 v175, v171, v205
	v_fma_f32 v3, v160, v60, -v3
	v_add_f32_e32 v178, v174, v175
	ds_read_b128 v[174:177], v1 offset:848
	v_add_f32_e32 v2, v2, v3
	v_mul_f32_e32 v3, v163, v63
	v_fma_f32 v3, v162, v62, -v3
	s_waitcnt vmcnt(28)
	v_mul_f32_e32 v179, v172, v208
	v_add_f32_e32 v2, v2, v3
	v_mul_f32_e32 v3, v165, v65
	v_fmac_f32_e32 v179, v173, v207
	v_fma_f32 v3, v164, v64, -v3
	v_add_f32_e32 v182, v178, v179
	ds_read_b128 v[178:181], v1 offset:864
	v_add_f32_e32 v2, v2, v3
	v_mul_f32_e32 v3, v167, v202
	s_waitcnt vmcnt(26) lgkmcnt(1)
	v_mul_f32_e32 v183, v174, v210
	v_fma_f32 v3, v166, v66, -v3
	v_fmac_f32_e32 v183, v175, v209
	v_add_f32_e32 v2, v2, v3
	v_mul_f32_e32 v3, v169, v204
	v_add_f32_e32 v182, v182, v183
	s_waitcnt vmcnt(25)
	v_mul_f32_e32 v183, v176, v211
	v_fma_f32 v3, v168, v203, -v3
	s_waitcnt vmcnt(22)
	v_fmac_f32_e32 v183, v177, v214
	v_add_f32_e32 v2, v2, v3
	v_mul_f32_e32 v3, v171, v206
	v_add_f32_e32 v182, v182, v183
	s_waitcnt lgkmcnt(0)
	v_mul_f32_e32 v183, v178, v213
	v_fma_f32 v3, v170, v205, -v3
	v_fmac_f32_e32 v183, v179, v212
	v_add_f32_e32 v2, v2, v3
	v_mul_f32_e32 v3, v173, v208
	v_add_f32_e32 v186, v182, v183
	ds_read_b128 v[182:185], v1 offset:880
	v_fma_f32 v3, v172, v207, -v3
	v_add_f32_e32 v2, v2, v3
	v_mul_f32_e32 v3, v175, v210
	s_waitcnt vmcnt(20)
	v_mul_f32_e32 v187, v180, v216
	v_fma_f32 v3, v174, v209, -v3
	v_fmac_f32_e32 v187, v181, v215
	v_add_f32_e32 v2, v2, v3
	v_mul_f32_e32 v3, v177, v211
	v_add_f32_e32 v190, v186, v187
	ds_read_b128 v[186:189], v1 offset:896
	v_fma_f32 v3, v176, v214, -v3
	s_waitcnt vmcnt(18) lgkmcnt(1)
	v_mul_f32_e32 v191, v182, v218
	v_add_f32_e32 v2, v2, v3
	v_mul_f32_e32 v3, v179, v213
	v_fmac_f32_e32 v191, v183, v217
	v_fma_f32 v3, v178, v212, -v3
	v_add_f32_e32 v190, v190, v191
	s_waitcnt vmcnt(17)
	v_mul_f32_e32 v191, v184, v219
	v_add_f32_e32 v2, v2, v3
	v_mul_f32_e32 v3, v181, v216
	s_waitcnt vmcnt(14)
	v_fmac_f32_e32 v191, v185, v222
	v_fma_f32 v3, v180, v215, -v3
	v_add_f32_e32 v190, v190, v191
	s_waitcnt lgkmcnt(0)
	v_mul_f32_e32 v191, v186, v221
	v_add_f32_e32 v2, v2, v3
	v_mul_f32_e32 v3, v183, v218
	v_fmac_f32_e32 v191, v187, v220
	v_fma_f32 v3, v182, v217, -v3
	v_add_f32_e32 v194, v190, v191
	ds_read_b128 v[190:193], v1 offset:912
	v_add_f32_e32 v2, v2, v3
	v_mul_f32_e32 v3, v185, v219
	v_fma_f32 v3, v184, v222, -v3
	v_add_f32_e32 v2, v2, v3
	v_mul_f32_e32 v3, v187, v221
	s_waitcnt vmcnt(12)
	v_mul_f32_e32 v195, v188, v224
	v_fma_f32 v3, v186, v220, -v3
	v_fmac_f32_e32 v195, v189, v223
	v_add_f32_e32 v2, v2, v3
	v_mul_f32_e32 v3, v189, v224
	v_add_f32_e32 v198, v194, v195
	ds_read_b128 v[194:197], v1 offset:928
	s_waitcnt vmcnt(10) lgkmcnt(1)
	v_mul_f32_e32 v199, v190, v226
	v_fma_f32 v3, v188, v223, -v3
	v_fmac_f32_e32 v199, v191, v225
	v_add_f32_e32 v2, v2, v3
	v_mul_f32_e32 v3, v191, v226
	v_add_f32_e32 v198, v198, v199
	s_waitcnt vmcnt(9)
	v_mul_f32_e32 v199, v192, v227
	v_fma_f32 v3, v190, v225, -v3
	s_waitcnt vmcnt(6)
	v_fmac_f32_e32 v199, v193, v230
	v_add_f32_e32 v2, v2, v3
	v_mul_f32_e32 v3, v193, v227
	v_add_f32_e32 v237, v198, v199
	ds_read_b128 v[198:201], v1 offset:944
	v_fma_f32 v3, v192, v230, -v3
	v_add_f32_e32 v2, v2, v3
	s_waitcnt lgkmcnt(1)
	v_mul_f32_e32 v3, v195, v229
	v_mul_f32_e32 v238, v194, v229
	v_fma_f32 v3, v194, v228, -v3
	v_fmac_f32_e32 v238, v195, v228
	v_add_f32_e32 v2, v2, v3
	s_waitcnt vmcnt(4)
	v_mul_f32_e32 v3, v197, v232
	v_add_f32_e32 v1, v237, v238
	v_mul_f32_e32 v237, v196, v232
	v_fma_f32 v3, v196, v231, -v3
	v_fmac_f32_e32 v237, v197, v231
	v_add_f32_e32 v2, v2, v3
	s_waitcnt vmcnt(3) lgkmcnt(0)
	v_mul_f32_e32 v3, v199, v233
	v_add_f32_e32 v1, v1, v237
	v_mul_f32_e32 v237, v198, v233
	s_waitcnt vmcnt(0)
	v_fma_f32 v3, v198, v236, -v3
	v_fmac_f32_e32 v237, v199, v236
	v_add_f32_e32 v2, v2, v3
	v_mul_f32_e32 v3, v201, v235
	v_add_f32_e32 v1, v1, v237
	v_mul_f32_e32 v237, v200, v235
	v_fma_f32 v3, v200, v234, -v3
	v_fmac_f32_e32 v237, v201, v234
	v_add_f32_e32 v2, v2, v3
	v_add_f32_e32 v1, v1, v237
	v_sub_f32_e32 v2, v54, v2
	v_sub_f32_e32 v1, v55, v1
	buffer_store_dword v2, off, s[0:3], 0 offset:168
	buffer_store_dword v1, off, s[0:3], 0 offset:172
	s_and_saveexec_b64 s[4:5], vcc
	s_cbranch_execz .LBB59_333
; %bb.332:
	buffer_load_dword v1, off, s[0:3], 0 offset:160
	buffer_load_dword v2, off, s[0:3], 0 offset:164
	v_mov_b32_e32 v3, 0
	buffer_store_dword v3, off, s[0:3], 0 offset:160
	buffer_store_dword v3, off, s[0:3], 0 offset:164
	s_waitcnt vmcnt(2)
	ds_write_b64 v145, v[1:2]
.LBB59_333:
	s_or_b64 exec, exec, s[4:5]
	s_waitcnt lgkmcnt(0)
	; wave barrier
	buffer_load_dword v24, off, s[0:3], 0 offset:172
	buffer_load_dword v27, off, s[0:3], 0 offset:180
	;; [unrolled: 1-line block ×50, first 2 shown]
	v_mov_b32_e32 v1, 0
	ds_read2_b64 v[2:5], v1 offset0:81 offset1:82
	ds_read2_b64 v[6:9], v1 offset0:83 offset1:84
	;; [unrolled: 1-line block ×6, first 2 shown]
	buffer_load_dword v211, off, s[0:3], 0 offset:360
	buffer_load_dword v212, off, s[0:3], 0 offset:364
	;; [unrolled: 1-line block ×8, first 2 shown]
	v_cmp_lt_u32_e32 vcc, 19, v0
	s_waitcnt vmcnt(57) lgkmcnt(5)
	v_mul_f32_e32 v22, v2, v24
	s_waitcnt vmcnt(56)
	v_mul_f32_e32 v23, v4, v27
	s_waitcnt vmcnt(55) lgkmcnt(4)
	v_mul_f32_e32 v150, v6, v28
	s_waitcnt vmcnt(54)
	v_mul_f32_e32 v151, v8, v29
	;; [unrolled: 4-line block ×5, first 2 shown]
	s_waitcnt vmcnt(47) lgkmcnt(0)
	v_mul_f32_e32 v158, v146, v36
	s_waitcnt vmcnt(46)
	v_fmac_f32_e32 v150, v7, v37
	s_waitcnt vmcnt(45)
	v_fmac_f32_e32 v23, v5, v38
	;; [unrolled: 2-line block ×3, first 2 shown]
	v_add_f32_e32 v22, 0, v22
	v_add_f32_e32 v22, v22, v23
	;; [unrolled: 1-line block ×3, first 2 shown]
	s_waitcnt vmcnt(40)
	v_fmac_f32_e32 v151, v9, v43
	v_fmac_f32_e32 v152, v11, v42
	v_add_f32_e32 v22, v22, v151
	v_fmac_f32_e32 v153, v13, v41
	v_add_f32_e32 v22, v22, v152
	;; [unrolled: 2-line block ×3, first 2 shown]
	s_waitcnt vmcnt(36)
	v_fmac_f32_e32 v155, v17, v47
	v_add_f32_e32 v22, v22, v154
	ds_read2_b64 v[150:153], v1 offset0:93 offset1:94
	buffer_load_dword v219, off, s[0:3], 0 offset:392
	buffer_load_dword v220, off, s[0:3], 0 offset:396
	;; [unrolled: 1-line block ×6, first 2 shown]
	v_fmac_f32_e32 v156, v19, v46
	v_add_f32_e32 v22, v22, v155
	v_fmac_f32_e32 v157, v21, v45
	v_add_f32_e32 v22, v22, v156
	v_add_f32_e32 v22, v22, v157
	ds_read2_b64 v[154:157], v1 offset0:95 offset1:96
	buffer_load_dword v225, off, s[0:3], 0 offset:416
	buffer_load_dword v226, off, s[0:3], 0 offset:420
	;; [unrolled: 1-line block ×16, first 2 shown]
	v_mul_f32_e32 v3, v3, v24
	v_fma_f32 v2, v2, v39, -v3
	v_mul_f32_e32 v3, v5, v27
	v_add_f32_e32 v2, 0, v2
	v_fma_f32 v3, v4, v38, -v3
	v_add_f32_e32 v2, v2, v3
	v_mul_f32_e32 v3, v7, v28
	v_fma_f32 v3, v6, v37, -v3
	v_add_f32_e32 v2, v2, v3
	v_mul_f32_e32 v3, v9, v29
	;; [unrolled: 3-line block ×9, first 2 shown]
	v_fmac_f32_e32 v158, v147, v44
	s_waitcnt vmcnt(57)
	v_mul_f32_e32 v23, v148, v48
	v_fma_f32 v3, v146, v44, -v3
	v_add_f32_e32 v22, v22, v158
	s_waitcnt vmcnt(50)
	v_fmac_f32_e32 v23, v149, v55
	v_add_f32_e32 v2, v2, v3
	v_mul_f32_e32 v3, v149, v48
	v_add_f32_e32 v22, v22, v23
	s_waitcnt lgkmcnt(1)
	v_mul_f32_e32 v23, v150, v50
	v_fma_f32 v3, v148, v55, -v3
	v_fmac_f32_e32 v23, v151, v49
	v_add_f32_e32 v2, v2, v3
	v_mul_f32_e32 v3, v151, v50
	v_add_f32_e32 v22, v22, v23
	v_mul_f32_e32 v23, v152, v52
	v_fma_f32 v3, v150, v49, -v3
	v_fmac_f32_e32 v23, v153, v51
	ds_read2_b64 v[158:161], v1 offset0:97 offset1:98
	ds_read2_b64 v[162:165], v1 offset0:99 offset1:100
	v_add_f32_e32 v2, v2, v3
	v_mul_f32_e32 v3, v153, v52
	v_add_f32_e32 v22, v22, v23
	s_waitcnt lgkmcnt(2)
	v_mul_f32_e32 v23, v154, v54
	v_fma_f32 v3, v152, v51, -v3
	v_fmac_f32_e32 v23, v155, v53
	v_add_f32_e32 v2, v2, v3
	v_mul_f32_e32 v3, v155, v54
	v_add_f32_e32 v22, v22, v23
	s_waitcnt vmcnt(46)
	v_mul_f32_e32 v23, v156, v59
	v_fma_f32 v3, v154, v53, -v3
	v_fmac_f32_e32 v23, v157, v58
	v_add_f32_e32 v2, v2, v3
	v_mul_f32_e32 v3, v157, v59
	v_add_f32_e32 v22, v22, v23
	s_waitcnt vmcnt(44) lgkmcnt(1)
	v_mul_f32_e32 v23, v158, v61
	v_fma_f32 v3, v156, v58, -v3
	v_fmac_f32_e32 v23, v159, v60
	v_add_f32_e32 v2, v2, v3
	v_mul_f32_e32 v3, v159, v61
	v_add_f32_e32 v22, v22, v23
	s_waitcnt vmcnt(42)
	v_mul_f32_e32 v23, v160, v63
	v_fma_f32 v3, v158, v60, -v3
	v_fmac_f32_e32 v23, v161, v62
	ds_read2_b64 v[166:169], v1 offset0:101 offset1:102
	ds_read2_b64 v[170:173], v1 offset0:103 offset1:104
	v_add_f32_e32 v2, v2, v3
	v_mul_f32_e32 v3, v161, v63
	v_add_f32_e32 v22, v22, v23
	s_waitcnt vmcnt(40) lgkmcnt(2)
	v_mul_f32_e32 v23, v162, v65
	v_fma_f32 v3, v160, v62, -v3
	v_fmac_f32_e32 v23, v163, v64
	v_add_f32_e32 v2, v2, v3
	v_mul_f32_e32 v3, v163, v65
	v_add_f32_e32 v22, v22, v23
	s_waitcnt vmcnt(38)
	v_mul_f32_e32 v23, v164, v202
	v_fma_f32 v3, v162, v64, -v3
	v_fmac_f32_e32 v23, v165, v66
	v_add_f32_e32 v2, v2, v3
	v_mul_f32_e32 v3, v165, v202
	v_add_f32_e32 v22, v22, v23
	s_waitcnt vmcnt(36) lgkmcnt(1)
	v_mul_f32_e32 v23, v166, v204
	v_fma_f32 v3, v164, v66, -v3
	v_fmac_f32_e32 v23, v167, v203
	v_add_f32_e32 v2, v2, v3
	v_mul_f32_e32 v3, v167, v204
	v_add_f32_e32 v22, v22, v23
	s_waitcnt vmcnt(34)
	v_mul_f32_e32 v23, v168, v206
	v_fma_f32 v3, v166, v203, -v3
	v_fmac_f32_e32 v23, v169, v205
	ds_read2_b64 v[174:177], v1 offset0:105 offset1:106
	ds_read2_b64 v[178:181], v1 offset0:107 offset1:108
	v_add_f32_e32 v2, v2, v3
	v_mul_f32_e32 v3, v169, v206
	v_add_f32_e32 v22, v22, v23
	s_waitcnt vmcnt(32) lgkmcnt(2)
	v_mul_f32_e32 v23, v170, v208
	v_fma_f32 v3, v168, v205, -v3
	v_fmac_f32_e32 v23, v171, v207
	v_add_f32_e32 v2, v2, v3
	v_mul_f32_e32 v3, v171, v208
	v_add_f32_e32 v22, v22, v23
	s_waitcnt vmcnt(30)
	v_mul_f32_e32 v23, v172, v210
	v_fma_f32 v3, v170, v207, -v3
	v_fmac_f32_e32 v23, v173, v209
	v_add_f32_e32 v2, v2, v3
	v_mul_f32_e32 v3, v173, v210
	v_add_f32_e32 v22, v22, v23
	s_waitcnt vmcnt(28) lgkmcnt(1)
	v_mul_f32_e32 v23, v174, v212
	v_fma_f32 v3, v172, v209, -v3
	v_fmac_f32_e32 v23, v175, v211
	v_add_f32_e32 v2, v2, v3
	v_mul_f32_e32 v3, v175, v212
	v_add_f32_e32 v22, v22, v23
	s_waitcnt vmcnt(27)
	v_mul_f32_e32 v23, v176, v213
	v_fma_f32 v3, v174, v211, -v3
	s_waitcnt vmcnt(24)
	v_fmac_f32_e32 v23, v177, v216
	ds_read2_b64 v[182:185], v1 offset0:109 offset1:110
	ds_read2_b64 v[186:189], v1 offset0:111 offset1:112
	v_add_f32_e32 v2, v2, v3
	v_mul_f32_e32 v3, v177, v213
	v_add_f32_e32 v22, v22, v23
	s_waitcnt lgkmcnt(2)
	v_mul_f32_e32 v23, v178, v215
	v_fma_f32 v3, v176, v216, -v3
	v_fmac_f32_e32 v23, v179, v214
	v_add_f32_e32 v2, v2, v3
	v_mul_f32_e32 v3, v179, v215
	v_add_f32_e32 v22, v22, v23
	s_waitcnt vmcnt(22)
	v_mul_f32_e32 v23, v180, v218
	v_fma_f32 v3, v178, v214, -v3
	v_fmac_f32_e32 v23, v181, v217
	v_add_f32_e32 v2, v2, v3
	v_mul_f32_e32 v3, v181, v218
	v_add_f32_e32 v22, v22, v23
	s_waitcnt vmcnt(20) lgkmcnt(1)
	v_mul_f32_e32 v23, v182, v220
	v_fma_f32 v3, v180, v217, -v3
	v_fmac_f32_e32 v23, v183, v219
	v_add_f32_e32 v2, v2, v3
	v_mul_f32_e32 v3, v183, v220
	v_add_f32_e32 v22, v22, v23
	s_waitcnt vmcnt(19)
	v_mul_f32_e32 v23, v184, v221
	v_fma_f32 v3, v182, v219, -v3
	s_waitcnt vmcnt(16)
	v_fmac_f32_e32 v23, v185, v224
	ds_read2_b64 v[190:193], v1 offset0:113 offset1:114
	ds_read2_b64 v[194:197], v1 offset0:115 offset1:116
	v_add_f32_e32 v2, v2, v3
	v_mul_f32_e32 v3, v185, v221
	v_add_f32_e32 v22, v22, v23
	s_waitcnt lgkmcnt(2)
	v_mul_f32_e32 v23, v186, v223
	v_fma_f32 v3, v184, v224, -v3
	v_fmac_f32_e32 v23, v187, v222
	v_add_f32_e32 v2, v2, v3
	v_mul_f32_e32 v3, v187, v223
	v_add_f32_e32 v22, v22, v23
	s_waitcnt vmcnt(14)
	v_mul_f32_e32 v23, v188, v226
	v_fma_f32 v3, v186, v222, -v3
	v_fmac_f32_e32 v23, v189, v225
	v_add_f32_e32 v2, v2, v3
	v_mul_f32_e32 v3, v189, v226
	v_add_f32_e32 v22, v22, v23
	s_waitcnt vmcnt(12) lgkmcnt(1)
	v_mul_f32_e32 v23, v190, v228
	v_fma_f32 v3, v188, v225, -v3
	v_fmac_f32_e32 v23, v191, v227
	v_add_f32_e32 v2, v2, v3
	v_mul_f32_e32 v3, v191, v228
	v_add_f32_e32 v22, v22, v23
	s_waitcnt vmcnt(11)
	v_mul_f32_e32 v23, v192, v229
	v_fma_f32 v3, v190, v227, -v3
	s_waitcnt vmcnt(8)
	v_fmac_f32_e32 v23, v193, v232
	v_add_f32_e32 v2, v2, v3
	v_mul_f32_e32 v3, v193, v229
	v_add_f32_e32 v22, v22, v23
	s_waitcnt lgkmcnt(0)
	v_mul_f32_e32 v23, v194, v231
	ds_read2_b64 v[198:201], v1 offset0:117 offset1:118
	v_fma_f32 v3, v192, v232, -v3
	v_fmac_f32_e32 v23, v195, v230
	v_add_f32_e32 v2, v2, v3
	v_mul_f32_e32 v3, v195, v231
	v_add_f32_e32 v22, v22, v23
	s_waitcnt vmcnt(6)
	v_mul_f32_e32 v23, v196, v234
	v_fma_f32 v3, v194, v230, -v3
	v_fmac_f32_e32 v23, v197, v233
	v_add_f32_e32 v2, v2, v3
	v_mul_f32_e32 v3, v197, v234
	v_add_f32_e32 v241, v22, v23
	ds_read_b64 v[22:23], v1 offset:952
	v_fma_f32 v3, v196, v233, -v3
	v_add_f32_e32 v2, v2, v3
	s_waitcnt vmcnt(4) lgkmcnt(1)
	v_mul_f32_e32 v3, v199, v236
	v_mul_f32_e32 v242, v198, v236
	v_fma_f32 v3, v198, v235, -v3
	v_fmac_f32_e32 v242, v199, v235
	v_add_f32_e32 v2, v2, v3
	s_waitcnt vmcnt(3)
	v_mul_f32_e32 v3, v201, v237
	v_add_f32_e32 v241, v241, v242
	v_mul_f32_e32 v242, v200, v237
	s_waitcnt vmcnt(0)
	v_fma_f32 v3, v200, v240, -v3
	v_fmac_f32_e32 v242, v201, v240
	v_add_f32_e32 v2, v2, v3
	s_waitcnt lgkmcnt(0)
	v_mul_f32_e32 v3, v23, v239
	v_add_f32_e32 v241, v241, v242
	v_mul_f32_e32 v242, v22, v239
	v_fma_f32 v3, v22, v238, -v3
	v_fmac_f32_e32 v242, v23, v238
	v_add_f32_e32 v2, v2, v3
	v_add_f32_e32 v241, v241, v242
	v_sub_f32_e32 v2, v56, v2
	v_sub_f32_e32 v3, v57, v241
	buffer_store_dword v2, off, s[0:3], 0 offset:160
	buffer_store_dword v3, off, s[0:3], 0 offset:164
	s_and_saveexec_b64 s[4:5], vcc
	s_cbranch_execz .LBB59_335
; %bb.334:
	buffer_load_dword v2, off, s[0:3], 0 offset:152
	buffer_load_dword v3, off, s[0:3], 0 offset:156
	s_waitcnt vmcnt(0)
	ds_write_b64 v145, v[2:3]
	buffer_store_dword v1, off, s[0:3], 0 offset:152
	buffer_store_dword v1, off, s[0:3], 0 offset:156
.LBB59_335:
	s_or_b64 exec, exec, s[4:5]
	s_waitcnt lgkmcnt(0)
	; wave barrier
	buffer_load_dword v22, off, s[0:3], 0 offset:164
	buffer_load_dword v23, off, s[0:3], 0 offset:172
	;; [unrolled: 1-line block ×32, first 2 shown]
	ds_read_b128 v[2:5], v1 offset:640
	ds_read_b128 v[6:9], v1 offset:656
	;; [unrolled: 1-line block ×6, first 2 shown]
	buffer_load_dword v56, off, s[0:3], 0 offset:280
	buffer_load_dword v57, off, s[0:3], 0 offset:284
	;; [unrolled: 1-line block ×26, first 2 shown]
	v_cmp_lt_u32_e32 vcc, 18, v0
	s_waitcnt vmcnt(57) lgkmcnt(5)
	v_mul_f32_e32 v150, v2, v22
	s_waitcnt vmcnt(56)
	v_mul_f32_e32 v151, v4, v23
	s_waitcnt vmcnt(55) lgkmcnt(4)
	v_mul_f32_e32 v152, v6, v24
	s_waitcnt vmcnt(54)
	v_mul_f32_e32 v153, v8, v27
	;; [unrolled: 4-line block ×5, first 2 shown]
	s_waitcnt vmcnt(47) lgkmcnt(0)
	v_mul_f32_e32 v160, v146, v34
	s_waitcnt vmcnt(46)
	v_fmac_f32_e32 v152, v7, v35
	s_waitcnt vmcnt(45)
	v_fmac_f32_e32 v151, v5, v36
	;; [unrolled: 2-line block ×3, first 2 shown]
	v_add_f32_e32 v150, 0, v150
	v_add_f32_e32 v150, v150, v151
	;; [unrolled: 1-line block ×3, first 2 shown]
	s_waitcnt vmcnt(40)
	v_fmac_f32_e32 v153, v9, v41
	v_fmac_f32_e32 v154, v11, v40
	v_add_f32_e32 v150, v150, v153
	v_fmac_f32_e32 v155, v13, v39
	v_add_f32_e32 v150, v150, v154
	;; [unrolled: 2-line block ×3, first 2 shown]
	s_waitcnt vmcnt(36)
	v_fmac_f32_e32 v157, v17, v45
	v_add_f32_e32 v150, v150, v156
	v_fmac_f32_e32 v158, v19, v44
	v_add_f32_e32 v150, v150, v157
	;; [unrolled: 2-line block ×4, first 2 shown]
	v_add_f32_e32 v154, v150, v160
	ds_read_b128 v[150:153], v1 offset:736
	buffer_load_dword v221, off, s[0:3], 0 offset:384
	buffer_load_dword v222, off, s[0:3], 0 offset:388
	;; [unrolled: 1-line block ×6, first 2 shown]
	s_waitcnt vmcnt(41)
	v_mul_f32_e32 v155, v148, v46
	s_waitcnt vmcnt(35)
	v_fmac_f32_e32 v155, v149, v52
	v_add_f32_e32 v158, v154, v155
	ds_read_b128 v[154:157], v1 offset:752
	buffer_load_dword v227, off, s[0:3], 0 offset:408
	buffer_load_dword v228, off, s[0:3], 0 offset:412
	;; [unrolled: 1-line block ×10, first 2 shown]
	s_waitcnt vmcnt(44) lgkmcnt(1)
	v_mul_f32_e32 v159, v150, v53
	v_fmac_f32_e32 v159, v151, v51
	v_add_f32_e32 v158, v158, v159
	v_mul_f32_e32 v159, v152, v48
	v_fmac_f32_e32 v159, v153, v47
	v_add_f32_e32 v158, v158, v159
	s_waitcnt lgkmcnt(0)
	v_mul_f32_e32 v159, v154, v50
	buffer_load_dword v237, off, s[0:3], 0 offset:448
	buffer_load_dword v238, off, s[0:3], 0 offset:452
	;; [unrolled: 1-line block ×6, first 2 shown]
	v_fmac_f32_e32 v159, v155, v49
	s_waitcnt vmcnt(46)
	v_mul_f32_e32 v163, v156, v57
	v_add_f32_e32 v162, v158, v159
	v_fmac_f32_e32 v163, v157, v56
	ds_read_b128 v[158:161], v1 offset:768
	v_add_f32_e32 v166, v162, v163
	ds_read_b128 v[162:165], v1 offset:784
	buffer_load_dword v243, off, s[0:3], 0 offset:472
	buffer_load_dword v244, off, s[0:3], 0 offset:476
	v_mul_f32_e32 v3, v3, v22
	v_fma_f32 v2, v2, v37, -v3
	v_mul_f32_e32 v3, v5, v23
	v_add_f32_e32 v2, 0, v2
	v_fma_f32 v3, v4, v36, -v3
	v_add_f32_e32 v2, v2, v3
	v_mul_f32_e32 v3, v7, v24
	v_fma_f32 v3, v6, v35, -v3
	v_add_f32_e32 v2, v2, v3
	v_mul_f32_e32 v3, v9, v27
	v_fma_f32 v3, v8, v41, -v3
	v_add_f32_e32 v2, v2, v3
	v_mul_f32_e32 v3, v11, v28
	v_fma_f32 v3, v10, v40, -v3
	v_add_f32_e32 v2, v2, v3
	v_mul_f32_e32 v3, v13, v29
	v_fma_f32 v3, v12, v39, -v3
	v_add_f32_e32 v2, v2, v3
	v_mul_f32_e32 v3, v15, v30
	v_fma_f32 v3, v14, v38, -v3
	v_add_f32_e32 v2, v2, v3
	v_mul_f32_e32 v3, v17, v31
	v_fma_f32 v3, v16, v45, -v3
	v_add_f32_e32 v2, v2, v3
	v_mul_f32_e32 v3, v19, v32
	s_waitcnt vmcnt(46) lgkmcnt(1)
	v_mul_f32_e32 v167, v158, v59
	v_fma_f32 v3, v18, v44, -v3
	v_fmac_f32_e32 v167, v159, v58
	v_add_f32_e32 v2, v2, v3
	v_mul_f32_e32 v3, v21, v33
	v_add_f32_e32 v166, v166, v167
	s_waitcnt vmcnt(44)
	v_mul_f32_e32 v167, v160, v61
	v_fma_f32 v3, v20, v43, -v3
	v_fmac_f32_e32 v167, v161, v60
	v_add_f32_e32 v2, v2, v3
	v_mul_f32_e32 v3, v147, v34
	v_add_f32_e32 v166, v166, v167
	s_waitcnt vmcnt(42) lgkmcnt(0)
	v_mul_f32_e32 v167, v162, v63
	v_fma_f32 v3, v146, v42, -v3
	v_fmac_f32_e32 v167, v163, v62
	v_add_f32_e32 v2, v2, v3
	v_mul_f32_e32 v3, v149, v46
	v_add_f32_e32 v170, v166, v167
	ds_read_b128 v[166:169], v1 offset:800
	v_fma_f32 v3, v148, v52, -v3
	v_add_f32_e32 v2, v2, v3
	v_mul_f32_e32 v3, v151, v53
	s_waitcnt vmcnt(40)
	v_mul_f32_e32 v171, v164, v65
	v_fma_f32 v3, v150, v51, -v3
	v_fmac_f32_e32 v171, v165, v64
	v_add_f32_e32 v2, v2, v3
	v_mul_f32_e32 v3, v153, v48
	v_add_f32_e32 v174, v170, v171
	ds_read_b128 v[170:173], v1 offset:816
	v_fma_f32 v3, v152, v47, -v3
	s_waitcnt vmcnt(38) lgkmcnt(1)
	v_mul_f32_e32 v175, v166, v206
	v_add_f32_e32 v2, v2, v3
	v_mul_f32_e32 v3, v155, v50
	v_fmac_f32_e32 v175, v167, v66
	v_fma_f32 v3, v154, v49, -v3
	v_add_f32_e32 v174, v174, v175
	s_waitcnt vmcnt(36)
	v_mul_f32_e32 v175, v168, v208
	v_add_f32_e32 v2, v2, v3
	v_mul_f32_e32 v3, v157, v57
	v_fmac_f32_e32 v175, v169, v207
	v_fma_f32 v3, v156, v56, -v3
	v_add_f32_e32 v174, v174, v175
	s_waitcnt vmcnt(34) lgkmcnt(0)
	v_mul_f32_e32 v175, v170, v210
	v_add_f32_e32 v2, v2, v3
	v_mul_f32_e32 v3, v159, v59
	v_fmac_f32_e32 v175, v171, v209
	v_fma_f32 v3, v158, v58, -v3
	v_add_f32_e32 v178, v174, v175
	ds_read_b128 v[174:177], v1 offset:832
	v_add_f32_e32 v2, v2, v3
	v_mul_f32_e32 v3, v161, v61
	v_fma_f32 v3, v160, v60, -v3
	s_waitcnt vmcnt(32)
	v_mul_f32_e32 v179, v172, v212
	v_add_f32_e32 v2, v2, v3
	v_mul_f32_e32 v3, v163, v63
	v_fmac_f32_e32 v179, v173, v211
	v_fma_f32 v3, v162, v62, -v3
	v_add_f32_e32 v182, v178, v179
	ds_read_b128 v[178:181], v1 offset:848
	v_add_f32_e32 v2, v2, v3
	v_mul_f32_e32 v3, v165, v65
	s_waitcnt vmcnt(30) lgkmcnt(1)
	v_mul_f32_e32 v183, v174, v214
	v_fma_f32 v3, v164, v64, -v3
	v_fmac_f32_e32 v183, v175, v213
	v_add_f32_e32 v2, v2, v3
	v_mul_f32_e32 v3, v167, v206
	v_add_f32_e32 v182, v182, v183
	s_waitcnt vmcnt(29)
	v_mul_f32_e32 v183, v176, v215
	v_fma_f32 v3, v166, v66, -v3
	s_waitcnt vmcnt(26)
	v_fmac_f32_e32 v183, v177, v218
	v_add_f32_e32 v2, v2, v3
	v_mul_f32_e32 v3, v169, v208
	v_add_f32_e32 v182, v182, v183
	s_waitcnt lgkmcnt(0)
	v_mul_f32_e32 v183, v178, v217
	v_fma_f32 v3, v168, v207, -v3
	v_fmac_f32_e32 v183, v179, v216
	v_add_f32_e32 v2, v2, v3
	v_mul_f32_e32 v3, v171, v210
	v_add_f32_e32 v186, v182, v183
	ds_read_b128 v[182:185], v1 offset:864
	v_fma_f32 v3, v170, v209, -v3
	v_add_f32_e32 v2, v2, v3
	v_mul_f32_e32 v3, v173, v212
	s_waitcnt vmcnt(24)
	v_mul_f32_e32 v187, v180, v220
	v_fma_f32 v3, v172, v211, -v3
	v_fmac_f32_e32 v187, v181, v219
	v_add_f32_e32 v2, v2, v3
	v_mul_f32_e32 v3, v175, v214
	v_add_f32_e32 v190, v186, v187
	ds_read_b128 v[186:189], v1 offset:880
	v_fma_f32 v3, v174, v213, -v3
	s_waitcnt vmcnt(22) lgkmcnt(1)
	v_mul_f32_e32 v191, v182, v222
	v_add_f32_e32 v2, v2, v3
	v_mul_f32_e32 v3, v177, v215
	v_fmac_f32_e32 v191, v183, v221
	v_fma_f32 v3, v176, v218, -v3
	v_add_f32_e32 v190, v190, v191
	s_waitcnt vmcnt(21)
	v_mul_f32_e32 v191, v184, v223
	v_add_f32_e32 v2, v2, v3
	v_mul_f32_e32 v3, v179, v217
	s_waitcnt vmcnt(18)
	v_fmac_f32_e32 v191, v185, v226
	v_fma_f32 v3, v178, v216, -v3
	v_add_f32_e32 v190, v190, v191
	s_waitcnt lgkmcnt(0)
	v_mul_f32_e32 v191, v186, v225
	v_add_f32_e32 v2, v2, v3
	v_mul_f32_e32 v3, v181, v220
	v_fmac_f32_e32 v191, v187, v224
	v_fma_f32 v3, v180, v219, -v3
	v_add_f32_e32 v194, v190, v191
	ds_read_b128 v[190:193], v1 offset:896
	v_add_f32_e32 v2, v2, v3
	v_mul_f32_e32 v3, v183, v222
	v_fma_f32 v3, v182, v221, -v3
	s_waitcnt vmcnt(16)
	v_mul_f32_e32 v195, v188, v228
	v_add_f32_e32 v2, v2, v3
	v_mul_f32_e32 v3, v185, v223
	v_fmac_f32_e32 v195, v189, v227
	v_fma_f32 v3, v184, v226, -v3
	v_add_f32_e32 v198, v194, v195
	ds_read_b128 v[194:197], v1 offset:912
	v_add_f32_e32 v2, v2, v3
	v_mul_f32_e32 v3, v187, v225
	s_waitcnt vmcnt(14) lgkmcnt(1)
	v_mul_f32_e32 v199, v190, v230
	v_fma_f32 v3, v186, v224, -v3
	v_fmac_f32_e32 v199, v191, v229
	v_add_f32_e32 v2, v2, v3
	v_mul_f32_e32 v3, v189, v228
	v_add_f32_e32 v198, v198, v199
	s_waitcnt vmcnt(13)
	v_mul_f32_e32 v199, v192, v231
	v_fma_f32 v3, v188, v227, -v3
	s_waitcnt vmcnt(10)
	v_fmac_f32_e32 v199, v193, v234
	v_add_f32_e32 v2, v2, v3
	v_mul_f32_e32 v3, v191, v230
	v_add_f32_e32 v198, v198, v199
	s_waitcnt lgkmcnt(0)
	v_mul_f32_e32 v199, v194, v233
	v_fma_f32 v3, v190, v229, -v3
	v_fmac_f32_e32 v199, v195, v232
	v_add_f32_e32 v2, v2, v3
	v_mul_f32_e32 v3, v193, v231
	v_add_f32_e32 v202, v198, v199
	ds_read_b128 v[198:201], v1 offset:928
	v_fma_f32 v3, v192, v234, -v3
	v_add_f32_e32 v2, v2, v3
	v_mul_f32_e32 v3, v195, v233
	s_waitcnt vmcnt(8)
	v_mul_f32_e32 v203, v196, v236
	v_fma_f32 v3, v194, v232, -v3
	v_fmac_f32_e32 v203, v197, v235
	v_add_f32_e32 v2, v2, v3
	v_mul_f32_e32 v3, v197, v236
	v_add_f32_e32 v245, v202, v203
	ds_read_b128 v[202:205], v1 offset:944
	v_fma_f32 v3, v196, v235, -v3
	v_add_f32_e32 v2, v2, v3
	s_waitcnt vmcnt(6) lgkmcnt(1)
	v_mul_f32_e32 v3, v199, v238
	v_mul_f32_e32 v1, v198, v238
	v_fma_f32 v3, v198, v237, -v3
	v_fmac_f32_e32 v1, v199, v237
	v_add_f32_e32 v2, v2, v3
	s_waitcnt vmcnt(5)
	v_mul_f32_e32 v3, v201, v239
	v_add_f32_e32 v1, v245, v1
	v_mul_f32_e32 v245, v200, v239
	s_waitcnt vmcnt(2)
	v_fma_f32 v3, v200, v242, -v3
	v_fmac_f32_e32 v245, v201, v242
	v_add_f32_e32 v2, v2, v3
	s_waitcnt lgkmcnt(0)
	v_mul_f32_e32 v3, v203, v241
	v_add_f32_e32 v1, v1, v245
	v_mul_f32_e32 v245, v202, v241
	v_fma_f32 v3, v202, v240, -v3
	v_fmac_f32_e32 v245, v203, v240
	v_add_f32_e32 v2, v2, v3
	s_waitcnt vmcnt(0)
	v_mul_f32_e32 v3, v205, v244
	v_add_f32_e32 v1, v1, v245
	v_mul_f32_e32 v245, v204, v244
	v_fma_f32 v3, v204, v243, -v3
	v_fmac_f32_e32 v245, v205, v243
	v_add_f32_e32 v2, v2, v3
	v_add_f32_e32 v1, v1, v245
	v_sub_f32_e32 v2, v54, v2
	v_sub_f32_e32 v1, v55, v1
	buffer_store_dword v2, off, s[0:3], 0 offset:152
	buffer_store_dword v1, off, s[0:3], 0 offset:156
	s_and_saveexec_b64 s[4:5], vcc
	s_cbranch_execz .LBB59_337
; %bb.336:
	buffer_load_dword v1, off, s[0:3], 0 offset:144
	buffer_load_dword v2, off, s[0:3], 0 offset:148
	v_mov_b32_e32 v3, 0
	buffer_store_dword v3, off, s[0:3], 0 offset:144
	buffer_store_dword v3, off, s[0:3], 0 offset:148
	s_waitcnt vmcnt(2)
	ds_write_b64 v145, v[1:2]
.LBB59_337:
	s_or_b64 exec, exec, s[4:5]
	s_waitcnt lgkmcnt(0)
	; wave barrier
	buffer_load_dword v10, off, s[0:3], 0 offset:156
	buffer_load_dword v9, off, s[0:3], 0 offset:164
	;; [unrolled: 1-line block ×32, first 2 shown]
	v_mov_b32_e32 v1, 0
	buffer_load_dword v50, off, s[0:3], 0 offset:272
	buffer_load_dword v51, off, s[0:3], 0 offset:276
	buffer_load_dword v52, off, s[0:3], 0 offset:280
	buffer_load_dword v53, off, s[0:3], 0 offset:284
	buffer_load_dword v54, off, s[0:3], 0 offset:288
	buffer_load_dword v55, off, s[0:3], 0 offset:292
	buffer_load_dword v56, off, s[0:3], 0 offset:296
	buffer_load_dword v57, off, s[0:3], 0 offset:300
	buffer_load_dword v58, off, s[0:3], 0 offset:304
	buffer_load_dword v59, off, s[0:3], 0 offset:308
	buffer_load_dword v60, off, s[0:3], 0 offset:312
	buffer_load_dword v61, off, s[0:3], 0 offset:316
	buffer_load_dword v62, off, s[0:3], 0 offset:320
	buffer_load_dword v63, off, s[0:3], 0 offset:324
	buffer_load_dword v64, off, s[0:3], 0 offset:328
	buffer_load_dword v65, off, s[0:3], 0 offset:332
	buffer_load_dword v66, off, s[0:3], 0 offset:336
	buffer_load_dword v214, off, s[0:3], 0 offset:340
	ds_read2_b64 v[11:14], v1 offset0:79 offset1:80
	ds_read2_b64 v[15:18], v1 offset0:81 offset1:82
	;; [unrolled: 1-line block ×6, first 2 shown]
	buffer_load_dword v215, off, s[0:3], 0 offset:344
	buffer_load_dword v216, off, s[0:3], 0 offset:348
	;; [unrolled: 1-line block ×6, first 2 shown]
	v_cmp_lt_u32_e32 vcc, 17, v0
	s_waitcnt vmcnt(55) lgkmcnt(5)
	v_mul_f32_e32 v23, v11, v10
	s_waitcnt vmcnt(54)
	v_mul_f32_e32 v24, v13, v9
	s_waitcnt vmcnt(53) lgkmcnt(4)
	v_mul_f32_e32 v158, v15, v8
	s_waitcnt vmcnt(52)
	v_mul_f32_e32 v159, v17, v7
	;; [unrolled: 4-line block ×5, first 2 shown]
	s_waitcnt vmcnt(45) lgkmcnt(0)
	v_mul_f32_e32 v166, v154, v30
	s_waitcnt vmcnt(44)
	v_fmac_f32_e32 v158, v16, v31
	s_waitcnt vmcnt(43)
	v_fmac_f32_e32 v24, v14, v32
	s_waitcnt vmcnt(42)
	v_fmac_f32_e32 v23, v12, v33
	v_add_f32_e32 v23, 0, v23
	v_add_f32_e32 v23, v23, v24
	;; [unrolled: 1-line block ×3, first 2 shown]
	s_waitcnt vmcnt(38)
	v_fmac_f32_e32 v159, v18, v37
	v_fmac_f32_e32 v160, v20, v36
	v_add_f32_e32 v23, v23, v159
	v_fmac_f32_e32 v161, v22, v35
	v_add_f32_e32 v23, v23, v160
	v_add_f32_e32 v23, v23, v161
	ds_read2_b64 v[158:161], v1 offset0:91 offset1:92
	buffer_load_dword v221, off, s[0:3], 0 offset:368
	buffer_load_dword v222, off, s[0:3], 0 offset:372
	v_fmac_f32_e32 v162, v147, v34
	s_waitcnt vmcnt(36)
	v_fmac_f32_e32 v163, v149, v41
	v_add_f32_e32 v23, v23, v162
	v_fmac_f32_e32 v164, v151, v40
	v_add_f32_e32 v23, v23, v163
	;; [unrolled: 2-line block ×3, first 2 shown]
	v_add_f32_e32 v23, v23, v165
	ds_read2_b64 v[162:165], v1 offset0:93 offset1:94
	buffer_load_dword v223, off, s[0:3], 0 offset:376
	buffer_load_dword v224, off, s[0:3], 0 offset:380
	;; [unrolled: 1-line block ×16, first 2 shown]
	v_fmac_f32_e32 v166, v155, v38
	v_add_f32_e32 v23, v23, v166
	ds_read2_b64 v[166:169], v1 offset0:95 offset1:96
	buffer_load_dword v239, off, s[0:3], 0 offset:440
	buffer_load_dword v240, off, s[0:3], 0 offset:444
	;; [unrolled: 1-line block ×6, first 2 shown]
	ds_read2_b64 v[170:173], v1 offset0:97 offset1:98
	buffer_load_dword v245, off, s[0:3], 0 offset:468
	buffer_load_dword v246, off, s[0:3], 0 offset:472
	;; [unrolled: 1-line block ×4, first 2 shown]
	v_mul_f32_e32 v10, v12, v10
	v_fma_f32 v10, v11, v33, -v10
	v_mul_f32_e32 v9, v14, v9
	v_add_f32_e32 v10, 0, v10
	v_fma_f32 v9, v13, v32, -v9
	v_mul_f32_e32 v8, v16, v8
	v_add_f32_e32 v9, v10, v9
	;; [unrolled: 3-line block ×6, first 2 shown]
	v_fma_f32 v2, v146, v34, -v2
	v_add_f32_e32 v2, v3, v2
	v_mul_f32_e32 v3, v149, v27
	v_fma_f32 v3, v148, v41, -v3
	v_add_f32_e32 v2, v2, v3
	v_mul_f32_e32 v3, v151, v28
	;; [unrolled: 3-line block ×4, first 2 shown]
	s_waitcnt vmcnt(61)
	v_mul_f32_e32 v24, v156, v42
	v_fma_f32 v3, v154, v38, -v3
	s_waitcnt vmcnt(55)
	v_fmac_f32_e32 v24, v157, v48
	v_add_f32_e32 v2, v2, v3
	v_mul_f32_e32 v3, v157, v42
	v_add_f32_e32 v23, v23, v24
	s_waitcnt vmcnt(54) lgkmcnt(3)
	v_mul_f32_e32 v24, v158, v49
	v_fma_f32 v3, v156, v48, -v3
	v_fmac_f32_e32 v24, v159, v47
	v_add_f32_e32 v2, v2, v3
	v_mul_f32_e32 v3, v159, v49
	v_add_f32_e32 v23, v23, v24
	v_mul_f32_e32 v24, v160, v44
	v_fma_f32 v3, v158, v47, -v3
	v_fmac_f32_e32 v24, v161, v43
	v_add_f32_e32 v2, v2, v3
	v_mul_f32_e32 v3, v161, v44
	v_add_f32_e32 v23, v23, v24
	s_waitcnt lgkmcnt(2)
	v_mul_f32_e32 v24, v162, v46
	v_fma_f32 v3, v160, v43, -v3
	v_fmac_f32_e32 v24, v163, v45
	v_add_f32_e32 v2, v2, v3
	v_mul_f32_e32 v3, v163, v46
	v_add_f32_e32 v23, v23, v24
	s_waitcnt vmcnt(50)
	v_mul_f32_e32 v24, v164, v51
	v_fma_f32 v3, v162, v45, -v3
	v_fmac_f32_e32 v24, v165, v50
	v_add_f32_e32 v2, v2, v3
	v_mul_f32_e32 v3, v165, v51
	v_add_f32_e32 v23, v23, v24
	s_waitcnt vmcnt(48) lgkmcnt(1)
	v_mul_f32_e32 v24, v166, v53
	v_fma_f32 v3, v164, v50, -v3
	v_fmac_f32_e32 v24, v167, v52
	v_add_f32_e32 v2, v2, v3
	v_mul_f32_e32 v3, v167, v53
	v_add_f32_e32 v23, v23, v24
	s_waitcnt vmcnt(46)
	v_mul_f32_e32 v24, v168, v55
	v_fma_f32 v3, v166, v52, -v3
	v_fmac_f32_e32 v24, v169, v54
	ds_read2_b64 v[174:177], v1 offset0:99 offset1:100
	ds_read2_b64 v[178:181], v1 offset0:101 offset1:102
	v_add_f32_e32 v2, v2, v3
	v_mul_f32_e32 v3, v169, v55
	v_add_f32_e32 v23, v23, v24
	s_waitcnt vmcnt(44) lgkmcnt(2)
	v_mul_f32_e32 v24, v170, v57
	v_fma_f32 v3, v168, v54, -v3
	v_fmac_f32_e32 v24, v171, v56
	v_add_f32_e32 v2, v2, v3
	v_mul_f32_e32 v3, v171, v57
	v_add_f32_e32 v23, v23, v24
	s_waitcnt vmcnt(42)
	v_mul_f32_e32 v24, v172, v59
	v_fma_f32 v3, v170, v56, -v3
	v_fmac_f32_e32 v24, v173, v58
	v_add_f32_e32 v2, v2, v3
	v_mul_f32_e32 v3, v173, v59
	v_add_f32_e32 v23, v23, v24
	s_waitcnt vmcnt(40) lgkmcnt(1)
	v_mul_f32_e32 v24, v174, v61
	v_fma_f32 v3, v172, v58, -v3
	v_fmac_f32_e32 v24, v175, v60
	v_add_f32_e32 v2, v2, v3
	v_mul_f32_e32 v3, v175, v61
	v_add_f32_e32 v23, v23, v24
	s_waitcnt vmcnt(38)
	v_mul_f32_e32 v24, v176, v63
	v_fma_f32 v3, v174, v60, -v3
	v_fmac_f32_e32 v24, v177, v62
	ds_read2_b64 v[182:185], v1 offset0:103 offset1:104
	ds_read2_b64 v[186:189], v1 offset0:105 offset1:106
	v_add_f32_e32 v2, v2, v3
	v_mul_f32_e32 v3, v177, v63
	v_add_f32_e32 v23, v23, v24
	s_waitcnt vmcnt(36) lgkmcnt(2)
	v_mul_f32_e32 v24, v178, v65
	v_fma_f32 v3, v176, v62, -v3
	v_fmac_f32_e32 v24, v179, v64
	v_add_f32_e32 v2, v2, v3
	v_mul_f32_e32 v3, v179, v65
	v_add_f32_e32 v23, v23, v24
	s_waitcnt vmcnt(34)
	v_mul_f32_e32 v24, v180, v214
	v_fma_f32 v3, v178, v64, -v3
	v_fmac_f32_e32 v24, v181, v66
	v_add_f32_e32 v2, v2, v3
	v_mul_f32_e32 v3, v181, v214
	v_add_f32_e32 v23, v23, v24
	s_waitcnt vmcnt(32) lgkmcnt(1)
	v_mul_f32_e32 v24, v182, v216
	v_fma_f32 v3, v180, v66, -v3
	v_fmac_f32_e32 v24, v183, v215
	v_add_f32_e32 v2, v2, v3
	v_mul_f32_e32 v3, v183, v216
	v_add_f32_e32 v23, v23, v24
	s_waitcnt vmcnt(31)
	v_mul_f32_e32 v24, v184, v217
	v_fma_f32 v3, v182, v215, -v3
	s_waitcnt vmcnt(28)
	v_fmac_f32_e32 v24, v185, v220
	ds_read2_b64 v[190:193], v1 offset0:107 offset1:108
	ds_read2_b64 v[194:197], v1 offset0:109 offset1:110
	v_add_f32_e32 v2, v2, v3
	v_mul_f32_e32 v3, v185, v217
	v_add_f32_e32 v23, v23, v24
	s_waitcnt lgkmcnt(2)
	v_mul_f32_e32 v24, v186, v219
	v_fma_f32 v3, v184, v220, -v3
	v_fmac_f32_e32 v24, v187, v218
	v_add_f32_e32 v2, v2, v3
	v_mul_f32_e32 v3, v187, v219
	v_add_f32_e32 v23, v23, v24
	s_waitcnt vmcnt(26)
	v_mul_f32_e32 v24, v188, v222
	v_fma_f32 v3, v186, v218, -v3
	v_fmac_f32_e32 v24, v189, v221
	v_add_f32_e32 v2, v2, v3
	v_mul_f32_e32 v3, v189, v222
	v_add_f32_e32 v23, v23, v24
	s_waitcnt vmcnt(24) lgkmcnt(1)
	v_mul_f32_e32 v24, v190, v224
	v_fma_f32 v3, v188, v221, -v3
	v_fmac_f32_e32 v24, v191, v223
	v_add_f32_e32 v2, v2, v3
	v_mul_f32_e32 v3, v191, v224
	v_add_f32_e32 v23, v23, v24
	s_waitcnt vmcnt(23)
	v_mul_f32_e32 v24, v192, v225
	v_fma_f32 v3, v190, v223, -v3
	s_waitcnt vmcnt(20)
	v_fmac_f32_e32 v24, v193, v228
	ds_read2_b64 v[198:201], v1 offset0:111 offset1:112
	ds_read2_b64 v[202:205], v1 offset0:113 offset1:114
	v_add_f32_e32 v2, v2, v3
	v_mul_f32_e32 v3, v193, v225
	v_add_f32_e32 v23, v23, v24
	s_waitcnt lgkmcnt(2)
	;; [unrolled: 31-line block ×3, first 2 shown]
	v_mul_f32_e32 v24, v202, v235
	v_fma_f32 v3, v200, v236, -v3
	v_fmac_f32_e32 v24, v203, v234
	v_add_f32_e32 v2, v2, v3
	v_mul_f32_e32 v3, v203, v235
	v_add_f32_e32 v23, v23, v24
	s_waitcnt vmcnt(10)
	v_mul_f32_e32 v24, v204, v238
	v_fma_f32 v3, v202, v234, -v3
	v_fmac_f32_e32 v24, v205, v237
	v_add_f32_e32 v2, v2, v3
	v_mul_f32_e32 v3, v205, v238
	v_add_f32_e32 v23, v23, v24
	s_waitcnt vmcnt(8) lgkmcnt(1)
	v_mul_f32_e32 v24, v206, v240
	v_fma_f32 v3, v204, v237, -v3
	v_fmac_f32_e32 v24, v207, v239
	v_add_f32_e32 v2, v2, v3
	v_mul_f32_e32 v3, v207, v240
	v_add_f32_e32 v23, v23, v24
	s_waitcnt vmcnt(7)
	v_mul_f32_e32 v24, v208, v241
	v_fma_f32 v3, v206, v239, -v3
	s_waitcnt vmcnt(4)
	v_fmac_f32_e32 v24, v209, v244
	v_add_f32_e32 v2, v2, v3
	v_mul_f32_e32 v3, v209, v241
	v_add_f32_e32 v249, v23, v24
	ds_read_b64 v[23:24], v1 offset:952
	v_fma_f32 v3, v208, v244, -v3
	v_add_f32_e32 v2, v2, v3
	s_waitcnt lgkmcnt(1)
	v_mul_f32_e32 v3, v211, v243
	v_mul_f32_e32 v250, v210, v243
	v_fma_f32 v3, v210, v242, -v3
	v_fmac_f32_e32 v250, v211, v242
	v_add_f32_e32 v2, v2, v3
	s_waitcnt vmcnt(3)
	v_mul_f32_e32 v3, v213, v245
	v_add_f32_e32 v249, v249, v250
	v_mul_f32_e32 v250, v212, v245
	s_waitcnt vmcnt(0)
	v_fma_f32 v3, v212, v248, -v3
	v_fmac_f32_e32 v250, v213, v248
	v_add_f32_e32 v2, v2, v3
	s_waitcnt lgkmcnt(0)
	v_mul_f32_e32 v3, v24, v247
	v_add_f32_e32 v249, v249, v250
	v_mul_f32_e32 v250, v23, v247
	v_fma_f32 v3, v23, v246, -v3
	v_fmac_f32_e32 v250, v24, v246
	v_add_f32_e32 v2, v2, v3
	v_add_f32_e32 v249, v249, v250
	v_sub_f32_e32 v2, v4, v2
	v_sub_f32_e32 v3, v5, v249
	buffer_store_dword v2, off, s[0:3], 0 offset:144
	buffer_store_dword v3, off, s[0:3], 0 offset:148
	s_and_saveexec_b64 s[4:5], vcc
	s_cbranch_execz .LBB59_339
; %bb.338:
	buffer_load_dword v2, off, s[0:3], 0 offset:136
	buffer_load_dword v3, off, s[0:3], 0 offset:140
	s_waitcnt vmcnt(0)
	ds_write_b64 v145, v[2:3]
	buffer_store_dword v1, off, s[0:3], 0 offset:136
	buffer_store_dword v1, off, s[0:3], 0 offset:140
.LBB59_339:
	s_or_b64 exec, exec, s[4:5]
	s_waitcnt lgkmcnt(0)
	; wave barrier
	buffer_load_dword v22, off, s[0:3], 0 offset:148
	buffer_load_dword v23, off, s[0:3], 0 offset:156
	buffer_load_dword v24, off, s[0:3], 0 offset:164
	buffer_load_dword v27, off, s[0:3], 0 offset:172
	buffer_load_dword v28, off, s[0:3], 0 offset:180
	buffer_load_dword v29, off, s[0:3], 0 offset:188
	buffer_load_dword v30, off, s[0:3], 0 offset:196
	buffer_load_dword v31, off, s[0:3], 0 offset:204
	buffer_load_dword v32, off, s[0:3], 0 offset:212
	buffer_load_dword v33, off, s[0:3], 0 offset:220
	buffer_load_dword v34, off, s[0:3], 0 offset:228
	buffer_load_dword v35, off, s[0:3], 0 offset:236
	buffer_load_dword v36, off, s[0:3], 0 offset:160
	buffer_load_dword v37, off, s[0:3], 0 offset:152
	buffer_load_dword v38, off, s[0:3], 0 offset:144
	buffer_load_dword v39, off, s[0:3], 0 offset:192
	buffer_load_dword v40, off, s[0:3], 0 offset:184
	buffer_load_dword v41, off, s[0:3], 0 offset:176
	buffer_load_dword v42, off, s[0:3], 0 offset:168
	buffer_load_dword v43, off, s[0:3], 0 offset:224
	buffer_load_dword v44, off, s[0:3], 0 offset:216
	buffer_load_dword v45, off, s[0:3], 0 offset:208
	buffer_load_dword v46, off, s[0:3], 0 offset:200
	buffer_load_dword v47, off, s[0:3], 0 offset:248
	buffer_load_dword v48, off, s[0:3], 0 offset:252
	buffer_load_dword v49, off, s[0:3], 0 offset:256
	buffer_load_dword v50, off, s[0:3], 0 offset:260
	buffer_load_dword v51, off, s[0:3], 0 offset:240
	buffer_load_dword v52, off, s[0:3], 0 offset:232
	buffer_load_dword v53, off, s[0:3], 0 offset:244
	buffer_load_dword v54, off, s[0:3], 0 offset:136
	buffer_load_dword v55, off, s[0:3], 0 offset:140
	ds_read_b128 v[2:5], v1 offset:624
	ds_read_b128 v[6:9], v1 offset:640
	;; [unrolled: 1-line block ×6, first 2 shown]
	buffer_load_dword v56, off, s[0:3], 0 offset:264
	buffer_load_dword v57, off, s[0:3], 0 offset:268
	buffer_load_dword v58, off, s[0:3], 0 offset:272
	buffer_load_dword v59, off, s[0:3], 0 offset:276
	buffer_load_dword v60, off, s[0:3], 0 offset:280
	buffer_load_dword v61, off, s[0:3], 0 offset:284
	buffer_load_dword v62, off, s[0:3], 0 offset:288
	buffer_load_dword v63, off, s[0:3], 0 offset:292
	buffer_load_dword v64, off, s[0:3], 0 offset:296
	buffer_load_dword v65, off, s[0:3], 0 offset:300
	buffer_load_dword v66, off, s[0:3], 0 offset:304
	buffer_load_dword v210, off, s[0:3], 0 offset:308
	buffer_load_dword v211, off, s[0:3], 0 offset:312
	buffer_load_dword v212, off, s[0:3], 0 offset:316
	buffer_load_dword v213, off, s[0:3], 0 offset:320
	buffer_load_dword v214, off, s[0:3], 0 offset:324
	buffer_load_dword v215, off, s[0:3], 0 offset:328
	buffer_load_dword v216, off, s[0:3], 0 offset:332
	v_cmp_lt_u32_e32 vcc, 16, v0
	s_waitcnt vmcnt(49) lgkmcnt(5)
	v_mul_f32_e32 v150, v2, v22
	s_waitcnt vmcnt(48)
	v_mul_f32_e32 v151, v4, v23
	s_waitcnt vmcnt(47) lgkmcnt(4)
	v_mul_f32_e32 v152, v6, v24
	s_waitcnt vmcnt(46)
	v_mul_f32_e32 v153, v8, v27
	;; [unrolled: 4-line block ×6, first 2 shown]
	s_waitcnt vmcnt(37)
	v_fmac_f32_e32 v152, v7, v36
	s_waitcnt vmcnt(36)
	v_fmac_f32_e32 v151, v5, v37
	;; [unrolled: 2-line block ×3, first 2 shown]
	v_add_f32_e32 v150, 0, v150
	v_add_f32_e32 v150, v150, v151
	v_add_f32_e32 v150, v150, v152
	s_waitcnt vmcnt(31)
	v_fmac_f32_e32 v153, v9, v42
	v_fmac_f32_e32 v154, v11, v41
	v_add_f32_e32 v150, v150, v153
	v_fmac_f32_e32 v155, v13, v40
	v_add_f32_e32 v150, v150, v154
	;; [unrolled: 2-line block ×3, first 2 shown]
	s_waitcnt vmcnt(27)
	v_fmac_f32_e32 v157, v17, v46
	v_add_f32_e32 v150, v150, v156
	v_fmac_f32_e32 v158, v19, v45
	v_add_f32_e32 v150, v150, v157
	;; [unrolled: 2-line block ×3, first 2 shown]
	v_add_f32_e32 v154, v150, v159
	ds_read_b128 v[150:153], v1 offset:720
	buffer_load_dword v217, off, s[0:3], 0 offset:336
	buffer_load_dword v218, off, s[0:3], 0 offset:340
	;; [unrolled: 1-line block ×6, first 2 shown]
	v_fmac_f32_e32 v160, v147, v43
	s_waitcnt vmcnt(27)
	v_fmac_f32_e32 v161, v149, v52
	v_add_f32_e32 v154, v154, v160
	v_add_f32_e32 v158, v154, v161
	ds_read_b128 v[154:157], v1 offset:736
	buffer_load_dword v223, off, s[0:3], 0 offset:360
	buffer_load_dword v224, off, s[0:3], 0 offset:364
	;; [unrolled: 1-line block ×10, first 2 shown]
	s_waitcnt vmcnt(36) lgkmcnt(1)
	v_mul_f32_e32 v159, v150, v53
	buffer_load_dword v233, off, s[0:3], 0 offset:400
	buffer_load_dword v234, off, s[0:3], 0 offset:404
	;; [unrolled: 1-line block ×6, first 2 shown]
	v_fmac_f32_e32 v159, v151, v51
	v_add_f32_e32 v158, v158, v159
	v_mul_f32_e32 v159, v152, v48
	v_fmac_f32_e32 v159, v153, v47
	v_add_f32_e32 v158, v158, v159
	s_waitcnt lgkmcnt(0)
	v_mul_f32_e32 v159, v154, v50
	v_fmac_f32_e32 v159, v155, v49
	v_add_f32_e32 v162, v158, v159
	ds_read_b128 v[158:161], v1 offset:752
	buffer_load_dword v239, off, s[0:3], 0 offset:424
	buffer_load_dword v240, off, s[0:3], 0 offset:428
	s_waitcnt vmcnt(40)
	v_mul_f32_e32 v163, v156, v57
	v_fmac_f32_e32 v163, v157, v56
	v_add_f32_e32 v166, v162, v163
	ds_read_b128 v[162:165], v1 offset:768
	buffer_load_dword v241, off, s[0:3], 0 offset:432
	buffer_load_dword v242, off, s[0:3], 0 offset:436
	;; [unrolled: 1-line block ×12, first 2 shown]
	v_mul_f32_e32 v3, v3, v22
	v_fma_f32 v2, v2, v38, -v3
	v_mul_f32_e32 v3, v5, v23
	v_add_f32_e32 v2, 0, v2
	v_fma_f32 v3, v4, v37, -v3
	v_add_f32_e32 v2, v2, v3
	v_mul_f32_e32 v3, v7, v24
	v_fma_f32 v3, v6, v36, -v3
	v_add_f32_e32 v2, v2, v3
	v_mul_f32_e32 v3, v9, v27
	;; [unrolled: 3-line block ×6, first 2 shown]
	v_fma_f32 v3, v16, v46, -v3
	s_waitcnt vmcnt(50) lgkmcnt(1)
	v_mul_f32_e32 v167, v158, v59
	v_add_f32_e32 v2, v2, v3
	v_mul_f32_e32 v3, v19, v32
	v_fmac_f32_e32 v167, v159, v58
	v_fma_f32 v3, v18, v45, -v3
	v_add_f32_e32 v166, v166, v167
	s_waitcnt vmcnt(48)
	v_mul_f32_e32 v167, v160, v61
	v_add_f32_e32 v2, v2, v3
	v_mul_f32_e32 v3, v21, v33
	v_fmac_f32_e32 v167, v161, v60
	v_fma_f32 v3, v20, v44, -v3
	v_add_f32_e32 v166, v166, v167
	s_waitcnt vmcnt(46) lgkmcnt(0)
	v_mul_f32_e32 v167, v162, v63
	v_add_f32_e32 v2, v2, v3
	v_mul_f32_e32 v3, v147, v34
	v_fmac_f32_e32 v167, v163, v62
	v_fma_f32 v3, v146, v43, -v3
	v_add_f32_e32 v170, v166, v167
	ds_read_b128 v[166:169], v1 offset:784
	v_add_f32_e32 v2, v2, v3
	v_mul_f32_e32 v3, v149, v35
	v_fma_f32 v3, v148, v52, -v3
	s_waitcnt vmcnt(44)
	v_mul_f32_e32 v171, v164, v65
	v_add_f32_e32 v2, v2, v3
	v_mul_f32_e32 v3, v151, v53
	v_fmac_f32_e32 v171, v165, v64
	v_fma_f32 v3, v150, v51, -v3
	v_add_f32_e32 v174, v170, v171
	ds_read_b128 v[170:173], v1 offset:800
	v_add_f32_e32 v2, v2, v3
	v_mul_f32_e32 v3, v153, v48
	s_waitcnt vmcnt(42) lgkmcnt(1)
	v_mul_f32_e32 v175, v166, v210
	v_fma_f32 v3, v152, v47, -v3
	v_fmac_f32_e32 v175, v167, v66
	v_add_f32_e32 v2, v2, v3
	v_mul_f32_e32 v3, v155, v50
	v_add_f32_e32 v174, v174, v175
	s_waitcnt vmcnt(40)
	v_mul_f32_e32 v175, v168, v212
	v_fma_f32 v3, v154, v49, -v3
	v_fmac_f32_e32 v175, v169, v211
	v_add_f32_e32 v2, v2, v3
	v_mul_f32_e32 v3, v157, v57
	v_add_f32_e32 v174, v174, v175
	s_waitcnt vmcnt(38) lgkmcnt(0)
	v_mul_f32_e32 v175, v170, v214
	v_fma_f32 v3, v156, v56, -v3
	v_fmac_f32_e32 v175, v171, v213
	v_add_f32_e32 v2, v2, v3
	v_mul_f32_e32 v3, v159, v59
	v_add_f32_e32 v178, v174, v175
	ds_read_b128 v[174:177], v1 offset:816
	v_fma_f32 v3, v158, v58, -v3
	v_add_f32_e32 v2, v2, v3
	v_mul_f32_e32 v3, v161, v61
	s_waitcnt vmcnt(36)
	v_mul_f32_e32 v179, v172, v216
	v_fma_f32 v3, v160, v60, -v3
	v_fmac_f32_e32 v179, v173, v215
	v_add_f32_e32 v2, v2, v3
	v_mul_f32_e32 v3, v163, v63
	v_add_f32_e32 v182, v178, v179
	ds_read_b128 v[178:181], v1 offset:832
	v_fma_f32 v3, v162, v62, -v3
	s_waitcnt vmcnt(34) lgkmcnt(1)
	v_mul_f32_e32 v183, v174, v218
	v_add_f32_e32 v2, v2, v3
	v_mul_f32_e32 v3, v165, v65
	v_fmac_f32_e32 v183, v175, v217
	v_fma_f32 v3, v164, v64, -v3
	v_add_f32_e32 v182, v182, v183
	s_waitcnt vmcnt(33)
	v_mul_f32_e32 v183, v176, v219
	v_add_f32_e32 v2, v2, v3
	v_mul_f32_e32 v3, v167, v210
	s_waitcnt vmcnt(30)
	v_fmac_f32_e32 v183, v177, v222
	v_fma_f32 v3, v166, v66, -v3
	v_add_f32_e32 v182, v182, v183
	s_waitcnt lgkmcnt(0)
	v_mul_f32_e32 v183, v178, v221
	v_add_f32_e32 v2, v2, v3
	v_mul_f32_e32 v3, v169, v212
	v_fmac_f32_e32 v183, v179, v220
	v_fma_f32 v3, v168, v211, -v3
	v_add_f32_e32 v186, v182, v183
	ds_read_b128 v[182:185], v1 offset:848
	v_add_f32_e32 v2, v2, v3
	v_mul_f32_e32 v3, v171, v214
	v_fma_f32 v3, v170, v213, -v3
	s_waitcnt vmcnt(28)
	v_mul_f32_e32 v187, v180, v224
	v_add_f32_e32 v2, v2, v3
	v_mul_f32_e32 v3, v173, v216
	v_fmac_f32_e32 v187, v181, v223
	v_fma_f32 v3, v172, v215, -v3
	v_add_f32_e32 v190, v186, v187
	ds_read_b128 v[186:189], v1 offset:864
	v_add_f32_e32 v2, v2, v3
	v_mul_f32_e32 v3, v175, v218
	s_waitcnt vmcnt(26) lgkmcnt(1)
	v_mul_f32_e32 v191, v182, v226
	v_fma_f32 v3, v174, v217, -v3
	v_fmac_f32_e32 v191, v183, v225
	v_add_f32_e32 v2, v2, v3
	v_mul_f32_e32 v3, v177, v219
	v_add_f32_e32 v190, v190, v191
	s_waitcnt vmcnt(25)
	v_mul_f32_e32 v191, v184, v227
	v_fma_f32 v3, v176, v222, -v3
	s_waitcnt vmcnt(22)
	v_fmac_f32_e32 v191, v185, v230
	v_add_f32_e32 v2, v2, v3
	v_mul_f32_e32 v3, v179, v221
	v_add_f32_e32 v190, v190, v191
	s_waitcnt lgkmcnt(0)
	v_mul_f32_e32 v191, v186, v229
	v_fma_f32 v3, v178, v220, -v3
	v_fmac_f32_e32 v191, v187, v228
	v_add_f32_e32 v2, v2, v3
	v_mul_f32_e32 v3, v181, v224
	v_add_f32_e32 v194, v190, v191
	ds_read_b128 v[190:193], v1 offset:880
	v_fma_f32 v3, v180, v223, -v3
	v_add_f32_e32 v2, v2, v3
	v_mul_f32_e32 v3, v183, v226
	s_waitcnt vmcnt(20)
	v_mul_f32_e32 v195, v188, v232
	v_fma_f32 v3, v182, v225, -v3
	v_fmac_f32_e32 v195, v189, v231
	v_add_f32_e32 v2, v2, v3
	v_mul_f32_e32 v3, v185, v227
	v_add_f32_e32 v198, v194, v195
	ds_read_b128 v[194:197], v1 offset:896
	v_fma_f32 v3, v184, v230, -v3
	s_waitcnt vmcnt(18) lgkmcnt(1)
	v_mul_f32_e32 v199, v190, v234
	v_add_f32_e32 v2, v2, v3
	v_mul_f32_e32 v3, v187, v229
	v_fmac_f32_e32 v199, v191, v233
	v_fma_f32 v3, v186, v228, -v3
	v_add_f32_e32 v198, v198, v199
	s_waitcnt vmcnt(17)
	v_mul_f32_e32 v199, v192, v235
	v_add_f32_e32 v2, v2, v3
	v_mul_f32_e32 v3, v189, v232
	s_waitcnt vmcnt(14)
	v_fmac_f32_e32 v199, v193, v238
	v_fma_f32 v3, v188, v231, -v3
	v_add_f32_e32 v198, v198, v199
	s_waitcnt lgkmcnt(0)
	v_mul_f32_e32 v199, v194, v237
	v_add_f32_e32 v2, v2, v3
	v_mul_f32_e32 v3, v191, v234
	v_fmac_f32_e32 v199, v195, v236
	v_fma_f32 v3, v190, v233, -v3
	v_add_f32_e32 v202, v198, v199
	ds_read_b128 v[198:201], v1 offset:912
	v_add_f32_e32 v2, v2, v3
	v_mul_f32_e32 v3, v193, v235
	v_fma_f32 v3, v192, v238, -v3
	v_add_f32_e32 v2, v2, v3
	v_mul_f32_e32 v3, v195, v237
	s_waitcnt vmcnt(12)
	v_mul_f32_e32 v203, v196, v240
	v_fma_f32 v3, v194, v236, -v3
	v_fmac_f32_e32 v203, v197, v239
	v_add_f32_e32 v2, v2, v3
	v_mul_f32_e32 v3, v197, v240
	v_add_f32_e32 v206, v202, v203
	ds_read_b128 v[202:205], v1 offset:928
	s_waitcnt vmcnt(10) lgkmcnt(1)
	v_mul_f32_e32 v207, v198, v242
	v_fma_f32 v3, v196, v239, -v3
	v_fmac_f32_e32 v207, v199, v241
	v_add_f32_e32 v2, v2, v3
	v_mul_f32_e32 v3, v199, v242
	v_add_f32_e32 v206, v206, v207
	s_waitcnt vmcnt(9)
	v_mul_f32_e32 v207, v200, v243
	v_fma_f32 v3, v198, v241, -v3
	s_waitcnt vmcnt(6)
	v_fmac_f32_e32 v207, v201, v246
	v_add_f32_e32 v2, v2, v3
	v_mul_f32_e32 v3, v201, v243
	v_add_f32_e32 v253, v206, v207
	ds_read_b128 v[206:209], v1 offset:944
	v_fma_f32 v3, v200, v246, -v3
	v_add_f32_e32 v2, v2, v3
	s_waitcnt lgkmcnt(1)
	v_mul_f32_e32 v3, v203, v245
	v_mul_f32_e32 v254, v202, v245
	v_fma_f32 v3, v202, v244, -v3
	v_fmac_f32_e32 v254, v203, v244
	v_add_f32_e32 v2, v2, v3
	s_waitcnt vmcnt(4)
	v_mul_f32_e32 v3, v205, v248
	v_add_f32_e32 v1, v253, v254
	v_mul_f32_e32 v253, v204, v248
	v_fma_f32 v3, v204, v247, -v3
	v_fmac_f32_e32 v253, v205, v247
	v_add_f32_e32 v2, v2, v3
	s_waitcnt vmcnt(3) lgkmcnt(0)
	v_mul_f32_e32 v3, v207, v249
	v_add_f32_e32 v1, v1, v253
	v_mul_f32_e32 v253, v206, v249
	s_waitcnt vmcnt(0)
	v_fma_f32 v3, v206, v252, -v3
	v_fmac_f32_e32 v253, v207, v252
	v_add_f32_e32 v2, v2, v3
	v_mul_f32_e32 v3, v209, v251
	v_add_f32_e32 v1, v1, v253
	v_mul_f32_e32 v253, v208, v251
	v_fma_f32 v3, v208, v250, -v3
	v_fmac_f32_e32 v253, v209, v250
	v_add_f32_e32 v2, v2, v3
	v_add_f32_e32 v1, v1, v253
	v_sub_f32_e32 v2, v54, v2
	v_sub_f32_e32 v1, v55, v1
	buffer_store_dword v2, off, s[0:3], 0 offset:136
	buffer_store_dword v1, off, s[0:3], 0 offset:140
	s_and_saveexec_b64 s[4:5], vcc
	s_cbranch_execz .LBB59_341
; %bb.340:
	buffer_load_dword v1, off, s[0:3], 0 offset:128
	buffer_load_dword v2, off, s[0:3], 0 offset:132
	v_mov_b32_e32 v3, 0
	buffer_store_dword v3, off, s[0:3], 0 offset:128
	buffer_store_dword v3, off, s[0:3], 0 offset:132
	s_waitcnt vmcnt(2)
	ds_write_b64 v145, v[1:2]
.LBB59_341:
	s_or_b64 exec, exec, s[4:5]
	s_waitcnt lgkmcnt(0)
	; wave barrier
	buffer_load_dword v10, off, s[0:3], 0 offset:140
	buffer_load_dword v9, off, s[0:3], 0 offset:148
	;; [unrolled: 1-line block ×32, first 2 shown]
	v_mov_b32_e32 v1, 0
	buffer_load_dword v46, off, s[0:3], 0 offset:256
	buffer_load_dword v47, off, s[0:3], 0 offset:260
	;; [unrolled: 1-line block ×16, first 2 shown]
	ds_read2_b64 v[16:19], v1 offset0:77 offset1:78
	ds_read2_b64 v[20:23], v1 offset0:79 offset1:80
	;; [unrolled: 1-line block ×6, first 2 shown]
	v_cmp_lt_u32_e32 vcc, 15, v0
	s_waitcnt vmcnt(47) lgkmcnt(5)
	v_mul_f32_e32 v27, v16, v10
	s_waitcnt vmcnt(46)
	v_mul_f32_e32 v28, v18, v9
	s_waitcnt vmcnt(45) lgkmcnt(4)
	v_mul_f32_e32 v62, v20, v8
	s_waitcnt vmcnt(44)
	v_mul_f32_e32 v63, v22, v7
	;; [unrolled: 4-line block ×6, first 2 shown]
	s_waitcnt vmcnt(35)
	v_fmac_f32_e32 v62, v21, v24
	s_waitcnt vmcnt(34)
	v_fmac_f32_e32 v28, v19, v29
	;; [unrolled: 2-line block ×3, first 2 shown]
	v_add_f32_e32 v27, 0, v27
	v_add_f32_e32 v27, v27, v28
	;; [unrolled: 1-line block ×3, first 2 shown]
	s_waitcnt vmcnt(29)
	v_fmac_f32_e32 v63, v23, v34
	v_fmac_f32_e32 v64, v147, v33
	v_add_f32_e32 v27, v27, v63
	v_fmac_f32_e32 v65, v149, v32
	v_add_f32_e32 v27, v27, v64
	;; [unrolled: 2-line block ×3, first 2 shown]
	buffer_load_dword v62, off, s[0:3], 0 offset:320
	buffer_load_dword v63, off, s[0:3], 0 offset:324
	s_waitcnt vmcnt(27)
	v_fmac_f32_e32 v162, v153, v38
	v_add_f32_e32 v27, v27, v66
	v_fmac_f32_e32 v163, v155, v37
	v_add_f32_e32 v27, v27, v162
	;; [unrolled: 2-line block ×4, first 2 shown]
	v_add_f32_e32 v27, v27, v165
	ds_read2_b64 v[162:165], v1 offset0:89 offset1:90
	buffer_load_dword v64, off, s[0:3], 0 offset:328
	buffer_load_dword v65, off, s[0:3], 0 offset:332
	;; [unrolled: 1-line block ×6, first 2 shown]
	s_waitcnt vmcnt(28)
	v_fmac_f32_e32 v166, v161, v43
	v_add_f32_e32 v27, v27, v166
	ds_read2_b64 v[166:169], v1 offset0:91 offset1:92
	buffer_load_dword v225, off, s[0:3], 0 offset:352
	buffer_load_dword v226, off, s[0:3], 0 offset:356
	;; [unrolled: 1-line block ×10, first 2 shown]
	ds_read2_b64 v[170:173], v1 offset0:93 offset1:94
	buffer_load_dword v235, off, s[0:3], 0 offset:392
	buffer_load_dword v236, off, s[0:3], 0 offset:396
	;; [unrolled: 1-line block ×6, first 2 shown]
	ds_read2_b64 v[174:177], v1 offset0:95 offset1:96
	buffer_load_dword v241, off, s[0:3], 0 offset:416
	buffer_load_dword v242, off, s[0:3], 0 offset:420
	;; [unrolled: 1-line block ×16, first 2 shown]
	v_mul_f32_e32 v10, v17, v10
	v_fma_f32 v10, v16, v30, -v10
	v_mul_f32_e32 v9, v19, v9
	v_add_f32_e32 v10, 0, v10
	v_fma_f32 v9, v18, v29, -v9
	v_mul_f32_e32 v8, v21, v8
	v_add_f32_e32 v9, v10, v9
	;; [unrolled: 3-line block ×6, first 2 shown]
	v_fma_f32 v4, v150, v31, -v4
	v_add_f32_e32 v4, v5, v4
	v_mul_f32_e32 v5, v153, v11
	v_fma_f32 v5, v152, v38, -v5
	v_add_f32_e32 v4, v4, v5
	v_mul_f32_e32 v5, v155, v12
	;; [unrolled: 3-line block ×5, first 2 shown]
	s_waitcnt vmcnt(59) lgkmcnt(3)
	v_mul_f32_e32 v28, v162, v44
	v_fma_f32 v5, v160, v43, -v5
	v_fmac_f32_e32 v28, v163, v42
	v_add_f32_e32 v4, v4, v5
	v_mul_f32_e32 v5, v163, v44
	v_add_f32_e32 v27, v27, v28
	s_waitcnt vmcnt(58)
	v_mul_f32_e32 v28, v164, v45
	v_fma_f32 v5, v162, v42, -v5
	v_fmac_f32_e32 v28, v165, v41
	v_add_f32_e32 v4, v4, v5
	v_mul_f32_e32 v5, v165, v45
	v_add_f32_e32 v27, v27, v28
	s_waitcnt lgkmcnt(2)
	v_mul_f32_e32 v28, v166, v40
	v_fma_f32 v5, v164, v41, -v5
	v_fmac_f32_e32 v28, v167, v39
	v_add_f32_e32 v4, v4, v5
	v_mul_f32_e32 v5, v167, v40
	v_add_f32_e32 v27, v27, v28
	s_waitcnt vmcnt(54)
	v_mul_f32_e32 v28, v168, v47
	v_fma_f32 v5, v166, v39, -v5
	v_fmac_f32_e32 v28, v169, v46
	v_add_f32_e32 v4, v4, v5
	v_mul_f32_e32 v5, v169, v47
	v_add_f32_e32 v27, v27, v28
	s_waitcnt vmcnt(52) lgkmcnt(1)
	v_mul_f32_e32 v28, v170, v49
	v_fma_f32 v5, v168, v46, -v5
	v_fmac_f32_e32 v28, v171, v48
	v_add_f32_e32 v4, v4, v5
	v_mul_f32_e32 v5, v171, v49
	v_add_f32_e32 v27, v27, v28
	s_waitcnt vmcnt(50)
	v_mul_f32_e32 v28, v172, v51
	v_fma_f32 v5, v170, v48, -v5
	v_fmac_f32_e32 v28, v173, v50
	ds_read2_b64 v[178:181], v1 offset0:97 offset1:98
	ds_read2_b64 v[182:185], v1 offset0:99 offset1:100
	v_add_f32_e32 v4, v4, v5
	v_mul_f32_e32 v5, v173, v51
	v_add_f32_e32 v27, v27, v28
	s_waitcnt vmcnt(48) lgkmcnt(2)
	v_mul_f32_e32 v28, v174, v53
	v_fma_f32 v5, v172, v50, -v5
	v_fmac_f32_e32 v28, v175, v52
	v_add_f32_e32 v4, v4, v5
	v_mul_f32_e32 v5, v175, v53
	v_add_f32_e32 v27, v27, v28
	s_waitcnt vmcnt(46)
	v_mul_f32_e32 v28, v176, v55
	v_fma_f32 v5, v174, v52, -v5
	v_fmac_f32_e32 v28, v177, v54
	v_add_f32_e32 v4, v4, v5
	v_mul_f32_e32 v5, v177, v55
	v_add_f32_e32 v27, v27, v28
	s_waitcnt vmcnt(44) lgkmcnt(1)
	v_mul_f32_e32 v28, v178, v57
	v_fma_f32 v5, v176, v54, -v5
	v_fmac_f32_e32 v28, v179, v56
	v_add_f32_e32 v4, v4, v5
	v_mul_f32_e32 v5, v179, v57
	v_add_f32_e32 v27, v27, v28
	s_waitcnt vmcnt(42)
	v_mul_f32_e32 v28, v180, v59
	v_fma_f32 v5, v178, v56, -v5
	v_fmac_f32_e32 v28, v181, v58
	ds_read2_b64 v[186:189], v1 offset0:101 offset1:102
	ds_read2_b64 v[190:193], v1 offset0:103 offset1:104
	v_add_f32_e32 v4, v4, v5
	v_mul_f32_e32 v5, v181, v59
	v_add_f32_e32 v27, v27, v28
	s_waitcnt vmcnt(40) lgkmcnt(2)
	v_mul_f32_e32 v28, v182, v61
	v_fma_f32 v5, v180, v58, -v5
	v_fmac_f32_e32 v28, v183, v60
	v_add_f32_e32 v4, v4, v5
	v_mul_f32_e32 v5, v183, v61
	v_add_f32_e32 v27, v27, v28
	s_waitcnt vmcnt(38)
	v_mul_f32_e32 v28, v184, v63
	v_fma_f32 v5, v182, v60, -v5
	v_fmac_f32_e32 v28, v185, v62
	v_add_f32_e32 v4, v4, v5
	v_mul_f32_e32 v5, v185, v63
	v_add_f32_e32 v27, v27, v28
	s_waitcnt vmcnt(36) lgkmcnt(1)
	v_mul_f32_e32 v28, v186, v65
	v_fma_f32 v5, v184, v62, -v5
	v_fmac_f32_e32 v28, v187, v64
	v_add_f32_e32 v4, v4, v5
	v_mul_f32_e32 v5, v187, v65
	v_add_f32_e32 v27, v27, v28
	s_waitcnt vmcnt(35)
	v_mul_f32_e32 v28, v188, v66
	v_fma_f32 v5, v186, v64, -v5
	s_waitcnt vmcnt(32)
	v_fmac_f32_e32 v28, v189, v224
	ds_read2_b64 v[194:197], v1 offset0:105 offset1:106
	ds_read2_b64 v[198:201], v1 offset0:107 offset1:108
	v_add_f32_e32 v4, v4, v5
	v_mul_f32_e32 v5, v189, v66
	v_add_f32_e32 v27, v27, v28
	s_waitcnt lgkmcnt(2)
	v_mul_f32_e32 v28, v190, v223
	v_fma_f32 v5, v188, v224, -v5
	v_fmac_f32_e32 v28, v191, v222
	v_add_f32_e32 v4, v4, v5
	v_mul_f32_e32 v5, v191, v223
	v_add_f32_e32 v27, v27, v28
	s_waitcnt vmcnt(30)
	v_mul_f32_e32 v28, v192, v226
	v_fma_f32 v5, v190, v222, -v5
	v_fmac_f32_e32 v28, v193, v225
	v_add_f32_e32 v4, v4, v5
	v_mul_f32_e32 v5, v193, v226
	v_add_f32_e32 v27, v27, v28
	s_waitcnt vmcnt(28) lgkmcnt(1)
	v_mul_f32_e32 v28, v194, v228
	v_fma_f32 v5, v192, v225, -v5
	v_fmac_f32_e32 v28, v195, v227
	v_add_f32_e32 v4, v4, v5
	v_mul_f32_e32 v5, v195, v228
	v_add_f32_e32 v27, v27, v28
	s_waitcnt vmcnt(27)
	v_mul_f32_e32 v28, v196, v229
	v_fma_f32 v5, v194, v227, -v5
	s_waitcnt vmcnt(24)
	v_fmac_f32_e32 v28, v197, v232
	ds_read2_b64 v[202:205], v1 offset0:109 offset1:110
	ds_read2_b64 v[206:209], v1 offset0:111 offset1:112
	v_add_f32_e32 v4, v4, v5
	v_mul_f32_e32 v5, v197, v229
	v_add_f32_e32 v27, v27, v28
	s_waitcnt lgkmcnt(2)
	;; [unrolled: 31-line block ×3, first 2 shown]
	v_mul_f32_e32 v28, v206, v239
	v_fma_f32 v5, v204, v240, -v5
	v_fmac_f32_e32 v28, v207, v238
	v_add_f32_e32 v4, v4, v5
	v_mul_f32_e32 v5, v207, v239
	v_add_f32_e32 v27, v27, v28
	s_waitcnt vmcnt(14)
	v_mul_f32_e32 v28, v208, v242
	v_fma_f32 v5, v206, v238, -v5
	v_fmac_f32_e32 v28, v209, v241
	v_add_f32_e32 v4, v4, v5
	v_mul_f32_e32 v5, v209, v242
	v_add_f32_e32 v27, v27, v28
	s_waitcnt vmcnt(12) lgkmcnt(1)
	v_mul_f32_e32 v28, v210, v244
	v_fma_f32 v5, v208, v241, -v5
	v_fmac_f32_e32 v28, v211, v243
	v_add_f32_e32 v4, v4, v5
	v_mul_f32_e32 v5, v211, v244
	v_add_f32_e32 v27, v27, v28
	s_waitcnt vmcnt(11)
	v_mul_f32_e32 v28, v212, v245
	v_fma_f32 v5, v210, v243, -v5
	s_waitcnt vmcnt(8)
	v_fmac_f32_e32 v28, v213, v248
	v_add_f32_e32 v4, v4, v5
	v_mul_f32_e32 v5, v213, v245
	v_add_f32_e32 v27, v27, v28
	s_waitcnt lgkmcnt(0)
	v_mul_f32_e32 v28, v214, v247
	ds_read2_b64 v[218:221], v1 offset0:117 offset1:118
	v_fma_f32 v5, v212, v248, -v5
	v_fmac_f32_e32 v28, v215, v246
	v_add_f32_e32 v4, v4, v5
	v_mul_f32_e32 v5, v215, v247
	v_add_f32_e32 v27, v27, v28
	s_waitcnt vmcnt(6)
	v_mul_f32_e32 v28, v216, v250
	v_fma_f32 v5, v214, v246, -v5
	v_fmac_f32_e32 v28, v217, v249
	v_add_f32_e32 v4, v4, v5
	v_mul_f32_e32 v5, v217, v250
	v_add_f32_e32 v68, v27, v28
	ds_read_b64 v[27:28], v1 offset:952
	v_fma_f32 v5, v216, v249, -v5
	v_add_f32_e32 v4, v4, v5
	s_waitcnt vmcnt(4) lgkmcnt(1)
	v_mul_f32_e32 v5, v219, v252
	v_mul_f32_e32 v69, v218, v252
	v_fma_f32 v5, v218, v251, -v5
	v_fmac_f32_e32 v69, v219, v251
	v_add_f32_e32 v4, v4, v5
	s_waitcnt vmcnt(3)
	v_mul_f32_e32 v5, v221, v253
	v_add_f32_e32 v68, v68, v69
	v_mul_f32_e32 v69, v220, v253
	s_waitcnt vmcnt(0)
	v_fma_f32 v5, v220, v67, -v5
	v_fmac_f32_e32 v69, v221, v67
	v_add_f32_e32 v4, v4, v5
	s_waitcnt lgkmcnt(0)
	v_mul_f32_e32 v5, v28, v255
	v_add_f32_e32 v68, v68, v69
	v_mul_f32_e32 v69, v27, v255
	v_fma_f32 v5, v27, v254, -v5
	v_fmac_f32_e32 v69, v28, v254
	v_add_f32_e32 v4, v4, v5
	v_add_f32_e32 v68, v68, v69
	v_sub_f32_e32 v2, v2, v4
	v_sub_f32_e32 v3, v3, v68
	buffer_store_dword v2, off, s[0:3], 0 offset:128
	buffer_store_dword v3, off, s[0:3], 0 offset:132
	s_and_saveexec_b64 s[4:5], vcc
	s_cbranch_execz .LBB59_343
; %bb.342:
	buffer_load_dword v2, off, s[0:3], 0 offset:120
	buffer_load_dword v3, off, s[0:3], 0 offset:124
	s_waitcnt vmcnt(0)
	ds_write_b64 v145, v[2:3]
	buffer_store_dword v1, off, s[0:3], 0 offset:120
	buffer_store_dword v1, off, s[0:3], 0 offset:124
.LBB59_343:
	s_or_b64 exec, exec, s[4:5]
	s_waitcnt lgkmcnt(0)
	; wave barrier
	buffer_load_dword v10, off, s[0:3], 0 offset:132
	buffer_load_dword v9, off, s[0:3], 0 offset:140
	;; [unrolled: 1-line block ×32, first 2 shown]
	ds_read_b128 v[16:19], v1 offset:608
	ds_read_b128 v[20:23], v1 offset:624
	;; [unrolled: 1-line block ×4, first 2 shown]
	buffer_load_dword v44, off, s[0:3], 0 offset:248
	buffer_load_dword v45, off, s[0:3], 0 offset:252
	ds_read_b128 v[154:157], v1 offset:672
	ds_read_b128 v[158:161], v1 offset:688
	;; [unrolled: 1-line block ×3, first 2 shown]
	buffer_load_dword v46, off, s[0:3], 0 offset:256
	buffer_load_dword v47, off, s[0:3], 0 offset:260
	;; [unrolled: 1-line block ×14, first 2 shown]
	v_cmp_lt_u32_e32 vcc, 14, v0
	s_waitcnt vmcnt(47) lgkmcnt(6)
	v_mul_f32_e32 v60, v16, v10
	s_waitcnt vmcnt(46)
	v_mul_f32_e32 v61, v18, v9
	s_waitcnt vmcnt(45) lgkmcnt(5)
	v_mul_f32_e32 v62, v20, v8
	s_waitcnt vmcnt(44)
	v_mul_f32_e32 v63, v22, v7
	;; [unrolled: 4-line block ×6, first 2 shown]
	s_waitcnt vmcnt(35)
	v_fmac_f32_e32 v62, v21, v24
	s_waitcnt vmcnt(34)
	v_fmac_f32_e32 v61, v19, v27
	;; [unrolled: 2-line block ×3, first 2 shown]
	v_add_f32_e32 v60, 0, v60
	v_add_f32_e32 v60, v60, v61
	;; [unrolled: 1-line block ×3, first 2 shown]
	s_waitcnt vmcnt(29)
	v_fmac_f32_e32 v63, v23, v32
	v_fmac_f32_e32 v64, v147, v31
	v_add_f32_e32 v60, v60, v63
	v_fmac_f32_e32 v65, v149, v30
	v_add_f32_e32 v60, v60, v64
	;; [unrolled: 2-line block ×3, first 2 shown]
	buffer_load_dword v61, off, s[0:3], 0 offset:312
	buffer_load_dword v62, off, s[0:3], 0 offset:316
	s_waitcnt vmcnt(27)
	v_fmac_f32_e32 v67, v153, v36
	v_add_f32_e32 v60, v60, v66
	v_fmac_f32_e32 v68, v155, v35
	v_add_f32_e32 v60, v60, v67
	;; [unrolled: 2-line block ×4, first 2 shown]
	s_waitcnt vmcnt(23)
	v_fmac_f32_e32 v166, v161, v40
	v_add_f32_e32 v60, v60, v70
	v_add_f32_e32 v60, v60, v166
	ds_read_b128 v[166:169], v1 offset:720
	buffer_load_dword v64, off, s[0:3], 0 offset:320
	buffer_load_dword v65, off, s[0:3], 0 offset:324
	buffer_load_dword v66, off, s[0:3], 0 offset:332
	buffer_load_dword v67, off, s[0:3], 0 offset:336
	buffer_load_dword v68, off, s[0:3], 0 offset:340
	buffer_load_dword v69, off, s[0:3], 0 offset:328
	buffer_load_dword v70, off, s[0:3], 0 offset:344
	buffer_load_dword v226, off, s[0:3], 0 offset:348
	buffer_load_dword v227, off, s[0:3], 0 offset:352
	buffer_load_dword v228, off, s[0:3], 0 offset:356
	buffer_load_dword v229, off, s[0:3], 0 offset:364
	buffer_load_dword v230, off, s[0:3], 0 offset:368
	buffer_load_dword v231, off, s[0:3], 0 offset:372
	buffer_load_dword v232, off, s[0:3], 0 offset:360
	s_waitcnt vmcnt(36) lgkmcnt(1)
	v_mul_f32_e32 v63, v162, v41
	v_fmac_f32_e32 v63, v163, v39
	v_add_f32_e32 v60, v60, v63
	s_waitcnt vmcnt(35)
	v_mul_f32_e32 v63, v164, v42
	buffer_load_dword v233, off, s[0:3], 0 offset:376
	buffer_load_dword v234, off, s[0:3], 0 offset:380
	v_fmac_f32_e32 v63, v165, v38
	v_add_f32_e32 v60, v60, v63
	s_waitcnt vmcnt(36) lgkmcnt(0)
	v_mul_f32_e32 v63, v166, v43
	v_fmac_f32_e32 v63, v167, v37
	v_add_f32_e32 v60, v60, v63
	s_waitcnt vmcnt(32)
	v_mul_f32_e32 v63, v168, v45
	v_fmac_f32_e32 v63, v169, v44
	ds_read_b128 v[170:173], v1 offset:736
	v_add_f32_e32 v60, v60, v63
	buffer_load_dword v63, off, s[0:3], 0 offset:384
	buffer_load_dword v235, off, s[0:3], 0 offset:388
	;; [unrolled: 1-line block ×6, first 2 shown]
	ds_read_b128 v[174:177], v1 offset:752
	buffer_load_dword v240, off, s[0:3], 0 offset:408
	buffer_load_dword v241, off, s[0:3], 0 offset:412
	;; [unrolled: 1-line block ×10, first 2 shown]
	s_waitcnt vmcnt(46) lgkmcnt(1)
	v_mul_f32_e32 v178, v170, v47
	v_fmac_f32_e32 v178, v171, v46
	v_add_f32_e32 v60, v60, v178
	s_waitcnt vmcnt(44)
	v_mul_f32_e32 v178, v172, v49
	v_fmac_f32_e32 v178, v173, v48
	v_add_f32_e32 v60, v60, v178
	s_waitcnt vmcnt(42) lgkmcnt(0)
	v_mul_f32_e32 v178, v174, v51
	buffer_load_dword v250, off, s[0:3], 0 offset:448
	buffer_load_dword v251, off, s[0:3], 0 offset:452
	;; [unrolled: 1-line block ×6, first 2 shown]
	v_fmac_f32_e32 v178, v175, v50
	s_waitcnt vmcnt(46)
	v_mul_f32_e32 v182, v176, v53
	v_add_f32_e32 v60, v60, v178
	v_fmac_f32_e32 v182, v177, v52
	ds_read_b128 v[178:181], v1 offset:768
	v_add_f32_e32 v60, v60, v182
	ds_read_b128 v[182:185], v1 offset:784
	buffer_load_dword v71, off, s[0:3], 0 offset:472
	buffer_load_dword v72, off, s[0:3], 0 offset:476
	v_mul_f32_e32 v10, v17, v10
	v_fma_f32 v10, v16, v28, -v10
	v_mul_f32_e32 v9, v19, v9
	v_add_f32_e32 v10, 0, v10
	v_fma_f32 v9, v18, v27, -v9
	v_mul_f32_e32 v8, v21, v8
	v_add_f32_e32 v9, v10, v9
	v_fma_f32 v8, v20, v24, -v8
	v_mul_f32_e32 v7, v23, v7
	v_add_f32_e32 v8, v9, v8
	v_fma_f32 v7, v22, v32, -v7
	v_mul_f32_e32 v6, v147, v6
	v_add_f32_e32 v7, v8, v7
	v_fma_f32 v6, v146, v31, -v6
	v_mul_f32_e32 v5, v149, v5
	v_add_f32_e32 v6, v7, v6
	v_fma_f32 v5, v148, v30, -v5
	v_mul_f32_e32 v4, v151, v4
	v_add_f32_e32 v5, v6, v5
	v_fma_f32 v4, v150, v29, -v4
	v_add_f32_e32 v4, v5, v4
	v_mul_f32_e32 v5, v153, v11
	v_fma_f32 v5, v152, v36, -v5
	v_add_f32_e32 v4, v4, v5
	v_mul_f32_e32 v5, v155, v12
	;; [unrolled: 3-line block ×6, first 2 shown]
	s_waitcnt vmcnt(46) lgkmcnt(1)
	v_mul_f32_e32 v186, v178, v55
	v_fma_f32 v5, v162, v39, -v5
	v_fmac_f32_e32 v186, v179, v54
	v_add_f32_e32 v4, v4, v5
	v_mul_f32_e32 v5, v165, v42
	v_add_f32_e32 v60, v60, v186
	s_waitcnt vmcnt(44)
	v_mul_f32_e32 v186, v180, v57
	v_fma_f32 v5, v164, v38, -v5
	v_fmac_f32_e32 v186, v181, v56
	v_add_f32_e32 v4, v4, v5
	v_mul_f32_e32 v5, v167, v43
	v_add_f32_e32 v60, v60, v186
	s_waitcnt vmcnt(42) lgkmcnt(0)
	v_mul_f32_e32 v186, v182, v59
	v_fma_f32 v5, v166, v37, -v5
	v_fmac_f32_e32 v186, v183, v58
	v_add_f32_e32 v4, v4, v5
	v_mul_f32_e32 v5, v169, v45
	v_add_f32_e32 v60, v60, v186
	ds_read_b128 v[186:189], v1 offset:800
	v_fma_f32 v5, v168, v44, -v5
	v_add_f32_e32 v4, v4, v5
	v_mul_f32_e32 v5, v171, v47
	s_waitcnt vmcnt(40)
	v_mul_f32_e32 v190, v184, v62
	v_fma_f32 v5, v170, v46, -v5
	v_fmac_f32_e32 v190, v185, v61
	v_add_f32_e32 v4, v4, v5
	v_mul_f32_e32 v5, v173, v49
	v_add_f32_e32 v60, v60, v190
	ds_read_b128 v[190:193], v1 offset:816
	v_fma_f32 v5, v172, v48, -v5
	s_waitcnt vmcnt(38) lgkmcnt(1)
	v_mul_f32_e32 v194, v186, v65
	v_add_f32_e32 v4, v4, v5
	v_mul_f32_e32 v5, v175, v51
	v_fmac_f32_e32 v194, v187, v64
	v_fma_f32 v5, v174, v50, -v5
	v_add_f32_e32 v60, v60, v194
	s_waitcnt vmcnt(37)
	v_mul_f32_e32 v194, v188, v66
	v_add_f32_e32 v4, v4, v5
	v_mul_f32_e32 v5, v177, v53
	s_waitcnt vmcnt(34)
	v_fmac_f32_e32 v194, v189, v69
	v_fma_f32 v5, v176, v52, -v5
	v_add_f32_e32 v60, v60, v194
	s_waitcnt lgkmcnt(0)
	v_mul_f32_e32 v194, v190, v68
	v_add_f32_e32 v4, v4, v5
	v_mul_f32_e32 v5, v179, v55
	v_fmac_f32_e32 v194, v191, v67
	v_fma_f32 v5, v178, v54, -v5
	v_add_f32_e32 v60, v60, v194
	ds_read_b128 v[194:197], v1 offset:832
	v_add_f32_e32 v4, v4, v5
	v_mul_f32_e32 v5, v181, v57
	v_fma_f32 v5, v180, v56, -v5
	s_waitcnt vmcnt(32)
	v_mul_f32_e32 v198, v192, v226
	v_add_f32_e32 v4, v4, v5
	v_mul_f32_e32 v5, v183, v59
	v_fmac_f32_e32 v198, v193, v70
	v_fma_f32 v5, v182, v58, -v5
	v_add_f32_e32 v60, v60, v198
	ds_read_b128 v[198:201], v1 offset:848
	v_add_f32_e32 v4, v4, v5
	v_mul_f32_e32 v5, v185, v62
	s_waitcnt vmcnt(30) lgkmcnt(1)
	v_mul_f32_e32 v202, v194, v228
	v_fma_f32 v5, v184, v61, -v5
	v_fmac_f32_e32 v202, v195, v227
	v_add_f32_e32 v4, v4, v5
	v_mul_f32_e32 v5, v187, v65
	v_add_f32_e32 v60, v60, v202
	s_waitcnt vmcnt(29)
	v_mul_f32_e32 v202, v196, v229
	v_fma_f32 v5, v186, v64, -v5
	s_waitcnt vmcnt(26)
	v_fmac_f32_e32 v202, v197, v232
	v_add_f32_e32 v4, v4, v5
	v_mul_f32_e32 v5, v189, v66
	v_add_f32_e32 v60, v60, v202
	s_waitcnt lgkmcnt(0)
	v_mul_f32_e32 v202, v198, v231
	v_fma_f32 v5, v188, v69, -v5
	v_fmac_f32_e32 v202, v199, v230
	v_add_f32_e32 v4, v4, v5
	v_mul_f32_e32 v5, v191, v68
	v_add_f32_e32 v60, v60, v202
	ds_read_b128 v[202:205], v1 offset:864
	v_fma_f32 v5, v190, v67, -v5
	v_add_f32_e32 v4, v4, v5
	v_mul_f32_e32 v5, v193, v226
	s_waitcnt vmcnt(24)
	v_mul_f32_e32 v206, v200, v234
	v_fma_f32 v5, v192, v70, -v5
	v_fmac_f32_e32 v206, v201, v233
	v_add_f32_e32 v4, v4, v5
	v_mul_f32_e32 v5, v195, v228
	v_add_f32_e32 v60, v60, v206
	ds_read_b128 v[206:209], v1 offset:880
	v_fma_f32 v5, v194, v227, -v5
	s_waitcnt vmcnt(22) lgkmcnt(1)
	v_mul_f32_e32 v210, v202, v235
	v_add_f32_e32 v4, v4, v5
	v_mul_f32_e32 v5, v197, v229
	v_fmac_f32_e32 v210, v203, v63
	v_fma_f32 v5, v196, v232, -v5
	v_add_f32_e32 v60, v60, v210
	s_waitcnt vmcnt(21)
	v_mul_f32_e32 v210, v204, v236
	v_add_f32_e32 v4, v4, v5
	v_mul_f32_e32 v5, v199, v231
	s_waitcnt vmcnt(18)
	v_fmac_f32_e32 v210, v205, v239
	v_fma_f32 v5, v198, v230, -v5
	v_add_f32_e32 v60, v60, v210
	s_waitcnt lgkmcnt(0)
	v_mul_f32_e32 v210, v206, v238
	v_add_f32_e32 v4, v4, v5
	v_mul_f32_e32 v5, v201, v234
	v_fmac_f32_e32 v210, v207, v237
	v_fma_f32 v5, v200, v233, -v5
	v_add_f32_e32 v60, v60, v210
	ds_read_b128 v[210:213], v1 offset:896
	v_add_f32_e32 v4, v4, v5
	v_mul_f32_e32 v5, v203, v235
	v_fma_f32 v5, v202, v63, -v5
	s_waitcnt vmcnt(16)
	v_mul_f32_e32 v214, v208, v241
	v_add_f32_e32 v4, v4, v5
	v_mul_f32_e32 v5, v205, v236
	v_fmac_f32_e32 v214, v209, v240
	v_fma_f32 v5, v204, v239, -v5
	v_add_f32_e32 v60, v60, v214
	ds_read_b128 v[214:217], v1 offset:912
	v_add_f32_e32 v4, v4, v5
	v_mul_f32_e32 v5, v207, v238
	s_waitcnt vmcnt(14) lgkmcnt(1)
	v_mul_f32_e32 v218, v210, v243
	v_fma_f32 v5, v206, v237, -v5
	v_fmac_f32_e32 v218, v211, v242
	v_add_f32_e32 v4, v4, v5
	v_mul_f32_e32 v5, v209, v241
	v_add_f32_e32 v60, v60, v218
	s_waitcnt vmcnt(13)
	v_mul_f32_e32 v218, v212, v244
	v_fma_f32 v5, v208, v240, -v5
	s_waitcnt vmcnt(10)
	v_fmac_f32_e32 v218, v213, v247
	v_add_f32_e32 v4, v4, v5
	v_mul_f32_e32 v5, v211, v243
	v_add_f32_e32 v60, v60, v218
	s_waitcnt lgkmcnt(0)
	v_mul_f32_e32 v218, v214, v246
	v_fma_f32 v5, v210, v242, -v5
	v_fmac_f32_e32 v218, v215, v245
	v_add_f32_e32 v4, v4, v5
	v_mul_f32_e32 v5, v213, v244
	v_add_f32_e32 v60, v60, v218
	ds_read_b128 v[218:221], v1 offset:928
	v_fma_f32 v5, v212, v247, -v5
	v_add_f32_e32 v4, v4, v5
	v_mul_f32_e32 v5, v215, v246
	s_waitcnt vmcnt(8)
	v_mul_f32_e32 v222, v216, v249
	v_fma_f32 v5, v214, v245, -v5
	v_fmac_f32_e32 v222, v217, v248
	v_add_f32_e32 v4, v4, v5
	v_mul_f32_e32 v5, v217, v249
	v_add_f32_e32 v60, v60, v222
	ds_read_b128 v[222:225], v1 offset:944
	v_fma_f32 v5, v216, v248, -v5
	v_add_f32_e32 v4, v4, v5
	s_waitcnt vmcnt(6) lgkmcnt(1)
	v_mul_f32_e32 v5, v219, v251
	v_mul_f32_e32 v1, v218, v251
	v_fma_f32 v5, v218, v250, -v5
	v_fmac_f32_e32 v1, v219, v250
	v_add_f32_e32 v4, v4, v5
	s_waitcnt vmcnt(5)
	v_mul_f32_e32 v5, v221, v252
	v_add_f32_e32 v1, v60, v1
	v_mul_f32_e32 v60, v220, v252
	s_waitcnt vmcnt(2)
	v_fma_f32 v5, v220, v255, -v5
	v_fmac_f32_e32 v60, v221, v255
	v_add_f32_e32 v4, v4, v5
	s_waitcnt lgkmcnt(0)
	v_mul_f32_e32 v5, v223, v254
	v_add_f32_e32 v1, v1, v60
	v_mul_f32_e32 v60, v222, v254
	v_fma_f32 v5, v222, v253, -v5
	v_fmac_f32_e32 v60, v223, v253
	v_add_f32_e32 v4, v4, v5
	s_waitcnt vmcnt(0)
	v_mul_f32_e32 v5, v225, v72
	v_add_f32_e32 v1, v1, v60
	v_mul_f32_e32 v60, v224, v72
	v_fma_f32 v5, v224, v71, -v5
	v_fmac_f32_e32 v60, v225, v71
	v_add_f32_e32 v4, v4, v5
	v_add_f32_e32 v1, v1, v60
	v_sub_f32_e32 v2, v2, v4
	v_sub_f32_e32 v1, v3, v1
	buffer_store_dword v2, off, s[0:3], 0 offset:120
	buffer_store_dword v1, off, s[0:3], 0 offset:124
	s_and_saveexec_b64 s[4:5], vcc
	s_cbranch_execz .LBB59_345
; %bb.344:
	buffer_load_dword v1, off, s[0:3], 0 offset:112
	buffer_load_dword v2, off, s[0:3], 0 offset:116
	v_mov_b32_e32 v3, 0
	buffer_store_dword v3, off, s[0:3], 0 offset:112
	buffer_store_dword v3, off, s[0:3], 0 offset:116
	s_waitcnt vmcnt(2)
	ds_write_b64 v145, v[1:2]
.LBB59_345:
	s_or_b64 exec, exec, s[4:5]
	s_waitcnt lgkmcnt(0)
	; wave barrier
	buffer_load_dword v24, off, s[0:3], 0 offset:124
	buffer_load_dword v29, off, s[0:3], 0 offset:132
	;; [unrolled: 1-line block ×32, first 2 shown]
	v_mov_b32_e32 v1, 0
	buffer_load_dword v58, off, s[0:3], 0 offset:240
	buffer_load_dword v59, off, s[0:3], 0 offset:244
	;; [unrolled: 1-line block ×16, first 2 shown]
	ds_read2_b64 v[4:7], v1 offset0:75 offset1:76
	ds_read2_b64 v[8:11], v1 offset0:77 offset1:78
	;; [unrolled: 1-line block ×7, first 2 shown]
	v_cmp_lt_u32_e32 vcc, 13, v0
	s_waitcnt vmcnt(47) lgkmcnt(6)
	v_mul_f32_e32 v27, v4, v24
	s_waitcnt vmcnt(46)
	v_mul_f32_e32 v28, v6, v29
	s_waitcnt vmcnt(45) lgkmcnt(5)
	v_mul_f32_e32 v154, v8, v30
	s_waitcnt vmcnt(44)
	v_mul_f32_e32 v155, v10, v31
	;; [unrolled: 4-line block ×6, first 2 shown]
	s_waitcnt vmcnt(35)
	v_fmac_f32_e32 v154, v9, v40
	s_waitcnt vmcnt(34)
	v_fmac_f32_e32 v28, v7, v41
	s_waitcnt vmcnt(33)
	v_fmac_f32_e32 v27, v5, v42
	v_add_f32_e32 v27, 0, v27
	v_add_f32_e32 v27, v27, v28
	;; [unrolled: 1-line block ×3, first 2 shown]
	s_waitcnt vmcnt(29)
	v_fmac_f32_e32 v155, v11, v46
	v_fmac_f32_e32 v156, v13, v45
	v_add_f32_e32 v27, v27, v155
	v_fmac_f32_e32 v157, v15, v44
	v_add_f32_e32 v27, v27, v156
	v_add_f32_e32 v27, v27, v157
	ds_read2_b64 v[154:157], v1 offset0:89 offset1:90
	buffer_load_dword v215, off, s[0:3], 0 offset:304
	buffer_load_dword v216, off, s[0:3], 0 offset:308
	;; [unrolled: 1-line block ×10, first 2 shown]
	v_fmac_f32_e32 v158, v17, v43
	s_waitcnt vmcnt(35)
	v_fmac_f32_e32 v159, v19, v50
	v_add_f32_e32 v27, v27, v158
	buffer_load_dword v225, off, s[0:3], 0 offset:344
	buffer_load_dword v226, off, s[0:3], 0 offset:348
	;; [unrolled: 1-line block ×6, first 2 shown]
	v_fmac_f32_e32 v160, v21, v49
	v_add_f32_e32 v27, v27, v159
	v_fmac_f32_e32 v161, v23, v48
	v_add_f32_e32 v27, v27, v160
	v_add_f32_e32 v27, v27, v161
	ds_read2_b64 v[158:161], v1 offset0:91 offset1:92
	buffer_load_dword v231, off, s[0:3], 0 offset:368
	buffer_load_dword v232, off, s[0:3], 0 offset:372
	v_fmac_f32_e32 v162, v147, v47
	s_waitcnt vmcnt(39)
	v_fmac_f32_e32 v163, v149, v54
	v_add_f32_e32 v27, v27, v162
	v_add_f32_e32 v27, v27, v163
	ds_read2_b64 v[162:165], v1 offset0:93 offset1:94
	buffer_load_dword v233, off, s[0:3], 0 offset:376
	buffer_load_dword v234, off, s[0:3], 0 offset:380
	;; [unrolled: 1-line block ×16, first 2 shown]
	v_mul_f32_e32 v5, v5, v24
	ds_read2_b64 v[166:169], v1 offset0:95 offset1:96
	buffer_load_dword v249, off, s[0:3], 0 offset:440
	buffer_load_dword v250, off, s[0:3], 0 offset:444
	;; [unrolled: 1-line block ×6, first 2 shown]
	v_fma_f32 v4, v4, v42, -v5
	v_mul_f32_e32 v5, v7, v29
	v_add_f32_e32 v4, 0, v4
	v_fma_f32 v5, v6, v41, -v5
	v_add_f32_e32 v4, v4, v5
	v_mul_f32_e32 v5, v9, v30
	v_fma_f32 v5, v8, v40, -v5
	v_add_f32_e32 v4, v4, v5
	v_mul_f32_e32 v5, v11, v31
	ds_read2_b64 v[170:173], v1 offset0:97 offset1:98
	buffer_load_dword v255, off, s[0:3], 0 offset:468
	buffer_load_dword v73, off, s[0:3], 0 offset:472
	;; [unrolled: 1-line block ×4, first 2 shown]
	v_fma_f32 v5, v10, v46, -v5
	v_add_f32_e32 v4, v4, v5
	v_mul_f32_e32 v5, v13, v32
	v_fma_f32 v5, v12, v45, -v5
	v_add_f32_e32 v4, v4, v5
	v_mul_f32_e32 v5, v15, v33
	;; [unrolled: 3-line block ×8, first 2 shown]
	s_waitcnt vmcnt(62) lgkmcnt(5)
	v_mul_f32_e32 v28, v150, v55
	v_fma_f32 v5, v148, v54, -v5
	v_fmac_f32_e32 v28, v151, v53
	v_add_f32_e32 v4, v4, v5
	v_mul_f32_e32 v5, v151, v55
	v_add_f32_e32 v27, v27, v28
	v_mul_f32_e32 v28, v152, v56
	v_fma_f32 v5, v150, v53, -v5
	v_fmac_f32_e32 v28, v153, v52
	v_add_f32_e32 v4, v4, v5
	v_mul_f32_e32 v5, v153, v56
	v_add_f32_e32 v27, v27, v28
	s_waitcnt lgkmcnt(4)
	v_mul_f32_e32 v28, v154, v57
	v_fma_f32 v5, v152, v52, -v5
	v_fmac_f32_e32 v28, v155, v51
	v_add_f32_e32 v4, v4, v5
	v_mul_f32_e32 v5, v155, v57
	v_add_f32_e32 v27, v27, v28
	s_waitcnt vmcnt(58)
	v_mul_f32_e32 v28, v156, v59
	v_fma_f32 v5, v154, v51, -v5
	v_fmac_f32_e32 v28, v157, v58
	v_add_f32_e32 v4, v4, v5
	v_mul_f32_e32 v5, v157, v59
	v_add_f32_e32 v27, v27, v28
	s_waitcnt vmcnt(56) lgkmcnt(3)
	v_mul_f32_e32 v28, v158, v61
	v_fma_f32 v5, v156, v58, -v5
	v_fmac_f32_e32 v28, v159, v60
	v_add_f32_e32 v4, v4, v5
	v_mul_f32_e32 v5, v159, v61
	v_add_f32_e32 v27, v27, v28
	s_waitcnt vmcnt(54)
	v_mul_f32_e32 v28, v160, v63
	v_fma_f32 v5, v158, v60, -v5
	v_fmac_f32_e32 v28, v161, v62
	v_add_f32_e32 v4, v4, v5
	v_mul_f32_e32 v5, v161, v63
	v_add_f32_e32 v27, v27, v28
	s_waitcnt vmcnt(52) lgkmcnt(2)
	;; [unrolled: 14-line block ×3, first 2 shown]
	v_mul_f32_e32 v28, v166, v69
	v_fma_f32 v5, v164, v66, -v5
	v_fmac_f32_e32 v28, v167, v68
	v_add_f32_e32 v4, v4, v5
	v_mul_f32_e32 v5, v167, v69
	v_add_f32_e32 v27, v27, v28
	s_waitcnt vmcnt(46)
	v_mul_f32_e32 v28, v168, v71
	v_fma_f32 v5, v166, v68, -v5
	v_fmac_f32_e32 v28, v169, v70
	ds_read2_b64 v[174:177], v1 offset0:99 offset1:100
	ds_read2_b64 v[178:181], v1 offset0:101 offset1:102
	v_add_f32_e32 v4, v4, v5
	v_mul_f32_e32 v5, v169, v71
	v_add_f32_e32 v27, v27, v28
	s_waitcnt vmcnt(44) lgkmcnt(2)
	v_mul_f32_e32 v28, v170, v214
	v_fma_f32 v5, v168, v70, -v5
	v_fmac_f32_e32 v28, v171, v72
	v_add_f32_e32 v4, v4, v5
	v_mul_f32_e32 v5, v171, v214
	v_add_f32_e32 v27, v27, v28
	s_waitcnt vmcnt(42)
	v_mul_f32_e32 v28, v172, v216
	v_fma_f32 v5, v170, v72, -v5
	v_fmac_f32_e32 v28, v173, v215
	v_add_f32_e32 v4, v4, v5
	v_mul_f32_e32 v5, v173, v216
	v_add_f32_e32 v27, v27, v28
	s_waitcnt vmcnt(40) lgkmcnt(1)
	v_mul_f32_e32 v28, v174, v218
	v_fma_f32 v5, v172, v215, -v5
	v_fmac_f32_e32 v28, v175, v217
	v_add_f32_e32 v4, v4, v5
	v_mul_f32_e32 v5, v175, v218
	v_add_f32_e32 v27, v27, v28
	s_waitcnt vmcnt(39)
	v_mul_f32_e32 v28, v176, v219
	v_fma_f32 v5, v174, v217, -v5
	s_waitcnt vmcnt(36)
	v_fmac_f32_e32 v28, v177, v222
	ds_read2_b64 v[182:185], v1 offset0:103 offset1:104
	ds_read2_b64 v[186:189], v1 offset0:105 offset1:106
	v_add_f32_e32 v4, v4, v5
	v_mul_f32_e32 v5, v177, v219
	v_add_f32_e32 v27, v27, v28
	s_waitcnt lgkmcnt(2)
	v_mul_f32_e32 v28, v178, v221
	v_fma_f32 v5, v176, v222, -v5
	v_fmac_f32_e32 v28, v179, v220
	v_add_f32_e32 v4, v4, v5
	v_mul_f32_e32 v5, v179, v221
	v_add_f32_e32 v27, v27, v28
	s_waitcnt vmcnt(34)
	v_mul_f32_e32 v28, v180, v224
	v_fma_f32 v5, v178, v220, -v5
	v_fmac_f32_e32 v28, v181, v223
	v_add_f32_e32 v4, v4, v5
	v_mul_f32_e32 v5, v181, v224
	v_add_f32_e32 v27, v27, v28
	s_waitcnt vmcnt(32) lgkmcnt(1)
	v_mul_f32_e32 v28, v182, v226
	v_fma_f32 v5, v180, v223, -v5
	v_fmac_f32_e32 v28, v183, v225
	v_add_f32_e32 v4, v4, v5
	v_mul_f32_e32 v5, v183, v226
	v_add_f32_e32 v27, v27, v28
	s_waitcnt vmcnt(31)
	v_mul_f32_e32 v28, v184, v227
	v_fma_f32 v5, v182, v225, -v5
	s_waitcnt vmcnt(28)
	v_fmac_f32_e32 v28, v185, v230
	ds_read2_b64 v[190:193], v1 offset0:107 offset1:108
	ds_read2_b64 v[194:197], v1 offset0:109 offset1:110
	v_add_f32_e32 v4, v4, v5
	v_mul_f32_e32 v5, v185, v227
	v_add_f32_e32 v27, v27, v28
	s_waitcnt lgkmcnt(2)
	;; [unrolled: 31-line block ×4, first 2 shown]
	v_mul_f32_e32 v28, v202, v245
	v_fma_f32 v5, v200, v246, -v5
	v_fmac_f32_e32 v28, v203, v244
	v_add_f32_e32 v4, v4, v5
	v_mul_f32_e32 v5, v203, v245
	v_add_f32_e32 v27, v27, v28
	s_waitcnt vmcnt(10)
	v_mul_f32_e32 v28, v204, v248
	v_fma_f32 v5, v202, v244, -v5
	v_fmac_f32_e32 v28, v205, v247
	v_add_f32_e32 v4, v4, v5
	v_mul_f32_e32 v5, v205, v248
	v_add_f32_e32 v27, v27, v28
	s_waitcnt vmcnt(8) lgkmcnt(1)
	v_mul_f32_e32 v28, v206, v250
	v_fma_f32 v5, v204, v247, -v5
	v_fmac_f32_e32 v28, v207, v249
	v_add_f32_e32 v4, v4, v5
	v_mul_f32_e32 v5, v207, v250
	v_add_f32_e32 v27, v27, v28
	s_waitcnt vmcnt(7)
	v_mul_f32_e32 v28, v208, v251
	v_fma_f32 v5, v206, v249, -v5
	s_waitcnt vmcnt(4)
	v_fmac_f32_e32 v28, v209, v254
	v_add_f32_e32 v4, v4, v5
	v_mul_f32_e32 v5, v209, v251
	v_add_f32_e32 v76, v27, v28
	ds_read_b64 v[27:28], v1 offset:952
	v_fma_f32 v5, v208, v254, -v5
	v_add_f32_e32 v4, v4, v5
	s_waitcnt lgkmcnt(1)
	v_mul_f32_e32 v5, v211, v253
	v_mul_f32_e32 v77, v210, v253
	v_fma_f32 v5, v210, v252, -v5
	v_fmac_f32_e32 v77, v211, v252
	v_add_f32_e32 v4, v4, v5
	s_waitcnt vmcnt(3)
	v_mul_f32_e32 v5, v213, v255
	v_add_f32_e32 v76, v76, v77
	v_mul_f32_e32 v77, v212, v255
	s_waitcnt vmcnt(0)
	v_fma_f32 v5, v212, v75, -v5
	v_fmac_f32_e32 v77, v213, v75
	v_add_f32_e32 v4, v4, v5
	s_waitcnt lgkmcnt(0)
	v_mul_f32_e32 v5, v28, v74
	v_add_f32_e32 v76, v76, v77
	v_mul_f32_e32 v77, v27, v74
	v_fma_f32 v5, v27, v73, -v5
	v_fmac_f32_e32 v77, v28, v73
	v_add_f32_e32 v4, v4, v5
	v_add_f32_e32 v76, v76, v77
	v_sub_f32_e32 v2, v2, v4
	v_sub_f32_e32 v3, v3, v76
	buffer_store_dword v2, off, s[0:3], 0 offset:112
	buffer_store_dword v3, off, s[0:3], 0 offset:116
	s_and_saveexec_b64 s[4:5], vcc
	s_cbranch_execz .LBB59_347
; %bb.346:
	buffer_load_dword v2, off, s[0:3], 0 offset:104
	buffer_load_dword v3, off, s[0:3], 0 offset:108
	s_waitcnt vmcnt(0)
	ds_write_b64 v145, v[2:3]
	buffer_store_dword v1, off, s[0:3], 0 offset:104
	buffer_store_dword v1, off, s[0:3], 0 offset:108
.LBB59_347:
	s_or_b64 exec, exec, s[4:5]
	s_waitcnt lgkmcnt(0)
	; wave barrier
	buffer_load_dword v10, off, s[0:3], 0 offset:116
	buffer_load_dword v9, off, s[0:3], 0 offset:124
	;; [unrolled: 1-line block ×33, first 2 shown]
	ds_read_b128 v[11:14], v1 offset:592
	ds_read_b128 v[15:18], v1 offset:608
	;; [unrolled: 1-line block ×6, first 2 shown]
	buffer_load_dword v49, off, s[0:3], 0 offset:232
	buffer_load_dword v50, off, s[0:3], 0 offset:244
	;; [unrolled: 1-line block ×7, first 2 shown]
	ds_read_b128 v[158:161], v1 offset:688
	ds_read_b128 v[162:165], v1 offset:704
	buffer_load_dword v56, off, s[0:3], 0 offset:264
	buffer_load_dword v57, off, s[0:3], 0 offset:268
	;; [unrolled: 1-line block ×8, first 2 shown]
	v_cmp_lt_u32_e32 vcc, 12, v0
	s_waitcnt vmcnt(47) lgkmcnt(7)
	v_mul_f32_e32 v64, v11, v10
	s_waitcnt vmcnt(46)
	v_mul_f32_e32 v65, v13, v9
	s_waitcnt vmcnt(45) lgkmcnt(6)
	v_mul_f32_e32 v66, v15, v8
	s_waitcnt vmcnt(44)
	v_mul_f32_e32 v67, v17, v7
	;; [unrolled: 4-line block ×6, first 2 shown]
	s_waitcnt vmcnt(35)
	v_fmac_f32_e32 v66, v16, v30
	s_waitcnt vmcnt(34)
	v_fmac_f32_e32 v65, v14, v31
	;; [unrolled: 2-line block ×3, first 2 shown]
	v_add_f32_e32 v64, 0, v64
	v_add_f32_e32 v64, v64, v65
	;; [unrolled: 1-line block ×3, first 2 shown]
	s_waitcnt vmcnt(29)
	v_fmac_f32_e32 v67, v18, v36
	v_fmac_f32_e32 v68, v20, v35
	v_add_f32_e32 v64, v64, v67
	v_fmac_f32_e32 v69, v22, v34
	v_add_f32_e32 v64, v64, v68
	;; [unrolled: 2-line block ×3, first 2 shown]
	s_waitcnt vmcnt(25)
	v_fmac_f32_e32 v71, v149, v40
	v_add_f32_e32 v64, v64, v70
	v_fmac_f32_e32 v72, v151, v39
	v_add_f32_e32 v64, v64, v71
	v_fmac_f32_e32 v73, v153, v38
	v_add_f32_e32 v64, v64, v72
	v_fmac_f32_e32 v74, v155, v37
	v_add_f32_e32 v64, v64, v73
	s_waitcnt vmcnt(21)
	v_fmac_f32_e32 v75, v157, v44
	v_add_f32_e32 v64, v64, v74
	s_waitcnt vmcnt(20) lgkmcnt(1)
	v_mul_f32_e32 v65, v158, v45
	v_add_f32_e32 v64, v64, v75
	v_fmac_f32_e32 v65, v159, v43
	v_add_f32_e32 v64, v64, v65
	buffer_load_dword v65, off, s[0:3], 0 offset:296
	buffer_load_dword v66, off, s[0:3], 0 offset:300
	buffer_load_dword v68, off, s[0:3], 0 offset:304
	buffer_load_dword v69, off, s[0:3], 0 offset:308
	buffer_load_dword v70, off, s[0:3], 0 offset:316
	buffer_load_dword v71, off, s[0:3], 0 offset:320
	buffer_load_dword v72, off, s[0:3], 0 offset:324
	buffer_load_dword v73, off, s[0:3], 0 offset:312
	s_waitcnt vmcnt(27)
	v_mul_f32_e32 v67, v160, v46
	v_fmac_f32_e32 v67, v161, v42
	v_add_f32_e32 v64, v64, v67
	s_waitcnt vmcnt(26) lgkmcnt(0)
	v_mul_f32_e32 v67, v162, v47
	v_fmac_f32_e32 v67, v163, v41
	v_add_f32_e32 v64, v64, v67
	buffer_load_dword v67, off, s[0:3], 0 offset:328
	buffer_load_dword v74, off, s[0:3], 0 offset:332
	ds_read_b128 v[166:169], v1 offset:720
	buffer_load_dword v76, off, s[0:3], 0 offset:336
	buffer_load_dword v77, off, s[0:3], 0 offset:340
	;; [unrolled: 1-line block ×6, first 2 shown]
	ds_read_b128 v[170:173], v1 offset:736
	buffer_load_dword v229, off, s[0:3], 0 offset:360
	buffer_load_dword v230, off, s[0:3], 0 offset:364
	s_waitcnt vmcnt(35)
	v_mul_f32_e32 v75, v164, v48
	s_waitcnt vmcnt(32)
	v_fmac_f32_e32 v75, v165, v49
	v_add_f32_e32 v64, v64, v75
	s_waitcnt vmcnt(31) lgkmcnt(1)
	v_mul_f32_e32 v75, v166, v50
	s_waitcnt vmcnt(26)
	v_fmac_f32_e32 v75, v167, v55
	v_add_f32_e32 v64, v64, v75
	buffer_load_dword v75, off, s[0:3], 0 offset:368
	buffer_load_dword v231, off, s[0:3], 0 offset:372
	;; [unrolled: 1-line block ×14, first 2 shown]
	v_mul_f32_e32 v174, v168, v52
	v_fmac_f32_e32 v174, v169, v51
	v_add_f32_e32 v64, v64, v174
	s_waitcnt lgkmcnt(0)
	v_mul_f32_e32 v174, v170, v54
	v_fmac_f32_e32 v174, v171, v53
	v_add_f32_e32 v64, v64, v174
	ds_read_b128 v[174:177], v1 offset:752
	buffer_load_dword v244, off, s[0:3], 0 offset:424
	buffer_load_dword v245, off, s[0:3], 0 offset:428
	s_waitcnt vmcnt(40)
	v_mul_f32_e32 v178, v172, v57
	v_fmac_f32_e32 v178, v173, v56
	v_add_f32_e32 v64, v64, v178
	ds_read_b128 v[178:181], v1 offset:768
	buffer_load_dword v246, off, s[0:3], 0 offset:432
	buffer_load_dword v247, off, s[0:3], 0 offset:436
	;; [unrolled: 1-line block ×6, first 2 shown]
	v_mul_f32_e32 v10, v12, v10
	v_fma_f32 v10, v11, v32, -v10
	v_mul_f32_e32 v9, v14, v9
	v_add_f32_e32 v10, 0, v10
	v_fma_f32 v9, v13, v31, -v9
	v_mul_f32_e32 v8, v16, v8
	buffer_load_dword v252, off, s[0:3], 0 offset:456
	buffer_load_dword v253, off, s[0:3], 0 offset:460
	;; [unrolled: 1-line block ×6, first 2 shown]
	v_add_f32_e32 v9, v10, v9
	v_fma_f32 v8, v15, v30, -v8
	v_mul_f32_e32 v7, v18, v7
	v_add_f32_e32 v8, v9, v8
	v_fma_f32 v7, v17, v36, -v7
	v_mul_f32_e32 v6, v20, v6
	v_add_f32_e32 v7, v8, v7
	v_fma_f32 v6, v19, v35, -v6
	v_mul_f32_e32 v5, v22, v5
	v_add_f32_e32 v6, v7, v6
	v_fma_f32 v5, v21, v34, -v5
	v_mul_f32_e32 v4, v147, v4
	v_add_f32_e32 v5, v6, v5
	v_fma_f32 v4, v146, v33, -v4
	v_add_f32_e32 v4, v5, v4
	v_mul_f32_e32 v5, v149, v23
	v_fma_f32 v5, v148, v40, -v5
	v_add_f32_e32 v4, v4, v5
	v_mul_f32_e32 v5, v151, v24
	;; [unrolled: 3-line block ×5, first 2 shown]
	v_fma_f32 v5, v156, v44, -v5
	s_waitcnt vmcnt(50) lgkmcnt(1)
	v_mul_f32_e32 v182, v174, v59
	v_add_f32_e32 v4, v4, v5
	v_mul_f32_e32 v5, v159, v45
	v_fmac_f32_e32 v182, v175, v58
	v_fma_f32 v5, v158, v43, -v5
	v_add_f32_e32 v64, v64, v182
	s_waitcnt vmcnt(48)
	v_mul_f32_e32 v182, v176, v61
	v_add_f32_e32 v4, v4, v5
	v_mul_f32_e32 v5, v161, v46
	v_fmac_f32_e32 v182, v177, v60
	v_fma_f32 v5, v160, v42, -v5
	v_add_f32_e32 v64, v64, v182
	s_waitcnt vmcnt(46) lgkmcnt(0)
	v_mul_f32_e32 v182, v178, v63
	v_add_f32_e32 v4, v4, v5
	v_mul_f32_e32 v5, v163, v47
	v_fmac_f32_e32 v182, v179, v62
	v_fma_f32 v5, v162, v41, -v5
	v_add_f32_e32 v64, v64, v182
	ds_read_b128 v[182:185], v1 offset:784
	v_add_f32_e32 v4, v4, v5
	v_mul_f32_e32 v5, v165, v48
	v_fma_f32 v5, v164, v49, -v5
	s_waitcnt vmcnt(44)
	v_mul_f32_e32 v186, v180, v66
	v_add_f32_e32 v4, v4, v5
	v_mul_f32_e32 v5, v167, v50
	v_fmac_f32_e32 v186, v181, v65
	v_fma_f32 v5, v166, v55, -v5
	v_add_f32_e32 v64, v64, v186
	ds_read_b128 v[186:189], v1 offset:800
	v_add_f32_e32 v4, v4, v5
	v_mul_f32_e32 v5, v169, v52
	s_waitcnt vmcnt(42) lgkmcnt(1)
	v_mul_f32_e32 v190, v182, v69
	v_fma_f32 v5, v168, v51, -v5
	v_fmac_f32_e32 v190, v183, v68
	v_add_f32_e32 v4, v4, v5
	v_mul_f32_e32 v5, v171, v54
	v_add_f32_e32 v64, v64, v190
	s_waitcnt vmcnt(41)
	v_mul_f32_e32 v190, v184, v70
	v_fma_f32 v5, v170, v53, -v5
	s_waitcnt vmcnt(38)
	v_fmac_f32_e32 v190, v185, v73
	v_add_f32_e32 v4, v4, v5
	v_mul_f32_e32 v5, v173, v57
	v_add_f32_e32 v64, v64, v190
	s_waitcnt lgkmcnt(0)
	v_mul_f32_e32 v190, v186, v72
	v_fma_f32 v5, v172, v56, -v5
	v_fmac_f32_e32 v190, v187, v71
	v_add_f32_e32 v4, v4, v5
	v_mul_f32_e32 v5, v175, v59
	v_add_f32_e32 v64, v64, v190
	ds_read_b128 v[190:193], v1 offset:816
	v_fma_f32 v5, v174, v58, -v5
	v_add_f32_e32 v4, v4, v5
	v_mul_f32_e32 v5, v177, v61
	s_waitcnt vmcnt(36)
	v_mul_f32_e32 v194, v188, v74
	v_fma_f32 v5, v176, v60, -v5
	v_fmac_f32_e32 v194, v189, v67
	v_add_f32_e32 v4, v4, v5
	v_mul_f32_e32 v5, v179, v63
	v_add_f32_e32 v64, v64, v194
	ds_read_b128 v[194:197], v1 offset:832
	v_fma_f32 v5, v178, v62, -v5
	s_waitcnt vmcnt(34) lgkmcnt(1)
	v_mul_f32_e32 v198, v190, v77
	v_add_f32_e32 v4, v4, v5
	v_mul_f32_e32 v5, v181, v66
	v_fmac_f32_e32 v198, v191, v76
	v_fma_f32 v5, v180, v65, -v5
	v_add_f32_e32 v64, v64, v198
	s_waitcnt vmcnt(33)
	v_mul_f32_e32 v198, v192, v78
	v_add_f32_e32 v4, v4, v5
	v_mul_f32_e32 v5, v183, v69
	s_waitcnt vmcnt(30)
	v_fmac_f32_e32 v198, v193, v228
	v_fma_f32 v5, v182, v68, -v5
	v_add_f32_e32 v64, v64, v198
	s_waitcnt lgkmcnt(0)
	v_mul_f32_e32 v198, v194, v227
	v_add_f32_e32 v4, v4, v5
	v_mul_f32_e32 v5, v185, v70
	v_fmac_f32_e32 v198, v195, v226
	v_fma_f32 v5, v184, v73, -v5
	v_add_f32_e32 v64, v64, v198
	ds_read_b128 v[198:201], v1 offset:848
	v_add_f32_e32 v4, v4, v5
	v_mul_f32_e32 v5, v187, v72
	v_fma_f32 v5, v186, v71, -v5
	s_waitcnt vmcnt(28)
	v_mul_f32_e32 v202, v196, v230
	v_add_f32_e32 v4, v4, v5
	v_mul_f32_e32 v5, v189, v74
	v_fmac_f32_e32 v202, v197, v229
	v_fma_f32 v5, v188, v67, -v5
	v_add_f32_e32 v64, v64, v202
	ds_read_b128 v[202:205], v1 offset:864
	v_add_f32_e32 v4, v4, v5
	v_mul_f32_e32 v5, v191, v77
	s_waitcnt vmcnt(26) lgkmcnt(1)
	v_mul_f32_e32 v206, v198, v231
	v_fma_f32 v5, v190, v76, -v5
	v_fmac_f32_e32 v206, v199, v75
	v_add_f32_e32 v4, v4, v5
	v_mul_f32_e32 v5, v193, v78
	v_add_f32_e32 v64, v64, v206
	s_waitcnt vmcnt(25)
	v_mul_f32_e32 v206, v200, v232
	v_fma_f32 v5, v192, v228, -v5
	s_waitcnt vmcnt(22)
	v_fmac_f32_e32 v206, v201, v235
	v_add_f32_e32 v4, v4, v5
	v_mul_f32_e32 v5, v195, v227
	v_add_f32_e32 v64, v64, v206
	s_waitcnt lgkmcnt(0)
	v_mul_f32_e32 v206, v202, v234
	v_fma_f32 v5, v194, v226, -v5
	v_fmac_f32_e32 v206, v203, v233
	v_add_f32_e32 v4, v4, v5
	v_mul_f32_e32 v5, v197, v230
	v_add_f32_e32 v64, v64, v206
	ds_read_b128 v[206:209], v1 offset:880
	v_fma_f32 v5, v196, v229, -v5
	v_add_f32_e32 v4, v4, v5
	v_mul_f32_e32 v5, v199, v231
	s_waitcnt vmcnt(20)
	v_mul_f32_e32 v210, v204, v237
	v_fma_f32 v5, v198, v75, -v5
	v_fmac_f32_e32 v210, v205, v236
	v_add_f32_e32 v4, v4, v5
	v_mul_f32_e32 v5, v201, v232
	v_add_f32_e32 v64, v64, v210
	ds_read_b128 v[210:213], v1 offset:896
	v_fma_f32 v5, v200, v235, -v5
	s_waitcnt vmcnt(18) lgkmcnt(1)
	v_mul_f32_e32 v214, v206, v239
	v_add_f32_e32 v4, v4, v5
	v_mul_f32_e32 v5, v203, v234
	v_fmac_f32_e32 v214, v207, v238
	v_fma_f32 v5, v202, v233, -v5
	v_add_f32_e32 v64, v64, v214
	s_waitcnt vmcnt(17)
	v_mul_f32_e32 v214, v208, v240
	v_add_f32_e32 v4, v4, v5
	v_mul_f32_e32 v5, v205, v237
	s_waitcnt vmcnt(14)
	v_fmac_f32_e32 v214, v209, v243
	v_fma_f32 v5, v204, v236, -v5
	v_add_f32_e32 v64, v64, v214
	s_waitcnt lgkmcnt(0)
	v_mul_f32_e32 v214, v210, v242
	v_add_f32_e32 v4, v4, v5
	v_mul_f32_e32 v5, v207, v239
	v_fmac_f32_e32 v214, v211, v241
	v_fma_f32 v5, v206, v238, -v5
	v_add_f32_e32 v64, v64, v214
	ds_read_b128 v[214:217], v1 offset:912
	v_add_f32_e32 v4, v4, v5
	v_mul_f32_e32 v5, v209, v240
	v_fma_f32 v5, v208, v243, -v5
	v_add_f32_e32 v4, v4, v5
	v_mul_f32_e32 v5, v211, v242
	s_waitcnt vmcnt(12)
	v_mul_f32_e32 v218, v212, v245
	v_fma_f32 v5, v210, v241, -v5
	v_fmac_f32_e32 v218, v213, v244
	v_add_f32_e32 v4, v4, v5
	v_mul_f32_e32 v5, v213, v245
	v_add_f32_e32 v64, v64, v218
	ds_read_b128 v[218:221], v1 offset:928
	s_waitcnt vmcnt(10) lgkmcnt(1)
	v_mul_f32_e32 v222, v214, v247
	v_fma_f32 v5, v212, v244, -v5
	v_fmac_f32_e32 v222, v215, v246
	v_add_f32_e32 v4, v4, v5
	v_mul_f32_e32 v5, v215, v247
	v_add_f32_e32 v64, v64, v222
	s_waitcnt vmcnt(9)
	v_mul_f32_e32 v222, v216, v248
	v_fma_f32 v5, v214, v246, -v5
	s_waitcnt vmcnt(6)
	v_fmac_f32_e32 v222, v217, v251
	v_add_f32_e32 v4, v4, v5
	v_mul_f32_e32 v5, v217, v248
	v_add_f32_e32 v64, v64, v222
	ds_read_b128 v[222:225], v1 offset:944
	v_fma_f32 v5, v216, v251, -v5
	v_add_f32_e32 v4, v4, v5
	s_waitcnt lgkmcnt(1)
	v_mul_f32_e32 v5, v219, v250
	v_mul_f32_e32 v81, v218, v250
	v_fma_f32 v5, v218, v249, -v5
	v_fmac_f32_e32 v81, v219, v249
	v_add_f32_e32 v4, v4, v5
	s_waitcnt vmcnt(4)
	v_mul_f32_e32 v5, v221, v253
	v_add_f32_e32 v1, v64, v81
	v_mul_f32_e32 v64, v220, v253
	v_fma_f32 v5, v220, v252, -v5
	v_fmac_f32_e32 v64, v221, v252
	v_add_f32_e32 v4, v4, v5
	s_waitcnt vmcnt(3) lgkmcnt(0)
	v_mul_f32_e32 v5, v223, v254
	v_add_f32_e32 v1, v1, v64
	v_mul_f32_e32 v64, v222, v254
	s_waitcnt vmcnt(0)
	v_fma_f32 v5, v222, v80, -v5
	v_fmac_f32_e32 v64, v223, v80
	v_add_f32_e32 v4, v4, v5
	v_mul_f32_e32 v5, v225, v79
	v_add_f32_e32 v1, v1, v64
	v_mul_f32_e32 v64, v224, v79
	v_fma_f32 v5, v224, v255, -v5
	v_fmac_f32_e32 v64, v225, v255
	v_add_f32_e32 v4, v4, v5
	v_add_f32_e32 v1, v1, v64
	v_sub_f32_e32 v2, v2, v4
	v_sub_f32_e32 v1, v3, v1
	buffer_store_dword v2, off, s[0:3], 0 offset:104
	buffer_store_dword v1, off, s[0:3], 0 offset:108
	s_and_saveexec_b64 s[4:5], vcc
	s_cbranch_execz .LBB59_349
; %bb.348:
	buffer_load_dword v1, off, s[0:3], 0 offset:96
	buffer_load_dword v2, off, s[0:3], 0 offset:100
	v_mov_b32_e32 v3, 0
	buffer_store_dword v3, off, s[0:3], 0 offset:96
	buffer_store_dword v3, off, s[0:3], 0 offset:100
	s_waitcnt vmcnt(2)
	ds_write_b64 v145, v[1:2]
.LBB59_349:
	s_or_b64 exec, exec, s[4:5]
	s_waitcnt lgkmcnt(0)
	; wave barrier
	buffer_load_dword v8, off, s[0:3], 0 offset:108
	buffer_load_dword v7, off, s[0:3], 0 offset:116
	;; [unrolled: 1-line block ×40, first 2 shown]
	v_mov_b32_e32 v1, 0
	buffer_load_dword v58, off, s[0:3], 0 offset:256
	buffer_load_dword v59, off, s[0:3], 0 offset:260
	;; [unrolled: 1-line block ×8, first 2 shown]
	ds_read2_b64 v[11:14], v1 offset0:73 offset1:74
	ds_read2_b64 v[15:18], v1 offset0:75 offset1:76
	ds_read2_b64 v[19:22], v1 offset0:77 offset1:78
	ds_read2_b64 v[146:149], v1 offset0:79 offset1:80
	ds_read2_b64 v[150:153], v1 offset0:81 offset1:82
	ds_read2_b64 v[154:157], v1 offset0:83 offset1:84
	ds_read2_b64 v[158:161], v1 offset0:85 offset1:86
	ds_read2_b64 v[162:165], v1 offset0:87 offset1:88
	v_cmp_lt_u32_e32 vcc, 11, v0
	s_waitcnt vmcnt(47) lgkmcnt(7)
	v_mul_f32_e32 v23, v11, v8
	s_waitcnt vmcnt(46)
	v_mul_f32_e32 v24, v13, v7
	s_waitcnt vmcnt(45) lgkmcnt(6)
	v_mul_f32_e32 v66, v15, v6
	s_waitcnt vmcnt(44)
	v_mul_f32_e32 v67, v17, v5
	;; [unrolled: 4-line block ×6, first 2 shown]
	s_waitcnt vmcnt(35)
	v_fmac_f32_e32 v66, v16, v32
	s_waitcnt vmcnt(34)
	v_fmac_f32_e32 v24, v14, v33
	;; [unrolled: 2-line block ×3, first 2 shown]
	v_add_f32_e32 v23, 0, v23
	v_add_f32_e32 v23, v23, v24
	;; [unrolled: 1-line block ×3, first 2 shown]
	s_waitcnt vmcnt(29)
	v_fmac_f32_e32 v67, v18, v38
	v_fmac_f32_e32 v68, v20, v37
	v_add_f32_e32 v23, v23, v67
	v_fmac_f32_e32 v69, v22, v36
	v_add_f32_e32 v23, v23, v68
	buffer_load_dword v66, off, s[0:3], 0 offset:288
	buffer_load_dword v67, off, s[0:3], 0 offset:292
	v_fmac_f32_e32 v70, v147, v35
	v_add_f32_e32 v23, v23, v69
	s_waitcnt vmcnt(27)
	v_fmac_f32_e32 v71, v149, v42
	v_add_f32_e32 v23, v23, v70
	v_fmac_f32_e32 v72, v151, v41
	v_add_f32_e32 v23, v23, v71
	;; [unrolled: 2-line block ×3, first 2 shown]
	v_add_f32_e32 v23, v23, v73
	buffer_load_dword v68, off, s[0:3], 0 offset:296
	buffer_load_dword v69, off, s[0:3], 0 offset:300
	;; [unrolled: 1-line block ×6, first 2 shown]
	v_fmac_f32_e32 v74, v155, v39
	s_waitcnt vmcnt(29)
	v_fmac_f32_e32 v75, v157, v46
	v_add_f32_e32 v23, v23, v74
	v_add_f32_e32 v23, v23, v75
	buffer_load_dword v74, off, s[0:3], 0 offset:320
	buffer_load_dword v75, off, s[0:3], 0 offset:324
	ds_read2_b64 v[166:169], v1 offset0:89 offset1:90
	buffer_load_dword v76, off, s[0:3], 0 offset:328
	buffer_load_dword v77, off, s[0:3], 0 offset:332
	;; [unrolled: 1-line block ×6, first 2 shown]
	ds_read2_b64 v[170:173], v1 offset0:91 offset1:92
	buffer_load_dword v82, off, s[0:3], 0 offset:352
	buffer_load_dword v226, off, s[0:3], 0 offset:356
	;; [unrolled: 1-line block ×10, first 2 shown]
	ds_read2_b64 v[174:177], v1 offset0:93 offset1:94
	buffer_load_dword v235, off, s[0:3], 0 offset:392
	buffer_load_dword v236, off, s[0:3], 0 offset:396
	;; [unrolled: 1-line block ×6, first 2 shown]
	ds_read2_b64 v[178:181], v1 offset0:95 offset1:96
	buffer_load_dword v241, off, s[0:3], 0 offset:416
	buffer_load_dword v242, off, s[0:3], 0 offset:420
	;; [unrolled: 1-line block ×10, first 2 shown]
	v_mul_f32_e32 v8, v12, v8
	v_fma_f32 v8, v11, v34, -v8
	v_mul_f32_e32 v7, v14, v7
	v_add_f32_e32 v8, 0, v8
	v_fma_f32 v7, v13, v33, -v7
	v_mul_f32_e32 v6, v16, v6
	v_add_f32_e32 v7, v8, v7
	;; [unrolled: 3-line block ×3, first 2 shown]
	v_fma_f32 v5, v17, v38, -v5
	v_mul_f32_e32 v4, v20, v4
	buffer_load_dword v251, off, s[0:3], 0 offset:456
	buffer_load_dword v252, off, s[0:3], 0 offset:460
	;; [unrolled: 1-line block ×6, first 2 shown]
	v_add_f32_e32 v5, v6, v5
	v_fma_f32 v4, v19, v37, -v4
	v_mul_f32_e32 v3, v22, v3
	v_add_f32_e32 v4, v5, v4
	v_fma_f32 v3, v21, v36, -v3
	v_mul_f32_e32 v2, v147, v2
	v_add_f32_e32 v3, v4, v3
	v_fma_f32 v2, v146, v35, -v2
	v_add_f32_e32 v2, v3, v2
	v_mul_f32_e32 v3, v149, v27
	v_fma_f32 v3, v148, v42, -v3
	v_add_f32_e32 v2, v2, v3
	v_mul_f32_e32 v3, v151, v28
	;; [unrolled: 3-line block ×5, first 2 shown]
	s_waitcnt vmcnt(62) lgkmcnt(5)
	v_mul_f32_e32 v24, v158, v47
	v_fma_f32 v3, v156, v46, -v3
	v_fmac_f32_e32 v24, v159, v45
	v_add_f32_e32 v2, v2, v3
	v_mul_f32_e32 v3, v159, v47
	v_add_f32_e32 v23, v23, v24
	v_mul_f32_e32 v24, v160, v48
	v_fma_f32 v3, v158, v45, -v3
	v_fmac_f32_e32 v24, v161, v44
	v_add_f32_e32 v2, v2, v3
	v_mul_f32_e32 v3, v161, v48
	v_add_f32_e32 v23, v23, v24
	s_waitcnt lgkmcnt(4)
	v_mul_f32_e32 v24, v162, v49
	v_fma_f32 v3, v160, v44, -v3
	v_fmac_f32_e32 v24, v163, v43
	v_add_f32_e32 v2, v2, v3
	v_mul_f32_e32 v3, v163, v49
	v_add_f32_e32 v23, v23, v24
	v_mul_f32_e32 v24, v164, v50
	v_fma_f32 v3, v162, v43, -v3
	s_waitcnt vmcnt(58)
	v_fmac_f32_e32 v24, v165, v57
	v_add_f32_e32 v2, v2, v3
	v_mul_f32_e32 v3, v165, v50
	v_add_f32_e32 v23, v23, v24
	s_waitcnt lgkmcnt(3)
	v_mul_f32_e32 v24, v166, v52
	v_fma_f32 v3, v164, v57, -v3
	v_fmac_f32_e32 v24, v167, v51
	v_add_f32_e32 v2, v2, v3
	v_mul_f32_e32 v3, v167, v52
	v_add_f32_e32 v23, v23, v24
	v_mul_f32_e32 v24, v168, v54
	v_fma_f32 v3, v166, v51, -v3
	v_fmac_f32_e32 v24, v169, v53
	v_add_f32_e32 v2, v2, v3
	v_mul_f32_e32 v3, v169, v54
	v_add_f32_e32 v23, v23, v24
	s_waitcnt lgkmcnt(2)
	v_mul_f32_e32 v24, v170, v56
	v_fma_f32 v3, v168, v53, -v3
	v_fmac_f32_e32 v24, v171, v55
	v_add_f32_e32 v2, v2, v3
	v_mul_f32_e32 v3, v171, v56
	v_add_f32_e32 v23, v23, v24
	s_waitcnt vmcnt(54)
	v_mul_f32_e32 v24, v172, v59
	v_fma_f32 v3, v170, v55, -v3
	v_fmac_f32_e32 v24, v173, v58
	v_add_f32_e32 v2, v2, v3
	v_mul_f32_e32 v3, v173, v59
	v_add_f32_e32 v23, v23, v24
	s_waitcnt vmcnt(52) lgkmcnt(1)
	v_mul_f32_e32 v24, v174, v61
	v_fma_f32 v3, v172, v58, -v3
	v_fmac_f32_e32 v24, v175, v60
	v_add_f32_e32 v2, v2, v3
	v_mul_f32_e32 v3, v175, v61
	v_add_f32_e32 v23, v23, v24
	s_waitcnt vmcnt(50)
	v_mul_f32_e32 v24, v176, v63
	v_fma_f32 v3, v174, v60, -v3
	v_fmac_f32_e32 v24, v177, v62
	ds_read2_b64 v[182:185], v1 offset0:97 offset1:98
	ds_read2_b64 v[186:189], v1 offset0:99 offset1:100
	v_add_f32_e32 v2, v2, v3
	v_mul_f32_e32 v3, v177, v63
	v_add_f32_e32 v23, v23, v24
	s_waitcnt vmcnt(48) lgkmcnt(2)
	v_mul_f32_e32 v24, v178, v65
	v_fma_f32 v3, v176, v62, -v3
	v_fmac_f32_e32 v24, v179, v64
	v_add_f32_e32 v2, v2, v3
	v_mul_f32_e32 v3, v179, v65
	v_add_f32_e32 v23, v23, v24
	s_waitcnt vmcnt(46)
	v_mul_f32_e32 v24, v180, v67
	v_fma_f32 v3, v178, v64, -v3
	v_fmac_f32_e32 v24, v181, v66
	v_add_f32_e32 v2, v2, v3
	v_mul_f32_e32 v3, v181, v67
	v_add_f32_e32 v23, v23, v24
	s_waitcnt vmcnt(44) lgkmcnt(1)
	v_mul_f32_e32 v24, v182, v69
	v_fma_f32 v3, v180, v66, -v3
	v_fmac_f32_e32 v24, v183, v68
	v_add_f32_e32 v2, v2, v3
	v_mul_f32_e32 v3, v183, v69
	v_add_f32_e32 v23, v23, v24
	s_waitcnt vmcnt(43)
	v_mul_f32_e32 v24, v184, v70
	v_fma_f32 v3, v182, v68, -v3
	s_waitcnt vmcnt(40)
	v_fmac_f32_e32 v24, v185, v73
	ds_read2_b64 v[190:193], v1 offset0:101 offset1:102
	ds_read2_b64 v[194:197], v1 offset0:103 offset1:104
	v_add_f32_e32 v2, v2, v3
	v_mul_f32_e32 v3, v185, v70
	v_add_f32_e32 v23, v23, v24
	s_waitcnt lgkmcnt(2)
	v_mul_f32_e32 v24, v186, v72
	v_fma_f32 v3, v184, v73, -v3
	v_fmac_f32_e32 v24, v187, v71
	v_add_f32_e32 v2, v2, v3
	v_mul_f32_e32 v3, v187, v72
	v_add_f32_e32 v23, v23, v24
	s_waitcnt vmcnt(38)
	v_mul_f32_e32 v24, v188, v75
	v_fma_f32 v3, v186, v71, -v3
	v_fmac_f32_e32 v24, v189, v74
	v_add_f32_e32 v2, v2, v3
	v_mul_f32_e32 v3, v189, v75
	v_add_f32_e32 v23, v23, v24
	s_waitcnt vmcnt(36) lgkmcnt(1)
	v_mul_f32_e32 v24, v190, v77
	v_fma_f32 v3, v188, v74, -v3
	v_fmac_f32_e32 v24, v191, v76
	v_add_f32_e32 v2, v2, v3
	v_mul_f32_e32 v3, v191, v77
	v_add_f32_e32 v23, v23, v24
	s_waitcnt vmcnt(35)
	v_mul_f32_e32 v24, v192, v78
	v_fma_f32 v3, v190, v76, -v3
	s_waitcnt vmcnt(32)
	v_fmac_f32_e32 v24, v193, v81
	ds_read2_b64 v[198:201], v1 offset0:105 offset1:106
	ds_read2_b64 v[202:205], v1 offset0:107 offset1:108
	v_add_f32_e32 v2, v2, v3
	v_mul_f32_e32 v3, v193, v78
	v_add_f32_e32 v23, v23, v24
	s_waitcnt lgkmcnt(2)
	;; [unrolled: 31-line block ×4, first 2 shown]
	v_mul_f32_e32 v24, v210, v239
	v_fma_f32 v3, v208, v240, -v3
	v_fmac_f32_e32 v24, v211, v238
	v_add_f32_e32 v2, v2, v3
	v_mul_f32_e32 v3, v211, v239
	v_add_f32_e32 v23, v23, v24
	s_waitcnt vmcnt(14)
	v_mul_f32_e32 v24, v212, v242
	v_fma_f32 v3, v210, v238, -v3
	v_fmac_f32_e32 v24, v213, v241
	v_add_f32_e32 v2, v2, v3
	v_mul_f32_e32 v3, v213, v242
	v_add_f32_e32 v23, v23, v24
	s_waitcnt vmcnt(12) lgkmcnt(1)
	v_mul_f32_e32 v24, v214, v244
	v_fma_f32 v3, v212, v241, -v3
	v_fmac_f32_e32 v24, v215, v243
	v_add_f32_e32 v2, v2, v3
	v_mul_f32_e32 v3, v215, v244
	v_add_f32_e32 v23, v23, v24
	s_waitcnt vmcnt(11)
	v_mul_f32_e32 v24, v216, v245
	v_fma_f32 v3, v214, v243, -v3
	s_waitcnt vmcnt(8)
	v_fmac_f32_e32 v24, v217, v248
	v_add_f32_e32 v2, v2, v3
	v_mul_f32_e32 v3, v217, v245
	v_add_f32_e32 v23, v23, v24
	s_waitcnt lgkmcnt(0)
	v_mul_f32_e32 v24, v218, v247
	ds_read2_b64 v[222:225], v1 offset0:117 offset1:118
	v_fma_f32 v3, v216, v248, -v3
	v_fmac_f32_e32 v24, v219, v246
	v_add_f32_e32 v2, v2, v3
	v_mul_f32_e32 v3, v219, v247
	v_add_f32_e32 v23, v23, v24
	s_waitcnt vmcnt(6)
	v_mul_f32_e32 v24, v220, v250
	v_fma_f32 v3, v218, v246, -v3
	v_fmac_f32_e32 v24, v221, v249
	v_add_f32_e32 v2, v2, v3
	v_mul_f32_e32 v3, v221, v250
	v_add_f32_e32 v84, v23, v24
	ds_read_b64 v[23:24], v1 offset:952
	v_fma_f32 v3, v220, v249, -v3
	v_add_f32_e32 v2, v2, v3
	s_waitcnt vmcnt(4) lgkmcnt(1)
	v_mul_f32_e32 v3, v223, v252
	v_mul_f32_e32 v85, v222, v252
	v_fma_f32 v3, v222, v251, -v3
	v_fmac_f32_e32 v85, v223, v251
	v_add_f32_e32 v2, v2, v3
	s_waitcnt vmcnt(3)
	v_mul_f32_e32 v3, v225, v253
	v_add_f32_e32 v84, v84, v85
	v_mul_f32_e32 v85, v224, v253
	s_waitcnt vmcnt(0)
	v_fma_f32 v3, v224, v83, -v3
	v_fmac_f32_e32 v85, v225, v83
	v_add_f32_e32 v2, v2, v3
	s_waitcnt lgkmcnt(0)
	v_mul_f32_e32 v3, v24, v255
	v_add_f32_e32 v84, v84, v85
	v_mul_f32_e32 v85, v23, v255
	v_fma_f32 v3, v23, v254, -v3
	v_fmac_f32_e32 v85, v24, v254
	v_add_f32_e32 v2, v2, v3
	v_add_f32_e32 v84, v84, v85
	v_sub_f32_e32 v2, v9, v2
	v_sub_f32_e32 v3, v10, v84
	buffer_store_dword v2, off, s[0:3], 0 offset:96
	buffer_store_dword v3, off, s[0:3], 0 offset:100
	s_and_saveexec_b64 s[4:5], vcc
	s_cbranch_execz .LBB59_351
; %bb.350:
	buffer_load_dword v2, off, s[0:3], 0 offset:88
	buffer_load_dword v3, off, s[0:3], 0 offset:92
	s_waitcnt vmcnt(0)
	ds_write_b64 v145, v[2:3]
	buffer_store_dword v1, off, s[0:3], 0 offset:88
	buffer_store_dword v1, off, s[0:3], 0 offset:92
.LBB59_351:
	s_or_b64 exec, exec, s[4:5]
	s_waitcnt lgkmcnt(0)
	; wave barrier
	buffer_load_dword v8, off, s[0:3], 0 offset:100
	buffer_load_dword v7, off, s[0:3], 0 offset:108
	;; [unrolled: 1-line block ×40, first 2 shown]
	ds_read_b128 v[160:163], v1 offset:576
	ds_read_b128 v[164:167], v1 offset:592
	ds_read_b128 v[168:171], v1 offset:608
	ds_read_b128 v[172:175], v1 offset:624
	ds_read_b128 v[176:179], v1 offset:640
	ds_read_b128 v[180:183], v1 offset:656
	ds_read_b128 v[184:187], v1 offset:672
	buffer_load_dword v30, off, s[0:3], 0 offset:248
	buffer_load_dword v31, off, s[0:3], 0 offset:252
	buffer_load_dword v32, off, s[0:3], 0 offset:256
	buffer_load_dword v33, off, s[0:3], 0 offset:260
	buffer_load_dword v34, off, s[0:3], 0 offset:264
	buffer_load_dword v35, off, s[0:3], 0 offset:268
	buffer_load_dword v36, off, s[0:3], 0 offset:272
	buffer_load_dword v37, off, s[0:3], 0 offset:276
	v_cmp_lt_u32_e32 vcc, 10, v0
	s_waitcnt vmcnt(47) lgkmcnt(6)
	v_mul_f32_e32 v38, v160, v8
	s_waitcnt vmcnt(46)
	v_mul_f32_e32 v39, v162, v7
	s_waitcnt vmcnt(45) lgkmcnt(5)
	v_mul_f32_e32 v40, v164, v6
	s_waitcnt vmcnt(44)
	v_mul_f32_e32 v41, v166, v5
	;; [unrolled: 4-line block ×6, first 2 shown]
	s_waitcnt vmcnt(35)
	v_fmac_f32_e32 v40, v165, v21
	s_waitcnt vmcnt(34)
	v_fmac_f32_e32 v39, v163, v24
	;; [unrolled: 2-line block ×3, first 2 shown]
	v_add_f32_e32 v38, 0, v38
	v_add_f32_e32 v38, v38, v39
	;; [unrolled: 1-line block ×3, first 2 shown]
	buffer_load_dword v39, off, s[0:3], 0 offset:280
	buffer_load_dword v40, off, s[0:3], 0 offset:284
	s_waitcnt vmcnt(31)
	v_fmac_f32_e32 v41, v167, v147
	v_fmac_f32_e32 v42, v169, v23
	v_add_f32_e32 v38, v38, v41
	v_fmac_f32_e32 v43, v171, v20
	v_add_f32_e32 v38, v38, v42
	;; [unrolled: 2-line block ×3, first 2 shown]
	s_waitcnt vmcnt(27)
	v_fmac_f32_e32 v45, v175, v22
	v_add_f32_e32 v38, v38, v44
	v_fmac_f32_e32 v46, v177, v19
	v_add_f32_e32 v38, v38, v45
	;; [unrolled: 2-line block ×4, first 2 shown]
	ds_read_b128 v[188:191], v1 offset:688
	s_waitcnt vmcnt(23)
	v_fmac_f32_e32 v49, v183, v155
	v_add_f32_e32 v38, v38, v48
	s_waitcnt vmcnt(22) lgkmcnt(1)
	v_mul_f32_e32 v41, v184, v154
	v_add_f32_e32 v38, v38, v49
	v_fmac_f32_e32 v41, v185, v151
	v_add_f32_e32 v38, v38, v41
	s_waitcnt vmcnt(21)
	v_mul_f32_e32 v41, v186, v152
	v_fmac_f32_e32 v41, v187, v149
	v_add_f32_e32 v38, v38, v41
	s_waitcnt vmcnt(20) lgkmcnt(0)
	v_mul_f32_e32 v41, v188, v150
	v_fmac_f32_e32 v41, v189, v146
	v_add_f32_e32 v38, v38, v41
	buffer_load_dword v41, off, s[0:3], 0 offset:288
	buffer_load_dword v42, off, s[0:3], 0 offset:292
	;; [unrolled: 1-line block ×6, first 2 shown]
	s_waitcnt vmcnt(25)
	v_mul_f32_e32 v47, v190, v153
	s_waitcnt vmcnt(18)
	v_fmac_f32_e32 v47, v191, v29
	ds_read_b128 v[192:195], v1 offset:704
	v_add_f32_e32 v38, v38, v47
	buffer_load_dword v47, off, s[0:3], 0 offset:312
	buffer_load_dword v48, off, s[0:3], 0 offset:316
	ds_read_b128 v[196:199], v1 offset:720
	buffer_load_dword v50, off, s[0:3], 0 offset:320
	buffer_load_dword v51, off, s[0:3], 0 offset:324
	buffer_load_dword v52, off, s[0:3], 0 offset:332
	buffer_load_dword v53, off, s[0:3], 0 offset:336
	buffer_load_dword v54, off, s[0:3], 0 offset:340
	buffer_load_dword v55, off, s[0:3], 0 offset:328
	buffer_load_dword v56, off, s[0:3], 0 offset:344
	buffer_load_dword v57, off, s[0:3], 0 offset:348
	buffer_load_dword v58, off, s[0:3], 0 offset:352
	buffer_load_dword v59, off, s[0:3], 0 offset:356
	buffer_load_dword v60, off, s[0:3], 0 offset:364
	buffer_load_dword v61, off, s[0:3], 0 offset:368
	buffer_load_dword v62, off, s[0:3], 0 offset:372
	buffer_load_dword v63, off, s[0:3], 0 offset:360
	s_waitcnt lgkmcnt(1)
	v_mul_f32_e32 v49, v192, v157
	v_fmac_f32_e32 v49, v193, v156
	v_add_f32_e32 v38, v38, v49
	v_mul_f32_e32 v49, v194, v159
	buffer_load_dword v64, off, s[0:3], 0 offset:376
	buffer_load_dword v65, off, s[0:3], 0 offset:380
	v_fmac_f32_e32 v49, v195, v158
	v_add_f32_e32 v38, v38, v49
	s_waitcnt lgkmcnt(0)
	v_mul_f32_e32 v49, v196, v28
	v_fmac_f32_e32 v49, v197, v27
	v_add_f32_e32 v38, v38, v49
	s_waitcnt vmcnt(32)
	v_mul_f32_e32 v49, v198, v31
	ds_read_b128 v[200:203], v1 offset:736
	v_fmac_f32_e32 v49, v199, v30
	v_add_f32_e32 v38, v38, v49
	buffer_load_dword v49, off, s[0:3], 0 offset:384
	buffer_load_dword v66, off, s[0:3], 0 offset:388
	;; [unrolled: 1-line block ×6, first 2 shown]
	ds_read_b128 v[204:207], v1 offset:752
	s_waitcnt vmcnt(36) lgkmcnt(1)
	v_mul_f32_e32 v71, v200, v33
	v_fmac_f32_e32 v71, v201, v32
	v_add_f32_e32 v38, v38, v71
	buffer_load_dword v71, off, s[0:3], 0 offset:408
	buffer_load_dword v72, off, s[0:3], 0 offset:412
	;; [unrolled: 1-line block ×8, first 2 shown]
	s_waitcnt vmcnt(42)
	v_mul_f32_e32 v73, v202, v35
	v_fmac_f32_e32 v73, v203, v34
	v_add_f32_e32 v38, v38, v73
	s_waitcnt vmcnt(40) lgkmcnt(0)
	v_mul_f32_e32 v73, v204, v37
	v_fmac_f32_e32 v73, v205, v36
	v_add_f32_e32 v38, v38, v73
	buffer_load_dword v73, off, s[0:3], 0 offset:440
	buffer_load_dword v80, off, s[0:3], 0 offset:444
	v_mul_f32_e32 v8, v161, v8
	v_fma_f32 v8, v160, v148, -v8
	v_mul_f32_e32 v7, v163, v7
	v_add_f32_e32 v8, 0, v8
	v_fma_f32 v7, v162, v24, -v7
	v_mul_f32_e32 v6, v165, v6
	v_add_f32_e32 v7, v8, v7
	;; [unrolled: 3-line block ×3, first 2 shown]
	v_fma_f32 v5, v166, v147, -v5
	v_mul_f32_e32 v4, v169, v4
	buffer_load_dword v82, off, s[0:3], 0 offset:448
	buffer_load_dword v83, off, s[0:3], 0 offset:452
	;; [unrolled: 1-line block ×6, first 2 shown]
	v_add_f32_e32 v5, v6, v5
	v_fma_f32 v4, v168, v23, -v4
	v_mul_f32_e32 v3, v171, v3
	s_waitcnt vmcnt(46)
	v_mul_f32_e32 v81, v206, v40
	v_add_f32_e32 v4, v5, v4
	v_fma_f32 v3, v170, v20, -v3
	v_mul_f32_e32 v2, v173, v2
	v_fmac_f32_e32 v81, v207, v39
	v_add_f32_e32 v3, v4, v3
	v_fma_f32 v2, v172, v18, -v2
	ds_read_b128 v[208:211], v1 offset:768
	ds_read_b128 v[212:215], v1 offset:784
	v_add_f32_e32 v38, v38, v81
	buffer_load_dword v81, off, s[0:3], 0 offset:472
	buffer_load_dword v88, off, s[0:3], 0 offset:476
	v_add_f32_e32 v2, v3, v2
	v_mul_f32_e32 v3, v175, v11
	v_fma_f32 v3, v174, v22, -v3
	v_add_f32_e32 v2, v2, v3
	v_mul_f32_e32 v3, v177, v12
	v_fma_f32 v3, v176, v19, -v3
	v_add_f32_e32 v2, v2, v3
	v_mul_f32_e32 v3, v179, v13
	v_fma_f32 v3, v178, v17, -v3
	v_add_f32_e32 v2, v2, v3
	v_mul_f32_e32 v3, v181, v14
	v_fma_f32 v3, v180, v16, -v3
	v_add_f32_e32 v2, v2, v3
	v_mul_f32_e32 v3, v183, v15
	v_fma_f32 v3, v182, v155, -v3
	v_add_f32_e32 v2, v2, v3
	v_mul_f32_e32 v3, v185, v154
	v_fma_f32 v3, v184, v151, -v3
	v_add_f32_e32 v2, v2, v3
	v_mul_f32_e32 v3, v187, v152
	v_fma_f32 v3, v186, v149, -v3
	v_add_f32_e32 v2, v2, v3
	v_mul_f32_e32 v3, v189, v150
	v_fma_f32 v3, v188, v146, -v3
	v_add_f32_e32 v2, v2, v3
	v_mul_f32_e32 v3, v191, v153
	v_fma_f32 v3, v190, v29, -v3
	v_add_f32_e32 v2, v2, v3
	v_mul_f32_e32 v3, v193, v157
	s_waitcnt vmcnt(46) lgkmcnt(1)
	v_mul_f32_e32 v216, v208, v42
	v_fma_f32 v3, v192, v156, -v3
	v_fmac_f32_e32 v216, v209, v41
	v_add_f32_e32 v2, v2, v3
	v_mul_f32_e32 v3, v195, v159
	v_add_f32_e32 v38, v38, v216
	s_waitcnt vmcnt(45)
	v_mul_f32_e32 v216, v210, v43
	v_fma_f32 v3, v194, v158, -v3
	s_waitcnt vmcnt(42)
	v_fmac_f32_e32 v216, v211, v46
	v_add_f32_e32 v2, v2, v3
	v_mul_f32_e32 v3, v197, v28
	v_add_f32_e32 v38, v38, v216
	s_waitcnt lgkmcnt(0)
	v_mul_f32_e32 v216, v212, v45
	v_fma_f32 v3, v196, v27, -v3
	v_fmac_f32_e32 v216, v213, v44
	v_add_f32_e32 v2, v2, v3
	v_mul_f32_e32 v3, v199, v31
	v_add_f32_e32 v38, v38, v216
	ds_read_b128 v[216:219], v1 offset:800
	v_fma_f32 v3, v198, v30, -v3
	v_add_f32_e32 v2, v2, v3
	v_mul_f32_e32 v3, v201, v33
	s_waitcnt vmcnt(40)
	v_mul_f32_e32 v220, v214, v48
	v_fma_f32 v3, v200, v32, -v3
	v_fmac_f32_e32 v220, v215, v47
	v_add_f32_e32 v2, v2, v3
	v_mul_f32_e32 v3, v203, v35
	v_add_f32_e32 v38, v38, v220
	ds_read_b128 v[220:223], v1 offset:816
	v_fma_f32 v3, v202, v34, -v3
	s_waitcnt vmcnt(38) lgkmcnt(1)
	v_mul_f32_e32 v224, v216, v51
	v_add_f32_e32 v2, v2, v3
	v_mul_f32_e32 v3, v205, v37
	v_fmac_f32_e32 v224, v217, v50
	v_fma_f32 v3, v204, v36, -v3
	v_add_f32_e32 v38, v38, v224
	s_waitcnt vmcnt(37)
	v_mul_f32_e32 v224, v218, v52
	v_add_f32_e32 v2, v2, v3
	v_mul_f32_e32 v3, v207, v40
	s_waitcnt vmcnt(34)
	v_fmac_f32_e32 v224, v219, v55
	v_fma_f32 v3, v206, v39, -v3
	v_add_f32_e32 v38, v38, v224
	s_waitcnt lgkmcnt(0)
	v_mul_f32_e32 v224, v220, v54
	v_add_f32_e32 v2, v2, v3
	v_mul_f32_e32 v3, v209, v42
	v_fmac_f32_e32 v224, v221, v53
	v_fma_f32 v3, v208, v41, -v3
	v_add_f32_e32 v38, v38, v224
	ds_read_b128 v[224:227], v1 offset:832
	v_add_f32_e32 v2, v2, v3
	v_mul_f32_e32 v3, v211, v43
	v_fma_f32 v3, v210, v46, -v3
	s_waitcnt vmcnt(32)
	v_mul_f32_e32 v228, v222, v57
	v_add_f32_e32 v2, v2, v3
	v_mul_f32_e32 v3, v213, v45
	v_fmac_f32_e32 v228, v223, v56
	v_fma_f32 v3, v212, v44, -v3
	v_add_f32_e32 v38, v38, v228
	ds_read_b128 v[228:231], v1 offset:848
	v_add_f32_e32 v2, v2, v3
	v_mul_f32_e32 v3, v215, v48
	s_waitcnt vmcnt(30) lgkmcnt(1)
	v_mul_f32_e32 v232, v224, v59
	v_fma_f32 v3, v214, v47, -v3
	v_fmac_f32_e32 v232, v225, v58
	v_add_f32_e32 v2, v2, v3
	v_mul_f32_e32 v3, v217, v51
	v_add_f32_e32 v38, v38, v232
	s_waitcnt vmcnt(29)
	v_mul_f32_e32 v232, v226, v60
	v_fma_f32 v3, v216, v50, -v3
	s_waitcnt vmcnt(26)
	v_fmac_f32_e32 v232, v227, v63
	v_add_f32_e32 v2, v2, v3
	v_mul_f32_e32 v3, v219, v52
	v_add_f32_e32 v38, v38, v232
	s_waitcnt lgkmcnt(0)
	v_mul_f32_e32 v232, v228, v62
	v_fma_f32 v3, v218, v55, -v3
	v_fmac_f32_e32 v232, v229, v61
	v_add_f32_e32 v2, v2, v3
	v_mul_f32_e32 v3, v221, v54
	v_add_f32_e32 v38, v38, v232
	ds_read_b128 v[232:235], v1 offset:864
	v_fma_f32 v3, v220, v53, -v3
	v_add_f32_e32 v2, v2, v3
	v_mul_f32_e32 v3, v223, v57
	s_waitcnt vmcnt(24)
	v_mul_f32_e32 v236, v230, v65
	v_fma_f32 v3, v222, v56, -v3
	v_fmac_f32_e32 v236, v231, v64
	v_add_f32_e32 v2, v2, v3
	v_mul_f32_e32 v3, v225, v59
	v_add_f32_e32 v38, v38, v236
	ds_read_b128 v[236:239], v1 offset:880
	v_fma_f32 v3, v224, v58, -v3
	s_waitcnt vmcnt(22) lgkmcnt(1)
	v_mul_f32_e32 v240, v232, v66
	v_add_f32_e32 v2, v2, v3
	v_mul_f32_e32 v3, v227, v60
	v_fmac_f32_e32 v240, v233, v49
	v_fma_f32 v3, v226, v63, -v3
	v_add_f32_e32 v38, v38, v240
	s_waitcnt vmcnt(21)
	v_mul_f32_e32 v240, v234, v67
	v_add_f32_e32 v2, v2, v3
	v_mul_f32_e32 v3, v229, v62
	s_waitcnt vmcnt(18)
	v_fmac_f32_e32 v240, v235, v70
	v_fma_f32 v3, v228, v61, -v3
	v_add_f32_e32 v38, v38, v240
	s_waitcnt lgkmcnt(0)
	v_mul_f32_e32 v240, v236, v69
	v_add_f32_e32 v2, v2, v3
	v_mul_f32_e32 v3, v231, v65
	v_fmac_f32_e32 v240, v237, v68
	v_fma_f32 v3, v230, v64, -v3
	v_add_f32_e32 v38, v38, v240
	ds_read_b128 v[240:243], v1 offset:896
	v_add_f32_e32 v2, v2, v3
	v_mul_f32_e32 v3, v233, v66
	v_fma_f32 v3, v232, v49, -v3
	s_waitcnt vmcnt(16)
	v_mul_f32_e32 v244, v238, v72
	v_add_f32_e32 v2, v2, v3
	v_mul_f32_e32 v3, v235, v67
	v_fmac_f32_e32 v244, v239, v71
	v_fma_f32 v3, v234, v70, -v3
	v_add_f32_e32 v38, v38, v244
	ds_read_b128 v[244:247], v1 offset:912
	v_add_f32_e32 v2, v2, v3
	v_mul_f32_e32 v3, v237, v69
	s_waitcnt vmcnt(14) lgkmcnt(1)
	v_mul_f32_e32 v248, v240, v75
	v_fma_f32 v3, v236, v68, -v3
	v_fmac_f32_e32 v248, v241, v74
	v_add_f32_e32 v2, v2, v3
	v_mul_f32_e32 v3, v239, v72
	v_add_f32_e32 v38, v38, v248
	s_waitcnt vmcnt(13)
	v_mul_f32_e32 v248, v242, v76
	v_fma_f32 v3, v238, v71, -v3
	s_waitcnt vmcnt(10)
	v_fmac_f32_e32 v248, v243, v79
	v_add_f32_e32 v2, v2, v3
	v_mul_f32_e32 v3, v241, v75
	v_add_f32_e32 v38, v38, v248
	s_waitcnt lgkmcnt(0)
	v_mul_f32_e32 v248, v244, v78
	v_fma_f32 v3, v240, v74, -v3
	v_fmac_f32_e32 v248, v245, v77
	v_add_f32_e32 v2, v2, v3
	v_mul_f32_e32 v3, v243, v76
	v_add_f32_e32 v38, v38, v248
	ds_read_b128 v[248:251], v1 offset:928
	v_fma_f32 v3, v242, v79, -v3
	v_add_f32_e32 v2, v2, v3
	v_mul_f32_e32 v3, v245, v78
	s_waitcnt vmcnt(8)
	v_mul_f32_e32 v252, v246, v80
	v_fma_f32 v3, v244, v77, -v3
	v_fmac_f32_e32 v252, v247, v73
	v_add_f32_e32 v2, v2, v3
	v_mul_f32_e32 v3, v247, v80
	v_add_f32_e32 v38, v38, v252
	ds_read_b128 v[252:255], v1 offset:944
	v_fma_f32 v3, v246, v73, -v3
	v_add_f32_e32 v2, v2, v3
	s_waitcnt vmcnt(6) lgkmcnt(1)
	v_mul_f32_e32 v3, v249, v83
	v_mul_f32_e32 v1, v248, v83
	v_fma_f32 v3, v248, v82, -v3
	v_fmac_f32_e32 v1, v249, v82
	v_add_f32_e32 v2, v2, v3
	s_waitcnt vmcnt(5)
	v_mul_f32_e32 v3, v251, v84
	v_add_f32_e32 v1, v38, v1
	v_mul_f32_e32 v38, v250, v84
	s_waitcnt vmcnt(2)
	v_fma_f32 v3, v250, v87, -v3
	v_fmac_f32_e32 v38, v251, v87
	v_add_f32_e32 v2, v2, v3
	s_waitcnt lgkmcnt(0)
	v_mul_f32_e32 v3, v253, v86
	v_add_f32_e32 v1, v1, v38
	v_mul_f32_e32 v38, v252, v86
	v_fma_f32 v3, v252, v85, -v3
	v_fmac_f32_e32 v38, v253, v85
	v_add_f32_e32 v2, v2, v3
	s_waitcnt vmcnt(0)
	v_mul_f32_e32 v3, v255, v88
	v_add_f32_e32 v1, v1, v38
	v_mul_f32_e32 v38, v254, v88
	v_fma_f32 v3, v254, v81, -v3
	v_fmac_f32_e32 v38, v255, v81
	v_add_f32_e32 v2, v2, v3
	v_add_f32_e32 v1, v1, v38
	v_sub_f32_e32 v2, v9, v2
	v_sub_f32_e32 v1, v10, v1
	buffer_store_dword v2, off, s[0:3], 0 offset:88
	buffer_store_dword v1, off, s[0:3], 0 offset:92
	s_and_saveexec_b64 s[4:5], vcc
	s_cbranch_execz .LBB59_353
; %bb.352:
	buffer_load_dword v1, off, s[0:3], 0 offset:80
	buffer_load_dword v2, off, s[0:3], 0 offset:84
	v_mov_b32_e32 v3, 0
	buffer_store_dword v3, off, s[0:3], 0 offset:80
	buffer_store_dword v3, off, s[0:3], 0 offset:84
	s_waitcnt vmcnt(2)
	ds_write_b64 v145, v[1:2]
.LBB59_353:
	s_or_b64 exec, exec, s[4:5]
	s_waitcnt lgkmcnt(0)
	; wave barrier
	buffer_load_dword v8, off, s[0:3], 0 offset:92
	buffer_load_dword v7, off, s[0:3], 0 offset:100
	;; [unrolled: 1-line block ×40, first 2 shown]
	v_mov_b32_e32 v1, 0
	buffer_load_dword v54, off, s[0:3], 0 offset:240
	buffer_load_dword v55, off, s[0:3], 0 offset:244
	;; [unrolled: 1-line block ×10, first 2 shown]
	ds_read2_b64 v[15:18], v1 offset0:71 offset1:72
	ds_read2_b64 v[19:22], v1 offset0:73 offset1:74
	;; [unrolled: 1-line block ×8, first 2 shown]
	v_cmp_lt_u32_e32 vcc, 9, v0
	s_waitcnt vmcnt(49) lgkmcnt(7)
	v_mul_f32_e32 v23, v15, v8
	s_waitcnt vmcnt(48)
	v_mul_f32_e32 v24, v17, v7
	s_waitcnt vmcnt(47) lgkmcnt(6)
	v_mul_f32_e32 v64, v19, v6
	s_waitcnt vmcnt(46)
	v_mul_f32_e32 v65, v21, v5
	;; [unrolled: 4-line block ×5, first 2 shown]
	s_waitcnt vmcnt(39) lgkmcnt(2)
	v_mul_f32_e32 v72, v158, v14
	s_waitcnt vmcnt(38)
	v_fmac_f32_e32 v64, v20, v27
	s_waitcnt vmcnt(37)
	v_fmac_f32_e32 v24, v18, v28
	;; [unrolled: 2-line block ×3, first 2 shown]
	v_add_f32_e32 v23, 0, v23
	v_add_f32_e32 v23, v23, v24
	;; [unrolled: 1-line block ×3, first 2 shown]
	s_waitcnt vmcnt(32)
	v_fmac_f32_e32 v65, v22, v33
	v_fmac_f32_e32 v66, v147, v32
	v_add_f32_e32 v23, v23, v65
	v_fmac_f32_e32 v67, v149, v31
	v_add_f32_e32 v23, v23, v66
	buffer_load_dword v64, off, s[0:3], 0 offset:280
	buffer_load_dword v65, off, s[0:3], 0 offset:284
	v_fmac_f32_e32 v68, v151, v30
	v_add_f32_e32 v23, v23, v67
	s_waitcnt vmcnt(30)
	v_fmac_f32_e32 v69, v153, v37
	v_add_f32_e32 v23, v23, v68
	v_add_f32_e32 v23, v23, v69
	ds_read2_b64 v[170:173], v1 offset0:87 offset1:88
	buffer_load_dword v66, off, s[0:3], 0 offset:292
	buffer_load_dword v67, off, s[0:3], 0 offset:296
	buffer_load_dword v68, off, s[0:3], 0 offset:300
	buffer_load_dword v69, off, s[0:3], 0 offset:288
	v_fmac_f32_e32 v70, v155, v36
	v_fmac_f32_e32 v71, v157, v35
	v_add_f32_e32 v23, v23, v70
	v_add_f32_e32 v23, v23, v71
	ds_read2_b64 v[174:177], v1 offset0:89 offset1:90
	buffer_load_dword v70, off, s[0:3], 0 offset:304
	buffer_load_dword v71, off, s[0:3], 0 offset:308
	v_fmac_f32_e32 v72, v159, v34
	v_add_f32_e32 v23, v23, v72
	buffer_load_dword v72, off, s[0:3], 0 offset:312
	buffer_load_dword v73, off, s[0:3], 0 offset:316
	;; [unrolled: 1-line block ×14, first 2 shown]
	ds_read2_b64 v[178:181], v1 offset0:91 offset1:92
	buffer_load_dword v86, off, s[0:3], 0 offset:368
	buffer_load_dword v87, off, s[0:3], 0 offset:372
	ds_read2_b64 v[182:185], v1 offset0:93 offset1:94
	buffer_load_dword v88, off, s[0:3], 0 offset:376
	buffer_load_dword v234, off, s[0:3], 0 offset:380
	;; [unrolled: 1-line block ×16, first 2 shown]
	v_mul_f32_e32 v8, v16, v8
	v_fma_f32 v8, v15, v29, -v8
	v_mul_f32_e32 v7, v18, v7
	v_add_f32_e32 v8, 0, v8
	v_fma_f32 v7, v17, v28, -v7
	v_mul_f32_e32 v6, v20, v6
	v_add_f32_e32 v7, v8, v7
	v_fma_f32 v6, v19, v27, -v6
	v_mul_f32_e32 v5, v22, v5
	ds_read2_b64 v[186:189], v1 offset0:95 offset1:96
	buffer_load_dword v249, off, s[0:3], 0 offset:440
	buffer_load_dword v250, off, s[0:3], 0 offset:444
	;; [unrolled: 1-line block ×6, first 2 shown]
	v_add_f32_e32 v6, v7, v6
	v_fma_f32 v5, v21, v33, -v5
	v_mul_f32_e32 v4, v147, v4
	v_add_f32_e32 v5, v6, v5
	v_fma_f32 v4, v146, v32, -v4
	v_mul_f32_e32 v3, v149, v3
	v_add_f32_e32 v4, v5, v4
	v_fma_f32 v3, v148, v31, -v3
	v_mul_f32_e32 v2, v151, v2
	v_add_f32_e32 v3, v4, v3
	v_fma_f32 v2, v150, v30, -v2
	v_add_f32_e32 v2, v3, v2
	v_mul_f32_e32 v3, v153, v11
	ds_read2_b64 v[190:193], v1 offset0:97 offset1:98
	buffer_load_dword v255, off, s[0:3], 0 offset:468
	buffer_load_dword v89, off, s[0:3], 0 offset:472
	;; [unrolled: 1-line block ×4, first 2 shown]
	v_fma_f32 v3, v152, v37, -v3
	v_add_f32_e32 v2, v2, v3
	v_mul_f32_e32 v3, v155, v12
	v_fma_f32 v3, v154, v36, -v3
	v_add_f32_e32 v2, v2, v3
	v_mul_f32_e32 v3, v157, v13
	v_fma_f32 v3, v156, v35, -v3
	v_add_f32_e32 v2, v2, v3
	v_mul_f32_e32 v3, v159, v14
	s_waitcnt vmcnt(62)
	v_mul_f32_e32 v24, v160, v38
	v_fma_f32 v3, v158, v34, -v3
	v_fmac_f32_e32 v24, v161, v42
	v_add_f32_e32 v2, v2, v3
	v_mul_f32_e32 v3, v161, v38
	v_add_f32_e32 v23, v23, v24
	s_waitcnt lgkmcnt(7)
	v_mul_f32_e32 v24, v162, v43
	v_fma_f32 v3, v160, v42, -v3
	v_fmac_f32_e32 v24, v163, v41
	v_add_f32_e32 v2, v2, v3
	v_mul_f32_e32 v3, v163, v43
	v_add_f32_e32 v23, v23, v24
	v_mul_f32_e32 v24, v164, v44
	v_fma_f32 v3, v162, v41, -v3
	v_fmac_f32_e32 v24, v165, v40
	v_add_f32_e32 v2, v2, v3
	v_mul_f32_e32 v3, v165, v44
	v_add_f32_e32 v23, v23, v24
	s_waitcnt lgkmcnt(6)
	v_mul_f32_e32 v24, v166, v45
	v_fma_f32 v3, v164, v40, -v3
	v_fmac_f32_e32 v24, v167, v39
	v_add_f32_e32 v2, v2, v3
	v_mul_f32_e32 v3, v167, v45
	v_add_f32_e32 v23, v23, v24
	;; [unrolled: 13-line block ×4, first 2 shown]
	s_waitcnt vmcnt(58)
	v_mul_f32_e32 v24, v176, v55
	v_fma_f32 v3, v174, v49, -v3
	v_fmac_f32_e32 v24, v177, v54
	v_add_f32_e32 v2, v2, v3
	v_mul_f32_e32 v3, v177, v55
	v_add_f32_e32 v23, v23, v24
	s_waitcnt vmcnt(56) lgkmcnt(3)
	v_mul_f32_e32 v24, v178, v57
	v_fma_f32 v3, v176, v54, -v3
	v_fmac_f32_e32 v24, v179, v56
	v_add_f32_e32 v2, v2, v3
	v_mul_f32_e32 v3, v179, v57
	v_add_f32_e32 v23, v23, v24
	s_waitcnt vmcnt(54)
	v_mul_f32_e32 v24, v180, v59
	v_fma_f32 v3, v178, v56, -v3
	v_fmac_f32_e32 v24, v181, v58
	v_add_f32_e32 v2, v2, v3
	v_mul_f32_e32 v3, v181, v59
	v_add_f32_e32 v23, v23, v24
	s_waitcnt vmcnt(52) lgkmcnt(2)
	v_mul_f32_e32 v24, v182, v61
	v_fma_f32 v3, v180, v58, -v3
	v_fmac_f32_e32 v24, v183, v60
	v_add_f32_e32 v2, v2, v3
	v_mul_f32_e32 v3, v183, v61
	v_add_f32_e32 v23, v23, v24
	;; [unrolled: 14-line block ×3, first 2 shown]
	s_waitcnt vmcnt(47)
	v_mul_f32_e32 v24, v188, v66
	v_fma_f32 v3, v186, v64, -v3
	s_waitcnt vmcnt(44)
	v_fmac_f32_e32 v24, v189, v69
	ds_read2_b64 v[194:197], v1 offset0:99 offset1:100
	ds_read2_b64 v[198:201], v1 offset0:101 offset1:102
	v_add_f32_e32 v2, v2, v3
	v_mul_f32_e32 v3, v189, v66
	v_add_f32_e32 v23, v23, v24
	s_waitcnt lgkmcnt(2)
	v_mul_f32_e32 v24, v190, v68
	v_fma_f32 v3, v188, v69, -v3
	v_fmac_f32_e32 v24, v191, v67
	v_add_f32_e32 v2, v2, v3
	v_mul_f32_e32 v3, v191, v68
	v_add_f32_e32 v23, v23, v24
	s_waitcnt vmcnt(42)
	v_mul_f32_e32 v24, v192, v71
	v_fma_f32 v3, v190, v67, -v3
	v_fmac_f32_e32 v24, v193, v70
	v_add_f32_e32 v2, v2, v3
	v_mul_f32_e32 v3, v193, v71
	v_add_f32_e32 v23, v23, v24
	s_waitcnt vmcnt(40) lgkmcnt(1)
	v_mul_f32_e32 v24, v194, v73
	v_fma_f32 v3, v192, v70, -v3
	v_fmac_f32_e32 v24, v195, v72
	v_add_f32_e32 v2, v2, v3
	v_mul_f32_e32 v3, v195, v73
	v_add_f32_e32 v23, v23, v24
	s_waitcnt vmcnt(39)
	v_mul_f32_e32 v24, v196, v74
	v_fma_f32 v3, v194, v72, -v3
	s_waitcnt vmcnt(36)
	v_fmac_f32_e32 v24, v197, v77
	ds_read2_b64 v[202:205], v1 offset0:103 offset1:104
	ds_read2_b64 v[206:209], v1 offset0:105 offset1:106
	v_add_f32_e32 v2, v2, v3
	v_mul_f32_e32 v3, v197, v74
	v_add_f32_e32 v23, v23, v24
	s_waitcnt lgkmcnt(2)
	v_mul_f32_e32 v24, v198, v76
	v_fma_f32 v3, v196, v77, -v3
	v_fmac_f32_e32 v24, v199, v75
	v_add_f32_e32 v2, v2, v3
	v_mul_f32_e32 v3, v199, v76
	v_add_f32_e32 v23, v23, v24
	s_waitcnt vmcnt(34)
	v_mul_f32_e32 v24, v200, v79
	v_fma_f32 v3, v198, v75, -v3
	v_fmac_f32_e32 v24, v201, v78
	v_add_f32_e32 v2, v2, v3
	v_mul_f32_e32 v3, v201, v79
	v_add_f32_e32 v23, v23, v24
	s_waitcnt vmcnt(32) lgkmcnt(1)
	v_mul_f32_e32 v24, v202, v81
	v_fma_f32 v3, v200, v78, -v3
	v_fmac_f32_e32 v24, v203, v80
	v_add_f32_e32 v2, v2, v3
	v_mul_f32_e32 v3, v203, v81
	v_add_f32_e32 v23, v23, v24
	;; [unrolled: 31-line block ×5, first 2 shown]
	s_waitcnt vmcnt(7)
	v_mul_f32_e32 v24, v228, v251
	v_fma_f32 v3, v226, v249, -v3
	s_waitcnt vmcnt(4)
	v_fmac_f32_e32 v24, v229, v254
	v_add_f32_e32 v2, v2, v3
	v_mul_f32_e32 v3, v229, v251
	v_add_f32_e32 v92, v23, v24
	ds_read_b64 v[23:24], v1 offset:952
	v_fma_f32 v3, v228, v254, -v3
	v_add_f32_e32 v2, v2, v3
	s_waitcnt lgkmcnt(1)
	v_mul_f32_e32 v3, v231, v253
	v_mul_f32_e32 v93, v230, v253
	v_fma_f32 v3, v230, v252, -v3
	v_fmac_f32_e32 v93, v231, v252
	v_add_f32_e32 v2, v2, v3
	s_waitcnt vmcnt(3)
	v_mul_f32_e32 v3, v233, v255
	v_add_f32_e32 v92, v92, v93
	v_mul_f32_e32 v93, v232, v255
	s_waitcnt vmcnt(0)
	v_fma_f32 v3, v232, v91, -v3
	v_fmac_f32_e32 v93, v233, v91
	v_add_f32_e32 v2, v2, v3
	s_waitcnt lgkmcnt(0)
	v_mul_f32_e32 v3, v24, v90
	v_add_f32_e32 v92, v92, v93
	v_mul_f32_e32 v93, v23, v90
	v_fma_f32 v3, v23, v89, -v3
	v_fmac_f32_e32 v93, v24, v89
	v_add_f32_e32 v2, v2, v3
	v_add_f32_e32 v92, v92, v93
	v_sub_f32_e32 v2, v9, v2
	v_sub_f32_e32 v3, v10, v92
	buffer_store_dword v2, off, s[0:3], 0 offset:80
	buffer_store_dword v3, off, s[0:3], 0 offset:84
	s_and_saveexec_b64 s[4:5], vcc
	s_cbranch_execz .LBB59_355
; %bb.354:
	buffer_load_dword v2, off, s[0:3], 0 offset:72
	buffer_load_dword v3, off, s[0:3], 0 offset:76
	s_waitcnt vmcnt(0)
	ds_write_b64 v145, v[2:3]
	buffer_store_dword v1, off, s[0:3], 0 offset:72
	buffer_store_dword v1, off, s[0:3], 0 offset:76
.LBB59_355:
	s_or_b64 exec, exec, s[4:5]
	s_waitcnt lgkmcnt(0)
	; wave barrier
	buffer_load_dword v8, off, s[0:3], 0 offset:84
	buffer_load_dword v7, off, s[0:3], 0 offset:92
	;; [unrolled: 1-line block ×40, first 2 shown]
	ds_read_b128 v[16:19], v1 offset:560
	ds_read_b128 v[20:23], v1 offset:576
	;; [unrolled: 1-line block ×7, first 2 shown]
	buffer_load_dword v52, off, s[0:3], 0 offset:232
	buffer_load_dword v53, off, s[0:3], 0 offset:236
	buffer_load_dword v54, off, s[0:3], 0 offset:240
	buffer_load_dword v55, off, s[0:3], 0 offset:244
	buffer_load_dword v56, off, s[0:3], 0 offset:248
	buffer_load_dword v57, off, s[0:3], 0 offset:252
	buffer_load_dword v58, off, s[0:3], 0 offset:256
	buffer_load_dword v59, off, s[0:3], 0 offset:260
	buffer_load_dword v60, off, s[0:3], 0 offset:264
	buffer_load_dword v61, off, s[0:3], 0 offset:268
	ds_read_b128 v[166:169], v1 offset:672
	v_cmp_lt_u32_e32 vcc, 8, v0
	s_waitcnt vmcnt(49) lgkmcnt(7)
	v_mul_f32_e32 v62, v16, v8
	s_waitcnt vmcnt(48)
	v_mul_f32_e32 v63, v18, v7
	s_waitcnt vmcnt(47) lgkmcnt(6)
	v_mul_f32_e32 v64, v20, v6
	s_waitcnt vmcnt(46)
	v_mul_f32_e32 v65, v22, v5
	;; [unrolled: 4-line block ×6, first 2 shown]
	s_waitcnt vmcnt(37)
	v_fmac_f32_e32 v64, v21, v24
	s_waitcnt vmcnt(36)
	v_fmac_f32_e32 v63, v19, v27
	;; [unrolled: 2-line block ×3, first 2 shown]
	v_add_f32_e32 v62, 0, v62
	v_add_f32_e32 v62, v62, v63
	;; [unrolled: 1-line block ×3, first 2 shown]
	s_waitcnt vmcnt(31)
	v_fmac_f32_e32 v65, v23, v32
	v_fmac_f32_e32 v66, v147, v31
	v_add_f32_e32 v62, v62, v65
	v_fmac_f32_e32 v67, v149, v30
	v_add_f32_e32 v62, v62, v66
	;; [unrolled: 2-line block ×3, first 2 shown]
	s_waitcnt vmcnt(27)
	v_fmac_f32_e32 v69, v153, v36
	v_add_f32_e32 v62, v62, v68
	v_fmac_f32_e32 v70, v155, v35
	v_add_f32_e32 v62, v62, v69
	;; [unrolled: 2-line block ×4, first 2 shown]
	v_add_f32_e32 v62, v62, v72
	s_waitcnt vmcnt(23)
	v_fmac_f32_e32 v73, v161, v40
	s_waitcnt vmcnt(22) lgkmcnt(1)
	v_mul_f32_e32 v63, v162, v41
	v_add_f32_e32 v62, v62, v73
	v_fmac_f32_e32 v63, v163, v39
	buffer_load_dword v64, off, s[0:3], 0 offset:276
	v_add_f32_e32 v62, v62, v63
	s_waitcnt vmcnt(22)
	v_mul_f32_e32 v63, v164, v42
	v_fmac_f32_e32 v63, v165, v38
	buffer_load_dword v65, off, s[0:3], 0 offset:272
	buffer_load_dword v66, off, s[0:3], 0 offset:280
	;; [unrolled: 1-line block ×3, first 2 shown]
	ds_read_b128 v[170:173], v1 offset:688
	v_add_f32_e32 v62, v62, v63
	s_waitcnt vmcnt(24) lgkmcnt(1)
	v_mul_f32_e32 v63, v166, v43
	v_fmac_f32_e32 v63, v167, v37
	v_add_f32_e32 v62, v62, v63
	s_waitcnt vmcnt(23)
	v_mul_f32_e32 v63, v168, v44
	buffer_load_dword v68, off, s[0:3], 0 offset:288
	buffer_load_dword v69, off, s[0:3], 0 offset:292
	s_waitcnt vmcnt(19)
	v_fmac_f32_e32 v63, v169, v50
	v_add_f32_e32 v62, v62, v63
	s_waitcnt vmcnt(18) lgkmcnt(0)
	v_mul_f32_e32 v63, v170, v51
	v_fmac_f32_e32 v63, v171, v49
	ds_read_b128 v[174:177], v1 offset:704
	v_add_f32_e32 v62, v62, v63
	buffer_load_dword v63, off, s[0:3], 0 offset:296
	buffer_load_dword v70, off, s[0:3], 0 offset:300
	;; [unrolled: 1-line block ×8, first 2 shown]
	v_mul_f32_e32 v71, v172, v46
	v_fmac_f32_e32 v71, v173, v45
	v_add_f32_e32 v62, v62, v71
	s_waitcnt lgkmcnt(0)
	v_mul_f32_e32 v71, v174, v48
	v_fmac_f32_e32 v71, v175, v47
	v_add_f32_e32 v62, v62, v71
	buffer_load_dword v71, off, s[0:3], 0 offset:328
	buffer_load_dword v78, off, s[0:3], 0 offset:332
	ds_read_b128 v[178:181], v1 offset:720
	buffer_load_dword v80, off, s[0:3], 0 offset:336
	buffer_load_dword v81, off, s[0:3], 0 offset:340
	;; [unrolled: 1-line block ×6, first 2 shown]
	ds_read_b128 v[182:185], v1 offset:736
	buffer_load_dword v86, off, s[0:3], 0 offset:360
	buffer_load_dword v87, off, s[0:3], 0 offset:364
	s_waitcnt vmcnt(32)
	v_mul_f32_e32 v79, v176, v53
	v_fmac_f32_e32 v79, v177, v52
	v_add_f32_e32 v62, v62, v79
	s_waitcnt vmcnt(30) lgkmcnt(1)
	v_mul_f32_e32 v79, v178, v55
	v_fmac_f32_e32 v79, v179, v54
	v_add_f32_e32 v62, v62, v79
	buffer_load_dword v79, off, s[0:3], 0 offset:368
	buffer_load_dword v88, off, s[0:3], 0 offset:372
	;; [unrolled: 1-line block ×8, first 2 shown]
	s_waitcnt vmcnt(36)
	v_mul_f32_e32 v93, v180, v57
	v_fmac_f32_e32 v93, v181, v56
	v_add_f32_e32 v62, v62, v93
	s_waitcnt vmcnt(34) lgkmcnt(0)
	v_mul_f32_e32 v93, v182, v59
	v_fmac_f32_e32 v93, v183, v58
	v_add_f32_e32 v62, v62, v93
	buffer_load_dword v93, off, s[0:3], 0 offset:400
	buffer_load_dword v239, off, s[0:3], 0 offset:404
	;; [unrolled: 1-line block ×6, first 2 shown]
	ds_read_b128 v[186:189], v1 offset:752
	buffer_load_dword v244, off, s[0:3], 0 offset:424
	buffer_load_dword v245, off, s[0:3], 0 offset:428
	v_mul_f32_e32 v8, v17, v8
	v_fma_f32 v8, v16, v28, -v8
	v_mul_f32_e32 v7, v19, v7
	s_waitcnt vmcnt(40)
	v_mul_f32_e32 v190, v184, v61
	v_add_f32_e32 v8, 0, v8
	v_fma_f32 v7, v18, v27, -v7
	v_mul_f32_e32 v6, v21, v6
	v_fmac_f32_e32 v190, v185, v60
	v_add_f32_e32 v7, v8, v7
	v_fma_f32 v6, v20, v24, -v6
	v_mul_f32_e32 v5, v23, v5
	v_add_f32_e32 v62, v62, v190
	ds_read_b128 v[190:193], v1 offset:768
	buffer_load_dword v246, off, s[0:3], 0 offset:432
	buffer_load_dword v247, off, s[0:3], 0 offset:436
	;; [unrolled: 1-line block ×6, first 2 shown]
	v_add_f32_e32 v6, v7, v6
	v_fma_f32 v5, v22, v32, -v5
	v_mul_f32_e32 v4, v147, v4
	v_add_f32_e32 v5, v6, v5
	v_fma_f32 v4, v146, v31, -v4
	v_mul_f32_e32 v3, v149, v3
	;; [unrolled: 3-line block ×3, first 2 shown]
	v_add_f32_e32 v3, v4, v3
	v_fma_f32 v2, v150, v29, -v2
	v_add_f32_e32 v2, v3, v2
	v_mul_f32_e32 v3, v153, v11
	v_fma_f32 v3, v152, v36, -v3
	v_add_f32_e32 v2, v2, v3
	v_mul_f32_e32 v3, v155, v12
	buffer_load_dword v252, off, s[0:3], 0 offset:456
	buffer_load_dword v253, off, s[0:3], 0 offset:460
	;; [unrolled: 1-line block ×6, first 2 shown]
	v_fma_f32 v3, v154, v35, -v3
	v_add_f32_e32 v2, v2, v3
	v_mul_f32_e32 v3, v157, v13
	v_fma_f32 v3, v156, v34, -v3
	v_add_f32_e32 v2, v2, v3
	v_mul_f32_e32 v3, v159, v14
	;; [unrolled: 3-line block ×7, first 2 shown]
	v_fma_f32 v3, v168, v50, -v3
	s_waitcnt vmcnt(51) lgkmcnt(1)
	v_mul_f32_e32 v194, v186, v64
	v_add_f32_e32 v2, v2, v3
	v_mul_f32_e32 v3, v171, v51
	s_waitcnt vmcnt(50)
	v_fmac_f32_e32 v194, v187, v65
	v_fma_f32 v3, v170, v49, -v3
	v_add_f32_e32 v62, v62, v194
	s_waitcnt vmcnt(48)
	v_mul_f32_e32 v194, v188, v67
	v_add_f32_e32 v2, v2, v3
	v_mul_f32_e32 v3, v173, v46
	v_fmac_f32_e32 v194, v189, v66
	v_fma_f32 v3, v172, v45, -v3
	v_add_f32_e32 v62, v62, v194
	s_waitcnt vmcnt(46) lgkmcnt(0)
	v_mul_f32_e32 v194, v190, v69
	v_add_f32_e32 v2, v2, v3
	v_mul_f32_e32 v3, v175, v48
	v_fmac_f32_e32 v194, v191, v68
	v_fma_f32 v3, v174, v47, -v3
	v_add_f32_e32 v62, v62, v194
	ds_read_b128 v[194:197], v1 offset:784
	v_add_f32_e32 v2, v2, v3
	v_mul_f32_e32 v3, v177, v53
	v_fma_f32 v3, v176, v52, -v3
	s_waitcnt vmcnt(44)
	v_mul_f32_e32 v198, v192, v70
	v_add_f32_e32 v2, v2, v3
	v_mul_f32_e32 v3, v179, v55
	v_fmac_f32_e32 v198, v193, v63
	v_fma_f32 v3, v178, v54, -v3
	v_add_f32_e32 v62, v62, v198
	ds_read_b128 v[198:201], v1 offset:800
	v_add_f32_e32 v2, v2, v3
	v_mul_f32_e32 v3, v181, v57
	s_waitcnt vmcnt(42) lgkmcnt(1)
	v_mul_f32_e32 v202, v194, v73
	v_fma_f32 v3, v180, v56, -v3
	v_fmac_f32_e32 v202, v195, v72
	v_add_f32_e32 v2, v2, v3
	v_mul_f32_e32 v3, v183, v59
	v_add_f32_e32 v62, v62, v202
	s_waitcnt vmcnt(41)
	v_mul_f32_e32 v202, v196, v74
	v_fma_f32 v3, v182, v58, -v3
	s_waitcnt vmcnt(38)
	v_fmac_f32_e32 v202, v197, v77
	v_add_f32_e32 v2, v2, v3
	v_mul_f32_e32 v3, v185, v61
	v_add_f32_e32 v62, v62, v202
	s_waitcnt lgkmcnt(0)
	v_mul_f32_e32 v202, v198, v76
	v_fma_f32 v3, v184, v60, -v3
	v_fmac_f32_e32 v202, v199, v75
	v_add_f32_e32 v2, v2, v3
	v_mul_f32_e32 v3, v187, v64
	v_add_f32_e32 v62, v62, v202
	ds_read_b128 v[202:205], v1 offset:816
	v_fma_f32 v3, v186, v65, -v3
	v_add_f32_e32 v2, v2, v3
	v_mul_f32_e32 v3, v189, v67
	s_waitcnt vmcnt(36)
	v_mul_f32_e32 v206, v200, v78
	v_fma_f32 v3, v188, v66, -v3
	v_fmac_f32_e32 v206, v201, v71
	v_add_f32_e32 v2, v2, v3
	v_mul_f32_e32 v3, v191, v69
	v_add_f32_e32 v62, v62, v206
	ds_read_b128 v[206:209], v1 offset:832
	v_fma_f32 v3, v190, v68, -v3
	s_waitcnt vmcnt(34) lgkmcnt(1)
	v_mul_f32_e32 v210, v202, v81
	v_add_f32_e32 v2, v2, v3
	v_mul_f32_e32 v3, v193, v70
	v_fmac_f32_e32 v210, v203, v80
	v_fma_f32 v3, v192, v63, -v3
	v_add_f32_e32 v62, v62, v210
	s_waitcnt vmcnt(33)
	v_mul_f32_e32 v210, v204, v82
	v_add_f32_e32 v2, v2, v3
	v_mul_f32_e32 v3, v195, v73
	s_waitcnt vmcnt(30)
	v_fmac_f32_e32 v210, v205, v85
	v_fma_f32 v3, v194, v72, -v3
	v_add_f32_e32 v62, v62, v210
	s_waitcnt lgkmcnt(0)
	v_mul_f32_e32 v210, v206, v84
	v_add_f32_e32 v2, v2, v3
	v_mul_f32_e32 v3, v197, v74
	v_fmac_f32_e32 v210, v207, v83
	v_fma_f32 v3, v196, v77, -v3
	v_add_f32_e32 v62, v62, v210
	ds_read_b128 v[210:213], v1 offset:848
	v_add_f32_e32 v2, v2, v3
	v_mul_f32_e32 v3, v199, v76
	v_fma_f32 v3, v198, v75, -v3
	s_waitcnt vmcnt(28)
	v_mul_f32_e32 v214, v208, v87
	v_add_f32_e32 v2, v2, v3
	v_mul_f32_e32 v3, v201, v78
	v_fmac_f32_e32 v214, v209, v86
	v_fma_f32 v3, v200, v71, -v3
	v_add_f32_e32 v62, v62, v214
	ds_read_b128 v[214:217], v1 offset:864
	v_add_f32_e32 v2, v2, v3
	v_mul_f32_e32 v3, v203, v81
	s_waitcnt vmcnt(26) lgkmcnt(1)
	v_mul_f32_e32 v218, v210, v88
	v_fma_f32 v3, v202, v80, -v3
	v_fmac_f32_e32 v218, v211, v79
	v_add_f32_e32 v2, v2, v3
	v_mul_f32_e32 v3, v205, v82
	v_add_f32_e32 v62, v62, v218
	s_waitcnt vmcnt(25)
	v_mul_f32_e32 v218, v212, v89
	v_fma_f32 v3, v204, v85, -v3
	s_waitcnt vmcnt(22)
	v_fmac_f32_e32 v218, v213, v92
	v_add_f32_e32 v2, v2, v3
	v_mul_f32_e32 v3, v207, v84
	v_add_f32_e32 v62, v62, v218
	s_waitcnt lgkmcnt(0)
	v_mul_f32_e32 v218, v214, v91
	v_fma_f32 v3, v206, v83, -v3
	v_fmac_f32_e32 v218, v215, v90
	v_add_f32_e32 v2, v2, v3
	v_mul_f32_e32 v3, v209, v87
	v_add_f32_e32 v62, v62, v218
	ds_read_b128 v[218:221], v1 offset:880
	v_fma_f32 v3, v208, v86, -v3
	v_add_f32_e32 v2, v2, v3
	v_mul_f32_e32 v3, v211, v88
	s_waitcnt vmcnt(20)
	v_mul_f32_e32 v222, v216, v238
	v_fma_f32 v3, v210, v79, -v3
	v_fmac_f32_e32 v222, v217, v94
	v_add_f32_e32 v2, v2, v3
	v_mul_f32_e32 v3, v213, v89
	v_add_f32_e32 v62, v62, v222
	ds_read_b128 v[222:225], v1 offset:896
	v_fma_f32 v3, v212, v92, -v3
	s_waitcnt vmcnt(18) lgkmcnt(1)
	v_mul_f32_e32 v226, v218, v239
	v_add_f32_e32 v2, v2, v3
	v_mul_f32_e32 v3, v215, v91
	v_fmac_f32_e32 v226, v219, v93
	v_fma_f32 v3, v214, v90, -v3
	v_add_f32_e32 v62, v62, v226
	s_waitcnt vmcnt(17)
	v_mul_f32_e32 v226, v220, v240
	v_add_f32_e32 v2, v2, v3
	v_mul_f32_e32 v3, v217, v238
	s_waitcnt vmcnt(14)
	v_fmac_f32_e32 v226, v221, v243
	v_fma_f32 v3, v216, v94, -v3
	v_add_f32_e32 v62, v62, v226
	s_waitcnt lgkmcnt(0)
	v_mul_f32_e32 v226, v222, v242
	v_add_f32_e32 v2, v2, v3
	v_mul_f32_e32 v3, v219, v239
	v_fmac_f32_e32 v226, v223, v241
	v_fma_f32 v3, v218, v93, -v3
	v_add_f32_e32 v62, v62, v226
	ds_read_b128 v[226:229], v1 offset:912
	v_add_f32_e32 v2, v2, v3
	v_mul_f32_e32 v3, v221, v240
	v_fma_f32 v3, v220, v243, -v3
	v_add_f32_e32 v2, v2, v3
	v_mul_f32_e32 v3, v223, v242
	s_waitcnt vmcnt(12)
	v_mul_f32_e32 v230, v224, v245
	v_fma_f32 v3, v222, v241, -v3
	v_fmac_f32_e32 v230, v225, v244
	v_add_f32_e32 v2, v2, v3
	v_mul_f32_e32 v3, v225, v245
	v_add_f32_e32 v62, v62, v230
	ds_read_b128 v[230:233], v1 offset:928
	s_waitcnt vmcnt(10) lgkmcnt(1)
	v_mul_f32_e32 v234, v226, v247
	v_fma_f32 v3, v224, v244, -v3
	v_fmac_f32_e32 v234, v227, v246
	v_add_f32_e32 v2, v2, v3
	v_mul_f32_e32 v3, v227, v247
	v_add_f32_e32 v62, v62, v234
	s_waitcnt vmcnt(9)
	v_mul_f32_e32 v234, v228, v248
	v_fma_f32 v3, v226, v246, -v3
	s_waitcnt vmcnt(6)
	v_fmac_f32_e32 v234, v229, v251
	v_add_f32_e32 v2, v2, v3
	v_mul_f32_e32 v3, v229, v248
	v_add_f32_e32 v62, v62, v234
	ds_read_b128 v[234:237], v1 offset:944
	v_fma_f32 v3, v228, v251, -v3
	v_add_f32_e32 v2, v2, v3
	s_waitcnt lgkmcnt(1)
	v_mul_f32_e32 v3, v231, v250
	v_mul_f32_e32 v97, v230, v250
	v_fma_f32 v3, v230, v249, -v3
	v_fmac_f32_e32 v97, v231, v249
	v_add_f32_e32 v2, v2, v3
	s_waitcnt vmcnt(4)
	v_mul_f32_e32 v3, v233, v253
	v_add_f32_e32 v1, v62, v97
	v_mul_f32_e32 v62, v232, v253
	v_fma_f32 v3, v232, v252, -v3
	v_fmac_f32_e32 v62, v233, v252
	v_add_f32_e32 v2, v2, v3
	s_waitcnt vmcnt(3) lgkmcnt(0)
	v_mul_f32_e32 v3, v235, v254
	v_add_f32_e32 v1, v1, v62
	v_mul_f32_e32 v62, v234, v254
	s_waitcnt vmcnt(0)
	v_fma_f32 v3, v234, v96, -v3
	v_fmac_f32_e32 v62, v235, v96
	v_add_f32_e32 v2, v2, v3
	v_mul_f32_e32 v3, v237, v95
	v_add_f32_e32 v1, v1, v62
	v_mul_f32_e32 v62, v236, v95
	v_fma_f32 v3, v236, v255, -v3
	v_fmac_f32_e32 v62, v237, v255
	v_add_f32_e32 v2, v2, v3
	v_add_f32_e32 v1, v1, v62
	v_sub_f32_e32 v2, v9, v2
	v_sub_f32_e32 v1, v10, v1
	buffer_store_dword v2, off, s[0:3], 0 offset:72
	buffer_store_dword v1, off, s[0:3], 0 offset:76
	s_and_saveexec_b64 s[4:5], vcc
	s_cbranch_execz .LBB59_357
; %bb.356:
	buffer_load_dword v1, off, s[0:3], 0 offset:64
	buffer_load_dword v2, off, s[0:3], 0 offset:68
	v_mov_b32_e32 v3, 0
	buffer_store_dword v3, off, s[0:3], 0 offset:64
	buffer_store_dword v3, off, s[0:3], 0 offset:68
	s_waitcnt vmcnt(2)
	ds_write_b64 v145, v[1:2]
.LBB59_357:
	s_or_b64 exec, exec, s[4:5]
	s_waitcnt lgkmcnt(0)
	; wave barrier
	buffer_load_dword v10, off, s[0:3], 0 offset:76
	buffer_load_dword v9, off, s[0:3], 0 offset:84
	;; [unrolled: 1-line block ×40, first 2 shown]
	v_mov_b32_e32 v1, 0
	buffer_load_dword v54, off, s[0:3], 0 offset:224
	buffer_load_dword v55, off, s[0:3], 0 offset:228
	;; [unrolled: 1-line block ×10, first 2 shown]
	ds_read2_b64 v[17:20], v1 offset0:69 offset1:70
	ds_read2_b64 v[21:24], v1 offset0:71 offset1:72
	ds_read2_b64 v[146:149], v1 offset0:73 offset1:74
	ds_read2_b64 v[150:153], v1 offset0:75 offset1:76
	ds_read2_b64 v[154:157], v1 offset0:77 offset1:78
	ds_read2_b64 v[158:161], v1 offset0:79 offset1:80
	ds_read2_b64 v[162:165], v1 offset0:81 offset1:82
	v_cmp_lt_u32_e32 vcc, 7, v0
	s_waitcnt vmcnt(49) lgkmcnt(6)
	v_mul_f32_e32 v27, v17, v10
	s_waitcnt vmcnt(48)
	v_mul_f32_e32 v28, v19, v9
	s_waitcnt vmcnt(47) lgkmcnt(5)
	v_mul_f32_e32 v64, v21, v6
	s_waitcnt vmcnt(46)
	v_mul_f32_e32 v65, v23, v5
	;; [unrolled: 4-line block ×6, first 2 shown]
	s_waitcnt vmcnt(37)
	v_fmac_f32_e32 v64, v22, v29
	s_waitcnt vmcnt(36)
	v_fmac_f32_e32 v28, v20, v30
	;; [unrolled: 2-line block ×3, first 2 shown]
	v_add_f32_e32 v27, 0, v27
	v_add_f32_e32 v27, v27, v28
	;; [unrolled: 1-line block ×3, first 2 shown]
	s_waitcnt vmcnt(31)
	v_fmac_f32_e32 v65, v24, v35
	v_fmac_f32_e32 v66, v147, v34
	v_add_f32_e32 v27, v27, v65
	buffer_load_dword v64, off, s[0:3], 0 offset:264
	buffer_load_dword v65, off, s[0:3], 0 offset:268
	v_fmac_f32_e32 v67, v149, v33
	v_add_f32_e32 v27, v27, v66
	v_fmac_f32_e32 v68, v151, v32
	v_add_f32_e32 v27, v27, v67
	s_waitcnt vmcnt(29)
	v_fmac_f32_e32 v69, v153, v38
	v_add_f32_e32 v27, v27, v68
	v_fmac_f32_e32 v70, v155, v37
	v_add_f32_e32 v27, v27, v69
	ds_read2_b64 v[166:169], v1 offset0:83 offset1:84
	buffer_load_dword v66, off, s[0:3], 0 offset:276
	buffer_load_dword v67, off, s[0:3], 0 offset:272
	;; [unrolled: 1-line block ×4, first 2 shown]
	v_fmac_f32_e32 v71, v157, v36
	v_add_f32_e32 v27, v27, v70
	v_add_f32_e32 v27, v27, v71
	ds_read2_b64 v[170:173], v1 offset0:85 offset1:86
	ds_read2_b64 v[174:177], v1 offset0:87 offset1:88
	buffer_load_dword v70, off, s[0:3], 0 offset:288
	buffer_load_dword v71, off, s[0:3], 0 offset:292
	v_fmac_f32_e32 v72, v159, v16
	v_add_f32_e32 v27, v27, v72
	s_waitcnt vmcnt(31)
	v_fmac_f32_e32 v73, v161, v42
	v_add_f32_e32 v27, v27, v73
	buffer_load_dword v72, off, s[0:3], 0 offset:296
	buffer_load_dword v73, off, s[0:3], 0 offset:300
	;; [unrolled: 1-line block ×8, first 2 shown]
	ds_read2_b64 v[178:181], v1 offset0:89 offset1:90
	buffer_load_dword v80, off, s[0:3], 0 offset:328
	buffer_load_dword v81, off, s[0:3], 0 offset:332
	;; [unrolled: 1-line block ×6, first 2 shown]
	ds_read2_b64 v[182:185], v1 offset0:91 offset1:92
	buffer_load_dword v86, off, s[0:3], 0 offset:352
	buffer_load_dword v87, off, s[0:3], 0 offset:356
	;; [unrolled: 1-line block ×10, first 2 shown]
	ds_read2_b64 v[186:189], v1 offset0:93 offset1:94
	buffer_load_dword v96, off, s[0:3], 0 offset:392
	buffer_load_dword v97, off, s[0:3], 0 offset:396
	buffer_load_dword v98, off, s[0:3], 0 offset:404
	buffer_load_dword v238, off, s[0:3], 0 offset:408
	buffer_load_dword v239, off, s[0:3], 0 offset:412
	buffer_load_dword v240, off, s[0:3], 0 offset:400
	ds_read2_b64 v[190:193], v1 offset0:95 offset1:96
	buffer_load_dword v241, off, s[0:3], 0 offset:416
	buffer_load_dword v242, off, s[0:3], 0 offset:420
	v_mul_f32_e32 v10, v18, v10
	v_fma_f32 v10, v17, v31, -v10
	v_mul_f32_e32 v9, v20, v9
	v_add_f32_e32 v10, 0, v10
	v_fma_f32 v9, v19, v30, -v9
	v_mul_f32_e32 v6, v22, v6
	v_add_f32_e32 v9, v10, v9
	v_fma_f32 v6, v21, v29, -v6
	v_mul_f32_e32 v5, v24, v5
	buffer_load_dword v243, off, s[0:3], 0 offset:424
	buffer_load_dword v244, off, s[0:3], 0 offset:428
	;; [unrolled: 1-line block ×6, first 2 shown]
	v_add_f32_e32 v6, v9, v6
	v_fma_f32 v5, v23, v35, -v5
	v_mul_f32_e32 v4, v147, v4
	v_add_f32_e32 v5, v6, v5
	v_fma_f32 v4, v146, v34, -v4
	v_mul_f32_e32 v3, v149, v3
	;; [unrolled: 3-line block ×3, first 2 shown]
	buffer_load_dword v249, off, s[0:3], 0 offset:448
	buffer_load_dword v250, off, s[0:3], 0 offset:452
	v_add_f32_e32 v3, v4, v3
	v_fma_f32 v2, v150, v32, -v2
	v_add_f32_e32 v2, v3, v2
	v_mul_f32_e32 v3, v153, v11
	v_fma_f32 v3, v152, v38, -v3
	v_add_f32_e32 v2, v2, v3
	v_mul_f32_e32 v3, v155, v12
	;; [unrolled: 3-line block ×3, first 2 shown]
	buffer_load_dword v251, off, s[0:3], 0 offset:456
	buffer_load_dword v252, off, s[0:3], 0 offset:460
	;; [unrolled: 1-line block ×6, first 2 shown]
	v_fma_f32 v3, v156, v36, -v3
	v_add_f32_e32 v2, v2, v3
	v_mul_f32_e32 v3, v159, v14
	v_fma_f32 v3, v158, v16, -v3
	v_add_f32_e32 v2, v2, v3
	v_mul_f32_e32 v3, v161, v15
	s_waitcnt vmcnt(62) lgkmcnt(7)
	v_mul_f32_e32 v28, v162, v43
	v_fma_f32 v3, v160, v42, -v3
	v_fmac_f32_e32 v28, v163, v41
	v_add_f32_e32 v2, v2, v3
	v_mul_f32_e32 v3, v163, v43
	v_add_f32_e32 v27, v27, v28
	v_mul_f32_e32 v28, v164, v44
	v_fma_f32 v3, v162, v41, -v3
	v_fmac_f32_e32 v28, v165, v40
	v_add_f32_e32 v2, v2, v3
	v_mul_f32_e32 v3, v165, v44
	v_add_f32_e32 v27, v27, v28
	s_waitcnt lgkmcnt(6)
	v_mul_f32_e32 v28, v166, v45
	v_fma_f32 v3, v164, v40, -v3
	v_fmac_f32_e32 v28, v167, v39
	v_add_f32_e32 v2, v2, v3
	v_mul_f32_e32 v3, v167, v45
	v_add_f32_e32 v27, v27, v28
	v_mul_f32_e32 v28, v168, v46
	v_fma_f32 v3, v166, v39, -v3
	v_fmac_f32_e32 v28, v169, v53
	v_add_f32_e32 v2, v2, v3
	v_mul_f32_e32 v3, v169, v46
	v_add_f32_e32 v27, v27, v28
	s_waitcnt lgkmcnt(5)
	;; [unrolled: 13-line block ×3, first 2 shown]
	v_mul_f32_e32 v28, v174, v52
	v_fma_f32 v3, v172, v49, -v3
	v_fmac_f32_e32 v28, v175, v51
	v_add_f32_e32 v2, v2, v3
	v_mul_f32_e32 v3, v175, v52
	v_add_f32_e32 v27, v27, v28
	v_mul_f32_e32 v28, v176, v55
	v_fma_f32 v3, v174, v51, -v3
	v_fmac_f32_e32 v28, v177, v54
	v_add_f32_e32 v2, v2, v3
	v_mul_f32_e32 v3, v177, v55
	v_add_f32_e32 v27, v27, v28
	s_waitcnt vmcnt(60) lgkmcnt(3)
	v_mul_f32_e32 v28, v178, v57
	v_fma_f32 v3, v176, v54, -v3
	v_fmac_f32_e32 v28, v179, v56
	v_add_f32_e32 v2, v2, v3
	v_mul_f32_e32 v3, v179, v57
	v_add_f32_e32 v27, v27, v28
	s_waitcnt vmcnt(58)
	v_mul_f32_e32 v28, v180, v59
	v_fma_f32 v3, v178, v56, -v3
	v_fmac_f32_e32 v28, v181, v58
	v_add_f32_e32 v2, v2, v3
	v_mul_f32_e32 v3, v181, v59
	v_add_f32_e32 v27, v27, v28
	s_waitcnt vmcnt(56) lgkmcnt(2)
	v_mul_f32_e32 v28, v182, v61
	v_fma_f32 v3, v180, v58, -v3
	v_fmac_f32_e32 v28, v183, v60
	v_add_f32_e32 v2, v2, v3
	v_mul_f32_e32 v3, v183, v61
	v_add_f32_e32 v27, v27, v28
	s_waitcnt vmcnt(54)
	;; [unrolled: 14-line block ×3, first 2 shown]
	v_mul_f32_e32 v28, v188, v66
	v_fma_f32 v3, v186, v64, -v3
	s_waitcnt vmcnt(50)
	v_fmac_f32_e32 v28, v189, v67
	ds_read2_b64 v[194:197], v1 offset0:97 offset1:98
	ds_read2_b64 v[198:201], v1 offset0:99 offset1:100
	v_add_f32_e32 v2, v2, v3
	v_mul_f32_e32 v3, v189, v66
	v_add_f32_e32 v27, v27, v28
	s_waitcnt vmcnt(48) lgkmcnt(2)
	v_mul_f32_e32 v28, v190, v69
	v_fma_f32 v3, v188, v67, -v3
	v_fmac_f32_e32 v28, v191, v68
	v_add_f32_e32 v2, v2, v3
	v_mul_f32_e32 v3, v191, v69
	v_add_f32_e32 v27, v27, v28
	s_waitcnt vmcnt(46)
	v_mul_f32_e32 v28, v192, v71
	v_fma_f32 v3, v190, v68, -v3
	v_fmac_f32_e32 v28, v193, v70
	v_add_f32_e32 v2, v2, v3
	v_mul_f32_e32 v3, v193, v71
	v_add_f32_e32 v27, v27, v28
	s_waitcnt vmcnt(44) lgkmcnt(1)
	v_mul_f32_e32 v28, v194, v73
	v_fma_f32 v3, v192, v70, -v3
	v_fmac_f32_e32 v28, v195, v72
	v_add_f32_e32 v2, v2, v3
	v_mul_f32_e32 v3, v195, v73
	v_add_f32_e32 v27, v27, v28
	s_waitcnt vmcnt(43)
	v_mul_f32_e32 v28, v196, v74
	v_fma_f32 v3, v194, v72, -v3
	s_waitcnt vmcnt(40)
	v_fmac_f32_e32 v28, v197, v77
	ds_read2_b64 v[202:205], v1 offset0:101 offset1:102
	ds_read2_b64 v[206:209], v1 offset0:103 offset1:104
	v_add_f32_e32 v2, v2, v3
	v_mul_f32_e32 v3, v197, v74
	v_add_f32_e32 v27, v27, v28
	s_waitcnt lgkmcnt(2)
	v_mul_f32_e32 v28, v198, v76
	v_fma_f32 v3, v196, v77, -v3
	v_fmac_f32_e32 v28, v199, v75
	v_add_f32_e32 v2, v2, v3
	v_mul_f32_e32 v3, v199, v76
	v_add_f32_e32 v27, v27, v28
	s_waitcnt vmcnt(38)
	v_mul_f32_e32 v28, v200, v79
	v_fma_f32 v3, v198, v75, -v3
	v_fmac_f32_e32 v28, v201, v78
	v_add_f32_e32 v2, v2, v3
	v_mul_f32_e32 v3, v201, v79
	v_add_f32_e32 v27, v27, v28
	s_waitcnt vmcnt(36) lgkmcnt(1)
	v_mul_f32_e32 v28, v202, v81
	v_fma_f32 v3, v200, v78, -v3
	v_fmac_f32_e32 v28, v203, v80
	v_add_f32_e32 v2, v2, v3
	v_mul_f32_e32 v3, v203, v81
	v_add_f32_e32 v27, v27, v28
	s_waitcnt vmcnt(35)
	v_mul_f32_e32 v28, v204, v82
	v_fma_f32 v3, v202, v80, -v3
	s_waitcnt vmcnt(32)
	v_fmac_f32_e32 v28, v205, v85
	ds_read2_b64 v[210:213], v1 offset0:105 offset1:106
	ds_read2_b64 v[214:217], v1 offset0:107 offset1:108
	v_add_f32_e32 v2, v2, v3
	v_mul_f32_e32 v3, v205, v82
	v_add_f32_e32 v27, v27, v28
	s_waitcnt lgkmcnt(2)
	;; [unrolled: 31-line block ×4, first 2 shown]
	v_mul_f32_e32 v28, v222, v239
	v_fma_f32 v3, v220, v240, -v3
	v_fmac_f32_e32 v28, v223, v238
	v_add_f32_e32 v2, v2, v3
	v_mul_f32_e32 v3, v223, v239
	v_add_f32_e32 v27, v27, v28
	s_waitcnt vmcnt(14)
	v_mul_f32_e32 v28, v224, v242
	v_fma_f32 v3, v222, v238, -v3
	v_fmac_f32_e32 v28, v225, v241
	v_add_f32_e32 v2, v2, v3
	v_mul_f32_e32 v3, v225, v242
	v_add_f32_e32 v27, v27, v28
	s_waitcnt vmcnt(12) lgkmcnt(1)
	v_mul_f32_e32 v28, v226, v244
	v_fma_f32 v3, v224, v241, -v3
	v_fmac_f32_e32 v28, v227, v243
	v_add_f32_e32 v2, v2, v3
	v_mul_f32_e32 v3, v227, v244
	v_add_f32_e32 v27, v27, v28
	s_waitcnt vmcnt(11)
	v_mul_f32_e32 v28, v228, v245
	v_fma_f32 v3, v226, v243, -v3
	s_waitcnt vmcnt(8)
	v_fmac_f32_e32 v28, v229, v248
	v_add_f32_e32 v2, v2, v3
	v_mul_f32_e32 v3, v229, v245
	v_add_f32_e32 v27, v27, v28
	s_waitcnt lgkmcnt(0)
	v_mul_f32_e32 v28, v230, v247
	ds_read2_b64 v[234:237], v1 offset0:117 offset1:118
	v_fma_f32 v3, v228, v248, -v3
	v_fmac_f32_e32 v28, v231, v246
	v_add_f32_e32 v2, v2, v3
	v_mul_f32_e32 v3, v231, v247
	v_add_f32_e32 v27, v27, v28
	s_waitcnt vmcnt(6)
	v_mul_f32_e32 v28, v232, v250
	v_fma_f32 v3, v230, v246, -v3
	v_fmac_f32_e32 v28, v233, v249
	v_add_f32_e32 v2, v2, v3
	v_mul_f32_e32 v3, v233, v250
	v_add_f32_e32 v100, v27, v28
	ds_read_b64 v[27:28], v1 offset:952
	v_fma_f32 v3, v232, v249, -v3
	v_add_f32_e32 v2, v2, v3
	s_waitcnt vmcnt(4) lgkmcnt(1)
	v_mul_f32_e32 v3, v235, v252
	v_mul_f32_e32 v101, v234, v252
	v_fma_f32 v3, v234, v251, -v3
	v_fmac_f32_e32 v101, v235, v251
	v_add_f32_e32 v2, v2, v3
	s_waitcnt vmcnt(3)
	v_mul_f32_e32 v3, v237, v253
	v_add_f32_e32 v100, v100, v101
	v_mul_f32_e32 v101, v236, v253
	s_waitcnt vmcnt(0)
	v_fma_f32 v3, v236, v99, -v3
	v_fmac_f32_e32 v101, v237, v99
	v_add_f32_e32 v2, v2, v3
	s_waitcnt lgkmcnt(0)
	v_mul_f32_e32 v3, v28, v255
	v_add_f32_e32 v100, v100, v101
	v_mul_f32_e32 v101, v27, v255
	v_fma_f32 v3, v27, v254, -v3
	v_fmac_f32_e32 v101, v28, v254
	v_add_f32_e32 v2, v2, v3
	v_add_f32_e32 v100, v100, v101
	v_sub_f32_e32 v2, v7, v2
	v_sub_f32_e32 v3, v8, v100
	buffer_store_dword v2, off, s[0:3], 0 offset:64
	buffer_store_dword v3, off, s[0:3], 0 offset:68
	s_and_saveexec_b64 s[4:5], vcc
	s_cbranch_execz .LBB59_359
; %bb.358:
	buffer_load_dword v2, off, s[0:3], 0 offset:56
	buffer_load_dword v3, off, s[0:3], 0 offset:60
	s_waitcnt vmcnt(0)
	ds_write_b64 v145, v[2:3]
	buffer_store_dword v1, off, s[0:3], 0 offset:56
	buffer_store_dword v1, off, s[0:3], 0 offset:60
.LBB59_359:
	s_or_b64 exec, exec, s[4:5]
	s_waitcnt lgkmcnt(0)
	; wave barrier
	buffer_load_dword v10, off, s[0:3], 0 offset:68
	buffer_load_dword v7, off, s[0:3], 0 offset:76
	;; [unrolled: 1-line block ×40, first 2 shown]
	ds_read_b128 v[146:149], v1 offset:544
	ds_read_b128 v[150:153], v1 offset:560
	;; [unrolled: 1-line block ×6, first 2 shown]
	buffer_load_dword v44, off, s[0:3], 0 offset:216
	buffer_load_dword v45, off, s[0:3], 0 offset:220
	;; [unrolled: 1-line block ×12, first 2 shown]
	ds_read_b128 v[170:173], v1 offset:640
	ds_read_b128 v[174:177], v1 offset:656
	v_cmp_lt_u32_e32 vcc, 6, v0
	s_waitcnt vmcnt(51) lgkmcnt(7)
	v_mul_f32_e32 v56, v146, v10
	s_waitcnt vmcnt(50)
	v_mul_f32_e32 v57, v148, v7
	s_waitcnt vmcnt(49) lgkmcnt(6)
	v_mul_f32_e32 v58, v150, v6
	s_waitcnt vmcnt(48)
	v_mul_f32_e32 v59, v152, v5
	;; [unrolled: 4-line block ×5, first 2 shown]
	s_waitcnt vmcnt(41) lgkmcnt(2)
	v_mul_f32_e32 v66, v166, v14
	s_waitcnt vmcnt(40)
	v_fmac_f32_e32 v58, v151, v21
	s_waitcnt vmcnt(39)
	v_fmac_f32_e32 v57, v149, v24
	;; [unrolled: 2-line block ×3, first 2 shown]
	v_add_f32_e32 v56, 0, v56
	v_add_f32_e32 v56, v56, v57
	;; [unrolled: 1-line block ×3, first 2 shown]
	s_waitcnt vmcnt(34)
	v_fmac_f32_e32 v59, v153, v28
	v_fmac_f32_e32 v60, v155, v23
	v_add_f32_e32 v56, v56, v59
	buffer_load_dword v58, off, s[0:3], 0 offset:264
	buffer_load_dword v59, off, s[0:3], 0 offset:268
	v_fmac_f32_e32 v61, v157, v20
	v_add_f32_e32 v56, v56, v60
	v_add_f32_e32 v56, v56, v61
	buffer_load_dword v60, off, s[0:3], 0 offset:272
	buffer_load_dword v61, off, s[0:3], 0 offset:276
	v_fmac_f32_e32 v62, v159, v17
	s_waitcnt vmcnt(34)
	v_fmac_f32_e32 v63, v161, v22
	v_add_f32_e32 v56, v56, v62
	v_add_f32_e32 v56, v56, v63
	ds_read_b128 v[178:181], v1 offset:672
	buffer_load_dword v62, off, s[0:3], 0 offset:280
	buffer_load_dword v63, off, s[0:3], 0 offset:284
	v_fmac_f32_e32 v64, v163, v19
	v_fmac_f32_e32 v65, v165, v16
	v_add_f32_e32 v56, v56, v64
	v_fmac_f32_e32 v66, v167, v15
	v_add_f32_e32 v56, v56, v65
	s_waitcnt vmcnt(35)
	v_mul_f32_e32 v57, v168, v18
	v_add_f32_e32 v56, v56, v66
	s_waitcnt vmcnt(31)
	v_fmac_f32_e32 v57, v169, v32
	v_add_f32_e32 v56, v56, v57
	s_waitcnt vmcnt(30) lgkmcnt(2)
	v_mul_f32_e32 v57, v170, v33
	v_fmac_f32_e32 v57, v171, v31
	v_add_f32_e32 v56, v56, v57
	s_waitcnt vmcnt(29)
	v_mul_f32_e32 v57, v172, v34
	v_fmac_f32_e32 v57, v173, v30
	v_add_f32_e32 v56, v56, v57
	s_waitcnt vmcnt(28) lgkmcnt(1)
	v_mul_f32_e32 v57, v174, v35
	v_fmac_f32_e32 v57, v175, v29
	v_add_f32_e32 v56, v56, v57
	s_waitcnt vmcnt(27)
	v_mul_f32_e32 v57, v176, v36
	s_waitcnt vmcnt(21)
	v_fmac_f32_e32 v57, v177, v42
	ds_read_b128 v[182:185], v1 offset:688
	v_add_f32_e32 v56, v56, v57
	s_waitcnt vmcnt(20) lgkmcnt(1)
	v_mul_f32_e32 v57, v178, v43
	v_fmac_f32_e32 v57, v179, v41
	v_add_f32_e32 v56, v56, v57
	v_mul_f32_e32 v57, v180, v38
	v_fmac_f32_e32 v57, v181, v37
	v_add_f32_e32 v56, v56, v57
	s_waitcnt lgkmcnt(0)
	v_mul_f32_e32 v57, v182, v40
	v_fmac_f32_e32 v57, v183, v39
	v_add_f32_e32 v56, v56, v57
	buffer_load_dword v57, off, s[0:3], 0 offset:288
	buffer_load_dword v64, off, s[0:3], 0 offset:292
	;; [unrolled: 1-line block ×6, first 2 shown]
	s_waitcnt vmcnt(22)
	v_mul_f32_e32 v69, v184, v45
	v_fmac_f32_e32 v69, v185, v44
	ds_read_b128 v[186:189], v1 offset:704
	v_add_f32_e32 v56, v56, v69
	buffer_load_dword v69, off, s[0:3], 0 offset:312
	buffer_load_dword v70, off, s[0:3], 0 offset:316
	ds_read_b128 v[190:193], v1 offset:720
	buffer_load_dword v72, off, s[0:3], 0 offset:320
	buffer_load_dword v73, off, s[0:3], 0 offset:324
	;; [unrolled: 1-line block ×14, first 2 shown]
	s_waitcnt vmcnt(36) lgkmcnt(1)
	v_mul_f32_e32 v71, v186, v47
	v_fmac_f32_e32 v71, v187, v46
	v_add_f32_e32 v56, v56, v71
	s_waitcnt vmcnt(34)
	v_mul_f32_e32 v71, v188, v49
	buffer_load_dword v86, off, s[0:3], 0 offset:376
	buffer_load_dword v87, off, s[0:3], 0 offset:380
	v_fmac_f32_e32 v71, v189, v48
	v_add_f32_e32 v56, v56, v71
	s_waitcnt vmcnt(34) lgkmcnt(0)
	v_mul_f32_e32 v71, v190, v51
	v_fmac_f32_e32 v71, v191, v50
	v_add_f32_e32 v56, v56, v71
	s_waitcnt vmcnt(32)
	v_mul_f32_e32 v71, v192, v53
	ds_read_b128 v[194:197], v1 offset:736
	v_fmac_f32_e32 v71, v193, v52
	v_add_f32_e32 v56, v56, v71
	buffer_load_dword v71, off, s[0:3], 0 offset:384
	buffer_load_dword v88, off, s[0:3], 0 offset:388
	buffer_load_dword v89, off, s[0:3], 0 offset:396
	buffer_load_dword v90, off, s[0:3], 0 offset:400
	buffer_load_dword v91, off, s[0:3], 0 offset:404
	buffer_load_dword v92, off, s[0:3], 0 offset:392
	ds_read_b128 v[198:201], v1 offset:752
	s_waitcnt vmcnt(36) lgkmcnt(1)
	v_mul_f32_e32 v93, v194, v55
	v_fmac_f32_e32 v93, v195, v54
	v_add_f32_e32 v56, v56, v93
	buffer_load_dword v93, off, s[0:3], 0 offset:408
	buffer_load_dword v94, off, s[0:3], 0 offset:412
	v_mul_f32_e32 v10, v147, v10
	v_fma_f32 v10, v146, v27, -v10
	v_mul_f32_e32 v7, v149, v7
	buffer_load_dword v96, off, s[0:3], 0 offset:416
	buffer_load_dword v97, off, s[0:3], 0 offset:420
	;; [unrolled: 1-line block ×6, first 2 shown]
	v_add_f32_e32 v10, 0, v10
	v_fma_f32 v7, v148, v24, -v7
	v_mul_f32_e32 v6, v151, v6
	v_add_f32_e32 v7, v10, v7
	s_waitcnt vmcnt(42)
	v_mul_f32_e32 v95, v196, v59
	v_fma_f32 v6, v150, v21, -v6
	v_mul_f32_e32 v5, v153, v5
	v_fmac_f32_e32 v95, v197, v58
	v_add_f32_e32 v6, v7, v6
	v_fma_f32 v5, v152, v28, -v5
	v_mul_f32_e32 v4, v155, v4
	v_add_f32_e32 v56, v56, v95
	s_waitcnt vmcnt(40) lgkmcnt(0)
	v_mul_f32_e32 v95, v198, v61
	v_add_f32_e32 v5, v6, v5
	v_fma_f32 v4, v154, v23, -v4
	v_mul_f32_e32 v3, v157, v3
	v_fmac_f32_e32 v95, v199, v60
	v_add_f32_e32 v4, v5, v4
	v_fma_f32 v3, v156, v20, -v3
	v_mul_f32_e32 v2, v159, v2
	v_add_f32_e32 v56, v56, v95
	buffer_load_dword v95, off, s[0:3], 0 offset:440
	buffer_load_dword v102, off, s[0:3], 0 offset:444
	v_add_f32_e32 v3, v4, v3
	v_fma_f32 v2, v158, v17, -v2
	v_add_f32_e32 v2, v3, v2
	v_mul_f32_e32 v3, v161, v11
	v_fma_f32 v3, v160, v22, -v3
	v_add_f32_e32 v2, v2, v3
	v_mul_f32_e32 v3, v163, v12
	;; [unrolled: 3-line block ×3, first 2 shown]
	buffer_load_dword v250, off, s[0:3], 0 offset:448
	buffer_load_dword v251, off, s[0:3], 0 offset:452
	;; [unrolled: 1-line block ×6, first 2 shown]
	v_fma_f32 v3, v164, v16, -v3
	s_waitcnt vmcnt(46)
	v_mul_f32_e32 v206, v200, v63
	v_add_f32_e32 v2, v2, v3
	v_mul_f32_e32 v3, v167, v14
	v_fmac_f32_e32 v206, v201, v62
	v_fma_f32 v3, v166, v15, -v3
	ds_read_b128 v[202:205], v1 offset:768
	v_add_f32_e32 v56, v56, v206
	ds_read_b128 v[206:209], v1 offset:784
	buffer_load_dword v103, off, s[0:3], 0 offset:472
	buffer_load_dword v104, off, s[0:3], 0 offset:476
	v_add_f32_e32 v2, v2, v3
	v_mul_f32_e32 v3, v169, v18
	v_fma_f32 v3, v168, v32, -v3
	v_add_f32_e32 v2, v2, v3
	v_mul_f32_e32 v3, v171, v33
	v_fma_f32 v3, v170, v31, -v3
	;; [unrolled: 3-line block ×9, first 2 shown]
	v_add_f32_e32 v2, v2, v3
	v_mul_f32_e32 v3, v187, v47
	s_waitcnt vmcnt(46) lgkmcnt(1)
	v_mul_f32_e32 v210, v202, v64
	v_fma_f32 v3, v186, v46, -v3
	v_fmac_f32_e32 v210, v203, v57
	v_add_f32_e32 v2, v2, v3
	v_mul_f32_e32 v3, v189, v49
	v_add_f32_e32 v56, v56, v210
	s_waitcnt vmcnt(45)
	v_mul_f32_e32 v210, v204, v65
	v_fma_f32 v3, v188, v48, -v3
	s_waitcnt vmcnt(42)
	v_fmac_f32_e32 v210, v205, v68
	v_add_f32_e32 v2, v2, v3
	v_mul_f32_e32 v3, v191, v51
	v_add_f32_e32 v56, v56, v210
	s_waitcnt lgkmcnt(0)
	v_mul_f32_e32 v210, v206, v67
	v_fma_f32 v3, v190, v50, -v3
	v_fmac_f32_e32 v210, v207, v66
	v_add_f32_e32 v2, v2, v3
	v_mul_f32_e32 v3, v193, v53
	v_add_f32_e32 v56, v56, v210
	ds_read_b128 v[210:213], v1 offset:800
	v_fma_f32 v3, v192, v52, -v3
	v_add_f32_e32 v2, v2, v3
	v_mul_f32_e32 v3, v195, v55
	s_waitcnt vmcnt(40)
	v_mul_f32_e32 v214, v208, v70
	v_fma_f32 v3, v194, v54, -v3
	v_fmac_f32_e32 v214, v209, v69
	v_add_f32_e32 v2, v2, v3
	v_mul_f32_e32 v3, v197, v59
	v_add_f32_e32 v56, v56, v214
	ds_read_b128 v[214:217], v1 offset:816
	v_fma_f32 v3, v196, v58, -v3
	s_waitcnt vmcnt(38) lgkmcnt(1)
	v_mul_f32_e32 v218, v210, v73
	v_add_f32_e32 v2, v2, v3
	v_mul_f32_e32 v3, v199, v61
	v_fmac_f32_e32 v218, v211, v72
	v_fma_f32 v3, v198, v60, -v3
	v_add_f32_e32 v56, v56, v218
	s_waitcnt vmcnt(37)
	v_mul_f32_e32 v218, v212, v74
	v_add_f32_e32 v2, v2, v3
	v_mul_f32_e32 v3, v201, v63
	s_waitcnt vmcnt(34)
	v_fmac_f32_e32 v218, v213, v77
	v_fma_f32 v3, v200, v62, -v3
	v_add_f32_e32 v56, v56, v218
	s_waitcnt lgkmcnt(0)
	v_mul_f32_e32 v218, v214, v76
	v_add_f32_e32 v2, v2, v3
	v_mul_f32_e32 v3, v203, v64
	v_fmac_f32_e32 v218, v215, v75
	v_fma_f32 v3, v202, v57, -v3
	v_add_f32_e32 v56, v56, v218
	ds_read_b128 v[218:221], v1 offset:832
	v_add_f32_e32 v2, v2, v3
	v_mul_f32_e32 v3, v205, v65
	v_fma_f32 v3, v204, v68, -v3
	s_waitcnt vmcnt(32)
	v_mul_f32_e32 v222, v216, v79
	v_add_f32_e32 v2, v2, v3
	v_mul_f32_e32 v3, v207, v67
	v_fmac_f32_e32 v222, v217, v78
	v_fma_f32 v3, v206, v66, -v3
	v_add_f32_e32 v56, v56, v222
	ds_read_b128 v[222:225], v1 offset:848
	v_add_f32_e32 v2, v2, v3
	v_mul_f32_e32 v3, v209, v70
	s_waitcnt vmcnt(30) lgkmcnt(1)
	v_mul_f32_e32 v226, v218, v81
	v_fma_f32 v3, v208, v69, -v3
	v_fmac_f32_e32 v226, v219, v80
	v_add_f32_e32 v2, v2, v3
	v_mul_f32_e32 v3, v211, v73
	v_add_f32_e32 v56, v56, v226
	s_waitcnt vmcnt(29)
	v_mul_f32_e32 v226, v220, v82
	v_fma_f32 v3, v210, v72, -v3
	s_waitcnt vmcnt(26)
	v_fmac_f32_e32 v226, v221, v85
	v_add_f32_e32 v2, v2, v3
	v_mul_f32_e32 v3, v213, v74
	v_add_f32_e32 v56, v56, v226
	s_waitcnt lgkmcnt(0)
	v_mul_f32_e32 v226, v222, v84
	v_fma_f32 v3, v212, v77, -v3
	v_fmac_f32_e32 v226, v223, v83
	v_add_f32_e32 v2, v2, v3
	v_mul_f32_e32 v3, v215, v76
	v_add_f32_e32 v56, v56, v226
	ds_read_b128 v[226:229], v1 offset:864
	v_fma_f32 v3, v214, v75, -v3
	v_add_f32_e32 v2, v2, v3
	v_mul_f32_e32 v3, v217, v79
	s_waitcnt vmcnt(24)
	v_mul_f32_e32 v230, v224, v87
	v_fma_f32 v3, v216, v78, -v3
	v_fmac_f32_e32 v230, v225, v86
	v_add_f32_e32 v2, v2, v3
	v_mul_f32_e32 v3, v219, v81
	v_add_f32_e32 v56, v56, v230
	ds_read_b128 v[230:233], v1 offset:880
	v_fma_f32 v3, v218, v80, -v3
	s_waitcnt vmcnt(22) lgkmcnt(1)
	v_mul_f32_e32 v234, v226, v88
	v_add_f32_e32 v2, v2, v3
	v_mul_f32_e32 v3, v221, v82
	v_fmac_f32_e32 v234, v227, v71
	v_fma_f32 v3, v220, v85, -v3
	v_add_f32_e32 v56, v56, v234
	s_waitcnt vmcnt(21)
	v_mul_f32_e32 v234, v228, v89
	v_add_f32_e32 v2, v2, v3
	v_mul_f32_e32 v3, v223, v84
	s_waitcnt vmcnt(18)
	v_fmac_f32_e32 v234, v229, v92
	v_fma_f32 v3, v222, v83, -v3
	v_add_f32_e32 v56, v56, v234
	s_waitcnt lgkmcnt(0)
	v_mul_f32_e32 v234, v230, v91
	v_add_f32_e32 v2, v2, v3
	v_mul_f32_e32 v3, v225, v87
	v_fmac_f32_e32 v234, v231, v90
	v_fma_f32 v3, v224, v86, -v3
	v_add_f32_e32 v56, v56, v234
	ds_read_b128 v[234:237], v1 offset:896
	v_add_f32_e32 v2, v2, v3
	v_mul_f32_e32 v3, v227, v88
	v_fma_f32 v3, v226, v71, -v3
	s_waitcnt vmcnt(16)
	v_mul_f32_e32 v238, v232, v94
	v_add_f32_e32 v2, v2, v3
	v_mul_f32_e32 v3, v229, v89
	v_fmac_f32_e32 v238, v233, v93
	v_fma_f32 v3, v228, v92, -v3
	v_add_f32_e32 v56, v56, v238
	ds_read_b128 v[238:241], v1 offset:912
	v_add_f32_e32 v2, v2, v3
	v_mul_f32_e32 v3, v231, v91
	s_waitcnt vmcnt(14) lgkmcnt(1)
	v_mul_f32_e32 v242, v234, v97
	v_fma_f32 v3, v230, v90, -v3
	v_fmac_f32_e32 v242, v235, v96
	v_add_f32_e32 v2, v2, v3
	v_mul_f32_e32 v3, v233, v94
	v_add_f32_e32 v56, v56, v242
	s_waitcnt vmcnt(13)
	v_mul_f32_e32 v242, v236, v98
	v_fma_f32 v3, v232, v93, -v3
	s_waitcnt vmcnt(10)
	v_fmac_f32_e32 v242, v237, v101
	v_add_f32_e32 v2, v2, v3
	v_mul_f32_e32 v3, v235, v97
	v_add_f32_e32 v56, v56, v242
	s_waitcnt lgkmcnt(0)
	v_mul_f32_e32 v242, v238, v100
	v_fma_f32 v3, v234, v96, -v3
	v_fmac_f32_e32 v242, v239, v99
	v_add_f32_e32 v2, v2, v3
	v_mul_f32_e32 v3, v237, v98
	v_add_f32_e32 v56, v56, v242
	ds_read_b128 v[242:245], v1 offset:928
	v_fma_f32 v3, v236, v101, -v3
	v_add_f32_e32 v2, v2, v3
	v_mul_f32_e32 v3, v239, v100
	s_waitcnt vmcnt(8)
	v_mul_f32_e32 v246, v240, v102
	v_fma_f32 v3, v238, v99, -v3
	v_fmac_f32_e32 v246, v241, v95
	v_add_f32_e32 v2, v2, v3
	v_mul_f32_e32 v3, v241, v102
	v_add_f32_e32 v56, v56, v246
	ds_read_b128 v[246:249], v1 offset:944
	v_fma_f32 v3, v240, v95, -v3
	v_add_f32_e32 v2, v2, v3
	s_waitcnt vmcnt(6) lgkmcnt(1)
	v_mul_f32_e32 v3, v243, v251
	v_mul_f32_e32 v1, v242, v251
	v_fma_f32 v3, v242, v250, -v3
	v_fmac_f32_e32 v1, v243, v250
	v_add_f32_e32 v2, v2, v3
	s_waitcnt vmcnt(5)
	v_mul_f32_e32 v3, v245, v252
	v_add_f32_e32 v1, v56, v1
	v_mul_f32_e32 v56, v244, v252
	s_waitcnt vmcnt(2)
	v_fma_f32 v3, v244, v255, -v3
	v_fmac_f32_e32 v56, v245, v255
	v_add_f32_e32 v2, v2, v3
	s_waitcnt lgkmcnt(0)
	v_mul_f32_e32 v3, v247, v254
	v_add_f32_e32 v1, v1, v56
	v_mul_f32_e32 v56, v246, v254
	v_fma_f32 v3, v246, v253, -v3
	v_fmac_f32_e32 v56, v247, v253
	v_add_f32_e32 v2, v2, v3
	s_waitcnt vmcnt(0)
	v_mul_f32_e32 v3, v249, v104
	v_add_f32_e32 v1, v1, v56
	v_mul_f32_e32 v56, v248, v104
	v_fma_f32 v3, v248, v103, -v3
	v_fmac_f32_e32 v56, v249, v103
	v_add_f32_e32 v2, v2, v3
	v_add_f32_e32 v1, v1, v56
	v_sub_f32_e32 v2, v8, v2
	v_sub_f32_e32 v1, v9, v1
	buffer_store_dword v2, off, s[0:3], 0 offset:56
	buffer_store_dword v1, off, s[0:3], 0 offset:60
	s_and_saveexec_b64 s[4:5], vcc
	s_cbranch_execz .LBB59_361
; %bb.360:
	buffer_load_dword v1, off, s[0:3], 0 offset:48
	buffer_load_dword v2, off, s[0:3], 0 offset:52
	v_mov_b32_e32 v3, 0
	buffer_store_dword v3, off, s[0:3], 0 offset:48
	buffer_store_dword v3, off, s[0:3], 0 offset:52
	s_waitcnt vmcnt(2)
	ds_write_b64 v145, v[1:2]
.LBB59_361:
	s_or_b64 exec, exec, s[4:5]
	s_waitcnt lgkmcnt(0)
	; wave barrier
	buffer_load_dword v10, off, s[0:3], 0 offset:60
	buffer_load_dword v9, off, s[0:3], 0 offset:68
	;; [unrolled: 1-line block ×40, first 2 shown]
	v_mov_b32_e32 v1, 0
	buffer_load_dword v41, off, s[0:3], 0 offset:208
	buffer_load_dword v42, off, s[0:3], 0 offset:212
	;; [unrolled: 1-line block ×11, first 2 shown]
	ds_read2_b64 v[159:162], v1 offset0:67 offset1:68
	ds_read2_b64 v[163:166], v1 offset0:69 offset1:70
	;; [unrolled: 1-line block ×8, first 2 shown]
	v_cmp_lt_u32_e32 vcc, 5, v0
	s_waitcnt vmcnt(50) lgkmcnt(7)
	v_mul_f32_e32 v27, v159, v10
	s_waitcnt vmcnt(49)
	v_mul_f32_e32 v28, v161, v9
	s_waitcnt vmcnt(48) lgkmcnt(6)
	v_mul_f32_e32 v29, v163, v8
	s_waitcnt vmcnt(47)
	v_mul_f32_e32 v30, v165, v7
	;; [unrolled: 4-line block ×5, first 2 shown]
	s_waitcnt vmcnt(40) lgkmcnt(2)
	v_mul_f32_e32 v52, v179, v14
	s_waitcnt vmcnt(39)
	v_fmac_f32_e32 v29, v164, v21
	s_waitcnt vmcnt(38)
	v_fmac_f32_e32 v28, v162, v24
	;; [unrolled: 2-line block ×3, first 2 shown]
	v_add_f32_e32 v27, 0, v27
	v_add_f32_e32 v27, v27, v28
	;; [unrolled: 1-line block ×3, first 2 shown]
	s_waitcnt vmcnt(33)
	v_fmac_f32_e32 v30, v166, v146
	v_fmac_f32_e32 v31, v168, v23
	v_add_f32_e32 v27, v27, v30
	v_fmac_f32_e32 v32, v170, v20
	v_add_f32_e32 v27, v27, v31
	;; [unrolled: 2-line block ×3, first 2 shown]
	s_waitcnt vmcnt(29)
	v_fmac_f32_e32 v34, v174, v22
	v_add_f32_e32 v27, v27, v33
	v_fmac_f32_e32 v35, v176, v19
	v_add_f32_e32 v27, v27, v34
	;; [unrolled: 2-line block ×4, first 2 shown]
	v_add_f32_e32 v27, v27, v52
	buffer_load_dword v52, off, s[0:3], 0 offset:248
	buffer_load_dword v53, off, s[0:3], 0 offset:256
	;; [unrolled: 1-line block ×5, first 2 shown]
	ds_read2_b64 v[191:194], v1 offset0:83 offset1:84
	buffer_load_dword v57, off, s[0:3], 0 offset:272
	buffer_load_dword v58, off, s[0:3], 0 offset:276
	ds_read2_b64 v[195:198], v1 offset0:85 offset1:86
	buffer_load_dword v59, off, s[0:3], 0 offset:280
	buffer_load_dword v60, off, s[0:3], 0 offset:284
	;; [unrolled: 3-line block ×3, first 2 shown]
	buffer_load_dword v63, off, s[0:3], 0 offset:300
	buffer_load_dword v64, off, s[0:3], 0 offset:288
	ds_read2_b64 v[203:206], v1 offset0:89 offset1:90
	buffer_load_dword v65, off, s[0:3], 0 offset:304
	buffer_load_dword v66, off, s[0:3], 0 offset:308
	;; [unrolled: 1-line block ×16, first 2 shown]
	ds_read2_b64 v[207:210], v1 offset0:91 offset1:92
	buffer_load_dword v81, off, s[0:3], 0 offset:368
	buffer_load_dword v82, off, s[0:3], 0 offset:372
	ds_read2_b64 v[211:214], v1 offset0:93 offset1:94
	buffer_load_dword v83, off, s[0:3], 0 offset:376
	buffer_load_dword v84, off, s[0:3], 0 offset:380
	;; [unrolled: 1-line block ×8, first 2 shown]
	v_mul_f32_e32 v10, v160, v10
	buffer_load_dword v91, off, s[0:3], 0 offset:408
	buffer_load_dword v92, off, s[0:3], 0 offset:412
	;; [unrolled: 1-line block ×6, first 2 shown]
	v_fma_f32 v10, v159, v147, -v10
	v_mul_f32_e32 v9, v162, v9
	v_add_f32_e32 v10, 0, v10
	v_fma_f32 v9, v161, v24, -v9
	v_mul_f32_e32 v8, v164, v8
	v_add_f32_e32 v9, v10, v9
	;; [unrolled: 3-line block ×5, first 2 shown]
	v_fma_f32 v5, v169, v20, -v5
	v_mul_f32_e32 v4, v172, v4
	buffer_load_dword v97, off, s[0:3], 0 offset:432
	buffer_load_dword v98, off, s[0:3], 0 offset:436
	v_add_f32_e32 v5, v6, v5
	v_fma_f32 v4, v171, v17, -v4
	v_add_f32_e32 v4, v5, v4
	v_mul_f32_e32 v5, v174, v11
	v_fma_f32 v5, v173, v22, -v5
	v_add_f32_e32 v4, v4, v5
	v_mul_f32_e32 v5, v176, v12
	v_fma_f32 v5, v175, v19, -v5
	s_waitcnt vmcnt(62)
	v_mul_f32_e32 v28, v181, v18
	ds_read2_b64 v[215:218], v1 offset0:95 offset1:96
	buffer_load_dword v99, off, s[0:3], 0 offset:440
	buffer_load_dword v100, off, s[0:3], 0 offset:444
	;; [unrolled: 1-line block ×6, first 2 shown]
	v_add_f32_e32 v4, v4, v5
	v_mul_f32_e32 v5, v178, v13
	v_fmac_f32_e32 v28, v182, v154
	v_fma_f32 v5, v177, v16, -v5
	v_add_f32_e32 v27, v27, v28
	s_waitcnt lgkmcnt(8)
	v_mul_f32_e32 v28, v183, v153
	v_add_f32_e32 v4, v4, v5
	v_mul_f32_e32 v5, v180, v14
	v_fmac_f32_e32 v28, v184, v151
	v_fma_f32 v5, v179, v15, -v5
	v_add_f32_e32 v27, v27, v28
	v_mul_f32_e32 v28, v185, v152
	v_add_f32_e32 v4, v4, v5
	v_mul_f32_e32 v5, v182, v18
	v_fmac_f32_e32 v28, v186, v149
	ds_read2_b64 v[219:222], v1 offset0:97 offset1:98
	buffer_load_dword v255, off, s[0:3], 0 offset:468
	buffer_load_dword v105, off, s[0:3], 0 offset:472
	;; [unrolled: 1-line block ×4, first 2 shown]
	v_fma_f32 v5, v181, v154, -v5
	v_add_f32_e32 v27, v27, v28
	s_waitcnt lgkmcnt(8)
	v_mul_f32_e32 v28, v187, v150
	v_add_f32_e32 v4, v4, v5
	v_mul_f32_e32 v5, v184, v153
	v_fmac_f32_e32 v28, v188, v148
	v_fma_f32 v5, v183, v151, -v5
	v_add_f32_e32 v27, v27, v28
	v_mul_f32_e32 v28, v189, v155
	v_add_f32_e32 v4, v4, v5
	v_mul_f32_e32 v5, v186, v152
	s_waitcnt vmcnt(62)
	v_fmac_f32_e32 v28, v190, v40
	v_fma_f32 v5, v185, v149, -v5
	v_add_f32_e32 v27, v27, v28
	s_waitcnt lgkmcnt(7)
	v_mul_f32_e32 v28, v191, v157
	v_add_f32_e32 v4, v4, v5
	v_mul_f32_e32 v5, v188, v150
	v_fmac_f32_e32 v28, v192, v156
	v_fma_f32 v5, v187, v148, -v5
	v_add_f32_e32 v27, v27, v28
	v_mul_f32_e32 v28, v193, v37
	v_add_f32_e32 v4, v4, v5
	v_mul_f32_e32 v5, v190, v155
	v_fmac_f32_e32 v28, v194, v158
	v_fma_f32 v5, v189, v40, -v5
	v_add_f32_e32 v27, v27, v28
	s_waitcnt lgkmcnt(6)
	v_mul_f32_e32 v28, v195, v39
	v_add_f32_e32 v4, v4, v5
	v_mul_f32_e32 v5, v192, v157
	v_fmac_f32_e32 v28, v196, v38
	v_fma_f32 v5, v191, v156, -v5
	v_add_f32_e32 v27, v27, v28
	v_mul_f32_e32 v28, v197, v42
	v_add_f32_e32 v4, v4, v5
	v_mul_f32_e32 v5, v194, v37
	;; [unrolled: 13-line block ×3, first 2 shown]
	v_fmac_f32_e32 v28, v202, v45
	v_fma_f32 v5, v197, v41, -v5
	v_add_f32_e32 v27, v27, v28
	s_waitcnt vmcnt(60) lgkmcnt(4)
	v_mul_f32_e32 v28, v203, v48
	v_add_f32_e32 v4, v4, v5
	v_mul_f32_e32 v5, v200, v44
	v_fmac_f32_e32 v28, v204, v47
	v_fma_f32 v5, v199, v43, -v5
	v_add_f32_e32 v27, v27, v28
	s_waitcnt vmcnt(58)
	v_mul_f32_e32 v28, v205, v50
	v_add_f32_e32 v4, v4, v5
	v_mul_f32_e32 v5, v202, v46
	v_fmac_f32_e32 v28, v206, v49
	v_fma_f32 v5, v201, v45, -v5
	v_add_f32_e32 v27, v27, v28
	s_waitcnt vmcnt(57) lgkmcnt(3)
	v_mul_f32_e32 v28, v207, v51
	v_add_f32_e32 v4, v4, v5
	v_mul_f32_e32 v5, v204, v48
	s_waitcnt vmcnt(56)
	v_fmac_f32_e32 v28, v208, v52
	v_fma_f32 v5, v203, v47, -v5
	v_add_f32_e32 v27, v27, v28
	s_waitcnt vmcnt(54)
	v_mul_f32_e32 v28, v209, v54
	v_add_f32_e32 v4, v4, v5
	v_mul_f32_e32 v5, v206, v50
	v_fmac_f32_e32 v28, v210, v53
	v_fma_f32 v5, v205, v49, -v5
	v_add_f32_e32 v27, v27, v28
	s_waitcnt vmcnt(52) lgkmcnt(2)
	v_mul_f32_e32 v28, v211, v56
	v_add_f32_e32 v4, v4, v5
	v_mul_f32_e32 v5, v208, v51
	v_fmac_f32_e32 v28, v212, v55
	v_fma_f32 v5, v207, v52, -v5
	v_add_f32_e32 v27, v27, v28
	s_waitcnt vmcnt(50)
	v_mul_f32_e32 v28, v213, v58
	v_add_f32_e32 v4, v4, v5
	v_mul_f32_e32 v5, v210, v54
	v_fmac_f32_e32 v28, v214, v57
	v_fma_f32 v5, v209, v53, -v5
	v_add_f32_e32 v27, v27, v28
	s_waitcnt vmcnt(48) lgkmcnt(1)
	v_mul_f32_e32 v28, v215, v60
	v_add_f32_e32 v4, v4, v5
	v_mul_f32_e32 v5, v212, v56
	v_fmac_f32_e32 v28, v216, v59
	v_fma_f32 v5, v211, v55, -v5
	v_add_f32_e32 v27, v27, v28
	s_waitcnt vmcnt(47)
	v_mul_f32_e32 v28, v217, v61
	v_add_f32_e32 v4, v4, v5
	v_mul_f32_e32 v5, v214, v58
	s_waitcnt vmcnt(44)
	v_fmac_f32_e32 v28, v218, v64
	ds_read2_b64 v[223:226], v1 offset0:99 offset1:100
	ds_read2_b64 v[227:230], v1 offset0:101 offset1:102
	v_fma_f32 v5, v213, v57, -v5
	v_add_f32_e32 v27, v27, v28
	s_waitcnt lgkmcnt(2)
	v_mul_f32_e32 v28, v219, v63
	v_add_f32_e32 v4, v4, v5
	v_mul_f32_e32 v5, v216, v60
	v_fmac_f32_e32 v28, v220, v62
	v_fma_f32 v5, v215, v59, -v5
	v_add_f32_e32 v27, v27, v28
	s_waitcnt vmcnt(42)
	v_mul_f32_e32 v28, v221, v66
	v_add_f32_e32 v4, v4, v5
	v_mul_f32_e32 v5, v218, v61
	v_fmac_f32_e32 v28, v222, v65
	v_fma_f32 v5, v217, v64, -v5
	v_add_f32_e32 v27, v27, v28
	s_waitcnt vmcnt(40) lgkmcnt(1)
	v_mul_f32_e32 v28, v223, v68
	v_add_f32_e32 v4, v4, v5
	v_mul_f32_e32 v5, v220, v63
	v_fmac_f32_e32 v28, v224, v67
	v_fma_f32 v5, v219, v62, -v5
	v_add_f32_e32 v27, v27, v28
	s_waitcnt vmcnt(39)
	v_mul_f32_e32 v28, v225, v69
	v_add_f32_e32 v4, v4, v5
	v_mul_f32_e32 v5, v222, v66
	s_waitcnt vmcnt(36)
	v_fmac_f32_e32 v28, v226, v72
	ds_read2_b64 v[231:234], v1 offset0:103 offset1:104
	ds_read2_b64 v[235:238], v1 offset0:105 offset1:106
	v_fma_f32 v5, v221, v65, -v5
	v_add_f32_e32 v27, v27, v28
	s_waitcnt lgkmcnt(2)
	;; [unrolled: 31-line block ×4, first 2 shown]
	v_mul_f32_e32 v28, v243, v87
	v_add_f32_e32 v4, v4, v5
	v_mul_f32_e32 v5, v240, v84
	v_fmac_f32_e32 v28, v244, v86
	v_fma_f32 v5, v239, v83, -v5
	v_add_f32_e32 v27, v27, v28
	s_waitcnt vmcnt(18)
	v_mul_f32_e32 v28, v245, v90
	v_add_f32_e32 v4, v4, v5
	v_mul_f32_e32 v5, v242, v85
	v_fmac_f32_e32 v28, v246, v89
	v_fma_f32 v5, v241, v88, -v5
	v_add_f32_e32 v27, v27, v28
	s_waitcnt vmcnt(16) lgkmcnt(1)
	v_mul_f32_e32 v28, v247, v92
	v_add_f32_e32 v4, v4, v5
	v_mul_f32_e32 v5, v244, v87
	v_fmac_f32_e32 v28, v248, v91
	v_fma_f32 v5, v243, v86, -v5
	v_add_f32_e32 v27, v27, v28
	s_waitcnt vmcnt(15)
	v_mul_f32_e32 v28, v249, v93
	v_add_f32_e32 v4, v4, v5
	v_mul_f32_e32 v5, v246, v90
	s_waitcnt vmcnt(12)
	v_fmac_f32_e32 v28, v250, v96
	v_fma_f32 v5, v245, v89, -v5
	v_add_f32_e32 v27, v27, v28
	s_waitcnt lgkmcnt(0)
	v_mul_f32_e32 v28, v251, v95
	v_add_f32_e32 v4, v4, v5
	v_mul_f32_e32 v5, v248, v92
	v_fmac_f32_e32 v28, v252, v94
	v_fma_f32 v5, v247, v91, -v5
	v_add_f32_e32 v31, v27, v28
	ds_read2_b64 v[27:30], v1 offset0:115 offset1:116
	v_add_f32_e32 v4, v4, v5
	v_mul_f32_e32 v5, v250, v93
	v_fma_f32 v5, v249, v96, -v5
	v_add_f32_e32 v4, v4, v5
	v_mul_f32_e32 v5, v252, v95
	s_waitcnt vmcnt(10)
	v_mul_f32_e32 v32, v253, v98
	v_fma_f32 v5, v251, v94, -v5
	v_fmac_f32_e32 v32, v254, v97
	v_add_f32_e32 v4, v4, v5
	v_mul_f32_e32 v5, v254, v98
	v_add_f32_e32 v35, v31, v32
	ds_read2_b64 v[31:34], v1 offset0:117 offset1:118
	s_waitcnt vmcnt(8) lgkmcnt(1)
	v_mul_f32_e32 v36, v27, v100
	v_fma_f32 v5, v253, v97, -v5
	v_fmac_f32_e32 v36, v28, v99
	v_add_f32_e32 v4, v4, v5
	v_mul_f32_e32 v5, v28, v100
	v_add_f32_e32 v35, v35, v36
	s_waitcnt vmcnt(7)
	v_mul_f32_e32 v36, v29, v101
	v_fma_f32 v5, v27, v99, -v5
	s_waitcnt vmcnt(4)
	v_fmac_f32_e32 v36, v30, v104
	v_add_f32_e32 v4, v4, v5
	v_mul_f32_e32 v5, v30, v101
	v_add_f32_e32 v108, v35, v36
	ds_read_b64 v[35:36], v1 offset:952
	v_fma_f32 v5, v29, v104, -v5
	v_add_f32_e32 v4, v4, v5
	s_waitcnt lgkmcnt(1)
	v_mul_f32_e32 v5, v32, v103
	v_mul_f32_e32 v109, v31, v103
	v_fma_f32 v5, v31, v102, -v5
	v_fmac_f32_e32 v109, v32, v102
	v_add_f32_e32 v4, v4, v5
	s_waitcnt vmcnt(3)
	v_mul_f32_e32 v5, v34, v255
	v_add_f32_e32 v108, v108, v109
	v_mul_f32_e32 v109, v33, v255
	s_waitcnt vmcnt(0)
	v_fma_f32 v5, v33, v107, -v5
	v_fmac_f32_e32 v109, v34, v107
	v_add_f32_e32 v4, v4, v5
	s_waitcnt lgkmcnt(0)
	v_mul_f32_e32 v5, v36, v106
	v_add_f32_e32 v108, v108, v109
	v_mul_f32_e32 v109, v35, v106
	v_fma_f32 v5, v35, v105, -v5
	v_fmac_f32_e32 v109, v36, v105
	v_add_f32_e32 v4, v4, v5
	v_add_f32_e32 v108, v108, v109
	v_sub_f32_e32 v2, v2, v4
	v_sub_f32_e32 v3, v3, v108
	buffer_store_dword v2, off, s[0:3], 0 offset:48
	buffer_store_dword v3, off, s[0:3], 0 offset:52
	s_and_saveexec_b64 s[4:5], vcc
	s_cbranch_execz .LBB59_363
; %bb.362:
	buffer_load_dword v2, off, s[0:3], 0 offset:40
	buffer_load_dword v3, off, s[0:3], 0 offset:44
	s_waitcnt vmcnt(0)
	ds_write_b64 v145, v[2:3]
	buffer_store_dword v1, off, s[0:3], 0 offset:40
	buffer_store_dword v1, off, s[0:3], 0 offset:44
.LBB59_363:
	s_or_b64 exec, exec, s[4:5]
	s_waitcnt lgkmcnt(0)
	; wave barrier
	buffer_load_dword v10, off, s[0:3], 0 offset:52
	buffer_load_dword v9, off, s[0:3], 0 offset:60
	;; [unrolled: 1-line block ×40, first 2 shown]
	ds_read_b128 v[27:30], v1 offset:528
	ds_read_b128 v[31:34], v1 offset:544
	;; [unrolled: 1-line block ×6, first 2 shown]
	buffer_load_dword v42, off, s[0:3], 0 offset:200
	buffer_load_dword v43, off, s[0:3], 0 offset:204
	;; [unrolled: 1-line block ×12, first 2 shown]
	ds_read_b128 v[172:175], v1 offset:624
	ds_read_b128 v[176:179], v1 offset:640
	v_cmp_lt_u32_e32 vcc, 4, v0
	s_waitcnt vmcnt(51) lgkmcnt(7)
	v_mul_f32_e32 v54, v27, v10
	s_waitcnt vmcnt(50)
	v_mul_f32_e32 v55, v29, v9
	s_waitcnt vmcnt(49) lgkmcnt(6)
	v_mul_f32_e32 v56, v31, v8
	s_waitcnt vmcnt(48)
	v_mul_f32_e32 v57, v33, v7
	;; [unrolled: 4-line block ×5, first 2 shown]
	s_waitcnt vmcnt(41) lgkmcnt(2)
	v_mul_f32_e32 v64, v168, v14
	s_waitcnt vmcnt(40)
	v_fmac_f32_e32 v56, v32, v21
	s_waitcnt vmcnt(39)
	v_fmac_f32_e32 v55, v30, v24
	;; [unrolled: 2-line block ×3, first 2 shown]
	v_add_f32_e32 v54, 0, v54
	v_add_f32_e32 v54, v54, v55
	;; [unrolled: 1-line block ×3, first 2 shown]
	s_waitcnt vmcnt(34)
	v_fmac_f32_e32 v57, v34, v146
	v_fmac_f32_e32 v58, v157, v23
	v_add_f32_e32 v54, v54, v57
	v_fmac_f32_e32 v59, v159, v20
	v_add_f32_e32 v54, v54, v58
	;; [unrolled: 2-line block ×3, first 2 shown]
	s_waitcnt vmcnt(30)
	v_fmac_f32_e32 v61, v163, v22
	v_add_f32_e32 v54, v54, v60
	v_fmac_f32_e32 v62, v165, v19
	v_add_f32_e32 v54, v54, v61
	;; [unrolled: 2-line block ×4, first 2 shown]
	s_waitcnt vmcnt(29)
	v_mul_f32_e32 v55, v170, v18
	v_add_f32_e32 v54, v54, v64
	s_waitcnt vmcnt(25)
	v_fmac_f32_e32 v55, v171, v154
	v_add_f32_e32 v54, v54, v55
	s_waitcnt vmcnt(24) lgkmcnt(1)
	v_mul_f32_e32 v55, v172, v153
	buffer_load_dword v56, off, s[0:3], 0 offset:252
	buffer_load_dword v57, off, s[0:3], 0 offset:248
	buffer_load_dword v58, off, s[0:3], 0 offset:256
	buffer_load_dword v59, off, s[0:3], 0 offset:260
	v_fmac_f32_e32 v55, v173, v151
	v_add_f32_e32 v54, v54, v55
	s_waitcnt vmcnt(27)
	v_mul_f32_e32 v55, v174, v152
	v_fmac_f32_e32 v55, v175, v149
	v_add_f32_e32 v54, v54, v55
	buffer_load_dword v55, off, s[0:3], 0 offset:264
	buffer_load_dword v60, off, s[0:3], 0 offset:268
	ds_read_b128 v[180:183], v1 offset:656
	ds_read_b128 v[184:187], v1 offset:672
	s_waitcnt vmcnt(28) lgkmcnt(2)
	v_mul_f32_e32 v61, v176, v150
	v_fmac_f32_e32 v61, v177, v148
	v_add_f32_e32 v54, v54, v61
	s_waitcnt vmcnt(27)
	v_mul_f32_e32 v61, v178, v155
	s_waitcnt vmcnt(21)
	v_fmac_f32_e32 v61, v179, v40
	v_add_f32_e32 v54, v54, v61
	s_waitcnt vmcnt(20) lgkmcnt(1)
	v_mul_f32_e32 v61, v180, v41
	v_fmac_f32_e32 v61, v181, v39
	v_add_f32_e32 v54, v54, v61
	v_mul_f32_e32 v61, v182, v36
	buffer_load_dword v62, off, s[0:3], 0 offset:276
	v_fmac_f32_e32 v61, v183, v35
	buffer_load_dword v63, off, s[0:3], 0 offset:272
	buffer_load_dword v64, off, s[0:3], 0 offset:280
	;; [unrolled: 1-line block ×3, first 2 shown]
	ds_read_b128 v[188:191], v1 offset:688
	v_add_f32_e32 v54, v54, v61
	s_waitcnt lgkmcnt(1)
	v_mul_f32_e32 v61, v184, v38
	v_fmac_f32_e32 v61, v185, v37
	v_add_f32_e32 v54, v54, v61
	s_waitcnt vmcnt(20)
	v_mul_f32_e32 v61, v186, v43
	v_fmac_f32_e32 v61, v187, v42
	buffer_load_dword v66, off, s[0:3], 0 offset:288
	buffer_load_dword v67, off, s[0:3], 0 offset:292
	v_add_f32_e32 v54, v54, v61
	s_waitcnt vmcnt(20) lgkmcnt(0)
	v_mul_f32_e32 v61, v188, v45
	v_fmac_f32_e32 v61, v189, v44
	ds_read_b128 v[192:195], v1 offset:704
	v_add_f32_e32 v54, v54, v61
	buffer_load_dword v61, off, s[0:3], 0 offset:296
	buffer_load_dword v68, off, s[0:3], 0 offset:300
	s_waitcnt vmcnt(20)
	v_mul_f32_e32 v69, v190, v47
	v_fmac_f32_e32 v69, v191, v46
	buffer_load_dword v70, off, s[0:3], 0 offset:304
	buffer_load_dword v71, off, s[0:3], 0 offset:308
	;; [unrolled: 1-line block ×6, first 2 shown]
	v_add_f32_e32 v54, v54, v69
	s_waitcnt vmcnt(24) lgkmcnt(0)
	v_mul_f32_e32 v69, v192, v49
	v_fmac_f32_e32 v69, v193, v48
	v_add_f32_e32 v54, v54, v69
	buffer_load_dword v69, off, s[0:3], 0 offset:328
	buffer_load_dword v76, off, s[0:3], 0 offset:332
	ds_read_b128 v[196:199], v1 offset:720
	buffer_load_dword v78, off, s[0:3], 0 offset:336
	buffer_load_dword v79, off, s[0:3], 0 offset:340
	buffer_load_dword v80, off, s[0:3], 0 offset:348
	buffer_load_dword v81, off, s[0:3], 0 offset:352
	buffer_load_dword v82, off, s[0:3], 0 offset:356
	buffer_load_dword v83, off, s[0:3], 0 offset:344
	ds_read_b128 v[200:203], v1 offset:736
	buffer_load_dword v84, off, s[0:3], 0 offset:360
	buffer_load_dword v85, off, s[0:3], 0 offset:364
	s_waitcnt vmcnt(32)
	v_mul_f32_e32 v77, v194, v51
	v_fmac_f32_e32 v77, v195, v50
	v_add_f32_e32 v54, v54, v77
	s_waitcnt vmcnt(30) lgkmcnt(1)
	v_mul_f32_e32 v77, v196, v53
	v_fmac_f32_e32 v77, v197, v52
	v_add_f32_e32 v54, v54, v77
	buffer_load_dword v77, off, s[0:3], 0 offset:368
	buffer_load_dword v86, off, s[0:3], 0 offset:372
	;; [unrolled: 1-line block ×8, first 2 shown]
	v_mul_f32_e32 v10, v28, v10
	v_fma_f32 v10, v27, v147, -v10
	v_mul_f32_e32 v9, v30, v9
	v_add_f32_e32 v10, 0, v10
	v_fma_f32 v9, v29, v24, -v9
	v_mul_f32_e32 v8, v32, v8
	v_add_f32_e32 v9, v10, v9
	;; [unrolled: 3-line block ×6, first 2 shown]
	v_fma_f32 v2, v160, v17, -v2
	v_add_f32_e32 v2, v3, v2
	s_waitcnt vmcnt(37)
	v_mul_f32_e32 v91, v198, v56
	s_waitcnt vmcnt(36)
	v_fmac_f32_e32 v91, v199, v57
	v_add_f32_e32 v54, v54, v91
	s_waitcnt vmcnt(34) lgkmcnt(0)
	v_mul_f32_e32 v91, v200, v59
	v_fmac_f32_e32 v91, v201, v58
	v_add_f32_e32 v54, v54, v91
	buffer_load_dword v91, off, s[0:3], 0 offset:400
	buffer_load_dword v94, off, s[0:3], 0 offset:404
	;; [unrolled: 1-line block ×6, first 2 shown]
	ds_read_b128 v[204:207], v1 offset:752
	v_mul_f32_e32 v3, v163, v11
	s_waitcnt vmcnt(38)
	v_mul_f32_e32 v99, v202, v60
	v_fmac_f32_e32 v99, v203, v55
	v_add_f32_e32 v54, v54, v99
	buffer_load_dword v99, off, s[0:3], 0 offset:424
	buffer_load_dword v100, off, s[0:3], 0 offset:428
	v_fma_f32 v3, v162, v22, -v3
	v_add_f32_e32 v2, v2, v3
	v_mul_f32_e32 v3, v165, v12
	v_fma_f32 v3, v164, v19, -v3
	v_add_f32_e32 v2, v2, v3
	v_mul_f32_e32 v3, v167, v13
	ds_read_b128 v[208:211], v1 offset:768
	buffer_load_dword v102, off, s[0:3], 0 offset:432
	buffer_load_dword v103, off, s[0:3], 0 offset:436
	;; [unrolled: 1-line block ×6, first 2 shown]
	v_fma_f32 v3, v166, v16, -v3
	v_add_f32_e32 v2, v2, v3
	v_mul_f32_e32 v3, v169, v14
	v_fma_f32 v3, v168, v15, -v3
	v_add_f32_e32 v2, v2, v3
	v_mul_f32_e32 v3, v171, v18
	;; [unrolled: 3-line block ×3, first 2 shown]
	buffer_load_dword v108, off, s[0:3], 0 offset:456
	buffer_load_dword v109, off, s[0:3], 0 offset:460
	;; [unrolled: 1-line block ×6, first 2 shown]
	v_fma_f32 v3, v172, v151, -v3
	v_add_f32_e32 v2, v2, v3
	v_mul_f32_e32 v3, v175, v152
	v_fma_f32 v3, v174, v149, -v3
	v_add_f32_e32 v2, v2, v3
	v_mul_f32_e32 v3, v177, v150
	v_fma_f32 v3, v176, v148, -v3
	v_add_f32_e32 v2, v2, v3
	v_mul_f32_e32 v3, v179, v155
	v_fma_f32 v3, v178, v40, -v3
	v_add_f32_e32 v2, v2, v3
	v_mul_f32_e32 v3, v181, v41
	v_fma_f32 v3, v180, v39, -v3
	v_add_f32_e32 v2, v2, v3
	v_mul_f32_e32 v3, v183, v36
	v_fma_f32 v3, v182, v35, -v3
	v_add_f32_e32 v2, v2, v3
	v_mul_f32_e32 v3, v185, v38
	v_fma_f32 v3, v184, v37, -v3
	v_add_f32_e32 v2, v2, v3
	v_mul_f32_e32 v3, v187, v43
	v_fma_f32 v3, v186, v42, -v3
	v_add_f32_e32 v2, v2, v3
	v_mul_f32_e32 v3, v189, v45
	v_fma_f32 v3, v188, v44, -v3
	v_add_f32_e32 v2, v2, v3
	v_mul_f32_e32 v3, v191, v47
	v_fma_f32 v3, v190, v46, -v3
	v_add_f32_e32 v2, v2, v3
	v_mul_f32_e32 v3, v193, v49
	v_fma_f32 v3, v192, v48, -v3
	v_add_f32_e32 v2, v2, v3
	v_mul_f32_e32 v3, v195, v51
	v_fma_f32 v3, v194, v50, -v3
	v_add_f32_e32 v2, v2, v3
	v_mul_f32_e32 v3, v197, v53
	v_fma_f32 v3, v196, v52, -v3
	v_add_f32_e32 v2, v2, v3
	v_mul_f32_e32 v3, v199, v56
	v_fma_f32 v3, v198, v57, -v3
	v_add_f32_e32 v2, v2, v3
	v_mul_f32_e32 v3, v201, v59
	v_fma_f32 v3, v200, v58, -v3
	v_add_f32_e32 v2, v2, v3
	v_mul_f32_e32 v3, v203, v60
	v_fma_f32 v3, v202, v55, -v3
	v_add_f32_e32 v2, v2, v3
	s_waitcnt vmcnt(51) lgkmcnt(1)
	v_mul_f32_e32 v3, v205, v62
	v_mul_f32_e32 v101, v204, v62
	s_waitcnt vmcnt(50)
	v_fma_f32 v3, v204, v63, -v3
	v_fmac_f32_e32 v101, v205, v63
	v_add_f32_e32 v2, v2, v3
	s_waitcnt vmcnt(48)
	v_mul_f32_e32 v3, v207, v65
	v_add_f32_e32 v54, v54, v101
	v_mul_f32_e32 v101, v206, v65
	ds_read_b128 v[212:215], v1 offset:784
	ds_read_b128 v[216:219], v1 offset:800
	v_fma_f32 v3, v206, v64, -v3
	v_fmac_f32_e32 v101, v207, v64
	v_add_f32_e32 v2, v2, v3
	s_waitcnt vmcnt(46) lgkmcnt(2)
	v_mul_f32_e32 v3, v209, v67
	v_add_f32_e32 v54, v54, v101
	v_mul_f32_e32 v101, v208, v67
	v_fma_f32 v3, v208, v66, -v3
	v_fmac_f32_e32 v101, v209, v66
	v_add_f32_e32 v2, v2, v3
	s_waitcnt vmcnt(44)
	v_mul_f32_e32 v3, v211, v68
	v_add_f32_e32 v54, v54, v101
	v_mul_f32_e32 v101, v210, v68
	v_fma_f32 v3, v210, v61, -v3
	v_fmac_f32_e32 v101, v211, v61
	v_add_f32_e32 v2, v2, v3
	s_waitcnt vmcnt(42) lgkmcnt(1)
	v_mul_f32_e32 v3, v213, v71
	v_add_f32_e32 v54, v54, v101
	v_mul_f32_e32 v101, v212, v71
	v_fma_f32 v3, v212, v70, -v3
	v_fmac_f32_e32 v101, v213, v70
	v_add_f32_e32 v2, v2, v3
	s_waitcnt vmcnt(41)
	v_mul_f32_e32 v3, v215, v72
	v_add_f32_e32 v54, v54, v101
	v_mul_f32_e32 v101, v214, v72
	ds_read_b128 v[220:223], v1 offset:816
	ds_read_b128 v[224:227], v1 offset:832
	s_waitcnt vmcnt(38)
	v_fma_f32 v3, v214, v75, -v3
	v_fmac_f32_e32 v101, v215, v75
	v_add_f32_e32 v2, v2, v3
	s_waitcnt lgkmcnt(2)
	v_mul_f32_e32 v3, v217, v74
	v_add_f32_e32 v54, v54, v101
	v_mul_f32_e32 v101, v216, v74
	v_fma_f32 v3, v216, v73, -v3
	v_fmac_f32_e32 v101, v217, v73
	v_add_f32_e32 v2, v2, v3
	s_waitcnt vmcnt(36)
	v_mul_f32_e32 v3, v219, v76
	v_add_f32_e32 v54, v54, v101
	v_mul_f32_e32 v101, v218, v76
	v_fma_f32 v3, v218, v69, -v3
	v_fmac_f32_e32 v101, v219, v69
	v_add_f32_e32 v2, v2, v3
	s_waitcnt vmcnt(34) lgkmcnt(1)
	v_mul_f32_e32 v3, v221, v79
	v_add_f32_e32 v54, v54, v101
	v_mul_f32_e32 v101, v220, v79
	v_fma_f32 v3, v220, v78, -v3
	v_fmac_f32_e32 v101, v221, v78
	v_add_f32_e32 v2, v2, v3
	s_waitcnt vmcnt(33)
	v_mul_f32_e32 v3, v223, v80
	v_add_f32_e32 v54, v54, v101
	v_mul_f32_e32 v101, v222, v80
	ds_read_b128 v[228:231], v1 offset:848
	ds_read_b128 v[232:235], v1 offset:864
	s_waitcnt vmcnt(30)
	v_fma_f32 v3, v222, v83, -v3
	v_fmac_f32_e32 v101, v223, v83
	v_add_f32_e32 v2, v2, v3
	s_waitcnt lgkmcnt(2)
	;; [unrolled: 31-line block ×4, first 2 shown]
	v_mul_f32_e32 v3, v241, v97
	v_add_f32_e32 v54, v54, v101
	v_mul_f32_e32 v101, v240, v97
	v_fma_f32 v3, v240, v96, -v3
	v_fmac_f32_e32 v101, v241, v96
	v_add_f32_e32 v2, v2, v3
	s_waitcnt vmcnt(12)
	v_mul_f32_e32 v3, v243, v100
	v_add_f32_e32 v54, v54, v101
	v_mul_f32_e32 v101, v242, v100
	v_fma_f32 v3, v242, v99, -v3
	v_fmac_f32_e32 v101, v243, v99
	v_add_f32_e32 v2, v2, v3
	s_waitcnt vmcnt(10) lgkmcnt(1)
	v_mul_f32_e32 v3, v245, v103
	v_add_f32_e32 v54, v54, v101
	v_mul_f32_e32 v101, v244, v103
	v_fma_f32 v3, v244, v102, -v3
	v_fmac_f32_e32 v101, v245, v102
	v_add_f32_e32 v2, v2, v3
	s_waitcnt vmcnt(9)
	v_mul_f32_e32 v3, v247, v104
	v_add_f32_e32 v54, v54, v101
	v_mul_f32_e32 v101, v246, v104
	ds_read_b128 v[252:255], v1 offset:944
	s_waitcnt vmcnt(6)
	v_fma_f32 v3, v246, v107, -v3
	v_fmac_f32_e32 v101, v247, v107
	v_add_f32_e32 v2, v2, v3
	s_waitcnt lgkmcnt(1)
	v_mul_f32_e32 v3, v249, v106
	v_add_f32_e32 v54, v54, v101
	v_mul_f32_e32 v101, v248, v106
	v_fma_f32 v3, v248, v105, -v3
	v_fmac_f32_e32 v101, v249, v105
	v_add_f32_e32 v2, v2, v3
	s_waitcnt vmcnt(4)
	v_mul_f32_e32 v3, v251, v109
	v_add_f32_e32 v1, v54, v101
	v_mul_f32_e32 v54, v250, v109
	v_fma_f32 v3, v250, v108, -v3
	v_fmac_f32_e32 v54, v251, v108
	v_add_f32_e32 v2, v2, v3
	s_waitcnt vmcnt(3) lgkmcnt(0)
	v_mul_f32_e32 v3, v253, v110
	v_add_f32_e32 v1, v1, v54
	v_mul_f32_e32 v54, v252, v110
	s_waitcnt vmcnt(0)
	v_fma_f32 v3, v252, v113, -v3
	v_fmac_f32_e32 v54, v253, v113
	v_add_f32_e32 v2, v2, v3
	v_mul_f32_e32 v3, v255, v112
	v_add_f32_e32 v1, v1, v54
	v_mul_f32_e32 v54, v254, v112
	v_fma_f32 v3, v254, v111, -v3
	v_fmac_f32_e32 v54, v255, v111
	v_add_f32_e32 v2, v2, v3
	v_add_f32_e32 v1, v1, v54
	v_sub_f32_e32 v2, v4, v2
	v_sub_f32_e32 v1, v5, v1
	buffer_store_dword v2, off, s[0:3], 0 offset:40
	buffer_store_dword v1, off, s[0:3], 0 offset:44
	s_and_saveexec_b64 s[4:5], vcc
	s_cbranch_execz .LBB59_365
; %bb.364:
	buffer_load_dword v1, off, s[0:3], 0 offset:32
	buffer_load_dword v2, off, s[0:3], 0 offset:36
	v_mov_b32_e32 v3, 0
	buffer_store_dword v3, off, s[0:3], 0 offset:32
	buffer_store_dword v3, off, s[0:3], 0 offset:36
	s_waitcnt vmcnt(2)
	ds_write_b64 v145, v[1:2]
.LBB59_365:
	s_or_b64 exec, exec, s[4:5]
	s_waitcnt lgkmcnt(0)
	; wave barrier
	buffer_load_dword v10, off, s[0:3], 0 offset:44
	buffer_load_dword v9, off, s[0:3], 0 offset:52
	;; [unrolled: 1-line block ×40, first 2 shown]
	v_mov_b32_e32 v1, 0
	buffer_load_dword v46, off, s[0:3], 0 offset:192
	buffer_load_dword v47, off, s[0:3], 0 offset:196
	;; [unrolled: 1-line block ×12, first 2 shown]
	ds_read2_b64 v[27:30], v1 offset0:65 offset1:66
	ds_read2_b64 v[31:34], v1 offset0:67 offset1:68
	ds_read2_b64 v[162:165], v1 offset0:69 offset1:70
	ds_read2_b64 v[166:169], v1 offset0:71 offset1:72
	ds_read2_b64 v[170:173], v1 offset0:73 offset1:74
	ds_read2_b64 v[174:177], v1 offset0:75 offset1:76
	buffer_load_dword v59, off, s[0:3], 0 offset:240
	buffer_load_dword v60, off, s[0:3], 0 offset:244
	ds_read2_b64 v[178:181], v1 offset0:77 offset1:78
	v_cmp_lt_u32_e32 vcc, 3, v0
	s_waitcnt vmcnt(53) lgkmcnt(6)
	v_mul_f32_e32 v35, v27, v10
	s_waitcnt vmcnt(52)
	v_mul_f32_e32 v36, v29, v9
	s_waitcnt vmcnt(51) lgkmcnt(5)
	v_mul_f32_e32 v37, v31, v8
	s_waitcnt vmcnt(50)
	v_mul_f32_e32 v38, v33, v7
	;; [unrolled: 4-line block ×5, first 2 shown]
	s_waitcnt vmcnt(43) lgkmcnt(1)
	v_mul_f32_e32 v58, v174, v14
	s_waitcnt vmcnt(42)
	v_fmac_f32_e32 v37, v32, v21
	s_waitcnt vmcnt(41)
	v_fmac_f32_e32 v36, v30, v24
	;; [unrolled: 2-line block ×3, first 2 shown]
	v_add_f32_e32 v35, 0, v35
	v_add_f32_e32 v35, v35, v36
	v_add_f32_e32 v35, v35, v37
	s_waitcnt vmcnt(36)
	v_fmac_f32_e32 v38, v34, v146
	v_fmac_f32_e32 v39, v163, v23
	v_add_f32_e32 v35, v35, v38
	v_fmac_f32_e32 v40, v165, v20
	v_add_f32_e32 v35, v35, v39
	;; [unrolled: 2-line block ×3, first 2 shown]
	s_waitcnt vmcnt(32)
	v_fmac_f32_e32 v42, v169, v22
	v_add_f32_e32 v35, v35, v41
	v_fmac_f32_e32 v43, v171, v19
	v_add_f32_e32 v35, v35, v42
	;; [unrolled: 2-line block ×3, first 2 shown]
	v_add_f32_e32 v35, v35, v44
	v_fmac_f32_e32 v58, v175, v15
	v_add_f32_e32 v35, v35, v58
	buffer_load_dword v58, off, s[0:3], 0 offset:248
	buffer_load_dword v61, off, s[0:3], 0 offset:252
	ds_read2_b64 v[182:185], v1 offset0:79 offset1:80
	buffer_load_dword v62, off, s[0:3], 0 offset:256
	buffer_load_dword v63, off, s[0:3], 0 offset:260
	ds_read2_b64 v[186:189], v1 offset0:81 offset1:82
	;; [unrolled: 3-line block ×3, first 2 shown]
	buffer_load_dword v66, off, s[0:3], 0 offset:276
	buffer_load_dword v67, off, s[0:3], 0 offset:272
	;; [unrolled: 1-line block ×4, first 2 shown]
	ds_read2_b64 v[194:197], v1 offset0:85 offset1:86
	ds_read2_b64 v[198:201], v1 offset0:87 offset1:88
	buffer_load_dword v70, off, s[0:3], 0 offset:288
	buffer_load_dword v71, off, s[0:3], 0 offset:292
	buffer_load_dword v72, off, s[0:3], 0 offset:296
	buffer_load_dword v73, off, s[0:3], 0 offset:300
	buffer_load_dword v74, off, s[0:3], 0 offset:308
	buffer_load_dword v75, off, s[0:3], 0 offset:312
	buffer_load_dword v76, off, s[0:3], 0 offset:316
	buffer_load_dword v77, off, s[0:3], 0 offset:304
	buffer_load_dword v78, off, s[0:3], 0 offset:320
	buffer_load_dword v79, off, s[0:3], 0 offset:324
	ds_read2_b64 v[202:205], v1 offset0:89 offset1:90
	buffer_load_dword v80, off, s[0:3], 0 offset:328
	buffer_load_dword v81, off, s[0:3], 0 offset:332
	;; [unrolled: 1-line block ×6, first 2 shown]
	ds_read2_b64 v[206:209], v1 offset0:91 offset1:92
	buffer_load_dword v86, off, s[0:3], 0 offset:352
	buffer_load_dword v87, off, s[0:3], 0 offset:356
	;; [unrolled: 1-line block ×10, first 2 shown]
	v_mul_f32_e32 v10, v28, v10
	ds_read2_b64 v[210:213], v1 offset0:93 offset1:94
	buffer_load_dword v96, off, s[0:3], 0 offset:392
	buffer_load_dword v97, off, s[0:3], 0 offset:396
	buffer_load_dword v98, off, s[0:3], 0 offset:404
	buffer_load_dword v99, off, s[0:3], 0 offset:408
	buffer_load_dword v100, off, s[0:3], 0 offset:412
	buffer_load_dword v101, off, s[0:3], 0 offset:400
	v_fma_f32 v10, v27, v147, -v10
	v_mul_f32_e32 v9, v30, v9
	v_add_f32_e32 v10, 0, v10
	v_fma_f32 v9, v29, v24, -v9
	v_mul_f32_e32 v8, v32, v8
	v_add_f32_e32 v9, v10, v9
	v_fma_f32 v8, v31, v21, -v8
	v_mul_f32_e32 v7, v34, v7
	ds_read2_b64 v[214:217], v1 offset0:95 offset1:96
	buffer_load_dword v102, off, s[0:3], 0 offset:416
	buffer_load_dword v103, off, s[0:3], 0 offset:420
	v_add_f32_e32 v8, v9, v8
	v_fma_f32 v7, v33, v146, -v7
	v_mul_f32_e32 v6, v163, v6
	v_add_f32_e32 v7, v8, v7
	v_fma_f32 v6, v162, v23, -v6
	v_mul_f32_e32 v5, v165, v5
	;; [unrolled: 3-line block ×3, first 2 shown]
	v_add_f32_e32 v5, v6, v5
	v_fma_f32 v4, v166, v17, -v4
	v_add_f32_e32 v4, v5, v4
	v_mul_f32_e32 v5, v169, v11
	v_fma_f32 v5, v168, v22, -v5
	buffer_load_dword v104, off, s[0:3], 0 offset:424
	buffer_load_dword v105, off, s[0:3], 0 offset:428
	buffer_load_dword v106, off, s[0:3], 0 offset:436
	buffer_load_dword v107, off, s[0:3], 0 offset:440
	buffer_load_dword v108, off, s[0:3], 0 offset:444
	buffer_load_dword v109, off, s[0:3], 0 offset:432
	v_add_f32_e32 v4, v4, v5
	v_mul_f32_e32 v5, v171, v12
	v_fma_f32 v5, v170, v19, -v5
	s_waitcnt vmcnt(62)
	v_mul_f32_e32 v36, v176, v18
	v_add_f32_e32 v4, v4, v5
	v_mul_f32_e32 v5, v173, v13
	v_fmac_f32_e32 v36, v177, v155
	v_fma_f32 v5, v172, v16, -v5
	v_add_f32_e32 v35, v35, v36
	s_waitcnt lgkmcnt(9)
	v_mul_f32_e32 v36, v178, v153
	v_add_f32_e32 v4, v4, v5
	v_mul_f32_e32 v5, v175, v14
	v_fmac_f32_e32 v36, v179, v151
	buffer_load_dword v110, off, s[0:3], 0 offset:448
	buffer_load_dword v111, off, s[0:3], 0 offset:452
	v_fma_f32 v5, v174, v15, -v5
	v_add_f32_e32 v35, v35, v36
	v_mul_f32_e32 v36, v180, v152
	v_add_f32_e32 v4, v4, v5
	v_mul_f32_e32 v5, v177, v18
	v_fmac_f32_e32 v36, v181, v150
	v_fma_f32 v5, v176, v155, -v5
	v_add_f32_e32 v35, v35, v36
	s_waitcnt lgkmcnt(8)
	v_mul_f32_e32 v36, v182, v149
	v_add_f32_e32 v4, v4, v5
	v_mul_f32_e32 v5, v179, v153
	v_fmac_f32_e32 v36, v183, v148
	v_fma_f32 v5, v178, v151, -v5
	v_add_f32_e32 v35, v35, v36
	v_mul_f32_e32 v36, v184, v154
	v_add_f32_e32 v4, v4, v5
	v_mul_f32_e32 v5, v181, v152
	v_fmac_f32_e32 v36, v185, v45
	buffer_load_dword v112, off, s[0:3], 0 offset:456
	buffer_load_dword v113, off, s[0:3], 0 offset:460
	buffer_load_dword v114, off, s[0:3], 0 offset:468
	buffer_load_dword v254, off, s[0:3], 0 offset:472
	buffer_load_dword v255, off, s[0:3], 0 offset:476
	buffer_load_dword v115, off, s[0:3], 0 offset:464
	v_fma_f32 v5, v180, v150, -v5
	v_add_f32_e32 v35, v35, v36
	s_waitcnt lgkmcnt(7)
	v_mul_f32_e32 v36, v186, v157
	v_add_f32_e32 v4, v4, v5
	v_mul_f32_e32 v5, v183, v149
	v_fmac_f32_e32 v36, v187, v156
	v_fma_f32 v5, v182, v148, -v5
	v_add_f32_e32 v35, v35, v36
	v_mul_f32_e32 v36, v188, v159
	v_add_f32_e32 v4, v4, v5
	v_mul_f32_e32 v5, v185, v154
	v_fmac_f32_e32 v36, v189, v158
	v_fma_f32 v5, v184, v45, -v5
	v_add_f32_e32 v35, v35, v36
	s_waitcnt lgkmcnt(6)
	v_mul_f32_e32 v36, v190, v161
	v_add_f32_e32 v4, v4, v5
	v_mul_f32_e32 v5, v187, v157
	v_fmac_f32_e32 v36, v191, v160
	v_fma_f32 v5, v186, v156, -v5
	v_add_f32_e32 v35, v35, v36
	v_mul_f32_e32 v36, v192, v47
	v_add_f32_e32 v4, v4, v5
	v_mul_f32_e32 v5, v189, v159
	v_fmac_f32_e32 v36, v193, v46
	v_fma_f32 v5, v188, v158, -v5
	v_add_f32_e32 v35, v35, v36
	s_waitcnt vmcnt(62) lgkmcnt(5)
	v_mul_f32_e32 v36, v194, v49
	v_add_f32_e32 v4, v4, v5
	v_mul_f32_e32 v5, v191, v161
	v_fmac_f32_e32 v36, v195, v48
	v_fma_f32 v5, v190, v160, -v5
	v_add_f32_e32 v35, v35, v36
	v_mul_f32_e32 v36, v196, v51
	v_add_f32_e32 v4, v4, v5
	v_mul_f32_e32 v5, v193, v47
	v_fmac_f32_e32 v36, v197, v50
	v_fma_f32 v5, v192, v46, -v5
	v_add_f32_e32 v35, v35, v36
	s_waitcnt lgkmcnt(4)
	v_mul_f32_e32 v36, v198, v53
	v_add_f32_e32 v4, v4, v5
	v_mul_f32_e32 v5, v195, v49
	v_fmac_f32_e32 v36, v199, v52
	v_fma_f32 v5, v194, v48, -v5
	v_add_f32_e32 v35, v35, v36
	v_mul_f32_e32 v36, v200, v55
	v_add_f32_e32 v4, v4, v5
	v_mul_f32_e32 v5, v197, v51
	v_fmac_f32_e32 v36, v201, v54
	v_fma_f32 v5, v196, v50, -v5
	v_add_f32_e32 v35, v35, v36
	s_waitcnt vmcnt(60) lgkmcnt(3)
	v_mul_f32_e32 v36, v202, v57
	v_add_f32_e32 v4, v4, v5
	v_mul_f32_e32 v5, v199, v53
	v_fmac_f32_e32 v36, v203, v56
	v_fma_f32 v5, v198, v52, -v5
	v_add_f32_e32 v35, v35, v36
	s_waitcnt vmcnt(58)
	v_mul_f32_e32 v36, v204, v60
	v_add_f32_e32 v4, v4, v5
	v_mul_f32_e32 v5, v201, v55
	v_fmac_f32_e32 v36, v205, v59
	v_fma_f32 v5, v200, v54, -v5
	v_add_f32_e32 v35, v35, v36
	s_waitcnt vmcnt(56) lgkmcnt(2)
	v_mul_f32_e32 v36, v206, v61
	v_add_f32_e32 v4, v4, v5
	v_mul_f32_e32 v5, v203, v57
	v_fmac_f32_e32 v36, v207, v58
	v_fma_f32 v5, v202, v56, -v5
	v_add_f32_e32 v35, v35, v36
	s_waitcnt vmcnt(54)
	;; [unrolled: 14-line block ×3, first 2 shown]
	v_mul_f32_e32 v36, v212, v66
	v_add_f32_e32 v4, v4, v5
	v_mul_f32_e32 v5, v209, v63
	s_waitcnt vmcnt(50)
	v_fmac_f32_e32 v36, v213, v67
	ds_read2_b64 v[218:221], v1 offset0:97 offset1:98
	ds_read2_b64 v[222:225], v1 offset0:99 offset1:100
	v_fma_f32 v5, v208, v62, -v5
	v_add_f32_e32 v35, v35, v36
	s_waitcnt vmcnt(48) lgkmcnt(2)
	v_mul_f32_e32 v36, v214, v69
	v_add_f32_e32 v4, v4, v5
	v_mul_f32_e32 v5, v211, v65
	v_fmac_f32_e32 v36, v215, v68
	v_fma_f32 v5, v210, v64, -v5
	v_add_f32_e32 v35, v35, v36
	s_waitcnt vmcnt(46)
	v_mul_f32_e32 v36, v216, v71
	v_add_f32_e32 v4, v4, v5
	v_mul_f32_e32 v5, v213, v66
	v_fmac_f32_e32 v36, v217, v70
	v_fma_f32 v5, v212, v67, -v5
	v_add_f32_e32 v35, v35, v36
	s_waitcnt vmcnt(44) lgkmcnt(1)
	v_mul_f32_e32 v36, v218, v73
	v_add_f32_e32 v4, v4, v5
	v_mul_f32_e32 v5, v215, v69
	v_fmac_f32_e32 v36, v219, v72
	v_fma_f32 v5, v214, v68, -v5
	v_add_f32_e32 v35, v35, v36
	s_waitcnt vmcnt(43)
	v_mul_f32_e32 v36, v220, v74
	v_add_f32_e32 v4, v4, v5
	v_mul_f32_e32 v5, v217, v71
	s_waitcnt vmcnt(40)
	v_fmac_f32_e32 v36, v221, v77
	ds_read2_b64 v[226:229], v1 offset0:101 offset1:102
	ds_read2_b64 v[230:233], v1 offset0:103 offset1:104
	v_fma_f32 v5, v216, v70, -v5
	v_add_f32_e32 v35, v35, v36
	s_waitcnt lgkmcnt(2)
	v_mul_f32_e32 v36, v222, v76
	v_add_f32_e32 v4, v4, v5
	v_mul_f32_e32 v5, v219, v73
	v_fmac_f32_e32 v36, v223, v75
	v_fma_f32 v5, v218, v72, -v5
	v_add_f32_e32 v35, v35, v36
	s_waitcnt vmcnt(38)
	v_mul_f32_e32 v36, v224, v79
	v_add_f32_e32 v4, v4, v5
	v_mul_f32_e32 v5, v221, v74
	v_fmac_f32_e32 v36, v225, v78
	v_fma_f32 v5, v220, v77, -v5
	v_add_f32_e32 v35, v35, v36
	s_waitcnt vmcnt(36) lgkmcnt(1)
	v_mul_f32_e32 v36, v226, v81
	v_add_f32_e32 v4, v4, v5
	v_mul_f32_e32 v5, v223, v76
	v_fmac_f32_e32 v36, v227, v80
	v_fma_f32 v5, v222, v75, -v5
	v_add_f32_e32 v35, v35, v36
	s_waitcnt vmcnt(35)
	v_mul_f32_e32 v36, v228, v82
	v_add_f32_e32 v4, v4, v5
	v_mul_f32_e32 v5, v225, v79
	s_waitcnt vmcnt(32)
	v_fmac_f32_e32 v36, v229, v85
	ds_read2_b64 v[234:237], v1 offset0:105 offset1:106
	ds_read2_b64 v[238:241], v1 offset0:107 offset1:108
	v_fma_f32 v5, v224, v78, -v5
	v_add_f32_e32 v35, v35, v36
	s_waitcnt lgkmcnt(2)
	;; [unrolled: 31-line block ×3, first 2 shown]
	v_mul_f32_e32 v36, v238, v92
	v_add_f32_e32 v4, v4, v5
	v_mul_f32_e32 v5, v235, v89
	v_fmac_f32_e32 v36, v239, v91
	v_fma_f32 v5, v234, v88, -v5
	v_add_f32_e32 v35, v35, v36
	s_waitcnt vmcnt(22)
	v_mul_f32_e32 v36, v240, v95
	v_add_f32_e32 v4, v4, v5
	v_mul_f32_e32 v5, v237, v90
	v_fmac_f32_e32 v36, v241, v94
	v_fma_f32 v5, v236, v93, -v5
	v_add_f32_e32 v35, v35, v36
	s_waitcnt vmcnt(20) lgkmcnt(1)
	v_mul_f32_e32 v36, v242, v97
	v_add_f32_e32 v4, v4, v5
	v_mul_f32_e32 v5, v239, v92
	v_fmac_f32_e32 v36, v243, v96
	v_fma_f32 v5, v238, v91, -v5
	v_add_f32_e32 v35, v35, v36
	s_waitcnt vmcnt(19)
	v_mul_f32_e32 v36, v244, v98
	v_add_f32_e32 v4, v4, v5
	v_mul_f32_e32 v5, v241, v95
	s_waitcnt vmcnt(16)
	v_fmac_f32_e32 v36, v245, v101
	v_fma_f32 v5, v240, v94, -v5
	v_add_f32_e32 v35, v35, v36
	s_waitcnt lgkmcnt(0)
	v_mul_f32_e32 v36, v246, v100
	ds_read2_b64 v[250:253], v1 offset0:113 offset1:114
	v_add_f32_e32 v4, v4, v5
	v_mul_f32_e32 v5, v243, v97
	v_fmac_f32_e32 v36, v247, v99
	v_fma_f32 v5, v242, v96, -v5
	v_add_f32_e32 v35, v35, v36
	s_waitcnt vmcnt(14)
	v_mul_f32_e32 v36, v248, v103
	v_add_f32_e32 v4, v4, v5
	v_mul_f32_e32 v5, v245, v98
	v_fmac_f32_e32 v36, v249, v102
	v_fma_f32 v5, v244, v101, -v5
	v_add_f32_e32 v39, v35, v36
	ds_read2_b64 v[35:38], v1 offset0:115 offset1:116
	v_add_f32_e32 v4, v4, v5
	v_mul_f32_e32 v5, v247, v100
	s_waitcnt vmcnt(12) lgkmcnt(1)
	v_mul_f32_e32 v40, v250, v105
	v_fma_f32 v5, v246, v99, -v5
	v_fmac_f32_e32 v40, v251, v104
	v_add_f32_e32 v4, v4, v5
	v_mul_f32_e32 v5, v249, v103
	v_add_f32_e32 v39, v39, v40
	s_waitcnt vmcnt(11)
	v_mul_f32_e32 v40, v252, v106
	v_fma_f32 v5, v248, v102, -v5
	s_waitcnt vmcnt(8)
	v_fmac_f32_e32 v40, v253, v109
	v_add_f32_e32 v4, v4, v5
	v_mul_f32_e32 v5, v251, v105
	v_add_f32_e32 v39, v39, v40
	s_waitcnt lgkmcnt(0)
	v_mul_f32_e32 v40, v35, v108
	v_fma_f32 v5, v250, v104, -v5
	v_fmac_f32_e32 v40, v36, v107
	v_add_f32_e32 v4, v4, v5
	v_mul_f32_e32 v5, v253, v106
	v_add_f32_e32 v43, v39, v40
	ds_read2_b64 v[39:42], v1 offset0:117 offset1:118
	v_fma_f32 v5, v252, v109, -v5
	v_add_f32_e32 v4, v4, v5
	v_mul_f32_e32 v5, v36, v108
	s_waitcnt vmcnt(6)
	v_mul_f32_e32 v44, v37, v111
	v_fma_f32 v5, v35, v107, -v5
	v_fmac_f32_e32 v44, v38, v110
	v_add_f32_e32 v4, v4, v5
	v_mul_f32_e32 v5, v38, v111
	v_add_f32_e32 v116, v43, v44
	ds_read_b64 v[43:44], v1 offset:952
	v_fma_f32 v5, v37, v110, -v5
	v_add_f32_e32 v4, v4, v5
	s_waitcnt vmcnt(4) lgkmcnt(1)
	v_mul_f32_e32 v5, v40, v113
	v_mul_f32_e32 v117, v39, v113
	v_fma_f32 v5, v39, v112, -v5
	v_fmac_f32_e32 v117, v40, v112
	v_add_f32_e32 v4, v4, v5
	s_waitcnt vmcnt(3)
	v_mul_f32_e32 v5, v42, v114
	v_add_f32_e32 v116, v116, v117
	v_mul_f32_e32 v117, v41, v114
	s_waitcnt vmcnt(0)
	v_fma_f32 v5, v41, v115, -v5
	v_fmac_f32_e32 v117, v42, v115
	v_add_f32_e32 v4, v4, v5
	s_waitcnt lgkmcnt(0)
	v_mul_f32_e32 v5, v44, v255
	v_add_f32_e32 v116, v116, v117
	v_mul_f32_e32 v117, v43, v255
	v_fma_f32 v5, v43, v254, -v5
	v_fmac_f32_e32 v117, v44, v254
	v_add_f32_e32 v4, v4, v5
	v_add_f32_e32 v116, v116, v117
	v_sub_f32_e32 v2, v2, v4
	v_sub_f32_e32 v3, v3, v116
	buffer_store_dword v2, off, s[0:3], 0 offset:32
	buffer_store_dword v3, off, s[0:3], 0 offset:36
	s_and_saveexec_b64 s[4:5], vcc
	s_cbranch_execz .LBB59_367
; %bb.366:
	buffer_load_dword v2, off, s[0:3], 0 offset:24
	buffer_load_dword v3, off, s[0:3], 0 offset:28
	s_waitcnt vmcnt(0)
	ds_write_b64 v145, v[2:3]
	buffer_store_dword v1, off, s[0:3], 0 offset:24
	buffer_store_dword v1, off, s[0:3], 0 offset:28
.LBB59_367:
	s_or_b64 exec, exec, s[4:5]
	s_waitcnt lgkmcnt(0)
	; wave barrier
	buffer_load_dword v10, off, s[0:3], 0 offset:36
	buffer_load_dword v9, off, s[0:3], 0 offset:44
	;; [unrolled: 1-line block ×40, first 2 shown]
	ds_read_b128 v[27:30], v1 offset:512
	ds_read_b128 v[31:34], v1 offset:528
	;; [unrolled: 1-line block ×6, first 2 shown]
	buffer_load_dword v48, off, s[0:3], 0 offset:184
	buffer_load_dword v49, off, s[0:3], 0 offset:188
	;; [unrolled: 1-line block ×14, first 2 shown]
	v_cmp_lt_u32_e32 vcc, 2, v0
	s_waitcnt vmcnt(53) lgkmcnt(5)
	v_mul_f32_e32 v43, v27, v10
	s_waitcnt vmcnt(52)
	v_mul_f32_e32 v44, v29, v9
	s_waitcnt vmcnt(51) lgkmcnt(4)
	v_mul_f32_e32 v45, v31, v8
	s_waitcnt vmcnt(50)
	v_mul_f32_e32 v46, v33, v7
	s_waitcnt vmcnt(49) lgkmcnt(3)
	v_mul_f32_e32 v62, v35, v6
	s_waitcnt vmcnt(48)
	v_mul_f32_e32 v63, v37, v5
	s_waitcnt vmcnt(47) lgkmcnt(2)
	v_mul_f32_e32 v64, v39, v4
	s_waitcnt vmcnt(46)
	v_mul_f32_e32 v65, v41, v11
	s_waitcnt vmcnt(45) lgkmcnt(1)
	v_mul_f32_e32 v66, v162, v12
	s_waitcnt vmcnt(44)
	v_mul_f32_e32 v67, v164, v13
	s_waitcnt vmcnt(43)
	v_fmac_f32_e32 v45, v32, v17
	s_waitcnt vmcnt(42)
	v_fmac_f32_e32 v44, v30, v21
	;; [unrolled: 2-line block ×3, first 2 shown]
	v_add_f32_e32 v43, 0, v43
	v_add_f32_e32 v43, v43, v44
	;; [unrolled: 1-line block ×3, first 2 shown]
	s_waitcnt vmcnt(37)
	v_fmac_f32_e32 v46, v34, v24
	v_fmac_f32_e32 v62, v36, v20
	v_add_f32_e32 v43, v43, v46
	v_fmac_f32_e32 v63, v38, v16
	v_add_f32_e32 v43, v43, v62
	;; [unrolled: 2-line block ×3, first 2 shown]
	buffer_load_dword v62, off, s[0:3], 0 offset:240
	buffer_load_dword v63, off, s[0:3], 0 offset:244
	s_waitcnt vmcnt(35)
	v_fmac_f32_e32 v65, v42, v147
	v_add_f32_e32 v43, v43, v64
	v_fmac_f32_e32 v66, v163, v22
	v_add_f32_e32 v43, v43, v65
	ds_read_b128 v[170:173], v1 offset:608
	ds_read_b128 v[174:177], v1 offset:624
	buffer_load_dword v64, off, s[0:3], 0 offset:248
	buffer_load_dword v65, off, s[0:3], 0 offset:252
	v_fmac_f32_e32 v67, v165, v18
	v_add_f32_e32 v43, v43, v66
	v_add_f32_e32 v43, v43, v67
	buffer_load_dword v66, off, s[0:3], 0 offset:256
	buffer_load_dword v67, off, s[0:3], 0 offset:260
	ds_read_b128 v[178:181], v1 offset:640
	ds_read_b128 v[182:185], v1 offset:656
	buffer_load_dword v68, off, s[0:3], 0 offset:264
	buffer_load_dword v69, off, s[0:3], 0 offset:268
	;; [unrolled: 1-line block ×4, first 2 shown]
	ds_read_b128 v[186:189], v1 offset:672
	buffer_load_dword v72, off, s[0:3], 0 offset:280
	buffer_load_dword v73, off, s[0:3], 0 offset:284
	ds_read_b128 v[190:193], v1 offset:688
	buffer_load_dword v74, off, s[0:3], 0 offset:288
	buffer_load_dword v75, off, s[0:3], 0 offset:292
	;; [unrolled: 1-line block ×6, first 2 shown]
	ds_read_b128 v[194:197], v1 offset:704
	buffer_load_dword v80, off, s[0:3], 0 offset:312
	buffer_load_dword v81, off, s[0:3], 0 offset:316
	ds_read_b128 v[198:201], v1 offset:720
	buffer_load_dword v82, off, s[0:3], 0 offset:320
	buffer_load_dword v83, off, s[0:3], 0 offset:324
	;; [unrolled: 1-line block ×16, first 2 shown]
	v_mul_f32_e32 v10, v28, v10
	v_fma_f32 v10, v27, v146, -v10
	v_mul_f32_e32 v9, v30, v9
	v_add_f32_e32 v10, 0, v10
	v_fma_f32 v9, v29, v21, -v9
	v_mul_f32_e32 v8, v32, v8
	v_add_f32_e32 v9, v10, v9
	v_fma_f32 v8, v31, v17, -v8
	v_mul_f32_e32 v7, v34, v7
	ds_read_b128 v[202:205], v1 offset:736
	buffer_load_dword v98, off, s[0:3], 0 offset:384
	buffer_load_dword v99, off, s[0:3], 0 offset:388
	buffer_load_dword v100, off, s[0:3], 0 offset:396
	buffer_load_dword v101, off, s[0:3], 0 offset:400
	buffer_load_dword v102, off, s[0:3], 0 offset:404
	buffer_load_dword v103, off, s[0:3], 0 offset:392
	v_add_f32_e32 v8, v9, v8
	v_fma_f32 v7, v33, v24, -v7
	v_mul_f32_e32 v6, v36, v6
	v_add_f32_e32 v7, v8, v7
	v_fma_f32 v6, v35, v20, -v6
	v_mul_f32_e32 v5, v38, v5
	;; [unrolled: 3-line block ×3, first 2 shown]
	ds_read_b128 v[206:209], v1 offset:752
	buffer_load_dword v104, off, s[0:3], 0 offset:408
	buffer_load_dword v105, off, s[0:3], 0 offset:412
	v_add_f32_e32 v5, v6, v5
	v_fma_f32 v4, v39, v14, -v4
	v_add_f32_e32 v4, v5, v4
	v_mul_f32_e32 v5, v42, v11
	v_fma_f32 v5, v41, v147, -v5
	v_add_f32_e32 v4, v4, v5
	v_mul_f32_e32 v5, v163, v12
	v_fma_f32 v5, v162, v22, -v5
	buffer_load_dword v106, off, s[0:3], 0 offset:416
	buffer_load_dword v107, off, s[0:3], 0 offset:420
	;; [unrolled: 1-line block ×6, first 2 shown]
	v_add_f32_e32 v4, v4, v5
	v_mul_f32_e32 v5, v165, v13
	s_waitcnt vmcnt(62) lgkmcnt(10)
	v_mul_f32_e32 v44, v166, v19
	v_fma_f32 v5, v164, v18, -v5
	v_fmac_f32_e32 v44, v167, v15
	v_add_f32_e32 v4, v4, v5
	v_mul_f32_e32 v5, v167, v19
	v_add_f32_e32 v43, v43, v44
	v_mul_f32_e32 v44, v168, v23
	buffer_load_dword v112, off, s[0:3], 0 offset:440
	buffer_load_dword v113, off, s[0:3], 0 offset:444
	v_fma_f32 v5, v166, v15, -v5
	v_fmac_f32_e32 v44, v169, v154
	v_add_f32_e32 v4, v4, v5
	v_mul_f32_e32 v5, v169, v23
	v_add_f32_e32 v43, v43, v44
	s_waitcnt lgkmcnt(9)
	v_mul_f32_e32 v44, v170, v153
	v_fma_f32 v5, v168, v154, -v5
	v_fmac_f32_e32 v44, v171, v151
	v_add_f32_e32 v4, v4, v5
	v_mul_f32_e32 v5, v171, v153
	v_add_f32_e32 v43, v43, v44
	v_mul_f32_e32 v44, v172, v152
	v_fma_f32 v5, v170, v151, -v5
	v_fmac_f32_e32 v44, v173, v149
	v_add_f32_e32 v4, v4, v5
	v_mul_f32_e32 v5, v173, v152
	v_add_f32_e32 v43, v43, v44
	s_waitcnt lgkmcnt(8)
	v_mul_f32_e32 v44, v174, v150
	buffer_load_dword v114, off, s[0:3], 0 offset:448
	buffer_load_dword v115, off, s[0:3], 0 offset:452
	;; [unrolled: 1-line block ×6, first 2 shown]
	v_fma_f32 v5, v172, v149, -v5
	v_fmac_f32_e32 v44, v175, v148
	v_add_f32_e32 v4, v4, v5
	v_mul_f32_e32 v5, v175, v150
	v_add_f32_e32 v43, v43, v44
	v_mul_f32_e32 v44, v176, v155
	v_fma_f32 v5, v174, v148, -v5
	v_fmac_f32_e32 v44, v177, v47
	ds_read_b128 v[210:213], v1 offset:768
	ds_read_b128 v[214:217], v1 offset:784
	buffer_load_dword v255, off, s[0:3], 0 offset:472
	buffer_load_dword v119, off, s[0:3], 0 offset:476
	v_add_f32_e32 v4, v4, v5
	v_mul_f32_e32 v5, v177, v155
	v_add_f32_e32 v43, v43, v44
	s_waitcnt lgkmcnt(9)
	v_mul_f32_e32 v44, v178, v157
	v_fma_f32 v5, v176, v47, -v5
	v_fmac_f32_e32 v44, v179, v156
	v_add_f32_e32 v4, v4, v5
	v_mul_f32_e32 v5, v179, v157
	v_add_f32_e32 v43, v43, v44
	v_mul_f32_e32 v44, v180, v159
	v_fma_f32 v5, v178, v156, -v5
	v_fmac_f32_e32 v44, v181, v158
	v_add_f32_e32 v4, v4, v5
	v_mul_f32_e32 v5, v181, v159
	v_add_f32_e32 v43, v43, v44
	s_waitcnt lgkmcnt(8)
	v_mul_f32_e32 v44, v182, v161
	v_fma_f32 v5, v180, v158, -v5
	v_fmac_f32_e32 v44, v183, v160
	v_add_f32_e32 v4, v4, v5
	v_mul_f32_e32 v5, v183, v161
	v_add_f32_e32 v43, v43, v44
	v_mul_f32_e32 v44, v184, v49
	v_fma_f32 v5, v182, v160, -v5
	v_fmac_f32_e32 v44, v185, v48
	v_add_f32_e32 v4, v4, v5
	v_mul_f32_e32 v5, v185, v49
	v_add_f32_e32 v43, v43, v44
	s_waitcnt vmcnt(62) lgkmcnt(7)
	v_mul_f32_e32 v44, v186, v51
	v_fma_f32 v5, v184, v48, -v5
	v_fmac_f32_e32 v44, v187, v50
	v_add_f32_e32 v4, v4, v5
	v_mul_f32_e32 v5, v187, v51
	v_add_f32_e32 v43, v43, v44
	v_mul_f32_e32 v44, v188, v53
	v_fma_f32 v5, v186, v50, -v5
	v_fmac_f32_e32 v44, v189, v52
	v_add_f32_e32 v4, v4, v5
	v_mul_f32_e32 v5, v189, v53
	v_add_f32_e32 v43, v43, v44
	s_waitcnt lgkmcnt(6)
	v_mul_f32_e32 v44, v190, v55
	v_fma_f32 v5, v188, v52, -v5
	v_fmac_f32_e32 v44, v191, v54
	v_add_f32_e32 v4, v4, v5
	v_mul_f32_e32 v5, v191, v55
	v_add_f32_e32 v43, v43, v44
	v_mul_f32_e32 v44, v192, v57
	v_fma_f32 v5, v190, v54, -v5
	v_fmac_f32_e32 v44, v193, v56
	v_add_f32_e32 v4, v4, v5
	v_mul_f32_e32 v5, v193, v57
	v_add_f32_e32 v43, v43, v44
	s_waitcnt lgkmcnt(5)
	v_mul_f32_e32 v44, v194, v59
	v_fma_f32 v5, v192, v56, -v5
	v_fmac_f32_e32 v44, v195, v58
	v_add_f32_e32 v4, v4, v5
	v_mul_f32_e32 v5, v195, v59
	v_add_f32_e32 v43, v43, v44
	s_waitcnt vmcnt(60)
	v_mul_f32_e32 v44, v196, v61
	v_fma_f32 v5, v194, v58, -v5
	v_fmac_f32_e32 v44, v197, v60
	v_add_f32_e32 v4, v4, v5
	v_mul_f32_e32 v5, v197, v61
	v_add_f32_e32 v43, v43, v44
	s_waitcnt vmcnt(58) lgkmcnt(4)
	v_mul_f32_e32 v44, v198, v63
	v_fma_f32 v5, v196, v60, -v5
	v_fmac_f32_e32 v44, v199, v62
	v_add_f32_e32 v4, v4, v5
	v_mul_f32_e32 v5, v199, v63
	v_add_f32_e32 v43, v43, v44
	s_waitcnt vmcnt(56)
	v_mul_f32_e32 v44, v200, v65
	v_fma_f32 v5, v198, v62, -v5
	v_fmac_f32_e32 v44, v201, v64
	v_add_f32_e32 v4, v4, v5
	v_mul_f32_e32 v5, v201, v65
	v_add_f32_e32 v43, v43, v44
	s_waitcnt vmcnt(54) lgkmcnt(3)
	;; [unrolled: 14-line block ×4, first 2 shown]
	v_mul_f32_e32 v44, v210, v75
	v_fma_f32 v5, v208, v72, -v5
	v_fmac_f32_e32 v44, v211, v74
	v_add_f32_e32 v4, v4, v5
	v_mul_f32_e32 v5, v211, v75
	v_add_f32_e32 v43, v43, v44
	s_waitcnt vmcnt(45)
	v_mul_f32_e32 v44, v212, v76
	v_fma_f32 v5, v210, v74, -v5
	s_waitcnt vmcnt(42)
	v_fmac_f32_e32 v44, v213, v79
	ds_read_b128 v[218:221], v1 offset:800
	ds_read_b128 v[222:225], v1 offset:816
	v_add_f32_e32 v4, v4, v5
	v_mul_f32_e32 v5, v213, v76
	v_add_f32_e32 v43, v43, v44
	s_waitcnt lgkmcnt(2)
	v_mul_f32_e32 v44, v214, v78
	v_fma_f32 v5, v212, v79, -v5
	v_fmac_f32_e32 v44, v215, v77
	v_add_f32_e32 v4, v4, v5
	v_mul_f32_e32 v5, v215, v78
	v_add_f32_e32 v43, v43, v44
	s_waitcnt vmcnt(40)
	v_mul_f32_e32 v44, v216, v81
	v_fma_f32 v5, v214, v77, -v5
	v_fmac_f32_e32 v44, v217, v80
	v_add_f32_e32 v4, v4, v5
	v_mul_f32_e32 v5, v217, v81
	v_add_f32_e32 v43, v43, v44
	s_waitcnt vmcnt(38) lgkmcnt(1)
	v_mul_f32_e32 v44, v218, v83
	v_fma_f32 v5, v216, v80, -v5
	v_fmac_f32_e32 v44, v219, v82
	v_add_f32_e32 v4, v4, v5
	v_mul_f32_e32 v5, v219, v83
	v_add_f32_e32 v43, v43, v44
	s_waitcnt vmcnt(37)
	v_mul_f32_e32 v44, v220, v84
	v_fma_f32 v5, v218, v82, -v5
	s_waitcnt vmcnt(34)
	v_fmac_f32_e32 v44, v221, v87
	ds_read_b128 v[226:229], v1 offset:832
	ds_read_b128 v[230:233], v1 offset:848
	v_add_f32_e32 v4, v4, v5
	v_mul_f32_e32 v5, v221, v84
	v_add_f32_e32 v43, v43, v44
	s_waitcnt lgkmcnt(2)
	v_mul_f32_e32 v44, v222, v86
	v_fma_f32 v5, v220, v87, -v5
	v_fmac_f32_e32 v44, v223, v85
	v_add_f32_e32 v4, v4, v5
	v_mul_f32_e32 v5, v223, v86
	v_add_f32_e32 v43, v43, v44
	s_waitcnt vmcnt(32)
	v_mul_f32_e32 v44, v224, v89
	v_fma_f32 v5, v222, v85, -v5
	v_fmac_f32_e32 v44, v225, v88
	v_add_f32_e32 v4, v4, v5
	v_mul_f32_e32 v5, v225, v89
	v_add_f32_e32 v43, v43, v44
	s_waitcnt vmcnt(30) lgkmcnt(1)
	;; [unrolled: 31-line block ×4, first 2 shown]
	v_mul_f32_e32 v44, v242, v107
	v_fma_f32 v5, v240, v104, -v5
	v_fmac_f32_e32 v44, v243, v106
	v_add_f32_e32 v4, v4, v5
	v_mul_f32_e32 v5, v243, v107
	v_add_f32_e32 v43, v43, v44
	s_waitcnt vmcnt(13)
	v_mul_f32_e32 v44, v244, v108
	v_fma_f32 v5, v242, v106, -v5
	s_waitcnt vmcnt(10)
	v_fmac_f32_e32 v44, v245, v111
	v_add_f32_e32 v4, v4, v5
	v_mul_f32_e32 v5, v245, v108
	v_add_f32_e32 v43, v43, v44
	s_waitcnt lgkmcnt(0)
	v_mul_f32_e32 v44, v246, v110
	ds_read_b128 v[250:253], v1 offset:928
	v_fma_f32 v5, v244, v111, -v5
	v_fmac_f32_e32 v44, v247, v109
	v_add_f32_e32 v4, v4, v5
	v_mul_f32_e32 v5, v247, v110
	v_add_f32_e32 v43, v43, v44
	s_waitcnt vmcnt(8)
	v_mul_f32_e32 v44, v248, v113
	v_fma_f32 v5, v246, v109, -v5
	v_fmac_f32_e32 v44, v249, v112
	v_add_f32_e32 v4, v4, v5
	v_mul_f32_e32 v5, v249, v113
	v_add_f32_e32 v120, v43, v44
	ds_read_b128 v[43:46], v1 offset:944
	v_fma_f32 v5, v248, v112, -v5
	v_add_f32_e32 v4, v4, v5
	s_waitcnt vmcnt(6) lgkmcnt(1)
	v_mul_f32_e32 v5, v251, v115
	v_mul_f32_e32 v1, v250, v115
	v_fma_f32 v5, v250, v114, -v5
	v_fmac_f32_e32 v1, v251, v114
	v_add_f32_e32 v4, v4, v5
	s_waitcnt vmcnt(5)
	v_mul_f32_e32 v5, v253, v116
	v_add_f32_e32 v1, v120, v1
	v_mul_f32_e32 v120, v252, v116
	s_waitcnt vmcnt(2)
	v_fma_f32 v5, v252, v254, -v5
	v_fmac_f32_e32 v120, v253, v254
	v_add_f32_e32 v4, v4, v5
	s_waitcnt lgkmcnt(0)
	v_mul_f32_e32 v5, v44, v118
	v_add_f32_e32 v1, v1, v120
	v_mul_f32_e32 v120, v43, v118
	v_fma_f32 v5, v43, v117, -v5
	v_fmac_f32_e32 v120, v44, v117
	v_add_f32_e32 v4, v4, v5
	s_waitcnt vmcnt(0)
	v_mul_f32_e32 v5, v46, v119
	v_add_f32_e32 v1, v1, v120
	v_mul_f32_e32 v120, v45, v119
	v_fma_f32 v5, v45, v255, -v5
	v_fmac_f32_e32 v120, v46, v255
	v_add_f32_e32 v4, v4, v5
	v_add_f32_e32 v1, v1, v120
	v_sub_f32_e32 v2, v2, v4
	v_sub_f32_e32 v1, v3, v1
	buffer_store_dword v2, off, s[0:3], 0 offset:24
	buffer_store_dword v1, off, s[0:3], 0 offset:28
	s_and_saveexec_b64 s[4:5], vcc
	s_cbranch_execz .LBB59_369
; %bb.368:
	buffer_load_dword v1, off, s[0:3], 0 offset:16
	buffer_load_dword v2, off, s[0:3], 0 offset:20
	v_mov_b32_e32 v3, 0
	buffer_store_dword v3, off, s[0:3], 0 offset:16
	buffer_store_dword v3, off, s[0:3], 0 offset:20
	s_waitcnt vmcnt(2)
	ds_write_b64 v145, v[1:2]
.LBB59_369:
	s_or_b64 exec, exec, s[4:5]
	s_waitcnt lgkmcnt(0)
	; wave barrier
	buffer_load_dword v9, off, s[0:3], 0 offset:28
	buffer_load_dword v8, off, s[0:3], 0 offset:36
	;; [unrolled: 1-line block ×52, first 2 shown]
	v_mov_b32_e32 v146, 0
	ds_read2_b64 v[27:30], v146 offset0:63 offset1:64
	ds_read2_b64 v[31:34], v146 offset0:65 offset1:66
	;; [unrolled: 1-line block ×6, first 2 shown]
	buffer_load_dword v61, off, s[0:3], 0 offset:228
	buffer_load_dword v62, off, s[0:3], 0 offset:224
	;; [unrolled: 1-line block ×4, first 2 shown]
	ds_read2_b64 v[179:182], v146 offset0:75 offset1:76
	buffer_load_dword v65, off, s[0:3], 0 offset:240
	buffer_load_dword v66, off, s[0:3], 0 offset:244
	;; [unrolled: 1-line block ×3, first 2 shown]
	ds_read2_b64 v[183:186], v146 offset0:77 offset1:78
	ds_read2_b64 v[187:190], v146 offset0:79 offset1:80
	;; [unrolled: 1-line block ×3, first 2 shown]
	buffer_load_dword v68, off, s[0:3], 0 offset:248
	buffer_load_dword v69, off, s[0:3], 0 offset:256
	;; [unrolled: 1-line block ×5, first 2 shown]
	ds_read2_b64 v[195:198], v146 offset0:83 offset1:84
	buffer_load_dword v73, off, s[0:3], 0 offset:272
	buffer_load_dword v74, off, s[0:3], 0 offset:276
	ds_read2_b64 v[199:202], v146 offset0:85 offset1:86
	buffer_load_dword v75, off, s[0:3], 0 offset:280
	buffer_load_dword v76, off, s[0:3], 0 offset:284
	;; [unrolled: 3-line block ×3, first 2 shown]
	buffer_load_dword v79, off, s[0:3], 0 offset:300
	buffer_load_dword v80, off, s[0:3], 0 offset:288
	ds_read2_b64 v[207:210], v146 offset0:89 offset1:90
	buffer_load_dword v81, off, s[0:3], 0 offset:304
	buffer_load_dword v82, off, s[0:3], 0 offset:308
	buffer_load_dword v83, off, s[0:3], 0 offset:312
	buffer_load_dword v84, off, s[0:3], 0 offset:316
	buffer_load_dword v85, off, s[0:3], 0 offset:324
	buffer_load_dword v86, off, s[0:3], 0 offset:328
	buffer_load_dword v87, off, s[0:3], 0 offset:332
	buffer_load_dword v88, off, s[0:3], 0 offset:320
	buffer_load_dword v89, off, s[0:3], 0 offset:336
	buffer_load_dword v90, off, s[0:3], 0 offset:340
	buffer_load_dword v91, off, s[0:3], 0 offset:344
	buffer_load_dword v92, off, s[0:3], 0 offset:348
	buffer_load_dword v93, off, s[0:3], 0 offset:356
	buffer_load_dword v94, off, s[0:3], 0 offset:360
	buffer_load_dword v95, off, s[0:3], 0 offset:364
	buffer_load_dword v96, off, s[0:3], 0 offset:352
	ds_read2_b64 v[211:214], v146 offset0:91 offset1:92
	buffer_load_dword v97, off, s[0:3], 0 offset:368
	buffer_load_dword v98, off, s[0:3], 0 offset:372
	ds_read2_b64 v[215:218], v146 offset0:93 offset1:94
	buffer_load_dword v99, off, s[0:3], 0 offset:376
	buffer_load_dword v100, off, s[0:3], 0 offset:380
	;; [unrolled: 1-line block ×16, first 2 shown]
	ds_read2_b64 v[219:222], v146 offset0:95 offset1:96
	buffer_load_dword v115, off, s[0:3], 0 offset:440
	buffer_load_dword v116, off, s[0:3], 0 offset:444
	;; [unrolled: 1-line block ×6, first 2 shown]
	ds_read2_b64 v[223:226], v146 offset0:97 offset1:98
	buffer_load_dword v255, off, s[0:3], 0 offset:468
	buffer_load_dword v121, off, s[0:3], 0 offset:472
	;; [unrolled: 1-line block ×4, first 2 shown]
	ds_read2_b64 v[227:230], v146 offset0:99 offset1:100
	ds_read2_b64 v[231:234], v146 offset0:101 offset1:102
	;; [unrolled: 1-line block ×7, first 2 shown]
	v_cmp_lt_u32_e32 vcc, 1, v0
	s_waitcnt vmcnt(62) lgkmcnt(14)
	v_mul_f32_e32 v47, v27, v9
	v_mul_f32_e32 v9, v28, v9
	;; [unrolled: 1-line block ×7, first 2 shown]
	v_fmac_f32_e32 v49, v32, v14
	v_fmac_f32_e32 v48, v30, v16
	;; [unrolled: 1-line block ×3, first 2 shown]
	v_fma_f32 v9, v27, v19, -v9
	v_add_f32_e32 v47, 0, v47
	v_add_f32_e32 v9, 0, v9
	v_fma_f32 v8, v29, v16, -v8
	v_add_f32_e32 v47, v47, v48
	v_add_f32_e32 v8, v9, v8
	v_fma_f32 v7, v31, v14, -v7
	v_mul_f32_e32 v6, v34, v6
	v_mul_f32_e32 v51, v35, v5
	v_fmac_f32_e32 v50, v34, v147
	v_add_f32_e32 v47, v47, v49
	v_add_f32_e32 v7, v8, v7
	v_fma_f32 v6, v33, v147, -v6
	v_mul_f32_e32 v5, v36, v5
	v_mul_f32_e32 v52, v37, v4
	v_fmac_f32_e32 v51, v36, v24
	;; [unrolled: 6-line block ×4, first 2 shown]
	v_add_f32_e32 v47, v47, v52
	v_add_f32_e32 v4, v5, v4
	v_fma_f32 v3, v39, v20, -v3
	v_mul_f32_e32 v55, v43, v11
	v_fmac_f32_e32 v54, v42, v23
	v_add_f32_e32 v47, v47, v53
	v_add_f32_e32 v3, v4, v3
	v_mul_f32_e32 v4, v42, v12
	v_mul_f32_e32 v56, v45, v10
	v_fmac_f32_e32 v55, v44, v21
	v_add_f32_e32 v47, v47, v54
	v_fma_f32 v4, v41, v23, -v4
	v_mul_f32_e32 v57, v175, v13
	v_fmac_f32_e32 v56, v46, v17
	v_add_f32_e32 v47, v47, v55
	v_add_f32_e32 v3, v3, v4
	v_mul_f32_e32 v4, v44, v11
	v_add_f32_e32 v47, v47, v56
	v_fmac_f32_e32 v57, v176, v15
	v_mul_f32_e32 v48, v177, v18
	v_fma_f32 v4, v43, v21, -v4
	v_add_f32_e32 v47, v47, v57
	v_fmac_f32_e32 v48, v178, v154
	v_add_f32_e32 v3, v3, v4
	v_mul_f32_e32 v4, v46, v10
	v_add_f32_e32 v47, v47, v48
	v_mul_f32_e32 v48, v179, v153
	v_fma_f32 v4, v45, v17, -v4
	v_fmac_f32_e32 v48, v180, v151
	v_add_f32_e32 v3, v3, v4
	v_mul_f32_e32 v4, v176, v13
	v_add_f32_e32 v47, v47, v48
	v_mul_f32_e32 v48, v181, v152
	v_fma_f32 v4, v175, v15, -v4
	;; [unrolled: 6-line block ×10, first 2 shown]
	v_fmac_f32_e32 v48, v198, v167
	v_add_f32_e32 v3, v3, v4
	v_mul_f32_e32 v4, v194, v164
	v_add_f32_e32 v47, v47, v48
	s_waitcnt lgkmcnt(13)
	v_mul_f32_e32 v48, v199, v170
	v_fma_f32 v4, v193, v163, -v4
	v_fmac_f32_e32 v48, v200, v169
	v_add_f32_e32 v3, v3, v4
	v_mul_f32_e32 v4, v196, v166
	v_add_f32_e32 v47, v47, v48
	v_mul_f32_e32 v48, v201, v172
	v_fma_f32 v4, v195, v165, -v4
	v_fmac_f32_e32 v48, v202, v171
	v_add_f32_e32 v3, v3, v4
	v_mul_f32_e32 v4, v198, v168
	v_add_f32_e32 v47, v47, v48
	s_waitcnt lgkmcnt(12)
	v_mul_f32_e32 v48, v203, v174
	v_fma_f32 v4, v197, v167, -v4
	v_fmac_f32_e32 v48, v204, v173
	v_add_f32_e32 v3, v3, v4
	v_mul_f32_e32 v4, v200, v170
	v_add_f32_e32 v47, v47, v48
	v_mul_f32_e32 v48, v205, v61
	v_fma_f32 v4, v199, v169, -v4
	v_fmac_f32_e32 v48, v206, v62
	v_add_f32_e32 v3, v3, v4
	v_mul_f32_e32 v4, v202, v172
	v_add_f32_e32 v47, v47, v48
	s_waitcnt vmcnt(60) lgkmcnt(11)
	v_mul_f32_e32 v48, v207, v64
	v_fma_f32 v4, v201, v171, -v4
	v_fmac_f32_e32 v48, v208, v63
	v_add_f32_e32 v3, v3, v4
	v_mul_f32_e32 v4, v204, v174
	v_add_f32_e32 v47, v47, v48
	s_waitcnt vmcnt(58)
	v_mul_f32_e32 v48, v209, v66
	v_fma_f32 v4, v203, v173, -v4
	v_fmac_f32_e32 v48, v210, v65
	v_add_f32_e32 v3, v3, v4
	v_mul_f32_e32 v4, v206, v61
	v_add_f32_e32 v47, v47, v48
	s_waitcnt vmcnt(57) lgkmcnt(10)
	v_mul_f32_e32 v48, v211, v67
	v_fma_f32 v4, v205, v62, -v4
	s_waitcnt vmcnt(56)
	v_fmac_f32_e32 v48, v212, v68
	v_add_f32_e32 v3, v3, v4
	v_mul_f32_e32 v4, v208, v64
	v_add_f32_e32 v47, v47, v48
	s_waitcnt vmcnt(54)
	v_mul_f32_e32 v48, v213, v70
	v_fma_f32 v4, v207, v63, -v4
	v_fmac_f32_e32 v48, v214, v69
	v_add_f32_e32 v3, v3, v4
	v_mul_f32_e32 v4, v210, v66
	v_add_f32_e32 v47, v47, v48
	s_waitcnt vmcnt(52) lgkmcnt(9)
	v_mul_f32_e32 v48, v215, v72
	v_fma_f32 v4, v209, v65, -v4
	v_fmac_f32_e32 v48, v216, v71
	v_add_f32_e32 v3, v3, v4
	v_mul_f32_e32 v4, v212, v67
	v_add_f32_e32 v47, v47, v48
	s_waitcnt vmcnt(50)
	v_mul_f32_e32 v48, v217, v74
	v_fma_f32 v4, v211, v68, -v4
	v_fmac_f32_e32 v48, v218, v73
	v_add_f32_e32 v3, v3, v4
	v_mul_f32_e32 v4, v214, v70
	v_add_f32_e32 v47, v47, v48
	s_waitcnt vmcnt(48) lgkmcnt(8)
	v_mul_f32_e32 v48, v219, v76
	v_fma_f32 v4, v213, v69, -v4
	v_fmac_f32_e32 v48, v220, v75
	v_add_f32_e32 v3, v3, v4
	v_mul_f32_e32 v4, v216, v72
	v_add_f32_e32 v47, v47, v48
	s_waitcnt vmcnt(47)
	v_mul_f32_e32 v48, v221, v77
	v_fma_f32 v4, v215, v71, -v4
	s_waitcnt vmcnt(44)
	v_fmac_f32_e32 v48, v222, v80
	v_add_f32_e32 v3, v3, v4
	v_mul_f32_e32 v4, v218, v74
	v_add_f32_e32 v47, v47, v48
	s_waitcnt lgkmcnt(7)
	v_mul_f32_e32 v48, v223, v79
	v_fma_f32 v4, v217, v73, -v4
	v_fmac_f32_e32 v48, v224, v78
	v_add_f32_e32 v3, v3, v4
	v_mul_f32_e32 v4, v220, v76
	v_add_f32_e32 v47, v47, v48
	s_waitcnt vmcnt(42)
	v_mul_f32_e32 v48, v225, v82
	v_fma_f32 v4, v219, v75, -v4
	v_fmac_f32_e32 v48, v226, v81
	v_add_f32_e32 v3, v3, v4
	v_mul_f32_e32 v4, v222, v77
	v_add_f32_e32 v47, v47, v48
	s_waitcnt vmcnt(40) lgkmcnt(6)
	v_mul_f32_e32 v48, v227, v84
	v_fma_f32 v4, v221, v80, -v4
	v_fmac_f32_e32 v48, v228, v83
	v_add_f32_e32 v3, v3, v4
	v_mul_f32_e32 v4, v224, v79
	v_add_f32_e32 v47, v47, v48
	s_waitcnt vmcnt(39)
	v_mul_f32_e32 v48, v229, v85
	v_fma_f32 v4, v223, v78, -v4
	s_waitcnt vmcnt(36)
	v_fmac_f32_e32 v48, v230, v88
	v_add_f32_e32 v3, v3, v4
	v_mul_f32_e32 v4, v226, v82
	v_add_f32_e32 v47, v47, v48
	s_waitcnt lgkmcnt(5)
	;; [unrolled: 29-line block ×4, first 2 shown]
	v_mul_f32_e32 v48, v247, v103
	v_fma_f32 v4, v241, v97, -v4
	v_fmac_f32_e32 v48, v248, v102
	v_add_f32_e32 v3, v3, v4
	v_mul_f32_e32 v4, v244, v100
	v_add_f32_e32 v47, v47, v48
	s_waitcnt vmcnt(18)
	v_mul_f32_e32 v48, v249, v106
	v_fma_f32 v4, v243, v99, -v4
	v_fmac_f32_e32 v48, v250, v105
	v_add_f32_e32 v3, v3, v4
	v_mul_f32_e32 v4, v246, v101
	v_add_f32_e32 v51, v47, v48
	ds_read2_b64 v[47:50], v146 offset0:113 offset1:114
	v_fma_f32 v4, v245, v104, -v4
	s_waitcnt vmcnt(16) lgkmcnt(1)
	v_mul_f32_e32 v52, v251, v108
	v_add_f32_e32 v3, v3, v4
	v_mul_f32_e32 v4, v248, v103
	v_fmac_f32_e32 v52, v252, v107
	v_fma_f32 v4, v247, v102, -v4
	v_add_f32_e32 v51, v51, v52
	s_waitcnt vmcnt(15)
	v_mul_f32_e32 v52, v253, v109
	v_add_f32_e32 v3, v3, v4
	v_mul_f32_e32 v4, v250, v106
	s_waitcnt vmcnt(12)
	v_fmac_f32_e32 v52, v254, v112
	v_fma_f32 v4, v249, v105, -v4
	v_add_f32_e32 v51, v51, v52
	s_waitcnt lgkmcnt(0)
	v_mul_f32_e32 v52, v47, v111
	v_add_f32_e32 v3, v3, v4
	v_mul_f32_e32 v4, v252, v108
	v_fmac_f32_e32 v52, v48, v110
	v_fma_f32 v4, v251, v107, -v4
	v_add_f32_e32 v55, v51, v52
	ds_read2_b64 v[51:54], v146 offset0:115 offset1:116
	v_add_f32_e32 v3, v3, v4
	v_mul_f32_e32 v4, v254, v109
	v_fma_f32 v4, v253, v112, -v4
	v_add_f32_e32 v3, v3, v4
	v_mul_f32_e32 v4, v48, v111
	s_waitcnt vmcnt(10)
	v_mul_f32_e32 v56, v49, v114
	v_fma_f32 v4, v47, v110, -v4
	v_fmac_f32_e32 v56, v50, v113
	v_add_f32_e32 v3, v3, v4
	v_mul_f32_e32 v4, v50, v114
	v_add_f32_e32 v59, v55, v56
	ds_read2_b64 v[55:58], v146 offset0:117 offset1:118
	s_waitcnt vmcnt(8) lgkmcnt(1)
	v_mul_f32_e32 v60, v51, v116
	v_fma_f32 v4, v49, v113, -v4
	v_fmac_f32_e32 v60, v52, v115
	v_add_f32_e32 v3, v3, v4
	v_mul_f32_e32 v4, v52, v116
	v_add_f32_e32 v59, v59, v60
	s_waitcnt vmcnt(7)
	v_mul_f32_e32 v60, v53, v117
	v_fma_f32 v4, v51, v115, -v4
	s_waitcnt vmcnt(4)
	v_fmac_f32_e32 v60, v54, v120
	v_add_f32_e32 v3, v3, v4
	v_mul_f32_e32 v4, v54, v117
	v_add_f32_e32 v124, v59, v60
	ds_read_b64 v[59:60], v146 offset:952
	v_fma_f32 v4, v53, v120, -v4
	v_add_f32_e32 v3, v3, v4
	s_waitcnt lgkmcnt(1)
	v_mul_f32_e32 v4, v56, v119
	v_mul_f32_e32 v125, v55, v119
	v_fma_f32 v4, v55, v118, -v4
	v_fmac_f32_e32 v125, v56, v118
	v_add_f32_e32 v3, v3, v4
	s_waitcnt vmcnt(3)
	v_mul_f32_e32 v4, v58, v255
	v_add_f32_e32 v124, v124, v125
	v_mul_f32_e32 v125, v57, v255
	s_waitcnt vmcnt(0)
	v_fma_f32 v4, v57, v123, -v4
	v_fmac_f32_e32 v125, v58, v123
	v_add_f32_e32 v3, v3, v4
	s_waitcnt lgkmcnt(0)
	v_mul_f32_e32 v4, v60, v122
	v_add_f32_e32 v124, v124, v125
	v_mul_f32_e32 v125, v59, v122
	v_fma_f32 v4, v59, v121, -v4
	v_fmac_f32_e32 v125, v60, v121
	v_add_f32_e32 v3, v3, v4
	v_add_f32_e32 v124, v124, v125
	v_sub_f32_e32 v1, v1, v3
	v_sub_f32_e32 v2, v2, v124
	buffer_store_dword v1, off, s[0:3], 0 offset:16
	buffer_store_dword v2, off, s[0:3], 0 offset:20
	s_and_saveexec_b64 s[4:5], vcc
	s_cbranch_execz .LBB59_371
; %bb.370:
	buffer_load_dword v1, off, s[0:3], 0 offset:8
	buffer_load_dword v2, off, s[0:3], 0 offset:12
	s_waitcnt vmcnt(0)
	ds_write_b64 v145, v[1:2]
	buffer_store_dword v146, off, s[0:3], 0 offset:8
	buffer_store_dword v146, off, s[0:3], 0 offset:12
.LBB59_371:
	s_or_b64 exec, exec, s[4:5]
	s_waitcnt lgkmcnt(0)
	; wave barrier
	buffer_load_dword v155, off, s[0:3], 0 offset:20
	buffer_load_dword v154, off, s[0:3], 0 offset:28
	buffer_load_dword v153, off, s[0:3], 0 offset:36
	buffer_load_dword v152, off, s[0:3], 0 offset:44
	buffer_load_dword v151, off, s[0:3], 0 offset:52
	buffer_load_dword v150, off, s[0:3], 0 offset:60
	buffer_load_dword v149, off, s[0:3], 0 offset:68
	buffer_load_dword v156, off, s[0:3], 0 offset:76
	buffer_load_dword v157, off, s[0:3], 0 offset:84
	buffer_load_dword v160, off, s[0:3], 0 offset:32
	buffer_load_dword v163, off, s[0:3], 0 offset:24
	buffer_load_dword v166, off, s[0:3], 0 offset:16
	buffer_load_dword v158, off, s[0:3], 0 offset:64
	buffer_load_dword v159, off, s[0:3], 0 offset:56
	buffer_load_dword v161, off, s[0:3], 0 offset:48
	buffer_load_dword v164, off, s[0:3], 0 offset:40
	buffer_load_dword v162, off, s[0:3], 0 offset:96
	buffer_load_dword v165, off, s[0:3], 0 offset:88
	buffer_load_dword v168, off, s[0:3], 0 offset:80
	buffer_load_dword v171, off, s[0:3], 0 offset:72
	buffer_load_dword v169, off, s[0:3], 0 offset:92
	buffer_load_dword v167, off, s[0:3], 0 offset:100
	buffer_load_dword v170, off, s[0:3], 0 offset:108
	buffer_load_dword v172, off, s[0:3], 0 offset:128
	buffer_load_dword v173, off, s[0:3], 0 offset:120
	buffer_load_dword v175, off, s[0:3], 0 offset:112
	buffer_load_dword v178, off, s[0:3], 0 offset:104
	buffer_load_dword v177, off, s[0:3], 0 offset:116
	buffer_load_dword v176, off, s[0:3], 0 offset:124
	buffer_load_dword v174, off, s[0:3], 0 offset:132
	buffer_load_dword v147, off, s[0:3], 0 offset:8
	buffer_load_dword v148, off, s[0:3], 0 offset:12
	buffer_load_dword v179, off, s[0:3], 0 offset:136
	buffer_load_dword v180, off, s[0:3], 0 offset:140
	ds_read_b128 v[17:20], v146 offset:496
	ds_read_b128 v[9:12], v146 offset:512
	ds_read_b128 v[5:8], v146 offset:528
	ds_read_b128 v[1:4], v146 offset:544
	buffer_load_dword v181, off, s[0:3], 0 offset:148
	buffer_load_dword v182, off, s[0:3], 0 offset:152
	buffer_load_dword v183, off, s[0:3], 0 offset:156
	buffer_load_dword v184, off, s[0:3], 0 offset:160
	buffer_load_dword v185, off, s[0:3], 0 offset:164
	buffer_load_dword v187, off, s[0:3], 0 offset:144
	ds_read_b128 v[21:24], v146 offset:560
	ds_read_b128 v[13:16], v146 offset:576
	buffer_load_dword v186, off, s[0:3], 0 offset:168
	buffer_load_dword v188, off, s[0:3], 0 offset:172
	;; [unrolled: 1-line block ×16, first 2 shown]
	v_cmp_ne_u32_e32 vcc, 0, v0
	s_waitcnt vmcnt(55) lgkmcnt(5)
	v_mul_f32_e32 v27, v17, v155
	s_waitcnt vmcnt(54)
	v_mul_f32_e32 v28, v19, v154
	s_waitcnt vmcnt(53) lgkmcnt(4)
	v_mul_f32_e32 v29, v9, v153
	s_waitcnt vmcnt(52)
	v_mul_f32_e32 v30, v11, v152
	;; [unrolled: 4-line block ×4, first 2 shown]
	s_waitcnt vmcnt(47) lgkmcnt(1)
	v_mul_f32_e32 v35, v21, v157
	s_waitcnt vmcnt(46)
	v_fmac_f32_e32 v29, v10, v160
	s_waitcnt vmcnt(45)
	v_fmac_f32_e32 v28, v20, v163
	;; [unrolled: 2-line block ×3, first 2 shown]
	v_add_f32_e32 v27, 0, v27
	v_add_f32_e32 v27, v27, v28
	v_add_f32_e32 v27, v27, v29
	s_waitcnt vmcnt(40)
	v_fmac_f32_e32 v30, v12, v164
	v_fmac_f32_e32 v31, v6, v161
	v_add_f32_e32 v27, v27, v30
	v_fmac_f32_e32 v32, v8, v159
	v_add_f32_e32 v27, v27, v31
	;; [unrolled: 2-line block ×3, first 2 shown]
	s_waitcnt vmcnt(36)
	v_fmac_f32_e32 v34, v4, v171
	v_add_f32_e32 v27, v27, v33
	v_fmac_f32_e32 v35, v22, v168
	v_add_f32_e32 v27, v27, v34
	s_waitcnt vmcnt(35)
	v_mul_f32_e32 v28, v23, v169
	v_add_f32_e32 v27, v27, v35
	v_fmac_f32_e32 v28, v24, v165
	v_add_f32_e32 v27, v27, v28
	s_waitcnt vmcnt(34) lgkmcnt(0)
	v_mul_f32_e32 v28, v13, v167
	v_fmac_f32_e32 v28, v14, v162
	v_add_f32_e32 v31, v27, v28
	ds_read_b128 v[27:30], v146 offset:592
	s_waitcnt vmcnt(33)
	v_mul_f32_e32 v32, v15, v170
	s_waitcnt vmcnt(29)
	v_fmac_f32_e32 v32, v16, v178
	buffer_load_dword v66, off, s[0:3], 0 offset:232
	buffer_load_dword v67, off, s[0:3], 0 offset:236
	v_add_f32_e32 v35, v31, v32
	ds_read_b128 v[31:34], v146 offset:608
	s_waitcnt vmcnt(30) lgkmcnt(1)
	v_mul_f32_e32 v36, v27, v177
	v_fmac_f32_e32 v36, v28, v175
	v_add_f32_e32 v35, v35, v36
	s_waitcnt vmcnt(29)
	v_mul_f32_e32 v36, v29, v176
	v_fmac_f32_e32 v36, v30, v173
	v_add_f32_e32 v35, v35, v36
	s_waitcnt vmcnt(28) lgkmcnt(0)
	v_mul_f32_e32 v36, v31, v174
	v_fmac_f32_e32 v36, v32, v172
	buffer_load_dword v68, off, s[0:3], 0 offset:240
	buffer_load_dword v69, off, s[0:3], 0 offset:244
	v_add_f32_e32 v39, v35, v36
	ds_read_b128 v[35:38], v146 offset:624
	s_waitcnt vmcnt(26)
	v_mul_f32_e32 v40, v33, v180
	v_fmac_f32_e32 v40, v34, v179
	v_add_f32_e32 v43, v39, v40
	ds_read_b128 v[39:42], v146 offset:640
	s_waitcnt vmcnt(25) lgkmcnt(1)
	v_mul_f32_e32 v44, v35, v181
	s_waitcnt vmcnt(20)
	v_fmac_f32_e32 v44, v36, v187
	v_add_f32_e32 v43, v43, v44
	v_mul_f32_e32 v44, v37, v183
	v_fmac_f32_e32 v44, v38, v182
	v_add_f32_e32 v43, v43, v44
	s_waitcnt lgkmcnt(0)
	v_mul_f32_e32 v44, v39, v185
	v_fmac_f32_e32 v44, v40, v184
	buffer_load_dword v70, off, s[0:3], 0 offset:252
	buffer_load_dword v71, off, s[0:3], 0 offset:248
	;; [unrolled: 1-line block ×6, first 2 shown]
	v_add_f32_e32 v47, v43, v44
	ds_read_b128 v[43:46], v146 offset:656
	s_waitcnt vmcnt(24)
	v_mul_f32_e32 v48, v41, v188
	v_fmac_f32_e32 v48, v42, v186
	v_add_f32_e32 v51, v47, v48
	ds_read_b128 v[47:50], v146 offset:672
	s_waitcnt vmcnt(22) lgkmcnt(1)
	v_mul_f32_e32 v52, v43, v190
	v_fmac_f32_e32 v52, v44, v189
	buffer_load_dword v76, off, s[0:3], 0 offset:276
	v_add_f32_e32 v51, v51, v52
	s_waitcnt vmcnt(21)
	v_mul_f32_e32 v52, v45, v192
	v_fmac_f32_e32 v52, v46, v191
	v_add_f32_e32 v51, v51, v52
	s_waitcnt vmcnt(19) lgkmcnt(0)
	v_mul_f32_e32 v52, v47, v194
	buffer_load_dword v77, off, s[0:3], 0 offset:272
	buffer_load_dword v78, off, s[0:3], 0 offset:280
	;; [unrolled: 1-line block ×3, first 2 shown]
	v_fmac_f32_e32 v52, v48, v193
	v_add_f32_e32 v55, v51, v52
	s_waitcnt vmcnt(20)
	v_mul_f32_e32 v56, v49, v196
	ds_read_b128 v[51:54], v146 offset:688
	buffer_load_dword v80, off, s[0:3], 0 offset:288
	buffer_load_dword v81, off, s[0:3], 0 offset:292
	v_fmac_f32_e32 v56, v50, v195
	v_add_f32_e32 v59, v55, v56
	ds_read_b128 v[55:58], v146 offset:704
	buffer_load_dword v82, off, s[0:3], 0 offset:296
	buffer_load_dword v83, off, s[0:3], 0 offset:300
	;; [unrolled: 1-line block ×10, first 2 shown]
	ds_read_b128 v[200:203], v146 offset:720
	buffer_load_dword v92, off, s[0:3], 0 offset:336
	buffer_load_dword v93, off, s[0:3], 0 offset:340
	;; [unrolled: 1-line block ×6, first 2 shown]
	ds_read_b128 v[204:207], v146 offset:736
	buffer_load_dword v98, off, s[0:3], 0 offset:360
	buffer_load_dword v99, off, s[0:3], 0 offset:364
	v_mul_f32_e32 v18, v18, v155
	v_fma_f32 v17, v17, v166, -v18
	v_mul_f32_e32 v18, v20, v154
	v_add_f32_e32 v17, 0, v17
	v_fma_f32 v18, v19, v163, -v18
	v_mul_f32_e32 v10, v10, v153
	buffer_load_dword v100, off, s[0:3], 0 offset:368
	buffer_load_dword v101, off, s[0:3], 0 offset:372
	;; [unrolled: 1-line block ×6, first 2 shown]
	v_add_f32_e32 v17, v17, v18
	v_fma_f32 v9, v9, v160, -v10
	v_mul_f32_e32 v10, v12, v152
	v_add_f32_e32 v9, v17, v9
	v_fma_f32 v10, v11, v164, -v10
	v_mul_f32_e32 v6, v6, v151
	;; [unrolled: 3-line block ×3, first 2 shown]
	buffer_load_dword v106, off, s[0:3], 0 offset:392
	buffer_load_dword v107, off, s[0:3], 0 offset:396
	v_add_f32_e32 v5, v9, v5
	v_fma_f32 v6, v7, v159, -v6
	v_mul_f32_e32 v2, v2, v149
	v_add_f32_e32 v5, v5, v6
	v_fma_f32 v1, v1, v158, -v2
	v_mul_f32_e32 v2, v4, v156
	v_add_f32_e32 v1, v5, v1
	v_fma_f32 v2, v3, v171, -v2
	v_add_f32_e32 v1, v1, v2
	v_mul_f32_e32 v2, v22, v157
	v_fma_f32 v2, v21, v168, -v2
	buffer_load_dword v108, off, s[0:3], 0 offset:400
	buffer_load_dword v109, off, s[0:3], 0 offset:404
	;; [unrolled: 1-line block ×6, first 2 shown]
	v_add_f32_e32 v1, v1, v2
	v_mul_f32_e32 v2, v24, v169
	v_fma_f32 v2, v23, v165, -v2
	v_add_f32_e32 v1, v1, v2
	v_mul_f32_e32 v2, v14, v167
	ds_read_b128 v[208:211], v146 offset:752
	buffer_load_dword v114, off, s[0:3], 0 offset:424
	buffer_load_dword v115, off, s[0:3], 0 offset:428
	v_fma_f32 v2, v13, v162, -v2
	v_add_f32_e32 v1, v1, v2
	v_mul_f32_e32 v2, v16, v170
	v_fma_f32 v2, v15, v178, -v2
	v_add_f32_e32 v1, v1, v2
	v_mul_f32_e32 v2, v28, v177
	v_fma_f32 v2, v27, v175, -v2
	ds_read_b128 v[212:215], v146 offset:768
	buffer_load_dword v116, off, s[0:3], 0 offset:432
	buffer_load_dword v117, off, s[0:3], 0 offset:436
	;; [unrolled: 1-line block ×6, first 2 shown]
	v_add_f32_e32 v1, v1, v2
	v_mul_f32_e32 v2, v30, v176
	v_fma_f32 v2, v29, v173, -v2
	v_add_f32_e32 v1, v1, v2
	v_mul_f32_e32 v2, v32, v174
	v_fma_f32 v2, v31, v172, -v2
	v_add_f32_e32 v1, v1, v2
	v_mul_f32_e32 v2, v34, v180
	v_fma_f32 v2, v33, v179, -v2
	v_add_f32_e32 v1, v1, v2
	v_mul_f32_e32 v2, v36, v181
	buffer_load_dword v122, off, s[0:3], 0 offset:456
	buffer_load_dword v123, off, s[0:3], 0 offset:460
	;; [unrolled: 1-line block ×6, first 2 shown]
	v_fma_f32 v2, v35, v187, -v2
	v_add_f32_e32 v1, v1, v2
	v_mul_f32_e32 v2, v38, v183
	v_fma_f32 v2, v37, v182, -v2
	v_add_f32_e32 v1, v1, v2
	v_mul_f32_e32 v2, v40, v185
	;; [unrolled: 3-line block ×7, first 2 shown]
	s_waitcnt vmcnt(62) lgkmcnt(5)
	v_mul_f32_e32 v60, v51, v198
	v_fma_f32 v2, v49, v195, -v2
	v_fmac_f32_e32 v60, v52, v197
	v_add_f32_e32 v1, v1, v2
	v_mul_f32_e32 v2, v52, v198
	v_add_f32_e32 v59, v59, v60
	v_mul_f32_e32 v60, v53, v63
	v_fma_f32 v2, v51, v197, -v2
	v_fmac_f32_e32 v60, v54, v199
	v_add_f32_e32 v1, v1, v2
	v_mul_f32_e32 v2, v54, v63
	v_add_f32_e32 v59, v59, v60
	s_waitcnt lgkmcnt(4)
	v_mul_f32_e32 v60, v55, v65
	v_fma_f32 v2, v53, v199, -v2
	v_fmac_f32_e32 v60, v56, v64
	v_add_f32_e32 v1, v1, v2
	v_mul_f32_e32 v2, v56, v65
	v_add_f32_e32 v59, v59, v60
	s_waitcnt vmcnt(60)
	v_mul_f32_e32 v60, v57, v67
	v_fma_f32 v2, v55, v64, -v2
	v_fmac_f32_e32 v60, v58, v66
	v_add_f32_e32 v1, v1, v2
	v_mul_f32_e32 v2, v58, v67
	v_add_f32_e32 v59, v59, v60
	s_waitcnt vmcnt(58) lgkmcnt(3)
	v_mul_f32_e32 v60, v200, v69
	v_fma_f32 v2, v57, v66, -v2
	v_fmac_f32_e32 v60, v201, v68
	v_add_f32_e32 v1, v1, v2
	v_mul_f32_e32 v2, v201, v69
	v_add_f32_e32 v59, v59, v60
	s_waitcnt vmcnt(57)
	v_mul_f32_e32 v60, v202, v70
	v_fma_f32 v2, v200, v68, -v2
	s_waitcnt vmcnt(56)
	v_fmac_f32_e32 v60, v203, v71
	v_add_f32_e32 v1, v1, v2
	v_mul_f32_e32 v2, v203, v70
	v_add_f32_e32 v59, v59, v60
	s_waitcnt vmcnt(54) lgkmcnt(2)
	v_mul_f32_e32 v60, v204, v73
	v_fma_f32 v2, v202, v71, -v2
	v_fmac_f32_e32 v60, v205, v72
	v_add_f32_e32 v1, v1, v2
	v_mul_f32_e32 v2, v205, v73
	v_add_f32_e32 v59, v59, v60
	s_waitcnt vmcnt(52)
	v_mul_f32_e32 v60, v206, v75
	v_fma_f32 v2, v204, v72, -v2
	v_fmac_f32_e32 v60, v207, v74
	v_add_f32_e32 v1, v1, v2
	v_mul_f32_e32 v2, v207, v75
	v_add_f32_e32 v59, v59, v60
	s_waitcnt vmcnt(51) lgkmcnt(1)
	v_mul_f32_e32 v60, v208, v76
	v_fma_f32 v2, v206, v74, -v2
	s_waitcnt vmcnt(50)
	v_fmac_f32_e32 v60, v209, v77
	v_add_f32_e32 v1, v1, v2
	v_mul_f32_e32 v2, v209, v76
	v_add_f32_e32 v59, v59, v60
	s_waitcnt vmcnt(48)
	v_mul_f32_e32 v60, v210, v79
	v_fma_f32 v2, v208, v77, -v2
	v_fmac_f32_e32 v60, v211, v78
	ds_read_b128 v[216:219], v146 offset:784
	ds_read_b128 v[220:223], v146 offset:800
	v_add_f32_e32 v1, v1, v2
	v_mul_f32_e32 v2, v211, v79
	v_add_f32_e32 v59, v59, v60
	s_waitcnt vmcnt(46) lgkmcnt(2)
	v_mul_f32_e32 v60, v212, v81
	v_fma_f32 v2, v210, v78, -v2
	v_fmac_f32_e32 v60, v213, v80
	v_add_f32_e32 v1, v1, v2
	v_mul_f32_e32 v2, v213, v81
	v_add_f32_e32 v59, v59, v60
	s_waitcnt vmcnt(44)
	v_mul_f32_e32 v60, v214, v83
	v_fma_f32 v2, v212, v80, -v2
	v_fmac_f32_e32 v60, v215, v82
	v_add_f32_e32 v1, v1, v2
	v_mul_f32_e32 v2, v215, v83
	v_add_f32_e32 v59, v59, v60
	s_waitcnt vmcnt(42) lgkmcnt(1)
	v_mul_f32_e32 v60, v216, v85
	v_fma_f32 v2, v214, v82, -v2
	v_fmac_f32_e32 v60, v217, v84
	v_add_f32_e32 v1, v1, v2
	v_mul_f32_e32 v2, v217, v85
	v_add_f32_e32 v59, v59, v60
	s_waitcnt vmcnt(41)
	v_mul_f32_e32 v60, v218, v86
	v_fma_f32 v2, v216, v84, -v2
	s_waitcnt vmcnt(38)
	v_fmac_f32_e32 v60, v219, v89
	ds_read_b128 v[224:227], v146 offset:816
	ds_read_b128 v[228:231], v146 offset:832
	v_add_f32_e32 v1, v1, v2
	v_mul_f32_e32 v2, v219, v86
	v_add_f32_e32 v59, v59, v60
	s_waitcnt lgkmcnt(2)
	v_mul_f32_e32 v60, v220, v88
	v_fma_f32 v2, v218, v89, -v2
	v_fmac_f32_e32 v60, v221, v87
	v_add_f32_e32 v1, v1, v2
	v_mul_f32_e32 v2, v221, v88
	v_add_f32_e32 v59, v59, v60
	s_waitcnt vmcnt(36)
	v_mul_f32_e32 v60, v222, v91
	v_fma_f32 v2, v220, v87, -v2
	v_fmac_f32_e32 v60, v223, v90
	v_add_f32_e32 v1, v1, v2
	v_mul_f32_e32 v2, v223, v91
	v_add_f32_e32 v59, v59, v60
	s_waitcnt vmcnt(34) lgkmcnt(1)
	v_mul_f32_e32 v60, v224, v93
	v_fma_f32 v2, v222, v90, -v2
	v_fmac_f32_e32 v60, v225, v92
	v_add_f32_e32 v1, v1, v2
	v_mul_f32_e32 v2, v225, v93
	v_add_f32_e32 v59, v59, v60
	s_waitcnt vmcnt(33)
	v_mul_f32_e32 v60, v226, v94
	v_fma_f32 v2, v224, v92, -v2
	s_waitcnt vmcnt(30)
	v_fmac_f32_e32 v60, v227, v97
	ds_read_b128 v[232:235], v146 offset:848
	ds_read_b128 v[236:239], v146 offset:864
	v_add_f32_e32 v1, v1, v2
	v_mul_f32_e32 v2, v227, v94
	v_add_f32_e32 v59, v59, v60
	s_waitcnt lgkmcnt(2)
	;; [unrolled: 31-line block ×4, first 2 shown]
	v_mul_f32_e32 v60, v244, v112
	v_fma_f32 v2, v242, v113, -v2
	v_fmac_f32_e32 v60, v245, v111
	v_add_f32_e32 v1, v1, v2
	v_mul_f32_e32 v2, v245, v112
	v_add_f32_e32 v59, v59, v60
	s_waitcnt vmcnt(12)
	v_mul_f32_e32 v60, v246, v115
	v_fma_f32 v2, v244, v111, -v2
	v_fmac_f32_e32 v60, v247, v114
	v_add_f32_e32 v1, v1, v2
	v_mul_f32_e32 v2, v247, v115
	v_add_f32_e32 v59, v59, v60
	s_waitcnt vmcnt(10) lgkmcnt(1)
	v_mul_f32_e32 v60, v248, v117
	v_fma_f32 v2, v246, v114, -v2
	v_fmac_f32_e32 v60, v249, v116
	v_add_f32_e32 v1, v1, v2
	v_mul_f32_e32 v2, v249, v117
	v_add_f32_e32 v59, v59, v60
	s_waitcnt vmcnt(9)
	v_mul_f32_e32 v60, v250, v118
	v_fma_f32 v2, v248, v116, -v2
	s_waitcnt vmcnt(6)
	v_fmac_f32_e32 v60, v251, v121
	v_add_f32_e32 v1, v1, v2
	v_mul_f32_e32 v2, v251, v118
	v_add_f32_e32 v128, v59, v60
	ds_read_b128 v[59:62], v146 offset:944
	v_fma_f32 v2, v250, v121, -v2
	v_add_f32_e32 v1, v1, v2
	s_waitcnt lgkmcnt(1)
	v_mul_f32_e32 v2, v253, v120
	v_mul_f32_e32 v129, v252, v120
	v_fma_f32 v2, v252, v119, -v2
	v_fmac_f32_e32 v129, v253, v119
	v_add_f32_e32 v1, v1, v2
	s_waitcnt vmcnt(4)
	v_mul_f32_e32 v2, v255, v123
	v_add_f32_e32 v128, v128, v129
	v_mul_f32_e32 v129, v254, v123
	v_fma_f32 v2, v254, v122, -v2
	v_fmac_f32_e32 v129, v255, v122
	v_add_f32_e32 v1, v1, v2
	s_waitcnt vmcnt(3) lgkmcnt(0)
	v_mul_f32_e32 v2, v60, v124
	v_add_f32_e32 v128, v128, v129
	v_mul_f32_e32 v129, v59, v124
	s_waitcnt vmcnt(0)
	v_fma_f32 v2, v59, v127, -v2
	v_fmac_f32_e32 v129, v60, v127
	v_add_f32_e32 v1, v1, v2
	v_mul_f32_e32 v2, v62, v126
	v_add_f32_e32 v128, v128, v129
	v_mul_f32_e32 v129, v61, v126
	v_fma_f32 v2, v61, v125, -v2
	v_fmac_f32_e32 v129, v62, v125
	v_add_f32_e32 v1, v1, v2
	v_add_f32_e32 v128, v128, v129
	v_sub_f32_e32 v1, v147, v1
	v_sub_f32_e32 v2, v148, v128
	buffer_store_dword v1, off, s[0:3], 0 offset:8
	buffer_store_dword v2, off, s[0:3], 0 offset:12
	s_and_saveexec_b64 s[4:5], vcc
	s_cbranch_execz .LBB59_373
; %bb.372:
	buffer_load_dword v0, off, s[0:3], 0
	buffer_load_dword v1, off, s[0:3], 0 offset:4
	v_mov_b32_e32 v2, 0
	buffer_store_dword v2, off, s[0:3], 0
	buffer_store_dword v2, off, s[0:3], 0 offset:4
	s_waitcnt vmcnt(2)
	ds_write_b64 v145, v[0:1]
.LBB59_373:
	s_or_b64 exec, exec, s[4:5]
	s_waitcnt lgkmcnt(0)
	; wave barrier
	buffer_load_dword v9, off, s[0:3], 0 offset:12
	buffer_load_dword v8, off, s[0:3], 0 offset:20
	;; [unrolled: 1-line block ×30, first 2 shown]
	buffer_load_dword v1, off, s[0:3], 0
	buffer_load_dword v2, off, s[0:3], 0 offset:4
	v_mov_b32_e32 v0, 0
	buffer_load_dword v151, off, s[0:3], 0 offset:128
	buffer_load_dword v154, off, s[0:3], 0 offset:132
	;; [unrolled: 1-line block ×24, first 2 shown]
	ds_read2_b64 v[27:30], v0 offset0:61 offset1:62
	ds_read2_b64 v[31:34], v0 offset0:63 offset1:64
	;; [unrolled: 1-line block ×6, first 2 shown]
	buffer_load_dword v67, off, s[0:3], 0 offset:224
	buffer_load_dword v68, off, s[0:3], 0 offset:228
	s_and_b64 vcc, exec, s[22:23]
	s_waitcnt vmcnt(57) lgkmcnt(5)
	v_mul_f32_e32 v51, v27, v9
	s_waitcnt vmcnt(56)
	v_mul_f32_e32 v52, v29, v8
	s_waitcnt vmcnt(55) lgkmcnt(4)
	v_mul_f32_e32 v53, v31, v7
	s_waitcnt vmcnt(54)
	v_mul_f32_e32 v54, v33, v6
	;; [unrolled: 4-line block ×4, first 2 shown]
	s_waitcnt vmcnt(49) lgkmcnt(1)
	v_mul_f32_e32 v59, v43, v11
	s_waitcnt vmcnt(48)
	v_fmac_f32_e32 v53, v32, v14
	s_waitcnt vmcnt(47)
	v_fmac_f32_e32 v52, v30, v17
	;; [unrolled: 2-line block ×3, first 2 shown]
	v_add_f32_e32 v51, 0, v51
	v_add_f32_e32 v51, v51, v52
	v_add_f32_e32 v51, v51, v53
	s_waitcnt vmcnt(42)
	v_fmac_f32_e32 v54, v34, v18
	v_fmac_f32_e32 v55, v36, v15
	v_add_f32_e32 v51, v51, v54
	v_fmac_f32_e32 v56, v38, v13
	v_add_f32_e32 v51, v51, v55
	;; [unrolled: 2-line block ×3, first 2 shown]
	s_waitcnt vmcnt(38)
	v_fmac_f32_e32 v58, v42, v145
	v_add_f32_e32 v51, v51, v57
	v_add_f32_e32 v51, v51, v58
	v_fmac_f32_e32 v59, v44, v22
	s_waitcnt vmcnt(37)
	v_mul_f32_e32 v52, v45, v23
	v_add_f32_e32 v51, v51, v59
	v_fmac_f32_e32 v52, v46, v19
	v_add_f32_e32 v51, v51, v52
	s_waitcnt vmcnt(36) lgkmcnt(0)
	v_mul_f32_e32 v52, v47, v21
	v_fmac_f32_e32 v52, v48, v16
	v_add_f32_e32 v55, v51, v52
	ds_read2_b64 v[51:54], v0 offset0:73 offset1:74
	s_waitcnt vmcnt(35)
	v_mul_f32_e32 v56, v49, v24
	s_waitcnt vmcnt(30)
	v_fmac_f32_e32 v56, v50, v153
	v_add_f32_e32 v59, v55, v56
	ds_read2_b64 v[55:58], v0 offset0:75 offset1:76
	s_waitcnt vmcnt(29) lgkmcnt(1)
	v_mul_f32_e32 v60, v51, v152
	v_fmac_f32_e32 v60, v52, v149
	buffer_load_dword v69, off, s[0:3], 0 offset:232
	buffer_load_dword v70, off, s[0:3], 0 offset:236
	v_add_f32_e32 v59, v59, v60
	s_waitcnt vmcnt(30)
	v_mul_f32_e32 v60, v53, v150
	v_fmac_f32_e32 v60, v54, v148
	v_add_f32_e32 v59, v59, v60
	s_waitcnt lgkmcnt(0)
	v_mul_f32_e32 v60, v55, v147
	buffer_load_dword v71, off, s[0:3], 0 offset:240
	buffer_load_dword v72, off, s[0:3], 0 offset:244
	v_fmac_f32_e32 v60, v56, v146
	v_add_f32_e32 v63, v59, v60
	ds_read2_b64 v[59:62], v0 offset0:77 offset1:78
	buffer_load_dword v73, off, s[0:3], 0 offset:248
	buffer_load_dword v74, off, s[0:3], 0 offset:252
	ds_read2_b64 v[177:180], v0 offset0:79 offset1:80
	buffer_load_dword v75, off, s[0:3], 0 offset:256
	buffer_load_dword v76, off, s[0:3], 0 offset:260
	;; [unrolled: 3-line block ×4, first 2 shown]
	buffer_load_dword v81, off, s[0:3], 0 offset:280
	buffer_load_dword v82, off, s[0:3], 0 offset:284
	ds_read2_b64 v[189:192], v0 offset0:85 offset1:86
	ds_read2_b64 v[193:196], v0 offset0:87 offset1:88
	buffer_load_dword v83, off, s[0:3], 0 offset:288
	buffer_load_dword v84, off, s[0:3], 0 offset:292
	;; [unrolled: 1-line block ×10, first 2 shown]
	ds_read2_b64 v[197:200], v0 offset0:89 offset1:90
	buffer_load_dword v93, off, s[0:3], 0 offset:328
	buffer_load_dword v94, off, s[0:3], 0 offset:332
	;; [unrolled: 1-line block ×6, first 2 shown]
	ds_read2_b64 v[201:204], v0 offset0:91 offset1:92
	buffer_load_dword v99, off, s[0:3], 0 offset:352
	buffer_load_dword v100, off, s[0:3], 0 offset:356
	v_mul_f32_e32 v9, v28, v9
	v_fma_f32 v9, v27, v20, -v9
	v_mul_f32_e32 v8, v30, v8
	buffer_load_dword v101, off, s[0:3], 0 offset:360
	buffer_load_dword v102, off, s[0:3], 0 offset:364
	;; [unrolled: 1-line block ×6, first 2 shown]
	v_add_f32_e32 v9, 0, v9
	v_fma_f32 v8, v29, v17, -v8
	v_mul_f32_e32 v7, v32, v7
	v_add_f32_e32 v8, v9, v8
	v_fma_f32 v7, v31, v14, -v7
	v_mul_f32_e32 v6, v34, v6
	;; [unrolled: 3-line block ×3, first 2 shown]
	buffer_load_dword v107, off, s[0:3], 0 offset:384
	buffer_load_dword v108, off, s[0:3], 0 offset:388
	v_add_f32_e32 v6, v7, v6
	v_fma_f32 v5, v35, v15, -v5
	v_mul_f32_e32 v4, v38, v4
	v_add_f32_e32 v5, v6, v5
	v_fma_f32 v4, v37, v13, -v4
	v_mul_f32_e32 v3, v40, v3
	v_add_f32_e32 v4, v5, v4
	v_fma_f32 v3, v39, v12, -v3
	v_add_f32_e32 v3, v4, v3
	v_mul_f32_e32 v4, v42, v10
	v_fma_f32 v4, v41, v145, -v4
	ds_read2_b64 v[205:208], v0 offset0:93 offset1:94
	buffer_load_dword v109, off, s[0:3], 0 offset:392
	buffer_load_dword v110, off, s[0:3], 0 offset:396
	;; [unrolled: 1-line block ×6, first 2 shown]
	v_add_f32_e32 v3, v3, v4
	v_mul_f32_e32 v4, v44, v11
	v_fma_f32 v4, v43, v22, -v4
	v_add_f32_e32 v3, v3, v4
	v_mul_f32_e32 v4, v46, v23
	ds_read2_b64 v[209:212], v0 offset0:95 offset1:96
	buffer_load_dword v115, off, s[0:3], 0 offset:416
	buffer_load_dword v116, off, s[0:3], 0 offset:420
	v_fma_f32 v4, v45, v19, -v4
	v_add_f32_e32 v3, v3, v4
	v_mul_f32_e32 v4, v48, v21
	v_fma_f32 v4, v47, v16, -v4
	v_add_f32_e32 v3, v3, v4
	v_mul_f32_e32 v4, v50, v24
	v_fma_f32 v4, v49, v153, -v4
	buffer_load_dword v117, off, s[0:3], 0 offset:424
	buffer_load_dword v118, off, s[0:3], 0 offset:428
	;; [unrolled: 1-line block ×6, first 2 shown]
	v_add_f32_e32 v3, v3, v4
	v_mul_f32_e32 v4, v52, v152
	v_fma_f32 v4, v51, v149, -v4
	v_add_f32_e32 v3, v3, v4
	v_mul_f32_e32 v4, v54, v150
	s_waitcnt vmcnt(62)
	v_mul_f32_e32 v64, v57, v154
	v_fma_f32 v4, v53, v148, -v4
	v_fmac_f32_e32 v64, v58, v151
	v_add_f32_e32 v3, v3, v4
	v_mul_f32_e32 v4, v56, v147
	v_add_f32_e32 v63, v63, v64
	s_waitcnt lgkmcnt(9)
	v_mul_f32_e32 v64, v59, v156
	buffer_load_dword v123, off, s[0:3], 0 offset:448
	buffer_load_dword v124, off, s[0:3], 0 offset:452
	v_fma_f32 v4, v55, v146, -v4
	v_fmac_f32_e32 v64, v60, v155
	v_add_f32_e32 v3, v3, v4
	v_mul_f32_e32 v4, v58, v154
	v_add_f32_e32 v63, v63, v64
	v_mul_f32_e32 v64, v61, v158
	v_fma_f32 v4, v57, v151, -v4
	v_fmac_f32_e32 v64, v62, v157
	v_add_f32_e32 v3, v3, v4
	v_mul_f32_e32 v4, v60, v156
	v_add_f32_e32 v63, v63, v64
	s_waitcnt lgkmcnt(8)
	v_mul_f32_e32 v64, v177, v160
	v_fma_f32 v4, v59, v155, -v4
	v_fmac_f32_e32 v64, v178, v159
	v_add_f32_e32 v3, v3, v4
	v_mul_f32_e32 v4, v62, v158
	v_add_f32_e32 v63, v63, v64
	v_mul_f32_e32 v64, v179, v162
	buffer_load_dword v125, off, s[0:3], 0 offset:456
	buffer_load_dword v126, off, s[0:3], 0 offset:460
	;; [unrolled: 1-line block ×6, first 2 shown]
	v_fma_f32 v4, v61, v157, -v4
	v_fmac_f32_e32 v64, v180, v161
	v_add_f32_e32 v3, v3, v4
	v_mul_f32_e32 v4, v178, v160
	v_add_f32_e32 v63, v63, v64
	s_waitcnt lgkmcnt(7)
	v_mul_f32_e32 v64, v181, v164
	v_fma_f32 v4, v177, v159, -v4
	v_fmac_f32_e32 v64, v182, v163
	v_add_f32_e32 v3, v3, v4
	v_mul_f32_e32 v4, v180, v162
	v_add_f32_e32 v63, v63, v64
	v_mul_f32_e32 v64, v183, v166
	v_fma_f32 v4, v179, v161, -v4
	v_fmac_f32_e32 v64, v184, v165
	v_add_f32_e32 v3, v3, v4
	v_mul_f32_e32 v4, v182, v164
	v_add_f32_e32 v63, v63, v64
	s_waitcnt lgkmcnt(6)
	v_mul_f32_e32 v64, v185, v168
	v_fma_f32 v4, v181, v163, -v4
	v_fmac_f32_e32 v64, v186, v167
	v_add_f32_e32 v3, v3, v4
	v_mul_f32_e32 v4, v184, v166
	v_add_f32_e32 v63, v63, v64
	v_mul_f32_e32 v64, v187, v170
	v_fma_f32 v4, v183, v165, -v4
	v_fmac_f32_e32 v64, v188, v169
	v_add_f32_e32 v3, v3, v4
	v_mul_f32_e32 v4, v186, v168
	v_add_f32_e32 v63, v63, v64
	s_waitcnt vmcnt(62) lgkmcnt(5)
	v_mul_f32_e32 v64, v189, v172
	v_fma_f32 v4, v185, v167, -v4
	v_fmac_f32_e32 v64, v190, v171
	v_add_f32_e32 v3, v3, v4
	v_mul_f32_e32 v4, v188, v170
	v_add_f32_e32 v63, v63, v64
	v_mul_f32_e32 v64, v191, v174
	v_fma_f32 v4, v187, v169, -v4
	v_fmac_f32_e32 v64, v192, v173
	v_add_f32_e32 v3, v3, v4
	v_mul_f32_e32 v4, v190, v172
	v_add_f32_e32 v63, v63, v64
	s_waitcnt lgkmcnt(4)
	v_mul_f32_e32 v64, v193, v176
	v_fma_f32 v4, v189, v171, -v4
	v_fmac_f32_e32 v64, v194, v175
	v_add_f32_e32 v3, v3, v4
	v_mul_f32_e32 v4, v192, v174
	v_add_f32_e32 v63, v63, v64
	v_mul_f32_e32 v64, v195, v68
	v_fma_f32 v4, v191, v173, -v4
	v_fmac_f32_e32 v64, v196, v67
	v_add_f32_e32 v3, v3, v4
	v_mul_f32_e32 v4, v194, v176
	v_add_f32_e32 v63, v63, v64
	s_waitcnt vmcnt(60) lgkmcnt(3)
	v_mul_f32_e32 v64, v197, v70
	v_fma_f32 v4, v193, v175, -v4
	v_fmac_f32_e32 v64, v198, v69
	v_add_f32_e32 v3, v3, v4
	v_mul_f32_e32 v4, v196, v68
	v_add_f32_e32 v63, v63, v64
	s_waitcnt vmcnt(58)
	v_mul_f32_e32 v64, v199, v72
	v_fma_f32 v4, v195, v67, -v4
	v_fmac_f32_e32 v64, v200, v71
	v_add_f32_e32 v3, v3, v4
	v_mul_f32_e32 v4, v198, v70
	v_add_f32_e32 v63, v63, v64
	s_waitcnt vmcnt(56) lgkmcnt(2)
	v_mul_f32_e32 v64, v201, v74
	v_fma_f32 v4, v197, v69, -v4
	v_fmac_f32_e32 v64, v202, v73
	v_add_f32_e32 v3, v3, v4
	v_mul_f32_e32 v4, v200, v72
	v_add_f32_e32 v63, v63, v64
	s_waitcnt vmcnt(54)
	;; [unrolled: 14-line block ×3, first 2 shown]
	v_mul_f32_e32 v64, v207, v79
	v_fma_f32 v4, v203, v75, -v4
	s_waitcnt vmcnt(50)
	v_fmac_f32_e32 v64, v208, v80
	ds_read2_b64 v[213:216], v0 offset0:97 offset1:98
	ds_read2_b64 v[217:220], v0 offset0:99 offset1:100
	v_add_f32_e32 v3, v3, v4
	v_mul_f32_e32 v4, v206, v78
	v_add_f32_e32 v63, v63, v64
	s_waitcnt vmcnt(48) lgkmcnt(2)
	v_mul_f32_e32 v64, v209, v82
	v_fma_f32 v4, v205, v77, -v4
	v_fmac_f32_e32 v64, v210, v81
	v_add_f32_e32 v3, v3, v4
	v_mul_f32_e32 v4, v208, v79
	v_add_f32_e32 v63, v63, v64
	s_waitcnt vmcnt(46)
	v_mul_f32_e32 v64, v211, v84
	v_fma_f32 v4, v207, v80, -v4
	v_fmac_f32_e32 v64, v212, v83
	v_add_f32_e32 v3, v3, v4
	v_mul_f32_e32 v4, v210, v82
	v_add_f32_e32 v63, v63, v64
	s_waitcnt vmcnt(44) lgkmcnt(1)
	v_mul_f32_e32 v64, v213, v86
	v_fma_f32 v4, v209, v81, -v4
	v_fmac_f32_e32 v64, v214, v85
	v_add_f32_e32 v3, v3, v4
	v_mul_f32_e32 v4, v212, v84
	v_add_f32_e32 v63, v63, v64
	s_waitcnt vmcnt(43)
	v_mul_f32_e32 v64, v215, v87
	v_fma_f32 v4, v211, v83, -v4
	s_waitcnt vmcnt(40)
	v_fmac_f32_e32 v64, v216, v90
	ds_read2_b64 v[221:224], v0 offset0:101 offset1:102
	ds_read2_b64 v[225:228], v0 offset0:103 offset1:104
	v_add_f32_e32 v3, v3, v4
	v_mul_f32_e32 v4, v214, v86
	v_add_f32_e32 v63, v63, v64
	s_waitcnt lgkmcnt(2)
	v_mul_f32_e32 v64, v217, v89
	v_fma_f32 v4, v213, v85, -v4
	v_fmac_f32_e32 v64, v218, v88
	v_add_f32_e32 v3, v3, v4
	v_mul_f32_e32 v4, v216, v87
	v_add_f32_e32 v63, v63, v64
	s_waitcnt vmcnt(38)
	v_mul_f32_e32 v64, v219, v92
	v_fma_f32 v4, v215, v90, -v4
	v_fmac_f32_e32 v64, v220, v91
	v_add_f32_e32 v3, v3, v4
	v_mul_f32_e32 v4, v218, v89
	v_add_f32_e32 v63, v63, v64
	s_waitcnt vmcnt(36) lgkmcnt(1)
	v_mul_f32_e32 v64, v221, v94
	v_fma_f32 v4, v217, v88, -v4
	v_fmac_f32_e32 v64, v222, v93
	v_add_f32_e32 v3, v3, v4
	v_mul_f32_e32 v4, v220, v92
	v_add_f32_e32 v63, v63, v64
	s_waitcnt vmcnt(35)
	v_mul_f32_e32 v64, v223, v95
	v_fma_f32 v4, v219, v91, -v4
	s_waitcnt vmcnt(32)
	v_fmac_f32_e32 v64, v224, v98
	ds_read2_b64 v[229:232], v0 offset0:105 offset1:106
	ds_read2_b64 v[233:236], v0 offset0:107 offset1:108
	v_add_f32_e32 v3, v3, v4
	v_mul_f32_e32 v4, v222, v94
	v_add_f32_e32 v63, v63, v64
	s_waitcnt lgkmcnt(2)
	;; [unrolled: 31-line block ×4, first 2 shown]
	v_mul_f32_e32 v64, v241, v113
	v_fma_f32 v4, v237, v109, -v4
	v_fmac_f32_e32 v64, v242, v112
	v_add_f32_e32 v3, v3, v4
	v_mul_f32_e32 v4, v240, v111
	v_add_f32_e32 v63, v63, v64
	s_waitcnt vmcnt(14)
	v_mul_f32_e32 v64, v243, v116
	v_fma_f32 v4, v239, v114, -v4
	v_fmac_f32_e32 v64, v244, v115
	v_add_f32_e32 v3, v3, v4
	v_mul_f32_e32 v4, v242, v113
	v_add_f32_e32 v63, v63, v64
	s_waitcnt vmcnt(12) lgkmcnt(1)
	v_mul_f32_e32 v64, v245, v118
	v_fma_f32 v4, v241, v112, -v4
	v_fmac_f32_e32 v64, v246, v117
	v_add_f32_e32 v3, v3, v4
	v_mul_f32_e32 v4, v244, v116
	v_add_f32_e32 v63, v63, v64
	s_waitcnt vmcnt(11)
	v_mul_f32_e32 v64, v247, v119
	v_fma_f32 v4, v243, v115, -v4
	s_waitcnt vmcnt(8)
	v_fmac_f32_e32 v64, v248, v122
	v_add_f32_e32 v3, v3, v4
	v_mul_f32_e32 v4, v246, v118
	v_add_f32_e32 v63, v63, v64
	s_waitcnt lgkmcnt(0)
	v_mul_f32_e32 v64, v249, v121
	v_fma_f32 v4, v245, v117, -v4
	v_fmac_f32_e32 v64, v250, v120
	v_add_f32_e32 v3, v3, v4
	v_mul_f32_e32 v4, v248, v119
	v_add_f32_e32 v253, v63, v64
	ds_read2_b64 v[63:66], v0 offset0:117 offset1:118
	v_fma_f32 v4, v247, v122, -v4
	v_add_f32_e32 v3, v3, v4
	v_mul_f32_e32 v4, v250, v121
	s_waitcnt vmcnt(6)
	v_mul_f32_e32 v254, v251, v124
	v_fma_f32 v4, v249, v120, -v4
	v_fmac_f32_e32 v254, v252, v123
	v_add_f32_e32 v3, v3, v4
	v_mul_f32_e32 v4, v252, v124
	v_add_f32_e32 v255, v253, v254
	ds_read_b64 v[253:254], v0 offset:952
	v_fma_f32 v4, v251, v123, -v4
	v_add_f32_e32 v3, v3, v4
	s_waitcnt vmcnt(4) lgkmcnt(1)
	v_mul_f32_e32 v4, v64, v126
	v_fma_f32 v4, v63, v125, -v4
	v_mul_f32_e32 v131, v63, v126
	v_add_f32_e32 v3, v3, v4
	s_waitcnt vmcnt(3)
	v_mul_f32_e32 v4, v66, v127
	v_fmac_f32_e32 v131, v64, v125
	v_mul_f32_e32 v132, v65, v127
	s_waitcnt vmcnt(0)
	v_fma_f32 v4, v65, v130, -v4
	v_add_f32_e32 v131, v255, v131
	v_fmac_f32_e32 v132, v66, v130
	v_add_f32_e32 v3, v3, v4
	s_waitcnt lgkmcnt(0)
	v_mul_f32_e32 v4, v254, v129
	v_add_f32_e32 v131, v131, v132
	v_mul_f32_e32 v132, v253, v129
	v_fma_f32 v4, v253, v128, -v4
	v_fmac_f32_e32 v132, v254, v128
	v_add_f32_e32 v3, v3, v4
	v_add_f32_e32 v131, v131, v132
	v_sub_f32_e32 v1, v1, v3
	v_sub_f32_e32 v2, v2, v131
	buffer_store_dword v1, off, s[0:3], 0
	buffer_store_dword v2, off, s[0:3], 0 offset:4
	s_cbranch_vccz .LBB59_492
; %bb.374:
	global_load_dword v0, v0, s[20:21] offset:232
	s_waitcnt vmcnt(0)
	v_add_u32_e32 v0, -1, v0
	v_cmp_ne_u32_e32 vcc, 58, v0
	s_cbranch_vccz .LBB59_376
; %bb.375:
	v_lshlrev_b32_e32 v0, 3, v0
	buffer_load_dword v1, v0, s[0:3], 0 offen
	buffer_load_dword v2, v0, s[0:3], 0 offen offset:4
	buffer_load_dword v3, off, s[0:3], 0 offset:468
	buffer_load_dword v4, off, s[0:3], 0 offset:464
	s_waitcnt vmcnt(3)
	buffer_store_dword v1, off, s[0:3], 0 offset:464
	s_waitcnt vmcnt(3)
	buffer_store_dword v2, off, s[0:3], 0 offset:468
	s_waitcnt vmcnt(3)
	buffer_store_dword v3, v0, s[0:3], 0 offen offset:4
	s_waitcnt vmcnt(3)
	buffer_store_dword v4, v0, s[0:3], 0 offen
.LBB59_376:
	v_mov_b32_e32 v0, 0
	global_load_dword v1, v0, s[20:21] offset:228
	s_waitcnt vmcnt(0)
	v_add_u32_e32 v1, -1, v1
	v_cmp_eq_u32_e32 vcc, 57, v1
	s_cbranch_vccnz .LBB59_378
; %bb.377:
	v_lshlrev_b32_e32 v1, 3, v1
	buffer_load_dword v2, v1, s[0:3], 0 offen
	buffer_load_dword v3, v1, s[0:3], 0 offen offset:4
	buffer_load_dword v4, off, s[0:3], 0 offset:456
	buffer_load_dword v5, off, s[0:3], 0 offset:460
	s_waitcnt vmcnt(3)
	buffer_store_dword v2, off, s[0:3], 0 offset:456
	s_waitcnt vmcnt(3)
	buffer_store_dword v3, off, s[0:3], 0 offset:460
	s_waitcnt vmcnt(3)
	buffer_store_dword v4, v1, s[0:3], 0 offen
	s_waitcnt vmcnt(3)
	buffer_store_dword v5, v1, s[0:3], 0 offen offset:4
.LBB59_378:
	global_load_dword v0, v0, s[20:21] offset:224
	s_waitcnt vmcnt(0)
	v_add_u32_e32 v0, -1, v0
	v_cmp_eq_u32_e32 vcc, 56, v0
	s_cbranch_vccnz .LBB59_380
; %bb.379:
	v_lshlrev_b32_e32 v0, 3, v0
	buffer_load_dword v1, v0, s[0:3], 0 offen
	buffer_load_dword v2, v0, s[0:3], 0 offen offset:4
	buffer_load_dword v3, off, s[0:3], 0 offset:452
	buffer_load_dword v4, off, s[0:3], 0 offset:448
	s_waitcnt vmcnt(3)
	buffer_store_dword v1, off, s[0:3], 0 offset:448
	s_waitcnt vmcnt(3)
	buffer_store_dword v2, off, s[0:3], 0 offset:452
	s_waitcnt vmcnt(3)
	buffer_store_dword v3, v0, s[0:3], 0 offen offset:4
	s_waitcnt vmcnt(3)
	buffer_store_dword v4, v0, s[0:3], 0 offen
.LBB59_380:
	v_mov_b32_e32 v0, 0
	global_load_dword v1, v0, s[20:21] offset:220
	s_waitcnt vmcnt(0)
	v_add_u32_e32 v1, -1, v1
	v_cmp_eq_u32_e32 vcc, 55, v1
	s_cbranch_vccnz .LBB59_382
; %bb.381:
	v_lshlrev_b32_e32 v1, 3, v1
	buffer_load_dword v2, v1, s[0:3], 0 offen
	buffer_load_dword v3, v1, s[0:3], 0 offen offset:4
	buffer_load_dword v4, off, s[0:3], 0 offset:440
	buffer_load_dword v5, off, s[0:3], 0 offset:444
	s_waitcnt vmcnt(3)
	buffer_store_dword v2, off, s[0:3], 0 offset:440
	s_waitcnt vmcnt(3)
	buffer_store_dword v3, off, s[0:3], 0 offset:444
	s_waitcnt vmcnt(3)
	buffer_store_dword v4, v1, s[0:3], 0 offen
	s_waitcnt vmcnt(3)
	buffer_store_dword v5, v1, s[0:3], 0 offen offset:4
.LBB59_382:
	global_load_dword v0, v0, s[20:21] offset:216
	s_waitcnt vmcnt(0)
	v_add_u32_e32 v0, -1, v0
	v_cmp_eq_u32_e32 vcc, 54, v0
	s_cbranch_vccnz .LBB59_384
; %bb.383:
	v_lshlrev_b32_e32 v0, 3, v0
	buffer_load_dword v1, v0, s[0:3], 0 offen
	buffer_load_dword v2, v0, s[0:3], 0 offen offset:4
	buffer_load_dword v3, off, s[0:3], 0 offset:436
	buffer_load_dword v4, off, s[0:3], 0 offset:432
	s_waitcnt vmcnt(3)
	buffer_store_dword v1, off, s[0:3], 0 offset:432
	s_waitcnt vmcnt(3)
	buffer_store_dword v2, off, s[0:3], 0 offset:436
	s_waitcnt vmcnt(3)
	buffer_store_dword v3, v0, s[0:3], 0 offen offset:4
	s_waitcnt vmcnt(3)
	buffer_store_dword v4, v0, s[0:3], 0 offen
.LBB59_384:
	;; [unrolled: 41-line block ×28, first 2 shown]
	v_mov_b32_e32 v0, 0
	global_load_dword v1, v0, s[20:21] offset:4
	s_waitcnt vmcnt(0)
	v_add_u32_e32 v1, -1, v1
	v_cmp_eq_u32_e32 vcc, 1, v1
	s_cbranch_vccnz .LBB59_490
; %bb.489:
	v_lshlrev_b32_e32 v1, 3, v1
	buffer_load_dword v2, v1, s[0:3], 0 offen
	buffer_load_dword v3, v1, s[0:3], 0 offen offset:4
	buffer_load_dword v4, off, s[0:3], 0 offset:8
	buffer_load_dword v5, off, s[0:3], 0 offset:12
	s_waitcnt vmcnt(3)
	buffer_store_dword v2, off, s[0:3], 0 offset:8
	s_waitcnt vmcnt(3)
	buffer_store_dword v3, off, s[0:3], 0 offset:12
	s_waitcnt vmcnt(3)
	buffer_store_dword v4, v1, s[0:3], 0 offen
	s_waitcnt vmcnt(3)
	buffer_store_dword v5, v1, s[0:3], 0 offen offset:4
.LBB59_490:
	global_load_dword v0, v0, s[20:21]
	s_waitcnt vmcnt(0)
	v_add_u32_e32 v0, -1, v0
	v_cmp_eq_u32_e32 vcc, 0, v0
	s_cbranch_vccnz .LBB59_492
; %bb.491:
	v_lshlrev_b32_e32 v0, 3, v0
	buffer_load_dword v1, v0, s[0:3], 0 offen
	buffer_load_dword v2, v0, s[0:3], 0 offen offset:4
	buffer_load_dword v3, off, s[0:3], 0 offset:4
	buffer_load_dword v4, off, s[0:3], 0
	s_waitcnt vmcnt(3)
	buffer_store_dword v1, off, s[0:3], 0
	s_waitcnt vmcnt(3)
	buffer_store_dword v2, off, s[0:3], 0 offset:4
	s_waitcnt vmcnt(3)
	buffer_store_dword v3, v0, s[0:3], 0 offen offset:4
	s_waitcnt vmcnt(3)
	buffer_store_dword v4, v0, s[0:3], 0 offen
.LBB59_492:
	buffer_load_dword v0, off, s[0:3], 0
	s_nop 0
	buffer_load_dword v1, off, s[0:3], 0 offset:4
	buffer_load_dword v2, off, s[0:3], 0 offset:8
	;; [unrolled: 1-line block ×119, first 2 shown]
	s_waitcnt vmcnt(62)
	global_store_dwordx2 v[25:26], v[0:1], off
	buffer_load_dword v0, off, s[0:3], 0 offset:480 ; 4-byte Folded Reload
	s_nop 0
	buffer_load_dword v1, off, s[0:3], 0 offset:484 ; 4-byte Folded Reload
	s_waitcnt vmcnt(0)
	global_store_dwordx2 v[0:1], v[2:3], off
	buffer_load_dword v0, off, s[0:3], 0 offset:488 ; 4-byte Folded Reload
	s_nop 0
	buffer_load_dword v1, off, s[0:3], 0 offset:492 ; 4-byte Folded Reload
	;; [unrolled: 5-line block ×53, first 2 shown]
	s_waitcnt vmcnt(0)
	global_store_dwordx2 v[0:1], v[187:188], off
	global_store_dwordx2 v[133:134], v[189:190], off
	;; [unrolled: 1-line block ×7, first 2 shown]
	s_endpgm
	.section	.rodata,"a",@progbits
	.p2align	6, 0x0
	.amdhsa_kernel _ZN9rocsolver6v33100L18getri_kernel_smallILi60E19rocblas_complex_numIfEPS3_EEvT1_iilPiilS6_bb
		.amdhsa_group_segment_fixed_size 964
		.amdhsa_private_segment_fixed_size 912
		.amdhsa_kernarg_size 60
		.amdhsa_user_sgpr_count 6
		.amdhsa_user_sgpr_private_segment_buffer 1
		.amdhsa_user_sgpr_dispatch_ptr 0
		.amdhsa_user_sgpr_queue_ptr 0
		.amdhsa_user_sgpr_kernarg_segment_ptr 1
		.amdhsa_user_sgpr_dispatch_id 0
		.amdhsa_user_sgpr_flat_scratch_init 0
		.amdhsa_user_sgpr_private_segment_size 0
		.amdhsa_uses_dynamic_stack 0
		.amdhsa_system_sgpr_private_segment_wavefront_offset 1
		.amdhsa_system_sgpr_workgroup_id_x 1
		.amdhsa_system_sgpr_workgroup_id_y 0
		.amdhsa_system_sgpr_workgroup_id_z 0
		.amdhsa_system_sgpr_workgroup_info 0
		.amdhsa_system_vgpr_workitem_id 0
		.amdhsa_next_free_vgpr 256
		.amdhsa_next_free_sgpr 24
		.amdhsa_reserve_vcc 1
		.amdhsa_reserve_flat_scratch 0
		.amdhsa_float_round_mode_32 0
		.amdhsa_float_round_mode_16_64 0
		.amdhsa_float_denorm_mode_32 3
		.amdhsa_float_denorm_mode_16_64 3
		.amdhsa_dx10_clamp 1
		.amdhsa_ieee_mode 1
		.amdhsa_fp16_overflow 0
		.amdhsa_exception_fp_ieee_invalid_op 0
		.amdhsa_exception_fp_denorm_src 0
		.amdhsa_exception_fp_ieee_div_zero 0
		.amdhsa_exception_fp_ieee_overflow 0
		.amdhsa_exception_fp_ieee_underflow 0
		.amdhsa_exception_fp_ieee_inexact 0
		.amdhsa_exception_int_div_zero 0
	.end_amdhsa_kernel
	.section	.text._ZN9rocsolver6v33100L18getri_kernel_smallILi60E19rocblas_complex_numIfEPS3_EEvT1_iilPiilS6_bb,"axG",@progbits,_ZN9rocsolver6v33100L18getri_kernel_smallILi60E19rocblas_complex_numIfEPS3_EEvT1_iilPiilS6_bb,comdat
.Lfunc_end59:
	.size	_ZN9rocsolver6v33100L18getri_kernel_smallILi60E19rocblas_complex_numIfEPS3_EEvT1_iilPiilS6_bb, .Lfunc_end59-_ZN9rocsolver6v33100L18getri_kernel_smallILi60E19rocblas_complex_numIfEPS3_EEvT1_iilPiilS6_bb
                                        ; -- End function
	.set _ZN9rocsolver6v33100L18getri_kernel_smallILi60E19rocblas_complex_numIfEPS3_EEvT1_iilPiilS6_bb.num_vgpr, 256
	.set _ZN9rocsolver6v33100L18getri_kernel_smallILi60E19rocblas_complex_numIfEPS3_EEvT1_iilPiilS6_bb.num_agpr, 0
	.set _ZN9rocsolver6v33100L18getri_kernel_smallILi60E19rocblas_complex_numIfEPS3_EEvT1_iilPiilS6_bb.numbered_sgpr, 24
	.set _ZN9rocsolver6v33100L18getri_kernel_smallILi60E19rocblas_complex_numIfEPS3_EEvT1_iilPiilS6_bb.num_named_barrier, 0
	.set _ZN9rocsolver6v33100L18getri_kernel_smallILi60E19rocblas_complex_numIfEPS3_EEvT1_iilPiilS6_bb.private_seg_size, 912
	.set _ZN9rocsolver6v33100L18getri_kernel_smallILi60E19rocblas_complex_numIfEPS3_EEvT1_iilPiilS6_bb.uses_vcc, 1
	.set _ZN9rocsolver6v33100L18getri_kernel_smallILi60E19rocblas_complex_numIfEPS3_EEvT1_iilPiilS6_bb.uses_flat_scratch, 0
	.set _ZN9rocsolver6v33100L18getri_kernel_smallILi60E19rocblas_complex_numIfEPS3_EEvT1_iilPiilS6_bb.has_dyn_sized_stack, 0
	.set _ZN9rocsolver6v33100L18getri_kernel_smallILi60E19rocblas_complex_numIfEPS3_EEvT1_iilPiilS6_bb.has_recursion, 0
	.set _ZN9rocsolver6v33100L18getri_kernel_smallILi60E19rocblas_complex_numIfEPS3_EEvT1_iilPiilS6_bb.has_indirect_call, 0
	.section	.AMDGPU.csdata,"",@progbits
; Kernel info:
; codeLenInByte = 128504
; TotalNumSgprs: 28
; NumVgprs: 256
; ScratchSize: 912
; MemoryBound: 0
; FloatMode: 240
; IeeeMode: 1
; LDSByteSize: 964 bytes/workgroup (compile time only)
; SGPRBlocks: 3
; VGPRBlocks: 63
; NumSGPRsForWavesPerEU: 28
; NumVGPRsForWavesPerEU: 256
; Occupancy: 1
; WaveLimiterHint : 1
; COMPUTE_PGM_RSRC2:SCRATCH_EN: 1
; COMPUTE_PGM_RSRC2:USER_SGPR: 6
; COMPUTE_PGM_RSRC2:TRAP_HANDLER: 0
; COMPUTE_PGM_RSRC2:TGID_X_EN: 1
; COMPUTE_PGM_RSRC2:TGID_Y_EN: 0
; COMPUTE_PGM_RSRC2:TGID_Z_EN: 0
; COMPUTE_PGM_RSRC2:TIDIG_COMP_CNT: 0
	.section	.text._ZN9rocsolver6v33100L18getri_kernel_smallILi61E19rocblas_complex_numIfEPS3_EEvT1_iilPiilS6_bb,"axG",@progbits,_ZN9rocsolver6v33100L18getri_kernel_smallILi61E19rocblas_complex_numIfEPS3_EEvT1_iilPiilS6_bb,comdat
	.globl	_ZN9rocsolver6v33100L18getri_kernel_smallILi61E19rocblas_complex_numIfEPS3_EEvT1_iilPiilS6_bb ; -- Begin function _ZN9rocsolver6v33100L18getri_kernel_smallILi61E19rocblas_complex_numIfEPS3_EEvT1_iilPiilS6_bb
	.p2align	8
	.type	_ZN9rocsolver6v33100L18getri_kernel_smallILi61E19rocblas_complex_numIfEPS3_EEvT1_iilPiilS6_bb,@function
_ZN9rocsolver6v33100L18getri_kernel_smallILi61E19rocblas_complex_numIfEPS3_EEvT1_iilPiilS6_bb: ; @_ZN9rocsolver6v33100L18getri_kernel_smallILi61E19rocblas_complex_numIfEPS3_EEvT1_iilPiilS6_bb
; %bb.0:
	s_add_u32 s0, s0, s7
	s_addc_u32 s1, s1, 0
	v_cmp_gt_u32_e32 vcc, 61, v0
	s_and_saveexec_b64 s[8:9], vcc
	s_cbranch_execz .LBB60_258
; %bb.1:
	s_load_dword s12, s[4:5], 0x38
	s_load_dwordx4 s[16:19], s[4:5], 0x10
	s_load_dwordx4 s[8:11], s[4:5], 0x28
                                        ; implicit-def: $sgpr20_sgpr21
	s_waitcnt lgkmcnt(0)
	s_bitcmp1_b32 s12, 8
	s_cselect_b64 s[22:23], -1, 0
	s_ashr_i32 s7, s6, 31
	s_bfe_u32 s12, s12, 0x10008
	s_cmp_eq_u32 s12, 0
	s_cbranch_scc1 .LBB60_3
; %bb.2:
	s_load_dword s12, s[4:5], 0x20
	s_mul_i32 s13, s8, s7
	s_mul_hi_u32 s14, s8, s6
	s_mul_i32 s9, s9, s6
	s_add_i32 s14, s14, s13
	s_add_i32 s9, s14, s9
	s_mul_i32 s8, s8, s6
	s_waitcnt lgkmcnt(0)
	s_ashr_i32 s13, s12, 31
	s_lshl_b64 s[8:9], s[8:9], 2
	s_add_u32 s14, s18, s8
	s_addc_u32 s15, s19, s9
	s_lshl_b64 s[8:9], s[12:13], 2
	s_add_u32 s20, s14, s8
	s_addc_u32 s21, s15, s9
.LBB60_3:
	s_load_dwordx4 s[12:15], s[4:5], 0x0
	s_load_dword s8, s[4:5], 0x38
	s_mul_i32 s9, s16, s7
	s_mul_hi_u32 s18, s16, s6
	s_add_i32 s9, s18, s9
	s_waitcnt lgkmcnt(0)
	s_ashr_i32 s5, s14, 31
	s_mov_b32 s4, s14
	s_mul_i32 s14, s17, s6
	s_add_i32 s17, s9, s14
	s_mul_i32 s16, s16, s6
	s_lshl_b64 s[16:17], s[16:17], 3
	s_add_u32 s9, s12, s16
	s_addc_u32 s12, s13, s17
	s_lshl_b64 s[4:5], s[4:5], 3
	s_add_u32 s4, s9, s4
	s_addc_u32 s5, s12, s5
	v_lshlrev_b32_e32 v24, 3, v0
	v_mov_b32_e32 v1, s5
	v_add_co_u32_e32 v25, vcc, s4, v24
	s_ashr_i32 s13, s15, 31
	s_mov_b32 s12, s15
	v_addc_co_u32_e32 v26, vcc, 0, v1, vcc
	s_lshl_b64 s[12:13], s[12:13], 3
	v_mov_b32_e32 v1, s13
	v_add_co_u32_e32 v7, vcc, s12, v25
	v_addc_co_u32_e32 v8, vcc, v26, v1, vcc
	global_load_dwordx2 v[3:4], v24, s[4:5]
	s_nop 0
	buffer_store_dword v7, off, s[0:3], 0 offset:488 ; 4-byte Folded Spill
	s_nop 0
	buffer_store_dword v8, off, s[0:3], 0 offset:492 ; 4-byte Folded Spill
	s_add_i32 s9, s15, s15
	v_add_u32_e32 v1, s9, v0
	v_ashrrev_i32_e32 v2, 31, v1
	v_lshlrev_b64 v[5:6], 3, v[1:2]
	v_mov_b32_e32 v2, s5
	v_add_co_u32_e32 v9, vcc, s4, v5
	v_add_u32_e32 v1, s15, v1
	v_addc_co_u32_e32 v10, vcc, v2, v6, vcc
	v_ashrrev_i32_e32 v2, 31, v1
	v_lshlrev_b64 v[5:6], 3, v[1:2]
	v_mov_b32_e32 v2, s5
	v_add_co_u32_e32 v11, vcc, s4, v5
	v_add_u32_e32 v1, s15, v1
	v_addc_co_u32_e32 v12, vcc, v2, v6, vcc
	v_ashrrev_i32_e32 v2, 31, v1
	v_lshlrev_b64 v[5:6], 3, v[1:2]
	v_mov_b32_e32 v2, s5
	v_add_co_u32_e32 v13, vcc, s4, v5
	v_addc_co_u32_e32 v14, vcc, v2, v6, vcc
	v_add_u32_e32 v1, s15, v1
	v_ashrrev_i32_e32 v2, 31, v1
	v_mov_b32_e32 v23, s5
	s_bitcmp0_b32 s8, 0
	s_mov_b64 s[8:9], -1
	global_load_dwordx2 v[5:6], v[7:8], off
	s_nop 0
	buffer_store_dword v9, off, s[0:3], 0 offset:496 ; 4-byte Folded Spill
	s_nop 0
	buffer_store_dword v10, off, s[0:3], 0 offset:500 ; 4-byte Folded Spill
	global_load_dwordx2 v[7:8], v[9:10], off
	s_nop 0
	buffer_store_dword v11, off, s[0:3], 0 offset:504 ; 4-byte Folded Spill
	s_nop 0
	buffer_store_dword v12, off, s[0:3], 0 offset:508 ; 4-byte Folded Spill
	global_load_dwordx2 v[9:10], v[11:12], off
	s_nop 0
	buffer_store_dword v13, off, s[0:3], 0 offset:512 ; 4-byte Folded Spill
	s_nop 0
	buffer_store_dword v14, off, s[0:3], 0 offset:516 ; 4-byte Folded Spill
	global_load_dwordx2 v[11:12], v[13:14], off
	v_lshlrev_b64 v[13:14], 3, v[1:2]
	v_mov_b32_e32 v2, s5
	v_add_co_u32_e32 v15, vcc, s4, v13
	v_addc_co_u32_e32 v16, vcc, v2, v14, vcc
	buffer_store_dword v15, off, s[0:3], 0 offset:520 ; 4-byte Folded Spill
	s_nop 0
	buffer_store_dword v16, off, s[0:3], 0 offset:524 ; 4-byte Folded Spill
	v_add_u32_e32 v1, s15, v1
	v_ashrrev_i32_e32 v2, 31, v1
	v_lshlrev_b64 v[13:14], 3, v[1:2]
	v_mov_b32_e32 v2, s5
	v_add_co_u32_e32 v17, vcc, s4, v13
	v_add_u32_e32 v1, s15, v1
	v_addc_co_u32_e32 v18, vcc, v2, v14, vcc
	v_ashrrev_i32_e32 v2, 31, v1
	v_lshlrev_b64 v[13:14], 3, v[1:2]
	v_mov_b32_e32 v2, s5
	v_add_co_u32_e32 v19, vcc, s4, v13
	v_add_u32_e32 v1, s15, v1
	v_addc_co_u32_e32 v20, vcc, v2, v14, vcc
	v_ashrrev_i32_e32 v2, 31, v1
	v_lshlrev_b64 v[13:14], 3, v[1:2]
	v_mov_b32_e32 v2, s5
	v_add_co_u32_e32 v21, vcc, s4, v13
	v_addc_co_u32_e32 v22, vcc, v2, v14, vcc
	v_add_u32_e32 v1, s15, v1
	v_ashrrev_i32_e32 v2, 31, v1
	global_load_dwordx2 v[13:14], v[15:16], off
	s_nop 0
	buffer_store_dword v17, off, s[0:3], 0 offset:528 ; 4-byte Folded Spill
	s_nop 0
	buffer_store_dword v18, off, s[0:3], 0 offset:532 ; 4-byte Folded Spill
	global_load_dwordx2 v[15:16], v[17:18], off
	s_nop 0
	buffer_store_dword v19, off, s[0:3], 0 offset:536 ; 4-byte Folded Spill
	s_nop 0
	buffer_store_dword v20, off, s[0:3], 0 offset:540 ; 4-byte Folded Spill
	global_load_dwordx2 v[17:18], v[19:20], off
	s_nop 0
	buffer_store_dword v21, off, s[0:3], 0 offset:544 ; 4-byte Folded Spill
	s_nop 0
	buffer_store_dword v22, off, s[0:3], 0 offset:548 ; 4-byte Folded Spill
	global_load_dwordx2 v[19:20], v[21:22], off
	v_lshlrev_b64 v[21:22], 3, v[1:2]
	v_mov_b32_e32 v2, s5
	v_add_co_u32_e32 v27, vcc, s4, v21
	v_addc_co_u32_e32 v28, vcc, v2, v22, vcc
	buffer_store_dword v27, off, s[0:3], 0 offset:552 ; 4-byte Folded Spill
	s_nop 0
	buffer_store_dword v28, off, s[0:3], 0 offset:556 ; 4-byte Folded Spill
	v_add_u32_e32 v1, s15, v1
	v_ashrrev_i32_e32 v2, 31, v1
	v_lshlrev_b64 v[21:22], 3, v[1:2]
	v_mov_b32_e32 v2, s5
	v_add_co_u32_e32 v29, vcc, s4, v21
	v_add_u32_e32 v1, s15, v1
	v_addc_co_u32_e32 v30, vcc, v2, v22, vcc
	v_ashrrev_i32_e32 v2, 31, v1
	v_lshlrev_b64 v[21:22], 3, v[1:2]
	v_mov_b32_e32 v2, s5
	v_add_co_u32_e32 v31, vcc, s4, v21
	v_add_u32_e32 v1, s15, v1
	v_addc_co_u32_e32 v32, vcc, v2, v22, vcc
	v_ashrrev_i32_e32 v2, 31, v1
	v_lshlrev_b64 v[21:22], 3, v[1:2]
	v_mov_b32_e32 v2, s5
	v_add_co_u32_e32 v33, vcc, s4, v21
	v_addc_co_u32_e32 v34, vcc, v2, v22, vcc
	v_add_u32_e32 v1, s15, v1
	v_ashrrev_i32_e32 v2, 31, v1
	;; [unrolled: 43-line block ×3, first 2 shown]
	global_load_dwordx2 v[33:34], v[35:36], off
	s_nop 0
	buffer_store_dword v37, off, s[0:3], 0 offset:592 ; 4-byte Folded Spill
	s_nop 0
	buffer_store_dword v38, off, s[0:3], 0 offset:596 ; 4-byte Folded Spill
	global_load_dwordx2 v[35:36], v[37:38], off
	s_nop 0
	buffer_store_dword v39, off, s[0:3], 0 offset:600 ; 4-byte Folded Spill
	s_nop 0
	buffer_store_dword v40, off, s[0:3], 0 offset:604 ; 4-byte Folded Spill
	;; [unrolled: 5-line block ×3, first 2 shown]
	global_load_dwordx2 v[39:40], v[41:42], off
	v_lshlrev_b64 v[41:42], 3, v[1:2]
	v_mov_b32_e32 v2, s5
	v_add_co_u32_e32 v43, vcc, s4, v41
	v_addc_co_u32_e32 v44, vcc, v2, v42, vcc
	buffer_store_dword v43, off, s[0:3], 0 offset:616 ; 4-byte Folded Spill
	s_nop 0
	buffer_store_dword v44, off, s[0:3], 0 offset:620 ; 4-byte Folded Spill
	v_add_u32_e32 v1, s15, v1
	v_ashrrev_i32_e32 v2, 31, v1
	v_lshlrev_b64 v[41:42], 3, v[1:2]
	v_mov_b32_e32 v2, s5
	v_add_co_u32_e32 v45, vcc, s4, v41
	v_add_u32_e32 v1, s15, v1
	v_addc_co_u32_e32 v46, vcc, v2, v42, vcc
	v_ashrrev_i32_e32 v2, 31, v1
	v_lshlrev_b64 v[41:42], 3, v[1:2]
	v_mov_b32_e32 v2, s5
	v_add_co_u32_e32 v47, vcc, s4, v41
	v_addc_co_u32_e32 v48, vcc, v2, v42, vcc
	global_load_dwordx2 v[41:42], v[43:44], off
	s_nop 0
	buffer_store_dword v45, off, s[0:3], 0 offset:624 ; 4-byte Folded Spill
	s_nop 0
	buffer_store_dword v46, off, s[0:3], 0 offset:628 ; 4-byte Folded Spill
	global_load_dwordx2 v[43:44], v[45:46], off
	s_nop 0
	buffer_store_dword v47, off, s[0:3], 0 offset:632 ; 4-byte Folded Spill
	s_nop 0
	buffer_store_dword v48, off, s[0:3], 0 offset:636 ; 4-byte Folded Spill
	global_load_dwordx2 v[45:46], v[47:48], off
	v_add_u32_e32 v47, s15, v1
	v_ashrrev_i32_e32 v48, 31, v47
	v_lshlrev_b64 v[1:2], 3, v[47:48]
	v_add_co_u32_e32 v1, vcc, s4, v1
	v_addc_co_u32_e32 v2, vcc, v23, v2, vcc
	buffer_store_dword v1, off, s[0:3], 0 offset:640 ; 4-byte Folded Spill
	s_nop 0
	buffer_store_dword v2, off, s[0:3], 0 offset:644 ; 4-byte Folded Spill
	global_load_dwordx2 v[1:2], v[1:2], off
	s_waitcnt vmcnt(60)
	buffer_store_dword v4, off, s[0:3], 0 offset:4
	buffer_store_dword v3, off, s[0:3], 0
	s_waitcnt vmcnt(59)
	buffer_store_dword v6, off, s[0:3], 0 offset:12
	buffer_store_dword v5, off, s[0:3], 0 offset:8
	s_waitcnt vmcnt(58)
	buffer_store_dword v8, off, s[0:3], 0 offset:20
	buffer_store_dword v7, off, s[0:3], 0 offset:16
	;; [unrolled: 3-line block ×19, first 2 shown]
	s_waitcnt vmcnt(40)
	buffer_store_dword v2, off, s[0:3], 0 offset:164
	v_add_u32_e32 v2, s15, v47
	v_ashrrev_i32_e32 v3, 31, v2
	v_lshlrev_b64 v[3:4], 3, v[2:3]
	v_mov_b32_e32 v5, s5
	v_add_co_u32_e32 v6, vcc, s4, v3
	v_addc_co_u32_e32 v7, vcc, v5, v4, vcc
	buffer_store_dword v6, off, s[0:3], 0 offset:648 ; 4-byte Folded Spill
	s_nop 0
	buffer_store_dword v7, off, s[0:3], 0 offset:652 ; 4-byte Folded Spill
	v_add_u32_e32 v2, s15, v2
	v_ashrrev_i32_e32 v3, 31, v2
	v_lshlrev_b64 v[3:4], 3, v[2:3]
	v_add_u32_e32 v2, s15, v2
	v_add_co_u32_e32 v12, vcc, s4, v3
	v_addc_co_u32_e32 v13, vcc, v5, v4, vcc
	v_ashrrev_i32_e32 v3, 31, v2
	v_lshlrev_b64 v[3:4], 3, v[2:3]
	v_add_u32_e32 v10, s15, v2
	v_add_co_u32_e32 v14, vcc, s4, v3
	v_addc_co_u32_e32 v15, vcc, v5, v4, vcc
	v_ashrrev_i32_e32 v11, 31, v10
	v_lshlrev_b64 v[2:3], 3, v[10:11]
	v_mov_b32_e32 v4, s5
	v_add_co_u32_e32 v2, vcc, s4, v2
	v_addc_co_u32_e32 v3, vcc, v4, v3, vcc
	v_add_u32_e32 v10, s15, v10
	v_ashrrev_i32_e32 v11, 31, v10
	global_load_dwordx2 v[8:9], v[6:7], off
	s_nop 0
	buffer_store_dword v12, off, s[0:3], 0 offset:656 ; 4-byte Folded Spill
	s_nop 0
	buffer_store_dword v13, off, s[0:3], 0 offset:660 ; 4-byte Folded Spill
	global_load_dwordx2 v[6:7], v[12:13], off
	s_nop 0
	buffer_store_dword v14, off, s[0:3], 0 offset:664 ; 4-byte Folded Spill
	s_nop 0
	buffer_store_dword v15, off, s[0:3], 0 offset:668 ; 4-byte Folded Spill
	v_lshlrev_b64 v[11:12], 3, v[10:11]
	v_mov_b32_e32 v13, s5
	v_add_u32_e32 v10, s15, v10
	global_load_dwordx2 v[4:5], v[14:15], off
	s_nop 0
	buffer_store_dword v2, off, s[0:3], 0 offset:672 ; 4-byte Folded Spill
	s_nop 0
	buffer_store_dword v3, off, s[0:3], 0 offset:676 ; 4-byte Folded Spill
	v_add_co_u32_e32 v14, vcc, s4, v11
	v_addc_co_u32_e32 v15, vcc, v13, v12, vcc
	v_ashrrev_i32_e32 v11, 31, v10
	v_lshlrev_b64 v[11:12], 3, v[10:11]
	v_add_u32_e32 v10, s15, v10
	v_add_co_u32_e32 v20, vcc, s4, v11
	v_addc_co_u32_e32 v21, vcc, v13, v12, vcc
	v_ashrrev_i32_e32 v11, 31, v10
	v_lshlrev_b64 v[11:12], 3, v[10:11]
	v_add_u32_e32 v18, s15, v10
	v_add_co_u32_e32 v22, vcc, s4, v11
	v_addc_co_u32_e32 v23, vcc, v13, v12, vcc
	v_ashrrev_i32_e32 v19, 31, v18
	v_lshlrev_b64 v[10:11], 3, v[18:19]
	v_mov_b32_e32 v12, s5
	v_add_co_u32_e32 v10, vcc, s4, v10
	v_addc_co_u32_e32 v11, vcc, v12, v11, vcc
	v_add_u32_e32 v18, s15, v18
	v_ashrrev_i32_e32 v19, 31, v18
	global_load_dwordx2 v[2:3], v[2:3], off
	s_nop 0
	buffer_store_dword v14, off, s[0:3], 0 offset:680 ; 4-byte Folded Spill
	s_nop 0
	buffer_store_dword v15, off, s[0:3], 0 offset:684 ; 4-byte Folded Spill
	global_load_dwordx2 v[16:17], v[14:15], off
	s_nop 0
	buffer_store_dword v20, off, s[0:3], 0 offset:688 ; 4-byte Folded Spill
	s_nop 0
	buffer_store_dword v21, off, s[0:3], 0 offset:692 ; 4-byte Folded Spill
	;; [unrolled: 5-line block ×3, first 2 shown]
	v_lshlrev_b64 v[19:20], 3, v[18:19]
	v_mov_b32_e32 v21, s5
	v_add_u32_e32 v18, s15, v18
	global_load_dwordx2 v[12:13], v[22:23], off
	s_nop 0
	buffer_store_dword v10, off, s[0:3], 0 offset:704 ; 4-byte Folded Spill
	s_nop 0
	buffer_store_dword v11, off, s[0:3], 0 offset:708 ; 4-byte Folded Spill
	v_add_co_u32_e32 v22, vcc, s4, v19
	v_addc_co_u32_e32 v23, vcc, v21, v20, vcc
	v_ashrrev_i32_e32 v19, 31, v18
	v_lshlrev_b64 v[19:20], 3, v[18:19]
	v_add_u32_e32 v18, s15, v18
	v_add_co_u32_e32 v29, vcc, s4, v19
	v_addc_co_u32_e32 v30, vcc, v21, v20, vcc
	v_ashrrev_i32_e32 v19, 31, v18
	v_lshlrev_b64 v[19:20], 3, v[18:19]
	v_add_u32_e32 v27, s15, v18
	v_add_co_u32_e32 v31, vcc, s4, v19
	v_addc_co_u32_e32 v32, vcc, v21, v20, vcc
	v_ashrrev_i32_e32 v28, 31, v27
	v_lshlrev_b64 v[18:19], 3, v[27:28]
	v_mov_b32_e32 v20, s5
	v_add_co_u32_e32 v18, vcc, s4, v18
	v_addc_co_u32_e32 v19, vcc, v20, v19, vcc
	v_add_u32_e32 v27, s15, v27
	v_ashrrev_i32_e32 v28, 31, v27
	global_load_dwordx2 v[10:11], v[10:11], off
	s_nop 0
	buffer_store_dword v22, off, s[0:3], 0 offset:712 ; 4-byte Folded Spill
	s_nop 0
	buffer_store_dword v23, off, s[0:3], 0 offset:716 ; 4-byte Folded Spill
	global_load_dwordx2 v[147:148], v[22:23], off
	s_nop 0
	buffer_store_dword v29, off, s[0:3], 0 offset:720 ; 4-byte Folded Spill
	s_nop 0
	buffer_store_dword v30, off, s[0:3], 0 offset:724 ; 4-byte Folded Spill
	;; [unrolled: 5-line block ×3, first 2 shown]
	v_lshlrev_b64 v[28:29], 3, v[27:28]
	v_mov_b32_e32 v30, s5
	v_add_u32_e32 v27, s15, v27
	global_load_dwordx2 v[20:21], v[31:32], off
	s_nop 0
	buffer_store_dword v18, off, s[0:3], 0 offset:736 ; 4-byte Folded Spill
	s_nop 0
	buffer_store_dword v19, off, s[0:3], 0 offset:740 ; 4-byte Folded Spill
	v_add_co_u32_e32 v31, vcc, s4, v28
	v_addc_co_u32_e32 v32, vcc, v30, v29, vcc
	v_ashrrev_i32_e32 v28, 31, v27
	v_lshlrev_b64 v[28:29], 3, v[27:28]
	v_add_u32_e32 v27, s15, v27
	v_add_co_u32_e32 v33, vcc, s4, v28
	v_addc_co_u32_e32 v34, vcc, v30, v29, vcc
	v_ashrrev_i32_e32 v28, 31, v27
	v_lshlrev_b64 v[28:29], 3, v[27:28]
	v_add_u32_e32 v27, s15, v27
	;; [unrolled: 5-line block ×3, first 2 shown]
	v_add_co_u32_e32 v28, vcc, s4, v28
	v_addc_co_u32_e32 v29, vcc, v30, v29, vcc
	global_load_dwordx2 v[18:19], v[18:19], off
	s_nop 0
	buffer_store_dword v31, off, s[0:3], 0 offset:744 ; 4-byte Folded Spill
	s_nop 0
	buffer_store_dword v32, off, s[0:3], 0 offset:748 ; 4-byte Folded Spill
	global_load_dwordx2 v[155:156], v[31:32], off
	s_nop 0
	buffer_store_dword v33, off, s[0:3], 0 offset:752 ; 4-byte Folded Spill
	s_nop 0
	buffer_store_dword v34, off, s[0:3], 0 offset:756 ; 4-byte Folded Spill
	;; [unrolled: 5-line block ×4, first 2 shown]
	global_load_dwordx2 v[149:150], v[28:29], off
	v_ashrrev_i32_e32 v28, 31, v27
	v_lshlrev_b64 v[28:29], 3, v[27:28]
	v_add_u32_e32 v27, s15, v27
	v_add_co_u32_e32 v31, vcc, s4, v28
	v_addc_co_u32_e32 v32, vcc, v30, v29, vcc
	buffer_store_dword v31, off, s[0:3], 0 offset:776 ; 4-byte Folded Spill
	s_nop 0
	buffer_store_dword v32, off, s[0:3], 0 offset:780 ; 4-byte Folded Spill
	v_ashrrev_i32_e32 v28, 31, v27
	v_lshlrev_b64 v[28:29], 3, v[27:28]
	v_add_u32_e32 v27, s15, v27
	v_add_co_u32_e32 v33, vcc, s4, v28
	v_addc_co_u32_e32 v34, vcc, v30, v29, vcc
	v_ashrrev_i32_e32 v28, 31, v27
	v_lshlrev_b64 v[28:29], 3, v[27:28]
	v_add_u32_e32 v27, s15, v27
	v_add_co_u32_e32 v35, vcc, s4, v28
	v_addc_co_u32_e32 v36, vcc, v30, v29, vcc
	;; [unrolled: 5-line block ×3, first 2 shown]
	global_load_dwordx2 v[163:164], v[31:32], off
	s_nop 0
	buffer_store_dword v33, off, s[0:3], 0 offset:784 ; 4-byte Folded Spill
	s_nop 0
	buffer_store_dword v34, off, s[0:3], 0 offset:788 ; 4-byte Folded Spill
	global_load_dwordx2 v[161:162], v[33:34], off
	s_nop 0
	buffer_store_dword v35, off, s[0:3], 0 offset:792 ; 4-byte Folded Spill
	s_nop 0
	buffer_store_dword v36, off, s[0:3], 0 offset:796 ; 4-byte Folded Spill
	;; [unrolled: 5-line block ×3, first 2 shown]
	global_load_dwordx2 v[157:158], v[28:29], off
	v_ashrrev_i32_e32 v28, 31, v27
	v_lshlrev_b64 v[28:29], 3, v[27:28]
	v_add_u32_e32 v27, s15, v27
	v_add_co_u32_e32 v31, vcc, s4, v28
	v_addc_co_u32_e32 v32, vcc, v30, v29, vcc
	buffer_store_dword v31, off, s[0:3], 0 offset:808 ; 4-byte Folded Spill
	s_nop 0
	buffer_store_dword v32, off, s[0:3], 0 offset:812 ; 4-byte Folded Spill
	v_ashrrev_i32_e32 v28, 31, v27
	v_lshlrev_b64 v[28:29], 3, v[27:28]
	v_add_u32_e32 v27, s15, v27
	v_add_co_u32_e32 v33, vcc, s4, v28
	v_addc_co_u32_e32 v34, vcc, v30, v29, vcc
	v_ashrrev_i32_e32 v28, 31, v27
	v_lshlrev_b64 v[28:29], 3, v[27:28]
	v_add_u32_e32 v27, s15, v27
	v_add_co_u32_e32 v35, vcc, s4, v28
	v_addc_co_u32_e32 v36, vcc, v30, v29, vcc
	;; [unrolled: 5-line block ×3, first 2 shown]
	global_load_dwordx2 v[171:172], v[31:32], off
	s_nop 0
	buffer_store_dword v33, off, s[0:3], 0 offset:816 ; 4-byte Folded Spill
	s_nop 0
	buffer_store_dword v34, off, s[0:3], 0 offset:820 ; 4-byte Folded Spill
	global_load_dwordx2 v[169:170], v[33:34], off
	s_nop 0
	buffer_store_dword v35, off, s[0:3], 0 offset:824 ; 4-byte Folded Spill
	s_nop 0
	buffer_store_dword v36, off, s[0:3], 0 offset:828 ; 4-byte Folded Spill
	;; [unrolled: 5-line block ×3, first 2 shown]
	global_load_dwordx2 v[165:166], v[28:29], off
	v_ashrrev_i32_e32 v28, 31, v27
	v_lshlrev_b64 v[28:29], 3, v[27:28]
	v_add_u32_e32 v27, s15, v27
	v_add_co_u32_e32 v31, vcc, s4, v28
	v_addc_co_u32_e32 v32, vcc, v30, v29, vcc
	buffer_store_dword v31, off, s[0:3], 0 offset:840 ; 4-byte Folded Spill
	s_nop 0
	buffer_store_dword v32, off, s[0:3], 0 offset:844 ; 4-byte Folded Spill
	v_ashrrev_i32_e32 v28, 31, v27
	v_lshlrev_b64 v[28:29], 3, v[27:28]
	v_add_u32_e32 v27, s15, v27
	v_add_co_u32_e32 v33, vcc, s4, v28
	v_ashrrev_i32_e32 v28, 31, v27
	v_addc_co_u32_e32 v34, vcc, v30, v29, vcc
	v_lshlrev_b64 v[28:29], 3, v[27:28]
	v_add_u32_e32 v27, s15, v27
	v_add_co_u32_e32 v35, vcc, s4, v28
	v_ashrrev_i32_e32 v28, 31, v27
	v_addc_co_u32_e32 v36, vcc, v30, v29, vcc
	v_lshlrev_b64 v[28:29], 3, v[27:28]
	v_add_co_u32_e32 v37, vcc, s4, v28
	v_addc_co_u32_e32 v38, vcc, v30, v29, vcc
	global_load_dwordx2 v[28:29], v[31:32], off
	s_nop 0
	buffer_store_dword v33, off, s[0:3], 0 offset:848 ; 4-byte Folded Spill
	s_nop 0
	buffer_store_dword v34, off, s[0:3], 0 offset:852 ; 4-byte Folded Spill
	global_load_dwordx2 v[30:31], v[33:34], off
	s_nop 0
	buffer_store_dword v35, off, s[0:3], 0 offset:856 ; 4-byte Folded Spill
	s_nop 0
	buffer_store_dword v36, off, s[0:3], 0 offset:860 ; 4-byte Folded Spill
	;; [unrolled: 5-line block ×3, first 2 shown]
	v_add_u32_e32 v36, s15, v27
	v_mov_b32_e32 v27, s5
	global_load_dwordx2 v[34:35], v[37:38], off
	v_ashrrev_i32_e32 v37, 31, v36
	v_lshlrev_b64 v[37:38], 3, v[36:37]
	v_add_u32_e32 v36, s15, v36
	v_add_co_u32_e32 v39, vcc, s4, v37
	v_addc_co_u32_e32 v40, vcc, v27, v38, vcc
	buffer_store_dword v39, off, s[0:3], 0 offset:872 ; 4-byte Folded Spill
	s_nop 0
	buffer_store_dword v40, off, s[0:3], 0 offset:876 ; 4-byte Folded Spill
	v_ashrrev_i32_e32 v37, 31, v36
	v_lshlrev_b64 v[37:38], 3, v[36:37]
	v_add_u32_e32 v36, s15, v36
	v_add_co_u32_e32 v41, vcc, s4, v37
	v_ashrrev_i32_e32 v37, 31, v36
	v_addc_co_u32_e32 v42, vcc, v27, v38, vcc
	v_lshlrev_b64 v[37:38], 3, v[36:37]
	v_add_u32_e32 v36, s15, v36
	v_add_co_u32_e32 v43, vcc, s4, v37
	v_ashrrev_i32_e32 v37, 31, v36
	v_addc_co_u32_e32 v44, vcc, v27, v38, vcc
	v_lshlrev_b64 v[37:38], 3, v[36:37]
	v_add_co_u32_e32 v45, vcc, s4, v37
	v_addc_co_u32_e32 v46, vcc, v27, v38, vcc
	global_load_dwordx2 v[37:38], v[39:40], off
	s_nop 0
	buffer_store_dword v41, off, s[0:3], 0 offset:880 ; 4-byte Folded Spill
	s_nop 0
	buffer_store_dword v42, off, s[0:3], 0 offset:884 ; 4-byte Folded Spill
	global_load_dwordx2 v[39:40], v[41:42], off
	s_nop 0
	buffer_store_dword v43, off, s[0:3], 0 offset:888 ; 4-byte Folded Spill
	s_nop 0
	buffer_store_dword v44, off, s[0:3], 0 offset:892 ; 4-byte Folded Spill
	;; [unrolled: 5-line block ×3, first 2 shown]
	global_load_dwordx2 v[43:44], v[45:46], off
	v_add_u32_e32 v45, s15, v36
	v_ashrrev_i32_e32 v46, 31, v45
	v_lshlrev_b64 v[46:47], 3, v[45:46]
	v_add_u32_e32 v45, s15, v45
	v_add_co_u32_e32 v48, vcc, s4, v46
	v_addc_co_u32_e32 v49, vcc, v27, v47, vcc
	buffer_store_dword v48, off, s[0:3], 0 offset:904 ; 4-byte Folded Spill
	s_nop 0
	buffer_store_dword v49, off, s[0:3], 0 offset:908 ; 4-byte Folded Spill
	v_ashrrev_i32_e32 v46, 31, v45
	v_lshlrev_b64 v[46:47], 3, v[45:46]
	v_add_u32_e32 v45, s15, v45
	v_add_co_u32_e32 v50, vcc, s4, v46
	v_ashrrev_i32_e32 v46, 31, v45
	v_addc_co_u32_e32 v51, vcc, v27, v47, vcc
	v_lshlrev_b64 v[46:47], 3, v[45:46]
	v_add_u32_e32 v45, s15, v45
	v_add_co_u32_e32 v52, vcc, s4, v46
	v_ashrrev_i32_e32 v46, 31, v45
	v_addc_co_u32_e32 v53, vcc, v27, v47, vcc
	v_lshlrev_b64 v[46:47], 3, v[45:46]
	v_add_u32_e32 v54, s15, v45
	v_add_co_u32_e32 v137, vcc, s4, v46
	v_addc_co_u32_e32 v138, vcc, v27, v47, vcc
	v_ashrrev_i32_e32 v55, 31, v54
	v_lshlrev_b64 v[55:56], 3, v[54:55]
	v_add_u32_e32 v54, s15, v54
	v_add_co_u32_e32 v139, vcc, s4, v55
	v_ashrrev_i32_e32 v55, 31, v54
	v_addc_co_u32_e32 v140, vcc, v27, v56, vcc
	v_lshlrev_b64 v[55:56], 3, v[54:55]
	v_add_u32_e32 v54, s15, v54
	v_add_co_u32_e32 v141, vcc, s4, v55
	v_ashrrev_i32_e32 v55, 31, v54
	v_addc_co_u32_e32 v142, vcc, v27, v56, vcc
	v_lshlrev_b64 v[55:56], 3, v[54:55]
	v_add_u32_e32 v61, s15, v54
	v_add_co_u32_e32 v143, vcc, s4, v55
	v_addc_co_u32_e32 v144, vcc, v27, v56, vcc
	v_ashrrev_i32_e32 v62, 31, v61
	v_lshlrev_b64 v[61:62], 3, v[61:62]
	v_add_co_u32_e32 v145, vcc, s4, v61
	v_addc_co_u32_e32 v146, vcc, v27, v62, vcc
	global_load_dwordx2 v[46:47], v[48:49], off
	s_nop 0
	buffer_store_dword v50, off, s[0:3], 0 offset:912 ; 4-byte Folded Spill
	s_nop 0
	buffer_store_dword v51, off, s[0:3], 0 offset:916 ; 4-byte Folded Spill
	global_load_dwordx2 v[48:49], v[50:51], off
	s_nop 0
	buffer_store_dword v52, off, s[0:3], 0 offset:920 ; 4-byte Folded Spill
	s_nop 0
	buffer_store_dword v53, off, s[0:3], 0 offset:924 ; 4-byte Folded Spill
	global_load_dwordx2 v[50:51], v[52:53], off
	s_nop 0
	global_load_dwordx2 v[52:53], v[137:138], off
	global_load_dwordx2 v[55:56], v[139:140], off
	;; [unrolled: 1-line block ×5, first 2 shown]
	s_nop 0
	buffer_store_dword v1, off, s[0:3], 0 offset:160
	s_waitcnt vmcnt(62)
	buffer_store_dword v8, off, s[0:3], 0 offset:168
	buffer_store_dword v9, off, s[0:3], 0 offset:172
	;; [unrolled: 1-line block ×32, first 2 shown]
	s_waitcnt vmcnt(62)
	buffer_store_dword v164, off, s[0:3], 0 offset:300
	buffer_store_dword v163, off, s[0:3], 0 offset:296
	;; [unrolled: 1-line block ×22, first 2 shown]
	s_waitcnt vmcnt(62)
	buffer_store_dword v34, off, s[0:3], 0 offset:384
	buffer_store_dword v35, off, s[0:3], 0 offset:388
	;; [unrolled: 1-line block ×14, first 2 shown]
	s_waitcnt vmcnt(62)
	buffer_store_dword v51, off, s[0:3], 0 offset:444
	buffer_store_dword v50, off, s[0:3], 0 offset:440
	;; [unrolled: 1-line block ×12, first 2 shown]
	s_cbranch_scc1 .LBB60_256
; %bb.4:
	v_cmp_eq_u32_e64 s[4:5], 0, v0
	s_and_saveexec_b64 s[8:9], s[4:5]
; %bb.5:
	v_mov_b32_e32 v1, 0
	ds_write_b32 v1, v1 offset:488
; %bb.6:
	s_or_b64 exec, exec, s[8:9]
	v_mov_b32_e32 v1, 0
	v_lshl_add_u32 v4, v0, 3, v1
	s_waitcnt lgkmcnt(0)
	; wave barrier
	buffer_load_dword v1, v4, s[0:3], 0 offen
	buffer_load_dword v2, v4, s[0:3], 0 offen offset:4
	s_waitcnt vmcnt(1)
	v_cmp_eq_f32_e32 vcc, 0, v1
	s_waitcnt vmcnt(0)
	v_cmp_eq_f32_e64 s[8:9], 0, v2
	s_and_b64 s[8:9], vcc, s[8:9]
	s_and_saveexec_b64 s[12:13], s[8:9]
	s_cbranch_execz .LBB60_10
; %bb.7:
	v_mov_b32_e32 v1, 0
	ds_read_b32 v3, v1 offset:488
	v_add_u32_e32 v2, 1, v0
	s_waitcnt lgkmcnt(0)
	v_readfirstlane_b32 s8, v3
	s_cmp_eq_u32 s8, 0
	s_cselect_b64 s[14:15], -1, 0
	v_cmp_gt_i32_e32 vcc, s8, v2
	s_or_b64 s[14:15], s[14:15], vcc
	s_and_b64 exec, exec, s[14:15]
	s_cbranch_execz .LBB60_10
; %bb.8:
	s_mov_b64 s[14:15], 0
	v_mov_b32_e32 v3, s8
.LBB60_9:                               ; =>This Inner Loop Header: Depth=1
	ds_cmpst_rtn_b32 v3, v1, v3, v2 offset:488
	s_waitcnt lgkmcnt(0)
	v_cmp_ne_u32_e32 vcc, 0, v3
	v_cmp_le_i32_e64 s[8:9], v3, v2
	s_and_b64 s[8:9], vcc, s[8:9]
	s_and_b64 s[8:9], exec, s[8:9]
	s_or_b64 s[14:15], s[8:9], s[14:15]
	s_andn2_b64 exec, exec, s[14:15]
	s_cbranch_execnz .LBB60_9
.LBB60_10:
	s_or_b64 exec, exec, s[12:13]
	v_mov_b32_e32 v2, 0
	; wave barrier
	ds_read_b32 v1, v2 offset:488
	s_and_saveexec_b64 s[8:9], s[4:5]
	s_cbranch_execz .LBB60_12
; %bb.11:
	s_lshl_b64 s[12:13], s[6:7], 2
	s_add_u32 s12, s10, s12
	s_addc_u32 s13, s11, s13
	s_waitcnt lgkmcnt(0)
	global_store_dword v2, v1, s[12:13]
.LBB60_12:
	s_or_b64 exec, exec, s[8:9]
	s_waitcnt lgkmcnt(0)
	v_cmp_ne_u32_e32 vcc, 0, v1
	s_mov_b64 s[8:9], 0
	s_cbranch_vccnz .LBB60_256
; %bb.13:
	buffer_load_dword v2, v4, s[0:3], 0 offen
	buffer_load_dword v3, v4, s[0:3], 0 offen offset:4
                                        ; implicit-def: $vgpr6
                                        ; implicit-def: $vgpr5
                                        ; implicit-def: $vgpr1
	s_waitcnt vmcnt(0)
	v_cmp_ngt_f32_e64 s[8:9], |v2|, |v3|
	s_and_saveexec_b64 s[12:13], s[8:9]
	s_xor_b64 s[8:9], exec, s[12:13]
	s_cbranch_execz .LBB60_15
; %bb.14:
	v_div_scale_f32 v1, s[12:13], v3, v3, v2
	v_div_scale_f32 v5, vcc, v2, v3, v2
	v_rcp_f32_e32 v6, v1
	v_fma_f32 v7, -v1, v6, 1.0
	v_fmac_f32_e32 v6, v7, v6
	v_mul_f32_e32 v7, v5, v6
	v_fma_f32 v8, -v1, v7, v5
	v_fmac_f32_e32 v7, v8, v6
	v_fma_f32 v1, -v1, v7, v5
	v_div_fmas_f32 v1, v1, v6, v7
	v_div_fixup_f32 v1, v1, v3, v2
	v_fmac_f32_e32 v3, v2, v1
	v_div_scale_f32 v2, s[12:13], v3, v3, 1.0
	v_div_scale_f32 v5, vcc, 1.0, v3, 1.0
	v_rcp_f32_e32 v6, v2
	v_fma_f32 v7, -v2, v6, 1.0
	v_fmac_f32_e32 v6, v7, v6
	v_mul_f32_e32 v7, v5, v6
	v_fma_f32 v8, -v2, v7, v5
	v_fmac_f32_e32 v7, v8, v6
	v_fma_f32 v2, -v2, v7, v5
	v_div_fmas_f32 v2, v2, v6, v7
	v_div_fixup_f32 v2, v2, v3, 1.0
	v_mul_f32_e32 v6, v1, v2
	v_xor_b32_e32 v5, 0x80000000, v2
	v_xor_b32_e32 v1, 0x80000000, v6
                                        ; implicit-def: $vgpr2
                                        ; implicit-def: $vgpr3
.LBB60_15:
	s_andn2_saveexec_b64 s[8:9], s[8:9]
	s_cbranch_execz .LBB60_17
; %bb.16:
	v_div_scale_f32 v1, s[12:13], v2, v2, v3
	v_div_scale_f32 v5, vcc, v3, v2, v3
	v_rcp_f32_e32 v6, v1
	v_fma_f32 v7, -v1, v6, 1.0
	v_fmac_f32_e32 v6, v7, v6
	v_mul_f32_e32 v7, v5, v6
	v_fma_f32 v8, -v1, v7, v5
	v_fmac_f32_e32 v7, v8, v6
	v_fma_f32 v1, -v1, v7, v5
	v_div_fmas_f32 v1, v1, v6, v7
	v_div_fixup_f32 v5, v1, v2, v3
	v_fmac_f32_e32 v2, v3, v5
	v_div_scale_f32 v1, s[12:13], v2, v2, 1.0
	v_div_scale_f32 v3, vcc, 1.0, v2, 1.0
	v_rcp_f32_e32 v6, v1
	v_fma_f32 v7, -v1, v6, 1.0
	v_fmac_f32_e32 v6, v7, v6
	v_mul_f32_e32 v7, v3, v6
	v_fma_f32 v8, -v1, v7, v3
	v_fmac_f32_e32 v7, v8, v6
	v_fma_f32 v1, -v1, v7, v3
	v_div_fmas_f32 v1, v1, v6, v7
	v_div_fixup_f32 v6, v1, v2, 1.0
	v_xor_b32_e32 v1, 0x80000000, v6
	v_mul_f32_e64 v5, v5, -v6
.LBB60_17:
	s_or_b64 exec, exec, s[8:9]
	buffer_store_dword v6, v4, s[0:3], 0 offen
	buffer_store_dword v5, v4, s[0:3], 0 offen offset:4
	buffer_load_dword v7, off, s[0:3], 0 offset:12
	s_nop 0
	buffer_load_dword v6, off, s[0:3], 0 offset:8
	v_xor_b32_e32 v2, 0x80000000, v5
	v_add_u32_e32 v3, 0x1f0, v24
	s_waitcnt vmcnt(0)
	ds_write2_b64 v24, v[1:2], v[6:7] offset1:62
	s_waitcnt lgkmcnt(0)
	; wave barrier
	s_and_saveexec_b64 s[8:9], s[4:5]
	s_cbranch_execz .LBB60_19
; %bb.18:
	buffer_load_dword v7, v4, s[0:3], 0 offen offset:4
	buffer_load_dword v8, v4, s[0:3], 0 offen
	ds_read_b64 v[1:2], v3
	v_mov_b32_e32 v5, 0
	ds_read_b64 v[5:6], v5 offset:8
	s_waitcnt vmcnt(1) lgkmcnt(1)
	v_mul_f32_e32 v9, v2, v7
	v_mul_f32_e32 v7, v1, v7
	s_waitcnt vmcnt(0)
	v_fmac_f32_e32 v7, v2, v8
	v_fma_f32 v1, v1, v8, -v9
	v_add_f32_e32 v2, 0, v7
	v_add_f32_e32 v1, 0, v1
	s_waitcnt lgkmcnt(0)
	v_mul_f32_e32 v7, v2, v6
	v_mul_f32_e32 v6, v1, v6
	v_fma_f32 v1, v1, v5, -v7
	v_fmac_f32_e32 v6, v2, v5
	buffer_store_dword v1, off, s[0:3], 0 offset:8
	buffer_store_dword v6, off, s[0:3], 0 offset:12
.LBB60_19:
	s_or_b64 exec, exec, s[8:9]
	; wave barrier
	buffer_load_dword v1, off, s[0:3], 0 offset:16
	buffer_load_dword v2, off, s[0:3], 0 offset:20
	v_cmp_gt_u32_e32 vcc, 2, v0
	s_waitcnt vmcnt(0)
	ds_write_b64 v3, v[1:2]
	s_waitcnt lgkmcnt(0)
	; wave barrier
	s_and_saveexec_b64 s[8:9], vcc
	s_cbranch_execz .LBB60_23
; %bb.20:
	buffer_load_dword v5, v4, s[0:3], 0 offen offset:4
	buffer_load_dword v6, v4, s[0:3], 0 offen
	ds_read_b64 v[1:2], v3
	s_waitcnt vmcnt(1) lgkmcnt(0)
	v_mul_f32_e32 v4, v2, v5
	v_mul_f32_e32 v5, v1, v5
	s_waitcnt vmcnt(0)
	v_fma_f32 v1, v1, v6, -v4
	v_fmac_f32_e32 v5, v2, v6
	v_add_f32_e32 v2, 0, v1
	v_add_f32_e32 v1, 0, v5
	s_and_saveexec_b64 s[12:13], s[4:5]
	s_cbranch_execz .LBB60_22
; %bb.21:
	buffer_load_dword v6, off, s[0:3], 0 offset:12
	buffer_load_dword v7, off, s[0:3], 0 offset:8
	v_mov_b32_e32 v4, 0
	ds_read_b64 v[4:5], v4 offset:504
	s_waitcnt vmcnt(1) lgkmcnt(0)
	v_mul_f32_e32 v8, v4, v6
	v_mul_f32_e32 v6, v5, v6
	s_waitcnt vmcnt(0)
	v_fmac_f32_e32 v8, v5, v7
	v_fma_f32 v4, v4, v7, -v6
	v_add_f32_e32 v1, v1, v8
	v_add_f32_e32 v2, v2, v4
.LBB60_22:
	s_or_b64 exec, exec, s[12:13]
	v_mov_b32_e32 v4, 0
	ds_read_b64 v[4:5], v4 offset:16
	s_waitcnt lgkmcnt(0)
	v_mul_f32_e32 v6, v1, v5
	v_mul_f32_e32 v5, v2, v5
	v_fma_f32 v2, v2, v4, -v6
	v_fmac_f32_e32 v5, v1, v4
	buffer_store_dword v2, off, s[0:3], 0 offset:16
	buffer_store_dword v5, off, s[0:3], 0 offset:20
.LBB60_23:
	s_or_b64 exec, exec, s[8:9]
	; wave barrier
	buffer_load_dword v1, off, s[0:3], 0 offset:24
	buffer_load_dword v2, off, s[0:3], 0 offset:28
	v_cmp_gt_u32_e32 vcc, 3, v0
	s_waitcnt vmcnt(0)
	ds_write_b64 v3, v[1:2]
	v_add_u32_e32 v1, -1, v0
	s_waitcnt lgkmcnt(0)
	; wave barrier
	s_and_saveexec_b64 s[4:5], vcc
	s_cbranch_execz .LBB60_27
; %bb.24:
	v_add_u32_e32 v4, -1, v0
	v_add_u32_e32 v5, 0x1f0, v24
	v_mov_b32_e32 v6, v24
	v_mov_b32_e32 v2, 0
	s_mov_b64 s[8:9], 0
	v_mov_b32_e32 v7, 0
.LBB60_25:                              ; =>This Inner Loop Header: Depth=1
	buffer_load_dword v10, v6, s[0:3], 0 offen offset:4
	buffer_load_dword v11, v6, s[0:3], 0 offen
	ds_read_b64 v[8:9], v5
	v_add_u32_e32 v4, 1, v4
	v_cmp_lt_u32_e32 vcc, 1, v4
	v_add_u32_e32 v5, 8, v5
	v_add_u32_e32 v6, 8, v6
	s_or_b64 s[8:9], vcc, s[8:9]
	s_waitcnt vmcnt(1) lgkmcnt(0)
	v_mul_f32_e32 v12, v9, v10
	v_mul_f32_e32 v10, v8, v10
	s_waitcnt vmcnt(0)
	v_fma_f32 v8, v8, v11, -v12
	v_fmac_f32_e32 v10, v9, v11
	v_add_f32_e32 v7, v7, v8
	v_add_f32_e32 v2, v2, v10
	s_andn2_b64 exec, exec, s[8:9]
	s_cbranch_execnz .LBB60_25
; %bb.26:
	s_or_b64 exec, exec, s[8:9]
	v_mov_b32_e32 v4, 0
	ds_read_b64 v[4:5], v4 offset:24
	s_waitcnt lgkmcnt(0)
	v_mul_f32_e32 v6, v2, v5
	v_mul_f32_e32 v5, v7, v5
	v_fma_f32 v6, v7, v4, -v6
	v_fmac_f32_e32 v5, v2, v4
	buffer_store_dword v6, off, s[0:3], 0 offset:24
	buffer_store_dword v5, off, s[0:3], 0 offset:28
.LBB60_27:
	s_or_b64 exec, exec, s[4:5]
	; wave barrier
	buffer_load_dword v4, off, s[0:3], 0 offset:32
	buffer_load_dword v5, off, s[0:3], 0 offset:36
	v_cmp_gt_u32_e32 vcc, 4, v0
	s_waitcnt vmcnt(0)
	ds_write_b64 v3, v[4:5]
	s_waitcnt lgkmcnt(0)
	; wave barrier
	s_and_saveexec_b64 s[4:5], vcc
	s_cbranch_execz .LBB60_31
; %bb.28:
	v_add_u32_e32 v4, -1, v0
	v_add_u32_e32 v5, 0x1f0, v24
	v_mov_b32_e32 v6, v24
	v_mov_b32_e32 v2, 0
	s_mov_b64 s[8:9], 0
	v_mov_b32_e32 v7, 0
.LBB60_29:                              ; =>This Inner Loop Header: Depth=1
	buffer_load_dword v10, v6, s[0:3], 0 offen offset:4
	buffer_load_dword v11, v6, s[0:3], 0 offen
	ds_read_b64 v[8:9], v5
	v_add_u32_e32 v4, 1, v4
	v_cmp_lt_u32_e32 vcc, 2, v4
	v_add_u32_e32 v5, 8, v5
	v_add_u32_e32 v6, 8, v6
	s_or_b64 s[8:9], vcc, s[8:9]
	s_waitcnt vmcnt(1) lgkmcnt(0)
	v_mul_f32_e32 v12, v9, v10
	v_mul_f32_e32 v10, v8, v10
	s_waitcnt vmcnt(0)
	v_fma_f32 v8, v8, v11, -v12
	v_fmac_f32_e32 v10, v9, v11
	v_add_f32_e32 v7, v7, v8
	v_add_f32_e32 v2, v2, v10
	s_andn2_b64 exec, exec, s[8:9]
	s_cbranch_execnz .LBB60_29
; %bb.30:
	s_or_b64 exec, exec, s[8:9]
	v_mov_b32_e32 v4, 0
	ds_read_b64 v[4:5], v4 offset:32
	s_waitcnt lgkmcnt(0)
	v_mul_f32_e32 v6, v2, v5
	v_mul_f32_e32 v5, v7, v5
	v_fma_f32 v6, v7, v4, -v6
	v_fmac_f32_e32 v5, v2, v4
	buffer_store_dword v6, off, s[0:3], 0 offset:32
	buffer_store_dword v5, off, s[0:3], 0 offset:36
.LBB60_31:
	s_or_b64 exec, exec, s[4:5]
	; wave barrier
	buffer_load_dword v4, off, s[0:3], 0 offset:40
	buffer_load_dword v5, off, s[0:3], 0 offset:44
	v_cmp_gt_u32_e32 vcc, 5, v0
	s_waitcnt vmcnt(0)
	ds_write_b64 v3, v[4:5]
	;; [unrolled: 49-line block ×19, first 2 shown]
	s_waitcnt lgkmcnt(0)
	; wave barrier
	s_and_saveexec_b64 s[4:5], vcc
	s_cbranch_execz .LBB60_103
; %bb.100:
	v_add_u32_e32 v4, -1, v0
	v_add_u32_e32 v5, 0x1f0, v24
	v_mov_b32_e32 v6, v24
	v_mov_b32_e32 v2, 0
	s_mov_b64 s[8:9], 0
	v_mov_b32_e32 v7, 0
.LBB60_101:                             ; =>This Inner Loop Header: Depth=1
	buffer_load_dword v10, v6, s[0:3], 0 offen offset:4
	buffer_load_dword v11, v6, s[0:3], 0 offen
	ds_read_b64 v[8:9], v5
	v_add_u32_e32 v4, 1, v4
	v_cmp_lt_u32_e32 vcc, 20, v4
	v_add_u32_e32 v5, 8, v5
	v_add_u32_e32 v6, 8, v6
	s_or_b64 s[8:9], vcc, s[8:9]
	s_waitcnt vmcnt(1) lgkmcnt(0)
	v_mul_f32_e32 v12, v9, v10
	v_mul_f32_e32 v10, v8, v10
	s_waitcnt vmcnt(0)
	v_fma_f32 v8, v8, v11, -v12
	v_fmac_f32_e32 v10, v9, v11
	v_add_f32_e32 v7, v7, v8
	v_add_f32_e32 v2, v2, v10
	s_andn2_b64 exec, exec, s[8:9]
	s_cbranch_execnz .LBB60_101
; %bb.102:
	s_or_b64 exec, exec, s[8:9]
	v_mov_b32_e32 v4, 0
	ds_read_b64 v[4:5], v4 offset:176
	s_waitcnt lgkmcnt(0)
	v_mul_f32_e32 v6, v2, v5
	v_mul_f32_e32 v5, v7, v5
	v_fma_f32 v6, v7, v4, -v6
	v_fmac_f32_e32 v5, v2, v4
	buffer_store_dword v6, off, s[0:3], 0 offset:176
	buffer_store_dword v5, off, s[0:3], 0 offset:180
.LBB60_103:
	s_or_b64 exec, exec, s[4:5]
	; wave barrier
	buffer_load_dword v4, off, s[0:3], 0 offset:184
	buffer_load_dword v5, off, s[0:3], 0 offset:188
	v_cmp_gt_u32_e32 vcc, 23, v0
	s_waitcnt vmcnt(0)
	ds_write_b64 v3, v[4:5]
	s_waitcnt lgkmcnt(0)
	; wave barrier
	s_and_saveexec_b64 s[4:5], vcc
	s_cbranch_execz .LBB60_107
; %bb.104:
	v_add_u32_e32 v4, -1, v0
	v_add_u32_e32 v5, 0x1f0, v24
	v_mov_b32_e32 v6, v24
	v_mov_b32_e32 v2, 0
	s_mov_b64 s[8:9], 0
	v_mov_b32_e32 v7, 0
.LBB60_105:                             ; =>This Inner Loop Header: Depth=1
	buffer_load_dword v10, v6, s[0:3], 0 offen offset:4
	buffer_load_dword v11, v6, s[0:3], 0 offen
	ds_read_b64 v[8:9], v5
	v_add_u32_e32 v4, 1, v4
	v_cmp_lt_u32_e32 vcc, 21, v4
	v_add_u32_e32 v5, 8, v5
	v_add_u32_e32 v6, 8, v6
	s_or_b64 s[8:9], vcc, s[8:9]
	s_waitcnt vmcnt(1) lgkmcnt(0)
	v_mul_f32_e32 v12, v9, v10
	v_mul_f32_e32 v10, v8, v10
	s_waitcnt vmcnt(0)
	v_fma_f32 v8, v8, v11, -v12
	v_fmac_f32_e32 v10, v9, v11
	v_add_f32_e32 v7, v7, v8
	v_add_f32_e32 v2, v2, v10
	s_andn2_b64 exec, exec, s[8:9]
	s_cbranch_execnz .LBB60_105
; %bb.106:
	s_or_b64 exec, exec, s[8:9]
	v_mov_b32_e32 v4, 0
	ds_read_b64 v[4:5], v4 offset:184
	s_waitcnt lgkmcnt(0)
	v_mul_f32_e32 v6, v2, v5
	v_mul_f32_e32 v5, v7, v5
	v_fma_f32 v6, v7, v4, -v6
	v_fmac_f32_e32 v5, v2, v4
	buffer_store_dword v6, off, s[0:3], 0 offset:184
	buffer_store_dword v5, off, s[0:3], 0 offset:188
.LBB60_107:
	s_or_b64 exec, exec, s[4:5]
	; wave barrier
	buffer_load_dword v4, off, s[0:3], 0 offset:192
	buffer_load_dword v5, off, s[0:3], 0 offset:196
	v_cmp_gt_u32_e32 vcc, 24, v0
	s_waitcnt vmcnt(0)
	ds_write_b64 v3, v[4:5]
	;; [unrolled: 49-line block ×37, first 2 shown]
	s_waitcnt lgkmcnt(0)
	; wave barrier
	s_and_saveexec_b64 s[4:5], vcc
	s_cbranch_execz .LBB60_251
; %bb.248:
	v_add_u32_e32 v4, -1, v0
	v_add_u32_e32 v5, 0x1f0, v24
	v_mov_b32_e32 v6, v24
	v_mov_b32_e32 v2, 0
	s_mov_b64 s[8:9], 0
	v_mov_b32_e32 v7, 0
.LBB60_249:                             ; =>This Inner Loop Header: Depth=1
	buffer_load_dword v10, v6, s[0:3], 0 offen offset:4
	buffer_load_dword v11, v6, s[0:3], 0 offen
	ds_read_b64 v[8:9], v5
	v_add_u32_e32 v4, 1, v4
	v_cmp_lt_u32_e32 vcc, 57, v4
	v_add_u32_e32 v5, 8, v5
	v_add_u32_e32 v6, 8, v6
	s_or_b64 s[8:9], vcc, s[8:9]
	s_waitcnt vmcnt(1) lgkmcnt(0)
	v_mul_f32_e32 v12, v9, v10
	v_mul_f32_e32 v10, v8, v10
	s_waitcnt vmcnt(0)
	v_fma_f32 v8, v8, v11, -v12
	v_fmac_f32_e32 v10, v9, v11
	v_add_f32_e32 v7, v7, v8
	v_add_f32_e32 v2, v2, v10
	s_andn2_b64 exec, exec, s[8:9]
	s_cbranch_execnz .LBB60_249
; %bb.250:
	s_or_b64 exec, exec, s[8:9]
	v_mov_b32_e32 v4, 0
	ds_read_b64 v[4:5], v4 offset:472
	s_waitcnt lgkmcnt(0)
	v_mul_f32_e32 v6, v2, v5
	v_mul_f32_e32 v5, v7, v5
	v_fma_f32 v6, v7, v4, -v6
	v_fmac_f32_e32 v5, v2, v4
	buffer_store_dword v6, off, s[0:3], 0 offset:472
	buffer_store_dword v5, off, s[0:3], 0 offset:476
.LBB60_251:
	s_or_b64 exec, exec, s[4:5]
	; wave barrier
	buffer_load_dword v4, off, s[0:3], 0 offset:480
	buffer_load_dword v5, off, s[0:3], 0 offset:484
	v_cmp_ne_u32_e32 vcc, 60, v0
	s_waitcnt vmcnt(0)
	ds_write_b64 v3, v[4:5]
	s_waitcnt lgkmcnt(0)
	; wave barrier
	s_and_saveexec_b64 s[4:5], vcc
	s_cbranch_execz .LBB60_255
; %bb.252:
	v_add_u32_e32 v3, 0x1f0, v24
	v_mov_b32_e32 v4, v24
	v_mov_b32_e32 v2, 0
	s_mov_b64 s[8:9], 0
	v_mov_b32_e32 v5, 0
.LBB60_253:                             ; =>This Inner Loop Header: Depth=1
	buffer_load_dword v8, v4, s[0:3], 0 offen offset:4
	buffer_load_dword v9, v4, s[0:3], 0 offen
	ds_read_b64 v[6:7], v3
	v_add_u32_e32 v1, 1, v1
	v_cmp_lt_u32_e32 vcc, 58, v1
	v_add_u32_e32 v3, 8, v3
	v_add_u32_e32 v4, 8, v4
	s_or_b64 s[8:9], vcc, s[8:9]
	s_waitcnt vmcnt(1) lgkmcnt(0)
	v_mul_f32_e32 v10, v7, v8
	v_mul_f32_e32 v8, v6, v8
	s_waitcnt vmcnt(0)
	v_fma_f32 v6, v6, v9, -v10
	v_fmac_f32_e32 v8, v7, v9
	v_add_f32_e32 v5, v5, v6
	v_add_f32_e32 v2, v2, v8
	s_andn2_b64 exec, exec, s[8:9]
	s_cbranch_execnz .LBB60_253
; %bb.254:
	s_or_b64 exec, exec, s[8:9]
	v_mov_b32_e32 v1, 0
	ds_read_b64 v[3:4], v1 offset:480
	s_waitcnt lgkmcnt(0)
	v_mul_f32_e32 v1, v2, v4
	v_mul_f32_e32 v4, v5, v4
	v_fma_f32 v1, v5, v3, -v1
	v_fmac_f32_e32 v4, v2, v3
	buffer_store_dword v1, off, s[0:3], 0 offset:480
	buffer_store_dword v4, off, s[0:3], 0 offset:484
.LBB60_255:
	s_or_b64 exec, exec, s[4:5]
	s_mov_b64 s[8:9], -1
	; wave barrier
.LBB60_256:
	s_and_b64 vcc, exec, s[8:9]
	s_cbranch_vccz .LBB60_258
; %bb.257:
	s_lshl_b64 s[4:5], s[6:7], 2
	s_add_u32 s4, s10, s4
	s_addc_u32 s5, s11, s5
	v_mov_b32_e32 v1, 0
	global_load_dword v1, v1, s[4:5]
	s_waitcnt vmcnt(0)
	v_cmp_ne_u32_e32 vcc, 0, v1
	s_cbranch_vccz .LBB60_259
.LBB60_258:
	s_endpgm
.LBB60_259:
	v_mov_b32_e32 v1, 0x1f0
	v_lshl_add_u32 v147, v0, 3, v1
	v_cmp_eq_u32_e32 vcc, 60, v0
	s_and_saveexec_b64 s[4:5], vcc
	s_cbranch_execz .LBB60_261
; %bb.260:
	buffer_load_dword v1, off, s[0:3], 0 offset:472
	buffer_load_dword v2, off, s[0:3], 0 offset:476
	v_mov_b32_e32 v3, 0
	buffer_store_dword v3, off, s[0:3], 0 offset:472
	buffer_store_dword v3, off, s[0:3], 0 offset:476
	s_waitcnt vmcnt(2)
	ds_write_b64 v147, v[1:2]
.LBB60_261:
	s_or_b64 exec, exec, s[4:5]
	s_waitcnt lgkmcnt(0)
	; wave barrier
	buffer_load_dword v4, off, s[0:3], 0 offset:484
	buffer_load_dword v5, off, s[0:3], 0 offset:480
	;; [unrolled: 1-line block ×4, first 2 shown]
	v_mov_b32_e32 v1, 0
	ds_read_b64 v[2:3], v1 offset:976
	v_cmp_lt_u32_e32 vcc, 58, v0
	s_waitcnt vmcnt(3) lgkmcnt(0)
	v_mul_f32_e32 v8, v2, v4
	v_mul_f32_e32 v4, v3, v4
	s_waitcnt vmcnt(2)
	v_fma_f32 v2, v2, v5, -v4
	v_fmac_f32_e32 v8, v3, v5
	v_add_f32_e32 v2, 0, v2
	v_add_f32_e32 v3, 0, v8
	s_waitcnt vmcnt(1)
	v_sub_f32_e32 v2, v6, v2
	s_waitcnt vmcnt(0)
	v_sub_f32_e32 v3, v7, v3
	buffer_store_dword v2, off, s[0:3], 0 offset:472
	buffer_store_dword v3, off, s[0:3], 0 offset:476
	s_and_saveexec_b64 s[4:5], vcc
	s_cbranch_execz .LBB60_263
; %bb.262:
	buffer_load_dword v2, off, s[0:3], 0 offset:464
	buffer_load_dword v3, off, s[0:3], 0 offset:468
	s_waitcnt vmcnt(0)
	ds_write_b64 v147, v[2:3]
	buffer_store_dword v1, off, s[0:3], 0 offset:464
	buffer_store_dword v1, off, s[0:3], 0 offset:468
.LBB60_263:
	s_or_b64 exec, exec, s[4:5]
	s_waitcnt lgkmcnt(0)
	; wave barrier
	buffer_load_dword v5, off, s[0:3], 0 offset:476
	buffer_load_dword v6, off, s[0:3], 0 offset:484
	;; [unrolled: 1-line block ×6, first 2 shown]
	ds_read2_b64 v[1:4], v1 offset0:121 offset1:122
	v_cmp_lt_u32_e32 vcc, 57, v0
	s_waitcnt vmcnt(5) lgkmcnt(0)
	v_mul_f32_e32 v11, v1, v5
	v_mul_f32_e32 v5, v2, v5
	s_waitcnt vmcnt(4)
	v_mul_f32_e32 v12, v3, v6
	v_mul_f32_e32 v6, v4, v6
	s_waitcnt vmcnt(3)
	v_fma_f32 v1, v1, v7, -v5
	v_fmac_f32_e32 v11, v2, v7
	s_waitcnt vmcnt(2)
	v_fma_f32 v2, v3, v8, -v6
	v_add_f32_e32 v1, 0, v1
	v_fmac_f32_e32 v12, v4, v8
	v_add_f32_e32 v3, 0, v11
	v_add_f32_e32 v1, v1, v2
	;; [unrolled: 1-line block ×3, first 2 shown]
	s_waitcnt vmcnt(1)
	v_sub_f32_e32 v1, v9, v1
	s_waitcnt vmcnt(0)
	v_sub_f32_e32 v2, v10, v3
	buffer_store_dword v1, off, s[0:3], 0 offset:464
	buffer_store_dword v2, off, s[0:3], 0 offset:468
	s_and_saveexec_b64 s[4:5], vcc
	s_cbranch_execz .LBB60_265
; %bb.264:
	buffer_load_dword v1, off, s[0:3], 0 offset:456
	buffer_load_dword v2, off, s[0:3], 0 offset:460
	v_mov_b32_e32 v3, 0
	buffer_store_dword v3, off, s[0:3], 0 offset:456
	buffer_store_dword v3, off, s[0:3], 0 offset:460
	s_waitcnt vmcnt(2)
	ds_write_b64 v147, v[1:2]
.LBB60_265:
	s_or_b64 exec, exec, s[4:5]
	s_waitcnt lgkmcnt(0)
	; wave barrier
	buffer_load_dword v8, off, s[0:3], 0 offset:468
	buffer_load_dword v9, off, s[0:3], 0 offset:476
	;; [unrolled: 1-line block ×8, first 2 shown]
	v_mov_b32_e32 v1, 0
	ds_read_b128 v[2:5], v1 offset:960
	ds_read_b64 v[6:7], v1 offset:976
	v_cmp_lt_u32_e32 vcc, 56, v0
	s_waitcnt vmcnt(7) lgkmcnt(1)
	v_mul_f32_e32 v16, v2, v8
	v_mul_f32_e32 v8, v3, v8
	s_waitcnt vmcnt(6)
	v_mul_f32_e32 v17, v4, v9
	v_mul_f32_e32 v9, v5, v9
	s_waitcnt vmcnt(4)
	v_fma_f32 v2, v2, v11, -v8
	s_waitcnt lgkmcnt(0)
	v_mul_f32_e32 v18, v6, v10
	v_mul_f32_e32 v10, v7, v10
	v_fmac_f32_e32 v16, v3, v11
	s_waitcnt vmcnt(3)
	v_fma_f32 v3, v4, v12, -v9
	v_add_f32_e32 v2, 0, v2
	v_fmac_f32_e32 v17, v5, v12
	s_waitcnt vmcnt(2)
	v_fma_f32 v4, v6, v13, -v10
	v_add_f32_e32 v5, 0, v16
	v_add_f32_e32 v2, v2, v3
	v_fmac_f32_e32 v18, v7, v13
	v_add_f32_e32 v5, v5, v17
	v_add_f32_e32 v2, v2, v4
	;; [unrolled: 1-line block ×3, first 2 shown]
	s_waitcnt vmcnt(1)
	v_sub_f32_e32 v2, v14, v2
	s_waitcnt vmcnt(0)
	v_sub_f32_e32 v3, v15, v3
	buffer_store_dword v2, off, s[0:3], 0 offset:456
	buffer_store_dword v3, off, s[0:3], 0 offset:460
	s_and_saveexec_b64 s[4:5], vcc
	s_cbranch_execz .LBB60_267
; %bb.266:
	buffer_load_dword v2, off, s[0:3], 0 offset:448
	buffer_load_dword v3, off, s[0:3], 0 offset:452
	s_waitcnt vmcnt(0)
	ds_write_b64 v147, v[2:3]
	buffer_store_dword v1, off, s[0:3], 0 offset:448
	buffer_store_dword v1, off, s[0:3], 0 offset:452
.LBB60_267:
	s_or_b64 exec, exec, s[4:5]
	s_waitcnt lgkmcnt(0)
	; wave barrier
	buffer_load_dword v10, off, s[0:3], 0 offset:460
	buffer_load_dword v11, off, s[0:3], 0 offset:468
	;; [unrolled: 1-line block ×10, first 2 shown]
	ds_read2_b64 v[2:5], v1 offset0:119 offset1:120
	ds_read2_b64 v[6:9], v1 offset0:121 offset1:122
	v_cmp_lt_u32_e32 vcc, 55, v0
	s_waitcnt vmcnt(9) lgkmcnt(1)
	v_mul_f32_e32 v1, v2, v10
	v_mul_f32_e32 v10, v3, v10
	s_waitcnt vmcnt(8)
	v_mul_f32_e32 v20, v4, v11
	v_mul_f32_e32 v11, v5, v11
	s_waitcnt vmcnt(5)
	v_fma_f32 v2, v2, v14, -v10
	s_waitcnt lgkmcnt(0)
	v_mul_f32_e32 v21, v6, v12
	v_mul_f32_e32 v12, v7, v12
	v_fmac_f32_e32 v1, v3, v14
	s_waitcnt vmcnt(4)
	v_fma_f32 v3, v4, v15, -v11
	v_add_f32_e32 v2, 0, v2
	v_mul_f32_e32 v22, v8, v13
	v_mul_f32_e32 v13, v9, v13
	v_fmac_f32_e32 v20, v5, v15
	s_waitcnt vmcnt(3)
	v_fma_f32 v4, v6, v16, -v12
	v_add_f32_e32 v1, 0, v1
	v_add_f32_e32 v2, v2, v3
	v_fmac_f32_e32 v21, v7, v16
	s_waitcnt vmcnt(2)
	v_fma_f32 v5, v8, v17, -v13
	v_add_f32_e32 v1, v1, v20
	v_add_f32_e32 v2, v2, v4
	v_fmac_f32_e32 v22, v9, v17
	v_add_f32_e32 v1, v1, v21
	v_add_f32_e32 v2, v2, v5
	;; [unrolled: 1-line block ×3, first 2 shown]
	s_waitcnt vmcnt(1)
	v_sub_f32_e32 v2, v18, v2
	s_waitcnt vmcnt(0)
	v_sub_f32_e32 v1, v19, v1
	buffer_store_dword v2, off, s[0:3], 0 offset:448
	buffer_store_dword v1, off, s[0:3], 0 offset:452
	s_and_saveexec_b64 s[4:5], vcc
	s_cbranch_execz .LBB60_269
; %bb.268:
	buffer_load_dword v1, off, s[0:3], 0 offset:440
	buffer_load_dword v2, off, s[0:3], 0 offset:444
	v_mov_b32_e32 v3, 0
	buffer_store_dword v3, off, s[0:3], 0 offset:440
	buffer_store_dword v3, off, s[0:3], 0 offset:444
	s_waitcnt vmcnt(2)
	ds_write_b64 v147, v[1:2]
.LBB60_269:
	s_or_b64 exec, exec, s[4:5]
	s_waitcnt lgkmcnt(0)
	; wave barrier
	buffer_load_dword v12, off, s[0:3], 0 offset:452
	buffer_load_dword v13, off, s[0:3], 0 offset:460
	;; [unrolled: 1-line block ×12, first 2 shown]
	v_mov_b32_e32 v1, 0
	ds_read_b128 v[2:5], v1 offset:944
	ds_read_b128 v[6:9], v1 offset:960
	ds_read_b64 v[10:11], v1 offset:976
	v_cmp_lt_u32_e32 vcc, 54, v0
	s_waitcnt vmcnt(11) lgkmcnt(2)
	v_mul_f32_e32 v24, v2, v12
	v_mul_f32_e32 v12, v3, v12
	s_waitcnt vmcnt(10)
	v_mul_f32_e32 v27, v4, v13
	v_mul_f32_e32 v13, v5, v13
	s_waitcnt vmcnt(9) lgkmcnt(1)
	v_mul_f32_e32 v28, v6, v14
	s_waitcnt vmcnt(6)
	v_fma_f32 v2, v2, v17, -v12
	v_mul_f32_e32 v14, v7, v14
	v_fmac_f32_e32 v24, v3, v17
	s_waitcnt vmcnt(5)
	v_fma_f32 v3, v4, v18, -v13
	v_add_f32_e32 v2, 0, v2
	v_mul_f32_e32 v29, v8, v15
	v_mul_f32_e32 v15, v9, v15
	v_fmac_f32_e32 v27, v5, v18
	s_waitcnt vmcnt(4)
	v_fmac_f32_e32 v28, v7, v19
	v_fma_f32 v4, v6, v19, -v14
	v_add_f32_e32 v7, 0, v24
	v_add_f32_e32 v2, v2, v3
	s_waitcnt lgkmcnt(0)
	v_mul_f32_e32 v30, v10, v16
	v_mul_f32_e32 v16, v11, v16
	s_waitcnt vmcnt(3)
	v_fma_f32 v5, v8, v20, -v15
	v_add_f32_e32 v7, v7, v27
	v_add_f32_e32 v2, v2, v4
	v_fmac_f32_e32 v29, v9, v20
	s_waitcnt vmcnt(2)
	v_fma_f32 v6, v10, v21, -v16
	v_add_f32_e32 v3, v7, v28
	v_add_f32_e32 v2, v2, v5
	v_fmac_f32_e32 v30, v11, v21
	v_add_f32_e32 v3, v3, v29
	v_add_f32_e32 v2, v2, v6
	;; [unrolled: 1-line block ×3, first 2 shown]
	s_waitcnt vmcnt(1)
	v_sub_f32_e32 v2, v22, v2
	s_waitcnt vmcnt(0)
	v_sub_f32_e32 v3, v23, v3
	buffer_store_dword v2, off, s[0:3], 0 offset:440
	buffer_store_dword v3, off, s[0:3], 0 offset:444
	s_and_saveexec_b64 s[4:5], vcc
	s_cbranch_execz .LBB60_271
; %bb.270:
	buffer_load_dword v2, off, s[0:3], 0 offset:432
	buffer_load_dword v3, off, s[0:3], 0 offset:436
	s_waitcnt vmcnt(0)
	ds_write_b64 v147, v[2:3]
	buffer_store_dword v1, off, s[0:3], 0 offset:432
	buffer_store_dword v1, off, s[0:3], 0 offset:436
.LBB60_271:
	s_or_b64 exec, exec, s[4:5]
	s_waitcnt lgkmcnt(0)
	; wave barrier
	buffer_load_dword v14, off, s[0:3], 0 offset:444
	buffer_load_dword v15, off, s[0:3], 0 offset:452
	;; [unrolled: 1-line block ×14, first 2 shown]
	ds_read2_b64 v[2:5], v1 offset0:117 offset1:118
	ds_read2_b64 v[6:9], v1 offset0:119 offset1:120
	;; [unrolled: 1-line block ×3, first 2 shown]
	v_cmp_lt_u32_e32 vcc, 53, v0
	s_waitcnt vmcnt(13) lgkmcnt(2)
	v_mul_f32_e32 v1, v2, v14
	v_mul_f32_e32 v14, v3, v14
	s_waitcnt vmcnt(12)
	v_mul_f32_e32 v30, v4, v15
	v_mul_f32_e32 v15, v5, v15
	s_waitcnt vmcnt(11) lgkmcnt(1)
	v_mul_f32_e32 v31, v6, v16
	v_mul_f32_e32 v16, v7, v16
	s_waitcnt vmcnt(7)
	v_fma_f32 v2, v2, v20, -v14
	v_fmac_f32_e32 v1, v3, v20
	s_waitcnt vmcnt(6)
	v_fma_f32 v3, v4, v21, -v15
	v_add_f32_e32 v2, 0, v2
	v_mul_f32_e32 v32, v8, v17
	v_mul_f32_e32 v17, v9, v17
	v_fmac_f32_e32 v30, v5, v21
	s_waitcnt vmcnt(5)
	v_fma_f32 v4, v6, v22, -v16
	v_add_f32_e32 v1, 0, v1
	v_add_f32_e32 v2, v2, v3
	s_waitcnt lgkmcnt(0)
	v_mul_f32_e32 v33, v10, v18
	v_mul_f32_e32 v18, v11, v18
	v_fmac_f32_e32 v31, v7, v22
	s_waitcnt vmcnt(4)
	v_fma_f32 v5, v8, v23, -v17
	v_add_f32_e32 v1, v1, v30
	v_add_f32_e32 v2, v2, v4
	v_mul_f32_e32 v34, v12, v19
	v_mul_f32_e32 v19, v13, v19
	v_fmac_f32_e32 v32, v9, v23
	s_waitcnt vmcnt(3)
	v_fma_f32 v6, v10, v24, -v18
	v_add_f32_e32 v1, v1, v31
	v_add_f32_e32 v2, v2, v5
	v_fmac_f32_e32 v33, v11, v24
	s_waitcnt vmcnt(2)
	v_fma_f32 v7, v12, v27, -v19
	v_add_f32_e32 v1, v1, v32
	v_add_f32_e32 v2, v2, v6
	v_fmac_f32_e32 v34, v13, v27
	v_add_f32_e32 v1, v1, v33
	v_add_f32_e32 v2, v2, v7
	;; [unrolled: 1-line block ×3, first 2 shown]
	s_waitcnt vmcnt(1)
	v_sub_f32_e32 v2, v28, v2
	s_waitcnt vmcnt(0)
	v_sub_f32_e32 v1, v29, v1
	buffer_store_dword v2, off, s[0:3], 0 offset:432
	buffer_store_dword v1, off, s[0:3], 0 offset:436
	s_and_saveexec_b64 s[4:5], vcc
	s_cbranch_execz .LBB60_273
; %bb.272:
	buffer_load_dword v1, off, s[0:3], 0 offset:424
	buffer_load_dword v2, off, s[0:3], 0 offset:428
	v_mov_b32_e32 v3, 0
	buffer_store_dword v3, off, s[0:3], 0 offset:424
	buffer_store_dword v3, off, s[0:3], 0 offset:428
	s_waitcnt vmcnt(2)
	ds_write_b64 v147, v[1:2]
.LBB60_273:
	s_or_b64 exec, exec, s[4:5]
	s_waitcnt lgkmcnt(0)
	; wave barrier
	buffer_load_dword v16, off, s[0:3], 0 offset:436
	buffer_load_dword v17, off, s[0:3], 0 offset:444
	;; [unrolled: 1-line block ×16, first 2 shown]
	v_mov_b32_e32 v1, 0
	ds_read_b128 v[2:5], v1 offset:928
	ds_read_b128 v[6:9], v1 offset:944
	;; [unrolled: 1-line block ×3, first 2 shown]
	ds_read_b64 v[14:15], v1 offset:976
	v_cmp_lt_u32_e32 vcc, 52, v0
	s_waitcnt vmcnt(15) lgkmcnt(3)
	v_mul_f32_e32 v34, v2, v16
	v_mul_f32_e32 v16, v3, v16
	s_waitcnt vmcnt(14)
	v_mul_f32_e32 v35, v4, v17
	v_mul_f32_e32 v17, v5, v17
	s_waitcnt vmcnt(13) lgkmcnt(2)
	v_mul_f32_e32 v36, v6, v18
	s_waitcnt vmcnt(12)
	v_mul_f32_e32 v37, v8, v19
	v_mul_f32_e32 v18, v7, v18
	s_waitcnt vmcnt(8)
	v_fma_f32 v2, v2, v23, -v16
	v_fmac_f32_e32 v34, v3, v23
	s_waitcnt vmcnt(7)
	v_fma_f32 v3, v4, v24, -v17
	v_add_f32_e32 v2, 0, v2
	v_mul_f32_e32 v19, v9, v19
	v_fmac_f32_e32 v35, v5, v24
	s_waitcnt vmcnt(5)
	v_fmac_f32_e32 v37, v9, v28
	v_fma_f32 v4, v6, v27, -v18
	v_add_f32_e32 v9, 0, v34
	v_add_f32_e32 v2, v2, v3
	s_waitcnt lgkmcnt(1)
	v_mul_f32_e32 v38, v10, v20
	v_mul_f32_e32 v20, v11, v20
	v_fmac_f32_e32 v36, v7, v27
	v_fma_f32 v5, v8, v28, -v19
	v_add_f32_e32 v9, v9, v35
	v_add_f32_e32 v2, v2, v4
	v_mul_f32_e32 v39, v12, v21
	v_mul_f32_e32 v21, v13, v21
	s_waitcnt vmcnt(4)
	v_fma_f32 v6, v10, v29, -v20
	v_add_f32_e32 v3, v9, v36
	v_add_f32_e32 v2, v2, v5
	s_waitcnt lgkmcnt(0)
	v_mul_f32_e32 v40, v14, v22
	v_mul_f32_e32 v22, v15, v22
	v_fmac_f32_e32 v38, v11, v29
	s_waitcnt vmcnt(3)
	v_fma_f32 v7, v12, v30, -v21
	v_add_f32_e32 v3, v3, v37
	v_add_f32_e32 v2, v2, v6
	v_fmac_f32_e32 v39, v13, v30
	s_waitcnt vmcnt(2)
	v_fma_f32 v8, v14, v31, -v22
	v_add_f32_e32 v3, v3, v38
	v_add_f32_e32 v2, v2, v7
	v_fmac_f32_e32 v40, v15, v31
	v_add_f32_e32 v3, v3, v39
	v_add_f32_e32 v2, v2, v8
	;; [unrolled: 1-line block ×3, first 2 shown]
	s_waitcnt vmcnt(1)
	v_sub_f32_e32 v2, v32, v2
	s_waitcnt vmcnt(0)
	v_sub_f32_e32 v3, v33, v3
	buffer_store_dword v2, off, s[0:3], 0 offset:424
	buffer_store_dword v3, off, s[0:3], 0 offset:428
	s_and_saveexec_b64 s[4:5], vcc
	s_cbranch_execz .LBB60_275
; %bb.274:
	buffer_load_dword v2, off, s[0:3], 0 offset:416
	buffer_load_dword v3, off, s[0:3], 0 offset:420
	s_waitcnt vmcnt(0)
	ds_write_b64 v147, v[2:3]
	buffer_store_dword v1, off, s[0:3], 0 offset:416
	buffer_store_dword v1, off, s[0:3], 0 offset:420
.LBB60_275:
	s_or_b64 exec, exec, s[4:5]
	s_waitcnt lgkmcnt(0)
	; wave barrier
	buffer_load_dword v18, off, s[0:3], 0 offset:428
	buffer_load_dword v19, off, s[0:3], 0 offset:436
	buffer_load_dword v20, off, s[0:3], 0 offset:444
	buffer_load_dword v21, off, s[0:3], 0 offset:452
	buffer_load_dword v22, off, s[0:3], 0 offset:460
	buffer_load_dword v23, off, s[0:3], 0 offset:468
	buffer_load_dword v24, off, s[0:3], 0 offset:476
	buffer_load_dword v27, off, s[0:3], 0 offset:484
	buffer_load_dword v28, off, s[0:3], 0 offset:424
	buffer_load_dword v29, off, s[0:3], 0 offset:432
	buffer_load_dword v30, off, s[0:3], 0 offset:440
	buffer_load_dword v31, off, s[0:3], 0 offset:448
	buffer_load_dword v32, off, s[0:3], 0 offset:456
	buffer_load_dword v33, off, s[0:3], 0 offset:464
	buffer_load_dword v34, off, s[0:3], 0 offset:472
	buffer_load_dword v35, off, s[0:3], 0 offset:480
	buffer_load_dword v36, off, s[0:3], 0 offset:416
	buffer_load_dword v37, off, s[0:3], 0 offset:420
	ds_read2_b64 v[2:5], v1 offset0:115 offset1:116
	ds_read2_b64 v[6:9], v1 offset0:117 offset1:118
	;; [unrolled: 1-line block ×4, first 2 shown]
	v_cmp_lt_u32_e32 vcc, 51, v0
	s_waitcnt vmcnt(17) lgkmcnt(3)
	v_mul_f32_e32 v1, v2, v18
	v_mul_f32_e32 v18, v3, v18
	s_waitcnt vmcnt(16)
	v_mul_f32_e32 v38, v4, v19
	v_mul_f32_e32 v19, v5, v19
	s_waitcnt vmcnt(15) lgkmcnt(2)
	v_mul_f32_e32 v39, v6, v20
	v_mul_f32_e32 v20, v7, v20
	s_waitcnt vmcnt(14)
	v_mul_f32_e32 v40, v8, v21
	v_mul_f32_e32 v21, v9, v21
	s_waitcnt vmcnt(9)
	v_fma_f32 v2, v2, v28, -v18
	v_fmac_f32_e32 v1, v3, v28
	s_waitcnt vmcnt(8)
	v_fma_f32 v3, v4, v29, -v19
	v_add_f32_e32 v2, 0, v2
	v_fmac_f32_e32 v38, v5, v29
	s_waitcnt vmcnt(7)
	v_fma_f32 v4, v6, v30, -v20
	v_add_f32_e32 v1, 0, v1
	v_add_f32_e32 v2, v2, v3
	s_waitcnt lgkmcnt(1)
	v_mul_f32_e32 v41, v10, v22
	v_mul_f32_e32 v22, v11, v22
	v_fmac_f32_e32 v39, v7, v30
	s_waitcnt vmcnt(6)
	v_fma_f32 v5, v8, v31, -v21
	v_add_f32_e32 v1, v1, v38
	v_add_f32_e32 v2, v2, v4
	v_mul_f32_e32 v42, v12, v23
	v_mul_f32_e32 v23, v13, v23
	v_fmac_f32_e32 v40, v9, v31
	s_waitcnt vmcnt(5)
	v_fma_f32 v6, v10, v32, -v22
	v_add_f32_e32 v1, v1, v39
	v_add_f32_e32 v2, v2, v5
	s_waitcnt lgkmcnt(0)
	v_mul_f32_e32 v43, v14, v24
	v_mul_f32_e32 v24, v15, v24
	v_fmac_f32_e32 v41, v11, v32
	s_waitcnt vmcnt(4)
	v_fma_f32 v7, v12, v33, -v23
	v_add_f32_e32 v1, v1, v40
	v_add_f32_e32 v2, v2, v6
	v_mul_f32_e32 v44, v16, v27
	v_mul_f32_e32 v27, v17, v27
	v_fmac_f32_e32 v42, v13, v33
	s_waitcnt vmcnt(3)
	v_fma_f32 v8, v14, v34, -v24
	v_add_f32_e32 v1, v1, v41
	v_add_f32_e32 v2, v2, v7
	v_fmac_f32_e32 v43, v15, v34
	s_waitcnt vmcnt(2)
	v_fma_f32 v9, v16, v35, -v27
	v_add_f32_e32 v1, v1, v42
	v_add_f32_e32 v2, v2, v8
	v_fmac_f32_e32 v44, v17, v35
	v_add_f32_e32 v1, v1, v43
	v_add_f32_e32 v2, v2, v9
	;; [unrolled: 1-line block ×3, first 2 shown]
	s_waitcnt vmcnt(1)
	v_sub_f32_e32 v2, v36, v2
	s_waitcnt vmcnt(0)
	v_sub_f32_e32 v1, v37, v1
	buffer_store_dword v2, off, s[0:3], 0 offset:416
	buffer_store_dword v1, off, s[0:3], 0 offset:420
	s_and_saveexec_b64 s[4:5], vcc
	s_cbranch_execz .LBB60_277
; %bb.276:
	buffer_load_dword v1, off, s[0:3], 0 offset:408
	buffer_load_dword v2, off, s[0:3], 0 offset:412
	v_mov_b32_e32 v3, 0
	buffer_store_dword v3, off, s[0:3], 0 offset:408
	buffer_store_dword v3, off, s[0:3], 0 offset:412
	s_waitcnt vmcnt(2)
	ds_write_b64 v147, v[1:2]
.LBB60_277:
	s_or_b64 exec, exec, s[4:5]
	s_waitcnt lgkmcnt(0)
	; wave barrier
	buffer_load_dword v20, off, s[0:3], 0 offset:420
	buffer_load_dword v21, off, s[0:3], 0 offset:428
	;; [unrolled: 1-line block ×20, first 2 shown]
	v_mov_b32_e32 v1, 0
	ds_read_b128 v[2:5], v1 offset:912
	ds_read_b128 v[6:9], v1 offset:928
	;; [unrolled: 1-line block ×4, first 2 shown]
	ds_read_b64 v[18:19], v1 offset:976
	v_cmp_lt_u32_e32 vcc, 50, v0
	s_waitcnt vmcnt(19) lgkmcnt(4)
	v_mul_f32_e32 v42, v2, v20
	v_mul_f32_e32 v20, v3, v20
	s_waitcnt vmcnt(18)
	v_mul_f32_e32 v43, v4, v21
	v_mul_f32_e32 v21, v5, v21
	s_waitcnt vmcnt(17) lgkmcnt(3)
	v_mul_f32_e32 v44, v6, v22
	s_waitcnt vmcnt(15) lgkmcnt(2)
	v_mul_f32_e32 v46, v10, v24
	v_mul_f32_e32 v22, v7, v22
	;; [unrolled: 1-line block ×4, first 2 shown]
	s_waitcnt vmcnt(10)
	v_fma_f32 v2, v2, v31, -v20
	v_fmac_f32_e32 v42, v3, v31
	s_waitcnt vmcnt(9)
	v_fma_f32 v3, v4, v32, -v21
	v_add_f32_e32 v2, 0, v2
	v_mul_f32_e32 v24, v11, v24
	v_fmac_f32_e32 v43, v5, v32
	s_waitcnt vmcnt(6)
	v_fmac_f32_e32 v46, v11, v35
	v_fma_f32 v4, v6, v33, -v22
	v_add_f32_e32 v11, 0, v42
	v_add_f32_e32 v2, v2, v3
	v_fmac_f32_e32 v44, v7, v33
	v_fma_f32 v5, v8, v34, -v23
	v_add_f32_e32 v11, v11, v43
	v_add_f32_e32 v2, v2, v4
	v_mul_f32_e32 v47, v12, v27
	v_mul_f32_e32 v27, v13, v27
	v_fmac_f32_e32 v45, v9, v34
	v_fma_f32 v6, v10, v35, -v24
	v_add_f32_e32 v3, v11, v44
	v_add_f32_e32 v2, v2, v5
	s_waitcnt lgkmcnt(1)
	v_mul_f32_e32 v48, v14, v28
	v_mul_f32_e32 v28, v15, v28
	s_waitcnt vmcnt(5)
	v_fma_f32 v7, v12, v36, -v27
	v_add_f32_e32 v3, v3, v45
	v_add_f32_e32 v2, v2, v6
	v_mul_f32_e32 v49, v16, v29
	v_mul_f32_e32 v29, v17, v29
	v_fmac_f32_e32 v47, v13, v36
	s_waitcnt vmcnt(4)
	v_fma_f32 v8, v14, v37, -v28
	v_add_f32_e32 v3, v3, v46
	v_add_f32_e32 v2, v2, v7
	s_waitcnt lgkmcnt(0)
	v_mul_f32_e32 v50, v18, v30
	v_mul_f32_e32 v30, v19, v30
	v_fmac_f32_e32 v48, v15, v37
	s_waitcnt vmcnt(3)
	v_fma_f32 v9, v16, v38, -v29
	v_add_f32_e32 v3, v3, v47
	v_add_f32_e32 v2, v2, v8
	v_fmac_f32_e32 v49, v17, v38
	s_waitcnt vmcnt(2)
	v_fma_f32 v10, v18, v39, -v30
	v_add_f32_e32 v3, v3, v48
	v_add_f32_e32 v2, v2, v9
	v_fmac_f32_e32 v50, v19, v39
	v_add_f32_e32 v3, v3, v49
	v_add_f32_e32 v2, v2, v10
	;; [unrolled: 1-line block ×3, first 2 shown]
	s_waitcnt vmcnt(1)
	v_sub_f32_e32 v2, v40, v2
	s_waitcnt vmcnt(0)
	v_sub_f32_e32 v3, v41, v3
	buffer_store_dword v2, off, s[0:3], 0 offset:408
	buffer_store_dword v3, off, s[0:3], 0 offset:412
	s_and_saveexec_b64 s[4:5], vcc
	s_cbranch_execz .LBB60_279
; %bb.278:
	buffer_load_dword v2, off, s[0:3], 0 offset:400
	buffer_load_dword v3, off, s[0:3], 0 offset:404
	s_waitcnt vmcnt(0)
	ds_write_b64 v147, v[2:3]
	buffer_store_dword v1, off, s[0:3], 0 offset:400
	buffer_store_dword v1, off, s[0:3], 0 offset:404
.LBB60_279:
	s_or_b64 exec, exec, s[4:5]
	s_waitcnt lgkmcnt(0)
	; wave barrier
	buffer_load_dword v22, off, s[0:3], 0 offset:412
	buffer_load_dword v23, off, s[0:3], 0 offset:420
	buffer_load_dword v24, off, s[0:3], 0 offset:428
	buffer_load_dword v27, off, s[0:3], 0 offset:436
	buffer_load_dword v28, off, s[0:3], 0 offset:444
	buffer_load_dword v29, off, s[0:3], 0 offset:452
	buffer_load_dword v30, off, s[0:3], 0 offset:460
	buffer_load_dword v31, off, s[0:3], 0 offset:468
	buffer_load_dword v32, off, s[0:3], 0 offset:476
	buffer_load_dword v33, off, s[0:3], 0 offset:484
	buffer_load_dword v34, off, s[0:3], 0 offset:408
	buffer_load_dword v35, off, s[0:3], 0 offset:416
	buffer_load_dword v36, off, s[0:3], 0 offset:424
	buffer_load_dword v37, off, s[0:3], 0 offset:432
	buffer_load_dword v38, off, s[0:3], 0 offset:440
	buffer_load_dword v39, off, s[0:3], 0 offset:448
	buffer_load_dword v40, off, s[0:3], 0 offset:456
	buffer_load_dword v41, off, s[0:3], 0 offset:464
	buffer_load_dword v42, off, s[0:3], 0 offset:472
	buffer_load_dword v43, off, s[0:3], 0 offset:480
	buffer_load_dword v44, off, s[0:3], 0 offset:400
	buffer_load_dword v45, off, s[0:3], 0 offset:404
	ds_read2_b64 v[2:5], v1 offset0:113 offset1:114
	ds_read2_b64 v[6:9], v1 offset0:115 offset1:116
	;; [unrolled: 1-line block ×5, first 2 shown]
	v_cmp_lt_u32_e32 vcc, 49, v0
	s_waitcnt vmcnt(21) lgkmcnt(4)
	v_mul_f32_e32 v1, v2, v22
	v_mul_f32_e32 v22, v3, v22
	s_waitcnt vmcnt(20)
	v_mul_f32_e32 v46, v4, v23
	v_mul_f32_e32 v23, v5, v23
	s_waitcnt vmcnt(19) lgkmcnt(3)
	v_mul_f32_e32 v47, v6, v24
	v_mul_f32_e32 v24, v7, v24
	s_waitcnt vmcnt(18)
	v_mul_f32_e32 v48, v8, v27
	v_mul_f32_e32 v27, v9, v27
	s_waitcnt vmcnt(17) lgkmcnt(2)
	v_mul_f32_e32 v49, v10, v28
	v_mul_f32_e32 v28, v11, v28
	s_waitcnt vmcnt(11)
	v_fma_f32 v2, v2, v34, -v22
	v_fmac_f32_e32 v1, v3, v34
	s_waitcnt vmcnt(10)
	v_fma_f32 v3, v4, v35, -v23
	v_add_f32_e32 v2, 0, v2
	v_fmac_f32_e32 v46, v5, v35
	s_waitcnt vmcnt(9)
	v_fma_f32 v4, v6, v36, -v24
	v_add_f32_e32 v1, 0, v1
	v_add_f32_e32 v2, v2, v3
	v_fmac_f32_e32 v47, v7, v36
	s_waitcnt vmcnt(8)
	v_fma_f32 v5, v8, v37, -v27
	v_add_f32_e32 v1, v1, v46
	v_add_f32_e32 v2, v2, v4
	v_mul_f32_e32 v50, v12, v29
	v_mul_f32_e32 v29, v13, v29
	v_fmac_f32_e32 v48, v9, v37
	s_waitcnt vmcnt(7)
	v_fma_f32 v6, v10, v38, -v28
	v_add_f32_e32 v1, v1, v47
	v_add_f32_e32 v2, v2, v5
	s_waitcnt lgkmcnt(1)
	v_mul_f32_e32 v51, v14, v30
	v_mul_f32_e32 v30, v15, v30
	v_fmac_f32_e32 v49, v11, v38
	s_waitcnt vmcnt(6)
	v_fma_f32 v7, v12, v39, -v29
	v_add_f32_e32 v1, v1, v48
	v_add_f32_e32 v2, v2, v6
	v_mul_f32_e32 v52, v16, v31
	v_mul_f32_e32 v31, v17, v31
	v_fmac_f32_e32 v50, v13, v39
	s_waitcnt vmcnt(5)
	v_fma_f32 v8, v14, v40, -v30
	v_add_f32_e32 v1, v1, v49
	v_add_f32_e32 v2, v2, v7
	s_waitcnt lgkmcnt(0)
	v_mul_f32_e32 v53, v18, v32
	v_mul_f32_e32 v32, v19, v32
	v_fmac_f32_e32 v51, v15, v40
	s_waitcnt vmcnt(4)
	v_fma_f32 v9, v16, v41, -v31
	v_add_f32_e32 v1, v1, v50
	v_add_f32_e32 v2, v2, v8
	v_mul_f32_e32 v54, v20, v33
	v_mul_f32_e32 v33, v21, v33
	v_fmac_f32_e32 v52, v17, v41
	s_waitcnt vmcnt(3)
	v_fma_f32 v10, v18, v42, -v32
	v_add_f32_e32 v1, v1, v51
	v_add_f32_e32 v2, v2, v9
	v_fmac_f32_e32 v53, v19, v42
	s_waitcnt vmcnt(2)
	v_fma_f32 v11, v20, v43, -v33
	v_add_f32_e32 v1, v1, v52
	v_add_f32_e32 v2, v2, v10
	v_fmac_f32_e32 v54, v21, v43
	v_add_f32_e32 v1, v1, v53
	v_add_f32_e32 v2, v2, v11
	;; [unrolled: 1-line block ×3, first 2 shown]
	s_waitcnt vmcnt(1)
	v_sub_f32_e32 v2, v44, v2
	s_waitcnt vmcnt(0)
	v_sub_f32_e32 v1, v45, v1
	buffer_store_dword v2, off, s[0:3], 0 offset:400
	buffer_store_dword v1, off, s[0:3], 0 offset:404
	s_and_saveexec_b64 s[4:5], vcc
	s_cbranch_execz .LBB60_281
; %bb.280:
	buffer_load_dword v1, off, s[0:3], 0 offset:392
	buffer_load_dword v2, off, s[0:3], 0 offset:396
	v_mov_b32_e32 v3, 0
	buffer_store_dword v3, off, s[0:3], 0 offset:392
	buffer_store_dword v3, off, s[0:3], 0 offset:396
	s_waitcnt vmcnt(2)
	ds_write_b64 v147, v[1:2]
.LBB60_281:
	s_or_b64 exec, exec, s[4:5]
	s_waitcnt lgkmcnt(0)
	; wave barrier
	buffer_load_dword v24, off, s[0:3], 0 offset:404
	buffer_load_dword v27, off, s[0:3], 0 offset:412
	;; [unrolled: 1-line block ×24, first 2 shown]
	v_mov_b32_e32 v1, 0
	ds_read_b128 v[2:5], v1 offset:896
	ds_read_b128 v[6:9], v1 offset:912
	ds_read_b128 v[10:13], v1 offset:928
	ds_read_b128 v[14:17], v1 offset:944
	ds_read_b128 v[18:21], v1 offset:960
	ds_read_b64 v[22:23], v1 offset:976
	v_cmp_lt_u32_e32 vcc, 48, v0
	s_waitcnt vmcnt(23) lgkmcnt(5)
	v_mul_f32_e32 v50, v2, v24
	v_mul_f32_e32 v24, v3, v24
	s_waitcnt vmcnt(22)
	v_mul_f32_e32 v51, v4, v27
	v_mul_f32_e32 v27, v5, v27
	s_waitcnt vmcnt(21) lgkmcnt(4)
	v_mul_f32_e32 v52, v6, v28
	v_mul_f32_e32 v28, v7, v28
	s_waitcnt vmcnt(20)
	v_mul_f32_e32 v53, v8, v29
	s_waitcnt vmcnt(19) lgkmcnt(3)
	v_mul_f32_e32 v54, v10, v30
	v_mul_f32_e32 v29, v9, v29
	;; [unrolled: 1-line block ×3, first 2 shown]
	s_waitcnt vmcnt(18)
	v_mul_f32_e32 v55, v12, v31
	s_waitcnt vmcnt(12)
	v_fma_f32 v2, v2, v37, -v24
	v_fmac_f32_e32 v50, v3, v37
	s_waitcnt vmcnt(11)
	v_fma_f32 v3, v4, v38, -v27
	v_add_f32_e32 v2, 0, v2
	s_waitcnt vmcnt(10)
	v_fma_f32 v4, v6, v39, -v28
	v_add_f32_e32 v2, v2, v3
	v_fmac_f32_e32 v51, v5, v38
	s_waitcnt vmcnt(8)
	v_fmac_f32_e32 v54, v11, v41
	v_fma_f32 v5, v8, v40, -v29
	v_add_f32_e32 v11, 0, v50
	v_add_f32_e32 v2, v2, v4
	v_mul_f32_e32 v31, v13, v31
	v_fmac_f32_e32 v52, v7, v39
	v_fma_f32 v6, v10, v41, -v30
	v_add_f32_e32 v11, v11, v51
	v_add_f32_e32 v2, v2, v5
	s_waitcnt lgkmcnt(2)
	v_mul_f32_e32 v56, v14, v32
	v_mul_f32_e32 v32, v15, v32
	v_fmac_f32_e32 v53, v9, v40
	s_waitcnt vmcnt(7)
	v_fma_f32 v7, v12, v42, -v31
	v_add_f32_e32 v3, v11, v52
	v_add_f32_e32 v2, v2, v6
	v_mul_f32_e32 v57, v16, v33
	v_mul_f32_e32 v33, v17, v33
	s_waitcnt vmcnt(6)
	v_fma_f32 v8, v14, v43, -v32
	v_add_f32_e32 v3, v3, v53
	v_add_f32_e32 v2, v2, v7
	s_waitcnt lgkmcnt(1)
	v_mul_f32_e32 v58, v18, v34
	v_mul_f32_e32 v34, v19, v34
	v_fmac_f32_e32 v55, v13, v42
	s_waitcnt vmcnt(5)
	v_fma_f32 v9, v16, v44, -v33
	v_add_f32_e32 v3, v3, v54
	v_add_f32_e32 v2, v2, v8
	v_fmac_f32_e32 v56, v15, v43
	s_waitcnt vmcnt(4)
	v_fma_f32 v10, v18, v45, -v34
	v_add_f32_e32 v3, v3, v55
	v_add_f32_e32 v2, v2, v9
	v_mul_f32_e32 v4, v21, v35
	v_fmac_f32_e32 v57, v17, v44
	v_add_f32_e32 v3, v3, v56
	v_add_f32_e32 v2, v2, v10
	s_waitcnt vmcnt(3)
	v_fma_f32 v4, v20, v46, -v4
	v_mul_f32_e32 v59, v20, v35
	v_fmac_f32_e32 v58, v19, v45
	v_add_f32_e32 v3, v3, v57
	v_add_f32_e32 v2, v2, v4
	s_waitcnt lgkmcnt(0)
	v_mul_f32_e32 v4, v23, v36
	v_mul_f32_e32 v60, v22, v36
	v_fmac_f32_e32 v59, v21, v46
	v_add_f32_e32 v3, v3, v58
	s_waitcnt vmcnt(2)
	v_fma_f32 v4, v22, v47, -v4
	v_fmac_f32_e32 v60, v23, v47
	v_add_f32_e32 v3, v3, v59
	v_add_f32_e32 v2, v2, v4
	;; [unrolled: 1-line block ×3, first 2 shown]
	s_waitcnt vmcnt(1)
	v_sub_f32_e32 v2, v48, v2
	s_waitcnt vmcnt(0)
	v_sub_f32_e32 v3, v49, v3
	buffer_store_dword v2, off, s[0:3], 0 offset:392
	buffer_store_dword v3, off, s[0:3], 0 offset:396
	s_and_saveexec_b64 s[4:5], vcc
	s_cbranch_execz .LBB60_283
; %bb.282:
	buffer_load_dword v2, off, s[0:3], 0 offset:384
	buffer_load_dword v3, off, s[0:3], 0 offset:388
	s_waitcnt vmcnt(0)
	ds_write_b64 v147, v[2:3]
	buffer_store_dword v1, off, s[0:3], 0 offset:384
	buffer_store_dword v1, off, s[0:3], 0 offset:388
.LBB60_283:
	s_or_b64 exec, exec, s[4:5]
	s_waitcnt lgkmcnt(0)
	; wave barrier
	buffer_load_dword v22, off, s[0:3], 0 offset:396
	buffer_load_dword v23, off, s[0:3], 0 offset:404
	;; [unrolled: 1-line block ×26, first 2 shown]
	ds_read2_b64 v[2:5], v1 offset0:111 offset1:112
	ds_read2_b64 v[6:9], v1 offset0:113 offset1:114
	;; [unrolled: 1-line block ×6, first 2 shown]
	v_cmp_lt_u32_e32 vcc, 47, v0
	s_waitcnt vmcnt(25) lgkmcnt(5)
	v_mul_f32_e32 v1, v2, v22
	v_mul_f32_e32 v22, v3, v22
	s_waitcnt vmcnt(24)
	v_mul_f32_e32 v50, v4, v23
	v_mul_f32_e32 v23, v5, v23
	s_waitcnt vmcnt(23) lgkmcnt(4)
	v_mul_f32_e32 v51, v6, v24
	v_mul_f32_e32 v24, v7, v24
	s_waitcnt vmcnt(22)
	v_mul_f32_e32 v52, v8, v27
	v_mul_f32_e32 v27, v9, v27
	;; [unrolled: 6-line block ×3, first 2 shown]
	s_waitcnt vmcnt(13)
	v_fma_f32 v2, v2, v36, -v22
	v_fmac_f32_e32 v1, v3, v36
	s_waitcnt vmcnt(12)
	v_fma_f32 v3, v4, v37, -v23
	v_add_f32_e32 v2, 0, v2
	s_waitcnt vmcnt(11)
	v_fma_f32 v4, v6, v38, -v24
	v_add_f32_e32 v2, v2, v3
	v_fmac_f32_e32 v50, v5, v37
	s_waitcnt vmcnt(10)
	v_fma_f32 v5, v8, v39, -v27
	v_add_f32_e32 v2, v2, v4
	s_waitcnt vmcnt(9)
	v_fma_f32 v6, v10, v40, -v28
	v_add_f32_e32 v2, v2, v5
	s_waitcnt lgkmcnt(2)
	v_mul_f32_e32 v55, v14, v30
	v_mul_f32_e32 v30, v15, v30
	v_fmac_f32_e32 v51, v7, v38
	s_waitcnt vmcnt(8)
	v_fma_f32 v7, v12, v41, -v29
	v_add_f32_e32 v1, 0, v1
	v_add_f32_e32 v2, v2, v6
	v_mul_f32_e32 v56, v16, v31
	v_mul_f32_e32 v31, v17, v31
	s_waitcnt vmcnt(7)
	v_fma_f32 v8, v14, v42, -v30
	v_add_f32_e32 v1, v1, v50
	v_add_f32_e32 v2, v2, v7
	v_fmac_f32_e32 v52, v9, v39
	s_waitcnt vmcnt(6)
	v_fma_f32 v9, v16, v43, -v31
	v_add_f32_e32 v1, v1, v51
	v_add_f32_e32 v2, v2, v8
	s_waitcnt lgkmcnt(1)
	v_mul_f32_e32 v3, v19, v32
	v_fmac_f32_e32 v53, v11, v40
	v_add_f32_e32 v1, v1, v52
	v_add_f32_e32 v2, v2, v9
	s_waitcnt vmcnt(5)
	v_fma_f32 v3, v18, v44, -v3
	v_fmac_f32_e32 v54, v13, v41
	v_add_f32_e32 v1, v1, v53
	v_add_f32_e32 v2, v2, v3
	v_mul_f32_e32 v3, v21, v33
	v_fmac_f32_e32 v55, v15, v42
	v_add_f32_e32 v1, v1, v54
	s_waitcnt vmcnt(4)
	v_fma_f32 v3, v20, v45, -v3
	v_mul_f32_e32 v57, v18, v32
	v_fmac_f32_e32 v56, v17, v43
	v_add_f32_e32 v1, v1, v55
	v_add_f32_e32 v2, v2, v3
	s_waitcnt lgkmcnt(0)
	v_mul_f32_e32 v3, v149, v34
	v_mul_f32_e32 v58, v20, v33
	v_fmac_f32_e32 v57, v19, v44
	v_add_f32_e32 v1, v1, v56
	s_waitcnt vmcnt(3)
	v_fma_f32 v3, v148, v46, -v3
	v_mul_f32_e32 v59, v148, v34
	v_fmac_f32_e32 v58, v21, v45
	v_add_f32_e32 v1, v1, v57
	v_add_f32_e32 v2, v2, v3
	v_mul_f32_e32 v3, v151, v35
	v_mul_f32_e32 v60, v150, v35
	v_fmac_f32_e32 v59, v149, v46
	v_add_f32_e32 v1, v1, v58
	s_waitcnt vmcnt(2)
	v_fma_f32 v3, v150, v47, -v3
	v_fmac_f32_e32 v60, v151, v47
	v_add_f32_e32 v1, v1, v59
	v_add_f32_e32 v2, v2, v3
	;; [unrolled: 1-line block ×3, first 2 shown]
	s_waitcnt vmcnt(1)
	v_sub_f32_e32 v2, v48, v2
	s_waitcnt vmcnt(0)
	v_sub_f32_e32 v1, v49, v1
	buffer_store_dword v2, off, s[0:3], 0 offset:384
	buffer_store_dword v1, off, s[0:3], 0 offset:388
	s_and_saveexec_b64 s[4:5], vcc
	s_cbranch_execz .LBB60_285
; %bb.284:
	buffer_load_dword v1, off, s[0:3], 0 offset:376
	buffer_load_dword v2, off, s[0:3], 0 offset:380
	v_mov_b32_e32 v3, 0
	buffer_store_dword v3, off, s[0:3], 0 offset:376
	buffer_store_dword v3, off, s[0:3], 0 offset:380
	s_waitcnt vmcnt(2)
	ds_write_b64 v147, v[1:2]
.LBB60_285:
	s_or_b64 exec, exec, s[4:5]
	s_waitcnt lgkmcnt(0)
	; wave barrier
	buffer_load_dword v24, off, s[0:3], 0 offset:388
	buffer_load_dword v27, off, s[0:3], 0 offset:396
	buffer_load_dword v28, off, s[0:3], 0 offset:404
	buffer_load_dword v29, off, s[0:3], 0 offset:412
	buffer_load_dword v30, off, s[0:3], 0 offset:420
	buffer_load_dword v31, off, s[0:3], 0 offset:428
	buffer_load_dword v32, off, s[0:3], 0 offset:436
	buffer_load_dword v33, off, s[0:3], 0 offset:444
	buffer_load_dword v34, off, s[0:3], 0 offset:452
	buffer_load_dword v35, off, s[0:3], 0 offset:460
	buffer_load_dword v36, off, s[0:3], 0 offset:468
	buffer_load_dword v37, off, s[0:3], 0 offset:476
	buffer_load_dword v38, off, s[0:3], 0 offset:484
	buffer_load_dword v39, off, s[0:3], 0 offset:384
	buffer_load_dword v40, off, s[0:3], 0 offset:392
	buffer_load_dword v41, off, s[0:3], 0 offset:400
	buffer_load_dword v42, off, s[0:3], 0 offset:408
	buffer_load_dword v43, off, s[0:3], 0 offset:416
	buffer_load_dword v44, off, s[0:3], 0 offset:424
	buffer_load_dword v45, off, s[0:3], 0 offset:432
	buffer_load_dword v46, off, s[0:3], 0 offset:440
	buffer_load_dword v47, off, s[0:3], 0 offset:448
	buffer_load_dword v48, off, s[0:3], 0 offset:456
	buffer_load_dword v49, off, s[0:3], 0 offset:464
	buffer_load_dword v50, off, s[0:3], 0 offset:472
	buffer_load_dword v51, off, s[0:3], 0 offset:480
	buffer_load_dword v52, off, s[0:3], 0 offset:376
	buffer_load_dword v53, off, s[0:3], 0 offset:380
	v_mov_b32_e32 v1, 0
	ds_read_b128 v[2:5], v1 offset:880
	ds_read_b128 v[6:9], v1 offset:896
	;; [unrolled: 1-line block ×6, first 2 shown]
	ds_read_b64 v[22:23], v1 offset:976
	v_cmp_lt_u32_e32 vcc, 46, v0
	s_waitcnt vmcnt(27) lgkmcnt(6)
	v_mul_f32_e32 v54, v2, v24
	v_mul_f32_e32 v24, v3, v24
	s_waitcnt vmcnt(26)
	v_mul_f32_e32 v55, v4, v27
	v_mul_f32_e32 v27, v5, v27
	s_waitcnt vmcnt(25) lgkmcnt(5)
	v_mul_f32_e32 v56, v6, v28
	v_mul_f32_e32 v28, v7, v28
	s_waitcnt vmcnt(24)
	v_mul_f32_e32 v57, v8, v29
	v_mul_f32_e32 v29, v9, v29
	;; [unrolled: 6-line block ×3, first 2 shown]
	s_waitcnt vmcnt(21) lgkmcnt(3)
	v_mul_f32_e32 v60, v14, v32
	s_waitcnt vmcnt(14)
	v_fma_f32 v2, v2, v39, -v24
	v_fmac_f32_e32 v54, v3, v39
	s_waitcnt vmcnt(13)
	v_fma_f32 v3, v4, v40, -v27
	v_add_f32_e32 v2, 0, v2
	s_waitcnt vmcnt(12)
	v_fma_f32 v4, v6, v41, -v28
	v_add_f32_e32 v2, v2, v3
	v_fmac_f32_e32 v55, v5, v40
	s_waitcnt vmcnt(11)
	v_fma_f32 v5, v8, v42, -v29
	v_add_f32_e32 v2, v2, v4
	s_waitcnt vmcnt(10)
	v_fma_f32 v6, v10, v43, -v30
	v_add_f32_e32 v2, v2, v5
	v_fmac_f32_e32 v56, v7, v41
	s_waitcnt vmcnt(9)
	v_fma_f32 v7, v12, v44, -v31
	v_add_f32_e32 v2, v2, v6
	v_mul_f32_e32 v4, v15, v32
	v_add_f32_e32 v2, v2, v7
	s_waitcnt vmcnt(8)
	v_fma_f32 v4, v14, v45, -v4
	v_add_f32_e32 v2, v2, v4
	v_mul_f32_e32 v4, v17, v33
	v_add_f32_e32 v8, 0, v54
	s_waitcnt vmcnt(7)
	v_fma_f32 v4, v16, v46, -v4
	v_add_f32_e32 v8, v8, v55
	v_add_f32_e32 v2, v2, v4
	s_waitcnt lgkmcnt(2)
	v_mul_f32_e32 v4, v19, v34
	v_fmac_f32_e32 v57, v9, v42
	v_add_f32_e32 v3, v8, v56
	s_waitcnt vmcnt(6)
	v_fma_f32 v4, v18, v47, -v4
	v_fmac_f32_e32 v58, v11, v43
	v_add_f32_e32 v3, v3, v57
	v_add_f32_e32 v2, v2, v4
	v_mul_f32_e32 v4, v21, v35
	v_fmac_f32_e32 v59, v13, v44
	v_add_f32_e32 v3, v3, v58
	s_waitcnt vmcnt(5)
	v_fma_f32 v4, v20, v48, -v4
	v_mul_f32_e32 v61, v16, v33
	v_fmac_f32_e32 v60, v15, v45
	v_add_f32_e32 v3, v3, v59
	v_add_f32_e32 v2, v2, v4
	s_waitcnt lgkmcnt(1)
	v_mul_f32_e32 v4, v149, v36
	v_mul_f32_e32 v62, v18, v34
	v_fmac_f32_e32 v61, v17, v46
	v_add_f32_e32 v3, v3, v60
	s_waitcnt vmcnt(4)
	v_fma_f32 v4, v148, v49, -v4
	v_mul_f32_e32 v63, v20, v35
	v_fmac_f32_e32 v62, v19, v47
	v_add_f32_e32 v3, v3, v61
	v_add_f32_e32 v2, v2, v4
	v_mul_f32_e32 v4, v151, v37
	v_mul_f32_e32 v64, v148, v36
	v_fmac_f32_e32 v63, v21, v48
	v_add_f32_e32 v3, v3, v62
	s_waitcnt vmcnt(3)
	v_fma_f32 v4, v150, v50, -v4
	v_mul_f32_e32 v65, v150, v37
	v_fmac_f32_e32 v64, v149, v49
	v_add_f32_e32 v3, v3, v63
	v_add_f32_e32 v2, v2, v4
	s_waitcnt lgkmcnt(0)
	v_mul_f32_e32 v4, v23, v38
	v_mul_f32_e32 v66, v22, v38
	v_fmac_f32_e32 v65, v151, v50
	v_add_f32_e32 v3, v3, v64
	s_waitcnt vmcnt(2)
	v_fma_f32 v4, v22, v51, -v4
	v_fmac_f32_e32 v66, v23, v51
	v_add_f32_e32 v3, v3, v65
	v_add_f32_e32 v2, v2, v4
	;; [unrolled: 1-line block ×3, first 2 shown]
	s_waitcnt vmcnt(1)
	v_sub_f32_e32 v2, v52, v2
	s_waitcnt vmcnt(0)
	v_sub_f32_e32 v3, v53, v3
	buffer_store_dword v2, off, s[0:3], 0 offset:376
	buffer_store_dword v3, off, s[0:3], 0 offset:380
	s_and_saveexec_b64 s[4:5], vcc
	s_cbranch_execz .LBB60_287
; %bb.286:
	buffer_load_dword v2, off, s[0:3], 0 offset:368
	buffer_load_dword v3, off, s[0:3], 0 offset:372
	s_waitcnt vmcnt(0)
	ds_write_b64 v147, v[2:3]
	buffer_store_dword v1, off, s[0:3], 0 offset:368
	buffer_store_dword v1, off, s[0:3], 0 offset:372
.LBB60_287:
	s_or_b64 exec, exec, s[4:5]
	s_waitcnt lgkmcnt(0)
	; wave barrier
	buffer_load_dword v22, off, s[0:3], 0 offset:380
	buffer_load_dword v23, off, s[0:3], 0 offset:388
	;; [unrolled: 1-line block ×30, first 2 shown]
	ds_read2_b64 v[2:5], v1 offset0:109 offset1:110
	ds_read2_b64 v[6:9], v1 offset0:111 offset1:112
	;; [unrolled: 1-line block ×7, first 2 shown]
	v_cmp_lt_u32_e32 vcc, 45, v0
	s_waitcnt vmcnt(29) lgkmcnt(6)
	v_mul_f32_e32 v1, v2, v22
	v_mul_f32_e32 v22, v3, v22
	s_waitcnt vmcnt(28)
	v_mul_f32_e32 v54, v4, v23
	v_mul_f32_e32 v23, v5, v23
	s_waitcnt vmcnt(27) lgkmcnt(5)
	v_mul_f32_e32 v55, v6, v24
	v_mul_f32_e32 v24, v7, v24
	s_waitcnt vmcnt(26)
	v_mul_f32_e32 v56, v8, v27
	v_mul_f32_e32 v27, v9, v27
	s_waitcnt vmcnt(25) lgkmcnt(4)
	v_mul_f32_e32 v57, v10, v28
	v_mul_f32_e32 v28, v11, v28
	s_waitcnt vmcnt(24)
	v_mul_f32_e32 v58, v12, v29
	s_waitcnt vmcnt(23) lgkmcnt(3)
	v_mul_f32_e32 v59, v14, v30
	s_waitcnt vmcnt(22)
	v_mul_f32_e32 v60, v16, v31
	s_waitcnt vmcnt(21) lgkmcnt(2)
	v_mul_f32_e32 v61, v18, v32
	s_waitcnt vmcnt(15)
	v_fma_f32 v2, v2, v38, -v22
	v_fmac_f32_e32 v1, v3, v38
	s_waitcnt vmcnt(14)
	v_fma_f32 v3, v4, v39, -v23
	v_add_f32_e32 v2, 0, v2
	s_waitcnt vmcnt(13)
	v_fma_f32 v4, v6, v40, -v24
	v_add_f32_e32 v2, v2, v3
	v_fmac_f32_e32 v54, v5, v39
	s_waitcnt vmcnt(12)
	v_fma_f32 v5, v8, v41, -v27
	v_add_f32_e32 v2, v2, v4
	s_waitcnt vmcnt(11)
	v_fma_f32 v6, v10, v42, -v28
	v_add_f32_e32 v2, v2, v5
	v_mul_f32_e32 v3, v13, v29
	v_add_f32_e32 v2, v2, v6
	s_waitcnt vmcnt(10)
	v_fma_f32 v3, v12, v43, -v3
	v_add_f32_e32 v2, v2, v3
	v_mul_f32_e32 v3, v15, v30
	s_waitcnt vmcnt(9)
	v_fma_f32 v3, v14, v44, -v3
	v_add_f32_e32 v2, v2, v3
	v_mul_f32_e32 v3, v17, v31
	s_waitcnt vmcnt(8)
	v_fma_f32 v3, v16, v45, -v3
	v_add_f32_e32 v1, 0, v1
	v_add_f32_e32 v2, v2, v3
	v_mul_f32_e32 v3, v19, v32
	v_fmac_f32_e32 v55, v7, v40
	v_add_f32_e32 v1, v1, v54
	s_waitcnt vmcnt(7)
	v_fma_f32 v3, v18, v46, -v3
	v_fmac_f32_e32 v56, v9, v41
	v_add_f32_e32 v1, v1, v55
	v_add_f32_e32 v2, v2, v3
	v_mul_f32_e32 v3, v21, v33
	v_fmac_f32_e32 v57, v11, v42
	v_add_f32_e32 v1, v1, v56
	s_waitcnt vmcnt(6)
	v_fma_f32 v3, v20, v47, -v3
	v_fmac_f32_e32 v58, v13, v43
	v_add_f32_e32 v1, v1, v57
	v_add_f32_e32 v2, v2, v3
	s_waitcnt lgkmcnt(1)
	v_mul_f32_e32 v3, v149, v34
	v_fmac_f32_e32 v59, v15, v44
	v_add_f32_e32 v1, v1, v58
	s_waitcnt vmcnt(5)
	v_fma_f32 v3, v148, v48, -v3
	v_fmac_f32_e32 v60, v17, v45
	v_add_f32_e32 v1, v1, v59
	v_add_f32_e32 v2, v2, v3
	v_mul_f32_e32 v3, v151, v35
	v_mul_f32_e32 v62, v20, v33
	v_fmac_f32_e32 v61, v19, v46
	v_add_f32_e32 v1, v1, v60
	s_waitcnt vmcnt(4)
	v_fma_f32 v3, v150, v49, -v3
	v_mul_f32_e32 v63, v148, v34
	v_fmac_f32_e32 v62, v21, v47
	v_add_f32_e32 v1, v1, v61
	v_add_f32_e32 v2, v2, v3
	s_waitcnt lgkmcnt(0)
	v_mul_f32_e32 v3, v153, v36
	v_mul_f32_e32 v64, v150, v35
	v_fmac_f32_e32 v63, v149, v48
	v_add_f32_e32 v1, v1, v62
	s_waitcnt vmcnt(3)
	v_fma_f32 v3, v152, v50, -v3
	v_mul_f32_e32 v65, v152, v36
	v_fmac_f32_e32 v64, v151, v49
	v_add_f32_e32 v1, v1, v63
	v_add_f32_e32 v2, v2, v3
	v_mul_f32_e32 v3, v155, v37
	v_mul_f32_e32 v66, v154, v37
	v_fmac_f32_e32 v65, v153, v50
	v_add_f32_e32 v1, v1, v64
	s_waitcnt vmcnt(2)
	v_fma_f32 v3, v154, v51, -v3
	v_fmac_f32_e32 v66, v155, v51
	v_add_f32_e32 v1, v1, v65
	v_add_f32_e32 v2, v2, v3
	;; [unrolled: 1-line block ×3, first 2 shown]
	s_waitcnt vmcnt(1)
	v_sub_f32_e32 v2, v52, v2
	s_waitcnt vmcnt(0)
	v_sub_f32_e32 v1, v53, v1
	buffer_store_dword v2, off, s[0:3], 0 offset:368
	buffer_store_dword v1, off, s[0:3], 0 offset:372
	s_and_saveexec_b64 s[4:5], vcc
	s_cbranch_execz .LBB60_289
; %bb.288:
	buffer_load_dword v1, off, s[0:3], 0 offset:360
	buffer_load_dword v2, off, s[0:3], 0 offset:364
	v_mov_b32_e32 v3, 0
	buffer_store_dword v3, off, s[0:3], 0 offset:360
	buffer_store_dword v3, off, s[0:3], 0 offset:364
	s_waitcnt vmcnt(2)
	ds_write_b64 v147, v[1:2]
.LBB60_289:
	s_or_b64 exec, exec, s[4:5]
	s_waitcnt lgkmcnt(0)
	; wave barrier
	buffer_load_dword v24, off, s[0:3], 0 offset:372
	buffer_load_dword v27, off, s[0:3], 0 offset:380
	;; [unrolled: 1-line block ×32, first 2 shown]
	v_mov_b32_e32 v1, 0
	ds_read_b128 v[2:5], v1 offset:864
	ds_read_b128 v[6:9], v1 offset:880
	;; [unrolled: 1-line block ×7, first 2 shown]
	ds_read_b64 v[22:23], v1 offset:976
	v_cmp_lt_u32_e32 vcc, 44, v0
	s_waitcnt vmcnt(31) lgkmcnt(7)
	v_mul_f32_e32 v58, v2, v24
	v_mul_f32_e32 v24, v3, v24
	s_waitcnt vmcnt(30)
	v_mul_f32_e32 v59, v4, v27
	v_mul_f32_e32 v27, v5, v27
	s_waitcnt vmcnt(29) lgkmcnt(6)
	v_mul_f32_e32 v60, v6, v28
	v_mul_f32_e32 v28, v7, v28
	s_waitcnt vmcnt(28)
	v_mul_f32_e32 v61, v8, v29
	s_waitcnt vmcnt(27) lgkmcnt(5)
	v_mul_f32_e32 v62, v10, v30
	s_waitcnt vmcnt(26)
	v_mul_f32_e32 v63, v12, v31
	s_waitcnt vmcnt(25) lgkmcnt(4)
	;; [unrolled: 4-line block ×4, first 2 shown]
	v_mul_f32_e32 v68, v148, v36
	s_waitcnt vmcnt(20)
	v_mul_f32_e32 v69, v150, v37
	s_waitcnt vmcnt(16)
	v_fma_f32 v2, v2, v41, -v24
	v_fmac_f32_e32 v58, v3, v41
	s_waitcnt vmcnt(15)
	v_fma_f32 v3, v4, v42, -v27
	v_add_f32_e32 v2, 0, v2
	s_waitcnt vmcnt(14)
	v_fma_f32 v4, v6, v43, -v28
	v_add_f32_e32 v2, v2, v3
	v_add_f32_e32 v2, v2, v4
	v_mul_f32_e32 v4, v9, v29
	s_waitcnt vmcnt(13)
	v_fma_f32 v4, v8, v44, -v4
	v_add_f32_e32 v2, v2, v4
	v_mul_f32_e32 v4, v11, v30
	s_waitcnt vmcnt(12)
	v_fma_f32 v4, v10, v45, -v4
	;; [unrolled: 4-line block ×5, first 2 shown]
	v_add_f32_e32 v2, v2, v4
	v_mul_f32_e32 v4, v19, v34
	v_fmac_f32_e32 v59, v5, v42
	v_add_f32_e32 v5, 0, v58
	s_waitcnt vmcnt(8)
	v_fma_f32 v4, v18, v49, -v4
	v_fmac_f32_e32 v60, v7, v43
	v_add_f32_e32 v5, v5, v59
	v_add_f32_e32 v2, v2, v4
	v_mul_f32_e32 v4, v21, v35
	v_fmac_f32_e32 v61, v9, v44
	v_add_f32_e32 v3, v5, v60
	s_waitcnt vmcnt(7)
	v_fma_f32 v4, v20, v50, -v4
	v_fmac_f32_e32 v62, v11, v45
	v_add_f32_e32 v3, v3, v61
	;; [unrolled: 8-line block ×4, first 2 shown]
	v_add_f32_e32 v2, v2, v4
	s_waitcnt lgkmcnt(1)
	v_mul_f32_e32 v4, v153, v38
	v_fmac_f32_e32 v67, v21, v50
	v_add_f32_e32 v3, v3, v66
	s_waitcnt vmcnt(4)
	v_fma_f32 v4, v152, v53, -v4
	v_fmac_f32_e32 v68, v149, v51
	v_add_f32_e32 v3, v3, v67
	v_add_f32_e32 v2, v2, v4
	v_mul_f32_e32 v4, v155, v39
	v_mul_f32_e32 v70, v152, v38
	v_fmac_f32_e32 v69, v151, v52
	v_add_f32_e32 v3, v3, v68
	s_waitcnt vmcnt(3)
	v_fma_f32 v4, v154, v54, -v4
	v_mul_f32_e32 v156, v154, v39
	v_fmac_f32_e32 v70, v153, v53
	v_add_f32_e32 v3, v3, v69
	v_add_f32_e32 v2, v2, v4
	s_waitcnt lgkmcnt(0)
	v_mul_f32_e32 v4, v23, v40
	v_mul_f32_e32 v157, v22, v40
	v_fmac_f32_e32 v156, v155, v54
	v_add_f32_e32 v3, v3, v70
	s_waitcnt vmcnt(2)
	v_fma_f32 v4, v22, v55, -v4
	v_fmac_f32_e32 v157, v23, v55
	v_add_f32_e32 v3, v3, v156
	v_add_f32_e32 v2, v2, v4
	;; [unrolled: 1-line block ×3, first 2 shown]
	s_waitcnt vmcnt(1)
	v_sub_f32_e32 v2, v56, v2
	s_waitcnt vmcnt(0)
	v_sub_f32_e32 v3, v57, v3
	buffer_store_dword v2, off, s[0:3], 0 offset:360
	buffer_store_dword v3, off, s[0:3], 0 offset:364
	s_and_saveexec_b64 s[4:5], vcc
	s_cbranch_execz .LBB60_291
; %bb.290:
	buffer_load_dword v2, off, s[0:3], 0 offset:352
	buffer_load_dword v3, off, s[0:3], 0 offset:356
	s_waitcnt vmcnt(0)
	ds_write_b64 v147, v[2:3]
	buffer_store_dword v1, off, s[0:3], 0 offset:352
	buffer_store_dword v1, off, s[0:3], 0 offset:356
.LBB60_291:
	s_or_b64 exec, exec, s[4:5]
	s_waitcnt lgkmcnt(0)
	; wave barrier
	buffer_load_dword v22, off, s[0:3], 0 offset:364
	buffer_load_dword v23, off, s[0:3], 0 offset:372
	;; [unrolled: 1-line block ×34, first 2 shown]
	ds_read2_b64 v[2:5], v1 offset0:107 offset1:108
	ds_read2_b64 v[6:9], v1 offset0:109 offset1:110
	;; [unrolled: 1-line block ×8, first 2 shown]
	v_cmp_lt_u32_e32 vcc, 43, v0
	s_waitcnt vmcnt(33) lgkmcnt(7)
	v_mul_f32_e32 v1, v2, v22
	v_mul_f32_e32 v22, v3, v22
	s_waitcnt vmcnt(32)
	v_mul_f32_e32 v58, v4, v23
	v_mul_f32_e32 v23, v5, v23
	s_waitcnt vmcnt(31) lgkmcnt(6)
	v_mul_f32_e32 v59, v6, v24
	s_waitcnt vmcnt(30)
	v_mul_f32_e32 v60, v8, v27
	s_waitcnt vmcnt(29) lgkmcnt(5)
	v_mul_f32_e32 v61, v10, v28
	s_waitcnt vmcnt(28)
	;; [unrolled: 4-line block ×6, first 2 shown]
	v_mul_f32_e32 v70, v154, v37
	s_waitcnt vmcnt(17)
	v_fma_f32 v2, v2, v40, -v22
	v_fmac_f32_e32 v1, v3, v40
	s_waitcnt vmcnt(16)
	v_fma_f32 v3, v4, v41, -v23
	v_add_f32_e32 v2, 0, v2
	v_add_f32_e32 v2, v2, v3
	v_mul_f32_e32 v3, v7, v24
	s_waitcnt vmcnt(15)
	v_fma_f32 v3, v6, v42, -v3
	v_add_f32_e32 v2, v2, v3
	v_mul_f32_e32 v3, v9, v27
	s_waitcnt vmcnt(14)
	v_fma_f32 v3, v8, v43, -v3
	v_add_f32_e32 v2, v2, v3
	v_mul_f32_e32 v3, v11, v28
	s_waitcnt vmcnt(13)
	v_fma_f32 v3, v10, v44, -v3
	v_add_f32_e32 v2, v2, v3
	v_mul_f32_e32 v3, v13, v29
	s_waitcnt vmcnt(12)
	v_fma_f32 v3, v12, v45, -v3
	v_add_f32_e32 v2, v2, v3
	v_mul_f32_e32 v3, v15, v30
	s_waitcnt vmcnt(11)
	v_fma_f32 v3, v14, v46, -v3
	v_add_f32_e32 v2, v2, v3
	v_mul_f32_e32 v3, v17, v31
	s_waitcnt vmcnt(10)
	v_fma_f32 v3, v16, v47, -v3
	v_add_f32_e32 v2, v2, v3
	v_mul_f32_e32 v3, v19, v32
	s_waitcnt vmcnt(9)
	v_fma_f32 v3, v18, v48, -v3
	v_fmac_f32_e32 v58, v5, v41
	v_add_f32_e32 v1, 0, v1
	v_add_f32_e32 v2, v2, v3
	v_mul_f32_e32 v3, v21, v33
	v_fmac_f32_e32 v59, v7, v42
	v_add_f32_e32 v1, v1, v58
	s_waitcnt vmcnt(8)
	v_fma_f32 v3, v20, v49, -v3
	v_fmac_f32_e32 v60, v9, v43
	v_add_f32_e32 v1, v1, v59
	v_add_f32_e32 v2, v2, v3
	v_mul_f32_e32 v3, v149, v34
	v_fmac_f32_e32 v61, v11, v44
	v_add_f32_e32 v1, v1, v60
	s_waitcnt vmcnt(7)
	v_fma_f32 v3, v148, v50, -v3
	;; [unrolled: 8-line block ×5, first 2 shown]
	v_fmac_f32_e32 v68, v151, v51
	v_add_f32_e32 v1, v1, v67
	v_add_f32_e32 v2, v2, v3
	s_waitcnt lgkmcnt(0)
	v_mul_f32_e32 v3, v157, v38
	v_fmac_f32_e32 v69, v153, v52
	v_add_f32_e32 v1, v1, v68
	s_waitcnt vmcnt(3)
	v_fma_f32 v3, v156, v54, -v3
	v_mul_f32_e32 v160, v156, v38
	v_fmac_f32_e32 v70, v155, v53
	v_add_f32_e32 v1, v1, v69
	v_add_f32_e32 v2, v2, v3
	v_mul_f32_e32 v3, v159, v39
	v_mul_f32_e32 v161, v158, v39
	v_fmac_f32_e32 v160, v157, v54
	v_add_f32_e32 v1, v1, v70
	s_waitcnt vmcnt(2)
	v_fma_f32 v3, v158, v55, -v3
	v_fmac_f32_e32 v161, v159, v55
	v_add_f32_e32 v1, v1, v160
	v_add_f32_e32 v2, v2, v3
	;; [unrolled: 1-line block ×3, first 2 shown]
	s_waitcnt vmcnt(1)
	v_sub_f32_e32 v2, v56, v2
	s_waitcnt vmcnt(0)
	v_sub_f32_e32 v1, v57, v1
	buffer_store_dword v2, off, s[0:3], 0 offset:352
	buffer_store_dword v1, off, s[0:3], 0 offset:356
	s_and_saveexec_b64 s[4:5], vcc
	s_cbranch_execz .LBB60_293
; %bb.292:
	buffer_load_dword v1, off, s[0:3], 0 offset:344
	buffer_load_dword v2, off, s[0:3], 0 offset:348
	v_mov_b32_e32 v3, 0
	buffer_store_dword v3, off, s[0:3], 0 offset:344
	buffer_store_dword v3, off, s[0:3], 0 offset:348
	s_waitcnt vmcnt(2)
	ds_write_b64 v147, v[1:2]
.LBB60_293:
	s_or_b64 exec, exec, s[4:5]
	s_waitcnt lgkmcnt(0)
	; wave barrier
	buffer_load_dword v24, off, s[0:3], 0 offset:356
	buffer_load_dword v27, off, s[0:3], 0 offset:364
	;; [unrolled: 1-line block ×36, first 2 shown]
	v_mov_b32_e32 v1, 0
	ds_read_b128 v[2:5], v1 offset:848
	ds_read_b128 v[6:9], v1 offset:864
	ds_read_b128 v[10:13], v1 offset:880
	ds_read_b128 v[14:17], v1 offset:896
	ds_read_b128 v[18:21], v1 offset:912
	ds_read_b128 v[148:151], v1 offset:928
	ds_read_b128 v[152:155], v1 offset:944
	ds_read_b128 v[156:159], v1 offset:960
	ds_read_b64 v[22:23], v1 offset:976
	v_cmp_lt_u32_e32 vcc, 42, v0
	s_waitcnt vmcnt(35) lgkmcnt(8)
	v_mul_f32_e32 v62, v2, v24
	s_waitcnt vmcnt(34)
	v_mul_f32_e32 v63, v4, v27
	s_waitcnt vmcnt(33) lgkmcnt(7)
	v_mul_f32_e32 v64, v6, v28
	s_waitcnt vmcnt(32)
	v_mul_f32_e32 v65, v8, v29
	;; [unrolled: 4-line block ×8, first 2 shown]
	s_waitcnt vmcnt(19) lgkmcnt(0)
	v_mul_f32_e32 v167, v22, v42
	s_waitcnt vmcnt(18)
	v_fmac_f32_e32 v62, v3, v43
	v_mul_f32_e32 v3, v3, v24
	v_fma_f32 v2, v2, v43, -v3
	v_mul_f32_e32 v3, v5, v27
	v_add_f32_e32 v2, 0, v2
	s_waitcnt vmcnt(17)
	v_fma_f32 v3, v4, v44, -v3
	v_add_f32_e32 v2, v2, v3
	v_mul_f32_e32 v3, v7, v28
	s_waitcnt vmcnt(16)
	v_fma_f32 v3, v6, v45, -v3
	v_add_f32_e32 v2, v2, v3
	v_mul_f32_e32 v3, v9, v29
	;; [unrolled: 4-line block ×8, first 2 shown]
	v_fmac_f32_e32 v63, v5, v44
	v_add_f32_e32 v62, 0, v62
	s_waitcnt vmcnt(9)
	v_fma_f32 v3, v20, v52, -v3
	v_fmac_f32_e32 v64, v7, v45
	v_add_f32_e32 v62, v62, v63
	v_add_f32_e32 v2, v2, v3
	v_mul_f32_e32 v3, v149, v36
	v_fmac_f32_e32 v65, v9, v46
	v_add_f32_e32 v62, v62, v64
	s_waitcnt vmcnt(8)
	v_fma_f32 v3, v148, v53, -v3
	v_fmac_f32_e32 v66, v11, v47
	v_add_f32_e32 v62, v62, v65
	v_add_f32_e32 v2, v2, v3
	v_mul_f32_e32 v3, v151, v37
	;; [unrolled: 8-line block ×7, first 2 shown]
	v_fmac_f32_e32 v166, v159, v58
	v_add_f32_e32 v62, v62, v165
	s_waitcnt vmcnt(2)
	v_fma_f32 v3, v22, v59, -v3
	v_fmac_f32_e32 v167, v23, v59
	v_add_f32_e32 v62, v62, v166
	v_add_f32_e32 v2, v2, v3
	;; [unrolled: 1-line block ×3, first 2 shown]
	s_waitcnt vmcnt(1)
	v_sub_f32_e32 v2, v60, v2
	s_waitcnt vmcnt(0)
	v_sub_f32_e32 v3, v61, v62
	buffer_store_dword v2, off, s[0:3], 0 offset:344
	buffer_store_dword v3, off, s[0:3], 0 offset:348
	s_and_saveexec_b64 s[4:5], vcc
	s_cbranch_execz .LBB60_295
; %bb.294:
	buffer_load_dword v2, off, s[0:3], 0 offset:336
	buffer_load_dword v3, off, s[0:3], 0 offset:340
	s_waitcnt vmcnt(0)
	ds_write_b64 v147, v[2:3]
	buffer_store_dword v1, off, s[0:3], 0 offset:336
	buffer_store_dword v1, off, s[0:3], 0 offset:340
.LBB60_295:
	s_or_b64 exec, exec, s[4:5]
	s_waitcnt lgkmcnt(0)
	; wave barrier
	buffer_load_dword v22, off, s[0:3], 0 offset:348
	buffer_load_dword v23, off, s[0:3], 0 offset:356
	;; [unrolled: 1-line block ×38, first 2 shown]
	ds_read2_b64 v[2:5], v1 offset0:105 offset1:106
	ds_read2_b64 v[6:9], v1 offset0:107 offset1:108
	;; [unrolled: 1-line block ×9, first 2 shown]
	v_cmp_lt_u32_e32 vcc, 41, v0
	s_waitcnt vmcnt(37) lgkmcnt(8)
	v_mul_f32_e32 v1, v2, v22
	s_waitcnt vmcnt(36)
	v_mul_f32_e32 v62, v4, v23
	s_waitcnt vmcnt(35) lgkmcnt(7)
	v_mul_f32_e32 v63, v6, v24
	s_waitcnt vmcnt(34)
	v_mul_f32_e32 v64, v8, v27
	;; [unrolled: 4-line block ×8, first 2 shown]
	s_waitcnt vmcnt(21) lgkmcnt(0)
	v_mul_f32_e32 v170, v160, v40
	s_waitcnt vmcnt(20)
	v_fmac_f32_e32 v1, v3, v41
	v_mul_f32_e32 v3, v3, v22
	v_fma_f32 v2, v2, v41, -v3
	v_mul_f32_e32 v3, v5, v23
	v_add_f32_e32 v2, 0, v2
	s_waitcnt vmcnt(19)
	v_fma_f32 v3, v4, v42, -v3
	v_add_f32_e32 v2, v2, v3
	v_mul_f32_e32 v3, v7, v24
	s_waitcnt vmcnt(18)
	v_fma_f32 v3, v6, v43, -v3
	v_add_f32_e32 v2, v2, v3
	v_mul_f32_e32 v3, v9, v27
	;; [unrolled: 4-line block ×8, first 2 shown]
	s_waitcnt vmcnt(11)
	v_fma_f32 v3, v20, v50, -v3
	v_fmac_f32_e32 v62, v5, v42
	v_add_f32_e32 v1, 0, v1
	v_add_f32_e32 v2, v2, v3
	v_mul_f32_e32 v3, v149, v34
	v_fmac_f32_e32 v63, v7, v43
	v_add_f32_e32 v1, v1, v62
	s_waitcnt vmcnt(10)
	v_fma_f32 v3, v148, v51, -v3
	v_fmac_f32_e32 v64, v9, v44
	v_add_f32_e32 v1, v1, v63
	v_add_f32_e32 v2, v2, v3
	v_mul_f32_e32 v3, v151, v35
	v_fmac_f32_e32 v65, v11, v45
	v_add_f32_e32 v1, v1, v64
	;; [unrolled: 8-line block ×7, first 2 shown]
	s_waitcnt vmcnt(4)
	v_fma_f32 v3, v160, v57, -v3
	v_fmac_f32_e32 v169, v159, v56
	v_add_f32_e32 v1, v1, v168
	v_add_f32_e32 v2, v2, v3
	s_waitcnt vmcnt(3)
	v_mul_f32_e32 v3, v163, v58
	v_add_f32_e32 v1, v1, v169
	v_fmac_f32_e32 v170, v161, v57
	v_mul_f32_e32 v62, v162, v58
	s_waitcnt vmcnt(2)
	v_fma_f32 v3, v162, v59, -v3
	v_add_f32_e32 v1, v1, v170
	v_fmac_f32_e32 v62, v163, v59
	v_add_f32_e32 v2, v2, v3
	v_add_f32_e32 v1, v1, v62
	s_waitcnt vmcnt(1)
	v_sub_f32_e32 v2, v60, v2
	s_waitcnt vmcnt(0)
	v_sub_f32_e32 v1, v61, v1
	buffer_store_dword v2, off, s[0:3], 0 offset:336
	buffer_store_dword v1, off, s[0:3], 0 offset:340
	s_and_saveexec_b64 s[4:5], vcc
	s_cbranch_execz .LBB60_297
; %bb.296:
	buffer_load_dword v1, off, s[0:3], 0 offset:328
	buffer_load_dword v2, off, s[0:3], 0 offset:332
	v_mov_b32_e32 v3, 0
	buffer_store_dword v3, off, s[0:3], 0 offset:328
	buffer_store_dword v3, off, s[0:3], 0 offset:332
	s_waitcnt vmcnt(2)
	ds_write_b64 v147, v[1:2]
.LBB60_297:
	s_or_b64 exec, exec, s[4:5]
	s_waitcnt lgkmcnt(0)
	; wave barrier
	buffer_load_dword v24, off, s[0:3], 0 offset:340
	buffer_load_dword v27, off, s[0:3], 0 offset:348
	;; [unrolled: 1-line block ×40, first 2 shown]
	v_mov_b32_e32 v1, 0
	ds_read_b128 v[2:5], v1 offset:832
	ds_read_b128 v[6:9], v1 offset:848
	ds_read_b128 v[10:13], v1 offset:864
	ds_read_b128 v[14:17], v1 offset:880
	ds_read_b128 v[18:21], v1 offset:896
	ds_read_b128 v[148:151], v1 offset:912
	ds_read_b128 v[152:155], v1 offset:928
	ds_read_b128 v[156:159], v1 offset:944
	ds_read_b128 v[160:163], v1 offset:960
	v_cmp_lt_u32_e32 vcc, 40, v0
	s_waitcnt vmcnt(39) lgkmcnt(8)
	v_mul_f32_e32 v22, v2, v24
	s_waitcnt vmcnt(38)
	v_mul_f32_e32 v23, v4, v27
	s_waitcnt vmcnt(37) lgkmcnt(7)
	v_mul_f32_e32 v66, v6, v28
	s_waitcnt vmcnt(36)
	v_mul_f32_e32 v67, v8, v29
	s_waitcnt vmcnt(35) lgkmcnt(6)
	v_mul_f32_e32 v68, v10, v30
	s_waitcnt vmcnt(34)
	v_mul_f32_e32 v69, v12, v31
	s_waitcnt vmcnt(33) lgkmcnt(5)
	v_mul_f32_e32 v70, v14, v32
	s_waitcnt vmcnt(32)
	v_mul_f32_e32 v164, v16, v33
	s_waitcnt vmcnt(31) lgkmcnt(4)
	v_mul_f32_e32 v165, v18, v34
	s_waitcnt vmcnt(30)
	v_mul_f32_e32 v166, v20, v35
	s_waitcnt vmcnt(29) lgkmcnt(3)
	v_mul_f32_e32 v167, v148, v36
	s_waitcnt vmcnt(28)
	v_mul_f32_e32 v168, v150, v37
	s_waitcnt vmcnt(27) lgkmcnt(2)
	v_mul_f32_e32 v169, v152, v38
	s_waitcnt vmcnt(26)
	v_mul_f32_e32 v170, v154, v39
	s_waitcnt vmcnt(25) lgkmcnt(1)
	v_mul_f32_e32 v171, v156, v40
	s_waitcnt vmcnt(24)
	v_fmac_f32_e32 v22, v3, v41
	v_mul_f32_e32 v3, v3, v24
	v_fma_f32 v2, v2, v41, -v3
	v_mul_f32_e32 v3, v5, v27
	v_add_f32_e32 v2, 0, v2
	s_waitcnt vmcnt(23)
	v_fma_f32 v3, v4, v42, -v3
	v_add_f32_e32 v2, v2, v3
	v_mul_f32_e32 v3, v7, v28
	s_waitcnt vmcnt(22)
	v_fma_f32 v3, v6, v43, -v3
	v_add_f32_e32 v2, v2, v3
	v_mul_f32_e32 v3, v9, v29
	;; [unrolled: 4-line block ×6, first 2 shown]
	s_waitcnt vmcnt(17)
	v_fma_f32 v3, v16, v48, -v3
	v_fmac_f32_e32 v23, v5, v42
	v_add_f32_e32 v22, 0, v22
	v_add_f32_e32 v2, v2, v3
	v_mul_f32_e32 v3, v19, v34
	v_fmac_f32_e32 v66, v7, v43
	v_add_f32_e32 v22, v22, v23
	s_waitcnt vmcnt(16)
	v_fma_f32 v3, v18, v49, -v3
	v_fmac_f32_e32 v67, v9, v44
	v_add_f32_e32 v22, v22, v66
	v_add_f32_e32 v2, v2, v3
	v_mul_f32_e32 v3, v21, v35
	v_fmac_f32_e32 v68, v11, v45
	v_add_f32_e32 v22, v22, v67
	;; [unrolled: 8-line block ×6, first 2 shown]
	s_waitcnt vmcnt(11)
	v_fma_f32 v3, v154, v54, -v3
	v_fmac_f32_e32 v170, v155, v54
	v_add_f32_e32 v22, v22, v169
	v_add_f32_e32 v2, v2, v3
	v_mul_f32_e32 v3, v157, v40
	s_waitcnt vmcnt(10)
	v_fmac_f32_e32 v171, v157, v55
	v_add_f32_e32 v22, v22, v170
	s_waitcnt vmcnt(9)
	v_mul_f32_e32 v23, v158, v56
	v_fma_f32 v3, v156, v55, -v3
	v_add_f32_e32 v22, v22, v171
	s_waitcnt vmcnt(8)
	v_fmac_f32_e32 v23, v159, v57
	v_add_f32_e32 v2, v2, v3
	v_mul_f32_e32 v3, v159, v56
	v_add_f32_e32 v66, v22, v23
	ds_read_b64 v[22:23], v1 offset:976
	v_fma_f32 v3, v158, v57, -v3
	v_add_f32_e32 v2, v2, v3
	s_waitcnt vmcnt(7) lgkmcnt(1)
	v_mul_f32_e32 v3, v161, v58
	v_mul_f32_e32 v67, v160, v58
	s_waitcnt vmcnt(6)
	v_fma_f32 v3, v160, v59, -v3
	v_fmac_f32_e32 v67, v161, v59
	v_add_f32_e32 v2, v2, v3
	s_waitcnt vmcnt(5)
	v_mul_f32_e32 v3, v163, v60
	v_add_f32_e32 v66, v66, v67
	v_mul_f32_e32 v67, v162, v60
	s_waitcnt vmcnt(4)
	v_fma_f32 v3, v162, v61, -v3
	v_fmac_f32_e32 v67, v163, v61
	v_add_f32_e32 v2, v2, v3
	s_waitcnt vmcnt(3) lgkmcnt(0)
	v_mul_f32_e32 v3, v23, v62
	v_add_f32_e32 v66, v66, v67
	v_mul_f32_e32 v67, v22, v62
	s_waitcnt vmcnt(2)
	v_fma_f32 v3, v22, v63, -v3
	v_fmac_f32_e32 v67, v23, v63
	v_add_f32_e32 v2, v2, v3
	v_add_f32_e32 v66, v66, v67
	s_waitcnt vmcnt(1)
	v_sub_f32_e32 v2, v64, v2
	s_waitcnt vmcnt(0)
	v_sub_f32_e32 v3, v65, v66
	buffer_store_dword v2, off, s[0:3], 0 offset:328
	buffer_store_dword v3, off, s[0:3], 0 offset:332
	s_and_saveexec_b64 s[4:5], vcc
	s_cbranch_execz .LBB60_299
; %bb.298:
	buffer_load_dword v2, off, s[0:3], 0 offset:320
	buffer_load_dword v3, off, s[0:3], 0 offset:324
	s_waitcnt vmcnt(0)
	ds_write_b64 v147, v[2:3]
	buffer_store_dword v1, off, s[0:3], 0 offset:320
	buffer_store_dword v1, off, s[0:3], 0 offset:324
.LBB60_299:
	s_or_b64 exec, exec, s[4:5]
	s_waitcnt lgkmcnt(0)
	; wave barrier
	buffer_load_dword v22, off, s[0:3], 0 offset:332
	buffer_load_dword v23, off, s[0:3], 0 offset:340
	;; [unrolled: 1-line block ×42, first 2 shown]
	ds_read2_b64 v[2:5], v1 offset0:103 offset1:104
	ds_read2_b64 v[6:9], v1 offset0:105 offset1:106
	;; [unrolled: 1-line block ×8, first 2 shown]
	v_cmp_lt_u32_e32 vcc, 39, v0
	s_waitcnt vmcnt(41) lgkmcnt(7)
	v_mul_f32_e32 v66, v2, v22
	s_waitcnt vmcnt(40)
	v_mul_f32_e32 v67, v4, v23
	s_waitcnt vmcnt(39) lgkmcnt(6)
	v_mul_f32_e32 v68, v6, v24
	s_waitcnt vmcnt(38)
	v_mul_f32_e32 v69, v8, v27
	;; [unrolled: 4-line block ×7, first 2 shown]
	s_waitcnt vmcnt(27) lgkmcnt(0)
	v_mul_f32_e32 v169, v156, v38
	s_waitcnt vmcnt(26)
	v_fmac_f32_e32 v66, v3, v39
	v_mul_f32_e32 v3, v3, v22
	v_fma_f32 v2, v2, v39, -v3
	v_mul_f32_e32 v3, v5, v23
	v_add_f32_e32 v2, 0, v2
	s_waitcnt vmcnt(25)
	v_fma_f32 v3, v4, v40, -v3
	v_add_f32_e32 v2, v2, v3
	v_mul_f32_e32 v3, v7, v24
	s_waitcnt vmcnt(24)
	v_fma_f32 v3, v6, v41, -v3
	v_add_f32_e32 v2, v2, v3
	v_mul_f32_e32 v3, v9, v27
	;; [unrolled: 4-line block ×8, first 2 shown]
	v_fmac_f32_e32 v67, v5, v40
	v_add_f32_e32 v66, 0, v66
	s_waitcnt vmcnt(17)
	v_fma_f32 v3, v20, v48, -v3
	v_fmac_f32_e32 v68, v7, v41
	v_add_f32_e32 v66, v66, v67
	v_add_f32_e32 v2, v2, v3
	v_mul_f32_e32 v3, v149, v34
	v_fmac_f32_e32 v69, v9, v42
	v_add_f32_e32 v66, v66, v68
	s_waitcnt vmcnt(16)
	v_fma_f32 v3, v148, v49, -v3
	v_fmac_f32_e32 v70, v11, v43
	v_add_f32_e32 v66, v66, v69
	v_add_f32_e32 v2, v2, v3
	v_mul_f32_e32 v3, v151, v35
	;; [unrolled: 8-line block ×4, first 2 shown]
	v_fmac_f32_e32 v164, v21, v48
	v_add_f32_e32 v66, v66, v163
	ds_read2_b64 v[160:163], v1 offset0:119 offset1:120
	s_waitcnt vmcnt(13)
	v_fma_f32 v3, v154, v52, -v3
	v_fmac_f32_e32 v165, v149, v49
	v_add_f32_e32 v66, v66, v164
	v_add_f32_e32 v2, v2, v3
	v_mul_f32_e32 v3, v157, v38
	v_fmac_f32_e32 v166, v151, v50
	v_add_f32_e32 v66, v66, v165
	s_waitcnt vmcnt(12)
	v_fma_f32 v3, v156, v53, -v3
	v_fmac_f32_e32 v167, v153, v51
	v_add_f32_e32 v66, v66, v166
	v_add_f32_e32 v2, v2, v3
	s_waitcnt vmcnt(11)
	v_mul_f32_e32 v3, v159, v54
	v_fmac_f32_e32 v168, v155, v52
	v_add_f32_e32 v66, v66, v167
	ds_read2_b64 v[164:167], v1 offset0:121 offset1:122
	s_waitcnt vmcnt(10)
	v_fma_f32 v3, v158, v55, -v3
	v_fmac_f32_e32 v169, v157, v53
	v_add_f32_e32 v66, v66, v168
	v_mul_f32_e32 v67, v158, v54
	v_add_f32_e32 v2, v2, v3
	s_waitcnt vmcnt(9) lgkmcnt(1)
	v_mul_f32_e32 v3, v161, v56
	v_add_f32_e32 v66, v66, v169
	v_fmac_f32_e32 v67, v159, v55
	v_mul_f32_e32 v1, v160, v56
	s_waitcnt vmcnt(8)
	v_fma_f32 v3, v160, v57, -v3
	v_add_f32_e32 v66, v66, v67
	v_fmac_f32_e32 v1, v161, v57
	v_add_f32_e32 v2, v2, v3
	s_waitcnt vmcnt(7)
	v_mul_f32_e32 v3, v163, v58
	v_add_f32_e32 v1, v66, v1
	v_mul_f32_e32 v66, v162, v58
	s_waitcnt vmcnt(6)
	v_fma_f32 v3, v162, v59, -v3
	v_fmac_f32_e32 v66, v163, v59
	v_add_f32_e32 v2, v2, v3
	s_waitcnt vmcnt(5) lgkmcnt(0)
	v_mul_f32_e32 v3, v165, v60
	v_add_f32_e32 v1, v1, v66
	v_mul_f32_e32 v66, v164, v60
	s_waitcnt vmcnt(4)
	v_fma_f32 v3, v164, v61, -v3
	v_fmac_f32_e32 v66, v165, v61
	v_add_f32_e32 v2, v2, v3
	s_waitcnt vmcnt(3)
	v_mul_f32_e32 v3, v167, v62
	v_add_f32_e32 v1, v1, v66
	v_mul_f32_e32 v66, v166, v62
	s_waitcnt vmcnt(2)
	v_fma_f32 v3, v166, v63, -v3
	v_fmac_f32_e32 v66, v167, v63
	v_add_f32_e32 v2, v2, v3
	v_add_f32_e32 v1, v1, v66
	s_waitcnt vmcnt(1)
	v_sub_f32_e32 v2, v64, v2
	s_waitcnt vmcnt(0)
	v_sub_f32_e32 v1, v65, v1
	buffer_store_dword v2, off, s[0:3], 0 offset:320
	buffer_store_dword v1, off, s[0:3], 0 offset:324
	s_and_saveexec_b64 s[4:5], vcc
	s_cbranch_execz .LBB60_301
; %bb.300:
	buffer_load_dword v1, off, s[0:3], 0 offset:312
	buffer_load_dword v2, off, s[0:3], 0 offset:316
	v_mov_b32_e32 v3, 0
	buffer_store_dword v3, off, s[0:3], 0 offset:312
	buffer_store_dword v3, off, s[0:3], 0 offset:316
	s_waitcnt vmcnt(2)
	ds_write_b64 v147, v[1:2]
.LBB60_301:
	s_or_b64 exec, exec, s[4:5]
	s_waitcnt lgkmcnt(0)
	; wave barrier
	buffer_load_dword v24, off, s[0:3], 0 offset:324
	buffer_load_dword v27, off, s[0:3], 0 offset:332
	;; [unrolled: 1-line block ×44, first 2 shown]
	v_mov_b32_e32 v1, 0
	ds_read_b128 v[2:5], v1 offset:816
	ds_read_b128 v[6:9], v1 offset:832
	;; [unrolled: 1-line block ×8, first 2 shown]
	v_cmp_lt_u32_e32 vcc, 38, v0
	s_waitcnt vmcnt(43) lgkmcnt(7)
	v_mul_f32_e32 v22, v2, v24
	s_waitcnt vmcnt(42)
	v_mul_f32_e32 v23, v4, v27
	s_waitcnt vmcnt(41) lgkmcnt(6)
	v_mul_f32_e32 v70, v6, v28
	s_waitcnt vmcnt(40)
	v_mul_f32_e32 v160, v8, v29
	;; [unrolled: 4-line block ×7, first 2 shown]
	s_waitcnt vmcnt(29)
	v_fmac_f32_e32 v22, v3, v40
	v_mul_f32_e32 v3, v3, v24
	v_fma_f32 v2, v2, v40, -v3
	v_mul_f32_e32 v3, v5, v27
	v_add_f32_e32 v2, 0, v2
	s_waitcnt vmcnt(28)
	v_fma_f32 v3, v4, v41, -v3
	v_add_f32_e32 v2, v2, v3
	v_mul_f32_e32 v3, v7, v28
	s_waitcnt vmcnt(27)
	v_fma_f32 v3, v6, v42, -v3
	v_add_f32_e32 v2, v2, v3
	v_mul_f32_e32 v3, v9, v29
	;; [unrolled: 4-line block ×6, first 2 shown]
	v_fmac_f32_e32 v23, v5, v41
	v_add_f32_e32 v22, 0, v22
	s_waitcnt vmcnt(22)
	v_fma_f32 v3, v16, v47, -v3
	v_fmac_f32_e32 v70, v7, v42
	v_add_f32_e32 v22, v22, v23
	v_add_f32_e32 v2, v2, v3
	v_mul_f32_e32 v3, v19, v34
	v_fmac_f32_e32 v160, v9, v43
	v_add_f32_e32 v22, v22, v70
	s_waitcnt vmcnt(21)
	v_fma_f32 v3, v18, v48, -v3
	v_fmac_f32_e32 v161, v11, v44
	v_add_f32_e32 v22, v22, v160
	v_add_f32_e32 v2, v2, v3
	v_mul_f32_e32 v3, v21, v35
	v_fmac_f32_e32 v162, v13, v45
	v_add_f32_e32 v22, v22, v161
	s_waitcnt vmcnt(20)
	v_fma_f32 v3, v20, v49, -v3
	v_fmac_f32_e32 v163, v15, v46
	v_add_f32_e32 v22, v22, v162
	v_add_f32_e32 v2, v2, v3
	v_mul_f32_e32 v3, v149, v36
	v_fmac_f32_e32 v164, v17, v47
	v_add_f32_e32 v22, v22, v163
	s_waitcnt vmcnt(19)
	v_fma_f32 v3, v148, v50, -v3
	v_fmac_f32_e32 v165, v19, v48
	v_add_f32_e32 v22, v22, v164
	v_add_f32_e32 v2, v2, v3
	v_mul_f32_e32 v3, v151, v37
	v_fmac_f32_e32 v166, v21, v49
	v_add_f32_e32 v22, v22, v165
	s_waitcnt vmcnt(18)
	v_fma_f32 v3, v150, v51, -v3
	v_fmac_f32_e32 v167, v149, v50
	v_add_f32_e32 v22, v22, v166
	v_add_f32_e32 v2, v2, v3
	v_mul_f32_e32 v3, v153, v38
	v_fmac_f32_e32 v168, v151, v51
	v_add_f32_e32 v22, v22, v167
	s_waitcnt vmcnt(17)
	v_fma_f32 v3, v152, v52, -v3
	v_fmac_f32_e32 v169, v153, v52
	v_add_f32_e32 v22, v22, v168
	ds_read_b128 v[160:163], v1 offset:944
	ds_read_b128 v[164:167], v1 offset:960
	v_add_f32_e32 v2, v2, v3
	v_mul_f32_e32 v3, v155, v39
	v_add_f32_e32 v22, v22, v169
	s_waitcnt vmcnt(16)
	v_fmac_f32_e32 v170, v155, v53
	s_waitcnt vmcnt(15) lgkmcnt(2)
	v_mul_f32_e32 v23, v156, v54
	v_fma_f32 v3, v154, v53, -v3
	v_add_f32_e32 v22, v22, v170
	s_waitcnt vmcnt(14)
	v_fmac_f32_e32 v23, v157, v55
	v_add_f32_e32 v2, v2, v3
	v_mul_f32_e32 v3, v157, v54
	v_add_f32_e32 v22, v22, v23
	s_waitcnt vmcnt(13)
	v_mul_f32_e32 v23, v158, v56
	v_fma_f32 v3, v156, v55, -v3
	s_waitcnt vmcnt(12)
	v_fmac_f32_e32 v23, v159, v57
	v_add_f32_e32 v2, v2, v3
	v_mul_f32_e32 v3, v159, v56
	v_add_f32_e32 v22, v22, v23
	s_waitcnt vmcnt(11) lgkmcnt(1)
	v_mul_f32_e32 v23, v160, v58
	v_fma_f32 v3, v158, v57, -v3
	s_waitcnt vmcnt(10)
	v_fmac_f32_e32 v23, v161, v59
	v_add_f32_e32 v2, v2, v3
	v_mul_f32_e32 v3, v161, v58
	v_add_f32_e32 v22, v22, v23
	s_waitcnt vmcnt(9)
	v_mul_f32_e32 v23, v162, v60
	v_fma_f32 v3, v160, v59, -v3
	s_waitcnt vmcnt(8)
	v_fmac_f32_e32 v23, v163, v61
	v_add_f32_e32 v2, v2, v3
	v_mul_f32_e32 v3, v163, v60
	v_add_f32_e32 v70, v22, v23
	ds_read_b64 v[22:23], v1 offset:976
	v_fma_f32 v3, v162, v61, -v3
	v_add_f32_e32 v2, v2, v3
	s_waitcnt vmcnt(7) lgkmcnt(1)
	v_mul_f32_e32 v3, v165, v62
	v_mul_f32_e32 v168, v164, v62
	s_waitcnt vmcnt(6)
	v_fma_f32 v3, v164, v63, -v3
	v_fmac_f32_e32 v168, v165, v63
	v_add_f32_e32 v2, v2, v3
	s_waitcnt vmcnt(5)
	v_mul_f32_e32 v3, v167, v64
	v_add_f32_e32 v70, v70, v168
	v_mul_f32_e32 v168, v166, v64
	s_waitcnt vmcnt(4)
	v_fma_f32 v3, v166, v65, -v3
	v_fmac_f32_e32 v168, v167, v65
	v_add_f32_e32 v2, v2, v3
	s_waitcnt vmcnt(3) lgkmcnt(0)
	v_mul_f32_e32 v3, v23, v66
	v_add_f32_e32 v70, v70, v168
	v_mul_f32_e32 v168, v22, v66
	s_waitcnt vmcnt(2)
	v_fma_f32 v3, v22, v67, -v3
	v_fmac_f32_e32 v168, v23, v67
	v_add_f32_e32 v2, v2, v3
	v_add_f32_e32 v70, v70, v168
	s_waitcnt vmcnt(1)
	v_sub_f32_e32 v2, v68, v2
	s_waitcnt vmcnt(0)
	v_sub_f32_e32 v3, v69, v70
	buffer_store_dword v2, off, s[0:3], 0 offset:312
	buffer_store_dword v3, off, s[0:3], 0 offset:316
	s_and_saveexec_b64 s[4:5], vcc
	s_cbranch_execz .LBB60_303
; %bb.302:
	buffer_load_dword v2, off, s[0:3], 0 offset:304
	buffer_load_dword v3, off, s[0:3], 0 offset:308
	s_waitcnt vmcnt(0)
	ds_write_b64 v147, v[2:3]
	buffer_store_dword v1, off, s[0:3], 0 offset:304
	buffer_store_dword v1, off, s[0:3], 0 offset:308
.LBB60_303:
	s_or_b64 exec, exec, s[4:5]
	s_waitcnt lgkmcnt(0)
	; wave barrier
	buffer_load_dword v22, off, s[0:3], 0 offset:316
	buffer_load_dword v23, off, s[0:3], 0 offset:324
	;; [unrolled: 1-line block ×46, first 2 shown]
	ds_read2_b64 v[2:5], v1 offset0:101 offset1:102
	ds_read2_b64 v[6:9], v1 offset0:103 offset1:104
	;; [unrolled: 1-line block ×8, first 2 shown]
	v_cmp_lt_u32_e32 vcc, 37, v0
	s_waitcnt vmcnt(45) lgkmcnt(7)
	v_mul_f32_e32 v70, v2, v22
	s_waitcnt vmcnt(44)
	v_mul_f32_e32 v160, v4, v23
	s_waitcnt vmcnt(43) lgkmcnt(6)
	v_mul_f32_e32 v161, v6, v24
	s_waitcnt vmcnt(42)
	v_mul_f32_e32 v162, v8, v27
	;; [unrolled: 4-line block ×6, first 2 shown]
	s_waitcnt vmcnt(33) lgkmcnt(1)
	v_mul_f32_e32 v171, v152, v36
	s_waitcnt vmcnt(32)
	v_fmac_f32_e32 v70, v3, v37
	v_mul_f32_e32 v3, v3, v22
	v_fma_f32 v2, v2, v37, -v3
	v_mul_f32_e32 v3, v5, v23
	v_add_f32_e32 v2, 0, v2
	s_waitcnt vmcnt(31)
	v_fma_f32 v3, v4, v38, -v3
	v_add_f32_e32 v2, v2, v3
	v_mul_f32_e32 v3, v7, v24
	s_waitcnt vmcnt(30)
	v_fma_f32 v3, v6, v39, -v3
	v_add_f32_e32 v2, v2, v3
	v_mul_f32_e32 v3, v9, v27
	;; [unrolled: 4-line block ×4, first 2 shown]
	v_fmac_f32_e32 v160, v5, v38
	v_add_f32_e32 v70, 0, v70
	s_waitcnt vmcnt(27)
	v_fma_f32 v3, v12, v42, -v3
	v_fmac_f32_e32 v161, v7, v39
	v_add_f32_e32 v70, v70, v160
	v_add_f32_e32 v2, v2, v3
	v_mul_f32_e32 v3, v15, v30
	v_fmac_f32_e32 v162, v9, v40
	v_add_f32_e32 v70, v70, v161
	s_waitcnt vmcnt(26)
	v_fma_f32 v3, v14, v43, -v3
	v_fmac_f32_e32 v163, v11, v41
	v_add_f32_e32 v70, v70, v162
	v_add_f32_e32 v2, v2, v3
	v_mul_f32_e32 v3, v17, v31
	v_fmac_f32_e32 v164, v13, v42
	v_add_f32_e32 v70, v70, v163
	s_waitcnt vmcnt(25)
	v_fma_f32 v3, v16, v44, -v3
	v_fmac_f32_e32 v165, v15, v43
	v_add_f32_e32 v70, v70, v164
	v_add_f32_e32 v2, v2, v3
	v_mul_f32_e32 v3, v19, v32
	v_fmac_f32_e32 v166, v17, v44
	v_add_f32_e32 v70, v70, v165
	s_waitcnt vmcnt(24)
	v_fma_f32 v3, v18, v45, -v3
	v_fmac_f32_e32 v167, v19, v45
	v_add_f32_e32 v70, v70, v166
	v_add_f32_e32 v2, v2, v3
	v_mul_f32_e32 v3, v21, v33
	s_waitcnt vmcnt(23)
	v_fmac_f32_e32 v168, v21, v46
	v_add_f32_e32 v70, v70, v167
	v_fma_f32 v3, v20, v46, -v3
	s_waitcnt vmcnt(22)
	v_fmac_f32_e32 v169, v149, v47
	v_add_f32_e32 v70, v70, v168
	v_add_f32_e32 v2, v2, v3
	v_mul_f32_e32 v3, v149, v34
	s_waitcnt vmcnt(21)
	v_fmac_f32_e32 v170, v151, v48
	v_add_f32_e32 v70, v70, v169
	v_fma_f32 v3, v148, v47, -v3
	s_waitcnt vmcnt(20)
	v_fmac_f32_e32 v171, v153, v49
	v_add_f32_e32 v70, v70, v170
	s_waitcnt vmcnt(19)
	v_mul_f32_e32 v160, v154, v50
	v_add_f32_e32 v2, v2, v3
	v_mul_f32_e32 v3, v151, v35
	v_add_f32_e32 v70, v70, v171
	s_waitcnt vmcnt(18)
	v_fmac_f32_e32 v160, v155, v51
	v_fma_f32 v3, v150, v48, -v3
	v_add_f32_e32 v70, v70, v160
	s_waitcnt vmcnt(17) lgkmcnt(0)
	v_mul_f32_e32 v160, v156, v52
	v_add_f32_e32 v2, v2, v3
	v_mul_f32_e32 v3, v153, v36
	s_waitcnt vmcnt(16)
	v_fmac_f32_e32 v160, v157, v53
	v_fma_f32 v3, v152, v49, -v3
	v_add_f32_e32 v70, v70, v160
	ds_read2_b64 v[160:163], v1 offset0:117 offset1:118
	v_add_f32_e32 v2, v2, v3
	v_mul_f32_e32 v3, v155, v50
	v_fma_f32 v3, v154, v51, -v3
	v_add_f32_e32 v2, v2, v3
	v_mul_f32_e32 v3, v157, v52
	s_waitcnt vmcnt(15)
	v_mul_f32_e32 v164, v158, v54
	v_fma_f32 v3, v156, v53, -v3
	s_waitcnt vmcnt(14)
	v_fmac_f32_e32 v164, v159, v55
	v_add_f32_e32 v2, v2, v3
	v_mul_f32_e32 v3, v159, v54
	v_add_f32_e32 v70, v70, v164
	ds_read2_b64 v[164:167], v1 offset0:119 offset1:120
	s_waitcnt vmcnt(13) lgkmcnt(1)
	v_mul_f32_e32 v168, v160, v56
	v_fma_f32 v3, v158, v55, -v3
	s_waitcnt vmcnt(12)
	v_fmac_f32_e32 v168, v161, v57
	v_add_f32_e32 v2, v2, v3
	v_mul_f32_e32 v3, v161, v56
	v_add_f32_e32 v70, v70, v168
	s_waitcnt vmcnt(11)
	v_mul_f32_e32 v168, v162, v58
	v_fma_f32 v3, v160, v57, -v3
	s_waitcnt vmcnt(10)
	v_fmac_f32_e32 v168, v163, v59
	v_add_f32_e32 v2, v2, v3
	v_mul_f32_e32 v3, v163, v58
	v_add_f32_e32 v70, v70, v168
	ds_read2_b64 v[168:171], v1 offset0:121 offset1:122
	v_fma_f32 v3, v162, v59, -v3
	v_add_f32_e32 v2, v2, v3
	s_waitcnt vmcnt(9) lgkmcnt(1)
	v_mul_f32_e32 v3, v165, v60
	v_mul_f32_e32 v172, v164, v60
	s_waitcnt vmcnt(8)
	v_fma_f32 v3, v164, v61, -v3
	v_fmac_f32_e32 v172, v165, v61
	v_add_f32_e32 v2, v2, v3
	s_waitcnt vmcnt(7)
	v_mul_f32_e32 v3, v167, v62
	v_add_f32_e32 v1, v70, v172
	v_mul_f32_e32 v70, v166, v62
	s_waitcnt vmcnt(6)
	v_fma_f32 v3, v166, v63, -v3
	v_fmac_f32_e32 v70, v167, v63
	v_add_f32_e32 v2, v2, v3
	s_waitcnt vmcnt(5) lgkmcnt(0)
	v_mul_f32_e32 v3, v169, v64
	v_add_f32_e32 v1, v1, v70
	v_mul_f32_e32 v70, v168, v64
	s_waitcnt vmcnt(4)
	v_fma_f32 v3, v168, v65, -v3
	v_fmac_f32_e32 v70, v169, v65
	v_add_f32_e32 v2, v2, v3
	s_waitcnt vmcnt(3)
	v_mul_f32_e32 v3, v171, v66
	v_add_f32_e32 v1, v1, v70
	v_mul_f32_e32 v70, v170, v66
	s_waitcnt vmcnt(2)
	v_fma_f32 v3, v170, v67, -v3
	v_fmac_f32_e32 v70, v171, v67
	v_add_f32_e32 v2, v2, v3
	v_add_f32_e32 v1, v1, v70
	s_waitcnt vmcnt(1)
	v_sub_f32_e32 v2, v68, v2
	s_waitcnt vmcnt(0)
	v_sub_f32_e32 v1, v69, v1
	buffer_store_dword v2, off, s[0:3], 0 offset:304
	buffer_store_dword v1, off, s[0:3], 0 offset:308
	s_and_saveexec_b64 s[4:5], vcc
	s_cbranch_execz .LBB60_305
; %bb.304:
	buffer_load_dword v1, off, s[0:3], 0 offset:296
	buffer_load_dword v2, off, s[0:3], 0 offset:300
	v_mov_b32_e32 v3, 0
	buffer_store_dword v3, off, s[0:3], 0 offset:296
	buffer_store_dword v3, off, s[0:3], 0 offset:300
	s_waitcnt vmcnt(2)
	ds_write_b64 v147, v[1:2]
.LBB60_305:
	s_or_b64 exec, exec, s[4:5]
	s_waitcnt lgkmcnt(0)
	; wave barrier
	buffer_load_dword v24, off, s[0:3], 0 offset:308
	buffer_load_dword v27, off, s[0:3], 0 offset:316
	;; [unrolled: 1-line block ×48, first 2 shown]
	v_mov_b32_e32 v1, 0
	ds_read_b128 v[2:5], v1 offset:800
	ds_read_b128 v[6:9], v1 offset:816
	;; [unrolled: 1-line block ×7, first 2 shown]
	v_cmp_lt_u32_e32 vcc, 36, v0
	ds_read_b128 v[168:171], v1 offset:960
	s_waitcnt vmcnt(47) lgkmcnt(7)
	v_mul_f32_e32 v22, v2, v24
	s_waitcnt vmcnt(46)
	v_mul_f32_e32 v23, v4, v27
	s_waitcnt vmcnt(45) lgkmcnt(6)
	v_mul_f32_e32 v156, v6, v28
	s_waitcnt vmcnt(44)
	v_mul_f32_e32 v157, v8, v29
	;; [unrolled: 4-line block ×6, first 2 shown]
	s_waitcnt vmcnt(35)
	v_fmac_f32_e32 v22, v3, v38
	v_mul_f32_e32 v3, v3, v24
	v_fma_f32 v2, v2, v38, -v3
	v_mul_f32_e32 v3, v5, v27
	v_add_f32_e32 v2, 0, v2
	s_waitcnt vmcnt(34)
	v_fma_f32 v3, v4, v39, -v3
	v_add_f32_e32 v2, v2, v3
	v_mul_f32_e32 v3, v7, v28
	s_waitcnt vmcnt(33)
	v_fma_f32 v3, v6, v40, -v3
	v_add_f32_e32 v2, v2, v3
	v_mul_f32_e32 v3, v9, v29
	;; [unrolled: 4-line block ×5, first 2 shown]
	v_fmac_f32_e32 v23, v5, v39
	v_add_f32_e32 v22, 0, v22
	s_waitcnt vmcnt(29)
	v_fma_f32 v3, v14, v44, -v3
	v_fmac_f32_e32 v156, v7, v40
	v_add_f32_e32 v22, v22, v23
	v_add_f32_e32 v2, v2, v3
	v_mul_f32_e32 v3, v17, v33
	v_fmac_f32_e32 v157, v9, v41
	v_add_f32_e32 v22, v22, v156
	s_waitcnt vmcnt(28)
	v_fma_f32 v3, v16, v45, -v3
	v_fmac_f32_e32 v158, v11, v42
	v_add_f32_e32 v22, v22, v157
	v_add_f32_e32 v2, v2, v3
	v_mul_f32_e32 v3, v19, v34
	;; [unrolled: 8-line block ×4, first 2 shown]
	v_fmac_f32_e32 v163, v21, v47
	v_add_f32_e32 v22, v22, v162
	s_waitcnt vmcnt(25)
	v_fma_f32 v3, v148, v48, -v3
	v_fmac_f32_e32 v164, v149, v48
	v_add_f32_e32 v22, v22, v163
	ds_read_b128 v[156:159], v1 offset:912
	ds_read_b128 v[160:163], v1 offset:928
	v_add_f32_e32 v2, v2, v3
	v_mul_f32_e32 v3, v151, v37
	s_waitcnt vmcnt(24)
	v_fmac_f32_e32 v165, v151, v49
	v_add_f32_e32 v22, v22, v164
	s_waitcnt vmcnt(23) lgkmcnt(3)
	v_mul_f32_e32 v23, v152, v50
	v_fma_f32 v3, v150, v49, -v3
	v_add_f32_e32 v22, v22, v165
	s_waitcnt vmcnt(22)
	v_fmac_f32_e32 v23, v153, v51
	v_add_f32_e32 v2, v2, v3
	v_mul_f32_e32 v3, v153, v50
	v_add_f32_e32 v22, v22, v23
	s_waitcnt vmcnt(21)
	v_mul_f32_e32 v23, v154, v52
	v_fma_f32 v3, v152, v51, -v3
	s_waitcnt vmcnt(20)
	v_fmac_f32_e32 v23, v155, v53
	v_add_f32_e32 v2, v2, v3
	v_mul_f32_e32 v3, v155, v52
	v_add_f32_e32 v22, v22, v23
	s_waitcnt vmcnt(19) lgkmcnt(1)
	v_mul_f32_e32 v23, v156, v54
	v_fma_f32 v3, v154, v53, -v3
	s_waitcnt vmcnt(18)
	v_fmac_f32_e32 v23, v157, v55
	v_add_f32_e32 v2, v2, v3
	v_mul_f32_e32 v3, v157, v54
	v_add_f32_e32 v22, v22, v23
	s_waitcnt vmcnt(17)
	v_mul_f32_e32 v23, v158, v56
	v_fma_f32 v3, v156, v55, -v3
	s_waitcnt vmcnt(16)
	v_fmac_f32_e32 v23, v159, v57
	ds_read_b128 v[164:167], v1 offset:944
	v_add_f32_e32 v2, v2, v3
	v_mul_f32_e32 v3, v159, v56
	v_add_f32_e32 v22, v22, v23
	s_waitcnt vmcnt(15) lgkmcnt(1)
	v_mul_f32_e32 v23, v160, v58
	v_fma_f32 v3, v158, v57, -v3
	s_waitcnt vmcnt(14)
	v_fmac_f32_e32 v23, v161, v59
	v_add_f32_e32 v2, v2, v3
	v_mul_f32_e32 v3, v161, v58
	v_add_f32_e32 v22, v22, v23
	s_waitcnt vmcnt(13)
	v_mul_f32_e32 v23, v162, v60
	v_fma_f32 v3, v160, v59, -v3
	s_waitcnt vmcnt(12)
	v_fmac_f32_e32 v23, v163, v61
	v_add_f32_e32 v2, v2, v3
	v_mul_f32_e32 v3, v163, v60
	v_add_f32_e32 v22, v22, v23
	s_waitcnt vmcnt(11) lgkmcnt(0)
	v_mul_f32_e32 v23, v164, v62
	v_fma_f32 v3, v162, v61, -v3
	s_waitcnt vmcnt(10)
	v_fmac_f32_e32 v23, v165, v63
	v_add_f32_e32 v2, v2, v3
	v_mul_f32_e32 v3, v165, v62
	v_add_f32_e32 v22, v22, v23
	s_waitcnt vmcnt(9)
	v_mul_f32_e32 v23, v166, v64
	v_fma_f32 v3, v164, v63, -v3
	s_waitcnt vmcnt(8)
	v_fmac_f32_e32 v23, v167, v65
	v_add_f32_e32 v2, v2, v3
	v_mul_f32_e32 v3, v167, v64
	v_add_f32_e32 v175, v22, v23
	ds_read_b64 v[22:23], v1 offset:976
	v_fma_f32 v3, v166, v65, -v3
	v_add_f32_e32 v2, v2, v3
	s_waitcnt vmcnt(6)
	v_mul_f32_e32 v3, v169, v67
	v_mul_f32_e32 v176, v168, v67
	v_fma_f32 v3, v168, v66, -v3
	v_fmac_f32_e32 v176, v169, v66
	v_add_f32_e32 v2, v2, v3
	s_waitcnt vmcnt(3)
	v_mul_f32_e32 v3, v171, v70
	v_add_f32_e32 v175, v175, v176
	v_mul_f32_e32 v176, v170, v70
	s_waitcnt vmcnt(2)
	v_fma_f32 v3, v170, v172, -v3
	v_fmac_f32_e32 v176, v171, v172
	v_add_f32_e32 v2, v2, v3
	s_waitcnt vmcnt(0) lgkmcnt(0)
	v_mul_f32_e32 v3, v23, v174
	v_add_f32_e32 v175, v175, v176
	v_mul_f32_e32 v176, v22, v174
	v_fma_f32 v3, v22, v173, -v3
	v_fmac_f32_e32 v176, v23, v173
	v_add_f32_e32 v2, v2, v3
	v_add_f32_e32 v175, v175, v176
	v_sub_f32_e32 v2, v68, v2
	v_sub_f32_e32 v3, v69, v175
	buffer_store_dword v2, off, s[0:3], 0 offset:296
	buffer_store_dword v3, off, s[0:3], 0 offset:300
	s_and_saveexec_b64 s[4:5], vcc
	s_cbranch_execz .LBB60_307
; %bb.306:
	buffer_load_dword v2, off, s[0:3], 0 offset:288
	buffer_load_dword v3, off, s[0:3], 0 offset:292
	s_waitcnt vmcnt(0)
	ds_write_b64 v147, v[2:3]
	buffer_store_dword v1, off, s[0:3], 0 offset:288
	buffer_store_dword v1, off, s[0:3], 0 offset:292
.LBB60_307:
	s_or_b64 exec, exec, s[4:5]
	s_waitcnt lgkmcnt(0)
	; wave barrier
	buffer_load_dword v22, off, s[0:3], 0 offset:300
	buffer_load_dword v23, off, s[0:3], 0 offset:308
	;; [unrolled: 1-line block ×48, first 2 shown]
	ds_read2_b64 v[2:5], v1 offset0:99 offset1:100
	ds_read2_b64 v[6:9], v1 offset0:101 offset1:102
	buffer_load_dword v177, off, s[0:3], 0 offset:480
	buffer_load_dword v178, off, s[0:3], 0 offset:484
	ds_read2_b64 v[10:13], v1 offset0:103 offset1:104
	ds_read2_b64 v[14:17], v1 offset0:105 offset1:106
	;; [unrolled: 1-line block ×5, first 2 shown]
	v_cmp_lt_u32_e32 vcc, 35, v0
	s_waitcnt vmcnt(49) lgkmcnt(6)
	v_mul_f32_e32 v156, v2, v22
	s_waitcnt vmcnt(48)
	v_mul_f32_e32 v157, v4, v23
	s_waitcnt vmcnt(47) lgkmcnt(5)
	v_mul_f32_e32 v158, v6, v24
	s_waitcnt vmcnt(46)
	v_mul_f32_e32 v159, v8, v27
	;; [unrolled: 4-line block ×6, first 2 shown]
	s_waitcnt vmcnt(37)
	v_fmac_f32_e32 v156, v3, v36
	v_mul_f32_e32 v3, v3, v22
	v_fma_f32 v2, v2, v36, -v3
	v_mul_f32_e32 v3, v5, v23
	v_add_f32_e32 v2, 0, v2
	s_waitcnt vmcnt(36)
	v_fma_f32 v3, v4, v37, -v3
	v_add_f32_e32 v2, v2, v3
	v_mul_f32_e32 v3, v7, v24
	s_waitcnt vmcnt(35)
	v_fma_f32 v3, v6, v38, -v3
	v_fmac_f32_e32 v157, v5, v37
	v_add_f32_e32 v156, 0, v156
	v_add_f32_e32 v2, v2, v3
	v_mul_f32_e32 v3, v9, v27
	v_fmac_f32_e32 v158, v7, v38
	v_add_f32_e32 v156, v156, v157
	s_waitcnt vmcnt(34)
	v_fma_f32 v3, v8, v39, -v3
	v_fmac_f32_e32 v159, v9, v39
	v_add_f32_e32 v156, v156, v158
	v_add_f32_e32 v2, v2, v3
	v_mul_f32_e32 v3, v11, v28
	s_waitcnt vmcnt(33)
	v_fmac_f32_e32 v160, v11, v40
	v_add_f32_e32 v156, v156, v159
	v_fma_f32 v3, v10, v40, -v3
	s_waitcnt vmcnt(32)
	v_fmac_f32_e32 v161, v13, v41
	v_add_f32_e32 v156, v156, v160
	v_add_f32_e32 v2, v2, v3
	v_mul_f32_e32 v3, v13, v29
	s_waitcnt vmcnt(31)
	v_fmac_f32_e32 v162, v15, v42
	v_add_f32_e32 v156, v156, v161
	v_fma_f32 v3, v12, v41, -v3
	s_waitcnt vmcnt(30)
	;; [unrolled: 9-line block ×3, first 2 shown]
	v_fmac_f32_e32 v165, v21, v45
	v_add_f32_e32 v156, v156, v164
	v_add_f32_e32 v2, v2, v3
	v_mul_f32_e32 v3, v17, v31
	s_waitcnt vmcnt(27)
	v_fmac_f32_e32 v166, v149, v46
	v_add_f32_e32 v156, v156, v165
	v_fma_f32 v3, v16, v43, -v3
	v_add_f32_e32 v156, v156, v166
	s_waitcnt vmcnt(26)
	v_fmac_f32_e32 v167, v151, v47
	v_add_f32_e32 v2, v2, v3
	v_mul_f32_e32 v3, v19, v32
	v_add_f32_e32 v160, v156, v167
	ds_read2_b64 v[156:159], v1 offset0:113 offset1:114
	v_fma_f32 v3, v18, v44, -v3
	s_waitcnt vmcnt(25) lgkmcnt(1)
	v_mul_f32_e32 v161, v152, v48
	v_add_f32_e32 v2, v2, v3
	v_mul_f32_e32 v3, v21, v33
	s_waitcnt vmcnt(24)
	v_fmac_f32_e32 v161, v153, v49
	v_fma_f32 v3, v20, v45, -v3
	v_add_f32_e32 v160, v160, v161
	s_waitcnt vmcnt(23)
	v_mul_f32_e32 v161, v154, v50
	v_add_f32_e32 v2, v2, v3
	v_mul_f32_e32 v3, v149, v34
	s_waitcnt vmcnt(22)
	v_fmac_f32_e32 v161, v155, v51
	v_fma_f32 v3, v148, v46, -v3
	v_add_f32_e32 v160, v160, v161
	s_waitcnt vmcnt(21) lgkmcnt(0)
	v_mul_f32_e32 v161, v156, v52
	v_add_f32_e32 v2, v2, v3
	v_mul_f32_e32 v3, v151, v35
	s_waitcnt vmcnt(20)
	v_fmac_f32_e32 v161, v157, v53
	v_fma_f32 v3, v150, v47, -v3
	v_add_f32_e32 v164, v160, v161
	ds_read2_b64 v[160:163], v1 offset0:115 offset1:116
	v_add_f32_e32 v2, v2, v3
	v_mul_f32_e32 v3, v153, v48
	v_fma_f32 v3, v152, v49, -v3
	s_waitcnt vmcnt(19)
	v_mul_f32_e32 v165, v158, v54
	v_add_f32_e32 v2, v2, v3
	v_mul_f32_e32 v3, v155, v50
	s_waitcnt vmcnt(18)
	v_fmac_f32_e32 v165, v159, v55
	v_fma_f32 v3, v154, v51, -v3
	v_add_f32_e32 v168, v164, v165
	ds_read2_b64 v[164:167], v1 offset0:117 offset1:118
	v_add_f32_e32 v2, v2, v3
	v_mul_f32_e32 v3, v157, v52
	s_waitcnt vmcnt(17) lgkmcnt(1)
	v_mul_f32_e32 v169, v160, v56
	v_fma_f32 v3, v156, v53, -v3
	s_waitcnt vmcnt(16)
	v_fmac_f32_e32 v169, v161, v57
	v_add_f32_e32 v2, v2, v3
	v_mul_f32_e32 v3, v159, v54
	v_add_f32_e32 v168, v168, v169
	s_waitcnt vmcnt(15)
	v_mul_f32_e32 v169, v162, v58
	v_fma_f32 v3, v158, v55, -v3
	s_waitcnt vmcnt(14)
	v_fmac_f32_e32 v169, v163, v59
	v_add_f32_e32 v2, v2, v3
	v_mul_f32_e32 v3, v161, v56
	v_add_f32_e32 v168, v168, v169
	s_waitcnt vmcnt(13) lgkmcnt(0)
	v_mul_f32_e32 v169, v164, v60
	v_fma_f32 v3, v160, v57, -v3
	s_waitcnt vmcnt(12)
	v_fmac_f32_e32 v169, v165, v61
	v_add_f32_e32 v2, v2, v3
	v_mul_f32_e32 v3, v163, v58
	v_add_f32_e32 v172, v168, v169
	ds_read2_b64 v[168:171], v1 offset0:119 offset1:120
	v_fma_f32 v3, v162, v59, -v3
	v_add_f32_e32 v2, v2, v3
	v_mul_f32_e32 v3, v165, v60
	s_waitcnt vmcnt(11)
	v_mul_f32_e32 v173, v166, v62
	v_fma_f32 v3, v164, v61, -v3
	s_waitcnt vmcnt(10)
	v_fmac_f32_e32 v173, v167, v63
	v_add_f32_e32 v2, v2, v3
	v_mul_f32_e32 v3, v167, v62
	v_add_f32_e32 v179, v172, v173
	ds_read2_b64 v[172:175], v1 offset0:121 offset1:122
	v_fma_f32 v3, v166, v63, -v3
	v_add_f32_e32 v2, v2, v3
	s_waitcnt vmcnt(7) lgkmcnt(1)
	v_mul_f32_e32 v3, v169, v66
	v_mul_f32_e32 v1, v168, v66
	s_waitcnt vmcnt(6)
	v_fma_f32 v3, v168, v67, -v3
	v_fmac_f32_e32 v1, v169, v67
	v_add_f32_e32 v2, v2, v3
	s_waitcnt vmcnt(4)
	v_mul_f32_e32 v3, v171, v69
	v_add_f32_e32 v1, v179, v1
	v_mul_f32_e32 v179, v170, v69
	v_fma_f32 v3, v170, v68, -v3
	v_fmac_f32_e32 v179, v171, v68
	v_add_f32_e32 v2, v2, v3
	s_waitcnt vmcnt(2) lgkmcnt(0)
	v_mul_f32_e32 v3, v173, v176
	v_add_f32_e32 v1, v1, v179
	v_mul_f32_e32 v179, v172, v176
	v_fma_f32 v3, v172, v70, -v3
	v_fmac_f32_e32 v179, v173, v70
	v_add_f32_e32 v2, v2, v3
	s_waitcnt vmcnt(0)
	v_mul_f32_e32 v3, v175, v178
	v_add_f32_e32 v1, v1, v179
	v_mul_f32_e32 v179, v174, v178
	v_fma_f32 v3, v174, v177, -v3
	v_fmac_f32_e32 v179, v175, v177
	v_add_f32_e32 v2, v2, v3
	v_add_f32_e32 v1, v1, v179
	v_sub_f32_e32 v2, v64, v2
	v_sub_f32_e32 v1, v65, v1
	buffer_store_dword v2, off, s[0:3], 0 offset:288
	buffer_store_dword v1, off, s[0:3], 0 offset:292
	s_and_saveexec_b64 s[4:5], vcc
	s_cbranch_execz .LBB60_309
; %bb.308:
	buffer_load_dword v1, off, s[0:3], 0 offset:280
	buffer_load_dword v2, off, s[0:3], 0 offset:284
	v_mov_b32_e32 v3, 0
	buffer_store_dword v3, off, s[0:3], 0 offset:280
	buffer_store_dword v3, off, s[0:3], 0 offset:284
	s_waitcnt vmcnt(2)
	ds_write_b64 v147, v[1:2]
.LBB60_309:
	s_or_b64 exec, exec, s[4:5]
	s_waitcnt lgkmcnt(0)
	; wave barrier
	buffer_load_dword v24, off, s[0:3], 0 offset:292
	buffer_load_dword v27, off, s[0:3], 0 offset:300
	;; [unrolled: 1-line block ×52, first 2 shown]
	v_mov_b32_e32 v1, 0
	ds_read_b128 v[2:5], v1 offset:784
	ds_read_b128 v[6:9], v1 offset:800
	;; [unrolled: 1-line block ×8, first 2 shown]
	v_cmp_lt_u32_e32 vcc, 34, v0
	ds_read_b128 v[164:167], v1 offset:928
	s_waitcnt vmcnt(51) lgkmcnt(8)
	v_mul_f32_e32 v22, v2, v24
	s_waitcnt vmcnt(50)
	v_mul_f32_e32 v23, v4, v27
	s_waitcnt vmcnt(49) lgkmcnt(7)
	v_mul_f32_e32 v152, v6, v28
	s_waitcnt vmcnt(48)
	v_mul_f32_e32 v153, v8, v29
	;; [unrolled: 4-line block ×5, first 2 shown]
	s_waitcnt vmcnt(41) lgkmcnt(3)
	v_mul_f32_e32 v160, v148, v36
	s_waitcnt vmcnt(40)
	v_fmac_f32_e32 v22, v3, v37
	v_mul_f32_e32 v3, v3, v24
	v_fma_f32 v2, v2, v37, -v3
	v_mul_f32_e32 v3, v5, v27
	v_add_f32_e32 v2, 0, v2
	s_waitcnt vmcnt(39)
	v_fma_f32 v3, v4, v38, -v3
	v_add_f32_e32 v2, v2, v3
	v_mul_f32_e32 v3, v7, v28
	s_waitcnt vmcnt(38)
	v_fma_f32 v3, v6, v39, -v3
	v_add_f32_e32 v2, v2, v3
	v_mul_f32_e32 v3, v9, v29
	;; [unrolled: 4-line block ×4, first 2 shown]
	s_waitcnt vmcnt(35)
	v_fma_f32 v3, v12, v42, -v3
	v_fmac_f32_e32 v23, v5, v38
	v_add_f32_e32 v22, 0, v22
	v_add_f32_e32 v2, v2, v3
	v_mul_f32_e32 v3, v15, v32
	v_fmac_f32_e32 v152, v7, v39
	v_add_f32_e32 v22, v22, v23
	s_waitcnt vmcnt(34)
	v_fma_f32 v3, v14, v43, -v3
	v_fmac_f32_e32 v153, v9, v40
	v_add_f32_e32 v22, v22, v152
	v_add_f32_e32 v2, v2, v3
	v_mul_f32_e32 v3, v17, v33
	v_fmac_f32_e32 v154, v11, v41
	v_add_f32_e32 v22, v22, v153
	;; [unrolled: 8-line block ×3, first 2 shown]
	s_waitcnt vmcnt(32)
	v_fma_f32 v3, v18, v45, -v3
	v_fmac_f32_e32 v157, v17, v44
	v_add_f32_e32 v22, v22, v156
	ds_read_b128 v[152:155], v1 offset:880
	v_add_f32_e32 v2, v2, v3
	v_mul_f32_e32 v3, v21, v35
	v_fmac_f32_e32 v158, v19, v45
	v_add_f32_e32 v22, v22, v157
	s_waitcnt vmcnt(31)
	v_fma_f32 v3, v20, v46, -v3
	v_fmac_f32_e32 v159, v21, v46
	v_add_f32_e32 v22, v22, v158
	v_add_f32_e32 v2, v2, v3
	v_mul_f32_e32 v3, v149, v36
	v_add_f32_e32 v22, v22, v159
	s_waitcnt vmcnt(30)
	v_fmac_f32_e32 v160, v149, v47
	s_waitcnt vmcnt(29)
	v_mul_f32_e32 v23, v150, v48
	v_fma_f32 v3, v148, v47, -v3
	v_add_f32_e32 v22, v22, v160
	s_waitcnt vmcnt(28)
	v_fmac_f32_e32 v23, v151, v49
	ds_read_b128 v[156:159], v1 offset:896
	v_add_f32_e32 v2, v2, v3
	v_mul_f32_e32 v3, v151, v48
	v_add_f32_e32 v22, v22, v23
	s_waitcnt vmcnt(27) lgkmcnt(1)
	v_mul_f32_e32 v23, v152, v50
	v_fma_f32 v3, v150, v49, -v3
	s_waitcnt vmcnt(26)
	v_fmac_f32_e32 v23, v153, v51
	v_add_f32_e32 v2, v2, v3
	v_mul_f32_e32 v3, v153, v50
	v_add_f32_e32 v22, v22, v23
	s_waitcnt vmcnt(25)
	v_mul_f32_e32 v23, v154, v52
	v_fma_f32 v3, v152, v51, -v3
	s_waitcnt vmcnt(24)
	v_fmac_f32_e32 v23, v155, v53
	ds_read_b128 v[160:163], v1 offset:912
	v_add_f32_e32 v2, v2, v3
	v_mul_f32_e32 v3, v155, v52
	v_add_f32_e32 v22, v22, v23
	s_waitcnt vmcnt(23) lgkmcnt(1)
	v_mul_f32_e32 v23, v156, v54
	v_fma_f32 v3, v154, v53, -v3
	s_waitcnt vmcnt(22)
	v_fmac_f32_e32 v23, v157, v55
	v_add_f32_e32 v2, v2, v3
	v_mul_f32_e32 v3, v157, v54
	v_add_f32_e32 v22, v22, v23
	s_waitcnt vmcnt(21)
	v_mul_f32_e32 v23, v158, v56
	v_fma_f32 v3, v156, v55, -v3
	s_waitcnt vmcnt(20)
	v_fmac_f32_e32 v23, v159, v57
	v_add_f32_e32 v2, v2, v3
	v_mul_f32_e32 v3, v159, v56
	v_add_f32_e32 v22, v22, v23
	s_waitcnt vmcnt(19) lgkmcnt(0)
	v_mul_f32_e32 v23, v160, v58
	v_fma_f32 v3, v158, v57, -v3
	s_waitcnt vmcnt(18)
	v_fmac_f32_e32 v23, v161, v59
	v_add_f32_e32 v2, v2, v3
	v_mul_f32_e32 v3, v161, v58
	v_add_f32_e32 v22, v22, v23
	s_waitcnt vmcnt(17)
	v_mul_f32_e32 v23, v162, v60
	v_fma_f32 v3, v160, v59, -v3
	s_waitcnt vmcnt(16)
	v_fmac_f32_e32 v23, v163, v61
	v_add_f32_e32 v2, v2, v3
	v_mul_f32_e32 v3, v163, v60
	v_add_f32_e32 v22, v22, v23
	s_waitcnt vmcnt(14)
	v_mul_f32_e32 v23, v164, v63
	v_fma_f32 v3, v162, v61, -v3
	v_fmac_f32_e32 v23, v165, v62
	v_add_f32_e32 v2, v2, v3
	v_mul_f32_e32 v3, v165, v63
	v_add_f32_e32 v22, v22, v23
	s_waitcnt vmcnt(11)
	v_mul_f32_e32 v23, v166, v66
	v_fma_f32 v3, v164, v62, -v3
	s_waitcnt vmcnt(10)
	v_fmac_f32_e32 v23, v167, v67
	v_add_f32_e32 v2, v2, v3
	v_mul_f32_e32 v3, v167, v66
	v_add_f32_e32 v22, v22, v23
	s_waitcnt vmcnt(8)
	v_mul_f32_e32 v23, v168, v69
	v_fma_f32 v3, v166, v67, -v3
	v_fmac_f32_e32 v23, v169, v68
	v_add_f32_e32 v2, v2, v3
	v_mul_f32_e32 v3, v169, v69
	v_add_f32_e32 v22, v22, v23
	s_waitcnt vmcnt(6)
	v_mul_f32_e32 v23, v170, v176
	v_fma_f32 v3, v168, v68, -v3
	v_fmac_f32_e32 v23, v171, v70
	v_add_f32_e32 v2, v2, v3
	v_mul_f32_e32 v3, v171, v176
	v_add_f32_e32 v183, v22, v23
	ds_read_b64 v[22:23], v1 offset:976
	v_fma_f32 v3, v170, v70, -v3
	v_add_f32_e32 v2, v2, v3
	s_waitcnt vmcnt(4)
	v_mul_f32_e32 v3, v173, v178
	v_mul_f32_e32 v184, v172, v178
	v_fma_f32 v3, v172, v177, -v3
	v_fmac_f32_e32 v184, v173, v177
	v_add_f32_e32 v2, v2, v3
	s_waitcnt vmcnt(2)
	v_mul_f32_e32 v3, v175, v180
	v_add_f32_e32 v183, v183, v184
	v_mul_f32_e32 v184, v174, v180
	v_fma_f32 v3, v174, v179, -v3
	v_fmac_f32_e32 v184, v175, v179
	v_add_f32_e32 v2, v2, v3
	s_waitcnt vmcnt(0) lgkmcnt(0)
	v_mul_f32_e32 v3, v23, v182
	v_add_f32_e32 v183, v183, v184
	v_mul_f32_e32 v184, v22, v182
	v_fma_f32 v3, v22, v181, -v3
	v_fmac_f32_e32 v184, v23, v181
	v_add_f32_e32 v2, v2, v3
	v_add_f32_e32 v183, v183, v184
	v_sub_f32_e32 v2, v64, v2
	v_sub_f32_e32 v3, v65, v183
	buffer_store_dword v2, off, s[0:3], 0 offset:280
	buffer_store_dword v3, off, s[0:3], 0 offset:284
	s_and_saveexec_b64 s[4:5], vcc
	s_cbranch_execz .LBB60_311
; %bb.310:
	buffer_load_dword v2, off, s[0:3], 0 offset:272
	buffer_load_dword v3, off, s[0:3], 0 offset:276
	s_waitcnt vmcnt(0)
	ds_write_b64 v147, v[2:3]
	buffer_store_dword v1, off, s[0:3], 0 offset:272
	buffer_store_dword v1, off, s[0:3], 0 offset:276
.LBB60_311:
	s_or_b64 exec, exec, s[4:5]
	s_waitcnt lgkmcnt(0)
	; wave barrier
	buffer_load_dword v22, off, s[0:3], 0 offset:284
	buffer_load_dword v23, off, s[0:3], 0 offset:292
	;; [unrolled: 1-line block ×42, first 2 shown]
	ds_read2_b64 v[2:5], v1 offset0:97 offset1:98
	ds_read2_b64 v[6:9], v1 offset0:99 offset1:100
	;; [unrolled: 1-line block ×4, first 2 shown]
	buffer_load_dword v66, off, s[0:3], 0 offset:444
	buffer_load_dword v67, off, s[0:3], 0 offset:440
	buffer_load_dword v68, off, s[0:3], 0 offset:448
	buffer_load_dword v69, off, s[0:3], 0 offset:452
	buffer_load_dword v70, off, s[0:3], 0 offset:456
	buffer_load_dword v180, off, s[0:3], 0 offset:460
	ds_read2_b64 v[18:21], v1 offset0:105 offset1:106
	ds_read2_b64 v[148:151], v1 offset0:107 offset1:108
	buffer_load_dword v181, off, s[0:3], 0 offset:464
	buffer_load_dword v182, off, s[0:3], 0 offset:468
	;; [unrolled: 1-line block ×6, first 2 shown]
	v_cmp_lt_u32_e32 vcc, 33, v0
	s_waitcnt vmcnt(53) lgkmcnt(5)
	v_mul_f32_e32 v152, v2, v22
	s_waitcnt vmcnt(52)
	v_mul_f32_e32 v153, v4, v23
	s_waitcnt vmcnt(51) lgkmcnt(4)
	v_mul_f32_e32 v154, v6, v24
	s_waitcnt vmcnt(50)
	v_mul_f32_e32 v155, v8, v27
	;; [unrolled: 4-line block ×5, first 2 shown]
	s_waitcnt vmcnt(43)
	v_fmac_f32_e32 v152, v3, v34
	v_mul_f32_e32 v3, v3, v22
	s_waitcnt vmcnt(42)
	v_fmac_f32_e32 v153, v5, v35
	v_add_f32_e32 v152, 0, v152
	v_fma_f32 v2, v2, v34, -v3
	v_mul_f32_e32 v3, v5, v23
	s_waitcnt vmcnt(41)
	v_fmac_f32_e32 v154, v7, v36
	v_add_f32_e32 v152, v152, v153
	v_add_f32_e32 v2, 0, v2
	v_fma_f32 v3, v4, v35, -v3
	s_waitcnt vmcnt(40)
	v_fmac_f32_e32 v155, v9, v37
	v_add_f32_e32 v152, v152, v154
	v_add_f32_e32 v2, v2, v3
	v_mul_f32_e32 v3, v7, v24
	s_waitcnt vmcnt(39)
	v_fmac_f32_e32 v156, v11, v38
	v_add_f32_e32 v152, v152, v155
	v_fma_f32 v3, v6, v36, -v3
	s_waitcnt vmcnt(38)
	v_fmac_f32_e32 v157, v13, v39
	v_add_f32_e32 v152, v152, v156
	v_add_f32_e32 v2, v2, v3
	v_mul_f32_e32 v3, v9, v27
	s_waitcnt vmcnt(37)
	v_fmac_f32_e32 v158, v15, v40
	v_add_f32_e32 v152, v152, v157
	v_fma_f32 v3, v8, v37, -v3
	s_waitcnt vmcnt(36)
	v_fmac_f32_e32 v159, v17, v41
	v_add_f32_e32 v152, v152, v158
	v_add_f32_e32 v2, v2, v3
	v_mul_f32_e32 v3, v11, v28
	s_waitcnt vmcnt(35)
	v_fmac_f32_e32 v160, v19, v42
	v_add_f32_e32 v152, v152, v159
	v_fma_f32 v3, v10, v38, -v3
	s_waitcnt vmcnt(34)
	v_fmac_f32_e32 v161, v21, v43
	v_add_f32_e32 v152, v152, v160
	s_waitcnt vmcnt(33) lgkmcnt(0)
	v_mul_f32_e32 v153, v148, v44
	v_add_f32_e32 v2, v2, v3
	v_mul_f32_e32 v3, v13, v29
	v_add_f32_e32 v152, v152, v161
	s_waitcnt vmcnt(32)
	v_fmac_f32_e32 v153, v149, v45
	v_fma_f32 v3, v12, v39, -v3
	v_add_f32_e32 v156, v152, v153
	ds_read2_b64 v[152:155], v1 offset0:109 offset1:110
	v_add_f32_e32 v2, v2, v3
	v_mul_f32_e32 v3, v15, v30
	v_fma_f32 v3, v14, v40, -v3
	s_waitcnt vmcnt(31)
	v_mul_f32_e32 v157, v150, v46
	v_add_f32_e32 v2, v2, v3
	v_mul_f32_e32 v3, v17, v31
	s_waitcnt vmcnt(30)
	v_fmac_f32_e32 v157, v151, v47
	v_fma_f32 v3, v16, v41, -v3
	v_add_f32_e32 v160, v156, v157
	ds_read2_b64 v[156:159], v1 offset0:111 offset1:112
	v_add_f32_e32 v2, v2, v3
	v_mul_f32_e32 v3, v19, v32
	s_waitcnt vmcnt(29) lgkmcnt(1)
	v_mul_f32_e32 v161, v152, v48
	v_fma_f32 v3, v18, v42, -v3
	s_waitcnt vmcnt(28)
	v_fmac_f32_e32 v161, v153, v49
	v_add_f32_e32 v2, v2, v3
	v_mul_f32_e32 v3, v21, v33
	v_add_f32_e32 v160, v160, v161
	s_waitcnt vmcnt(27)
	v_mul_f32_e32 v161, v154, v50
	v_fma_f32 v3, v20, v43, -v3
	s_waitcnt vmcnt(26)
	v_fmac_f32_e32 v161, v155, v51
	v_add_f32_e32 v2, v2, v3
	v_mul_f32_e32 v3, v149, v44
	v_add_f32_e32 v160, v160, v161
	s_waitcnt vmcnt(25) lgkmcnt(0)
	v_mul_f32_e32 v161, v156, v52
	v_fma_f32 v3, v148, v45, -v3
	s_waitcnt vmcnt(24)
	v_fmac_f32_e32 v161, v157, v53
	v_add_f32_e32 v2, v2, v3
	v_mul_f32_e32 v3, v151, v46
	v_add_f32_e32 v164, v160, v161
	ds_read2_b64 v[160:163], v1 offset0:113 offset1:114
	v_fma_f32 v3, v150, v47, -v3
	v_add_f32_e32 v2, v2, v3
	v_mul_f32_e32 v3, v153, v48
	s_waitcnt vmcnt(23)
	v_mul_f32_e32 v165, v158, v54
	v_fma_f32 v3, v152, v49, -v3
	s_waitcnt vmcnt(22)
	v_fmac_f32_e32 v165, v159, v55
	v_add_f32_e32 v2, v2, v3
	v_mul_f32_e32 v3, v155, v50
	v_add_f32_e32 v168, v164, v165
	ds_read2_b64 v[164:167], v1 offset0:115 offset1:116
	v_fma_f32 v3, v154, v51, -v3
	s_waitcnt vmcnt(21) lgkmcnt(1)
	v_mul_f32_e32 v169, v160, v56
	v_add_f32_e32 v2, v2, v3
	v_mul_f32_e32 v3, v157, v52
	s_waitcnt vmcnt(20)
	v_fmac_f32_e32 v169, v161, v57
	v_fma_f32 v3, v156, v53, -v3
	v_add_f32_e32 v168, v168, v169
	s_waitcnt vmcnt(18)
	v_mul_f32_e32 v169, v162, v59
	v_add_f32_e32 v2, v2, v3
	v_mul_f32_e32 v3, v159, v54
	v_fmac_f32_e32 v169, v163, v58
	v_fma_f32 v3, v158, v55, -v3
	v_add_f32_e32 v168, v168, v169
	s_waitcnt vmcnt(15) lgkmcnt(0)
	v_mul_f32_e32 v169, v164, v62
	v_add_f32_e32 v2, v2, v3
	v_mul_f32_e32 v3, v161, v56
	s_waitcnt vmcnt(14)
	v_fmac_f32_e32 v169, v165, v63
	v_fma_f32 v3, v160, v57, -v3
	v_add_f32_e32 v172, v168, v169
	ds_read2_b64 v[168:171], v1 offset0:117 offset1:118
	v_add_f32_e32 v2, v2, v3
	v_mul_f32_e32 v3, v163, v59
	v_fma_f32 v3, v162, v58, -v3
	v_add_f32_e32 v2, v2, v3
	v_mul_f32_e32 v3, v165, v62
	s_waitcnt vmcnt(12)
	v_mul_f32_e32 v173, v166, v65
	v_fma_f32 v3, v164, v63, -v3
	v_fmac_f32_e32 v173, v167, v64
	v_add_f32_e32 v2, v2, v3
	v_mul_f32_e32 v3, v167, v65
	v_add_f32_e32 v176, v172, v173
	ds_read2_b64 v[172:175], v1 offset0:119 offset1:120
	s_waitcnt vmcnt(11) lgkmcnt(1)
	v_mul_f32_e32 v177, v168, v66
	v_fma_f32 v3, v166, v64, -v3
	s_waitcnt vmcnt(10)
	v_fmac_f32_e32 v177, v169, v67
	v_add_f32_e32 v2, v2, v3
	v_mul_f32_e32 v3, v169, v66
	v_add_f32_e32 v176, v176, v177
	s_waitcnt vmcnt(8)
	v_mul_f32_e32 v177, v170, v69
	v_fma_f32 v3, v168, v67, -v3
	v_fmac_f32_e32 v177, v171, v68
	v_add_f32_e32 v2, v2, v3
	v_mul_f32_e32 v3, v171, v69
	v_add_f32_e32 v187, v176, v177
	ds_read2_b64 v[176:179], v1 offset0:121 offset1:122
	v_fma_f32 v3, v170, v68, -v3
	v_add_f32_e32 v2, v2, v3
	s_waitcnt vmcnt(6) lgkmcnt(1)
	v_mul_f32_e32 v3, v173, v180
	v_mul_f32_e32 v188, v172, v180
	v_fma_f32 v3, v172, v70, -v3
	v_fmac_f32_e32 v188, v173, v70
	v_add_f32_e32 v2, v2, v3
	s_waitcnt vmcnt(4)
	v_mul_f32_e32 v3, v175, v182
	v_add_f32_e32 v1, v187, v188
	v_mul_f32_e32 v187, v174, v182
	v_fma_f32 v3, v174, v181, -v3
	v_fmac_f32_e32 v187, v175, v181
	v_add_f32_e32 v2, v2, v3
	s_waitcnt vmcnt(2) lgkmcnt(0)
	v_mul_f32_e32 v3, v177, v184
	v_add_f32_e32 v1, v1, v187
	v_mul_f32_e32 v187, v176, v184
	v_fma_f32 v3, v176, v183, -v3
	v_fmac_f32_e32 v187, v177, v183
	v_add_f32_e32 v2, v2, v3
	s_waitcnt vmcnt(0)
	v_mul_f32_e32 v3, v179, v186
	v_add_f32_e32 v1, v1, v187
	v_mul_f32_e32 v187, v178, v186
	v_fma_f32 v3, v178, v185, -v3
	v_fmac_f32_e32 v187, v179, v185
	v_add_f32_e32 v2, v2, v3
	v_add_f32_e32 v1, v1, v187
	v_sub_f32_e32 v2, v60, v2
	v_sub_f32_e32 v1, v61, v1
	buffer_store_dword v2, off, s[0:3], 0 offset:272
	buffer_store_dword v1, off, s[0:3], 0 offset:276
	s_and_saveexec_b64 s[4:5], vcc
	s_cbranch_execz .LBB60_313
; %bb.312:
	buffer_load_dword v1, off, s[0:3], 0 offset:264
	buffer_load_dword v2, off, s[0:3], 0 offset:268
	v_mov_b32_e32 v3, 0
	buffer_store_dword v3, off, s[0:3], 0 offset:264
	buffer_store_dword v3, off, s[0:3], 0 offset:268
	s_waitcnt vmcnt(2)
	ds_write_b64 v147, v[1:2]
.LBB60_313:
	s_or_b64 exec, exec, s[4:5]
	s_waitcnt lgkmcnt(0)
	; wave barrier
	buffer_load_dword v24, off, s[0:3], 0 offset:276
	buffer_load_dword v27, off, s[0:3], 0 offset:284
	;; [unrolled: 1-line block ×56, first 2 shown]
	v_mov_b32_e32 v1, 0
	ds_read_b128 v[2:5], v1 offset:768
	ds_read_b128 v[6:9], v1 offset:784
	;; [unrolled: 1-line block ×11, first 2 shown]
	v_cmp_lt_u32_e32 vcc, 32, v0
	s_waitcnt vmcnt(55) lgkmcnt(10)
	v_mul_f32_e32 v22, v2, v24
	s_waitcnt vmcnt(54)
	v_mul_f32_e32 v23, v4, v27
	s_waitcnt vmcnt(53) lgkmcnt(9)
	v_mul_f32_e32 v152, v6, v28
	s_waitcnt vmcnt(52)
	v_mul_f32_e32 v153, v8, v29
	;; [unrolled: 4-line block ×4, first 2 shown]
	s_waitcnt vmcnt(47) lgkmcnt(6)
	v_mul_f32_e32 v158, v18, v34
	s_waitcnt vmcnt(46)
	v_fmac_f32_e32 v22, v3, v35
	v_mul_f32_e32 v3, v3, v24
	v_fma_f32 v2, v2, v35, -v3
	v_mul_f32_e32 v3, v5, v27
	v_add_f32_e32 v2, 0, v2
	s_waitcnt vmcnt(45)
	v_fma_f32 v3, v4, v36, -v3
	v_add_f32_e32 v2, v2, v3
	v_mul_f32_e32 v3, v7, v28
	s_waitcnt vmcnt(44)
	v_fma_f32 v3, v6, v37, -v3
	v_add_f32_e32 v2, v2, v3
	v_mul_f32_e32 v3, v9, v29
	;; [unrolled: 4-line block ×3, first 2 shown]
	s_waitcnt vmcnt(42)
	v_fma_f32 v3, v10, v39, -v3
	v_fmac_f32_e32 v23, v5, v36
	v_add_f32_e32 v22, 0, v22
	v_add_f32_e32 v2, v2, v3
	v_mul_f32_e32 v3, v13, v31
	v_fmac_f32_e32 v152, v7, v37
	v_add_f32_e32 v22, v22, v23
	s_waitcnt vmcnt(41)
	v_fma_f32 v3, v12, v40, -v3
	v_fmac_f32_e32 v153, v9, v38
	v_add_f32_e32 v22, v22, v152
	v_add_f32_e32 v2, v2, v3
	v_mul_f32_e32 v3, v15, v32
	v_fmac_f32_e32 v154, v11, v39
	v_add_f32_e32 v22, v22, v153
	;; [unrolled: 8-line block ×3, first 2 shown]
	s_waitcnt vmcnt(39)
	v_fma_f32 v3, v16, v42, -v3
	v_fmac_f32_e32 v157, v17, v42
	v_add_f32_e32 v22, v22, v156
	v_add_f32_e32 v2, v2, v3
	v_mul_f32_e32 v3, v19, v34
	v_add_f32_e32 v22, v22, v157
	s_waitcnt vmcnt(38)
	v_fmac_f32_e32 v158, v19, v43
	s_waitcnt vmcnt(37)
	v_mul_f32_e32 v23, v20, v44
	v_fma_f32 v3, v18, v43, -v3
	v_add_f32_e32 v22, v22, v158
	s_waitcnt vmcnt(36)
	v_fmac_f32_e32 v23, v21, v45
	ds_read_b128 v[152:155], v1 offset:864
	ds_read_b128 v[156:159], v1 offset:880
	v_add_f32_e32 v2, v2, v3
	v_mul_f32_e32 v3, v21, v44
	v_add_f32_e32 v22, v22, v23
	s_waitcnt vmcnt(35) lgkmcnt(7)
	v_mul_f32_e32 v23, v148, v46
	v_fma_f32 v3, v20, v45, -v3
	s_waitcnt vmcnt(34)
	v_fmac_f32_e32 v23, v149, v47
	v_add_f32_e32 v2, v2, v3
	v_mul_f32_e32 v3, v149, v46
	v_add_f32_e32 v22, v22, v23
	s_waitcnt vmcnt(33)
	v_mul_f32_e32 v23, v150, v48
	v_fma_f32 v3, v148, v47, -v3
	s_waitcnt vmcnt(32)
	v_fmac_f32_e32 v23, v151, v49
	v_add_f32_e32 v2, v2, v3
	v_mul_f32_e32 v3, v151, v48
	v_add_f32_e32 v22, v22, v23
	s_waitcnt vmcnt(31) lgkmcnt(1)
	v_mul_f32_e32 v23, v152, v50
	v_fma_f32 v3, v150, v49, -v3
	s_waitcnt vmcnt(30)
	v_fmac_f32_e32 v23, v153, v51
	v_add_f32_e32 v2, v2, v3
	v_mul_f32_e32 v3, v153, v50
	v_add_f32_e32 v22, v22, v23
	s_waitcnt vmcnt(29)
	v_mul_f32_e32 v23, v154, v52
	v_fma_f32 v3, v152, v51, -v3
	s_waitcnt vmcnt(28)
	v_fmac_f32_e32 v23, v155, v53
	v_add_f32_e32 v2, v2, v3
	v_mul_f32_e32 v3, v155, v52
	v_add_f32_e32 v22, v22, v23
	s_waitcnt vmcnt(27) lgkmcnt(0)
	v_mul_f32_e32 v23, v156, v54
	v_fma_f32 v3, v154, v53, -v3
	s_waitcnt vmcnt(26)
	v_fmac_f32_e32 v23, v157, v55
	v_add_f32_e32 v2, v2, v3
	v_mul_f32_e32 v3, v157, v54
	v_add_f32_e32 v22, v22, v23
	s_waitcnt vmcnt(24)
	v_mul_f32_e32 v23, v158, v57
	v_fma_f32 v3, v156, v55, -v3
	v_fmac_f32_e32 v23, v159, v56
	v_add_f32_e32 v2, v2, v3
	v_mul_f32_e32 v3, v159, v57
	v_add_f32_e32 v22, v22, v23
	s_waitcnt vmcnt(21)
	v_mul_f32_e32 v23, v160, v60
	v_fma_f32 v3, v158, v56, -v3
	s_waitcnt vmcnt(20)
	v_fmac_f32_e32 v23, v161, v61
	v_add_f32_e32 v2, v2, v3
	v_mul_f32_e32 v3, v161, v60
	v_add_f32_e32 v22, v22, v23
	s_waitcnt vmcnt(18)
	v_mul_f32_e32 v23, v162, v63
	v_fma_f32 v3, v160, v61, -v3
	v_fmac_f32_e32 v23, v163, v62
	v_add_f32_e32 v2, v2, v3
	v_mul_f32_e32 v3, v163, v63
	v_add_f32_e32 v22, v22, v23
	s_waitcnt vmcnt(16)
	v_mul_f32_e32 v23, v164, v65
	v_fma_f32 v3, v162, v62, -v3
	;; [unrolled: 7-line block ×7, first 2 shown]
	v_fmac_f32_e32 v23, v175, v183
	v_add_f32_e32 v2, v2, v3
	v_mul_f32_e32 v3, v175, v184
	v_add_f32_e32 v191, v22, v23
	ds_read_b64 v[22:23], v1 offset:976
	v_fma_f32 v3, v174, v183, -v3
	v_add_f32_e32 v2, v2, v3
	s_waitcnt vmcnt(4)
	v_mul_f32_e32 v3, v177, v186
	v_mul_f32_e32 v192, v176, v186
	v_fma_f32 v3, v176, v185, -v3
	v_fmac_f32_e32 v192, v177, v185
	v_add_f32_e32 v2, v2, v3
	s_waitcnt vmcnt(2)
	v_mul_f32_e32 v3, v179, v188
	v_add_f32_e32 v191, v191, v192
	v_mul_f32_e32 v192, v178, v188
	v_fma_f32 v3, v178, v187, -v3
	v_fmac_f32_e32 v192, v179, v187
	v_add_f32_e32 v2, v2, v3
	s_waitcnt vmcnt(0) lgkmcnt(0)
	v_mul_f32_e32 v3, v23, v190
	v_add_f32_e32 v191, v191, v192
	v_mul_f32_e32 v192, v22, v190
	v_fma_f32 v3, v22, v189, -v3
	v_fmac_f32_e32 v192, v23, v189
	v_add_f32_e32 v2, v2, v3
	v_add_f32_e32 v191, v191, v192
	v_sub_f32_e32 v2, v58, v2
	v_sub_f32_e32 v3, v59, v191
	buffer_store_dword v2, off, s[0:3], 0 offset:264
	buffer_store_dword v3, off, s[0:3], 0 offset:268
	s_and_saveexec_b64 s[4:5], vcc
	s_cbranch_execz .LBB60_315
; %bb.314:
	buffer_load_dword v2, off, s[0:3], 0 offset:256
	buffer_load_dword v3, off, s[0:3], 0 offset:260
	s_waitcnt vmcnt(0)
	ds_write_b64 v147, v[2:3]
	buffer_store_dword v1, off, s[0:3], 0 offset:256
	buffer_store_dword v1, off, s[0:3], 0 offset:260
.LBB60_315:
	s_or_b64 exec, exec, s[4:5]
	s_waitcnt lgkmcnt(0)
	; wave barrier
	buffer_load_dword v22, off, s[0:3], 0 offset:268
	buffer_load_dword v23, off, s[0:3], 0 offset:276
	;; [unrolled: 1-line block ×34, first 2 shown]
	ds_read2_b64 v[2:5], v1 offset0:95 offset1:96
	ds_read2_b64 v[6:9], v1 offset0:97 offset1:98
	buffer_load_dword v58, off, s[0:3], 0 offset:396
	buffer_load_dword v59, off, s[0:3], 0 offset:392
	buffer_load_dword v60, off, s[0:3], 0 offset:400
	buffer_load_dword v61, off, s[0:3], 0 offset:404
	buffer_load_dword v62, off, s[0:3], 0 offset:408
	buffer_load_dword v63, off, s[0:3], 0 offset:412
	ds_read2_b64 v[10:13], v1 offset0:99 offset1:100
	ds_read2_b64 v[14:17], v1 offset0:101 offset1:102
	;; [unrolled: 1-line block ×4, first 2 shown]
	buffer_load_dword v64, off, s[0:3], 0 offset:420
	buffer_load_dword v65, off, s[0:3], 0 offset:416
	;; [unrolled: 1-line block ×18, first 2 shown]
	v_cmp_lt_u32_e32 vcc, 31, v0
	s_waitcnt vmcnt(57) lgkmcnt(5)
	v_mul_f32_e32 v152, v2, v22
	s_waitcnt vmcnt(56)
	v_mul_f32_e32 v153, v4, v23
	s_waitcnt vmcnt(55) lgkmcnt(4)
	v_mul_f32_e32 v154, v6, v24
	s_waitcnt vmcnt(54)
	v_mul_f32_e32 v155, v8, v27
	;; [unrolled: 4-line block ×4, first 2 shown]
	s_waitcnt vmcnt(49)
	v_fmac_f32_e32 v152, v3, v32
	s_waitcnt vmcnt(48)
	v_fmac_f32_e32 v153, v5, v33
	v_add_f32_e32 v152, 0, v152
	s_waitcnt vmcnt(47)
	v_fmac_f32_e32 v154, v7, v34
	v_add_f32_e32 v152, v152, v153
	;; [unrolled: 3-line block ×4, first 2 shown]
	v_mul_f32_e32 v3, v3, v22
	s_waitcnt vmcnt(44)
	v_fmac_f32_e32 v157, v13, v37
	v_add_f32_e32 v152, v152, v156
	v_fma_f32 v2, v2, v32, -v3
	v_mul_f32_e32 v3, v5, v23
	s_waitcnt vmcnt(43)
	v_fmac_f32_e32 v158, v15, v38
	v_add_f32_e32 v152, v152, v157
	v_add_f32_e32 v2, 0, v2
	v_fma_f32 v3, v4, v33, -v3
	s_waitcnt vmcnt(42)
	v_fmac_f32_e32 v159, v17, v39
	v_add_f32_e32 v152, v152, v158
	s_waitcnt vmcnt(41) lgkmcnt(1)
	v_mul_f32_e32 v153, v18, v40
	v_add_f32_e32 v2, v2, v3
	v_mul_f32_e32 v3, v7, v24
	v_add_f32_e32 v152, v152, v159
	s_waitcnt vmcnt(40)
	v_fmac_f32_e32 v153, v19, v41
	v_fma_f32 v3, v6, v34, -v3
	v_add_f32_e32 v152, v152, v153
	s_waitcnt vmcnt(39)
	v_mul_f32_e32 v153, v20, v42
	v_add_f32_e32 v2, v2, v3
	v_mul_f32_e32 v3, v9, v27
	s_waitcnt vmcnt(38)
	v_fmac_f32_e32 v153, v21, v43
	v_fma_f32 v3, v8, v35, -v3
	v_add_f32_e32 v152, v152, v153
	s_waitcnt vmcnt(37) lgkmcnt(0)
	v_mul_f32_e32 v153, v148, v44
	v_add_f32_e32 v2, v2, v3
	v_mul_f32_e32 v3, v11, v28
	s_waitcnt vmcnt(36)
	v_fmac_f32_e32 v153, v149, v45
	v_fma_f32 v3, v10, v36, -v3
	v_add_f32_e32 v156, v152, v153
	ds_read2_b64 v[152:155], v1 offset0:107 offset1:108
	v_add_f32_e32 v2, v2, v3
	v_mul_f32_e32 v3, v13, v29
	v_fma_f32 v3, v12, v37, -v3
	s_waitcnt vmcnt(35)
	v_mul_f32_e32 v157, v150, v46
	v_add_f32_e32 v2, v2, v3
	v_mul_f32_e32 v3, v15, v30
	s_waitcnt vmcnt(34)
	v_fmac_f32_e32 v157, v151, v47
	v_fma_f32 v3, v14, v38, -v3
	v_add_f32_e32 v160, v156, v157
	ds_read2_b64 v[156:159], v1 offset0:109 offset1:110
	v_add_f32_e32 v2, v2, v3
	v_mul_f32_e32 v3, v17, v31
	s_waitcnt vmcnt(33) lgkmcnt(1)
	v_mul_f32_e32 v161, v152, v48
	v_fma_f32 v3, v16, v39, -v3
	s_waitcnt vmcnt(32)
	v_fmac_f32_e32 v161, v153, v49
	v_add_f32_e32 v2, v2, v3
	v_mul_f32_e32 v3, v19, v40
	v_add_f32_e32 v160, v160, v161
	s_waitcnt vmcnt(31)
	v_mul_f32_e32 v161, v154, v50
	v_fma_f32 v3, v18, v41, -v3
	s_waitcnt vmcnt(30)
	v_fmac_f32_e32 v161, v155, v51
	v_add_f32_e32 v2, v2, v3
	v_mul_f32_e32 v3, v21, v42
	v_add_f32_e32 v160, v160, v161
	s_waitcnt vmcnt(29) lgkmcnt(0)
	v_mul_f32_e32 v161, v156, v52
	v_fma_f32 v3, v20, v43, -v3
	s_waitcnt vmcnt(28)
	v_fmac_f32_e32 v161, v157, v53
	v_add_f32_e32 v2, v2, v3
	v_mul_f32_e32 v3, v149, v44
	v_add_f32_e32 v164, v160, v161
	ds_read2_b64 v[160:163], v1 offset0:111 offset1:112
	v_fma_f32 v3, v148, v45, -v3
	v_add_f32_e32 v2, v2, v3
	v_mul_f32_e32 v3, v151, v46
	s_waitcnt vmcnt(25)
	v_mul_f32_e32 v165, v158, v56
	v_fma_f32 v3, v150, v47, -v3
	s_waitcnt vmcnt(24)
	v_fmac_f32_e32 v165, v159, v57
	v_add_f32_e32 v2, v2, v3
	v_mul_f32_e32 v3, v153, v48
	v_add_f32_e32 v168, v164, v165
	ds_read2_b64 v[164:167], v1 offset0:113 offset1:114
	v_fma_f32 v3, v152, v49, -v3
	s_waitcnt vmcnt(23) lgkmcnt(1)
	v_mul_f32_e32 v169, v160, v58
	v_add_f32_e32 v2, v2, v3
	v_mul_f32_e32 v3, v155, v50
	s_waitcnt vmcnt(22)
	v_fmac_f32_e32 v169, v161, v59
	v_fma_f32 v3, v154, v51, -v3
	v_add_f32_e32 v168, v168, v169
	s_waitcnt vmcnt(20)
	v_mul_f32_e32 v169, v162, v61
	v_add_f32_e32 v2, v2, v3
	v_mul_f32_e32 v3, v157, v52
	v_fmac_f32_e32 v169, v163, v60
	v_fma_f32 v3, v156, v53, -v3
	v_add_f32_e32 v168, v168, v169
	s_waitcnt vmcnt(18) lgkmcnt(0)
	v_mul_f32_e32 v169, v164, v63
	v_add_f32_e32 v2, v2, v3
	v_mul_f32_e32 v3, v159, v56
	v_fmac_f32_e32 v169, v165, v62
	v_fma_f32 v3, v158, v57, -v3
	v_add_f32_e32 v172, v168, v169
	ds_read2_b64 v[168:171], v1 offset0:115 offset1:116
	v_add_f32_e32 v2, v2, v3
	v_mul_f32_e32 v3, v161, v58
	v_fma_f32 v3, v160, v59, -v3
	s_waitcnt vmcnt(17)
	v_mul_f32_e32 v173, v166, v64
	v_add_f32_e32 v2, v2, v3
	v_mul_f32_e32 v3, v163, v61
	s_waitcnt vmcnt(16)
	v_fmac_f32_e32 v173, v167, v65
	v_fma_f32 v3, v162, v60, -v3
	v_add_f32_e32 v176, v172, v173
	ds_read2_b64 v[172:175], v1 offset0:117 offset1:118
	v_add_f32_e32 v2, v2, v3
	v_mul_f32_e32 v3, v165, v63
	s_waitcnt vmcnt(14) lgkmcnt(1)
	v_mul_f32_e32 v177, v168, v67
	v_fma_f32 v3, v164, v62, -v3
	v_fmac_f32_e32 v177, v169, v66
	v_add_f32_e32 v2, v2, v3
	v_mul_f32_e32 v3, v167, v64
	v_add_f32_e32 v176, v176, v177
	s_waitcnt vmcnt(12)
	v_mul_f32_e32 v177, v170, v69
	v_fma_f32 v3, v166, v65, -v3
	v_fmac_f32_e32 v177, v171, v68
	v_add_f32_e32 v2, v2, v3
	v_mul_f32_e32 v3, v169, v67
	v_add_f32_e32 v176, v176, v177
	s_waitcnt vmcnt(10) lgkmcnt(0)
	v_mul_f32_e32 v177, v172, v184
	v_fma_f32 v3, v168, v66, -v3
	v_fmac_f32_e32 v177, v173, v70
	v_add_f32_e32 v2, v2, v3
	v_mul_f32_e32 v3, v171, v69
	v_add_f32_e32 v180, v176, v177
	ds_read2_b64 v[176:179], v1 offset0:119 offset1:120
	v_fma_f32 v3, v170, v68, -v3
	v_add_f32_e32 v2, v2, v3
	v_mul_f32_e32 v3, v173, v184
	s_waitcnt vmcnt(8)
	v_mul_f32_e32 v181, v174, v186
	v_fma_f32 v3, v172, v70, -v3
	v_fmac_f32_e32 v181, v175, v185
	v_add_f32_e32 v2, v2, v3
	v_mul_f32_e32 v3, v175, v186
	v_add_f32_e32 v195, v180, v181
	ds_read2_b64 v[180:183], v1 offset0:121 offset1:122
	v_fma_f32 v3, v174, v185, -v3
	v_add_f32_e32 v2, v2, v3
	s_waitcnt vmcnt(6) lgkmcnt(1)
	v_mul_f32_e32 v3, v177, v188
	v_mul_f32_e32 v1, v176, v188
	v_fma_f32 v3, v176, v187, -v3
	v_fmac_f32_e32 v1, v177, v187
	v_add_f32_e32 v2, v2, v3
	s_waitcnt vmcnt(4)
	v_mul_f32_e32 v3, v179, v190
	v_add_f32_e32 v1, v195, v1
	v_mul_f32_e32 v195, v178, v190
	v_fma_f32 v3, v178, v189, -v3
	v_fmac_f32_e32 v195, v179, v189
	v_add_f32_e32 v2, v2, v3
	s_waitcnt vmcnt(2) lgkmcnt(0)
	v_mul_f32_e32 v3, v181, v192
	v_add_f32_e32 v1, v1, v195
	v_mul_f32_e32 v195, v180, v192
	v_fma_f32 v3, v180, v191, -v3
	v_fmac_f32_e32 v195, v181, v191
	v_add_f32_e32 v2, v2, v3
	s_waitcnt vmcnt(0)
	v_mul_f32_e32 v3, v183, v194
	v_add_f32_e32 v1, v1, v195
	v_mul_f32_e32 v195, v182, v194
	v_fma_f32 v3, v182, v193, -v3
	v_fmac_f32_e32 v195, v183, v193
	v_add_f32_e32 v2, v2, v3
	v_add_f32_e32 v1, v1, v195
	v_sub_f32_e32 v2, v54, v2
	v_sub_f32_e32 v1, v55, v1
	buffer_store_dword v2, off, s[0:3], 0 offset:256
	buffer_store_dword v1, off, s[0:3], 0 offset:260
	s_and_saveexec_b64 s[4:5], vcc
	s_cbranch_execz .LBB60_317
; %bb.316:
	buffer_load_dword v1, off, s[0:3], 0 offset:248
	buffer_load_dword v2, off, s[0:3], 0 offset:252
	v_mov_b32_e32 v3, 0
	buffer_store_dword v3, off, s[0:3], 0 offset:248
	buffer_store_dword v3, off, s[0:3], 0 offset:252
	s_waitcnt vmcnt(2)
	ds_write_b64 v147, v[1:2]
.LBB60_317:
	s_or_b64 exec, exec, s[4:5]
	s_waitcnt lgkmcnt(0)
	; wave barrier
	buffer_load_dword v24, off, s[0:3], 0 offset:260
	buffer_load_dword v27, off, s[0:3], 0 offset:268
	;; [unrolled: 1-line block ×60, first 2 shown]
	v_mov_b32_e32 v1, 0
	ds_read_b128 v[2:5], v1 offset:752
	ds_read_b128 v[6:9], v1 offset:768
	;; [unrolled: 1-line block ×12, first 2 shown]
	v_cmp_lt_u32_e32 vcc, 30, v0
	s_waitcnt vmcnt(59) lgkmcnt(11)
	v_mul_f32_e32 v22, v2, v24
	s_waitcnt vmcnt(58)
	v_mul_f32_e32 v23, v4, v27
	s_waitcnt vmcnt(57) lgkmcnt(10)
	v_mul_f32_e32 v148, v6, v28
	s_waitcnt vmcnt(56)
	v_mul_f32_e32 v149, v8, v29
	;; [unrolled: 4-line block ×3, first 2 shown]
	s_waitcnt vmcnt(53) lgkmcnt(8)
	v_mul_f32_e32 v152, v14, v32
	s_waitcnt vmcnt(52)
	v_fmac_f32_e32 v22, v3, v33
	v_mul_f32_e32 v3, v3, v24
	v_fma_f32 v2, v2, v33, -v3
	v_mul_f32_e32 v3, v5, v27
	v_add_f32_e32 v2, 0, v2
	s_waitcnt vmcnt(51)
	v_fma_f32 v3, v4, v34, -v3
	v_add_f32_e32 v2, v2, v3
	v_mul_f32_e32 v3, v7, v28
	s_waitcnt vmcnt(50)
	v_fma_f32 v3, v6, v35, -v3
	v_add_f32_e32 v2, v2, v3
	v_mul_f32_e32 v3, v9, v29
	s_waitcnt vmcnt(49)
	v_fma_f32 v3, v8, v36, -v3
	v_fmac_f32_e32 v23, v5, v34
	v_add_f32_e32 v22, 0, v22
	v_add_f32_e32 v2, v2, v3
	v_mul_f32_e32 v3, v11, v30
	v_fmac_f32_e32 v148, v7, v35
	v_add_f32_e32 v22, v22, v23
	s_waitcnt vmcnt(48)
	v_fma_f32 v3, v10, v37, -v3
	v_fmac_f32_e32 v149, v9, v36
	v_add_f32_e32 v22, v22, v148
	v_add_f32_e32 v2, v2, v3
	v_mul_f32_e32 v3, v13, v31
	v_fmac_f32_e32 v150, v11, v37
	v_add_f32_e32 v22, v22, v149
	s_waitcnt vmcnt(47)
	v_fma_f32 v3, v12, v38, -v3
	v_fmac_f32_e32 v151, v13, v38
	v_add_f32_e32 v22, v22, v150
	v_add_f32_e32 v2, v2, v3
	v_mul_f32_e32 v3, v15, v32
	s_waitcnt vmcnt(46)
	v_fmac_f32_e32 v152, v15, v39
	v_add_f32_e32 v22, v22, v151
	s_waitcnt vmcnt(45)
	v_mul_f32_e32 v23, v16, v40
	v_fma_f32 v3, v14, v39, -v3
	v_add_f32_e32 v22, v22, v152
	s_waitcnt vmcnt(44)
	v_fmac_f32_e32 v23, v17, v41
	ds_read_b128 v[148:151], v1 offset:832
	ds_read_b128 v[152:155], v1 offset:848
	v_add_f32_e32 v2, v2, v3
	v_mul_f32_e32 v3, v17, v40
	v_add_f32_e32 v22, v22, v23
	s_waitcnt vmcnt(43) lgkmcnt(9)
	v_mul_f32_e32 v23, v18, v42
	v_fma_f32 v3, v16, v41, -v3
	s_waitcnt vmcnt(42)
	v_fmac_f32_e32 v23, v19, v43
	v_add_f32_e32 v2, v2, v3
	v_mul_f32_e32 v3, v19, v42
	v_add_f32_e32 v22, v22, v23
	s_waitcnt vmcnt(41)
	v_mul_f32_e32 v23, v20, v44
	v_fma_f32 v3, v18, v43, -v3
	s_waitcnt vmcnt(40)
	v_fmac_f32_e32 v23, v21, v45
	v_add_f32_e32 v2, v2, v3
	v_mul_f32_e32 v3, v21, v44
	v_add_f32_e32 v22, v22, v23
	s_waitcnt vmcnt(39) lgkmcnt(1)
	v_mul_f32_e32 v23, v148, v46
	v_fma_f32 v3, v20, v45, -v3
	s_waitcnt vmcnt(38)
	v_fmac_f32_e32 v23, v149, v47
	v_add_f32_e32 v2, v2, v3
	v_mul_f32_e32 v3, v149, v46
	v_add_f32_e32 v22, v22, v23
	s_waitcnt vmcnt(37)
	v_mul_f32_e32 v23, v150, v48
	v_fma_f32 v3, v148, v47, -v3
	s_waitcnt vmcnt(36)
	v_fmac_f32_e32 v23, v151, v49
	v_add_f32_e32 v2, v2, v3
	v_mul_f32_e32 v3, v151, v48
	v_add_f32_e32 v22, v22, v23
	s_waitcnt vmcnt(34) lgkmcnt(0)
	v_mul_f32_e32 v23, v152, v51
	v_fma_f32 v3, v150, v49, -v3
	v_fmac_f32_e32 v23, v153, v50
	v_add_f32_e32 v2, v2, v3
	v_mul_f32_e32 v3, v153, v51
	v_add_f32_e32 v22, v22, v23
	s_waitcnt vmcnt(31)
	v_mul_f32_e32 v23, v154, v54
	v_fma_f32 v3, v152, v50, -v3
	s_waitcnt vmcnt(30)
	v_fmac_f32_e32 v23, v155, v55
	v_add_f32_e32 v2, v2, v3
	v_mul_f32_e32 v3, v155, v54
	v_add_f32_e32 v22, v22, v23
	s_waitcnt vmcnt(28)
	v_mul_f32_e32 v23, v156, v57
	v_fma_f32 v3, v154, v55, -v3
	v_fmac_f32_e32 v23, v157, v56
	v_add_f32_e32 v2, v2, v3
	v_mul_f32_e32 v3, v157, v57
	v_add_f32_e32 v22, v22, v23
	s_waitcnt vmcnt(26)
	v_mul_f32_e32 v23, v158, v59
	v_fma_f32 v3, v156, v56, -v3
	v_fmac_f32_e32 v23, v159, v58
	v_add_f32_e32 v2, v2, v3
	v_mul_f32_e32 v3, v159, v59
	v_add_f32_e32 v22, v22, v23
	s_waitcnt vmcnt(24)
	v_mul_f32_e32 v23, v160, v61
	v_fma_f32 v3, v158, v58, -v3
	v_fmac_f32_e32 v23, v161, v60
	v_add_f32_e32 v2, v2, v3
	v_mul_f32_e32 v3, v161, v61
	v_add_f32_e32 v22, v22, v23
	s_waitcnt vmcnt(22)
	v_mul_f32_e32 v23, v162, v63
	v_fma_f32 v3, v160, v60, -v3
	v_fmac_f32_e32 v23, v163, v62
	v_add_f32_e32 v2, v2, v3
	v_mul_f32_e32 v3, v163, v63
	v_add_f32_e32 v22, v22, v23
	s_waitcnt vmcnt(20)
	v_mul_f32_e32 v23, v164, v65
	v_fma_f32 v3, v162, v62, -v3
	v_fmac_f32_e32 v23, v165, v64
	v_add_f32_e32 v2, v2, v3
	v_mul_f32_e32 v3, v165, v65
	v_add_f32_e32 v22, v22, v23
	s_waitcnt vmcnt(18)
	v_mul_f32_e32 v23, v166, v67
	v_fma_f32 v3, v164, v64, -v3
	v_fmac_f32_e32 v23, v167, v66
	v_add_f32_e32 v2, v2, v3
	v_mul_f32_e32 v3, v167, v67
	v_add_f32_e32 v22, v22, v23
	s_waitcnt vmcnt(16)
	v_mul_f32_e32 v23, v168, v69
	v_fma_f32 v3, v166, v66, -v3
	v_fmac_f32_e32 v23, v169, v68
	v_add_f32_e32 v2, v2, v3
	v_mul_f32_e32 v3, v169, v69
	v_add_f32_e32 v22, v22, v23
	s_waitcnt vmcnt(14)
	v_mul_f32_e32 v23, v170, v184
	v_fma_f32 v3, v168, v68, -v3
	v_fmac_f32_e32 v23, v171, v70
	v_add_f32_e32 v2, v2, v3
	v_mul_f32_e32 v3, v171, v184
	v_add_f32_e32 v22, v22, v23
	s_waitcnt vmcnt(12)
	v_mul_f32_e32 v23, v172, v186
	v_fma_f32 v3, v170, v70, -v3
	v_fmac_f32_e32 v23, v173, v185
	v_add_f32_e32 v2, v2, v3
	v_mul_f32_e32 v3, v173, v186
	v_add_f32_e32 v22, v22, v23
	s_waitcnt vmcnt(10)
	v_mul_f32_e32 v23, v174, v188
	v_fma_f32 v3, v172, v185, -v3
	v_fmac_f32_e32 v23, v175, v187
	v_add_f32_e32 v2, v2, v3
	v_mul_f32_e32 v3, v175, v188
	v_add_f32_e32 v22, v22, v23
	s_waitcnt vmcnt(8)
	v_mul_f32_e32 v23, v176, v190
	v_fma_f32 v3, v174, v187, -v3
	v_fmac_f32_e32 v23, v177, v189
	v_add_f32_e32 v2, v2, v3
	v_mul_f32_e32 v3, v177, v190
	v_add_f32_e32 v22, v22, v23
	s_waitcnt vmcnt(6)
	v_mul_f32_e32 v23, v178, v192
	v_fma_f32 v3, v176, v189, -v3
	v_fmac_f32_e32 v23, v179, v191
	v_add_f32_e32 v2, v2, v3
	v_mul_f32_e32 v3, v179, v192
	v_add_f32_e32 v199, v22, v23
	ds_read_b64 v[22:23], v1 offset:976
	v_fma_f32 v3, v178, v191, -v3
	v_add_f32_e32 v2, v2, v3
	s_waitcnt vmcnt(4)
	v_mul_f32_e32 v3, v181, v194
	v_mul_f32_e32 v200, v180, v194
	v_fma_f32 v3, v180, v193, -v3
	v_fmac_f32_e32 v200, v181, v193
	v_add_f32_e32 v2, v2, v3
	s_waitcnt vmcnt(2)
	v_mul_f32_e32 v3, v183, v196
	v_add_f32_e32 v199, v199, v200
	v_mul_f32_e32 v200, v182, v196
	v_fma_f32 v3, v182, v195, -v3
	v_fmac_f32_e32 v200, v183, v195
	v_add_f32_e32 v2, v2, v3
	s_waitcnt vmcnt(0) lgkmcnt(0)
	v_mul_f32_e32 v3, v23, v198
	v_add_f32_e32 v199, v199, v200
	v_mul_f32_e32 v200, v22, v198
	v_fma_f32 v3, v22, v197, -v3
	v_fmac_f32_e32 v200, v23, v197
	v_add_f32_e32 v2, v2, v3
	v_add_f32_e32 v199, v199, v200
	v_sub_f32_e32 v2, v52, v2
	v_sub_f32_e32 v3, v53, v199
	buffer_store_dword v2, off, s[0:3], 0 offset:248
	buffer_store_dword v3, off, s[0:3], 0 offset:252
	s_and_saveexec_b64 s[4:5], vcc
	s_cbranch_execz .LBB60_319
; %bb.318:
	buffer_load_dword v2, off, s[0:3], 0 offset:240
	buffer_load_dword v3, off, s[0:3], 0 offset:244
	s_waitcnt vmcnt(0)
	ds_write_b64 v147, v[2:3]
	buffer_store_dword v1, off, s[0:3], 0 offset:240
	buffer_store_dword v1, off, s[0:3], 0 offset:244
.LBB60_319:
	s_or_b64 exec, exec, s[4:5]
	s_waitcnt lgkmcnt(0)
	; wave barrier
	buffer_load_dword v22, off, s[0:3], 0 offset:252
	buffer_load_dword v23, off, s[0:3], 0 offset:260
	;; [unrolled: 1-line block ×32, first 2 shown]
	ds_read2_b64 v[2:5], v1 offset0:93 offset1:94
	ds_read2_b64 v[6:9], v1 offset0:95 offset1:96
	;; [unrolled: 1-line block ×4, first 2 shown]
	buffer_load_dword v56, off, s[0:3], 0 offset:372
	buffer_load_dword v57, off, s[0:3], 0 offset:368
	;; [unrolled: 1-line block ×30, first 2 shown]
	v_cmp_lt_u32_e32 vcc, 29, v0
	s_waitcnt vmcnt(61) lgkmcnt(3)
	v_mul_f32_e32 v18, v2, v22
	s_waitcnt vmcnt(60)
	v_mul_f32_e32 v19, v4, v23
	s_waitcnt vmcnt(59) lgkmcnt(2)
	v_mul_f32_e32 v20, v6, v24
	s_waitcnt vmcnt(58)
	v_mul_f32_e32 v21, v8, v27
	;; [unrolled: 4-line block ×3, first 2 shown]
	s_waitcnt vmcnt(55) lgkmcnt(0)
	v_mul_f32_e32 v150, v14, v30
	s_waitcnt vmcnt(54)
	v_fmac_f32_e32 v18, v3, v31
	s_waitcnt vmcnt(53)
	v_fmac_f32_e32 v19, v5, v32
	v_add_f32_e32 v18, 0, v18
	s_waitcnt vmcnt(52)
	v_fmac_f32_e32 v20, v7, v33
	v_add_f32_e32 v18, v18, v19
	s_waitcnt vmcnt(51)
	v_fmac_f32_e32 v21, v9, v34
	v_add_f32_e32 v18, v18, v20
	s_waitcnt vmcnt(50)
	v_fmac_f32_e32 v148, v11, v35
	v_add_f32_e32 v18, v18, v21
	s_waitcnt vmcnt(49)
	v_fmac_f32_e32 v149, v13, v36
	v_add_f32_e32 v18, v18, v148
	s_waitcnt vmcnt(48)
	v_fmac_f32_e32 v150, v15, v37
	v_add_f32_e32 v18, v18, v149
	v_add_f32_e32 v148, v18, v150
	ds_read2_b64 v[18:21], v1 offset0:101 offset1:102
	s_waitcnt vmcnt(47)
	v_mul_f32_e32 v149, v16, v38
	s_waitcnt vmcnt(46)
	v_fmac_f32_e32 v149, v17, v39
	v_mul_f32_e32 v3, v3, v22
	v_add_f32_e32 v152, v148, v149
	ds_read2_b64 v[148:151], v1 offset0:103 offset1:104
	v_fma_f32 v2, v2, v31, -v3
	v_mul_f32_e32 v3, v5, v23
	s_waitcnt vmcnt(45) lgkmcnt(1)
	v_mul_f32_e32 v153, v18, v40
	v_add_f32_e32 v2, 0, v2
	v_fma_f32 v3, v4, v32, -v3
	s_waitcnt vmcnt(44)
	v_fmac_f32_e32 v153, v19, v41
	v_add_f32_e32 v2, v2, v3
	v_mul_f32_e32 v3, v7, v24
	v_add_f32_e32 v152, v152, v153
	s_waitcnt vmcnt(43)
	v_mul_f32_e32 v153, v20, v42
	v_fma_f32 v3, v6, v33, -v3
	s_waitcnt vmcnt(42)
	v_fmac_f32_e32 v153, v21, v43
	v_add_f32_e32 v2, v2, v3
	v_mul_f32_e32 v3, v9, v27
	v_add_f32_e32 v152, v152, v153
	s_waitcnt vmcnt(41) lgkmcnt(0)
	v_mul_f32_e32 v153, v148, v44
	v_fma_f32 v3, v8, v34, -v3
	s_waitcnt vmcnt(40)
	v_fmac_f32_e32 v153, v149, v45
	v_add_f32_e32 v2, v2, v3
	v_mul_f32_e32 v3, v11, v28
	v_add_f32_e32 v156, v152, v153
	ds_read2_b64 v[152:155], v1 offset0:105 offset1:106
	v_fma_f32 v3, v10, v35, -v3
	v_add_f32_e32 v2, v2, v3
	v_mul_f32_e32 v3, v13, v29
	s_waitcnt vmcnt(39)
	v_mul_f32_e32 v157, v150, v46
	v_fma_f32 v3, v12, v36, -v3
	s_waitcnt vmcnt(38)
	v_fmac_f32_e32 v157, v151, v47
	v_add_f32_e32 v2, v2, v3
	v_mul_f32_e32 v3, v15, v30
	v_add_f32_e32 v160, v156, v157
	ds_read2_b64 v[156:159], v1 offset0:107 offset1:108
	v_fma_f32 v3, v14, v37, -v3
	s_waitcnt vmcnt(35) lgkmcnt(1)
	v_mul_f32_e32 v161, v152, v50
	v_add_f32_e32 v2, v2, v3
	v_mul_f32_e32 v3, v17, v38
	s_waitcnt vmcnt(34)
	v_fmac_f32_e32 v161, v153, v51
	v_fma_f32 v3, v16, v39, -v3
	v_add_f32_e32 v160, v160, v161
	s_waitcnt vmcnt(32)
	v_mul_f32_e32 v161, v154, v53
	v_add_f32_e32 v2, v2, v3
	v_mul_f32_e32 v3, v19, v40
	v_fmac_f32_e32 v161, v155, v52
	v_fma_f32 v3, v18, v41, -v3
	v_add_f32_e32 v160, v160, v161
	s_waitcnt vmcnt(30) lgkmcnt(0)
	v_mul_f32_e32 v161, v156, v55
	v_add_f32_e32 v2, v2, v3
	v_mul_f32_e32 v3, v21, v42
	v_fmac_f32_e32 v161, v157, v54
	v_fma_f32 v3, v20, v43, -v3
	v_add_f32_e32 v164, v160, v161
	ds_read2_b64 v[160:163], v1 offset0:109 offset1:110
	v_add_f32_e32 v2, v2, v3
	v_mul_f32_e32 v3, v149, v44
	v_fma_f32 v3, v148, v45, -v3
	s_waitcnt vmcnt(29)
	v_mul_f32_e32 v165, v158, v56
	v_add_f32_e32 v2, v2, v3
	v_mul_f32_e32 v3, v151, v46
	s_waitcnt vmcnt(28)
	v_fmac_f32_e32 v165, v159, v57
	v_fma_f32 v3, v150, v47, -v3
	v_add_f32_e32 v168, v164, v165
	ds_read2_b64 v[164:167], v1 offset0:111 offset1:112
	v_add_f32_e32 v2, v2, v3
	v_mul_f32_e32 v3, v153, v50
	s_waitcnt vmcnt(26) lgkmcnt(1)
	v_mul_f32_e32 v169, v160, v59
	v_fma_f32 v3, v152, v51, -v3
	v_fmac_f32_e32 v169, v161, v58
	v_add_f32_e32 v2, v2, v3
	v_mul_f32_e32 v3, v155, v53
	v_add_f32_e32 v168, v168, v169
	s_waitcnt vmcnt(24)
	v_mul_f32_e32 v169, v162, v61
	v_fma_f32 v3, v154, v52, -v3
	v_fmac_f32_e32 v169, v163, v60
	v_add_f32_e32 v2, v2, v3
	v_mul_f32_e32 v3, v157, v55
	v_add_f32_e32 v168, v168, v169
	s_waitcnt vmcnt(22) lgkmcnt(0)
	v_mul_f32_e32 v169, v164, v63
	v_fma_f32 v3, v156, v54, -v3
	v_fmac_f32_e32 v169, v165, v62
	v_add_f32_e32 v2, v2, v3
	v_mul_f32_e32 v3, v159, v56
	v_add_f32_e32 v172, v168, v169
	ds_read2_b64 v[168:171], v1 offset0:113 offset1:114
	v_fma_f32 v3, v158, v57, -v3
	v_add_f32_e32 v2, v2, v3
	v_mul_f32_e32 v3, v161, v59
	s_waitcnt vmcnt(20)
	v_mul_f32_e32 v173, v166, v65
	v_fma_f32 v3, v160, v58, -v3
	v_fmac_f32_e32 v173, v167, v64
	v_add_f32_e32 v2, v2, v3
	v_mul_f32_e32 v3, v163, v61
	v_add_f32_e32 v176, v172, v173
	ds_read2_b64 v[172:175], v1 offset0:115 offset1:116
	v_fma_f32 v3, v162, v60, -v3
	s_waitcnt vmcnt(18) lgkmcnt(1)
	v_mul_f32_e32 v177, v168, v67
	v_add_f32_e32 v2, v2, v3
	v_mul_f32_e32 v3, v165, v63
	v_fmac_f32_e32 v177, v169, v66
	v_fma_f32 v3, v164, v62, -v3
	v_add_f32_e32 v176, v176, v177
	s_waitcnt vmcnt(16)
	v_mul_f32_e32 v177, v170, v69
	v_add_f32_e32 v2, v2, v3
	v_mul_f32_e32 v3, v167, v65
	v_fmac_f32_e32 v177, v171, v68
	v_fma_f32 v3, v166, v64, -v3
	v_add_f32_e32 v176, v176, v177
	s_waitcnt vmcnt(14) lgkmcnt(0)
	v_mul_f32_e32 v177, v172, v188
	v_add_f32_e32 v2, v2, v3
	v_mul_f32_e32 v3, v169, v67
	v_fmac_f32_e32 v177, v173, v70
	v_fma_f32 v3, v168, v66, -v3
	v_add_f32_e32 v180, v176, v177
	ds_read2_b64 v[176:179], v1 offset0:117 offset1:118
	v_add_f32_e32 v2, v2, v3
	v_mul_f32_e32 v3, v171, v69
	v_fma_f32 v3, v170, v68, -v3
	v_add_f32_e32 v2, v2, v3
	v_mul_f32_e32 v3, v173, v188
	s_waitcnt vmcnt(12)
	v_mul_f32_e32 v181, v174, v190
	v_fma_f32 v3, v172, v70, -v3
	v_fmac_f32_e32 v181, v175, v189
	v_add_f32_e32 v2, v2, v3
	v_mul_f32_e32 v3, v175, v190
	v_add_f32_e32 v184, v180, v181
	ds_read2_b64 v[180:183], v1 offset0:119 offset1:120
	s_waitcnt vmcnt(10) lgkmcnt(1)
	v_mul_f32_e32 v185, v176, v192
	v_fma_f32 v3, v174, v189, -v3
	v_fmac_f32_e32 v185, v177, v191
	v_add_f32_e32 v2, v2, v3
	v_mul_f32_e32 v3, v177, v192
	v_add_f32_e32 v184, v184, v185
	s_waitcnt vmcnt(8)
	v_mul_f32_e32 v185, v178, v194
	v_fma_f32 v3, v176, v191, -v3
	v_fmac_f32_e32 v185, v179, v193
	v_add_f32_e32 v2, v2, v3
	v_mul_f32_e32 v3, v179, v194
	v_add_f32_e32 v203, v184, v185
	ds_read2_b64 v[184:187], v1 offset0:121 offset1:122
	v_fma_f32 v3, v178, v193, -v3
	v_add_f32_e32 v2, v2, v3
	s_waitcnt vmcnt(6) lgkmcnt(1)
	v_mul_f32_e32 v3, v181, v196
	v_mul_f32_e32 v204, v180, v196
	v_fma_f32 v3, v180, v195, -v3
	v_fmac_f32_e32 v204, v181, v195
	v_add_f32_e32 v2, v2, v3
	s_waitcnt vmcnt(4)
	v_mul_f32_e32 v3, v183, v198
	v_add_f32_e32 v1, v203, v204
	v_mul_f32_e32 v203, v182, v198
	v_fma_f32 v3, v182, v197, -v3
	v_fmac_f32_e32 v203, v183, v197
	v_add_f32_e32 v2, v2, v3
	s_waitcnt vmcnt(2) lgkmcnt(0)
	v_mul_f32_e32 v3, v185, v200
	v_add_f32_e32 v1, v1, v203
	v_mul_f32_e32 v203, v184, v200
	v_fma_f32 v3, v184, v199, -v3
	v_fmac_f32_e32 v203, v185, v199
	v_add_f32_e32 v2, v2, v3
	s_waitcnt vmcnt(0)
	v_mul_f32_e32 v3, v187, v202
	v_add_f32_e32 v1, v1, v203
	v_mul_f32_e32 v203, v186, v202
	v_fma_f32 v3, v186, v201, -v3
	v_fmac_f32_e32 v203, v187, v201
	v_add_f32_e32 v2, v2, v3
	v_add_f32_e32 v1, v1, v203
	v_sub_f32_e32 v2, v48, v2
	v_sub_f32_e32 v1, v49, v1
	buffer_store_dword v2, off, s[0:3], 0 offset:240
	buffer_store_dword v1, off, s[0:3], 0 offset:244
	s_and_saveexec_b64 s[4:5], vcc
	s_cbranch_execz .LBB60_321
; %bb.320:
	buffer_load_dword v1, off, s[0:3], 0 offset:232
	buffer_load_dword v2, off, s[0:3], 0 offset:236
	v_mov_b32_e32 v3, 0
	buffer_store_dword v3, off, s[0:3], 0 offset:232
	buffer_store_dword v3, off, s[0:3], 0 offset:236
	s_waitcnt vmcnt(2)
	ds_write_b64 v147, v[1:2]
.LBB60_321:
	s_or_b64 exec, exec, s[4:5]
	s_waitcnt lgkmcnt(0)
	; wave barrier
	buffer_load_dword v24, off, s[0:3], 0 offset:244
	buffer_load_dword v27, off, s[0:3], 0 offset:252
	;; [unrolled: 1-line block ×24, first 2 shown]
	v_mov_b32_e32 v1, 0
	buffer_load_dword v50, off, s[0:3], 0 offset:332
	buffer_load_dword v51, off, s[0:3], 0 offset:328
	;; [unrolled: 1-line block ×32, first 2 shown]
	ds_read_b128 v[2:5], v1 offset:736
	buffer_load_dword v199, off, s[0:3], 0 offset:456
	buffer_load_dword v200, off, s[0:3], 0 offset:460
	;; [unrolled: 1-line block ×4, first 2 shown]
	ds_read_b128 v[6:9], v1 offset:752
	ds_read_b128 v[10:13], v1 offset:768
	;; [unrolled: 1-line block ×3, first 2 shown]
	v_cmp_lt_u32_e32 vcc, 28, v0
	s_waitcnt vmcnt(59) lgkmcnt(3)
	v_mul_f32_e32 v18, v2, v24
	s_waitcnt vmcnt(58)
	v_mul_f32_e32 v19, v4, v27
	s_waitcnt vmcnt(57) lgkmcnt(2)
	v_mul_f32_e32 v20, v6, v28
	s_waitcnt vmcnt(56)
	v_mul_f32_e32 v21, v8, v29
	s_waitcnt vmcnt(55) lgkmcnt(1)
	v_mul_f32_e32 v22, v10, v30
	s_waitcnt vmcnt(54)
	v_mul_f32_e32 v23, v12, v31
	s_waitcnt vmcnt(53) lgkmcnt(0)
	v_mul_f32_e32 v148, v14, v32
	s_waitcnt vmcnt(52)
	v_mul_f32_e32 v149, v16, v33
	s_waitcnt vmcnt(51)
	v_fmac_f32_e32 v18, v3, v34
	s_waitcnt vmcnt(50)
	v_fmac_f32_e32 v19, v5, v35
	v_add_f32_e32 v18, 0, v18
	s_waitcnt vmcnt(49)
	v_fmac_f32_e32 v20, v7, v36
	v_add_f32_e32 v18, v18, v19
	;; [unrolled: 3-line block ×6, first 2 shown]
	v_add_f32_e32 v22, v18, v148
	ds_read_b128 v[18:21], v1 offset:800
	buffer_load_dword v203, off, s[0:3], 0 offset:476
	buffer_load_dword v204, off, s[0:3], 0 offset:472
	;; [unrolled: 1-line block ×4, first 2 shown]
	v_mul_f32_e32 v3, v3, v24
	v_fma_f32 v2, v2, v34, -v3
	v_mul_f32_e32 v3, v5, v27
	v_add_f32_e32 v2, 0, v2
	v_fma_f32 v3, v4, v35, -v3
	v_add_f32_e32 v2, v2, v3
	v_mul_f32_e32 v3, v7, v28
	v_fma_f32 v3, v6, v36, -v3
	v_add_f32_e32 v2, v2, v3
	v_mul_f32_e32 v3, v9, v29
	;; [unrolled: 3-line block ×5, first 2 shown]
	s_waitcnt vmcnt(48)
	v_fmac_f32_e32 v149, v17, v41
	v_fma_f32 v3, v14, v40, -v3
	v_add_f32_e32 v22, v22, v149
	ds_read_b128 v[148:151], v1 offset:816
	ds_read_b128 v[152:155], v1 offset:832
	v_add_f32_e32 v2, v2, v3
	v_mul_f32_e32 v3, v17, v33
	s_waitcnt vmcnt(47) lgkmcnt(2)
	v_mul_f32_e32 v23, v18, v42
	v_fma_f32 v3, v16, v41, -v3
	s_waitcnt vmcnt(46)
	v_fmac_f32_e32 v23, v19, v43
	v_add_f32_e32 v2, v2, v3
	v_mul_f32_e32 v3, v19, v42
	v_add_f32_e32 v22, v22, v23
	s_waitcnt vmcnt(45)
	v_mul_f32_e32 v23, v20, v44
	v_fma_f32 v3, v18, v43, -v3
	s_waitcnt vmcnt(44)
	v_fmac_f32_e32 v23, v21, v45
	v_add_f32_e32 v2, v2, v3
	v_mul_f32_e32 v3, v21, v44
	v_add_f32_e32 v22, v22, v23
	s_waitcnt vmcnt(42) lgkmcnt(1)
	v_mul_f32_e32 v23, v148, v47
	v_fma_f32 v3, v20, v45, -v3
	v_fmac_f32_e32 v23, v149, v46
	v_add_f32_e32 v2, v2, v3
	v_mul_f32_e32 v3, v149, v47
	v_add_f32_e32 v22, v22, v23
	s_waitcnt vmcnt(39)
	v_mul_f32_e32 v23, v150, v50
	v_fma_f32 v3, v148, v46, -v3
	s_waitcnt vmcnt(38)
	v_fmac_f32_e32 v23, v151, v51
	ds_read_b128 v[156:159], v1 offset:848
	ds_read_b128 v[160:163], v1 offset:864
	v_add_f32_e32 v2, v2, v3
	v_mul_f32_e32 v3, v151, v50
	v_add_f32_e32 v22, v22, v23
	s_waitcnt vmcnt(36) lgkmcnt(2)
	v_mul_f32_e32 v23, v152, v53
	v_fma_f32 v3, v150, v51, -v3
	v_fmac_f32_e32 v23, v153, v52
	v_add_f32_e32 v2, v2, v3
	v_mul_f32_e32 v3, v153, v53
	v_add_f32_e32 v22, v22, v23
	s_waitcnt vmcnt(34)
	v_mul_f32_e32 v23, v154, v55
	v_fma_f32 v3, v152, v52, -v3
	v_fmac_f32_e32 v23, v155, v54
	v_add_f32_e32 v2, v2, v3
	v_mul_f32_e32 v3, v155, v55
	v_add_f32_e32 v22, v22, v23
	s_waitcnt vmcnt(32) lgkmcnt(1)
	v_mul_f32_e32 v23, v156, v57
	v_fma_f32 v3, v154, v54, -v3
	v_fmac_f32_e32 v23, v157, v56
	v_add_f32_e32 v2, v2, v3
	v_mul_f32_e32 v3, v157, v57
	v_add_f32_e32 v22, v22, v23
	s_waitcnt vmcnt(30)
	v_mul_f32_e32 v23, v158, v59
	v_fma_f32 v3, v156, v56, -v3
	v_fmac_f32_e32 v23, v159, v58
	ds_read_b128 v[164:167], v1 offset:880
	ds_read_b128 v[168:171], v1 offset:896
	v_add_f32_e32 v2, v2, v3
	v_mul_f32_e32 v3, v159, v59
	v_add_f32_e32 v22, v22, v23
	s_waitcnt vmcnt(28) lgkmcnt(2)
	v_mul_f32_e32 v23, v160, v61
	v_fma_f32 v3, v158, v58, -v3
	v_fmac_f32_e32 v23, v161, v60
	v_add_f32_e32 v2, v2, v3
	v_mul_f32_e32 v3, v161, v61
	v_add_f32_e32 v22, v22, v23
	s_waitcnt vmcnt(26)
	v_mul_f32_e32 v23, v162, v63
	v_fma_f32 v3, v160, v60, -v3
	v_fmac_f32_e32 v23, v163, v62
	v_add_f32_e32 v2, v2, v3
	v_mul_f32_e32 v3, v163, v63
	v_add_f32_e32 v22, v22, v23
	s_waitcnt vmcnt(24) lgkmcnt(1)
	v_mul_f32_e32 v23, v164, v65
	v_fma_f32 v3, v162, v62, -v3
	v_fmac_f32_e32 v23, v165, v64
	v_add_f32_e32 v2, v2, v3
	v_mul_f32_e32 v3, v165, v65
	v_add_f32_e32 v22, v22, v23
	s_waitcnt vmcnt(22)
	v_mul_f32_e32 v23, v166, v67
	v_fma_f32 v3, v164, v64, -v3
	;; [unrolled: 30-line block ×4, first 2 shown]
	v_fmac_f32_e32 v23, v183, v199
	v_add_f32_e32 v2, v2, v3
	v_mul_f32_e32 v3, v183, v200
	v_add_f32_e32 v207, v22, v23
	ds_read_b64 v[22:23], v1 offset:976
	v_fma_f32 v3, v182, v199, -v3
	v_add_f32_e32 v2, v2, v3
	s_waitcnt vmcnt(4) lgkmcnt(1)
	v_mul_f32_e32 v3, v185, v202
	v_mul_f32_e32 v208, v184, v202
	v_fma_f32 v3, v184, v201, -v3
	v_fmac_f32_e32 v208, v185, v201
	v_add_f32_e32 v2, v2, v3
	s_waitcnt vmcnt(3)
	v_mul_f32_e32 v3, v187, v203
	v_add_f32_e32 v207, v207, v208
	v_mul_f32_e32 v208, v186, v203
	s_waitcnt vmcnt(2)
	v_fma_f32 v3, v186, v204, -v3
	v_fmac_f32_e32 v208, v187, v204
	v_add_f32_e32 v2, v2, v3
	s_waitcnt vmcnt(0) lgkmcnt(0)
	v_mul_f32_e32 v3, v23, v206
	v_add_f32_e32 v207, v207, v208
	v_mul_f32_e32 v208, v22, v206
	v_fma_f32 v3, v22, v205, -v3
	v_fmac_f32_e32 v208, v23, v205
	v_add_f32_e32 v2, v2, v3
	v_add_f32_e32 v207, v207, v208
	v_sub_f32_e32 v2, v48, v2
	v_sub_f32_e32 v3, v49, v207
	buffer_store_dword v2, off, s[0:3], 0 offset:232
	buffer_store_dword v3, off, s[0:3], 0 offset:236
	s_and_saveexec_b64 s[4:5], vcc
	s_cbranch_execz .LBB60_323
; %bb.322:
	buffer_load_dword v2, off, s[0:3], 0 offset:224
	buffer_load_dword v3, off, s[0:3], 0 offset:228
	s_waitcnt vmcnt(0)
	ds_write_b64 v147, v[2:3]
	buffer_store_dword v1, off, s[0:3], 0 offset:224
	buffer_store_dword v1, off, s[0:3], 0 offset:228
.LBB60_323:
	s_or_b64 exec, exec, s[4:5]
	s_waitcnt lgkmcnt(0)
	; wave barrier
	buffer_load_dword v22, off, s[0:3], 0 offset:292
	buffer_load_dword v23, off, s[0:3], 0 offset:236
	;; [unrolled: 1-line block ×32, first 2 shown]
	ds_read2_b64 v[2:5], v1 offset0:91 offset1:92
	ds_read2_b64 v[6:9], v1 offset0:93 offset1:94
	;; [unrolled: 1-line block ×4, first 2 shown]
	buffer_load_dword v56, off, s[0:3], 0 offset:352
	buffer_load_dword v57, off, s[0:3], 0 offset:356
	;; [unrolled: 1-line block ×32, first 2 shown]
	v_cmp_lt_u32_e32 vcc, 27, v0
	s_waitcnt vmcnt(62) lgkmcnt(0)
	v_mul_f32_e32 v151, v16, v22
	v_mul_f32_e32 v18, v2, v23
	s_waitcnt vmcnt(61)
	v_mul_f32_e32 v19, v4, v24
	s_waitcnt vmcnt(60)
	;; [unrolled: 2-line block ×3, first 2 shown]
	v_fmac_f32_e32 v20, v7, v28
	s_waitcnt vmcnt(58)
	v_fmac_f32_e32 v19, v5, v29
	s_waitcnt vmcnt(57)
	v_fmac_f32_e32 v18, v3, v30
	v_add_f32_e32 v18, 0, v18
	s_waitcnt vmcnt(56)
	v_mul_f32_e32 v21, v8, v31
	v_add_f32_e32 v18, v18, v19
	s_waitcnt vmcnt(55)
	v_mul_f32_e32 v148, v10, v32
	v_add_f32_e32 v18, v18, v20
	s_waitcnt vmcnt(54)
	v_mul_f32_e32 v149, v12, v33
	s_waitcnt vmcnt(50)
	v_fmac_f32_e32 v148, v11, v37
	s_waitcnt vmcnt(49)
	v_fmac_f32_e32 v21, v9, v38
	v_add_f32_e32 v18, v18, v21
	v_mul_f32_e32 v150, v14, v34
	v_fmac_f32_e32 v149, v13, v36
	v_add_f32_e32 v18, v18, v148
	v_fmac_f32_e32 v150, v15, v35
	v_add_f32_e32 v18, v18, v149
	s_waitcnt vmcnt(44)
	v_fmac_f32_e32 v151, v17, v43
	v_add_f32_e32 v148, v18, v150
	ds_read2_b64 v[18:21], v1 offset0:99 offset1:100
	v_add_f32_e32 v152, v148, v151
	ds_read2_b64 v[148:151], v1 offset0:101 offset1:102
	buffer_load_dword v209, off, s[0:3], 0 offset:480
	buffer_load_dword v210, off, s[0:3], 0 offset:484
	v_mul_f32_e32 v3, v3, v23
	s_waitcnt vmcnt(45) lgkmcnt(1)
	v_mul_f32_e32 v153, v18, v44
	v_fmac_f32_e32 v153, v19, v42
	v_fma_f32 v2, v2, v30, -v3
	v_mul_f32_e32 v3, v5, v24
	v_add_f32_e32 v152, v152, v153
	v_mul_f32_e32 v153, v20, v40
	v_add_f32_e32 v2, 0, v2
	v_fma_f32 v3, v4, v29, -v3
	v_fmac_f32_e32 v153, v21, v39
	v_add_f32_e32 v2, v2, v3
	v_mul_f32_e32 v3, v7, v27
	v_add_f32_e32 v152, v152, v153
	s_waitcnt vmcnt(44) lgkmcnt(0)
	v_mul_f32_e32 v153, v148, v45
	v_fma_f32 v3, v6, v28, -v3
	v_fmac_f32_e32 v153, v149, v41
	v_add_f32_e32 v2, v2, v3
	v_mul_f32_e32 v3, v9, v31
	v_add_f32_e32 v156, v152, v153
	ds_read2_b64 v[152:155], v1 offset0:103 offset1:104
	v_fma_f32 v3, v8, v38, -v3
	v_add_f32_e32 v2, v2, v3
	v_mul_f32_e32 v3, v11, v32
	s_waitcnt vmcnt(40)
	v_mul_f32_e32 v157, v150, v49
	v_fma_f32 v3, v10, v37, -v3
	v_fmac_f32_e32 v157, v151, v48
	v_add_f32_e32 v2, v2, v3
	v_mul_f32_e32 v3, v13, v33
	v_add_f32_e32 v160, v156, v157
	ds_read2_b64 v[156:159], v1 offset0:105 offset1:106
	v_fma_f32 v3, v12, v36, -v3
	s_waitcnt vmcnt(39) lgkmcnt(1)
	v_mul_f32_e32 v161, v152, v50
	v_add_f32_e32 v2, v2, v3
	v_mul_f32_e32 v3, v15, v34
	s_waitcnt vmcnt(34)
	v_fmac_f32_e32 v161, v153, v55
	v_fma_f32 v3, v14, v35, -v3
	v_add_f32_e32 v160, v160, v161
	v_mul_f32_e32 v161, v154, v52
	v_add_f32_e32 v2, v2, v3
	v_mul_f32_e32 v3, v17, v22
	v_fmac_f32_e32 v161, v155, v51
	v_fma_f32 v3, v16, v43, -v3
	v_add_f32_e32 v160, v160, v161
	s_waitcnt lgkmcnt(0)
	v_mul_f32_e32 v161, v156, v54
	v_add_f32_e32 v2, v2, v3
	v_mul_f32_e32 v3, v19, v44
	v_fmac_f32_e32 v161, v157, v53
	v_fma_f32 v3, v18, v42, -v3
	v_add_f32_e32 v164, v160, v161
	ds_read2_b64 v[160:163], v1 offset0:107 offset1:108
	v_add_f32_e32 v2, v2, v3
	v_mul_f32_e32 v3, v21, v40
	v_fma_f32 v3, v20, v39, -v3
	s_waitcnt vmcnt(32)
	v_mul_f32_e32 v165, v158, v57
	v_add_f32_e32 v2, v2, v3
	v_mul_f32_e32 v3, v149, v45
	v_fmac_f32_e32 v165, v159, v56
	v_fma_f32 v3, v148, v41, -v3
	v_add_f32_e32 v168, v164, v165
	ds_read2_b64 v[164:167], v1 offset0:109 offset1:110
	v_add_f32_e32 v2, v2, v3
	v_mul_f32_e32 v3, v151, v49
	s_waitcnt vmcnt(30) lgkmcnt(1)
	v_mul_f32_e32 v169, v160, v59
	v_fma_f32 v3, v150, v48, -v3
	v_fmac_f32_e32 v169, v161, v58
	v_add_f32_e32 v2, v2, v3
	v_mul_f32_e32 v3, v153, v50
	v_add_f32_e32 v168, v168, v169
	s_waitcnt vmcnt(28)
	v_mul_f32_e32 v169, v162, v61
	v_fma_f32 v3, v152, v55, -v3
	v_fmac_f32_e32 v169, v163, v60
	v_add_f32_e32 v2, v2, v3
	v_mul_f32_e32 v3, v155, v52
	v_add_f32_e32 v168, v168, v169
	s_waitcnt vmcnt(26) lgkmcnt(0)
	v_mul_f32_e32 v169, v164, v63
	v_fma_f32 v3, v154, v51, -v3
	v_fmac_f32_e32 v169, v165, v62
	v_add_f32_e32 v2, v2, v3
	v_mul_f32_e32 v3, v157, v54
	v_add_f32_e32 v172, v168, v169
	ds_read2_b64 v[168:171], v1 offset0:111 offset1:112
	v_fma_f32 v3, v156, v53, -v3
	v_add_f32_e32 v2, v2, v3
	v_mul_f32_e32 v3, v159, v57
	s_waitcnt vmcnt(24)
	v_mul_f32_e32 v173, v166, v65
	v_fma_f32 v3, v158, v56, -v3
	v_fmac_f32_e32 v173, v167, v64
	v_add_f32_e32 v2, v2, v3
	v_mul_f32_e32 v3, v161, v59
	v_add_f32_e32 v176, v172, v173
	ds_read2_b64 v[172:175], v1 offset0:113 offset1:114
	v_fma_f32 v3, v160, v58, -v3
	s_waitcnt vmcnt(22) lgkmcnt(1)
	v_mul_f32_e32 v177, v168, v67
	v_add_f32_e32 v2, v2, v3
	v_mul_f32_e32 v3, v163, v61
	v_fmac_f32_e32 v177, v169, v66
	v_fma_f32 v3, v162, v60, -v3
	v_add_f32_e32 v176, v176, v177
	s_waitcnt vmcnt(20)
	v_mul_f32_e32 v177, v170, v69
	v_add_f32_e32 v2, v2, v3
	v_mul_f32_e32 v3, v165, v63
	v_fmac_f32_e32 v177, v171, v68
	v_fma_f32 v3, v164, v62, -v3
	v_add_f32_e32 v176, v176, v177
	s_waitcnt vmcnt(18) lgkmcnt(0)
	v_mul_f32_e32 v177, v172, v192
	v_add_f32_e32 v2, v2, v3
	v_mul_f32_e32 v3, v167, v65
	v_fmac_f32_e32 v177, v173, v70
	v_fma_f32 v3, v166, v64, -v3
	v_add_f32_e32 v180, v176, v177
	ds_read2_b64 v[176:179], v1 offset0:115 offset1:116
	v_add_f32_e32 v2, v2, v3
	v_mul_f32_e32 v3, v169, v67
	v_fma_f32 v3, v168, v66, -v3
	s_waitcnt vmcnt(16)
	v_mul_f32_e32 v181, v174, v194
	v_add_f32_e32 v2, v2, v3
	v_mul_f32_e32 v3, v171, v69
	v_fmac_f32_e32 v181, v175, v193
	v_fma_f32 v3, v170, v68, -v3
	v_add_f32_e32 v184, v180, v181
	ds_read2_b64 v[180:183], v1 offset0:117 offset1:118
	v_add_f32_e32 v2, v2, v3
	v_mul_f32_e32 v3, v173, v192
	s_waitcnt vmcnt(14) lgkmcnt(1)
	v_mul_f32_e32 v185, v176, v196
	v_fma_f32 v3, v172, v70, -v3
	v_fmac_f32_e32 v185, v177, v195
	v_add_f32_e32 v2, v2, v3
	v_mul_f32_e32 v3, v175, v194
	v_add_f32_e32 v184, v184, v185
	s_waitcnt vmcnt(12)
	v_mul_f32_e32 v185, v178, v198
	v_fma_f32 v3, v174, v193, -v3
	v_fmac_f32_e32 v185, v179, v197
	v_add_f32_e32 v2, v2, v3
	v_mul_f32_e32 v3, v177, v196
	v_add_f32_e32 v184, v184, v185
	s_waitcnt vmcnt(10) lgkmcnt(0)
	v_mul_f32_e32 v185, v180, v200
	v_fma_f32 v3, v176, v195, -v3
	v_fmac_f32_e32 v185, v181, v199
	v_add_f32_e32 v2, v2, v3
	v_mul_f32_e32 v3, v179, v198
	v_add_f32_e32 v188, v184, v185
	ds_read2_b64 v[184:187], v1 offset0:119 offset1:120
	v_fma_f32 v3, v178, v197, -v3
	v_add_f32_e32 v2, v2, v3
	v_mul_f32_e32 v3, v181, v200
	s_waitcnt vmcnt(8)
	v_mul_f32_e32 v189, v182, v202
	v_fma_f32 v3, v180, v199, -v3
	v_fmac_f32_e32 v189, v183, v201
	v_add_f32_e32 v2, v2, v3
	v_mul_f32_e32 v3, v183, v202
	v_add_f32_e32 v211, v188, v189
	ds_read2_b64 v[188:191], v1 offset0:121 offset1:122
	v_fma_f32 v3, v182, v201, -v3
	v_add_f32_e32 v2, v2, v3
	s_waitcnt vmcnt(6) lgkmcnt(1)
	v_mul_f32_e32 v3, v185, v204
	v_mul_f32_e32 v1, v184, v204
	v_fma_f32 v3, v184, v203, -v3
	v_fmac_f32_e32 v1, v185, v203
	v_add_f32_e32 v2, v2, v3
	s_waitcnt vmcnt(5)
	v_mul_f32_e32 v3, v187, v205
	v_add_f32_e32 v1, v211, v1
	v_mul_f32_e32 v211, v186, v205
	s_waitcnt vmcnt(2)
	v_fma_f32 v3, v186, v208, -v3
	v_fmac_f32_e32 v211, v187, v208
	v_add_f32_e32 v2, v2, v3
	s_waitcnt lgkmcnt(0)
	v_mul_f32_e32 v3, v189, v207
	v_add_f32_e32 v1, v1, v211
	v_mul_f32_e32 v211, v188, v207
	v_fma_f32 v3, v188, v206, -v3
	v_fmac_f32_e32 v211, v189, v206
	v_add_f32_e32 v2, v2, v3
	s_waitcnt vmcnt(0)
	v_mul_f32_e32 v3, v191, v210
	v_add_f32_e32 v1, v1, v211
	v_mul_f32_e32 v211, v190, v210
	v_fma_f32 v3, v190, v209, -v3
	v_fmac_f32_e32 v211, v191, v209
	v_add_f32_e32 v2, v2, v3
	v_add_f32_e32 v1, v1, v211
	v_sub_f32_e32 v2, v46, v2
	v_sub_f32_e32 v1, v47, v1
	buffer_store_dword v2, off, s[0:3], 0 offset:224
	buffer_store_dword v1, off, s[0:3], 0 offset:228
	s_and_saveexec_b64 s[4:5], vcc
	s_cbranch_execz .LBB60_325
; %bb.324:
	buffer_load_dword v1, off, s[0:3], 0 offset:216
	buffer_load_dword v2, off, s[0:3], 0 offset:220
	v_mov_b32_e32 v3, 0
	buffer_store_dword v3, off, s[0:3], 0 offset:216
	buffer_store_dword v3, off, s[0:3], 0 offset:220
	s_waitcnt vmcnt(2)
	ds_write_b64 v147, v[1:2]
.LBB60_325:
	s_or_b64 exec, exec, s[4:5]
	s_waitcnt lgkmcnt(0)
	; wave barrier
	buffer_load_dword v24, off, s[0:3], 0 offset:284
	buffer_load_dword v27, off, s[0:3], 0 offset:228
	;; [unrolled: 1-line block ×58, first 2 shown]
	v_mov_b32_e32 v1, 0
	ds_read_b128 v[2:5], v1 offset:720
	ds_read_b128 v[6:9], v1 offset:736
	;; [unrolled: 1-line block ×5, first 2 shown]
	buffer_load_dword v205, off, s[0:3], 0 offset:448
	buffer_load_dword v206, off, s[0:3], 0 offset:452
	buffer_load_dword v207, off, s[0:3], 0 offset:460
	buffer_load_dword v208, off, s[0:3], 0 offset:464
	buffer_load_dword v209, off, s[0:3], 0 offset:468
	buffer_load_dword v210, off, s[0:3], 0 offset:456
	v_cmp_lt_u32_e32 vcc, 26, v0
	s_waitcnt vmcnt(62) lgkmcnt(1)
	v_mul_f32_e32 v153, v16, v24
	v_mul_f32_e32 v22, v2, v27
	s_waitcnt vmcnt(61)
	v_mul_f32_e32 v23, v4, v28
	s_waitcnt vmcnt(60)
	v_mul_f32_e32 v148, v6, v29
	s_waitcnt vmcnt(59)
	v_fmac_f32_e32 v148, v7, v30
	s_waitcnt vmcnt(58)
	v_fmac_f32_e32 v23, v5, v31
	s_waitcnt vmcnt(57)
	v_fmac_f32_e32 v22, v3, v32
	v_add_f32_e32 v22, 0, v22
	s_waitcnt vmcnt(56)
	v_mul_f32_e32 v149, v8, v33
	v_add_f32_e32 v22, v22, v23
	s_waitcnt vmcnt(55)
	v_mul_f32_e32 v150, v10, v34
	;; [unrolled: 3-line block ×3, first 2 shown]
	s_waitcnt vmcnt(50)
	v_fmac_f32_e32 v150, v11, v39
	s_waitcnt vmcnt(49)
	v_fmac_f32_e32 v149, v9, v40
	v_add_f32_e32 v22, v22, v149
	v_fmac_f32_e32 v151, v13, v38
	v_add_f32_e32 v22, v22, v150
	v_add_f32_e32 v22, v22, v151
	ds_read_b128 v[148:151], v1 offset:800
	buffer_load_dword v211, off, s[0:3], 0 offset:476
	buffer_load_dword v212, off, s[0:3], 0 offset:480
	;; [unrolled: 1-line block ×4, first 2 shown]
	v_mul_f32_e32 v3, v3, v27
	v_fma_f32 v2, v2, v32, -v3
	v_mul_f32_e32 v3, v5, v28
	v_add_f32_e32 v2, 0, v2
	v_fma_f32 v3, v4, v31, -v3
	v_add_f32_e32 v2, v2, v3
	v_mul_f32_e32 v3, v7, v29
	v_fma_f32 v3, v6, v30, -v3
	v_add_f32_e32 v2, v2, v3
	v_mul_f32_e32 v3, v9, v33
	;; [unrolled: 3-line block ×5, first 2 shown]
	v_mul_f32_e32 v152, v14, v36
	v_fma_f32 v3, v14, v37, -v3
	v_fmac_f32_e32 v152, v15, v37
	v_add_f32_e32 v2, v2, v3
	v_mul_f32_e32 v3, v17, v24
	s_waitcnt vmcnt(48)
	v_fmac_f32_e32 v153, v17, v45
	v_add_f32_e32 v22, v22, v152
	s_waitcnt vmcnt(47) lgkmcnt(1)
	v_mul_f32_e32 v23, v18, v46
	v_fma_f32 v3, v16, v45, -v3
	v_add_f32_e32 v22, v22, v153
	v_fmac_f32_e32 v23, v19, v44
	v_add_f32_e32 v2, v2, v3
	v_mul_f32_e32 v3, v19, v46
	v_add_f32_e32 v22, v22, v23
	s_waitcnt vmcnt(46)
	v_mul_f32_e32 v23, v20, v47
	v_fma_f32 v3, v18, v44, -v3
	v_fmac_f32_e32 v23, v21, v43
	ds_read_b128 v[152:155], v1 offset:816
	ds_read_b128 v[156:159], v1 offset:832
	v_add_f32_e32 v2, v2, v3
	v_mul_f32_e32 v3, v21, v47
	v_add_f32_e32 v22, v22, v23
	s_waitcnt lgkmcnt(2)
	v_mul_f32_e32 v23, v148, v42
	v_fma_f32 v3, v20, v43, -v3
	v_fmac_f32_e32 v23, v149, v41
	v_add_f32_e32 v2, v2, v3
	v_mul_f32_e32 v3, v149, v42
	v_add_f32_e32 v22, v22, v23
	s_waitcnt vmcnt(42)
	v_mul_f32_e32 v23, v150, v51
	v_fma_f32 v3, v148, v41, -v3
	v_fmac_f32_e32 v23, v151, v50
	v_add_f32_e32 v2, v2, v3
	v_mul_f32_e32 v3, v151, v51
	v_add_f32_e32 v22, v22, v23
	s_waitcnt vmcnt(40) lgkmcnt(1)
	v_mul_f32_e32 v23, v152, v53
	v_fma_f32 v3, v150, v50, -v3
	v_fmac_f32_e32 v23, v153, v52
	v_add_f32_e32 v2, v2, v3
	v_mul_f32_e32 v3, v153, v53
	v_add_f32_e32 v22, v22, v23
	s_waitcnt vmcnt(38)
	v_mul_f32_e32 v23, v154, v55
	v_fma_f32 v3, v152, v52, -v3
	v_fmac_f32_e32 v23, v155, v54
	ds_read_b128 v[160:163], v1 offset:848
	ds_read_b128 v[164:167], v1 offset:864
	v_add_f32_e32 v2, v2, v3
	v_mul_f32_e32 v3, v155, v55
	v_add_f32_e32 v22, v22, v23
	s_waitcnt vmcnt(36) lgkmcnt(2)
	v_mul_f32_e32 v23, v156, v57
	v_fma_f32 v3, v154, v54, -v3
	v_fmac_f32_e32 v23, v157, v56
	v_add_f32_e32 v2, v2, v3
	v_mul_f32_e32 v3, v157, v57
	v_add_f32_e32 v22, v22, v23
	s_waitcnt vmcnt(34)
	v_mul_f32_e32 v23, v158, v59
	v_fma_f32 v3, v156, v56, -v3
	v_fmac_f32_e32 v23, v159, v58
	v_add_f32_e32 v2, v2, v3
	v_mul_f32_e32 v3, v159, v59
	v_add_f32_e32 v22, v22, v23
	s_waitcnt vmcnt(32) lgkmcnt(1)
	v_mul_f32_e32 v23, v160, v61
	v_fma_f32 v3, v158, v58, -v3
	v_fmac_f32_e32 v23, v161, v60
	v_add_f32_e32 v2, v2, v3
	v_mul_f32_e32 v3, v161, v61
	v_add_f32_e32 v22, v22, v23
	s_waitcnt vmcnt(30)
	v_mul_f32_e32 v23, v162, v63
	v_fma_f32 v3, v160, v60, -v3
	v_fmac_f32_e32 v23, v163, v62
	ds_read_b128 v[168:171], v1 offset:880
	ds_read_b128 v[172:175], v1 offset:896
	v_add_f32_e32 v2, v2, v3
	v_mul_f32_e32 v3, v163, v63
	v_add_f32_e32 v22, v22, v23
	s_waitcnt vmcnt(28) lgkmcnt(2)
	v_mul_f32_e32 v23, v164, v65
	v_fma_f32 v3, v162, v62, -v3
	v_fmac_f32_e32 v23, v165, v64
	v_add_f32_e32 v2, v2, v3
	v_mul_f32_e32 v3, v165, v65
	v_add_f32_e32 v22, v22, v23
	s_waitcnt vmcnt(26)
	v_mul_f32_e32 v23, v166, v67
	v_fma_f32 v3, v164, v64, -v3
	v_fmac_f32_e32 v23, v167, v66
	v_add_f32_e32 v2, v2, v3
	v_mul_f32_e32 v3, v167, v67
	v_add_f32_e32 v22, v22, v23
	s_waitcnt vmcnt(24) lgkmcnt(1)
	v_mul_f32_e32 v23, v168, v69
	v_fma_f32 v3, v166, v66, -v3
	v_fmac_f32_e32 v23, v169, v68
	v_add_f32_e32 v2, v2, v3
	v_mul_f32_e32 v3, v169, v69
	v_add_f32_e32 v22, v22, v23
	s_waitcnt vmcnt(22)
	v_mul_f32_e32 v23, v170, v192
	v_fma_f32 v3, v168, v68, -v3
	v_fmac_f32_e32 v23, v171, v70
	ds_read_b128 v[176:179], v1 offset:912
	ds_read_b128 v[180:183], v1 offset:928
	v_add_f32_e32 v2, v2, v3
	v_mul_f32_e32 v3, v171, v192
	v_add_f32_e32 v22, v22, v23
	s_waitcnt vmcnt(20) lgkmcnt(2)
	v_mul_f32_e32 v23, v172, v194
	v_fma_f32 v3, v170, v70, -v3
	v_fmac_f32_e32 v23, v173, v193
	v_add_f32_e32 v2, v2, v3
	v_mul_f32_e32 v3, v173, v194
	v_add_f32_e32 v22, v22, v23
	s_waitcnt vmcnt(18)
	v_mul_f32_e32 v23, v174, v196
	v_fma_f32 v3, v172, v193, -v3
	v_fmac_f32_e32 v23, v175, v195
	v_add_f32_e32 v2, v2, v3
	v_mul_f32_e32 v3, v175, v196
	v_add_f32_e32 v22, v22, v23
	s_waitcnt vmcnt(16) lgkmcnt(1)
	v_mul_f32_e32 v23, v176, v198
	v_fma_f32 v3, v174, v195, -v3
	v_fmac_f32_e32 v23, v177, v197
	v_add_f32_e32 v2, v2, v3
	v_mul_f32_e32 v3, v177, v198
	v_add_f32_e32 v22, v22, v23
	s_waitcnt vmcnt(14)
	v_mul_f32_e32 v23, v178, v200
	v_fma_f32 v3, v176, v197, -v3
	v_fmac_f32_e32 v23, v179, v199
	ds_read_b128 v[184:187], v1 offset:944
	ds_read_b128 v[188:191], v1 offset:960
	v_add_f32_e32 v2, v2, v3
	v_mul_f32_e32 v3, v179, v200
	v_add_f32_e32 v22, v22, v23
	s_waitcnt vmcnt(12) lgkmcnt(2)
	v_mul_f32_e32 v23, v180, v202
	v_fma_f32 v3, v178, v199, -v3
	v_fmac_f32_e32 v23, v181, v201
	v_add_f32_e32 v2, v2, v3
	v_mul_f32_e32 v3, v181, v202
	v_add_f32_e32 v22, v22, v23
	s_waitcnt vmcnt(10)
	v_mul_f32_e32 v23, v182, v204
	v_fma_f32 v3, v180, v201, -v3
	v_fmac_f32_e32 v23, v183, v203
	v_add_f32_e32 v2, v2, v3
	v_mul_f32_e32 v3, v183, v204
	v_add_f32_e32 v22, v22, v23
	s_waitcnt vmcnt(8) lgkmcnt(1)
	v_mul_f32_e32 v23, v184, v206
	v_fma_f32 v3, v182, v203, -v3
	v_fmac_f32_e32 v23, v185, v205
	v_add_f32_e32 v2, v2, v3
	v_mul_f32_e32 v3, v185, v206
	v_add_f32_e32 v22, v22, v23
	s_waitcnt vmcnt(7)
	v_mul_f32_e32 v23, v186, v207
	v_fma_f32 v3, v184, v205, -v3
	s_waitcnt vmcnt(4)
	v_fmac_f32_e32 v23, v187, v210
	v_add_f32_e32 v2, v2, v3
	v_mul_f32_e32 v3, v187, v207
	v_add_f32_e32 v215, v22, v23
	ds_read_b64 v[22:23], v1 offset:976
	v_fma_f32 v3, v186, v210, -v3
	v_add_f32_e32 v2, v2, v3
	s_waitcnt lgkmcnt(1)
	v_mul_f32_e32 v3, v189, v209
	v_mul_f32_e32 v216, v188, v209
	v_fma_f32 v3, v188, v208, -v3
	v_fmac_f32_e32 v216, v189, v208
	v_add_f32_e32 v2, v2, v3
	s_waitcnt vmcnt(3)
	v_mul_f32_e32 v3, v191, v211
	v_add_f32_e32 v215, v215, v216
	v_mul_f32_e32 v216, v190, v211
	s_waitcnt vmcnt(0)
	v_fma_f32 v3, v190, v214, -v3
	v_fmac_f32_e32 v216, v191, v214
	v_add_f32_e32 v2, v2, v3
	s_waitcnt lgkmcnt(0)
	v_mul_f32_e32 v3, v23, v213
	v_add_f32_e32 v215, v215, v216
	v_mul_f32_e32 v216, v22, v213
	v_fma_f32 v3, v22, v212, -v3
	v_fmac_f32_e32 v216, v23, v212
	v_add_f32_e32 v2, v2, v3
	v_add_f32_e32 v215, v215, v216
	v_sub_f32_e32 v2, v48, v2
	v_sub_f32_e32 v3, v49, v215
	buffer_store_dword v2, off, s[0:3], 0 offset:216
	buffer_store_dword v3, off, s[0:3], 0 offset:220
	s_and_saveexec_b64 s[4:5], vcc
	s_cbranch_execz .LBB60_327
; %bb.326:
	buffer_load_dword v2, off, s[0:3], 0 offset:208
	buffer_load_dword v3, off, s[0:3], 0 offset:212
	s_waitcnt vmcnt(0)
	ds_write_b64 v147, v[2:3]
	buffer_store_dword v1, off, s[0:3], 0 offset:208
	buffer_store_dword v1, off, s[0:3], 0 offset:212
.LBB60_327:
	s_or_b64 exec, exec, s[4:5]
	s_waitcnt lgkmcnt(0)
	; wave barrier
	buffer_load_dword v22, off, s[0:3], 0 offset:220
	buffer_load_dword v23, off, s[0:3], 0 offset:228
	;; [unrolled: 1-line block ×32, first 2 shown]
	ds_read2_b64 v[2:5], v1 offset0:89 offset1:90
	ds_read2_b64 v[6:9], v1 offset0:91 offset1:92
	;; [unrolled: 1-line block ×6, first 2 shown]
	buffer_load_dword v56, off, s[0:3], 0 offset:336
	buffer_load_dword v57, off, s[0:3], 0 offset:340
	;; [unrolled: 1-line block ×38, first 2 shown]
	v_cmp_lt_u32_e32 vcc, 25, v0
	s_waitcnt vmcnt(62) lgkmcnt(5)
	v_mul_f32_e32 v152, v2, v22
	v_mul_f32_e32 v153, v4, v23
	s_waitcnt lgkmcnt(4)
	v_mul_f32_e32 v154, v6, v24
	v_mul_f32_e32 v155, v8, v27
	s_waitcnt lgkmcnt(3)
	v_mul_f32_e32 v156, v10, v28
	v_mul_f32_e32 v157, v12, v29
	s_waitcnt lgkmcnt(2)
	v_mul_f32_e32 v158, v14, v30
	v_mul_f32_e32 v159, v16, v31
	s_waitcnt vmcnt(61)
	v_fmac_f32_e32 v154, v7, v32
	s_waitcnt vmcnt(60)
	v_fmac_f32_e32 v153, v5, v33
	s_waitcnt vmcnt(59)
	v_fmac_f32_e32 v152, v3, v34
	v_add_f32_e32 v152, 0, v152
	v_add_f32_e32 v152, v152, v153
	v_add_f32_e32 v152, v152, v154
	s_waitcnt vmcnt(55)
	v_fmac_f32_e32 v155, v9, v38
	v_fmac_f32_e32 v156, v11, v37
	v_add_f32_e32 v152, v152, v155
	v_fmac_f32_e32 v157, v13, v36
	v_add_f32_e32 v152, v152, v156
	;; [unrolled: 2-line block ×3, first 2 shown]
	s_waitcnt vmcnt(51)
	v_fmac_f32_e32 v159, v17, v42
	v_add_f32_e32 v152, v152, v158
	s_waitcnt vmcnt(50) lgkmcnt(1)
	v_mul_f32_e32 v153, v18, v43
	v_add_f32_e32 v152, v152, v159
	v_fmac_f32_e32 v153, v19, v41
	v_mul_f32_e32 v3, v3, v22
	v_add_f32_e32 v152, v152, v153
	s_waitcnt vmcnt(49)
	v_mul_f32_e32 v153, v20, v44
	v_fma_f32 v2, v2, v34, -v3
	v_mul_f32_e32 v3, v5, v23
	v_fmac_f32_e32 v153, v21, v40
	v_add_f32_e32 v2, 0, v2
	v_fma_f32 v3, v4, v33, -v3
	v_add_f32_e32 v152, v152, v153
	s_waitcnt vmcnt(48) lgkmcnt(0)
	v_mul_f32_e32 v153, v148, v45
	v_add_f32_e32 v2, v2, v3
	v_mul_f32_e32 v3, v7, v24
	v_fmac_f32_e32 v153, v149, v39
	v_fma_f32 v3, v6, v32, -v3
	v_add_f32_e32 v156, v152, v153
	ds_read2_b64 v[152:155], v1 offset0:101 offset1:102
	v_add_f32_e32 v2, v2, v3
	v_mul_f32_e32 v3, v9, v27
	v_fma_f32 v3, v8, v38, -v3
	s_waitcnt vmcnt(45)
	v_mul_f32_e32 v157, v150, v48
	v_add_f32_e32 v2, v2, v3
	v_mul_f32_e32 v3, v11, v28
	s_waitcnt vmcnt(38)
	v_fmac_f32_e32 v157, v151, v55
	v_fma_f32 v3, v10, v37, -v3
	v_add_f32_e32 v160, v156, v157
	ds_read2_b64 v[156:159], v1 offset0:103 offset1:104
	v_add_f32_e32 v2, v2, v3
	v_mul_f32_e32 v3, v13, v29
	s_waitcnt lgkmcnt(1)
	v_mul_f32_e32 v161, v152, v50
	v_fma_f32 v3, v12, v36, -v3
	v_fmac_f32_e32 v161, v153, v49
	v_add_f32_e32 v2, v2, v3
	v_mul_f32_e32 v3, v15, v30
	v_add_f32_e32 v160, v160, v161
	v_mul_f32_e32 v161, v154, v52
	v_fma_f32 v3, v14, v35, -v3
	v_fmac_f32_e32 v161, v155, v51
	v_add_f32_e32 v2, v2, v3
	v_mul_f32_e32 v3, v17, v31
	v_add_f32_e32 v160, v160, v161
	s_waitcnt lgkmcnt(0)
	v_mul_f32_e32 v161, v156, v54
	v_fma_f32 v3, v16, v42, -v3
	v_fmac_f32_e32 v161, v157, v53
	v_add_f32_e32 v2, v2, v3
	v_mul_f32_e32 v3, v19, v43
	v_add_f32_e32 v164, v160, v161
	ds_read2_b64 v[160:163], v1 offset0:105 offset1:106
	v_fma_f32 v3, v18, v41, -v3
	v_add_f32_e32 v2, v2, v3
	v_mul_f32_e32 v3, v21, v44
	s_waitcnt vmcnt(36)
	v_mul_f32_e32 v165, v158, v57
	v_fma_f32 v3, v20, v40, -v3
	v_fmac_f32_e32 v165, v159, v56
	v_add_f32_e32 v2, v2, v3
	v_mul_f32_e32 v3, v149, v45
	v_add_f32_e32 v168, v164, v165
	ds_read2_b64 v[164:167], v1 offset0:107 offset1:108
	v_fma_f32 v3, v148, v39, -v3
	s_waitcnt vmcnt(34) lgkmcnt(1)
	v_mul_f32_e32 v169, v160, v59
	v_add_f32_e32 v2, v2, v3
	v_mul_f32_e32 v3, v151, v48
	v_fmac_f32_e32 v169, v161, v58
	v_fma_f32 v3, v150, v55, -v3
	v_add_f32_e32 v168, v168, v169
	s_waitcnt vmcnt(32)
	v_mul_f32_e32 v169, v162, v61
	v_add_f32_e32 v2, v2, v3
	v_mul_f32_e32 v3, v153, v50
	v_fmac_f32_e32 v169, v163, v60
	v_fma_f32 v3, v152, v49, -v3
	v_add_f32_e32 v168, v168, v169
	s_waitcnt vmcnt(30) lgkmcnt(0)
	v_mul_f32_e32 v169, v164, v63
	v_add_f32_e32 v2, v2, v3
	v_mul_f32_e32 v3, v155, v52
	v_fmac_f32_e32 v169, v165, v62
	v_fma_f32 v3, v154, v51, -v3
	v_add_f32_e32 v172, v168, v169
	ds_read2_b64 v[168:171], v1 offset0:109 offset1:110
	v_add_f32_e32 v2, v2, v3
	v_mul_f32_e32 v3, v157, v54
	v_fma_f32 v3, v156, v53, -v3
	s_waitcnt vmcnt(28)
	v_mul_f32_e32 v173, v166, v65
	v_add_f32_e32 v2, v2, v3
	v_mul_f32_e32 v3, v159, v57
	v_fmac_f32_e32 v173, v167, v64
	v_fma_f32 v3, v158, v56, -v3
	v_add_f32_e32 v176, v172, v173
	ds_read2_b64 v[172:175], v1 offset0:111 offset1:112
	v_add_f32_e32 v2, v2, v3
	v_mul_f32_e32 v3, v161, v59
	s_waitcnt vmcnt(26) lgkmcnt(1)
	v_mul_f32_e32 v177, v168, v67
	v_fma_f32 v3, v160, v58, -v3
	v_fmac_f32_e32 v177, v169, v66
	v_add_f32_e32 v2, v2, v3
	v_mul_f32_e32 v3, v163, v61
	v_add_f32_e32 v176, v176, v177
	s_waitcnt vmcnt(24)
	v_mul_f32_e32 v177, v170, v69
	v_fma_f32 v3, v162, v60, -v3
	v_fmac_f32_e32 v177, v171, v68
	v_add_f32_e32 v2, v2, v3
	v_mul_f32_e32 v3, v165, v63
	v_add_f32_e32 v176, v176, v177
	s_waitcnt vmcnt(22) lgkmcnt(0)
	v_mul_f32_e32 v177, v172, v196
	v_fma_f32 v3, v164, v62, -v3
	v_fmac_f32_e32 v177, v173, v70
	v_add_f32_e32 v2, v2, v3
	v_mul_f32_e32 v3, v167, v65
	v_add_f32_e32 v180, v176, v177
	ds_read2_b64 v[176:179], v1 offset0:113 offset1:114
	v_fma_f32 v3, v166, v64, -v3
	v_add_f32_e32 v2, v2, v3
	v_mul_f32_e32 v3, v169, v67
	s_waitcnt vmcnt(20)
	v_mul_f32_e32 v181, v174, v198
	v_fma_f32 v3, v168, v66, -v3
	v_fmac_f32_e32 v181, v175, v197
	v_add_f32_e32 v2, v2, v3
	v_mul_f32_e32 v3, v171, v69
	v_add_f32_e32 v184, v180, v181
	ds_read2_b64 v[180:183], v1 offset0:115 offset1:116
	v_fma_f32 v3, v170, v68, -v3
	s_waitcnt vmcnt(18) lgkmcnt(1)
	v_mul_f32_e32 v185, v176, v200
	v_add_f32_e32 v2, v2, v3
	v_mul_f32_e32 v3, v173, v196
	v_fmac_f32_e32 v185, v177, v199
	v_fma_f32 v3, v172, v70, -v3
	v_add_f32_e32 v184, v184, v185
	s_waitcnt vmcnt(16)
	v_mul_f32_e32 v185, v178, v202
	v_add_f32_e32 v2, v2, v3
	v_mul_f32_e32 v3, v175, v198
	v_fmac_f32_e32 v185, v179, v201
	v_fma_f32 v3, v174, v197, -v3
	v_add_f32_e32 v184, v184, v185
	s_waitcnt vmcnt(14) lgkmcnt(0)
	v_mul_f32_e32 v185, v180, v204
	v_add_f32_e32 v2, v2, v3
	v_mul_f32_e32 v3, v177, v200
	v_fmac_f32_e32 v185, v181, v203
	v_fma_f32 v3, v176, v199, -v3
	v_add_f32_e32 v188, v184, v185
	ds_read2_b64 v[184:187], v1 offset0:117 offset1:118
	v_add_f32_e32 v2, v2, v3
	v_mul_f32_e32 v3, v179, v202
	v_fma_f32 v3, v178, v201, -v3
	v_add_f32_e32 v2, v2, v3
	v_mul_f32_e32 v3, v181, v204
	s_waitcnt vmcnt(12)
	v_mul_f32_e32 v189, v182, v206
	v_fma_f32 v3, v180, v203, -v3
	v_fmac_f32_e32 v189, v183, v205
	v_add_f32_e32 v2, v2, v3
	v_mul_f32_e32 v3, v183, v206
	v_add_f32_e32 v192, v188, v189
	ds_read2_b64 v[188:191], v1 offset0:119 offset1:120
	s_waitcnt vmcnt(10) lgkmcnt(1)
	v_mul_f32_e32 v193, v184, v208
	v_fma_f32 v3, v182, v205, -v3
	v_fmac_f32_e32 v193, v185, v207
	v_add_f32_e32 v2, v2, v3
	v_mul_f32_e32 v3, v185, v208
	v_add_f32_e32 v192, v192, v193
	s_waitcnt vmcnt(9)
	v_mul_f32_e32 v193, v186, v209
	v_fma_f32 v3, v184, v207, -v3
	s_waitcnt vmcnt(6)
	v_fmac_f32_e32 v193, v187, v212
	v_add_f32_e32 v2, v2, v3
	v_mul_f32_e32 v3, v187, v209
	v_add_f32_e32 v219, v192, v193
	ds_read2_b64 v[192:195], v1 offset0:121 offset1:122
	v_fma_f32 v3, v186, v212, -v3
	v_add_f32_e32 v2, v2, v3
	s_waitcnt lgkmcnt(1)
	v_mul_f32_e32 v3, v189, v211
	v_mul_f32_e32 v220, v188, v211
	v_fma_f32 v3, v188, v210, -v3
	v_fmac_f32_e32 v220, v189, v210
	v_add_f32_e32 v2, v2, v3
	s_waitcnt vmcnt(4)
	v_mul_f32_e32 v3, v191, v214
	v_add_f32_e32 v1, v219, v220
	v_mul_f32_e32 v219, v190, v214
	v_fma_f32 v3, v190, v213, -v3
	v_fmac_f32_e32 v219, v191, v213
	v_add_f32_e32 v2, v2, v3
	s_waitcnt vmcnt(3) lgkmcnt(0)
	v_mul_f32_e32 v3, v193, v215
	v_add_f32_e32 v1, v1, v219
	v_mul_f32_e32 v219, v192, v215
	s_waitcnt vmcnt(0)
	v_fma_f32 v3, v192, v218, -v3
	v_fmac_f32_e32 v219, v193, v218
	v_add_f32_e32 v2, v2, v3
	v_mul_f32_e32 v3, v195, v217
	v_add_f32_e32 v1, v1, v219
	v_mul_f32_e32 v219, v194, v217
	v_fma_f32 v3, v194, v216, -v3
	v_fmac_f32_e32 v219, v195, v216
	v_add_f32_e32 v2, v2, v3
	v_add_f32_e32 v1, v1, v219
	v_sub_f32_e32 v2, v46, v2
	v_sub_f32_e32 v1, v47, v1
	buffer_store_dword v2, off, s[0:3], 0 offset:208
	buffer_store_dword v1, off, s[0:3], 0 offset:212
	s_and_saveexec_b64 s[4:5], vcc
	s_cbranch_execz .LBB60_329
; %bb.328:
	buffer_load_dword v1, off, s[0:3], 0 offset:200
	buffer_load_dword v2, off, s[0:3], 0 offset:204
	v_mov_b32_e32 v3, 0
	buffer_store_dword v3, off, s[0:3], 0 offset:200
	buffer_store_dword v3, off, s[0:3], 0 offset:204
	s_waitcnt vmcnt(2)
	ds_write_b64 v147, v[1:2]
.LBB60_329:
	s_or_b64 exec, exec, s[4:5]
	s_waitcnt lgkmcnt(0)
	; wave barrier
	buffer_load_dword v24, off, s[0:3], 0 offset:212
	buffer_load_dword v27, off, s[0:3], 0 offset:220
	;; [unrolled: 1-line block ×56, first 2 shown]
	v_mov_b32_e32 v1, 0
	ds_read_b128 v[2:5], v1 offset:704
	ds_read_b128 v[6:9], v1 offset:720
	;; [unrolled: 1-line block ×6, first 2 shown]
	buffer_load_dword v207, off, s[0:3], 0 offset:424
	buffer_load_dword v208, off, s[0:3], 0 offset:428
	;; [unrolled: 1-line block ×16, first 2 shown]
	ds_read_b128 v[160:163], v1 offset:832
	ds_read_b128 v[164:167], v1 offset:848
	ds_read_b128 v[168:171], v1 offset:864
	ds_read_b128 v[172:175], v1 offset:880
	ds_read_b128 v[176:179], v1 offset:896
	ds_read_b128 v[180:183], v1 offset:912
	ds_read_b128 v[184:187], v1 offset:928
	ds_read_b128 v[188:191], v1 offset:944
	ds_read_b128 v[192:195], v1 offset:960
	v_cmp_lt_u32_e32 vcc, 24, v0
	s_waitcnt vmcnt(62) lgkmcnt(14)
	v_mul_f32_e32 v22, v2, v24
	v_mul_f32_e32 v23, v4, v27
	s_waitcnt lgkmcnt(13)
	v_mul_f32_e32 v152, v6, v28
	v_mul_f32_e32 v153, v8, v29
	s_waitcnt lgkmcnt(12)
	;; [unrolled: 3-line block ×4, first 2 shown]
	v_mul_f32_e32 v158, v18, v34
	v_fmac_f32_e32 v152, v7, v35
	s_waitcnt vmcnt(61)
	v_fmac_f32_e32 v23, v5, v36
	s_waitcnt vmcnt(60)
	v_fmac_f32_e32 v22, v3, v37
	v_mul_f32_e32 v3, v3, v24
	v_fma_f32 v2, v2, v37, -v3
	v_mul_f32_e32 v3, v5, v27
	v_add_f32_e32 v2, 0, v2
	v_fma_f32 v3, v4, v36, -v3
	v_add_f32_e32 v2, v2, v3
	v_mul_f32_e32 v3, v7, v28
	v_fma_f32 v3, v6, v35, -v3
	v_add_f32_e32 v2, v2, v3
	v_mul_f32_e32 v3, v9, v29
	s_waitcnt vmcnt(56)
	v_fma_f32 v3, v8, v41, -v3
	v_add_f32_e32 v2, v2, v3
	v_mul_f32_e32 v3, v11, v30
	v_fma_f32 v3, v10, v40, -v3
	v_add_f32_e32 v22, 0, v22
	v_add_f32_e32 v2, v2, v3
	v_mul_f32_e32 v3, v13, v31
	v_add_f32_e32 v22, v22, v23
	v_fma_f32 v3, v12, v39, -v3
	v_fmac_f32_e32 v153, v9, v41
	v_add_f32_e32 v22, v22, v152
	v_add_f32_e32 v2, v2, v3
	v_mul_f32_e32 v3, v15, v32
	v_fmac_f32_e32 v154, v11, v40
	v_add_f32_e32 v22, v22, v153
	v_fma_f32 v3, v14, v38, -v3
	v_fmac_f32_e32 v155, v13, v39
	v_add_f32_e32 v22, v22, v154
	v_add_f32_e32 v2, v2, v3
	v_mul_f32_e32 v3, v17, v33
	v_fmac_f32_e32 v156, v15, v38
	v_add_f32_e32 v22, v22, v155
	s_waitcnt vmcnt(52)
	v_fma_f32 v3, v16, v45, -v3
	v_fmac_f32_e32 v157, v17, v45
	v_add_f32_e32 v22, v22, v156
	v_add_f32_e32 v2, v2, v3
	v_mul_f32_e32 v3, v19, v34
	v_add_f32_e32 v22, v22, v157
	v_fmac_f32_e32 v158, v19, v44
	s_waitcnt vmcnt(51)
	v_mul_f32_e32 v23, v20, v46
	v_fma_f32 v3, v18, v44, -v3
	v_add_f32_e32 v22, v22, v158
	v_fmac_f32_e32 v23, v21, v43
	ds_read_b128 v[152:155], v1 offset:800
	ds_read_b128 v[156:159], v1 offset:816
	v_add_f32_e32 v2, v2, v3
	v_mul_f32_e32 v3, v21, v46
	v_add_f32_e32 v22, v22, v23
	s_waitcnt vmcnt(50) lgkmcnt(11)
	v_mul_f32_e32 v23, v148, v47
	v_fma_f32 v3, v20, v43, -v3
	v_fmac_f32_e32 v23, v149, v42
	v_add_f32_e32 v2, v2, v3
	v_mul_f32_e32 v3, v149, v47
	v_add_f32_e32 v22, v22, v23
	s_waitcnt vmcnt(46)
	v_mul_f32_e32 v23, v150, v51
	v_fma_f32 v3, v148, v42, -v3
	v_fmac_f32_e32 v23, v151, v50
	v_add_f32_e32 v2, v2, v3
	v_mul_f32_e32 v3, v151, v51
	v_add_f32_e32 v22, v22, v23
	s_waitcnt vmcnt(44) lgkmcnt(1)
	v_mul_f32_e32 v23, v152, v53
	v_fma_f32 v3, v150, v50, -v3
	v_fmac_f32_e32 v23, v153, v52
	v_add_f32_e32 v2, v2, v3
	v_mul_f32_e32 v3, v153, v53
	v_add_f32_e32 v22, v22, v23
	s_waitcnt vmcnt(42)
	v_mul_f32_e32 v23, v154, v55
	v_fma_f32 v3, v152, v52, -v3
	v_fmac_f32_e32 v23, v155, v54
	;; [unrolled: 14-line block ×3, first 2 shown]
	v_add_f32_e32 v2, v2, v3
	v_mul_f32_e32 v3, v159, v59
	v_add_f32_e32 v22, v22, v23
	s_waitcnt vmcnt(36)
	v_mul_f32_e32 v23, v160, v61
	v_fma_f32 v3, v158, v58, -v3
	v_fmac_f32_e32 v23, v161, v60
	v_add_f32_e32 v2, v2, v3
	v_mul_f32_e32 v3, v161, v61
	v_add_f32_e32 v22, v22, v23
	s_waitcnt vmcnt(34)
	v_mul_f32_e32 v23, v162, v63
	v_fma_f32 v3, v160, v60, -v3
	v_fmac_f32_e32 v23, v163, v62
	;; [unrolled: 7-line block ×13, first 2 shown]
	v_add_f32_e32 v2, v2, v3
	v_mul_f32_e32 v3, v185, v210
	v_add_f32_e32 v22, v22, v23
	s_waitcnt vmcnt(11)
	v_mul_f32_e32 v23, v186, v211
	v_fma_f32 v3, v184, v209, -v3
	s_waitcnt vmcnt(8)
	v_fmac_f32_e32 v23, v187, v214
	v_add_f32_e32 v2, v2, v3
	v_mul_f32_e32 v3, v187, v211
	v_add_f32_e32 v22, v22, v23
	v_mul_f32_e32 v23, v188, v213
	v_fma_f32 v3, v186, v214, -v3
	v_fmac_f32_e32 v23, v189, v212
	v_add_f32_e32 v2, v2, v3
	v_mul_f32_e32 v3, v189, v213
	v_add_f32_e32 v22, v22, v23
	s_waitcnt vmcnt(6)
	v_mul_f32_e32 v23, v190, v216
	v_fma_f32 v3, v188, v212, -v3
	v_fmac_f32_e32 v23, v191, v215
	v_add_f32_e32 v2, v2, v3
	v_mul_f32_e32 v3, v191, v216
	v_add_f32_e32 v223, v22, v23
	ds_read_b64 v[22:23], v1 offset:976
	v_fma_f32 v3, v190, v215, -v3
	v_add_f32_e32 v2, v2, v3
	s_waitcnt vmcnt(4)
	v_mul_f32_e32 v3, v193, v218
	v_mul_f32_e32 v224, v192, v218
	v_fma_f32 v3, v192, v217, -v3
	v_fmac_f32_e32 v224, v193, v217
	v_add_f32_e32 v2, v2, v3
	s_waitcnt vmcnt(3)
	v_mul_f32_e32 v3, v195, v219
	v_add_f32_e32 v223, v223, v224
	v_mul_f32_e32 v224, v194, v219
	s_waitcnt vmcnt(0)
	v_fma_f32 v3, v194, v222, -v3
	v_fmac_f32_e32 v224, v195, v222
	v_add_f32_e32 v2, v2, v3
	s_waitcnt lgkmcnt(0)
	v_mul_f32_e32 v3, v23, v221
	v_add_f32_e32 v223, v223, v224
	v_mul_f32_e32 v224, v22, v221
	v_fma_f32 v3, v22, v220, -v3
	v_fmac_f32_e32 v224, v23, v220
	v_add_f32_e32 v2, v2, v3
	v_add_f32_e32 v223, v223, v224
	v_sub_f32_e32 v2, v48, v2
	v_sub_f32_e32 v3, v49, v223
	buffer_store_dword v2, off, s[0:3], 0 offset:200
	buffer_store_dword v3, off, s[0:3], 0 offset:204
	s_and_saveexec_b64 s[4:5], vcc
	s_cbranch_execz .LBB60_331
; %bb.330:
	buffer_load_dword v2, off, s[0:3], 0 offset:192
	buffer_load_dword v3, off, s[0:3], 0 offset:196
	s_waitcnt vmcnt(0)
	ds_write_b64 v147, v[2:3]
	buffer_store_dword v1, off, s[0:3], 0 offset:192
	buffer_store_dword v1, off, s[0:3], 0 offset:196
.LBB60_331:
	s_or_b64 exec, exec, s[4:5]
	s_waitcnt lgkmcnt(0)
	; wave barrier
	buffer_load_dword v22, off, s[0:3], 0 offset:204
	buffer_load_dword v23, off, s[0:3], 0 offset:212
	buffer_load_dword v24, off, s[0:3], 0 offset:220
	buffer_load_dword v27, off, s[0:3], 0 offset:228
	buffer_load_dword v28, off, s[0:3], 0 offset:236
	buffer_load_dword v29, off, s[0:3], 0 offset:244
	buffer_load_dword v30, off, s[0:3], 0 offset:252
	buffer_load_dword v31, off, s[0:3], 0 offset:260
	buffer_load_dword v32, off, s[0:3], 0 offset:268
	buffer_load_dword v33, off, s[0:3], 0 offset:216
	buffer_load_dword v34, off, s[0:3], 0 offset:208
	buffer_load_dword v35, off, s[0:3], 0 offset:200
	buffer_load_dword v36, off, s[0:3], 0 offset:248
	buffer_load_dword v37, off, s[0:3], 0 offset:240
	buffer_load_dword v38, off, s[0:3], 0 offset:232
	buffer_load_dword v39, off, s[0:3], 0 offset:224
	buffer_load_dword v40, off, s[0:3], 0 offset:280
	buffer_load_dword v41, off, s[0:3], 0 offset:272
	buffer_load_dword v42, off, s[0:3], 0 offset:264
	buffer_load_dword v43, off, s[0:3], 0 offset:256
	buffer_load_dword v44, off, s[0:3], 0 offset:276
	buffer_load_dword v45, off, s[0:3], 0 offset:284
	buffer_load_dword v46, off, s[0:3], 0 offset:192
	buffer_load_dword v47, off, s[0:3], 0 offset:196
	buffer_load_dword v48, off, s[0:3], 0 offset:288
	buffer_load_dword v49, off, s[0:3], 0 offset:292
	ds_read2_b64 v[2:5], v1 offset0:87 offset1:88
	ds_read2_b64 v[6:9], v1 offset0:89 offset1:90
	;; [unrolled: 1-line block ×6, first 2 shown]
	buffer_load_dword v50, off, s[0:3], 0 offset:296
	buffer_load_dword v51, off, s[0:3], 0 offset:300
	;; [unrolled: 1-line block ×46, first 2 shown]
	v_cmp_lt_u32_e32 vcc, 23, v0
	s_waitcnt vmcnt(62) lgkmcnt(5)
	v_mul_f32_e32 v152, v2, v22
	v_mul_f32_e32 v153, v4, v23
	s_waitcnt lgkmcnt(4)
	v_mul_f32_e32 v154, v6, v24
	v_mul_f32_e32 v155, v8, v27
	s_waitcnt lgkmcnt(3)
	;; [unrolled: 3-line block ×4, first 2 shown]
	v_mul_f32_e32 v160, v18, v32
	v_fmac_f32_e32 v154, v7, v33
	s_waitcnt vmcnt(61)
	v_fmac_f32_e32 v153, v5, v34
	s_waitcnt vmcnt(60)
	v_fmac_f32_e32 v152, v3, v35
	v_add_f32_e32 v152, 0, v152
	v_add_f32_e32 v152, v152, v153
	v_add_f32_e32 v152, v152, v154
	s_waitcnt vmcnt(56)
	v_fmac_f32_e32 v155, v9, v39
	v_fmac_f32_e32 v156, v11, v38
	v_add_f32_e32 v152, v152, v155
	v_fmac_f32_e32 v157, v13, v37
	v_add_f32_e32 v152, v152, v156
	;; [unrolled: 2-line block ×3, first 2 shown]
	s_waitcnt vmcnt(52)
	v_fmac_f32_e32 v159, v17, v43
	v_add_f32_e32 v152, v152, v158
	v_fmac_f32_e32 v160, v19, v42
	v_add_f32_e32 v152, v152, v159
	s_waitcnt vmcnt(51)
	v_mul_f32_e32 v153, v20, v44
	v_add_f32_e32 v152, v152, v160
	v_fmac_f32_e32 v153, v21, v41
	v_add_f32_e32 v152, v152, v153
	s_waitcnt vmcnt(50) lgkmcnt(0)
	v_mul_f32_e32 v153, v148, v45
	v_fmac_f32_e32 v153, v149, v40
	s_waitcnt vmcnt(46)
	v_mul_f32_e32 v157, v150, v49
	v_add_f32_e32 v156, v152, v153
	v_fmac_f32_e32 v157, v151, v48
	ds_read2_b64 v[152:155], v1 offset0:99 offset1:100
	v_add_f32_e32 v160, v156, v157
	ds_read2_b64 v[156:159], v1 offset0:101 offset1:102
	buffer_load_dword v225, off, s[0:3], 0 offset:480
	buffer_load_dword v226, off, s[0:3], 0 offset:484
	v_mul_f32_e32 v3, v3, v22
	v_fma_f32 v2, v2, v35, -v3
	v_mul_f32_e32 v3, v5, v23
	v_add_f32_e32 v2, 0, v2
	v_fma_f32 v3, v4, v34, -v3
	v_add_f32_e32 v2, v2, v3
	v_mul_f32_e32 v3, v7, v24
	v_fma_f32 v3, v6, v33, -v3
	v_add_f32_e32 v2, v2, v3
	v_mul_f32_e32 v3, v9, v27
	;; [unrolled: 3-line block ×3, first 2 shown]
	s_waitcnt vmcnt(46) lgkmcnt(1)
	v_mul_f32_e32 v161, v152, v51
	v_fma_f32 v3, v10, v38, -v3
	v_fmac_f32_e32 v161, v153, v50
	v_add_f32_e32 v2, v2, v3
	v_mul_f32_e32 v3, v13, v29
	v_add_f32_e32 v160, v160, v161
	s_waitcnt vmcnt(44)
	v_mul_f32_e32 v161, v154, v53
	v_fma_f32 v3, v12, v37, -v3
	v_fmac_f32_e32 v161, v155, v52
	v_add_f32_e32 v2, v2, v3
	v_mul_f32_e32 v3, v15, v30
	v_add_f32_e32 v160, v160, v161
	s_waitcnt vmcnt(42) lgkmcnt(0)
	v_mul_f32_e32 v161, v156, v55
	v_fma_f32 v3, v14, v36, -v3
	v_fmac_f32_e32 v161, v157, v54
	v_add_f32_e32 v2, v2, v3
	v_mul_f32_e32 v3, v17, v31
	v_add_f32_e32 v164, v160, v161
	ds_read2_b64 v[160:163], v1 offset0:103 offset1:104
	v_fma_f32 v3, v16, v43, -v3
	v_add_f32_e32 v2, v2, v3
	v_mul_f32_e32 v3, v19, v32
	s_waitcnt vmcnt(40)
	v_mul_f32_e32 v165, v158, v57
	v_fma_f32 v3, v18, v42, -v3
	v_fmac_f32_e32 v165, v159, v56
	v_add_f32_e32 v2, v2, v3
	v_mul_f32_e32 v3, v21, v44
	v_add_f32_e32 v168, v164, v165
	ds_read2_b64 v[164:167], v1 offset0:105 offset1:106
	v_fma_f32 v3, v20, v41, -v3
	s_waitcnt vmcnt(38) lgkmcnt(1)
	v_mul_f32_e32 v169, v160, v59
	v_add_f32_e32 v2, v2, v3
	v_mul_f32_e32 v3, v149, v45
	v_fmac_f32_e32 v169, v161, v58
	v_fma_f32 v3, v148, v40, -v3
	v_add_f32_e32 v168, v168, v169
	s_waitcnt vmcnt(36)
	v_mul_f32_e32 v169, v162, v61
	v_add_f32_e32 v2, v2, v3
	v_mul_f32_e32 v3, v151, v49
	v_fmac_f32_e32 v169, v163, v60
	v_fma_f32 v3, v150, v48, -v3
	v_add_f32_e32 v168, v168, v169
	s_waitcnt vmcnt(34) lgkmcnt(0)
	v_mul_f32_e32 v169, v164, v63
	v_add_f32_e32 v2, v2, v3
	v_mul_f32_e32 v3, v153, v51
	v_fmac_f32_e32 v169, v165, v62
	v_fma_f32 v3, v152, v50, -v3
	v_add_f32_e32 v172, v168, v169
	ds_read2_b64 v[168:171], v1 offset0:107 offset1:108
	v_add_f32_e32 v2, v2, v3
	v_mul_f32_e32 v3, v155, v53
	v_fma_f32 v3, v154, v52, -v3
	s_waitcnt vmcnt(32)
	v_mul_f32_e32 v173, v166, v65
	v_add_f32_e32 v2, v2, v3
	v_mul_f32_e32 v3, v157, v55
	v_fmac_f32_e32 v173, v167, v64
	v_fma_f32 v3, v156, v54, -v3
	v_add_f32_e32 v176, v172, v173
	ds_read2_b64 v[172:175], v1 offset0:109 offset1:110
	v_add_f32_e32 v2, v2, v3
	v_mul_f32_e32 v3, v159, v57
	s_waitcnt vmcnt(30) lgkmcnt(1)
	v_mul_f32_e32 v177, v168, v67
	v_fma_f32 v3, v158, v56, -v3
	v_fmac_f32_e32 v177, v169, v66
	v_add_f32_e32 v2, v2, v3
	v_mul_f32_e32 v3, v161, v59
	v_add_f32_e32 v176, v176, v177
	s_waitcnt vmcnt(28)
	v_mul_f32_e32 v177, v170, v69
	v_fma_f32 v3, v160, v58, -v3
	v_fmac_f32_e32 v177, v171, v68
	v_add_f32_e32 v2, v2, v3
	v_mul_f32_e32 v3, v163, v61
	v_add_f32_e32 v176, v176, v177
	s_waitcnt vmcnt(26) lgkmcnt(0)
	v_mul_f32_e32 v177, v172, v200
	v_fma_f32 v3, v162, v60, -v3
	v_fmac_f32_e32 v177, v173, v70
	v_add_f32_e32 v2, v2, v3
	v_mul_f32_e32 v3, v165, v63
	v_add_f32_e32 v180, v176, v177
	ds_read2_b64 v[176:179], v1 offset0:111 offset1:112
	v_fma_f32 v3, v164, v62, -v3
	v_add_f32_e32 v2, v2, v3
	v_mul_f32_e32 v3, v167, v65
	s_waitcnt vmcnt(24)
	v_mul_f32_e32 v181, v174, v202
	v_fma_f32 v3, v166, v64, -v3
	v_fmac_f32_e32 v181, v175, v201
	v_add_f32_e32 v2, v2, v3
	v_mul_f32_e32 v3, v169, v67
	v_add_f32_e32 v184, v180, v181
	ds_read2_b64 v[180:183], v1 offset0:113 offset1:114
	v_fma_f32 v3, v168, v66, -v3
	s_waitcnt vmcnt(22) lgkmcnt(1)
	v_mul_f32_e32 v185, v176, v204
	v_add_f32_e32 v2, v2, v3
	v_mul_f32_e32 v3, v171, v69
	v_fmac_f32_e32 v185, v177, v203
	v_fma_f32 v3, v170, v68, -v3
	v_add_f32_e32 v184, v184, v185
	s_waitcnt vmcnt(20)
	v_mul_f32_e32 v185, v178, v206
	v_add_f32_e32 v2, v2, v3
	v_mul_f32_e32 v3, v173, v200
	v_fmac_f32_e32 v185, v179, v205
	v_fma_f32 v3, v172, v70, -v3
	v_add_f32_e32 v184, v184, v185
	s_waitcnt vmcnt(18) lgkmcnt(0)
	v_mul_f32_e32 v185, v180, v208
	v_add_f32_e32 v2, v2, v3
	v_mul_f32_e32 v3, v175, v202
	v_fmac_f32_e32 v185, v181, v207
	v_fma_f32 v3, v174, v201, -v3
	v_add_f32_e32 v188, v184, v185
	ds_read2_b64 v[184:187], v1 offset0:115 offset1:116
	v_add_f32_e32 v2, v2, v3
	v_mul_f32_e32 v3, v177, v204
	v_fma_f32 v3, v176, v203, -v3
	s_waitcnt vmcnt(16)
	v_mul_f32_e32 v189, v182, v210
	v_add_f32_e32 v2, v2, v3
	v_mul_f32_e32 v3, v179, v206
	v_fmac_f32_e32 v189, v183, v209
	v_fma_f32 v3, v178, v205, -v3
	v_add_f32_e32 v192, v188, v189
	ds_read2_b64 v[188:191], v1 offset0:117 offset1:118
	v_add_f32_e32 v2, v2, v3
	v_mul_f32_e32 v3, v181, v208
	s_waitcnt vmcnt(14) lgkmcnt(1)
	v_mul_f32_e32 v193, v184, v212
	v_fma_f32 v3, v180, v207, -v3
	v_fmac_f32_e32 v193, v185, v211
	v_add_f32_e32 v2, v2, v3
	v_mul_f32_e32 v3, v183, v210
	v_add_f32_e32 v192, v192, v193
	s_waitcnt vmcnt(13)
	v_mul_f32_e32 v193, v186, v213
	v_fma_f32 v3, v182, v209, -v3
	s_waitcnt vmcnt(10)
	v_fmac_f32_e32 v193, v187, v216
	v_add_f32_e32 v2, v2, v3
	v_mul_f32_e32 v3, v185, v212
	v_add_f32_e32 v192, v192, v193
	s_waitcnt lgkmcnt(0)
	v_mul_f32_e32 v193, v188, v215
	v_fma_f32 v3, v184, v211, -v3
	v_fmac_f32_e32 v193, v189, v214
	v_add_f32_e32 v2, v2, v3
	v_mul_f32_e32 v3, v187, v213
	v_add_f32_e32 v196, v192, v193
	ds_read2_b64 v[192:195], v1 offset0:119 offset1:120
	v_fma_f32 v3, v186, v216, -v3
	v_add_f32_e32 v2, v2, v3
	v_mul_f32_e32 v3, v189, v215
	s_waitcnt vmcnt(8)
	v_mul_f32_e32 v197, v190, v218
	v_fma_f32 v3, v188, v214, -v3
	v_fmac_f32_e32 v197, v191, v217
	v_add_f32_e32 v2, v2, v3
	v_mul_f32_e32 v3, v191, v218
	v_add_f32_e32 v227, v196, v197
	ds_read2_b64 v[196:199], v1 offset0:121 offset1:122
	v_fma_f32 v3, v190, v217, -v3
	v_add_f32_e32 v2, v2, v3
	s_waitcnt vmcnt(6) lgkmcnt(1)
	v_mul_f32_e32 v3, v193, v220
	v_mul_f32_e32 v1, v192, v220
	v_fma_f32 v3, v192, v219, -v3
	v_fmac_f32_e32 v1, v193, v219
	v_add_f32_e32 v2, v2, v3
	s_waitcnt vmcnt(5)
	v_mul_f32_e32 v3, v195, v221
	v_add_f32_e32 v1, v227, v1
	v_mul_f32_e32 v227, v194, v221
	s_waitcnt vmcnt(2)
	v_fma_f32 v3, v194, v224, -v3
	v_fmac_f32_e32 v227, v195, v224
	v_add_f32_e32 v2, v2, v3
	s_waitcnt lgkmcnt(0)
	v_mul_f32_e32 v3, v197, v223
	v_add_f32_e32 v1, v1, v227
	v_mul_f32_e32 v227, v196, v223
	v_fma_f32 v3, v196, v222, -v3
	v_fmac_f32_e32 v227, v197, v222
	v_add_f32_e32 v2, v2, v3
	s_waitcnt vmcnt(0)
	v_mul_f32_e32 v3, v199, v226
	v_add_f32_e32 v1, v1, v227
	v_mul_f32_e32 v227, v198, v226
	v_fma_f32 v3, v198, v225, -v3
	v_fmac_f32_e32 v227, v199, v225
	v_add_f32_e32 v2, v2, v3
	v_add_f32_e32 v1, v1, v227
	v_sub_f32_e32 v2, v46, v2
	v_sub_f32_e32 v1, v47, v1
	buffer_store_dword v2, off, s[0:3], 0 offset:192
	buffer_store_dword v1, off, s[0:3], 0 offset:196
	s_and_saveexec_b64 s[4:5], vcc
	s_cbranch_execz .LBB60_333
; %bb.332:
	buffer_load_dword v1, off, s[0:3], 0 offset:184
	buffer_load_dword v2, off, s[0:3], 0 offset:188
	v_mov_b32_e32 v3, 0
	buffer_store_dword v3, off, s[0:3], 0 offset:184
	buffer_store_dword v3, off, s[0:3], 0 offset:188
	s_waitcnt vmcnt(2)
	ds_write_b64 v147, v[1:2]
.LBB60_333:
	s_or_b64 exec, exec, s[4:5]
	s_waitcnt lgkmcnt(0)
	; wave barrier
	buffer_load_dword v24, off, s[0:3], 0 offset:196
	buffer_load_dword v27, off, s[0:3], 0 offset:204
	;; [unrolled: 1-line block ×50, first 2 shown]
	v_mov_b32_e32 v1, 0
	ds_read_b128 v[2:5], v1 offset:688
	ds_read_b128 v[6:9], v1 offset:704
	;; [unrolled: 1-line block ×6, first 2 shown]
	buffer_load_dword v205, off, s[0:3], 0 offset:384
	buffer_load_dword v206, off, s[0:3], 0 offset:388
	;; [unrolled: 1-line block ×16, first 2 shown]
	v_cmp_lt_u32_e32 vcc, 22, v0
	s_waitcnt vmcnt(62) lgkmcnt(5)
	v_mul_f32_e32 v22, v2, v24
	v_mul_f32_e32 v23, v4, v27
	s_waitcnt lgkmcnt(4)
	v_mul_f32_e32 v152, v6, v28
	v_mul_f32_e32 v153, v8, v29
	s_waitcnt vmcnt(61) lgkmcnt(3)
	v_mul_f32_e32 v154, v10, v30
	s_waitcnt vmcnt(60)
	v_mul_f32_e32 v155, v12, v31
	s_waitcnt vmcnt(59) lgkmcnt(2)
	v_mul_f32_e32 v156, v14, v32
	s_waitcnt vmcnt(58)
	v_mul_f32_e32 v157, v16, v33
	s_waitcnt vmcnt(57) lgkmcnt(1)
	v_mul_f32_e32 v158, v18, v34
	s_waitcnt vmcnt(56)
	v_fmac_f32_e32 v152, v7, v35
	s_waitcnt vmcnt(55)
	v_fmac_f32_e32 v23, v5, v36
	s_waitcnt vmcnt(54)
	v_fmac_f32_e32 v22, v3, v37
	v_add_f32_e32 v22, 0, v22
	v_add_f32_e32 v22, v22, v23
	;; [unrolled: 1-line block ×3, first 2 shown]
	s_waitcnt vmcnt(50)
	v_fmac_f32_e32 v153, v9, v41
	v_fmac_f32_e32 v154, v11, v40
	v_add_f32_e32 v22, v22, v153
	v_fmac_f32_e32 v155, v13, v39
	v_add_f32_e32 v22, v22, v154
	v_add_f32_e32 v22, v22, v155
	ds_read_b128 v[152:155], v1 offset:784
	buffer_load_dword v221, off, s[0:3], 0 offset:448
	buffer_load_dword v222, off, s[0:3], 0 offset:452
	;; [unrolled: 1-line block ×6, first 2 shown]
	v_fmac_f32_e32 v156, v15, v38
	s_waitcnt vmcnt(52)
	v_fmac_f32_e32 v157, v17, v45
	v_add_f32_e32 v22, v22, v156
	v_fmac_f32_e32 v158, v19, v44
	v_add_f32_e32 v22, v22, v157
	v_add_f32_e32 v22, v22, v158
	ds_read_b128 v[156:159], v1 offset:800
	buffer_load_dword v227, off, s[0:3], 0 offset:476
	buffer_load_dword v228, off, s[0:3], 0 offset:480
	;; [unrolled: 1-line block ×4, first 2 shown]
	v_mul_f32_e32 v3, v3, v24
	v_fma_f32 v2, v2, v37, -v3
	v_mul_f32_e32 v3, v5, v27
	v_add_f32_e32 v2, 0, v2
	v_fma_f32 v3, v4, v36, -v3
	v_add_f32_e32 v2, v2, v3
	v_mul_f32_e32 v3, v7, v28
	v_fma_f32 v3, v6, v35, -v3
	v_add_f32_e32 v2, v2, v3
	v_mul_f32_e32 v3, v9, v29
	;; [unrolled: 3-line block ×7, first 2 shown]
	s_waitcnt vmcnt(55)
	v_mul_f32_e32 v23, v20, v46
	v_fma_f32 v3, v18, v44, -v3
	v_fmac_f32_e32 v23, v21, v43
	v_add_f32_e32 v2, v2, v3
	v_mul_f32_e32 v3, v21, v46
	v_add_f32_e32 v22, v22, v23
	s_waitcnt vmcnt(54) lgkmcnt(2)
	v_mul_f32_e32 v23, v148, v47
	v_fma_f32 v3, v20, v43, -v3
	v_fmac_f32_e32 v23, v149, v42
	v_add_f32_e32 v2, v2, v3
	v_mul_f32_e32 v3, v149, v47
	v_add_f32_e32 v22, v22, v23
	s_waitcnt vmcnt(53)
	v_mul_f32_e32 v23, v150, v48
	v_fma_f32 v3, v148, v42, -v3
	s_waitcnt vmcnt(46)
	v_fmac_f32_e32 v23, v151, v55
	v_add_f32_e32 v2, v2, v3
	v_mul_f32_e32 v3, v151, v48
	v_add_f32_e32 v22, v22, v23
	s_waitcnt lgkmcnt(1)
	v_mul_f32_e32 v23, v152, v50
	v_fma_f32 v3, v150, v55, -v3
	v_fmac_f32_e32 v23, v153, v49
	v_add_f32_e32 v2, v2, v3
	v_mul_f32_e32 v3, v153, v50
	v_add_f32_e32 v22, v22, v23
	v_mul_f32_e32 v23, v154, v52
	v_fma_f32 v3, v152, v49, -v3
	v_fmac_f32_e32 v23, v155, v51
	ds_read_b128 v[160:163], v1 offset:816
	ds_read_b128 v[164:167], v1 offset:832
	v_add_f32_e32 v2, v2, v3
	v_mul_f32_e32 v3, v155, v52
	v_add_f32_e32 v22, v22, v23
	s_waitcnt lgkmcnt(2)
	v_mul_f32_e32 v23, v156, v54
	v_fma_f32 v3, v154, v51, -v3
	v_fmac_f32_e32 v23, v157, v53
	v_add_f32_e32 v2, v2, v3
	v_mul_f32_e32 v3, v157, v54
	v_add_f32_e32 v22, v22, v23
	s_waitcnt vmcnt(42)
	v_mul_f32_e32 v23, v158, v59
	v_fma_f32 v3, v156, v53, -v3
	v_fmac_f32_e32 v23, v159, v58
	v_add_f32_e32 v2, v2, v3
	v_mul_f32_e32 v3, v159, v59
	v_add_f32_e32 v22, v22, v23
	s_waitcnt vmcnt(40) lgkmcnt(1)
	v_mul_f32_e32 v23, v160, v61
	v_fma_f32 v3, v158, v58, -v3
	v_fmac_f32_e32 v23, v161, v60
	v_add_f32_e32 v2, v2, v3
	v_mul_f32_e32 v3, v161, v61
	v_add_f32_e32 v22, v22, v23
	s_waitcnt vmcnt(38)
	v_mul_f32_e32 v23, v162, v63
	v_fma_f32 v3, v160, v60, -v3
	v_fmac_f32_e32 v23, v163, v62
	ds_read_b128 v[168:171], v1 offset:848
	ds_read_b128 v[172:175], v1 offset:864
	v_add_f32_e32 v2, v2, v3
	v_mul_f32_e32 v3, v163, v63
	v_add_f32_e32 v22, v22, v23
	s_waitcnt vmcnt(36) lgkmcnt(2)
	v_mul_f32_e32 v23, v164, v65
	v_fma_f32 v3, v162, v62, -v3
	v_fmac_f32_e32 v23, v165, v64
	v_add_f32_e32 v2, v2, v3
	v_mul_f32_e32 v3, v165, v65
	v_add_f32_e32 v22, v22, v23
	s_waitcnt vmcnt(34)
	v_mul_f32_e32 v23, v166, v67
	v_fma_f32 v3, v164, v64, -v3
	v_fmac_f32_e32 v23, v167, v66
	v_add_f32_e32 v2, v2, v3
	v_mul_f32_e32 v3, v167, v67
	v_add_f32_e32 v22, v22, v23
	s_waitcnt vmcnt(32) lgkmcnt(1)
	v_mul_f32_e32 v23, v168, v69
	v_fma_f32 v3, v166, v66, -v3
	v_fmac_f32_e32 v23, v169, v68
	v_add_f32_e32 v2, v2, v3
	v_mul_f32_e32 v3, v169, v69
	v_add_f32_e32 v22, v22, v23
	s_waitcnt vmcnt(30)
	v_mul_f32_e32 v23, v170, v200
	v_fma_f32 v3, v168, v68, -v3
	v_fmac_f32_e32 v23, v171, v70
	ds_read_b128 v[176:179], v1 offset:880
	ds_read_b128 v[180:183], v1 offset:896
	v_add_f32_e32 v2, v2, v3
	v_mul_f32_e32 v3, v171, v200
	v_add_f32_e32 v22, v22, v23
	s_waitcnt vmcnt(28) lgkmcnt(2)
	v_mul_f32_e32 v23, v172, v202
	v_fma_f32 v3, v170, v70, -v3
	v_fmac_f32_e32 v23, v173, v201
	v_add_f32_e32 v2, v2, v3
	v_mul_f32_e32 v3, v173, v202
	v_add_f32_e32 v22, v22, v23
	s_waitcnt vmcnt(26)
	v_mul_f32_e32 v23, v174, v204
	v_fma_f32 v3, v172, v201, -v3
	v_fmac_f32_e32 v23, v175, v203
	v_add_f32_e32 v2, v2, v3
	v_mul_f32_e32 v3, v175, v204
	v_add_f32_e32 v22, v22, v23
	s_waitcnt vmcnt(24) lgkmcnt(1)
	v_mul_f32_e32 v23, v176, v206
	v_fma_f32 v3, v174, v203, -v3
	v_fmac_f32_e32 v23, v177, v205
	v_add_f32_e32 v2, v2, v3
	v_mul_f32_e32 v3, v177, v206
	v_add_f32_e32 v22, v22, v23
	s_waitcnt vmcnt(23)
	v_mul_f32_e32 v23, v178, v207
	v_fma_f32 v3, v176, v205, -v3
	s_waitcnt vmcnt(20)
	v_fmac_f32_e32 v23, v179, v210
	ds_read_b128 v[184:187], v1 offset:912
	ds_read_b128 v[188:191], v1 offset:928
	v_add_f32_e32 v2, v2, v3
	v_mul_f32_e32 v3, v179, v207
	v_add_f32_e32 v22, v22, v23
	s_waitcnt lgkmcnt(2)
	v_mul_f32_e32 v23, v180, v209
	v_fma_f32 v3, v178, v210, -v3
	v_fmac_f32_e32 v23, v181, v208
	v_add_f32_e32 v2, v2, v3
	v_mul_f32_e32 v3, v181, v209
	v_add_f32_e32 v22, v22, v23
	s_waitcnt vmcnt(18)
	v_mul_f32_e32 v23, v182, v212
	v_fma_f32 v3, v180, v208, -v3
	v_fmac_f32_e32 v23, v183, v211
	v_add_f32_e32 v2, v2, v3
	v_mul_f32_e32 v3, v183, v212
	v_add_f32_e32 v22, v22, v23
	s_waitcnt vmcnt(16) lgkmcnt(1)
	v_mul_f32_e32 v23, v184, v214
	v_fma_f32 v3, v182, v211, -v3
	v_fmac_f32_e32 v23, v185, v213
	v_add_f32_e32 v2, v2, v3
	v_mul_f32_e32 v3, v185, v214
	v_add_f32_e32 v22, v22, v23
	s_waitcnt vmcnt(15)
	v_mul_f32_e32 v23, v186, v215
	v_fma_f32 v3, v184, v213, -v3
	s_waitcnt vmcnt(12)
	v_fmac_f32_e32 v23, v187, v218
	ds_read_b128 v[192:195], v1 offset:944
	ds_read_b128 v[196:199], v1 offset:960
	v_add_f32_e32 v2, v2, v3
	v_mul_f32_e32 v3, v187, v215
	v_add_f32_e32 v22, v22, v23
	s_waitcnt lgkmcnt(2)
	v_mul_f32_e32 v23, v188, v217
	v_fma_f32 v3, v186, v218, -v3
	v_fmac_f32_e32 v23, v189, v216
	v_add_f32_e32 v2, v2, v3
	v_mul_f32_e32 v3, v189, v217
	v_add_f32_e32 v22, v22, v23
	s_waitcnt vmcnt(10)
	v_mul_f32_e32 v23, v190, v220
	v_fma_f32 v3, v188, v216, -v3
	v_fmac_f32_e32 v23, v191, v219
	v_add_f32_e32 v2, v2, v3
	v_mul_f32_e32 v3, v191, v220
	v_add_f32_e32 v22, v22, v23
	s_waitcnt vmcnt(8) lgkmcnt(1)
	v_mul_f32_e32 v23, v192, v222
	v_fma_f32 v3, v190, v219, -v3
	v_fmac_f32_e32 v23, v193, v221
	v_add_f32_e32 v2, v2, v3
	v_mul_f32_e32 v3, v193, v222
	v_add_f32_e32 v22, v22, v23
	s_waitcnt vmcnt(7)
	v_mul_f32_e32 v23, v194, v223
	v_fma_f32 v3, v192, v221, -v3
	s_waitcnt vmcnt(4)
	v_fmac_f32_e32 v23, v195, v226
	v_add_f32_e32 v2, v2, v3
	v_mul_f32_e32 v3, v195, v223
	v_add_f32_e32 v231, v22, v23
	ds_read_b64 v[22:23], v1 offset:976
	v_fma_f32 v3, v194, v226, -v3
	v_add_f32_e32 v2, v2, v3
	s_waitcnt lgkmcnt(1)
	v_mul_f32_e32 v3, v197, v225
	v_mul_f32_e32 v232, v196, v225
	v_fma_f32 v3, v196, v224, -v3
	v_fmac_f32_e32 v232, v197, v224
	v_add_f32_e32 v2, v2, v3
	s_waitcnt vmcnt(3)
	v_mul_f32_e32 v3, v199, v227
	v_add_f32_e32 v231, v231, v232
	v_mul_f32_e32 v232, v198, v227
	s_waitcnt vmcnt(0)
	v_fma_f32 v3, v198, v230, -v3
	v_fmac_f32_e32 v232, v199, v230
	v_add_f32_e32 v2, v2, v3
	s_waitcnt lgkmcnt(0)
	v_mul_f32_e32 v3, v23, v229
	v_add_f32_e32 v231, v231, v232
	v_mul_f32_e32 v232, v22, v229
	v_fma_f32 v3, v22, v228, -v3
	v_fmac_f32_e32 v232, v23, v228
	v_add_f32_e32 v2, v2, v3
	v_add_f32_e32 v231, v231, v232
	v_sub_f32_e32 v2, v56, v2
	v_sub_f32_e32 v3, v57, v231
	buffer_store_dword v2, off, s[0:3], 0 offset:184
	buffer_store_dword v3, off, s[0:3], 0 offset:188
	s_and_saveexec_b64 s[4:5], vcc
	s_cbranch_execz .LBB60_335
; %bb.334:
	buffer_load_dword v2, off, s[0:3], 0 offset:176
	buffer_load_dword v3, off, s[0:3], 0 offset:180
	s_waitcnt vmcnt(0)
	ds_write_b64 v147, v[2:3]
	buffer_store_dword v1, off, s[0:3], 0 offset:176
	buffer_store_dword v1, off, s[0:3], 0 offset:180
.LBB60_335:
	s_or_b64 exec, exec, s[4:5]
	s_waitcnt lgkmcnt(0)
	; wave barrier
	buffer_load_dword v22, off, s[0:3], 0 offset:188
	buffer_load_dword v23, off, s[0:3], 0 offset:196
	;; [unrolled: 1-line block ×32, first 2 shown]
	ds_read2_b64 v[2:5], v1 offset0:85 offset1:86
	ds_read2_b64 v[6:9], v1 offset0:87 offset1:88
	;; [unrolled: 1-line block ×6, first 2 shown]
	buffer_load_dword v56, off, s[0:3], 0 offset:304
	buffer_load_dword v57, off, s[0:3], 0 offset:308
	;; [unrolled: 1-line block ×32, first 2 shown]
	v_cmp_lt_u32_e32 vcc, 21, v0
	s_waitcnt vmcnt(62) lgkmcnt(5)
	v_mul_f32_e32 v152, v2, v22
	v_mul_f32_e32 v153, v4, v23
	s_waitcnt vmcnt(61) lgkmcnt(4)
	v_mul_f32_e32 v154, v6, v24
	s_waitcnt vmcnt(60)
	v_mul_f32_e32 v155, v8, v27
	s_waitcnt vmcnt(59) lgkmcnt(3)
	v_mul_f32_e32 v156, v10, v28
	s_waitcnt vmcnt(58)
	;; [unrolled: 4-line block ×4, first 2 shown]
	v_mul_f32_e32 v161, v20, v33
	s_waitcnt vmcnt(53)
	v_fmac_f32_e32 v154, v7, v34
	s_waitcnt vmcnt(52)
	v_fmac_f32_e32 v153, v5, v35
	;; [unrolled: 2-line block ×3, first 2 shown]
	v_add_f32_e32 v152, 0, v152
	v_add_f32_e32 v152, v152, v153
	;; [unrolled: 1-line block ×3, first 2 shown]
	s_waitcnt vmcnt(47)
	v_fmac_f32_e32 v155, v9, v40
	v_fmac_f32_e32 v156, v11, v39
	v_add_f32_e32 v152, v152, v155
	v_fmac_f32_e32 v157, v13, v38
	v_add_f32_e32 v152, v152, v156
	;; [unrolled: 2-line block ×3, first 2 shown]
	s_waitcnt vmcnt(43)
	v_fmac_f32_e32 v159, v17, v44
	v_add_f32_e32 v152, v152, v158
	v_fmac_f32_e32 v160, v19, v43
	v_add_f32_e32 v152, v152, v159
	;; [unrolled: 2-line block ×3, first 2 shown]
	s_waitcnt vmcnt(42) lgkmcnt(0)
	v_mul_f32_e32 v153, v148, v45
	v_add_f32_e32 v152, v152, v161
	v_fmac_f32_e32 v153, v149, v41
	v_add_f32_e32 v156, v152, v153
	ds_read2_b64 v[152:155], v1 offset0:97 offset1:98
	buffer_load_dword v221, off, s[0:3], 0 offset:432
	buffer_load_dword v222, off, s[0:3], 0 offset:436
	s_waitcnt vmcnt(43)
	v_mul_f32_e32 v157, v150, v46
	s_waitcnt vmcnt(37)
	v_fmac_f32_e32 v157, v151, v52
	v_add_f32_e32 v160, v156, v157
	ds_read2_b64 v[156:159], v1 offset0:99 offset1:100
	buffer_load_dword v223, off, s[0:3], 0 offset:440
	buffer_load_dword v224, off, s[0:3], 0 offset:444
	;; [unrolled: 1-line block ×12, first 2 shown]
	v_mul_f32_e32 v3, v3, v22
	v_fma_f32 v2, v2, v36, -v3
	v_mul_f32_e32 v3, v5, v23
	v_add_f32_e32 v2, 0, v2
	v_fma_f32 v3, v4, v35, -v3
	v_add_f32_e32 v2, v2, v3
	v_mul_f32_e32 v3, v7, v24
	v_fma_f32 v3, v6, v34, -v3
	v_add_f32_e32 v2, v2, v3
	v_mul_f32_e32 v3, v9, v27
	v_fma_f32 v3, v8, v40, -v3
	s_waitcnt vmcnt(48) lgkmcnt(1)
	v_mul_f32_e32 v161, v152, v53
	v_add_f32_e32 v2, v2, v3
	v_mul_f32_e32 v3, v11, v28
	v_fmac_f32_e32 v161, v153, v51
	v_fma_f32 v3, v10, v39, -v3
	v_add_f32_e32 v160, v160, v161
	v_mul_f32_e32 v161, v154, v48
	v_add_f32_e32 v2, v2, v3
	v_mul_f32_e32 v3, v13, v29
	v_fmac_f32_e32 v161, v155, v47
	v_fma_f32 v3, v12, v38, -v3
	v_add_f32_e32 v160, v160, v161
	s_waitcnt lgkmcnt(0)
	v_mul_f32_e32 v161, v156, v50
	v_add_f32_e32 v2, v2, v3
	v_mul_f32_e32 v3, v15, v30
	v_fmac_f32_e32 v161, v157, v49
	v_fma_f32 v3, v14, v37, -v3
	v_add_f32_e32 v164, v160, v161
	ds_read2_b64 v[160:163], v1 offset0:101 offset1:102
	v_add_f32_e32 v2, v2, v3
	v_mul_f32_e32 v3, v17, v31
	v_fma_f32 v3, v16, v44, -v3
	s_waitcnt vmcnt(44)
	v_mul_f32_e32 v165, v158, v57
	v_add_f32_e32 v2, v2, v3
	v_mul_f32_e32 v3, v19, v32
	v_fmac_f32_e32 v165, v159, v56
	v_fma_f32 v3, v18, v43, -v3
	v_add_f32_e32 v168, v164, v165
	ds_read2_b64 v[164:167], v1 offset0:103 offset1:104
	v_add_f32_e32 v2, v2, v3
	v_mul_f32_e32 v3, v21, v33
	s_waitcnt vmcnt(42) lgkmcnt(1)
	v_mul_f32_e32 v169, v160, v59
	v_fma_f32 v3, v20, v42, -v3
	v_fmac_f32_e32 v169, v161, v58
	v_add_f32_e32 v2, v2, v3
	v_mul_f32_e32 v3, v149, v45
	v_add_f32_e32 v168, v168, v169
	s_waitcnt vmcnt(40)
	v_mul_f32_e32 v169, v162, v61
	v_fma_f32 v3, v148, v41, -v3
	v_fmac_f32_e32 v169, v163, v60
	v_add_f32_e32 v2, v2, v3
	v_mul_f32_e32 v3, v151, v46
	v_add_f32_e32 v168, v168, v169
	s_waitcnt vmcnt(38) lgkmcnt(0)
	v_mul_f32_e32 v169, v164, v63
	v_fma_f32 v3, v150, v52, -v3
	v_fmac_f32_e32 v169, v165, v62
	v_add_f32_e32 v2, v2, v3
	v_mul_f32_e32 v3, v153, v53
	v_add_f32_e32 v172, v168, v169
	ds_read2_b64 v[168:171], v1 offset0:105 offset1:106
	v_fma_f32 v3, v152, v51, -v3
	v_add_f32_e32 v2, v2, v3
	v_mul_f32_e32 v3, v155, v48
	s_waitcnt vmcnt(36)
	v_mul_f32_e32 v173, v166, v65
	v_fma_f32 v3, v154, v47, -v3
	v_fmac_f32_e32 v173, v167, v64
	v_add_f32_e32 v2, v2, v3
	v_mul_f32_e32 v3, v157, v50
	v_add_f32_e32 v176, v172, v173
	ds_read2_b64 v[172:175], v1 offset0:107 offset1:108
	v_fma_f32 v3, v156, v49, -v3
	s_waitcnt vmcnt(34) lgkmcnt(1)
	v_mul_f32_e32 v177, v168, v67
	v_add_f32_e32 v2, v2, v3
	v_mul_f32_e32 v3, v159, v57
	v_fmac_f32_e32 v177, v169, v66
	v_fma_f32 v3, v158, v56, -v3
	v_add_f32_e32 v176, v176, v177
	s_waitcnt vmcnt(32)
	v_mul_f32_e32 v177, v170, v69
	v_add_f32_e32 v2, v2, v3
	v_mul_f32_e32 v3, v161, v59
	v_fmac_f32_e32 v177, v171, v68
	v_fma_f32 v3, v160, v58, -v3
	v_add_f32_e32 v176, v176, v177
	s_waitcnt vmcnt(30) lgkmcnt(0)
	v_mul_f32_e32 v177, v172, v204
	v_add_f32_e32 v2, v2, v3
	v_mul_f32_e32 v3, v163, v61
	v_fmac_f32_e32 v177, v173, v70
	v_fma_f32 v3, v162, v60, -v3
	v_add_f32_e32 v180, v176, v177
	ds_read2_b64 v[176:179], v1 offset0:109 offset1:110
	v_add_f32_e32 v2, v2, v3
	v_mul_f32_e32 v3, v165, v63
	v_fma_f32 v3, v164, v62, -v3
	s_waitcnt vmcnt(28)
	v_mul_f32_e32 v181, v174, v206
	v_add_f32_e32 v2, v2, v3
	v_mul_f32_e32 v3, v167, v65
	v_fmac_f32_e32 v181, v175, v205
	v_fma_f32 v3, v166, v64, -v3
	v_add_f32_e32 v184, v180, v181
	ds_read2_b64 v[180:183], v1 offset0:111 offset1:112
	v_add_f32_e32 v2, v2, v3
	v_mul_f32_e32 v3, v169, v67
	s_waitcnt vmcnt(26) lgkmcnt(1)
	v_mul_f32_e32 v185, v176, v208
	v_fma_f32 v3, v168, v66, -v3
	v_fmac_f32_e32 v185, v177, v207
	v_add_f32_e32 v2, v2, v3
	v_mul_f32_e32 v3, v171, v69
	v_add_f32_e32 v184, v184, v185
	s_waitcnt vmcnt(25)
	v_mul_f32_e32 v185, v178, v209
	v_fma_f32 v3, v170, v68, -v3
	s_waitcnt vmcnt(22)
	v_fmac_f32_e32 v185, v179, v212
	v_add_f32_e32 v2, v2, v3
	v_mul_f32_e32 v3, v173, v204
	v_add_f32_e32 v184, v184, v185
	s_waitcnt lgkmcnt(0)
	v_mul_f32_e32 v185, v180, v211
	v_fma_f32 v3, v172, v70, -v3
	v_fmac_f32_e32 v185, v181, v210
	v_add_f32_e32 v2, v2, v3
	v_mul_f32_e32 v3, v175, v206
	v_add_f32_e32 v188, v184, v185
	ds_read2_b64 v[184:187], v1 offset0:113 offset1:114
	v_fma_f32 v3, v174, v205, -v3
	v_add_f32_e32 v2, v2, v3
	v_mul_f32_e32 v3, v177, v208
	s_waitcnt vmcnt(20)
	v_mul_f32_e32 v189, v182, v214
	v_fma_f32 v3, v176, v207, -v3
	v_fmac_f32_e32 v189, v183, v213
	v_add_f32_e32 v2, v2, v3
	v_mul_f32_e32 v3, v179, v209
	v_add_f32_e32 v192, v188, v189
	ds_read2_b64 v[188:191], v1 offset0:115 offset1:116
	v_fma_f32 v3, v178, v212, -v3
	s_waitcnt vmcnt(18) lgkmcnt(1)
	v_mul_f32_e32 v193, v184, v216
	v_add_f32_e32 v2, v2, v3
	v_mul_f32_e32 v3, v181, v211
	v_fmac_f32_e32 v193, v185, v215
	v_fma_f32 v3, v180, v210, -v3
	v_add_f32_e32 v192, v192, v193
	s_waitcnt vmcnt(17)
	v_mul_f32_e32 v193, v186, v217
	v_add_f32_e32 v2, v2, v3
	v_mul_f32_e32 v3, v183, v214
	s_waitcnt vmcnt(14)
	v_fmac_f32_e32 v193, v187, v220
	v_fma_f32 v3, v182, v213, -v3
	v_add_f32_e32 v192, v192, v193
	s_waitcnt lgkmcnt(0)
	v_mul_f32_e32 v193, v188, v219
	v_add_f32_e32 v2, v2, v3
	v_mul_f32_e32 v3, v185, v216
	v_fmac_f32_e32 v193, v189, v218
	v_fma_f32 v3, v184, v215, -v3
	v_add_f32_e32 v196, v192, v193
	ds_read2_b64 v[192:195], v1 offset0:117 offset1:118
	v_add_f32_e32 v2, v2, v3
	v_mul_f32_e32 v3, v187, v217
	v_fma_f32 v3, v186, v220, -v3
	v_add_f32_e32 v2, v2, v3
	v_mul_f32_e32 v3, v189, v219
	s_waitcnt vmcnt(12)
	v_mul_f32_e32 v197, v190, v222
	v_fma_f32 v3, v188, v218, -v3
	v_fmac_f32_e32 v197, v191, v221
	v_add_f32_e32 v2, v2, v3
	v_mul_f32_e32 v3, v191, v222
	v_add_f32_e32 v200, v196, v197
	ds_read2_b64 v[196:199], v1 offset0:119 offset1:120
	s_waitcnt vmcnt(10) lgkmcnt(1)
	v_mul_f32_e32 v201, v192, v224
	v_fma_f32 v3, v190, v221, -v3
	v_fmac_f32_e32 v201, v193, v223
	v_add_f32_e32 v2, v2, v3
	v_mul_f32_e32 v3, v193, v224
	v_add_f32_e32 v200, v200, v201
	s_waitcnt vmcnt(9)
	v_mul_f32_e32 v201, v194, v225
	v_fma_f32 v3, v192, v223, -v3
	s_waitcnt vmcnt(6)
	v_fmac_f32_e32 v201, v195, v228
	v_add_f32_e32 v2, v2, v3
	v_mul_f32_e32 v3, v195, v225
	v_add_f32_e32 v235, v200, v201
	ds_read2_b64 v[200:203], v1 offset0:121 offset1:122
	v_fma_f32 v3, v194, v228, -v3
	v_add_f32_e32 v2, v2, v3
	s_waitcnt lgkmcnt(1)
	v_mul_f32_e32 v3, v197, v227
	v_mul_f32_e32 v236, v196, v227
	v_fma_f32 v3, v196, v226, -v3
	v_fmac_f32_e32 v236, v197, v226
	v_add_f32_e32 v2, v2, v3
	s_waitcnt vmcnt(4)
	v_mul_f32_e32 v3, v199, v230
	v_add_f32_e32 v1, v235, v236
	v_mul_f32_e32 v235, v198, v230
	v_fma_f32 v3, v198, v229, -v3
	v_fmac_f32_e32 v235, v199, v229
	v_add_f32_e32 v2, v2, v3
	s_waitcnt vmcnt(3) lgkmcnt(0)
	v_mul_f32_e32 v3, v201, v231
	v_add_f32_e32 v1, v1, v235
	v_mul_f32_e32 v235, v200, v231
	s_waitcnt vmcnt(0)
	v_fma_f32 v3, v200, v234, -v3
	v_fmac_f32_e32 v235, v201, v234
	v_add_f32_e32 v2, v2, v3
	v_mul_f32_e32 v3, v203, v233
	v_add_f32_e32 v1, v1, v235
	v_mul_f32_e32 v235, v202, v233
	v_fma_f32 v3, v202, v232, -v3
	v_fmac_f32_e32 v235, v203, v232
	v_add_f32_e32 v2, v2, v3
	v_add_f32_e32 v1, v1, v235
	v_sub_f32_e32 v2, v54, v2
	v_sub_f32_e32 v1, v55, v1
	buffer_store_dword v2, off, s[0:3], 0 offset:176
	buffer_store_dword v1, off, s[0:3], 0 offset:180
	s_and_saveexec_b64 s[4:5], vcc
	s_cbranch_execz .LBB60_337
; %bb.336:
	buffer_load_dword v1, off, s[0:3], 0 offset:168
	buffer_load_dword v2, off, s[0:3], 0 offset:172
	v_mov_b32_e32 v3, 0
	buffer_store_dword v3, off, s[0:3], 0 offset:168
	buffer_store_dword v3, off, s[0:3], 0 offset:172
	s_waitcnt vmcnt(2)
	ds_write_b64 v147, v[1:2]
.LBB60_337:
	s_or_b64 exec, exec, s[4:5]
	s_waitcnt lgkmcnt(0)
	; wave barrier
	buffer_load_dword v24, off, s[0:3], 0 offset:180
	buffer_load_dword v27, off, s[0:3], 0 offset:188
	buffer_load_dword v28, off, s[0:3], 0 offset:196
	buffer_load_dword v29, off, s[0:3], 0 offset:204
	buffer_load_dword v30, off, s[0:3], 0 offset:212
	buffer_load_dword v31, off, s[0:3], 0 offset:220
	buffer_load_dword v32, off, s[0:3], 0 offset:228
	buffer_load_dword v33, off, s[0:3], 0 offset:236
	buffer_load_dword v34, off, s[0:3], 0 offset:244
	buffer_load_dword v35, off, s[0:3], 0 offset:252
	buffer_load_dword v36, off, s[0:3], 0 offset:260
	buffer_load_dword v37, off, s[0:3], 0 offset:192
	buffer_load_dword v38, off, s[0:3], 0 offset:184
	buffer_load_dword v39, off, s[0:3], 0 offset:176
	buffer_load_dword v40, off, s[0:3], 0 offset:224
	buffer_load_dword v41, off, s[0:3], 0 offset:216
	buffer_load_dword v42, off, s[0:3], 0 offset:208
	buffer_load_dword v43, off, s[0:3], 0 offset:200
	buffer_load_dword v44, off, s[0:3], 0 offset:256
	buffer_load_dword v45, off, s[0:3], 0 offset:248
	buffer_load_dword v46, off, s[0:3], 0 offset:240
	buffer_load_dword v47, off, s[0:3], 0 offset:232
	buffer_load_dword v48, off, s[0:3], 0 offset:268
	buffer_load_dword v49, off, s[0:3], 0 offset:272
	buffer_load_dword v50, off, s[0:3], 0 offset:276
	buffer_load_dword v51, off, s[0:3], 0 offset:280
	buffer_load_dword v52, off, s[0:3], 0 offset:284
	buffer_load_dword v53, off, s[0:3], 0 offset:288
	buffer_load_dword v54, off, s[0:3], 0 offset:292
	buffer_load_dword v55, off, s[0:3], 0 offset:264
	buffer_load_dword v56, off, s[0:3], 0 offset:168
	buffer_load_dword v57, off, s[0:3], 0 offset:172
	buffer_load_dword v58, off, s[0:3], 0 offset:296
	buffer_load_dword v59, off, s[0:3], 0 offset:300
	buffer_load_dword v60, off, s[0:3], 0 offset:304
	buffer_load_dword v61, off, s[0:3], 0 offset:308
	buffer_load_dword v62, off, s[0:3], 0 offset:312
	buffer_load_dword v63, off, s[0:3], 0 offset:316
	buffer_load_dword v64, off, s[0:3], 0 offset:320
	buffer_load_dword v65, off, s[0:3], 0 offset:324
	buffer_load_dword v66, off, s[0:3], 0 offset:328
	buffer_load_dword v67, off, s[0:3], 0 offset:332
	buffer_load_dword v68, off, s[0:3], 0 offset:336
	buffer_load_dword v69, off, s[0:3], 0 offset:340
	buffer_load_dword v70, off, s[0:3], 0 offset:344
	buffer_load_dword v204, off, s[0:3], 0 offset:348
	buffer_load_dword v205, off, s[0:3], 0 offset:352
	buffer_load_dword v206, off, s[0:3], 0 offset:356
	buffer_load_dword v207, off, s[0:3], 0 offset:360
	buffer_load_dword v208, off, s[0:3], 0 offset:364
	v_mov_b32_e32 v1, 0
	ds_read_b128 v[2:5], v1 offset:672
	ds_read_b128 v[6:9], v1 offset:688
	;; [unrolled: 1-line block ×6, first 2 shown]
	buffer_load_dword v209, off, s[0:3], 0 offset:368
	buffer_load_dword v210, off, s[0:3], 0 offset:372
	buffer_load_dword v211, off, s[0:3], 0 offset:380
	buffer_load_dword v212, off, s[0:3], 0 offset:384
	buffer_load_dword v213, off, s[0:3], 0 offset:388
	buffer_load_dword v214, off, s[0:3], 0 offset:376
	buffer_load_dword v215, off, s[0:3], 0 offset:392
	buffer_load_dword v216, off, s[0:3], 0 offset:396
	v_cmp_lt_u32_e32 vcc, 20, v0
	s_waitcnt vmcnt(57) lgkmcnt(5)
	v_mul_f32_e32 v22, v2, v24
	s_waitcnt vmcnt(56)
	v_mul_f32_e32 v23, v4, v27
	s_waitcnt vmcnt(55) lgkmcnt(4)
	v_mul_f32_e32 v152, v6, v28
	s_waitcnt vmcnt(54)
	v_mul_f32_e32 v153, v8, v29
	;; [unrolled: 4-line block ×5, first 2 shown]
	s_waitcnt vmcnt(47) lgkmcnt(0)
	v_mul_f32_e32 v160, v148, v36
	s_waitcnt vmcnt(46)
	v_fmac_f32_e32 v152, v7, v37
	s_waitcnt vmcnt(45)
	v_fmac_f32_e32 v23, v5, v38
	;; [unrolled: 2-line block ×3, first 2 shown]
	v_add_f32_e32 v22, 0, v22
	v_add_f32_e32 v22, v22, v23
	;; [unrolled: 1-line block ×3, first 2 shown]
	s_waitcnt vmcnt(40)
	v_fmac_f32_e32 v153, v9, v43
	v_fmac_f32_e32 v154, v11, v42
	v_add_f32_e32 v22, v22, v153
	v_fmac_f32_e32 v155, v13, v41
	v_add_f32_e32 v22, v22, v154
	;; [unrolled: 2-line block ×3, first 2 shown]
	s_waitcnt vmcnt(36)
	v_fmac_f32_e32 v157, v17, v47
	v_add_f32_e32 v22, v22, v156
	ds_read_b128 v[152:155], v1 offset:768
	buffer_load_dword v217, off, s[0:3], 0 offset:400
	buffer_load_dword v218, off, s[0:3], 0 offset:404
	;; [unrolled: 1-line block ×6, first 2 shown]
	v_fmac_f32_e32 v158, v19, v46
	v_add_f32_e32 v22, v22, v157
	v_fmac_f32_e32 v159, v21, v45
	v_add_f32_e32 v22, v22, v158
	v_add_f32_e32 v22, v22, v159
	ds_read_b128 v[156:159], v1 offset:784
	buffer_load_dword v223, off, s[0:3], 0 offset:424
	buffer_load_dword v224, off, s[0:3], 0 offset:428
	;; [unrolled: 1-line block ×16, first 2 shown]
	v_mul_f32_e32 v3, v3, v24
	v_fma_f32 v2, v2, v39, -v3
	v_mul_f32_e32 v3, v5, v27
	v_add_f32_e32 v2, 0, v2
	v_fma_f32 v3, v4, v38, -v3
	v_add_f32_e32 v2, v2, v3
	v_mul_f32_e32 v3, v7, v28
	v_fma_f32 v3, v6, v37, -v3
	v_add_f32_e32 v2, v2, v3
	v_mul_f32_e32 v3, v9, v29
	;; [unrolled: 3-line block ×9, first 2 shown]
	v_fmac_f32_e32 v160, v149, v44
	s_waitcnt vmcnt(57)
	v_mul_f32_e32 v23, v150, v48
	v_fma_f32 v3, v148, v44, -v3
	v_add_f32_e32 v22, v22, v160
	s_waitcnt vmcnt(50)
	v_fmac_f32_e32 v23, v151, v55
	v_add_f32_e32 v2, v2, v3
	v_mul_f32_e32 v3, v151, v48
	v_add_f32_e32 v22, v22, v23
	s_waitcnt lgkmcnt(1)
	v_mul_f32_e32 v23, v152, v50
	v_fma_f32 v3, v150, v55, -v3
	v_fmac_f32_e32 v23, v153, v49
	v_add_f32_e32 v2, v2, v3
	v_mul_f32_e32 v3, v153, v50
	v_add_f32_e32 v22, v22, v23
	v_mul_f32_e32 v23, v154, v52
	v_fma_f32 v3, v152, v49, -v3
	v_fmac_f32_e32 v23, v155, v51
	ds_read_b128 v[160:163], v1 offset:800
	ds_read_b128 v[164:167], v1 offset:816
	v_add_f32_e32 v2, v2, v3
	v_mul_f32_e32 v3, v155, v52
	v_add_f32_e32 v22, v22, v23
	s_waitcnt lgkmcnt(2)
	v_mul_f32_e32 v23, v156, v54
	v_fma_f32 v3, v154, v51, -v3
	v_fmac_f32_e32 v23, v157, v53
	v_add_f32_e32 v2, v2, v3
	v_mul_f32_e32 v3, v157, v54
	v_add_f32_e32 v22, v22, v23
	s_waitcnt vmcnt(46)
	v_mul_f32_e32 v23, v158, v59
	v_fma_f32 v3, v156, v53, -v3
	v_fmac_f32_e32 v23, v159, v58
	v_add_f32_e32 v2, v2, v3
	v_mul_f32_e32 v3, v159, v59
	v_add_f32_e32 v22, v22, v23
	s_waitcnt vmcnt(44) lgkmcnt(1)
	v_mul_f32_e32 v23, v160, v61
	v_fma_f32 v3, v158, v58, -v3
	v_fmac_f32_e32 v23, v161, v60
	v_add_f32_e32 v2, v2, v3
	v_mul_f32_e32 v3, v161, v61
	v_add_f32_e32 v22, v22, v23
	s_waitcnt vmcnt(42)
	v_mul_f32_e32 v23, v162, v63
	v_fma_f32 v3, v160, v60, -v3
	v_fmac_f32_e32 v23, v163, v62
	ds_read_b128 v[168:171], v1 offset:832
	ds_read_b128 v[172:175], v1 offset:848
	v_add_f32_e32 v2, v2, v3
	v_mul_f32_e32 v3, v163, v63
	v_add_f32_e32 v22, v22, v23
	s_waitcnt vmcnt(40) lgkmcnt(2)
	v_mul_f32_e32 v23, v164, v65
	v_fma_f32 v3, v162, v62, -v3
	v_fmac_f32_e32 v23, v165, v64
	v_add_f32_e32 v2, v2, v3
	v_mul_f32_e32 v3, v165, v65
	v_add_f32_e32 v22, v22, v23
	s_waitcnt vmcnt(38)
	v_mul_f32_e32 v23, v166, v67
	v_fma_f32 v3, v164, v64, -v3
	v_fmac_f32_e32 v23, v167, v66
	v_add_f32_e32 v2, v2, v3
	v_mul_f32_e32 v3, v167, v67
	v_add_f32_e32 v22, v22, v23
	s_waitcnt vmcnt(36) lgkmcnt(1)
	v_mul_f32_e32 v23, v168, v69
	v_fma_f32 v3, v166, v66, -v3
	v_fmac_f32_e32 v23, v169, v68
	v_add_f32_e32 v2, v2, v3
	v_mul_f32_e32 v3, v169, v69
	v_add_f32_e32 v22, v22, v23
	s_waitcnt vmcnt(34)
	v_mul_f32_e32 v23, v170, v204
	v_fma_f32 v3, v168, v68, -v3
	v_fmac_f32_e32 v23, v171, v70
	ds_read_b128 v[176:179], v1 offset:864
	ds_read_b128 v[180:183], v1 offset:880
	v_add_f32_e32 v2, v2, v3
	v_mul_f32_e32 v3, v171, v204
	v_add_f32_e32 v22, v22, v23
	s_waitcnt vmcnt(32) lgkmcnt(2)
	v_mul_f32_e32 v23, v172, v206
	v_fma_f32 v3, v170, v70, -v3
	v_fmac_f32_e32 v23, v173, v205
	v_add_f32_e32 v2, v2, v3
	v_mul_f32_e32 v3, v173, v206
	v_add_f32_e32 v22, v22, v23
	s_waitcnt vmcnt(30)
	v_mul_f32_e32 v23, v174, v208
	v_fma_f32 v3, v172, v205, -v3
	v_fmac_f32_e32 v23, v175, v207
	v_add_f32_e32 v2, v2, v3
	v_mul_f32_e32 v3, v175, v208
	v_add_f32_e32 v22, v22, v23
	s_waitcnt vmcnt(28) lgkmcnt(1)
	v_mul_f32_e32 v23, v176, v210
	v_fma_f32 v3, v174, v207, -v3
	v_fmac_f32_e32 v23, v177, v209
	v_add_f32_e32 v2, v2, v3
	v_mul_f32_e32 v3, v177, v210
	v_add_f32_e32 v22, v22, v23
	s_waitcnt vmcnt(27)
	v_mul_f32_e32 v23, v178, v211
	v_fma_f32 v3, v176, v209, -v3
	s_waitcnt vmcnt(24)
	v_fmac_f32_e32 v23, v179, v214
	ds_read_b128 v[184:187], v1 offset:896
	ds_read_b128 v[188:191], v1 offset:912
	v_add_f32_e32 v2, v2, v3
	v_mul_f32_e32 v3, v179, v211
	v_add_f32_e32 v22, v22, v23
	s_waitcnt lgkmcnt(2)
	v_mul_f32_e32 v23, v180, v213
	v_fma_f32 v3, v178, v214, -v3
	v_fmac_f32_e32 v23, v181, v212
	v_add_f32_e32 v2, v2, v3
	v_mul_f32_e32 v3, v181, v213
	v_add_f32_e32 v22, v22, v23
	s_waitcnt vmcnt(22)
	v_mul_f32_e32 v23, v182, v216
	v_fma_f32 v3, v180, v212, -v3
	v_fmac_f32_e32 v23, v183, v215
	v_add_f32_e32 v2, v2, v3
	v_mul_f32_e32 v3, v183, v216
	v_add_f32_e32 v22, v22, v23
	s_waitcnt vmcnt(20) lgkmcnt(1)
	v_mul_f32_e32 v23, v184, v218
	v_fma_f32 v3, v182, v215, -v3
	v_fmac_f32_e32 v23, v185, v217
	v_add_f32_e32 v2, v2, v3
	v_mul_f32_e32 v3, v185, v218
	v_add_f32_e32 v22, v22, v23
	s_waitcnt vmcnt(19)
	v_mul_f32_e32 v23, v186, v219
	v_fma_f32 v3, v184, v217, -v3
	s_waitcnt vmcnt(16)
	v_fmac_f32_e32 v23, v187, v222
	ds_read_b128 v[192:195], v1 offset:928
	ds_read_b128 v[196:199], v1 offset:944
	v_add_f32_e32 v2, v2, v3
	v_mul_f32_e32 v3, v187, v219
	v_add_f32_e32 v22, v22, v23
	s_waitcnt lgkmcnt(2)
	v_mul_f32_e32 v23, v188, v221
	v_fma_f32 v3, v186, v222, -v3
	v_fmac_f32_e32 v23, v189, v220
	v_add_f32_e32 v2, v2, v3
	v_mul_f32_e32 v3, v189, v221
	v_add_f32_e32 v22, v22, v23
	s_waitcnt vmcnt(14)
	v_mul_f32_e32 v23, v190, v224
	v_fma_f32 v3, v188, v220, -v3
	v_fmac_f32_e32 v23, v191, v223
	v_add_f32_e32 v2, v2, v3
	v_mul_f32_e32 v3, v191, v224
	v_add_f32_e32 v22, v22, v23
	s_waitcnt vmcnt(12) lgkmcnt(1)
	v_mul_f32_e32 v23, v192, v226
	v_fma_f32 v3, v190, v223, -v3
	v_fmac_f32_e32 v23, v193, v225
	v_add_f32_e32 v2, v2, v3
	v_mul_f32_e32 v3, v193, v226
	v_add_f32_e32 v22, v22, v23
	s_waitcnt vmcnt(11)
	v_mul_f32_e32 v23, v194, v227
	v_fma_f32 v3, v192, v225, -v3
	s_waitcnt vmcnt(8)
	v_fmac_f32_e32 v23, v195, v230
	v_add_f32_e32 v2, v2, v3
	v_mul_f32_e32 v3, v195, v227
	v_add_f32_e32 v22, v22, v23
	s_waitcnt lgkmcnt(0)
	v_mul_f32_e32 v23, v196, v229
	ds_read_b128 v[200:203], v1 offset:960
	v_fma_f32 v3, v194, v230, -v3
	v_fmac_f32_e32 v23, v197, v228
	v_add_f32_e32 v2, v2, v3
	v_mul_f32_e32 v3, v197, v229
	v_add_f32_e32 v22, v22, v23
	s_waitcnt vmcnt(6)
	v_mul_f32_e32 v23, v198, v232
	v_fma_f32 v3, v196, v228, -v3
	v_fmac_f32_e32 v23, v199, v231
	v_add_f32_e32 v2, v2, v3
	v_mul_f32_e32 v3, v199, v232
	v_add_f32_e32 v239, v22, v23
	ds_read_b64 v[22:23], v1 offset:976
	v_fma_f32 v3, v198, v231, -v3
	v_add_f32_e32 v2, v2, v3
	s_waitcnt vmcnt(4) lgkmcnt(1)
	v_mul_f32_e32 v3, v201, v234
	v_mul_f32_e32 v240, v200, v234
	v_fma_f32 v3, v200, v233, -v3
	v_fmac_f32_e32 v240, v201, v233
	v_add_f32_e32 v2, v2, v3
	s_waitcnt vmcnt(3)
	v_mul_f32_e32 v3, v203, v235
	v_add_f32_e32 v239, v239, v240
	v_mul_f32_e32 v240, v202, v235
	s_waitcnt vmcnt(0)
	v_fma_f32 v3, v202, v238, -v3
	v_fmac_f32_e32 v240, v203, v238
	v_add_f32_e32 v2, v2, v3
	s_waitcnt lgkmcnt(0)
	v_mul_f32_e32 v3, v23, v237
	v_add_f32_e32 v239, v239, v240
	v_mul_f32_e32 v240, v22, v237
	v_fma_f32 v3, v22, v236, -v3
	v_fmac_f32_e32 v240, v23, v236
	v_add_f32_e32 v2, v2, v3
	v_add_f32_e32 v239, v239, v240
	v_sub_f32_e32 v2, v56, v2
	v_sub_f32_e32 v3, v57, v239
	buffer_store_dword v2, off, s[0:3], 0 offset:168
	buffer_store_dword v3, off, s[0:3], 0 offset:172
	s_and_saveexec_b64 s[4:5], vcc
	s_cbranch_execz .LBB60_339
; %bb.338:
	buffer_load_dword v2, off, s[0:3], 0 offset:160
	buffer_load_dword v3, off, s[0:3], 0 offset:164
	s_waitcnt vmcnt(0)
	ds_write_b64 v147, v[2:3]
	buffer_store_dword v1, off, s[0:3], 0 offset:160
	buffer_store_dword v1, off, s[0:3], 0 offset:164
.LBB60_339:
	s_or_b64 exec, exec, s[4:5]
	s_waitcnt lgkmcnt(0)
	; wave barrier
	buffer_load_dword v22, off, s[0:3], 0 offset:172
	buffer_load_dword v23, off, s[0:3], 0 offset:180
	;; [unrolled: 1-line block ×32, first 2 shown]
	ds_read2_b64 v[2:5], v1 offset0:83 offset1:84
	ds_read2_b64 v[6:9], v1 offset0:85 offset1:86
	;; [unrolled: 1-line block ×6, first 2 shown]
	buffer_load_dword v56, off, s[0:3], 0 offset:288
	buffer_load_dword v57, off, s[0:3], 0 offset:292
	;; [unrolled: 1-line block ×26, first 2 shown]
	v_cmp_lt_u32_e32 vcc, 19, v0
	s_waitcnt vmcnt(57) lgkmcnt(5)
	v_mul_f32_e32 v152, v2, v22
	s_waitcnt vmcnt(56)
	v_mul_f32_e32 v153, v4, v23
	s_waitcnt vmcnt(55) lgkmcnt(4)
	v_mul_f32_e32 v154, v6, v24
	s_waitcnt vmcnt(54)
	v_mul_f32_e32 v155, v8, v27
	;; [unrolled: 4-line block ×5, first 2 shown]
	s_waitcnt vmcnt(47) lgkmcnt(0)
	v_mul_f32_e32 v162, v148, v34
	s_waitcnt vmcnt(46)
	v_fmac_f32_e32 v154, v7, v35
	s_waitcnt vmcnt(45)
	v_fmac_f32_e32 v153, v5, v36
	;; [unrolled: 2-line block ×3, first 2 shown]
	v_add_f32_e32 v152, 0, v152
	v_add_f32_e32 v152, v152, v153
	;; [unrolled: 1-line block ×3, first 2 shown]
	s_waitcnt vmcnt(40)
	v_fmac_f32_e32 v155, v9, v41
	v_fmac_f32_e32 v156, v11, v40
	v_add_f32_e32 v152, v152, v155
	v_fmac_f32_e32 v157, v13, v39
	v_add_f32_e32 v152, v152, v156
	;; [unrolled: 2-line block ×3, first 2 shown]
	s_waitcnt vmcnt(36)
	v_fmac_f32_e32 v159, v17, v45
	v_add_f32_e32 v152, v152, v158
	v_fmac_f32_e32 v160, v19, v44
	v_add_f32_e32 v152, v152, v159
	;; [unrolled: 2-line block ×4, first 2 shown]
	v_add_f32_e32 v156, v152, v162
	ds_read2_b64 v[152:155], v1 offset0:95 offset1:96
	buffer_load_dword v219, off, s[0:3], 0 offset:392
	buffer_load_dword v220, off, s[0:3], 0 offset:396
	;; [unrolled: 1-line block ×6, first 2 shown]
	s_waitcnt vmcnt(41)
	v_mul_f32_e32 v157, v150, v46
	s_waitcnt vmcnt(35)
	v_fmac_f32_e32 v157, v151, v52
	v_add_f32_e32 v160, v156, v157
	ds_read2_b64 v[156:159], v1 offset0:97 offset1:98
	buffer_load_dword v225, off, s[0:3], 0 offset:416
	buffer_load_dword v226, off, s[0:3], 0 offset:420
	;; [unrolled: 1-line block ×10, first 2 shown]
	s_waitcnt vmcnt(44) lgkmcnt(1)
	v_mul_f32_e32 v161, v152, v53
	v_fmac_f32_e32 v161, v153, v51
	v_add_f32_e32 v160, v160, v161
	v_mul_f32_e32 v161, v154, v48
	v_fmac_f32_e32 v161, v155, v47
	v_add_f32_e32 v160, v160, v161
	s_waitcnt lgkmcnt(0)
	v_mul_f32_e32 v161, v156, v50
	buffer_load_dword v235, off, s[0:3], 0 offset:456
	buffer_load_dword v236, off, s[0:3], 0 offset:460
	;; [unrolled: 1-line block ×6, first 2 shown]
	v_fmac_f32_e32 v161, v157, v49
	s_waitcnt vmcnt(46)
	v_mul_f32_e32 v165, v158, v57
	v_add_f32_e32 v164, v160, v161
	v_fmac_f32_e32 v165, v159, v56
	ds_read2_b64 v[160:163], v1 offset0:99 offset1:100
	v_add_f32_e32 v168, v164, v165
	ds_read2_b64 v[164:167], v1 offset0:101 offset1:102
	buffer_load_dword v241, off, s[0:3], 0 offset:480
	buffer_load_dword v242, off, s[0:3], 0 offset:484
	v_mul_f32_e32 v3, v3, v22
	v_fma_f32 v2, v2, v37, -v3
	v_mul_f32_e32 v3, v5, v23
	v_add_f32_e32 v2, 0, v2
	v_fma_f32 v3, v4, v36, -v3
	v_add_f32_e32 v2, v2, v3
	v_mul_f32_e32 v3, v7, v24
	v_fma_f32 v3, v6, v35, -v3
	v_add_f32_e32 v2, v2, v3
	v_mul_f32_e32 v3, v9, v27
	;; [unrolled: 3-line block ×7, first 2 shown]
	s_waitcnt vmcnt(46) lgkmcnt(1)
	v_mul_f32_e32 v169, v160, v59
	v_fma_f32 v3, v18, v44, -v3
	v_fmac_f32_e32 v169, v161, v58
	v_add_f32_e32 v2, v2, v3
	v_mul_f32_e32 v3, v21, v33
	v_add_f32_e32 v168, v168, v169
	s_waitcnt vmcnt(44)
	v_mul_f32_e32 v169, v162, v61
	v_fma_f32 v3, v20, v43, -v3
	v_fmac_f32_e32 v169, v163, v60
	v_add_f32_e32 v2, v2, v3
	v_mul_f32_e32 v3, v149, v34
	v_add_f32_e32 v168, v168, v169
	s_waitcnt vmcnt(42) lgkmcnt(0)
	v_mul_f32_e32 v169, v164, v63
	v_fma_f32 v3, v148, v42, -v3
	v_fmac_f32_e32 v169, v165, v62
	v_add_f32_e32 v2, v2, v3
	v_mul_f32_e32 v3, v151, v46
	v_add_f32_e32 v172, v168, v169
	ds_read2_b64 v[168:171], v1 offset0:103 offset1:104
	v_fma_f32 v3, v150, v52, -v3
	v_add_f32_e32 v2, v2, v3
	v_mul_f32_e32 v3, v153, v53
	s_waitcnt vmcnt(40)
	v_mul_f32_e32 v173, v166, v65
	v_fma_f32 v3, v152, v51, -v3
	v_fmac_f32_e32 v173, v167, v64
	v_add_f32_e32 v2, v2, v3
	v_mul_f32_e32 v3, v155, v48
	v_add_f32_e32 v176, v172, v173
	ds_read2_b64 v[172:175], v1 offset0:105 offset1:106
	v_fma_f32 v3, v154, v47, -v3
	s_waitcnt vmcnt(38) lgkmcnt(1)
	v_mul_f32_e32 v177, v168, v67
	v_add_f32_e32 v2, v2, v3
	v_mul_f32_e32 v3, v157, v50
	v_fmac_f32_e32 v177, v169, v66
	v_fma_f32 v3, v156, v49, -v3
	v_add_f32_e32 v176, v176, v177
	s_waitcnt vmcnt(36)
	v_mul_f32_e32 v177, v170, v69
	v_add_f32_e32 v2, v2, v3
	v_mul_f32_e32 v3, v159, v57
	v_fmac_f32_e32 v177, v171, v68
	v_fma_f32 v3, v158, v56, -v3
	v_add_f32_e32 v176, v176, v177
	s_waitcnt vmcnt(34) lgkmcnt(0)
	v_mul_f32_e32 v177, v172, v208
	v_add_f32_e32 v2, v2, v3
	v_mul_f32_e32 v3, v161, v59
	v_fmac_f32_e32 v177, v173, v70
	v_fma_f32 v3, v160, v58, -v3
	v_add_f32_e32 v180, v176, v177
	ds_read2_b64 v[176:179], v1 offset0:107 offset1:108
	v_add_f32_e32 v2, v2, v3
	v_mul_f32_e32 v3, v163, v61
	v_fma_f32 v3, v162, v60, -v3
	s_waitcnt vmcnt(32)
	v_mul_f32_e32 v181, v174, v210
	v_add_f32_e32 v2, v2, v3
	v_mul_f32_e32 v3, v165, v63
	v_fmac_f32_e32 v181, v175, v209
	v_fma_f32 v3, v164, v62, -v3
	v_add_f32_e32 v184, v180, v181
	ds_read2_b64 v[180:183], v1 offset0:109 offset1:110
	v_add_f32_e32 v2, v2, v3
	v_mul_f32_e32 v3, v167, v65
	s_waitcnt vmcnt(30) lgkmcnt(1)
	v_mul_f32_e32 v185, v176, v212
	v_fma_f32 v3, v166, v64, -v3
	v_fmac_f32_e32 v185, v177, v211
	v_add_f32_e32 v2, v2, v3
	v_mul_f32_e32 v3, v169, v67
	v_add_f32_e32 v184, v184, v185
	s_waitcnt vmcnt(29)
	v_mul_f32_e32 v185, v178, v213
	v_fma_f32 v3, v168, v66, -v3
	s_waitcnt vmcnt(26)
	v_fmac_f32_e32 v185, v179, v216
	v_add_f32_e32 v2, v2, v3
	v_mul_f32_e32 v3, v171, v69
	v_add_f32_e32 v184, v184, v185
	s_waitcnt lgkmcnt(0)
	v_mul_f32_e32 v185, v180, v215
	v_fma_f32 v3, v170, v68, -v3
	v_fmac_f32_e32 v185, v181, v214
	v_add_f32_e32 v2, v2, v3
	v_mul_f32_e32 v3, v173, v208
	v_add_f32_e32 v188, v184, v185
	ds_read2_b64 v[184:187], v1 offset0:111 offset1:112
	v_fma_f32 v3, v172, v70, -v3
	v_add_f32_e32 v2, v2, v3
	v_mul_f32_e32 v3, v175, v210
	s_waitcnt vmcnt(24)
	v_mul_f32_e32 v189, v182, v218
	v_fma_f32 v3, v174, v209, -v3
	v_fmac_f32_e32 v189, v183, v217
	v_add_f32_e32 v2, v2, v3
	v_mul_f32_e32 v3, v177, v212
	v_add_f32_e32 v192, v188, v189
	ds_read2_b64 v[188:191], v1 offset0:113 offset1:114
	v_fma_f32 v3, v176, v211, -v3
	s_waitcnt vmcnt(22) lgkmcnt(1)
	v_mul_f32_e32 v193, v184, v220
	v_add_f32_e32 v2, v2, v3
	v_mul_f32_e32 v3, v179, v213
	v_fmac_f32_e32 v193, v185, v219
	v_fma_f32 v3, v178, v216, -v3
	v_add_f32_e32 v192, v192, v193
	s_waitcnt vmcnt(21)
	v_mul_f32_e32 v193, v186, v221
	v_add_f32_e32 v2, v2, v3
	v_mul_f32_e32 v3, v181, v215
	s_waitcnt vmcnt(18)
	v_fmac_f32_e32 v193, v187, v224
	v_fma_f32 v3, v180, v214, -v3
	v_add_f32_e32 v192, v192, v193
	s_waitcnt lgkmcnt(0)
	v_mul_f32_e32 v193, v188, v223
	v_add_f32_e32 v2, v2, v3
	v_mul_f32_e32 v3, v183, v218
	v_fmac_f32_e32 v193, v189, v222
	v_fma_f32 v3, v182, v217, -v3
	v_add_f32_e32 v196, v192, v193
	ds_read2_b64 v[192:195], v1 offset0:115 offset1:116
	v_add_f32_e32 v2, v2, v3
	v_mul_f32_e32 v3, v185, v220
	v_fma_f32 v3, v184, v219, -v3
	s_waitcnt vmcnt(16)
	v_mul_f32_e32 v197, v190, v226
	v_add_f32_e32 v2, v2, v3
	v_mul_f32_e32 v3, v187, v221
	v_fmac_f32_e32 v197, v191, v225
	v_fma_f32 v3, v186, v224, -v3
	v_add_f32_e32 v200, v196, v197
	ds_read2_b64 v[196:199], v1 offset0:117 offset1:118
	v_add_f32_e32 v2, v2, v3
	v_mul_f32_e32 v3, v189, v223
	s_waitcnt vmcnt(14) lgkmcnt(1)
	v_mul_f32_e32 v201, v192, v228
	v_fma_f32 v3, v188, v222, -v3
	v_fmac_f32_e32 v201, v193, v227
	v_add_f32_e32 v2, v2, v3
	v_mul_f32_e32 v3, v191, v226
	v_add_f32_e32 v200, v200, v201
	s_waitcnt vmcnt(13)
	v_mul_f32_e32 v201, v194, v229
	v_fma_f32 v3, v190, v225, -v3
	s_waitcnt vmcnt(10)
	v_fmac_f32_e32 v201, v195, v232
	v_add_f32_e32 v2, v2, v3
	v_mul_f32_e32 v3, v193, v228
	v_add_f32_e32 v200, v200, v201
	s_waitcnt lgkmcnt(0)
	v_mul_f32_e32 v201, v196, v231
	v_fma_f32 v3, v192, v227, -v3
	v_fmac_f32_e32 v201, v197, v230
	v_add_f32_e32 v2, v2, v3
	v_mul_f32_e32 v3, v195, v229
	v_add_f32_e32 v204, v200, v201
	ds_read2_b64 v[200:203], v1 offset0:119 offset1:120
	v_fma_f32 v3, v194, v232, -v3
	v_add_f32_e32 v2, v2, v3
	v_mul_f32_e32 v3, v197, v231
	s_waitcnt vmcnt(8)
	v_mul_f32_e32 v205, v198, v234
	v_fma_f32 v3, v196, v230, -v3
	v_fmac_f32_e32 v205, v199, v233
	v_add_f32_e32 v2, v2, v3
	v_mul_f32_e32 v3, v199, v234
	v_add_f32_e32 v243, v204, v205
	ds_read2_b64 v[204:207], v1 offset0:121 offset1:122
	v_fma_f32 v3, v198, v233, -v3
	v_add_f32_e32 v2, v2, v3
	s_waitcnt vmcnt(6) lgkmcnt(1)
	v_mul_f32_e32 v3, v201, v236
	v_mul_f32_e32 v1, v200, v236
	v_fma_f32 v3, v200, v235, -v3
	v_fmac_f32_e32 v1, v201, v235
	v_add_f32_e32 v2, v2, v3
	s_waitcnt vmcnt(5)
	v_mul_f32_e32 v3, v203, v237
	v_add_f32_e32 v1, v243, v1
	v_mul_f32_e32 v243, v202, v237
	s_waitcnt vmcnt(2)
	v_fma_f32 v3, v202, v240, -v3
	v_fmac_f32_e32 v243, v203, v240
	v_add_f32_e32 v2, v2, v3
	s_waitcnt lgkmcnt(0)
	v_mul_f32_e32 v3, v205, v239
	v_add_f32_e32 v1, v1, v243
	v_mul_f32_e32 v243, v204, v239
	v_fma_f32 v3, v204, v238, -v3
	v_fmac_f32_e32 v243, v205, v238
	v_add_f32_e32 v2, v2, v3
	s_waitcnt vmcnt(0)
	v_mul_f32_e32 v3, v207, v242
	v_add_f32_e32 v1, v1, v243
	v_mul_f32_e32 v243, v206, v242
	v_fma_f32 v3, v206, v241, -v3
	v_fmac_f32_e32 v243, v207, v241
	v_add_f32_e32 v2, v2, v3
	v_add_f32_e32 v1, v1, v243
	v_sub_f32_e32 v2, v54, v2
	v_sub_f32_e32 v1, v55, v1
	buffer_store_dword v2, off, s[0:3], 0 offset:160
	buffer_store_dword v1, off, s[0:3], 0 offset:164
	s_and_saveexec_b64 s[4:5], vcc
	s_cbranch_execz .LBB60_341
; %bb.340:
	buffer_load_dword v1, off, s[0:3], 0 offset:152
	buffer_load_dword v2, off, s[0:3], 0 offset:156
	v_mov_b32_e32 v3, 0
	buffer_store_dword v3, off, s[0:3], 0 offset:152
	buffer_store_dword v3, off, s[0:3], 0 offset:156
	s_waitcnt vmcnt(2)
	ds_write_b64 v147, v[1:2]
.LBB60_341:
	s_or_b64 exec, exec, s[4:5]
	s_waitcnt lgkmcnt(0)
	; wave barrier
	buffer_load_dword v10, off, s[0:3], 0 offset:164
	buffer_load_dword v9, off, s[0:3], 0 offset:172
	;; [unrolled: 1-line block ×32, first 2 shown]
	v_mov_b32_e32 v1, 0
	buffer_load_dword v50, off, s[0:3], 0 offset:280
	buffer_load_dword v51, off, s[0:3], 0 offset:284
	;; [unrolled: 1-line block ×18, first 2 shown]
	ds_read_b128 v[11:14], v1 offset:656
	ds_read_b128 v[15:18], v1 offset:672
	;; [unrolled: 1-line block ×6, first 2 shown]
	v_cmp_lt_u32_e32 vcc, 18, v0
	s_waitcnt vmcnt(49) lgkmcnt(5)
	v_mul_f32_e32 v23, v11, v10
	s_waitcnt vmcnt(48)
	v_mul_f32_e32 v24, v13, v9
	s_waitcnt vmcnt(47) lgkmcnt(4)
	v_mul_f32_e32 v68, v15, v8
	s_waitcnt vmcnt(46)
	v_mul_f32_e32 v69, v17, v7
	;; [unrolled: 4-line block ×5, first 2 shown]
	s_waitcnt vmcnt(39) lgkmcnt(0)
	v_mul_f32_e32 v165, v156, v30
	s_waitcnt vmcnt(38)
	v_fmac_f32_e32 v68, v16, v31
	s_waitcnt vmcnt(37)
	v_fmac_f32_e32 v24, v14, v32
	s_waitcnt vmcnt(36)
	v_fmac_f32_e32 v23, v12, v33
	v_add_f32_e32 v23, 0, v23
	v_add_f32_e32 v23, v23, v24
	;; [unrolled: 1-line block ×3, first 2 shown]
	s_waitcnt vmcnt(32)
	v_fmac_f32_e32 v69, v18, v37
	v_fmac_f32_e32 v70, v20, v36
	v_add_f32_e32 v23, v23, v69
	v_fmac_f32_e32 v160, v22, v35
	v_add_f32_e32 v23, v23, v70
	;; [unrolled: 2-line block ×3, first 2 shown]
	buffer_load_dword v68, off, s[0:3], 0 offset:352
	buffer_load_dword v69, off, s[0:3], 0 offset:356
	;; [unrolled: 1-line block ×6, first 2 shown]
	s_waitcnt vmcnt(34)
	v_fmac_f32_e32 v162, v151, v41
	v_add_f32_e32 v23, v23, v161
	v_fmac_f32_e32 v163, v153, v40
	v_add_f32_e32 v23, v23, v162
	v_add_f32_e32 v23, v23, v163
	ds_read_b128 v[160:163], v1 offset:752
	buffer_load_dword v219, off, s[0:3], 0 offset:376
	buffer_load_dword v220, off, s[0:3], 0 offset:380
	v_fmac_f32_e32 v164, v155, v39
	v_fmac_f32_e32 v165, v157, v38
	v_add_f32_e32 v23, v23, v164
	v_add_f32_e32 v23, v23, v165
	ds_read_b128 v[164:167], v1 offset:768
	buffer_load_dword v221, off, s[0:3], 0 offset:384
	buffer_load_dword v222, off, s[0:3], 0 offset:388
	buffer_load_dword v223, off, s[0:3], 0 offset:396
	buffer_load_dword v224, off, s[0:3], 0 offset:400
	buffer_load_dword v225, off, s[0:3], 0 offset:404
	buffer_load_dword v226, off, s[0:3], 0 offset:392
	buffer_load_dword v227, off, s[0:3], 0 offset:408
	buffer_load_dword v228, off, s[0:3], 0 offset:412
	buffer_load_dword v229, off, s[0:3], 0 offset:416
	buffer_load_dword v230, off, s[0:3], 0 offset:420
	buffer_load_dword v231, off, s[0:3], 0 offset:428
	buffer_load_dword v232, off, s[0:3], 0 offset:432
	buffer_load_dword v233, off, s[0:3], 0 offset:436
	buffer_load_dword v234, off, s[0:3], 0 offset:424
	buffer_load_dword v235, off, s[0:3], 0 offset:440
	buffer_load_dword v236, off, s[0:3], 0 offset:444
	ds_read_b128 v[168:171], v1 offset:784
	buffer_load_dword v237, off, s[0:3], 0 offset:448
	buffer_load_dword v238, off, s[0:3], 0 offset:452
	;; [unrolled: 1-line block ×6, first 2 shown]
	ds_read_b128 v[172:175], v1 offset:800
	buffer_load_dword v243, off, s[0:3], 0 offset:476
	buffer_load_dword v244, off, s[0:3], 0 offset:480
	;; [unrolled: 1-line block ×4, first 2 shown]
	v_mul_f32_e32 v10, v12, v10
	v_fma_f32 v10, v11, v33, -v10
	v_mul_f32_e32 v9, v14, v9
	v_add_f32_e32 v10, 0, v10
	v_fma_f32 v9, v13, v32, -v9
	v_mul_f32_e32 v8, v16, v8
	v_add_f32_e32 v9, v10, v9
	;; [unrolled: 3-line block ×6, first 2 shown]
	v_fma_f32 v4, v148, v34, -v4
	v_add_f32_e32 v4, v5, v4
	v_mul_f32_e32 v5, v151, v27
	v_fma_f32 v5, v150, v41, -v5
	v_add_f32_e32 v4, v4, v5
	v_mul_f32_e32 v5, v153, v28
	;; [unrolled: 3-line block ×4, first 2 shown]
	s_waitcnt vmcnt(61)
	v_mul_f32_e32 v24, v158, v42
	v_fma_f32 v5, v156, v38, -v5
	s_waitcnt vmcnt(55)
	v_fmac_f32_e32 v24, v159, v48
	v_add_f32_e32 v4, v4, v5
	v_mul_f32_e32 v5, v159, v42
	v_add_f32_e32 v23, v23, v24
	s_waitcnt vmcnt(54) lgkmcnt(3)
	v_mul_f32_e32 v24, v160, v49
	v_fma_f32 v5, v158, v48, -v5
	v_fmac_f32_e32 v24, v161, v47
	v_add_f32_e32 v4, v4, v5
	v_mul_f32_e32 v5, v161, v49
	v_add_f32_e32 v23, v23, v24
	v_mul_f32_e32 v24, v162, v44
	v_fma_f32 v5, v160, v47, -v5
	v_fmac_f32_e32 v24, v163, v43
	v_add_f32_e32 v4, v4, v5
	v_mul_f32_e32 v5, v163, v44
	v_add_f32_e32 v23, v23, v24
	s_waitcnt lgkmcnt(2)
	v_mul_f32_e32 v24, v164, v46
	v_fma_f32 v5, v162, v43, -v5
	v_fmac_f32_e32 v24, v165, v45
	v_add_f32_e32 v4, v4, v5
	v_mul_f32_e32 v5, v165, v46
	v_add_f32_e32 v23, v23, v24
	s_waitcnt vmcnt(50)
	v_mul_f32_e32 v24, v166, v51
	v_fma_f32 v5, v164, v45, -v5
	v_fmac_f32_e32 v24, v167, v50
	v_add_f32_e32 v4, v4, v5
	v_mul_f32_e32 v5, v167, v51
	v_add_f32_e32 v23, v23, v24
	s_waitcnt vmcnt(48) lgkmcnt(1)
	v_mul_f32_e32 v24, v168, v53
	v_fma_f32 v5, v166, v50, -v5
	v_fmac_f32_e32 v24, v169, v52
	v_add_f32_e32 v4, v4, v5
	v_mul_f32_e32 v5, v169, v53
	v_add_f32_e32 v23, v23, v24
	s_waitcnt vmcnt(46)
	v_mul_f32_e32 v24, v170, v55
	v_fma_f32 v5, v168, v52, -v5
	v_fmac_f32_e32 v24, v171, v54
	ds_read_b128 v[176:179], v1 offset:816
	ds_read_b128 v[180:183], v1 offset:832
	v_add_f32_e32 v4, v4, v5
	v_mul_f32_e32 v5, v171, v55
	v_add_f32_e32 v23, v23, v24
	s_waitcnt vmcnt(44) lgkmcnt(2)
	v_mul_f32_e32 v24, v172, v57
	v_fma_f32 v5, v170, v54, -v5
	v_fmac_f32_e32 v24, v173, v56
	v_add_f32_e32 v4, v4, v5
	v_mul_f32_e32 v5, v173, v57
	v_add_f32_e32 v23, v23, v24
	s_waitcnt vmcnt(42)
	v_mul_f32_e32 v24, v174, v59
	v_fma_f32 v5, v172, v56, -v5
	v_fmac_f32_e32 v24, v175, v58
	v_add_f32_e32 v4, v4, v5
	v_mul_f32_e32 v5, v175, v59
	v_add_f32_e32 v23, v23, v24
	s_waitcnt vmcnt(40) lgkmcnt(1)
	v_mul_f32_e32 v24, v176, v61
	v_fma_f32 v5, v174, v58, -v5
	v_fmac_f32_e32 v24, v177, v60
	v_add_f32_e32 v4, v4, v5
	v_mul_f32_e32 v5, v177, v61
	v_add_f32_e32 v23, v23, v24
	s_waitcnt vmcnt(38)
	v_mul_f32_e32 v24, v178, v63
	v_fma_f32 v5, v176, v60, -v5
	v_fmac_f32_e32 v24, v179, v62
	ds_read_b128 v[184:187], v1 offset:848
	ds_read_b128 v[188:191], v1 offset:864
	v_add_f32_e32 v4, v4, v5
	v_mul_f32_e32 v5, v179, v63
	v_add_f32_e32 v23, v23, v24
	s_waitcnt vmcnt(36) lgkmcnt(2)
	v_mul_f32_e32 v24, v180, v65
	v_fma_f32 v5, v178, v62, -v5
	v_fmac_f32_e32 v24, v181, v64
	v_add_f32_e32 v4, v4, v5
	v_mul_f32_e32 v5, v181, v65
	v_add_f32_e32 v23, v23, v24
	s_waitcnt vmcnt(34)
	v_mul_f32_e32 v24, v182, v67
	v_fma_f32 v5, v180, v64, -v5
	v_fmac_f32_e32 v24, v183, v66
	v_add_f32_e32 v4, v4, v5
	v_mul_f32_e32 v5, v183, v67
	v_add_f32_e32 v23, v23, v24
	s_waitcnt vmcnt(32) lgkmcnt(1)
	v_mul_f32_e32 v24, v184, v69
	v_fma_f32 v5, v182, v66, -v5
	v_fmac_f32_e32 v24, v185, v68
	v_add_f32_e32 v4, v4, v5
	v_mul_f32_e32 v5, v185, v69
	v_add_f32_e32 v23, v23, v24
	s_waitcnt vmcnt(31)
	v_mul_f32_e32 v24, v186, v70
	v_fma_f32 v5, v184, v68, -v5
	s_waitcnt vmcnt(28)
	v_fmac_f32_e32 v24, v187, v218
	ds_read_b128 v[192:195], v1 offset:880
	ds_read_b128 v[196:199], v1 offset:896
	v_add_f32_e32 v4, v4, v5
	v_mul_f32_e32 v5, v187, v70
	v_add_f32_e32 v23, v23, v24
	s_waitcnt lgkmcnt(2)
	v_mul_f32_e32 v24, v188, v217
	v_fma_f32 v5, v186, v218, -v5
	v_fmac_f32_e32 v24, v189, v216
	v_add_f32_e32 v4, v4, v5
	v_mul_f32_e32 v5, v189, v217
	v_add_f32_e32 v23, v23, v24
	s_waitcnt vmcnt(26)
	v_mul_f32_e32 v24, v190, v220
	v_fma_f32 v5, v188, v216, -v5
	v_fmac_f32_e32 v24, v191, v219
	v_add_f32_e32 v4, v4, v5
	v_mul_f32_e32 v5, v191, v220
	v_add_f32_e32 v23, v23, v24
	s_waitcnt vmcnt(24) lgkmcnt(1)
	v_mul_f32_e32 v24, v192, v222
	v_fma_f32 v5, v190, v219, -v5
	v_fmac_f32_e32 v24, v193, v221
	v_add_f32_e32 v4, v4, v5
	v_mul_f32_e32 v5, v193, v222
	v_add_f32_e32 v23, v23, v24
	s_waitcnt vmcnt(23)
	v_mul_f32_e32 v24, v194, v223
	v_fma_f32 v5, v192, v221, -v5
	s_waitcnt vmcnt(20)
	v_fmac_f32_e32 v24, v195, v226
	ds_read_b128 v[200:203], v1 offset:912
	ds_read_b128 v[204:207], v1 offset:928
	v_add_f32_e32 v4, v4, v5
	v_mul_f32_e32 v5, v195, v223
	v_add_f32_e32 v23, v23, v24
	s_waitcnt lgkmcnt(2)
	;; [unrolled: 31-line block ×3, first 2 shown]
	v_mul_f32_e32 v24, v204, v233
	v_fma_f32 v5, v202, v234, -v5
	v_fmac_f32_e32 v24, v205, v232
	v_add_f32_e32 v4, v4, v5
	v_mul_f32_e32 v5, v205, v233
	v_add_f32_e32 v23, v23, v24
	s_waitcnt vmcnt(10)
	v_mul_f32_e32 v24, v206, v236
	v_fma_f32 v5, v204, v232, -v5
	v_fmac_f32_e32 v24, v207, v235
	v_add_f32_e32 v4, v4, v5
	v_mul_f32_e32 v5, v207, v236
	v_add_f32_e32 v23, v23, v24
	s_waitcnt vmcnt(8) lgkmcnt(1)
	v_mul_f32_e32 v24, v208, v238
	v_fma_f32 v5, v206, v235, -v5
	v_fmac_f32_e32 v24, v209, v237
	v_add_f32_e32 v4, v4, v5
	v_mul_f32_e32 v5, v209, v238
	v_add_f32_e32 v23, v23, v24
	s_waitcnt vmcnt(7)
	v_mul_f32_e32 v24, v210, v239
	v_fma_f32 v5, v208, v237, -v5
	s_waitcnt vmcnt(4)
	v_fmac_f32_e32 v24, v211, v242
	v_add_f32_e32 v4, v4, v5
	v_mul_f32_e32 v5, v211, v239
	v_add_f32_e32 v247, v23, v24
	ds_read_b64 v[23:24], v1 offset:976
	v_fma_f32 v5, v210, v242, -v5
	v_add_f32_e32 v4, v4, v5
	s_waitcnt lgkmcnt(1)
	v_mul_f32_e32 v5, v213, v241
	v_mul_f32_e32 v248, v212, v241
	v_fma_f32 v5, v212, v240, -v5
	v_fmac_f32_e32 v248, v213, v240
	v_add_f32_e32 v4, v4, v5
	s_waitcnt vmcnt(3)
	v_mul_f32_e32 v5, v215, v243
	v_add_f32_e32 v247, v247, v248
	v_mul_f32_e32 v248, v214, v243
	s_waitcnt vmcnt(0)
	v_fma_f32 v5, v214, v246, -v5
	v_fmac_f32_e32 v248, v215, v246
	v_add_f32_e32 v4, v4, v5
	s_waitcnt lgkmcnt(0)
	v_mul_f32_e32 v5, v24, v245
	v_add_f32_e32 v247, v247, v248
	v_mul_f32_e32 v248, v23, v245
	v_fma_f32 v5, v23, v244, -v5
	v_fmac_f32_e32 v248, v24, v244
	v_add_f32_e32 v4, v4, v5
	v_add_f32_e32 v247, v247, v248
	v_sub_f32_e32 v2, v2, v4
	v_sub_f32_e32 v3, v3, v247
	buffer_store_dword v2, off, s[0:3], 0 offset:152
	buffer_store_dword v3, off, s[0:3], 0 offset:156
	s_and_saveexec_b64 s[4:5], vcc
	s_cbranch_execz .LBB60_343
; %bb.342:
	buffer_load_dword v2, off, s[0:3], 0 offset:144
	buffer_load_dword v3, off, s[0:3], 0 offset:148
	s_waitcnt vmcnt(0)
	ds_write_b64 v147, v[2:3]
	buffer_store_dword v1, off, s[0:3], 0 offset:144
	buffer_store_dword v1, off, s[0:3], 0 offset:148
.LBB60_343:
	s_or_b64 exec, exec, s[4:5]
	s_waitcnt lgkmcnt(0)
	; wave barrier
	buffer_load_dword v22, off, s[0:3], 0 offset:156
	buffer_load_dword v23, off, s[0:3], 0 offset:164
	;; [unrolled: 1-line block ×32, first 2 shown]
	ds_read2_b64 v[2:5], v1 offset0:81 offset1:82
	ds_read2_b64 v[6:9], v1 offset0:83 offset1:84
	;; [unrolled: 1-line block ×6, first 2 shown]
	buffer_load_dword v56, off, s[0:3], 0 offset:272
	buffer_load_dword v57, off, s[0:3], 0 offset:276
	;; [unrolled: 1-line block ×18, first 2 shown]
	v_cmp_lt_u32_e32 vcc, 17, v0
	s_waitcnt vmcnt(49) lgkmcnt(5)
	v_mul_f32_e32 v152, v2, v22
	s_waitcnt vmcnt(48)
	v_mul_f32_e32 v153, v4, v23
	s_waitcnt vmcnt(47) lgkmcnt(4)
	v_mul_f32_e32 v154, v6, v24
	s_waitcnt vmcnt(46)
	v_mul_f32_e32 v155, v8, v27
	;; [unrolled: 4-line block ×6, first 2 shown]
	s_waitcnt vmcnt(37)
	v_fmac_f32_e32 v154, v7, v36
	s_waitcnt vmcnt(36)
	v_fmac_f32_e32 v153, v5, v37
	s_waitcnt vmcnt(35)
	v_fmac_f32_e32 v152, v3, v38
	v_add_f32_e32 v152, 0, v152
	v_add_f32_e32 v152, v152, v153
	;; [unrolled: 1-line block ×3, first 2 shown]
	s_waitcnt vmcnt(31)
	v_fmac_f32_e32 v155, v9, v42
	v_fmac_f32_e32 v156, v11, v41
	v_add_f32_e32 v152, v152, v155
	v_fmac_f32_e32 v157, v13, v40
	v_add_f32_e32 v152, v152, v156
	;; [unrolled: 2-line block ×3, first 2 shown]
	s_waitcnt vmcnt(27)
	v_fmac_f32_e32 v159, v17, v46
	v_add_f32_e32 v152, v152, v158
	v_fmac_f32_e32 v160, v19, v45
	v_add_f32_e32 v152, v152, v159
	;; [unrolled: 2-line block ×3, first 2 shown]
	v_add_f32_e32 v156, v152, v161
	ds_read2_b64 v[152:155], v1 offset0:93 offset1:94
	buffer_load_dword v215, off, s[0:3], 0 offset:344
	buffer_load_dword v216, off, s[0:3], 0 offset:348
	;; [unrolled: 1-line block ×6, first 2 shown]
	v_fmac_f32_e32 v162, v149, v43
	s_waitcnt vmcnt(27)
	v_fmac_f32_e32 v163, v151, v52
	v_add_f32_e32 v156, v156, v162
	v_add_f32_e32 v160, v156, v163
	ds_read2_b64 v[156:159], v1 offset0:95 offset1:96
	buffer_load_dword v221, off, s[0:3], 0 offset:368
	buffer_load_dword v222, off, s[0:3], 0 offset:372
	;; [unrolled: 1-line block ×10, first 2 shown]
	s_waitcnt vmcnt(36) lgkmcnt(1)
	v_mul_f32_e32 v161, v152, v53
	buffer_load_dword v231, off, s[0:3], 0 offset:408
	buffer_load_dword v232, off, s[0:3], 0 offset:412
	;; [unrolled: 1-line block ×6, first 2 shown]
	v_fmac_f32_e32 v161, v153, v51
	v_add_f32_e32 v160, v160, v161
	v_mul_f32_e32 v161, v154, v48
	v_fmac_f32_e32 v161, v155, v47
	v_add_f32_e32 v160, v160, v161
	s_waitcnt lgkmcnt(0)
	v_mul_f32_e32 v161, v156, v50
	v_fmac_f32_e32 v161, v157, v49
	v_add_f32_e32 v164, v160, v161
	ds_read2_b64 v[160:163], v1 offset0:97 offset1:98
	buffer_load_dword v237, off, s[0:3], 0 offset:432
	buffer_load_dword v238, off, s[0:3], 0 offset:436
	s_waitcnt vmcnt(40)
	v_mul_f32_e32 v165, v158, v57
	v_fmac_f32_e32 v165, v159, v56
	v_add_f32_e32 v168, v164, v165
	ds_read2_b64 v[164:167], v1 offset0:99 offset1:100
	buffer_load_dword v239, off, s[0:3], 0 offset:440
	buffer_load_dword v240, off, s[0:3], 0 offset:444
	;; [unrolled: 1-line block ×12, first 2 shown]
	v_mul_f32_e32 v3, v3, v22
	v_fma_f32 v2, v2, v38, -v3
	v_mul_f32_e32 v3, v5, v23
	v_add_f32_e32 v2, 0, v2
	v_fma_f32 v3, v4, v37, -v3
	v_add_f32_e32 v2, v2, v3
	v_mul_f32_e32 v3, v7, v24
	v_fma_f32 v3, v6, v36, -v3
	v_add_f32_e32 v2, v2, v3
	v_mul_f32_e32 v3, v9, v27
	;; [unrolled: 3-line block ×6, first 2 shown]
	v_fma_f32 v3, v16, v46, -v3
	s_waitcnt vmcnt(50) lgkmcnt(1)
	v_mul_f32_e32 v169, v160, v59
	v_add_f32_e32 v2, v2, v3
	v_mul_f32_e32 v3, v19, v32
	v_fmac_f32_e32 v169, v161, v58
	v_fma_f32 v3, v18, v45, -v3
	v_add_f32_e32 v168, v168, v169
	s_waitcnt vmcnt(48)
	v_mul_f32_e32 v169, v162, v61
	v_add_f32_e32 v2, v2, v3
	v_mul_f32_e32 v3, v21, v33
	v_fmac_f32_e32 v169, v163, v60
	v_fma_f32 v3, v20, v44, -v3
	v_add_f32_e32 v168, v168, v169
	s_waitcnt vmcnt(46) lgkmcnt(0)
	v_mul_f32_e32 v169, v164, v63
	v_add_f32_e32 v2, v2, v3
	v_mul_f32_e32 v3, v149, v34
	v_fmac_f32_e32 v169, v165, v62
	v_fma_f32 v3, v148, v43, -v3
	v_add_f32_e32 v172, v168, v169
	ds_read2_b64 v[168:171], v1 offset0:101 offset1:102
	v_add_f32_e32 v2, v2, v3
	v_mul_f32_e32 v3, v151, v35
	v_fma_f32 v3, v150, v52, -v3
	s_waitcnt vmcnt(44)
	v_mul_f32_e32 v173, v166, v65
	v_add_f32_e32 v2, v2, v3
	v_mul_f32_e32 v3, v153, v53
	v_fmac_f32_e32 v173, v167, v64
	v_fma_f32 v3, v152, v51, -v3
	v_add_f32_e32 v176, v172, v173
	ds_read2_b64 v[172:175], v1 offset0:103 offset1:104
	v_add_f32_e32 v2, v2, v3
	v_mul_f32_e32 v3, v155, v48
	s_waitcnt vmcnt(42) lgkmcnt(1)
	v_mul_f32_e32 v177, v168, v67
	v_fma_f32 v3, v154, v47, -v3
	v_fmac_f32_e32 v177, v169, v66
	v_add_f32_e32 v2, v2, v3
	v_mul_f32_e32 v3, v157, v50
	v_add_f32_e32 v176, v176, v177
	s_waitcnt vmcnt(40)
	v_mul_f32_e32 v177, v170, v69
	v_fma_f32 v3, v156, v49, -v3
	v_fmac_f32_e32 v177, v171, v68
	v_add_f32_e32 v2, v2, v3
	v_mul_f32_e32 v3, v159, v57
	v_add_f32_e32 v176, v176, v177
	s_waitcnt vmcnt(38) lgkmcnt(0)
	v_mul_f32_e32 v177, v172, v212
	v_fma_f32 v3, v158, v56, -v3
	v_fmac_f32_e32 v177, v173, v70
	v_add_f32_e32 v2, v2, v3
	v_mul_f32_e32 v3, v161, v59
	v_add_f32_e32 v180, v176, v177
	ds_read2_b64 v[176:179], v1 offset0:105 offset1:106
	v_fma_f32 v3, v160, v58, -v3
	v_add_f32_e32 v2, v2, v3
	v_mul_f32_e32 v3, v163, v61
	s_waitcnt vmcnt(36)
	v_mul_f32_e32 v181, v174, v214
	v_fma_f32 v3, v162, v60, -v3
	v_fmac_f32_e32 v181, v175, v213
	v_add_f32_e32 v2, v2, v3
	v_mul_f32_e32 v3, v165, v63
	v_add_f32_e32 v184, v180, v181
	ds_read2_b64 v[180:183], v1 offset0:107 offset1:108
	v_fma_f32 v3, v164, v62, -v3
	s_waitcnt vmcnt(34) lgkmcnt(1)
	v_mul_f32_e32 v185, v176, v216
	v_add_f32_e32 v2, v2, v3
	v_mul_f32_e32 v3, v167, v65
	v_fmac_f32_e32 v185, v177, v215
	v_fma_f32 v3, v166, v64, -v3
	v_add_f32_e32 v184, v184, v185
	s_waitcnt vmcnt(33)
	v_mul_f32_e32 v185, v178, v217
	v_add_f32_e32 v2, v2, v3
	v_mul_f32_e32 v3, v169, v67
	s_waitcnt vmcnt(30)
	v_fmac_f32_e32 v185, v179, v220
	v_fma_f32 v3, v168, v66, -v3
	v_add_f32_e32 v184, v184, v185
	s_waitcnt lgkmcnt(0)
	v_mul_f32_e32 v185, v180, v219
	v_add_f32_e32 v2, v2, v3
	v_mul_f32_e32 v3, v171, v69
	v_fmac_f32_e32 v185, v181, v218
	v_fma_f32 v3, v170, v68, -v3
	v_add_f32_e32 v188, v184, v185
	ds_read2_b64 v[184:187], v1 offset0:109 offset1:110
	v_add_f32_e32 v2, v2, v3
	v_mul_f32_e32 v3, v173, v212
	v_fma_f32 v3, v172, v70, -v3
	s_waitcnt vmcnt(28)
	v_mul_f32_e32 v189, v182, v222
	v_add_f32_e32 v2, v2, v3
	v_mul_f32_e32 v3, v175, v214
	v_fmac_f32_e32 v189, v183, v221
	v_fma_f32 v3, v174, v213, -v3
	v_add_f32_e32 v192, v188, v189
	ds_read2_b64 v[188:191], v1 offset0:111 offset1:112
	v_add_f32_e32 v2, v2, v3
	v_mul_f32_e32 v3, v177, v216
	s_waitcnt vmcnt(26) lgkmcnt(1)
	v_mul_f32_e32 v193, v184, v224
	v_fma_f32 v3, v176, v215, -v3
	v_fmac_f32_e32 v193, v185, v223
	v_add_f32_e32 v2, v2, v3
	v_mul_f32_e32 v3, v179, v217
	v_add_f32_e32 v192, v192, v193
	s_waitcnt vmcnt(25)
	v_mul_f32_e32 v193, v186, v225
	v_fma_f32 v3, v178, v220, -v3
	s_waitcnt vmcnt(22)
	v_fmac_f32_e32 v193, v187, v228
	v_add_f32_e32 v2, v2, v3
	v_mul_f32_e32 v3, v181, v219
	v_add_f32_e32 v192, v192, v193
	s_waitcnt lgkmcnt(0)
	v_mul_f32_e32 v193, v188, v227
	v_fma_f32 v3, v180, v218, -v3
	v_fmac_f32_e32 v193, v189, v226
	v_add_f32_e32 v2, v2, v3
	v_mul_f32_e32 v3, v183, v222
	v_add_f32_e32 v196, v192, v193
	ds_read2_b64 v[192:195], v1 offset0:113 offset1:114
	v_fma_f32 v3, v182, v221, -v3
	v_add_f32_e32 v2, v2, v3
	v_mul_f32_e32 v3, v185, v224
	s_waitcnt vmcnt(20)
	v_mul_f32_e32 v197, v190, v230
	v_fma_f32 v3, v184, v223, -v3
	v_fmac_f32_e32 v197, v191, v229
	v_add_f32_e32 v2, v2, v3
	v_mul_f32_e32 v3, v187, v225
	v_add_f32_e32 v200, v196, v197
	ds_read2_b64 v[196:199], v1 offset0:115 offset1:116
	v_fma_f32 v3, v186, v228, -v3
	s_waitcnt vmcnt(18) lgkmcnt(1)
	v_mul_f32_e32 v201, v192, v232
	v_add_f32_e32 v2, v2, v3
	v_mul_f32_e32 v3, v189, v227
	v_fmac_f32_e32 v201, v193, v231
	v_fma_f32 v3, v188, v226, -v3
	v_add_f32_e32 v200, v200, v201
	s_waitcnt vmcnt(17)
	v_mul_f32_e32 v201, v194, v233
	v_add_f32_e32 v2, v2, v3
	v_mul_f32_e32 v3, v191, v230
	s_waitcnt vmcnt(14)
	v_fmac_f32_e32 v201, v195, v236
	v_fma_f32 v3, v190, v229, -v3
	v_add_f32_e32 v200, v200, v201
	s_waitcnt lgkmcnt(0)
	v_mul_f32_e32 v201, v196, v235
	v_add_f32_e32 v2, v2, v3
	v_mul_f32_e32 v3, v193, v232
	v_fmac_f32_e32 v201, v197, v234
	v_fma_f32 v3, v192, v231, -v3
	v_add_f32_e32 v204, v200, v201
	ds_read2_b64 v[200:203], v1 offset0:117 offset1:118
	v_add_f32_e32 v2, v2, v3
	v_mul_f32_e32 v3, v195, v233
	v_fma_f32 v3, v194, v236, -v3
	v_add_f32_e32 v2, v2, v3
	v_mul_f32_e32 v3, v197, v235
	s_waitcnt vmcnt(12)
	v_mul_f32_e32 v205, v198, v238
	v_fma_f32 v3, v196, v234, -v3
	v_fmac_f32_e32 v205, v199, v237
	v_add_f32_e32 v2, v2, v3
	v_mul_f32_e32 v3, v199, v238
	v_add_f32_e32 v208, v204, v205
	ds_read2_b64 v[204:207], v1 offset0:119 offset1:120
	s_waitcnt vmcnt(10) lgkmcnt(1)
	v_mul_f32_e32 v209, v200, v240
	v_fma_f32 v3, v198, v237, -v3
	v_fmac_f32_e32 v209, v201, v239
	v_add_f32_e32 v2, v2, v3
	v_mul_f32_e32 v3, v201, v240
	v_add_f32_e32 v208, v208, v209
	s_waitcnt vmcnt(9)
	v_mul_f32_e32 v209, v202, v241
	v_fma_f32 v3, v200, v239, -v3
	s_waitcnt vmcnt(6)
	v_fmac_f32_e32 v209, v203, v244
	v_add_f32_e32 v2, v2, v3
	v_mul_f32_e32 v3, v203, v241
	v_add_f32_e32 v251, v208, v209
	ds_read2_b64 v[208:211], v1 offset0:121 offset1:122
	v_fma_f32 v3, v202, v244, -v3
	v_add_f32_e32 v2, v2, v3
	s_waitcnt lgkmcnt(1)
	v_mul_f32_e32 v3, v205, v243
	v_mul_f32_e32 v252, v204, v243
	v_fma_f32 v3, v204, v242, -v3
	v_fmac_f32_e32 v252, v205, v242
	v_add_f32_e32 v2, v2, v3
	s_waitcnt vmcnt(4)
	v_mul_f32_e32 v3, v207, v246
	v_add_f32_e32 v1, v251, v252
	v_mul_f32_e32 v251, v206, v246
	v_fma_f32 v3, v206, v245, -v3
	v_fmac_f32_e32 v251, v207, v245
	v_add_f32_e32 v2, v2, v3
	s_waitcnt vmcnt(3) lgkmcnt(0)
	v_mul_f32_e32 v3, v209, v247
	v_add_f32_e32 v1, v1, v251
	v_mul_f32_e32 v251, v208, v247
	s_waitcnt vmcnt(0)
	v_fma_f32 v3, v208, v250, -v3
	v_fmac_f32_e32 v251, v209, v250
	v_add_f32_e32 v2, v2, v3
	v_mul_f32_e32 v3, v211, v249
	v_add_f32_e32 v1, v1, v251
	v_mul_f32_e32 v251, v210, v249
	v_fma_f32 v3, v210, v248, -v3
	v_fmac_f32_e32 v251, v211, v248
	v_add_f32_e32 v2, v2, v3
	v_add_f32_e32 v1, v1, v251
	v_sub_f32_e32 v2, v54, v2
	v_sub_f32_e32 v1, v55, v1
	buffer_store_dword v2, off, s[0:3], 0 offset:144
	buffer_store_dword v1, off, s[0:3], 0 offset:148
	s_and_saveexec_b64 s[4:5], vcc
	s_cbranch_execz .LBB60_345
; %bb.344:
	buffer_load_dword v1, off, s[0:3], 0 offset:136
	buffer_load_dword v2, off, s[0:3], 0 offset:140
	v_mov_b32_e32 v3, 0
	buffer_store_dword v3, off, s[0:3], 0 offset:136
	buffer_store_dword v3, off, s[0:3], 0 offset:140
	s_waitcnt vmcnt(2)
	ds_write_b64 v147, v[1:2]
.LBB60_345:
	s_or_b64 exec, exec, s[4:5]
	s_waitcnt lgkmcnt(0)
	; wave barrier
	buffer_load_dword v10, off, s[0:3], 0 offset:148
	buffer_load_dword v9, off, s[0:3], 0 offset:156
	buffer_load_dword v8, off, s[0:3], 0 offset:164
	buffer_load_dword v7, off, s[0:3], 0 offset:172
	buffer_load_dword v6, off, s[0:3], 0 offset:180
	buffer_load_dword v5, off, s[0:3], 0 offset:188
	buffer_load_dword v4, off, s[0:3], 0 offset:196
	buffer_load_dword v11, off, s[0:3], 0 offset:204
	buffer_load_dword v12, off, s[0:3], 0 offset:212
	buffer_load_dword v13, off, s[0:3], 0 offset:220
	buffer_load_dword v14, off, s[0:3], 0 offset:228
	buffer_load_dword v15, off, s[0:3], 0 offset:236
	buffer_load_dword v24, off, s[0:3], 0 offset:160
	buffer_load_dword v29, off, s[0:3], 0 offset:152
	buffer_load_dword v30, off, s[0:3], 0 offset:144
	buffer_load_dword v31, off, s[0:3], 0 offset:192
	buffer_load_dword v32, off, s[0:3], 0 offset:184
	buffer_load_dword v33, off, s[0:3], 0 offset:176
	buffer_load_dword v34, off, s[0:3], 0 offset:168
	buffer_load_dword v35, off, s[0:3], 0 offset:224
	buffer_load_dword v36, off, s[0:3], 0 offset:216
	buffer_load_dword v37, off, s[0:3], 0 offset:208
	buffer_load_dword v38, off, s[0:3], 0 offset:200
	buffer_load_dword v39, off, s[0:3], 0 offset:256
	buffer_load_dword v40, off, s[0:3], 0 offset:260
	buffer_load_dword v41, off, s[0:3], 0 offset:248
	buffer_load_dword v42, off, s[0:3], 0 offset:240
	buffer_load_dword v43, off, s[0:3], 0 offset:232
	buffer_load_dword v44, off, s[0:3], 0 offset:244
	buffer_load_dword v45, off, s[0:3], 0 offset:252
	buffer_load_dword v2, off, s[0:3], 0 offset:136
	buffer_load_dword v3, off, s[0:3], 0 offset:140
	v_mov_b32_e32 v1, 0
	buffer_load_dword v46, off, s[0:3], 0 offset:264
	buffer_load_dword v47, off, s[0:3], 0 offset:268
	;; [unrolled: 1-line block ×16, first 2 shown]
	ds_read_b128 v[16:19], v1 offset:640
	ds_read_b128 v[20:23], v1 offset:656
	;; [unrolled: 1-line block ×6, first 2 shown]
	v_cmp_lt_u32_e32 vcc, 16, v0
	s_waitcnt vmcnt(47) lgkmcnt(5)
	v_mul_f32_e32 v27, v16, v10
	s_waitcnt vmcnt(46)
	v_mul_f32_e32 v28, v18, v9
	s_waitcnt vmcnt(45) lgkmcnt(4)
	v_mul_f32_e32 v62, v20, v8
	s_waitcnt vmcnt(44)
	v_mul_f32_e32 v63, v22, v7
	s_waitcnt vmcnt(43) lgkmcnt(3)
	v_mul_f32_e32 v64, v148, v6
	s_waitcnt vmcnt(42)
	v_mul_f32_e32 v65, v150, v5
	s_waitcnt vmcnt(41) lgkmcnt(2)
	v_mul_f32_e32 v66, v152, v4
	s_waitcnt vmcnt(40)
	v_mul_f32_e32 v67, v154, v11
	s_waitcnt vmcnt(39) lgkmcnt(1)
	v_mul_f32_e32 v68, v156, v12
	s_waitcnt vmcnt(38)
	v_mul_f32_e32 v69, v158, v13
	s_waitcnt vmcnt(37) lgkmcnt(0)
	v_mul_f32_e32 v70, v160, v14
	s_waitcnt vmcnt(36)
	v_mul_f32_e32 v168, v162, v15
	s_waitcnt vmcnt(35)
	v_fmac_f32_e32 v62, v21, v24
	s_waitcnt vmcnt(34)
	v_fmac_f32_e32 v28, v19, v29
	;; [unrolled: 2-line block ×3, first 2 shown]
	v_add_f32_e32 v27, 0, v27
	v_add_f32_e32 v27, v27, v28
	v_add_f32_e32 v27, v27, v62
	s_waitcnt vmcnt(29)
	v_fmac_f32_e32 v63, v23, v34
	v_fmac_f32_e32 v64, v149, v33
	v_add_f32_e32 v27, v27, v63
	v_fmac_f32_e32 v65, v151, v32
	v_add_f32_e32 v27, v27, v64
	buffer_load_dword v62, off, s[0:3], 0 offset:328
	buffer_load_dword v63, off, s[0:3], 0 offset:332
	v_fmac_f32_e32 v66, v153, v31
	v_add_f32_e32 v27, v27, v65
	s_waitcnt vmcnt(27)
	v_fmac_f32_e32 v67, v155, v38
	v_add_f32_e32 v27, v27, v66
	v_fmac_f32_e32 v68, v157, v37
	v_add_f32_e32 v27, v27, v67
	;; [unrolled: 2-line block ×3, first 2 shown]
	v_add_f32_e32 v27, v27, v69
	ds_read_b128 v[164:167], v1 offset:736
	buffer_load_dword v64, off, s[0:3], 0 offset:336
	buffer_load_dword v65, off, s[0:3], 0 offset:340
	;; [unrolled: 1-line block ×6, first 2 shown]
	v_fmac_f32_e32 v70, v161, v35
	s_waitcnt vmcnt(28)
	v_fmac_f32_e32 v168, v163, v43
	v_add_f32_e32 v27, v27, v70
	v_add_f32_e32 v27, v27, v168
	ds_read_b128 v[168:171], v1 offset:752
	buffer_load_dword v70, off, s[0:3], 0 offset:360
	buffer_load_dword v224, off, s[0:3], 0 offset:364
	;; [unrolled: 1-line block ×10, first 2 shown]
	ds_read_b128 v[172:175], v1 offset:768
	buffer_load_dword v233, off, s[0:3], 0 offset:400
	buffer_load_dword v234, off, s[0:3], 0 offset:404
	;; [unrolled: 1-line block ×6, first 2 shown]
	ds_read_b128 v[176:179], v1 offset:784
	buffer_load_dword v239, off, s[0:3], 0 offset:424
	buffer_load_dword v240, off, s[0:3], 0 offset:428
	;; [unrolled: 1-line block ×16, first 2 shown]
	v_mul_f32_e32 v10, v17, v10
	v_fma_f32 v10, v16, v30, -v10
	v_mul_f32_e32 v9, v19, v9
	v_add_f32_e32 v10, 0, v10
	v_fma_f32 v9, v18, v29, -v9
	v_mul_f32_e32 v8, v21, v8
	v_add_f32_e32 v9, v10, v9
	;; [unrolled: 3-line block ×6, first 2 shown]
	v_fma_f32 v4, v152, v31, -v4
	v_add_f32_e32 v4, v5, v4
	v_mul_f32_e32 v5, v155, v11
	v_fma_f32 v5, v154, v38, -v5
	v_add_f32_e32 v4, v4, v5
	v_mul_f32_e32 v5, v157, v12
	v_fma_f32 v5, v156, v37, -v5
	v_add_f32_e32 v4, v4, v5
	v_mul_f32_e32 v5, v159, v13
	v_fma_f32 v5, v158, v36, -v5
	v_add_f32_e32 v4, v4, v5
	v_mul_f32_e32 v5, v161, v14
	v_fma_f32 v5, v160, v35, -v5
	v_add_f32_e32 v4, v4, v5
	v_mul_f32_e32 v5, v163, v15
	s_waitcnt vmcnt(59) lgkmcnt(3)
	v_mul_f32_e32 v28, v164, v44
	v_fma_f32 v5, v162, v43, -v5
	v_fmac_f32_e32 v28, v165, v42
	v_add_f32_e32 v4, v4, v5
	v_mul_f32_e32 v5, v165, v44
	v_add_f32_e32 v27, v27, v28
	s_waitcnt vmcnt(58)
	v_mul_f32_e32 v28, v166, v45
	v_fma_f32 v5, v164, v42, -v5
	v_fmac_f32_e32 v28, v167, v41
	v_add_f32_e32 v4, v4, v5
	v_mul_f32_e32 v5, v167, v45
	v_add_f32_e32 v27, v27, v28
	s_waitcnt lgkmcnt(2)
	v_mul_f32_e32 v28, v168, v40
	v_fma_f32 v5, v166, v41, -v5
	v_fmac_f32_e32 v28, v169, v39
	v_add_f32_e32 v4, v4, v5
	v_mul_f32_e32 v5, v169, v40
	v_add_f32_e32 v27, v27, v28
	s_waitcnt vmcnt(54)
	v_mul_f32_e32 v28, v170, v47
	v_fma_f32 v5, v168, v39, -v5
	v_fmac_f32_e32 v28, v171, v46
	v_add_f32_e32 v4, v4, v5
	v_mul_f32_e32 v5, v171, v47
	v_add_f32_e32 v27, v27, v28
	s_waitcnt vmcnt(52) lgkmcnt(1)
	v_mul_f32_e32 v28, v172, v49
	v_fma_f32 v5, v170, v46, -v5
	v_fmac_f32_e32 v28, v173, v48
	v_add_f32_e32 v4, v4, v5
	v_mul_f32_e32 v5, v173, v49
	v_add_f32_e32 v27, v27, v28
	s_waitcnt vmcnt(50)
	v_mul_f32_e32 v28, v174, v51
	v_fma_f32 v5, v172, v48, -v5
	v_fmac_f32_e32 v28, v175, v50
	ds_read_b128 v[180:183], v1 offset:800
	ds_read_b128 v[184:187], v1 offset:816
	v_add_f32_e32 v4, v4, v5
	v_mul_f32_e32 v5, v175, v51
	v_add_f32_e32 v27, v27, v28
	s_waitcnt vmcnt(48) lgkmcnt(2)
	v_mul_f32_e32 v28, v176, v53
	v_fma_f32 v5, v174, v50, -v5
	v_fmac_f32_e32 v28, v177, v52
	v_add_f32_e32 v4, v4, v5
	v_mul_f32_e32 v5, v177, v53
	v_add_f32_e32 v27, v27, v28
	s_waitcnt vmcnt(46)
	v_mul_f32_e32 v28, v178, v55
	v_fma_f32 v5, v176, v52, -v5
	v_fmac_f32_e32 v28, v179, v54
	v_add_f32_e32 v4, v4, v5
	v_mul_f32_e32 v5, v179, v55
	v_add_f32_e32 v27, v27, v28
	s_waitcnt vmcnt(44) lgkmcnt(1)
	v_mul_f32_e32 v28, v180, v57
	v_fma_f32 v5, v178, v54, -v5
	v_fmac_f32_e32 v28, v181, v56
	v_add_f32_e32 v4, v4, v5
	v_mul_f32_e32 v5, v181, v57
	v_add_f32_e32 v27, v27, v28
	s_waitcnt vmcnt(42)
	v_mul_f32_e32 v28, v182, v59
	v_fma_f32 v5, v180, v56, -v5
	v_fmac_f32_e32 v28, v183, v58
	ds_read_b128 v[188:191], v1 offset:832
	ds_read_b128 v[192:195], v1 offset:848
	v_add_f32_e32 v4, v4, v5
	v_mul_f32_e32 v5, v183, v59
	v_add_f32_e32 v27, v27, v28
	s_waitcnt vmcnt(40) lgkmcnt(2)
	v_mul_f32_e32 v28, v184, v61
	v_fma_f32 v5, v182, v58, -v5
	v_fmac_f32_e32 v28, v185, v60
	v_add_f32_e32 v4, v4, v5
	v_mul_f32_e32 v5, v185, v61
	v_add_f32_e32 v27, v27, v28
	s_waitcnt vmcnt(38)
	v_mul_f32_e32 v28, v186, v63
	v_fma_f32 v5, v184, v60, -v5
	v_fmac_f32_e32 v28, v187, v62
	v_add_f32_e32 v4, v4, v5
	v_mul_f32_e32 v5, v187, v63
	v_add_f32_e32 v27, v27, v28
	s_waitcnt vmcnt(36) lgkmcnt(1)
	v_mul_f32_e32 v28, v188, v65
	v_fma_f32 v5, v186, v62, -v5
	v_fmac_f32_e32 v28, v189, v64
	v_add_f32_e32 v4, v4, v5
	v_mul_f32_e32 v5, v189, v65
	v_add_f32_e32 v27, v27, v28
	s_waitcnt vmcnt(35)
	v_mul_f32_e32 v28, v190, v66
	v_fma_f32 v5, v188, v64, -v5
	s_waitcnt vmcnt(32)
	v_fmac_f32_e32 v28, v191, v69
	ds_read_b128 v[196:199], v1 offset:864
	ds_read_b128 v[200:203], v1 offset:880
	v_add_f32_e32 v4, v4, v5
	v_mul_f32_e32 v5, v191, v66
	v_add_f32_e32 v27, v27, v28
	s_waitcnt lgkmcnt(2)
	v_mul_f32_e32 v28, v192, v68
	v_fma_f32 v5, v190, v69, -v5
	v_fmac_f32_e32 v28, v193, v67
	v_add_f32_e32 v4, v4, v5
	v_mul_f32_e32 v5, v193, v68
	v_add_f32_e32 v27, v27, v28
	s_waitcnt vmcnt(30)
	v_mul_f32_e32 v28, v194, v224
	v_fma_f32 v5, v192, v67, -v5
	v_fmac_f32_e32 v28, v195, v70
	v_add_f32_e32 v4, v4, v5
	v_mul_f32_e32 v5, v195, v224
	v_add_f32_e32 v27, v27, v28
	s_waitcnt vmcnt(28) lgkmcnt(1)
	v_mul_f32_e32 v28, v196, v226
	v_fma_f32 v5, v194, v70, -v5
	v_fmac_f32_e32 v28, v197, v225
	v_add_f32_e32 v4, v4, v5
	v_mul_f32_e32 v5, v197, v226
	v_add_f32_e32 v27, v27, v28
	s_waitcnt vmcnt(27)
	v_mul_f32_e32 v28, v198, v227
	v_fma_f32 v5, v196, v225, -v5
	s_waitcnt vmcnt(24)
	v_fmac_f32_e32 v28, v199, v230
	ds_read_b128 v[204:207], v1 offset:896
	ds_read_b128 v[208:211], v1 offset:912
	v_add_f32_e32 v4, v4, v5
	v_mul_f32_e32 v5, v199, v227
	v_add_f32_e32 v27, v27, v28
	s_waitcnt lgkmcnt(2)
	v_mul_f32_e32 v28, v200, v229
	v_fma_f32 v5, v198, v230, -v5
	v_fmac_f32_e32 v28, v201, v228
	v_add_f32_e32 v4, v4, v5
	v_mul_f32_e32 v5, v201, v229
	v_add_f32_e32 v27, v27, v28
	s_waitcnt vmcnt(22)
	v_mul_f32_e32 v28, v202, v232
	v_fma_f32 v5, v200, v228, -v5
	v_fmac_f32_e32 v28, v203, v231
	v_add_f32_e32 v4, v4, v5
	v_mul_f32_e32 v5, v203, v232
	v_add_f32_e32 v27, v27, v28
	s_waitcnt vmcnt(20) lgkmcnt(1)
	v_mul_f32_e32 v28, v204, v234
	v_fma_f32 v5, v202, v231, -v5
	v_fmac_f32_e32 v28, v205, v233
	v_add_f32_e32 v4, v4, v5
	v_mul_f32_e32 v5, v205, v234
	v_add_f32_e32 v27, v27, v28
	s_waitcnt vmcnt(19)
	v_mul_f32_e32 v28, v206, v235
	v_fma_f32 v5, v204, v233, -v5
	s_waitcnt vmcnt(16)
	v_fmac_f32_e32 v28, v207, v238
	ds_read_b128 v[212:215], v1 offset:928
	ds_read_b128 v[216:219], v1 offset:944
	v_add_f32_e32 v4, v4, v5
	v_mul_f32_e32 v5, v207, v235
	v_add_f32_e32 v27, v27, v28
	s_waitcnt lgkmcnt(2)
	v_mul_f32_e32 v28, v208, v237
	v_fma_f32 v5, v206, v238, -v5
	v_fmac_f32_e32 v28, v209, v236
	v_add_f32_e32 v4, v4, v5
	v_mul_f32_e32 v5, v209, v237
	v_add_f32_e32 v27, v27, v28
	s_waitcnt vmcnt(14)
	v_mul_f32_e32 v28, v210, v240
	v_fma_f32 v5, v208, v236, -v5
	v_fmac_f32_e32 v28, v211, v239
	v_add_f32_e32 v4, v4, v5
	v_mul_f32_e32 v5, v211, v240
	v_add_f32_e32 v27, v27, v28
	s_waitcnt vmcnt(12) lgkmcnt(1)
	v_mul_f32_e32 v28, v212, v242
	v_fma_f32 v5, v210, v239, -v5
	v_fmac_f32_e32 v28, v213, v241
	v_add_f32_e32 v4, v4, v5
	v_mul_f32_e32 v5, v213, v242
	v_add_f32_e32 v27, v27, v28
	s_waitcnt vmcnt(11)
	v_mul_f32_e32 v28, v214, v243
	v_fma_f32 v5, v212, v241, -v5
	s_waitcnt vmcnt(8)
	v_fmac_f32_e32 v28, v215, v246
	v_add_f32_e32 v4, v4, v5
	v_mul_f32_e32 v5, v215, v243
	v_add_f32_e32 v27, v27, v28
	s_waitcnt lgkmcnt(0)
	v_mul_f32_e32 v28, v216, v245
	ds_read_b128 v[220:223], v1 offset:960
	v_fma_f32 v5, v214, v246, -v5
	v_fmac_f32_e32 v28, v217, v244
	v_add_f32_e32 v4, v4, v5
	v_mul_f32_e32 v5, v217, v245
	v_add_f32_e32 v27, v27, v28
	s_waitcnt vmcnt(6)
	v_mul_f32_e32 v28, v218, v248
	v_fma_f32 v5, v216, v244, -v5
	v_fmac_f32_e32 v28, v219, v247
	v_add_f32_e32 v4, v4, v5
	v_mul_f32_e32 v5, v219, v248
	v_add_f32_e32 v255, v27, v28
	ds_read_b64 v[27:28], v1 offset:976
	v_fma_f32 v5, v218, v247, -v5
	v_add_f32_e32 v4, v4, v5
	s_waitcnt vmcnt(4) lgkmcnt(1)
	v_mul_f32_e32 v5, v221, v250
	v_fma_f32 v5, v220, v249, -v5
	v_mul_f32_e32 v71, v220, v250
	v_add_f32_e32 v4, v4, v5
	s_waitcnt vmcnt(3)
	v_mul_f32_e32 v5, v223, v251
	v_fmac_f32_e32 v71, v221, v249
	v_mul_f32_e32 v72, v222, v251
	s_waitcnt vmcnt(0)
	v_fma_f32 v5, v222, v254, -v5
	v_add_f32_e32 v71, v255, v71
	v_fmac_f32_e32 v72, v223, v254
	v_add_f32_e32 v4, v4, v5
	s_waitcnt lgkmcnt(0)
	v_mul_f32_e32 v5, v28, v253
	v_add_f32_e32 v71, v71, v72
	v_mul_f32_e32 v72, v27, v253
	v_fma_f32 v5, v27, v252, -v5
	v_fmac_f32_e32 v72, v28, v252
	v_add_f32_e32 v4, v4, v5
	v_add_f32_e32 v71, v71, v72
	v_sub_f32_e32 v2, v2, v4
	v_sub_f32_e32 v3, v3, v71
	buffer_store_dword v2, off, s[0:3], 0 offset:136
	buffer_store_dword v3, off, s[0:3], 0 offset:140
	s_and_saveexec_b64 s[4:5], vcc
	s_cbranch_execz .LBB60_347
; %bb.346:
	buffer_load_dword v2, off, s[0:3], 0 offset:128
	buffer_load_dword v3, off, s[0:3], 0 offset:132
	s_waitcnt vmcnt(0)
	ds_write_b64 v147, v[2:3]
	buffer_store_dword v1, off, s[0:3], 0 offset:128
	buffer_store_dword v1, off, s[0:3], 0 offset:132
.LBB60_347:
	s_or_b64 exec, exec, s[4:5]
	s_waitcnt lgkmcnt(0)
	; wave barrier
	buffer_load_dword v10, off, s[0:3], 0 offset:140
	buffer_load_dword v9, off, s[0:3], 0 offset:148
	buffer_load_dword v8, off, s[0:3], 0 offset:156
	buffer_load_dword v7, off, s[0:3], 0 offset:164
	buffer_load_dword v6, off, s[0:3], 0 offset:172
	buffer_load_dword v5, off, s[0:3], 0 offset:180
	buffer_load_dword v4, off, s[0:3], 0 offset:188
	buffer_load_dword v11, off, s[0:3], 0 offset:196
	buffer_load_dword v12, off, s[0:3], 0 offset:204
	buffer_load_dword v13, off, s[0:3], 0 offset:212
	buffer_load_dword v14, off, s[0:3], 0 offset:220
	buffer_load_dword v15, off, s[0:3], 0 offset:228
	buffer_load_dword v24, off, s[0:3], 0 offset:152
	buffer_load_dword v27, off, s[0:3], 0 offset:144
	buffer_load_dword v28, off, s[0:3], 0 offset:136
	buffer_load_dword v29, off, s[0:3], 0 offset:184
	buffer_load_dword v30, off, s[0:3], 0 offset:176
	buffer_load_dword v31, off, s[0:3], 0 offset:168
	buffer_load_dword v32, off, s[0:3], 0 offset:160
	buffer_load_dword v33, off, s[0:3], 0 offset:216
	buffer_load_dword v34, off, s[0:3], 0 offset:208
	buffer_load_dword v35, off, s[0:3], 0 offset:200
	buffer_load_dword v36, off, s[0:3], 0 offset:192
	buffer_load_dword v37, off, s[0:3], 0 offset:248
	buffer_load_dword v38, off, s[0:3], 0 offset:240
	buffer_load_dword v39, off, s[0:3], 0 offset:232
	buffer_load_dword v40, off, s[0:3], 0 offset:224
	buffer_load_dword v41, off, s[0:3], 0 offset:236
	buffer_load_dword v42, off, s[0:3], 0 offset:244
	buffer_load_dword v43, off, s[0:3], 0 offset:252
	buffer_load_dword v2, off, s[0:3], 0 offset:128
	buffer_load_dword v3, off, s[0:3], 0 offset:132
	ds_read2_b64 v[16:19], v1 offset0:79 offset1:80
	ds_read2_b64 v[20:23], v1 offset0:81 offset1:82
	;; [unrolled: 1-line block ×4, first 2 shown]
	buffer_load_dword v44, off, s[0:3], 0 offset:256
	buffer_load_dword v45, off, s[0:3], 0 offset:260
	ds_read2_b64 v[156:159], v1 offset0:87 offset1:88
	ds_read2_b64 v[160:163], v1 offset0:89 offset1:90
	;; [unrolled: 1-line block ×3, first 2 shown]
	buffer_load_dword v46, off, s[0:3], 0 offset:264
	buffer_load_dword v47, off, s[0:3], 0 offset:268
	;; [unrolled: 1-line block ×14, first 2 shown]
	v_cmp_lt_u32_e32 vcc, 15, v0
	s_waitcnt vmcnt(47) lgkmcnt(6)
	v_mul_f32_e32 v60, v16, v10
	s_waitcnt vmcnt(46)
	v_mul_f32_e32 v61, v18, v9
	s_waitcnt vmcnt(45) lgkmcnt(5)
	v_mul_f32_e32 v62, v20, v8
	s_waitcnt vmcnt(44)
	v_mul_f32_e32 v63, v22, v7
	;; [unrolled: 4-line block ×6, first 2 shown]
	s_waitcnt vmcnt(35)
	v_fmac_f32_e32 v62, v21, v24
	s_waitcnt vmcnt(34)
	v_fmac_f32_e32 v61, v19, v27
	;; [unrolled: 2-line block ×3, first 2 shown]
	v_add_f32_e32 v60, 0, v60
	v_add_f32_e32 v60, v60, v61
	;; [unrolled: 1-line block ×3, first 2 shown]
	s_waitcnt vmcnt(29)
	v_fmac_f32_e32 v63, v23, v32
	v_fmac_f32_e32 v64, v149, v31
	v_add_f32_e32 v60, v60, v63
	buffer_load_dword v61, off, s[0:3], 0 offset:320
	buffer_load_dword v62, off, s[0:3], 0 offset:324
	v_fmac_f32_e32 v65, v151, v30
	v_add_f32_e32 v60, v60, v64
	v_fmac_f32_e32 v66, v153, v29
	v_add_f32_e32 v60, v60, v65
	s_waitcnt vmcnt(27)
	v_fmac_f32_e32 v67, v155, v36
	v_add_f32_e32 v60, v60, v66
	v_fmac_f32_e32 v68, v157, v35
	v_add_f32_e32 v60, v60, v67
	;; [unrolled: 2-line block ×3, first 2 shown]
	v_add_f32_e32 v60, v60, v69
	ds_read2_b64 v[168:171], v1 offset0:93 offset1:94
	buffer_load_dword v64, off, s[0:3], 0 offset:328
	buffer_load_dword v65, off, s[0:3], 0 offset:332
	;; [unrolled: 1-line block ×6, first 2 shown]
	v_fmac_f32_e32 v70, v161, v33
	s_waitcnt vmcnt(29)
	v_fmac_f32_e32 v71, v163, v40
	v_add_f32_e32 v60, v60, v70
	v_add_f32_e32 v60, v60, v71
	buffer_load_dword v70, off, s[0:3], 0 offset:352
	buffer_load_dword v71, off, s[0:3], 0 offset:356
	;; [unrolled: 1-line block ×8, first 2 shown]
	s_waitcnt vmcnt(36) lgkmcnt(1)
	v_mul_f32_e32 v63, v164, v41
	v_fmac_f32_e32 v63, v165, v39
	v_add_f32_e32 v60, v60, v63
	s_waitcnt vmcnt(35)
	v_mul_f32_e32 v63, v166, v42
	buffer_load_dword v233, off, s[0:3], 0 offset:384
	buffer_load_dword v234, off, s[0:3], 0 offset:388
	v_fmac_f32_e32 v63, v167, v38
	v_add_f32_e32 v60, v60, v63
	s_waitcnt vmcnt(36) lgkmcnt(0)
	v_mul_f32_e32 v63, v168, v43
	v_fmac_f32_e32 v63, v169, v37
	v_add_f32_e32 v60, v60, v63
	s_waitcnt vmcnt(32)
	v_mul_f32_e32 v63, v170, v45
	v_fmac_f32_e32 v63, v171, v44
	ds_read2_b64 v[172:175], v1 offset0:95 offset1:96
	v_add_f32_e32 v60, v60, v63
	buffer_load_dword v63, off, s[0:3], 0 offset:392
	buffer_load_dword v235, off, s[0:3], 0 offset:396
	;; [unrolled: 1-line block ×6, first 2 shown]
	ds_read2_b64 v[176:179], v1 offset0:97 offset1:98
	buffer_load_dword v240, off, s[0:3], 0 offset:416
	buffer_load_dword v241, off, s[0:3], 0 offset:420
	;; [unrolled: 1-line block ×10, first 2 shown]
	s_waitcnt vmcnt(46) lgkmcnt(1)
	v_mul_f32_e32 v180, v172, v47
	v_fmac_f32_e32 v180, v173, v46
	v_add_f32_e32 v60, v60, v180
	s_waitcnt vmcnt(44)
	v_mul_f32_e32 v180, v174, v49
	v_fmac_f32_e32 v180, v175, v48
	v_add_f32_e32 v60, v60, v180
	s_waitcnt vmcnt(42) lgkmcnt(0)
	v_mul_f32_e32 v180, v176, v51
	buffer_load_dword v250, off, s[0:3], 0 offset:456
	buffer_load_dword v251, off, s[0:3], 0 offset:460
	;; [unrolled: 1-line block ×6, first 2 shown]
	v_fmac_f32_e32 v180, v177, v50
	s_waitcnt vmcnt(46)
	v_mul_f32_e32 v184, v178, v53
	v_add_f32_e32 v60, v60, v180
	v_fmac_f32_e32 v184, v179, v52
	ds_read2_b64 v[180:183], v1 offset0:99 offset1:100
	v_add_f32_e32 v60, v60, v184
	ds_read2_b64 v[184:187], v1 offset0:101 offset1:102
	buffer_load_dword v73, off, s[0:3], 0 offset:480
	buffer_load_dword v74, off, s[0:3], 0 offset:484
	v_mul_f32_e32 v10, v17, v10
	v_fma_f32 v10, v16, v28, -v10
	v_mul_f32_e32 v9, v19, v9
	v_add_f32_e32 v10, 0, v10
	v_fma_f32 v9, v18, v27, -v9
	v_mul_f32_e32 v8, v21, v8
	v_add_f32_e32 v9, v10, v9
	;; [unrolled: 3-line block ×6, first 2 shown]
	v_fma_f32 v4, v152, v29, -v4
	v_add_f32_e32 v4, v5, v4
	v_mul_f32_e32 v5, v155, v11
	v_fma_f32 v5, v154, v36, -v5
	v_add_f32_e32 v4, v4, v5
	v_mul_f32_e32 v5, v157, v12
	;; [unrolled: 3-line block ×6, first 2 shown]
	s_waitcnt vmcnt(46) lgkmcnt(1)
	v_mul_f32_e32 v188, v180, v55
	v_fma_f32 v5, v164, v39, -v5
	v_fmac_f32_e32 v188, v181, v54
	v_add_f32_e32 v4, v4, v5
	v_mul_f32_e32 v5, v167, v42
	v_add_f32_e32 v60, v60, v188
	s_waitcnt vmcnt(44)
	v_mul_f32_e32 v188, v182, v57
	v_fma_f32 v5, v166, v38, -v5
	v_fmac_f32_e32 v188, v183, v56
	v_add_f32_e32 v4, v4, v5
	v_mul_f32_e32 v5, v169, v43
	v_add_f32_e32 v60, v60, v188
	s_waitcnt vmcnt(42) lgkmcnt(0)
	v_mul_f32_e32 v188, v184, v59
	v_fma_f32 v5, v168, v37, -v5
	v_fmac_f32_e32 v188, v185, v58
	v_add_f32_e32 v4, v4, v5
	v_mul_f32_e32 v5, v171, v45
	v_add_f32_e32 v60, v60, v188
	ds_read2_b64 v[188:191], v1 offset0:103 offset1:104
	v_fma_f32 v5, v170, v44, -v5
	v_add_f32_e32 v4, v4, v5
	v_mul_f32_e32 v5, v173, v47
	s_waitcnt vmcnt(40)
	v_mul_f32_e32 v192, v186, v62
	v_fma_f32 v5, v172, v46, -v5
	v_fmac_f32_e32 v192, v187, v61
	v_add_f32_e32 v4, v4, v5
	v_mul_f32_e32 v5, v175, v49
	v_add_f32_e32 v60, v60, v192
	ds_read2_b64 v[192:195], v1 offset0:105 offset1:106
	v_fma_f32 v5, v174, v48, -v5
	s_waitcnt vmcnt(38) lgkmcnt(1)
	v_mul_f32_e32 v196, v188, v65
	v_add_f32_e32 v4, v4, v5
	v_mul_f32_e32 v5, v177, v51
	v_fmac_f32_e32 v196, v189, v64
	v_fma_f32 v5, v176, v50, -v5
	v_add_f32_e32 v60, v60, v196
	s_waitcnt vmcnt(37)
	v_mul_f32_e32 v196, v190, v66
	v_add_f32_e32 v4, v4, v5
	v_mul_f32_e32 v5, v179, v53
	s_waitcnt vmcnt(34)
	v_fmac_f32_e32 v196, v191, v69
	v_fma_f32 v5, v178, v52, -v5
	v_add_f32_e32 v60, v60, v196
	s_waitcnt lgkmcnt(0)
	v_mul_f32_e32 v196, v192, v68
	v_add_f32_e32 v4, v4, v5
	v_mul_f32_e32 v5, v181, v55
	v_fmac_f32_e32 v196, v193, v67
	v_fma_f32 v5, v180, v54, -v5
	v_add_f32_e32 v60, v60, v196
	ds_read2_b64 v[196:199], v1 offset0:107 offset1:108
	v_add_f32_e32 v4, v4, v5
	v_mul_f32_e32 v5, v183, v57
	v_fma_f32 v5, v182, v56, -v5
	s_waitcnt vmcnt(32)
	v_mul_f32_e32 v200, v194, v71
	v_add_f32_e32 v4, v4, v5
	v_mul_f32_e32 v5, v185, v59
	v_fmac_f32_e32 v200, v195, v70
	v_fma_f32 v5, v184, v58, -v5
	v_add_f32_e32 v60, v60, v200
	ds_read2_b64 v[200:203], v1 offset0:109 offset1:110
	v_add_f32_e32 v4, v4, v5
	v_mul_f32_e32 v5, v187, v62
	s_waitcnt vmcnt(30) lgkmcnt(1)
	v_mul_f32_e32 v204, v196, v228
	v_fma_f32 v5, v186, v61, -v5
	v_fmac_f32_e32 v204, v197, v72
	v_add_f32_e32 v4, v4, v5
	v_mul_f32_e32 v5, v189, v65
	v_add_f32_e32 v60, v60, v204
	s_waitcnt vmcnt(29)
	v_mul_f32_e32 v204, v198, v229
	v_fma_f32 v5, v188, v64, -v5
	s_waitcnt vmcnt(26)
	v_fmac_f32_e32 v204, v199, v232
	v_add_f32_e32 v4, v4, v5
	v_mul_f32_e32 v5, v191, v66
	v_add_f32_e32 v60, v60, v204
	s_waitcnt lgkmcnt(0)
	v_mul_f32_e32 v204, v200, v231
	v_fma_f32 v5, v190, v69, -v5
	v_fmac_f32_e32 v204, v201, v230
	v_add_f32_e32 v4, v4, v5
	v_mul_f32_e32 v5, v193, v68
	v_add_f32_e32 v60, v60, v204
	ds_read2_b64 v[204:207], v1 offset0:111 offset1:112
	v_fma_f32 v5, v192, v67, -v5
	v_add_f32_e32 v4, v4, v5
	v_mul_f32_e32 v5, v195, v71
	s_waitcnt vmcnt(24)
	v_mul_f32_e32 v208, v202, v234
	v_fma_f32 v5, v194, v70, -v5
	v_fmac_f32_e32 v208, v203, v233
	v_add_f32_e32 v4, v4, v5
	v_mul_f32_e32 v5, v197, v228
	v_add_f32_e32 v60, v60, v208
	ds_read2_b64 v[208:211], v1 offset0:113 offset1:114
	v_fma_f32 v5, v196, v72, -v5
	s_waitcnt vmcnt(22) lgkmcnt(1)
	v_mul_f32_e32 v212, v204, v235
	v_add_f32_e32 v4, v4, v5
	v_mul_f32_e32 v5, v199, v229
	v_fmac_f32_e32 v212, v205, v63
	v_fma_f32 v5, v198, v232, -v5
	v_add_f32_e32 v60, v60, v212
	s_waitcnt vmcnt(21)
	v_mul_f32_e32 v212, v206, v236
	v_add_f32_e32 v4, v4, v5
	v_mul_f32_e32 v5, v201, v231
	s_waitcnt vmcnt(18)
	v_fmac_f32_e32 v212, v207, v239
	v_fma_f32 v5, v200, v230, -v5
	v_add_f32_e32 v60, v60, v212
	s_waitcnt lgkmcnt(0)
	v_mul_f32_e32 v212, v208, v238
	v_add_f32_e32 v4, v4, v5
	v_mul_f32_e32 v5, v203, v234
	v_fmac_f32_e32 v212, v209, v237
	v_fma_f32 v5, v202, v233, -v5
	v_add_f32_e32 v60, v60, v212
	ds_read2_b64 v[212:215], v1 offset0:115 offset1:116
	v_add_f32_e32 v4, v4, v5
	v_mul_f32_e32 v5, v205, v235
	v_fma_f32 v5, v204, v63, -v5
	s_waitcnt vmcnt(16)
	v_mul_f32_e32 v216, v210, v241
	v_add_f32_e32 v4, v4, v5
	v_mul_f32_e32 v5, v207, v236
	v_fmac_f32_e32 v216, v211, v240
	v_fma_f32 v5, v206, v239, -v5
	v_add_f32_e32 v60, v60, v216
	ds_read2_b64 v[216:219], v1 offset0:117 offset1:118
	v_add_f32_e32 v4, v4, v5
	v_mul_f32_e32 v5, v209, v238
	s_waitcnt vmcnt(14) lgkmcnt(1)
	v_mul_f32_e32 v220, v212, v243
	v_fma_f32 v5, v208, v237, -v5
	v_fmac_f32_e32 v220, v213, v242
	v_add_f32_e32 v4, v4, v5
	v_mul_f32_e32 v5, v211, v241
	v_add_f32_e32 v60, v60, v220
	s_waitcnt vmcnt(13)
	v_mul_f32_e32 v220, v214, v244
	v_fma_f32 v5, v210, v240, -v5
	s_waitcnt vmcnt(10)
	v_fmac_f32_e32 v220, v215, v247
	v_add_f32_e32 v4, v4, v5
	v_mul_f32_e32 v5, v213, v243
	v_add_f32_e32 v60, v60, v220
	s_waitcnt lgkmcnt(0)
	v_mul_f32_e32 v220, v216, v246
	v_fma_f32 v5, v212, v242, -v5
	v_fmac_f32_e32 v220, v217, v245
	v_add_f32_e32 v4, v4, v5
	v_mul_f32_e32 v5, v215, v244
	v_add_f32_e32 v60, v60, v220
	ds_read2_b64 v[220:223], v1 offset0:119 offset1:120
	v_fma_f32 v5, v214, v247, -v5
	v_add_f32_e32 v4, v4, v5
	v_mul_f32_e32 v5, v217, v246
	s_waitcnt vmcnt(8)
	v_mul_f32_e32 v224, v218, v249
	v_fma_f32 v5, v216, v245, -v5
	v_fmac_f32_e32 v224, v219, v248
	v_add_f32_e32 v4, v4, v5
	v_mul_f32_e32 v5, v219, v249
	v_add_f32_e32 v60, v60, v224
	ds_read2_b64 v[224:227], v1 offset0:121 offset1:122
	v_fma_f32 v5, v218, v248, -v5
	v_add_f32_e32 v4, v4, v5
	s_waitcnt vmcnt(6) lgkmcnt(1)
	v_mul_f32_e32 v5, v221, v251
	v_mul_f32_e32 v1, v220, v251
	v_fma_f32 v5, v220, v250, -v5
	v_fmac_f32_e32 v1, v221, v250
	v_add_f32_e32 v4, v4, v5
	s_waitcnt vmcnt(5)
	v_mul_f32_e32 v5, v223, v252
	v_add_f32_e32 v1, v60, v1
	v_mul_f32_e32 v60, v222, v252
	s_waitcnt vmcnt(2)
	v_fma_f32 v5, v222, v255, -v5
	v_fmac_f32_e32 v60, v223, v255
	v_add_f32_e32 v4, v4, v5
	s_waitcnt lgkmcnt(0)
	v_mul_f32_e32 v5, v225, v254
	v_add_f32_e32 v1, v1, v60
	v_mul_f32_e32 v60, v224, v254
	v_fma_f32 v5, v224, v253, -v5
	v_fmac_f32_e32 v60, v225, v253
	v_add_f32_e32 v4, v4, v5
	s_waitcnt vmcnt(0)
	v_mul_f32_e32 v5, v227, v74
	v_add_f32_e32 v1, v1, v60
	v_mul_f32_e32 v60, v226, v74
	v_fma_f32 v5, v226, v73, -v5
	v_fmac_f32_e32 v60, v227, v73
	v_add_f32_e32 v4, v4, v5
	v_add_f32_e32 v1, v1, v60
	v_sub_f32_e32 v2, v2, v4
	v_sub_f32_e32 v1, v3, v1
	buffer_store_dword v2, off, s[0:3], 0 offset:128
	buffer_store_dword v1, off, s[0:3], 0 offset:132
	s_and_saveexec_b64 s[4:5], vcc
	s_cbranch_execz .LBB60_349
; %bb.348:
	buffer_load_dword v1, off, s[0:3], 0 offset:120
	buffer_load_dword v2, off, s[0:3], 0 offset:124
	v_mov_b32_e32 v3, 0
	buffer_store_dword v3, off, s[0:3], 0 offset:120
	buffer_store_dword v3, off, s[0:3], 0 offset:124
	s_waitcnt vmcnt(2)
	ds_write_b64 v147, v[1:2]
.LBB60_349:
	s_or_b64 exec, exec, s[4:5]
	s_waitcnt lgkmcnt(0)
	; wave barrier
	buffer_load_dword v24, off, s[0:3], 0 offset:132
	buffer_load_dword v29, off, s[0:3], 0 offset:140
	;; [unrolled: 1-line block ×32, first 2 shown]
	v_mov_b32_e32 v1, 0
	buffer_load_dword v58, off, s[0:3], 0 offset:248
	buffer_load_dword v59, off, s[0:3], 0 offset:252
	buffer_load_dword v60, off, s[0:3], 0 offset:256
	buffer_load_dword v61, off, s[0:3], 0 offset:260
	buffer_load_dword v62, off, s[0:3], 0 offset:264
	buffer_load_dword v63, off, s[0:3], 0 offset:268
	buffer_load_dword v64, off, s[0:3], 0 offset:272
	buffer_load_dword v65, off, s[0:3], 0 offset:276
	buffer_load_dword v66, off, s[0:3], 0 offset:280
	buffer_load_dword v67, off, s[0:3], 0 offset:284
	buffer_load_dword v68, off, s[0:3], 0 offset:288
	buffer_load_dword v69, off, s[0:3], 0 offset:292
	buffer_load_dword v70, off, s[0:3], 0 offset:296
	buffer_load_dword v71, off, s[0:3], 0 offset:300
	buffer_load_dword v72, off, s[0:3], 0 offset:304
	buffer_load_dword v73, off, s[0:3], 0 offset:308
	ds_read_b128 v[4:7], v1 offset:624
	ds_read_b128 v[8:11], v1 offset:640
	;; [unrolled: 1-line block ×7, first 2 shown]
	v_cmp_lt_u32_e32 vcc, 14, v0
	s_waitcnt vmcnt(47) lgkmcnt(6)
	v_mul_f32_e32 v27, v4, v24
	s_waitcnt vmcnt(46)
	v_mul_f32_e32 v28, v6, v29
	s_waitcnt vmcnt(45) lgkmcnt(5)
	v_mul_f32_e32 v74, v8, v30
	s_waitcnt vmcnt(44)
	v_mul_f32_e32 v156, v10, v31
	;; [unrolled: 4-line block ×6, first 2 shown]
	s_waitcnt vmcnt(35)
	v_fmac_f32_e32 v74, v9, v40
	s_waitcnt vmcnt(34)
	v_fmac_f32_e32 v28, v7, v41
	;; [unrolled: 2-line block ×3, first 2 shown]
	v_add_f32_e32 v27, 0, v27
	v_add_f32_e32 v27, v27, v28
	;; [unrolled: 1-line block ×3, first 2 shown]
	s_waitcnt vmcnt(29)
	v_fmac_f32_e32 v156, v11, v46
	v_fmac_f32_e32 v157, v13, v45
	v_add_f32_e32 v27, v27, v156
	v_fmac_f32_e32 v158, v15, v44
	v_add_f32_e32 v27, v27, v157
	;; [unrolled: 2-line block ×3, first 2 shown]
	v_add_f32_e32 v27, v27, v159
	ds_read_b128 v[156:159], v1 offset:736
	buffer_load_dword v74, off, s[0:3], 0 offset:312
	buffer_load_dword v216, off, s[0:3], 0 offset:316
	;; [unrolled: 1-line block ×10, first 2 shown]
	s_waitcnt vmcnt(35)
	v_fmac_f32_e32 v160, v19, v50
	v_fmac_f32_e32 v161, v21, v49
	v_add_f32_e32 v27, v27, v160
	buffer_load_dword v225, off, s[0:3], 0 offset:352
	buffer_load_dword v226, off, s[0:3], 0 offset:356
	;; [unrolled: 1-line block ×6, first 2 shown]
	v_fmac_f32_e32 v162, v23, v48
	v_add_f32_e32 v27, v27, v161
	v_fmac_f32_e32 v163, v149, v47
	v_add_f32_e32 v27, v27, v162
	v_add_f32_e32 v27, v27, v163
	ds_read_b128 v[160:163], v1 offset:752
	buffer_load_dword v231, off, s[0:3], 0 offset:376
	buffer_load_dword v232, off, s[0:3], 0 offset:380
	s_waitcnt vmcnt(39)
	v_fmac_f32_e32 v164, v151, v54
	v_add_f32_e32 v27, v27, v164
	ds_read_b128 v[164:167], v1 offset:768
	buffer_load_dword v233, off, s[0:3], 0 offset:384
	buffer_load_dword v234, off, s[0:3], 0 offset:388
	;; [unrolled: 1-line block ×16, first 2 shown]
	v_mul_f32_e32 v5, v5, v24
	ds_read_b128 v[168:171], v1 offset:784
	buffer_load_dword v249, off, s[0:3], 0 offset:448
	buffer_load_dword v250, off, s[0:3], 0 offset:452
	;; [unrolled: 1-line block ×6, first 2 shown]
	v_fma_f32 v4, v4, v42, -v5
	v_mul_f32_e32 v5, v7, v29
	v_add_f32_e32 v4, 0, v4
	v_fma_f32 v5, v6, v41, -v5
	v_add_f32_e32 v4, v4, v5
	v_mul_f32_e32 v5, v9, v30
	v_fma_f32 v5, v8, v40, -v5
	v_add_f32_e32 v4, v4, v5
	v_mul_f32_e32 v5, v11, v31
	ds_read_b128 v[172:175], v1 offset:800
	buffer_load_dword v255, off, s[0:3], 0 offset:476
	buffer_load_dword v75, off, s[0:3], 0 offset:480
	;; [unrolled: 1-line block ×4, first 2 shown]
	v_fma_f32 v5, v10, v46, -v5
	v_add_f32_e32 v4, v4, v5
	v_mul_f32_e32 v5, v13, v32
	v_fma_f32 v5, v12, v45, -v5
	v_add_f32_e32 v4, v4, v5
	v_mul_f32_e32 v5, v15, v33
	;; [unrolled: 3-line block ×8, first 2 shown]
	s_waitcnt vmcnt(62) lgkmcnt(5)
	v_mul_f32_e32 v28, v152, v55
	v_fma_f32 v5, v150, v54, -v5
	v_fmac_f32_e32 v28, v153, v53
	v_add_f32_e32 v4, v4, v5
	v_mul_f32_e32 v5, v153, v55
	v_add_f32_e32 v27, v27, v28
	v_mul_f32_e32 v28, v154, v56
	v_fma_f32 v5, v152, v53, -v5
	v_fmac_f32_e32 v28, v155, v52
	v_add_f32_e32 v4, v4, v5
	v_mul_f32_e32 v5, v155, v56
	v_add_f32_e32 v27, v27, v28
	s_waitcnt lgkmcnt(4)
	v_mul_f32_e32 v28, v156, v57
	v_fma_f32 v5, v154, v52, -v5
	v_fmac_f32_e32 v28, v157, v51
	v_add_f32_e32 v4, v4, v5
	v_mul_f32_e32 v5, v157, v57
	v_add_f32_e32 v27, v27, v28
	s_waitcnt vmcnt(58)
	v_mul_f32_e32 v28, v158, v59
	v_fma_f32 v5, v156, v51, -v5
	v_fmac_f32_e32 v28, v159, v58
	v_add_f32_e32 v4, v4, v5
	v_mul_f32_e32 v5, v159, v59
	v_add_f32_e32 v27, v27, v28
	s_waitcnt vmcnt(56) lgkmcnt(3)
	v_mul_f32_e32 v28, v160, v61
	v_fma_f32 v5, v158, v58, -v5
	v_fmac_f32_e32 v28, v161, v60
	v_add_f32_e32 v4, v4, v5
	v_mul_f32_e32 v5, v161, v61
	v_add_f32_e32 v27, v27, v28
	s_waitcnt vmcnt(54)
	v_mul_f32_e32 v28, v162, v63
	v_fma_f32 v5, v160, v60, -v5
	v_fmac_f32_e32 v28, v163, v62
	v_add_f32_e32 v4, v4, v5
	v_mul_f32_e32 v5, v163, v63
	v_add_f32_e32 v27, v27, v28
	s_waitcnt vmcnt(52) lgkmcnt(2)
	v_mul_f32_e32 v28, v164, v65
	v_fma_f32 v5, v162, v62, -v5
	v_fmac_f32_e32 v28, v165, v64
	v_add_f32_e32 v4, v4, v5
	v_mul_f32_e32 v5, v165, v65
	v_add_f32_e32 v27, v27, v28
	s_waitcnt vmcnt(50)
	v_mul_f32_e32 v28, v166, v67
	v_fma_f32 v5, v164, v64, -v5
	v_fmac_f32_e32 v28, v167, v66
	v_add_f32_e32 v4, v4, v5
	v_mul_f32_e32 v5, v167, v67
	v_add_f32_e32 v27, v27, v28
	s_waitcnt vmcnt(48) lgkmcnt(1)
	v_mul_f32_e32 v28, v168, v69
	v_fma_f32 v5, v166, v66, -v5
	v_fmac_f32_e32 v28, v169, v68
	v_add_f32_e32 v4, v4, v5
	v_mul_f32_e32 v5, v169, v69
	v_add_f32_e32 v27, v27, v28
	s_waitcnt vmcnt(46)
	v_mul_f32_e32 v28, v170, v71
	v_fma_f32 v5, v168, v68, -v5
	v_fmac_f32_e32 v28, v171, v70
	ds_read_b128 v[176:179], v1 offset:816
	ds_read_b128 v[180:183], v1 offset:832
	v_add_f32_e32 v4, v4, v5
	v_mul_f32_e32 v5, v171, v71
	v_add_f32_e32 v27, v27, v28
	s_waitcnt vmcnt(44) lgkmcnt(2)
	v_mul_f32_e32 v28, v172, v73
	v_fma_f32 v5, v170, v70, -v5
	v_fmac_f32_e32 v28, v173, v72
	v_add_f32_e32 v4, v4, v5
	v_mul_f32_e32 v5, v173, v73
	v_add_f32_e32 v27, v27, v28
	s_waitcnt vmcnt(42)
	v_mul_f32_e32 v28, v174, v216
	v_fma_f32 v5, v172, v72, -v5
	v_fmac_f32_e32 v28, v175, v74
	v_add_f32_e32 v4, v4, v5
	v_mul_f32_e32 v5, v175, v216
	v_add_f32_e32 v27, v27, v28
	s_waitcnt vmcnt(40) lgkmcnt(1)
	v_mul_f32_e32 v28, v176, v218
	v_fma_f32 v5, v174, v74, -v5
	v_fmac_f32_e32 v28, v177, v217
	v_add_f32_e32 v4, v4, v5
	v_mul_f32_e32 v5, v177, v218
	v_add_f32_e32 v27, v27, v28
	s_waitcnt vmcnt(39)
	v_mul_f32_e32 v28, v178, v219
	v_fma_f32 v5, v176, v217, -v5
	s_waitcnt vmcnt(36)
	v_fmac_f32_e32 v28, v179, v222
	ds_read_b128 v[184:187], v1 offset:848
	ds_read_b128 v[188:191], v1 offset:864
	v_add_f32_e32 v4, v4, v5
	v_mul_f32_e32 v5, v179, v219
	v_add_f32_e32 v27, v27, v28
	s_waitcnt lgkmcnt(2)
	v_mul_f32_e32 v28, v180, v221
	v_fma_f32 v5, v178, v222, -v5
	v_fmac_f32_e32 v28, v181, v220
	v_add_f32_e32 v4, v4, v5
	v_mul_f32_e32 v5, v181, v221
	v_add_f32_e32 v27, v27, v28
	s_waitcnt vmcnt(34)
	v_mul_f32_e32 v28, v182, v224
	v_fma_f32 v5, v180, v220, -v5
	v_fmac_f32_e32 v28, v183, v223
	v_add_f32_e32 v4, v4, v5
	v_mul_f32_e32 v5, v183, v224
	v_add_f32_e32 v27, v27, v28
	s_waitcnt vmcnt(32) lgkmcnt(1)
	v_mul_f32_e32 v28, v184, v226
	v_fma_f32 v5, v182, v223, -v5
	v_fmac_f32_e32 v28, v185, v225
	v_add_f32_e32 v4, v4, v5
	v_mul_f32_e32 v5, v185, v226
	v_add_f32_e32 v27, v27, v28
	s_waitcnt vmcnt(31)
	v_mul_f32_e32 v28, v186, v227
	v_fma_f32 v5, v184, v225, -v5
	s_waitcnt vmcnt(28)
	v_fmac_f32_e32 v28, v187, v230
	ds_read_b128 v[192:195], v1 offset:880
	ds_read_b128 v[196:199], v1 offset:896
	v_add_f32_e32 v4, v4, v5
	v_mul_f32_e32 v5, v187, v227
	v_add_f32_e32 v27, v27, v28
	s_waitcnt lgkmcnt(2)
	;; [unrolled: 31-line block ×4, first 2 shown]
	v_mul_f32_e32 v28, v204, v245
	v_fma_f32 v5, v202, v246, -v5
	v_fmac_f32_e32 v28, v205, v244
	v_add_f32_e32 v4, v4, v5
	v_mul_f32_e32 v5, v205, v245
	v_add_f32_e32 v27, v27, v28
	s_waitcnt vmcnt(10)
	v_mul_f32_e32 v28, v206, v248
	v_fma_f32 v5, v204, v244, -v5
	v_fmac_f32_e32 v28, v207, v247
	v_add_f32_e32 v4, v4, v5
	v_mul_f32_e32 v5, v207, v248
	v_add_f32_e32 v27, v27, v28
	s_waitcnt vmcnt(8) lgkmcnt(1)
	v_mul_f32_e32 v28, v208, v250
	v_fma_f32 v5, v206, v247, -v5
	v_fmac_f32_e32 v28, v209, v249
	v_add_f32_e32 v4, v4, v5
	v_mul_f32_e32 v5, v209, v250
	v_add_f32_e32 v27, v27, v28
	s_waitcnt vmcnt(7)
	v_mul_f32_e32 v28, v210, v251
	v_fma_f32 v5, v208, v249, -v5
	s_waitcnt vmcnt(4)
	v_fmac_f32_e32 v28, v211, v254
	v_add_f32_e32 v4, v4, v5
	v_mul_f32_e32 v5, v211, v251
	v_add_f32_e32 v78, v27, v28
	ds_read_b64 v[27:28], v1 offset:976
	v_fma_f32 v5, v210, v254, -v5
	v_add_f32_e32 v4, v4, v5
	s_waitcnt lgkmcnt(1)
	v_mul_f32_e32 v5, v213, v253
	v_mul_f32_e32 v79, v212, v253
	v_fma_f32 v5, v212, v252, -v5
	v_fmac_f32_e32 v79, v213, v252
	v_add_f32_e32 v4, v4, v5
	s_waitcnt vmcnt(3)
	v_mul_f32_e32 v5, v215, v255
	v_add_f32_e32 v78, v78, v79
	v_mul_f32_e32 v79, v214, v255
	s_waitcnt vmcnt(0)
	v_fma_f32 v5, v214, v77, -v5
	v_fmac_f32_e32 v79, v215, v77
	v_add_f32_e32 v4, v4, v5
	s_waitcnt lgkmcnt(0)
	v_mul_f32_e32 v5, v28, v76
	v_add_f32_e32 v78, v78, v79
	v_mul_f32_e32 v79, v27, v76
	v_fma_f32 v5, v27, v75, -v5
	v_fmac_f32_e32 v79, v28, v75
	v_add_f32_e32 v4, v4, v5
	v_add_f32_e32 v78, v78, v79
	v_sub_f32_e32 v2, v2, v4
	v_sub_f32_e32 v3, v3, v78
	buffer_store_dword v2, off, s[0:3], 0 offset:120
	buffer_store_dword v3, off, s[0:3], 0 offset:124
	s_and_saveexec_b64 s[4:5], vcc
	s_cbranch_execz .LBB60_351
; %bb.350:
	buffer_load_dword v2, off, s[0:3], 0 offset:112
	buffer_load_dword v3, off, s[0:3], 0 offset:116
	s_waitcnt vmcnt(0)
	ds_write_b64 v147, v[2:3]
	buffer_store_dword v1, off, s[0:3], 0 offset:112
	buffer_store_dword v1, off, s[0:3], 0 offset:116
.LBB60_351:
	s_or_b64 exec, exec, s[4:5]
	s_waitcnt lgkmcnt(0)
	; wave barrier
	buffer_load_dword v10, off, s[0:3], 0 offset:124
	buffer_load_dword v9, off, s[0:3], 0 offset:132
	;; [unrolled: 1-line block ×33, first 2 shown]
	ds_read2_b64 v[11:14], v1 offset0:77 offset1:78
	ds_read2_b64 v[15:18], v1 offset0:79 offset1:80
	;; [unrolled: 1-line block ×6, first 2 shown]
	buffer_load_dword v49, off, s[0:3], 0 offset:240
	buffer_load_dword v50, off, s[0:3], 0 offset:252
	;; [unrolled: 1-line block ×7, first 2 shown]
	ds_read2_b64 v[160:163], v1 offset0:89 offset1:90
	ds_read2_b64 v[164:167], v1 offset0:91 offset1:92
	buffer_load_dword v56, off, s[0:3], 0 offset:272
	buffer_load_dword v57, off, s[0:3], 0 offset:276
	;; [unrolled: 1-line block ×8, first 2 shown]
	v_cmp_lt_u32_e32 vcc, 13, v0
	s_waitcnt vmcnt(47) lgkmcnt(7)
	v_mul_f32_e32 v64, v11, v10
	s_waitcnt vmcnt(46)
	v_mul_f32_e32 v65, v13, v9
	s_waitcnt vmcnt(45) lgkmcnt(6)
	v_mul_f32_e32 v66, v15, v8
	s_waitcnt vmcnt(44)
	v_mul_f32_e32 v67, v17, v7
	;; [unrolled: 4-line block ×6, first 2 shown]
	s_waitcnt vmcnt(35)
	v_fmac_f32_e32 v66, v16, v30
	s_waitcnt vmcnt(34)
	v_fmac_f32_e32 v65, v14, v31
	;; [unrolled: 2-line block ×3, first 2 shown]
	v_add_f32_e32 v64, 0, v64
	v_add_f32_e32 v64, v64, v65
	;; [unrolled: 1-line block ×3, first 2 shown]
	s_waitcnt vmcnt(29)
	v_fmac_f32_e32 v67, v18, v36
	v_fmac_f32_e32 v68, v20, v35
	v_add_f32_e32 v64, v64, v67
	v_fmac_f32_e32 v69, v22, v34
	v_add_f32_e32 v64, v64, v68
	;; [unrolled: 2-line block ×3, first 2 shown]
	s_waitcnt vmcnt(25)
	v_fmac_f32_e32 v71, v151, v40
	v_add_f32_e32 v64, v64, v70
	v_fmac_f32_e32 v72, v153, v39
	v_add_f32_e32 v64, v64, v71
	;; [unrolled: 2-line block ×4, first 2 shown]
	s_waitcnt vmcnt(21)
	v_fmac_f32_e32 v75, v159, v44
	v_add_f32_e32 v64, v64, v74
	s_waitcnt vmcnt(20) lgkmcnt(1)
	v_mul_f32_e32 v65, v160, v45
	v_add_f32_e32 v64, v64, v75
	v_fmac_f32_e32 v65, v161, v43
	v_add_f32_e32 v64, v64, v65
	buffer_load_dword v65, off, s[0:3], 0 offset:304
	buffer_load_dword v66, off, s[0:3], 0 offset:308
	buffer_load_dword v68, off, s[0:3], 0 offset:312
	buffer_load_dword v69, off, s[0:3], 0 offset:316
	buffer_load_dword v70, off, s[0:3], 0 offset:324
	buffer_load_dword v71, off, s[0:3], 0 offset:328
	buffer_load_dword v72, off, s[0:3], 0 offset:332
	buffer_load_dword v73, off, s[0:3], 0 offset:320
	s_waitcnt vmcnt(27)
	v_mul_f32_e32 v67, v162, v46
	v_fmac_f32_e32 v67, v163, v42
	v_add_f32_e32 v64, v64, v67
	s_waitcnt vmcnt(26) lgkmcnt(0)
	v_mul_f32_e32 v67, v164, v47
	v_fmac_f32_e32 v67, v165, v41
	v_add_f32_e32 v64, v64, v67
	buffer_load_dword v67, off, s[0:3], 0 offset:336
	buffer_load_dword v74, off, s[0:3], 0 offset:340
	ds_read2_b64 v[168:171], v1 offset0:93 offset1:94
	buffer_load_dword v76, off, s[0:3], 0 offset:344
	buffer_load_dword v77, off, s[0:3], 0 offset:348
	;; [unrolled: 1-line block ×6, first 2 shown]
	ds_read2_b64 v[172:175], v1 offset0:95 offset1:96
	buffer_load_dword v229, off, s[0:3], 0 offset:368
	buffer_load_dword v230, off, s[0:3], 0 offset:372
	s_waitcnt vmcnt(35)
	v_mul_f32_e32 v75, v166, v48
	s_waitcnt vmcnt(32)
	v_fmac_f32_e32 v75, v167, v49
	v_add_f32_e32 v64, v64, v75
	s_waitcnt vmcnt(31) lgkmcnt(1)
	v_mul_f32_e32 v75, v168, v50
	s_waitcnt vmcnt(26)
	v_fmac_f32_e32 v75, v169, v55
	v_add_f32_e32 v64, v64, v75
	buffer_load_dword v75, off, s[0:3], 0 offset:376
	buffer_load_dword v231, off, s[0:3], 0 offset:380
	;; [unrolled: 1-line block ×14, first 2 shown]
	v_mul_f32_e32 v176, v170, v52
	v_fmac_f32_e32 v176, v171, v51
	v_add_f32_e32 v64, v64, v176
	s_waitcnt lgkmcnt(0)
	v_mul_f32_e32 v176, v172, v54
	v_fmac_f32_e32 v176, v173, v53
	v_add_f32_e32 v64, v64, v176
	ds_read2_b64 v[176:179], v1 offset0:97 offset1:98
	buffer_load_dword v244, off, s[0:3], 0 offset:432
	buffer_load_dword v245, off, s[0:3], 0 offset:436
	s_waitcnt vmcnt(40)
	v_mul_f32_e32 v180, v174, v57
	v_fmac_f32_e32 v180, v175, v56
	v_add_f32_e32 v64, v64, v180
	ds_read2_b64 v[180:183], v1 offset0:99 offset1:100
	buffer_load_dword v246, off, s[0:3], 0 offset:440
	buffer_load_dword v247, off, s[0:3], 0 offset:444
	;; [unrolled: 1-line block ×6, first 2 shown]
	v_mul_f32_e32 v10, v12, v10
	v_fma_f32 v10, v11, v32, -v10
	v_mul_f32_e32 v9, v14, v9
	v_add_f32_e32 v10, 0, v10
	v_fma_f32 v9, v13, v31, -v9
	v_mul_f32_e32 v8, v16, v8
	buffer_load_dword v252, off, s[0:3], 0 offset:464
	buffer_load_dword v253, off, s[0:3], 0 offset:468
	;; [unrolled: 1-line block ×6, first 2 shown]
	v_add_f32_e32 v9, v10, v9
	v_fma_f32 v8, v15, v30, -v8
	v_mul_f32_e32 v7, v18, v7
	v_add_f32_e32 v8, v9, v8
	v_fma_f32 v7, v17, v36, -v7
	v_mul_f32_e32 v6, v20, v6
	;; [unrolled: 3-line block ×4, first 2 shown]
	v_add_f32_e32 v5, v6, v5
	v_fma_f32 v4, v148, v33, -v4
	v_add_f32_e32 v4, v5, v4
	v_mul_f32_e32 v5, v151, v23
	v_fma_f32 v5, v150, v40, -v5
	v_add_f32_e32 v4, v4, v5
	v_mul_f32_e32 v5, v153, v24
	;; [unrolled: 3-line block ×5, first 2 shown]
	v_fma_f32 v5, v158, v44, -v5
	s_waitcnt vmcnt(50) lgkmcnt(1)
	v_mul_f32_e32 v184, v176, v59
	v_add_f32_e32 v4, v4, v5
	v_mul_f32_e32 v5, v161, v45
	v_fmac_f32_e32 v184, v177, v58
	v_fma_f32 v5, v160, v43, -v5
	v_add_f32_e32 v64, v64, v184
	s_waitcnt vmcnt(48)
	v_mul_f32_e32 v184, v178, v61
	v_add_f32_e32 v4, v4, v5
	v_mul_f32_e32 v5, v163, v46
	v_fmac_f32_e32 v184, v179, v60
	v_fma_f32 v5, v162, v42, -v5
	v_add_f32_e32 v64, v64, v184
	s_waitcnt vmcnt(46) lgkmcnt(0)
	v_mul_f32_e32 v184, v180, v63
	v_add_f32_e32 v4, v4, v5
	v_mul_f32_e32 v5, v165, v47
	v_fmac_f32_e32 v184, v181, v62
	v_fma_f32 v5, v164, v41, -v5
	v_add_f32_e32 v64, v64, v184
	ds_read2_b64 v[184:187], v1 offset0:101 offset1:102
	v_add_f32_e32 v4, v4, v5
	v_mul_f32_e32 v5, v167, v48
	v_fma_f32 v5, v166, v49, -v5
	s_waitcnt vmcnt(44)
	v_mul_f32_e32 v188, v182, v66
	v_add_f32_e32 v4, v4, v5
	v_mul_f32_e32 v5, v169, v50
	v_fmac_f32_e32 v188, v183, v65
	v_fma_f32 v5, v168, v55, -v5
	v_add_f32_e32 v64, v64, v188
	ds_read2_b64 v[188:191], v1 offset0:103 offset1:104
	v_add_f32_e32 v4, v4, v5
	v_mul_f32_e32 v5, v171, v52
	s_waitcnt vmcnt(42) lgkmcnt(1)
	v_mul_f32_e32 v192, v184, v69
	v_fma_f32 v5, v170, v51, -v5
	v_fmac_f32_e32 v192, v185, v68
	v_add_f32_e32 v4, v4, v5
	v_mul_f32_e32 v5, v173, v54
	v_add_f32_e32 v64, v64, v192
	s_waitcnt vmcnt(41)
	v_mul_f32_e32 v192, v186, v70
	v_fma_f32 v5, v172, v53, -v5
	s_waitcnt vmcnt(38)
	v_fmac_f32_e32 v192, v187, v73
	v_add_f32_e32 v4, v4, v5
	v_mul_f32_e32 v5, v175, v57
	v_add_f32_e32 v64, v64, v192
	s_waitcnt lgkmcnt(0)
	v_mul_f32_e32 v192, v188, v72
	v_fma_f32 v5, v174, v56, -v5
	v_fmac_f32_e32 v192, v189, v71
	v_add_f32_e32 v4, v4, v5
	v_mul_f32_e32 v5, v177, v59
	v_add_f32_e32 v64, v64, v192
	ds_read2_b64 v[192:195], v1 offset0:105 offset1:106
	v_fma_f32 v5, v176, v58, -v5
	v_add_f32_e32 v4, v4, v5
	v_mul_f32_e32 v5, v179, v61
	s_waitcnt vmcnt(36)
	v_mul_f32_e32 v196, v190, v74
	v_fma_f32 v5, v178, v60, -v5
	v_fmac_f32_e32 v196, v191, v67
	v_add_f32_e32 v4, v4, v5
	v_mul_f32_e32 v5, v181, v63
	v_add_f32_e32 v64, v64, v196
	ds_read2_b64 v[196:199], v1 offset0:107 offset1:108
	v_fma_f32 v5, v180, v62, -v5
	s_waitcnt vmcnt(34) lgkmcnt(1)
	v_mul_f32_e32 v200, v192, v77
	v_add_f32_e32 v4, v4, v5
	v_mul_f32_e32 v5, v183, v66
	v_fmac_f32_e32 v200, v193, v76
	v_fma_f32 v5, v182, v65, -v5
	v_add_f32_e32 v64, v64, v200
	s_waitcnt vmcnt(33)
	v_mul_f32_e32 v200, v194, v78
	v_add_f32_e32 v4, v4, v5
	v_mul_f32_e32 v5, v185, v69
	s_waitcnt vmcnt(30)
	v_fmac_f32_e32 v200, v195, v228
	v_fma_f32 v5, v184, v68, -v5
	v_add_f32_e32 v64, v64, v200
	s_waitcnt lgkmcnt(0)
	v_mul_f32_e32 v200, v196, v80
	v_add_f32_e32 v4, v4, v5
	v_mul_f32_e32 v5, v187, v70
	v_fmac_f32_e32 v200, v197, v79
	v_fma_f32 v5, v186, v73, -v5
	v_add_f32_e32 v64, v64, v200
	ds_read2_b64 v[200:203], v1 offset0:109 offset1:110
	v_add_f32_e32 v4, v4, v5
	v_mul_f32_e32 v5, v189, v72
	v_fma_f32 v5, v188, v71, -v5
	s_waitcnt vmcnt(28)
	v_mul_f32_e32 v204, v198, v230
	v_add_f32_e32 v4, v4, v5
	v_mul_f32_e32 v5, v191, v74
	v_fmac_f32_e32 v204, v199, v229
	v_fma_f32 v5, v190, v67, -v5
	v_add_f32_e32 v64, v64, v204
	ds_read2_b64 v[204:207], v1 offset0:111 offset1:112
	v_add_f32_e32 v4, v4, v5
	v_mul_f32_e32 v5, v193, v77
	s_waitcnt vmcnt(26) lgkmcnt(1)
	v_mul_f32_e32 v208, v200, v231
	v_fma_f32 v5, v192, v76, -v5
	v_fmac_f32_e32 v208, v201, v75
	v_add_f32_e32 v4, v4, v5
	v_mul_f32_e32 v5, v195, v78
	v_add_f32_e32 v64, v64, v208
	s_waitcnt vmcnt(25)
	v_mul_f32_e32 v208, v202, v232
	v_fma_f32 v5, v194, v228, -v5
	s_waitcnt vmcnt(22)
	v_fmac_f32_e32 v208, v203, v235
	v_add_f32_e32 v4, v4, v5
	v_mul_f32_e32 v5, v197, v80
	v_add_f32_e32 v64, v64, v208
	s_waitcnt lgkmcnt(0)
	v_mul_f32_e32 v208, v204, v234
	v_fma_f32 v5, v196, v79, -v5
	v_fmac_f32_e32 v208, v205, v233
	v_add_f32_e32 v4, v4, v5
	v_mul_f32_e32 v5, v199, v230
	v_add_f32_e32 v64, v64, v208
	ds_read2_b64 v[208:211], v1 offset0:113 offset1:114
	v_fma_f32 v5, v198, v229, -v5
	v_add_f32_e32 v4, v4, v5
	v_mul_f32_e32 v5, v201, v231
	s_waitcnt vmcnt(20)
	v_mul_f32_e32 v212, v206, v237
	v_fma_f32 v5, v200, v75, -v5
	v_fmac_f32_e32 v212, v207, v236
	v_add_f32_e32 v4, v4, v5
	v_mul_f32_e32 v5, v203, v232
	v_add_f32_e32 v64, v64, v212
	ds_read2_b64 v[212:215], v1 offset0:115 offset1:116
	v_fma_f32 v5, v202, v235, -v5
	s_waitcnt vmcnt(18) lgkmcnt(1)
	v_mul_f32_e32 v216, v208, v239
	v_add_f32_e32 v4, v4, v5
	v_mul_f32_e32 v5, v205, v234
	v_fmac_f32_e32 v216, v209, v238
	v_fma_f32 v5, v204, v233, -v5
	v_add_f32_e32 v64, v64, v216
	s_waitcnt vmcnt(17)
	v_mul_f32_e32 v216, v210, v240
	v_add_f32_e32 v4, v4, v5
	v_mul_f32_e32 v5, v207, v237
	s_waitcnt vmcnt(14)
	v_fmac_f32_e32 v216, v211, v243
	v_fma_f32 v5, v206, v236, -v5
	v_add_f32_e32 v64, v64, v216
	s_waitcnt lgkmcnt(0)
	v_mul_f32_e32 v216, v212, v242
	v_add_f32_e32 v4, v4, v5
	v_mul_f32_e32 v5, v209, v239
	v_fmac_f32_e32 v216, v213, v241
	v_fma_f32 v5, v208, v238, -v5
	v_add_f32_e32 v64, v64, v216
	ds_read2_b64 v[216:219], v1 offset0:117 offset1:118
	v_add_f32_e32 v4, v4, v5
	v_mul_f32_e32 v5, v211, v240
	v_fma_f32 v5, v210, v243, -v5
	v_add_f32_e32 v4, v4, v5
	v_mul_f32_e32 v5, v213, v242
	s_waitcnt vmcnt(12)
	v_mul_f32_e32 v220, v214, v245
	v_fma_f32 v5, v212, v241, -v5
	v_fmac_f32_e32 v220, v215, v244
	v_add_f32_e32 v4, v4, v5
	v_mul_f32_e32 v5, v215, v245
	v_add_f32_e32 v64, v64, v220
	ds_read2_b64 v[220:223], v1 offset0:119 offset1:120
	s_waitcnt vmcnt(10) lgkmcnt(1)
	v_mul_f32_e32 v224, v216, v247
	v_fma_f32 v5, v214, v244, -v5
	v_fmac_f32_e32 v224, v217, v246
	v_add_f32_e32 v4, v4, v5
	v_mul_f32_e32 v5, v217, v247
	v_add_f32_e32 v64, v64, v224
	s_waitcnt vmcnt(9)
	v_mul_f32_e32 v224, v218, v248
	v_fma_f32 v5, v216, v246, -v5
	s_waitcnt vmcnt(6)
	v_fmac_f32_e32 v224, v219, v251
	v_add_f32_e32 v4, v4, v5
	v_mul_f32_e32 v5, v219, v248
	v_add_f32_e32 v64, v64, v224
	ds_read2_b64 v[224:227], v1 offset0:121 offset1:122
	v_fma_f32 v5, v218, v251, -v5
	v_add_f32_e32 v4, v4, v5
	s_waitcnt lgkmcnt(1)
	v_mul_f32_e32 v5, v221, v250
	v_mul_f32_e32 v83, v220, v250
	v_fma_f32 v5, v220, v249, -v5
	v_fmac_f32_e32 v83, v221, v249
	v_add_f32_e32 v4, v4, v5
	s_waitcnt vmcnt(4)
	v_mul_f32_e32 v5, v223, v253
	v_add_f32_e32 v1, v64, v83
	v_mul_f32_e32 v64, v222, v253
	v_fma_f32 v5, v222, v252, -v5
	v_fmac_f32_e32 v64, v223, v252
	v_add_f32_e32 v4, v4, v5
	s_waitcnt vmcnt(3) lgkmcnt(0)
	v_mul_f32_e32 v5, v225, v254
	v_add_f32_e32 v1, v1, v64
	v_mul_f32_e32 v64, v224, v254
	s_waitcnt vmcnt(0)
	v_fma_f32 v5, v224, v82, -v5
	v_fmac_f32_e32 v64, v225, v82
	v_add_f32_e32 v4, v4, v5
	v_mul_f32_e32 v5, v227, v81
	v_add_f32_e32 v1, v1, v64
	v_mul_f32_e32 v64, v226, v81
	v_fma_f32 v5, v226, v255, -v5
	v_fmac_f32_e32 v64, v227, v255
	v_add_f32_e32 v4, v4, v5
	v_add_f32_e32 v1, v1, v64
	v_sub_f32_e32 v2, v2, v4
	v_sub_f32_e32 v1, v3, v1
	buffer_store_dword v2, off, s[0:3], 0 offset:112
	buffer_store_dword v1, off, s[0:3], 0 offset:116
	s_and_saveexec_b64 s[4:5], vcc
	s_cbranch_execz .LBB60_353
; %bb.352:
	buffer_load_dword v1, off, s[0:3], 0 offset:104
	buffer_load_dword v2, off, s[0:3], 0 offset:108
	v_mov_b32_e32 v3, 0
	buffer_store_dword v3, off, s[0:3], 0 offset:104
	buffer_store_dword v3, off, s[0:3], 0 offset:108
	s_waitcnt vmcnt(2)
	ds_write_b64 v147, v[1:2]
.LBB60_353:
	s_or_b64 exec, exec, s[4:5]
	s_waitcnt lgkmcnt(0)
	; wave barrier
	buffer_load_dword v8, off, s[0:3], 0 offset:116
	buffer_load_dword v7, off, s[0:3], 0 offset:124
	;; [unrolled: 1-line block ×40, first 2 shown]
	v_mov_b32_e32 v1, 0
	buffer_load_dword v58, off, s[0:3], 0 offset:264
	buffer_load_dword v59, off, s[0:3], 0 offset:268
	;; [unrolled: 1-line block ×8, first 2 shown]
	ds_read_b128 v[11:14], v1 offset:608
	ds_read_b128 v[15:18], v1 offset:624
	;; [unrolled: 1-line block ×8, first 2 shown]
	v_cmp_lt_u32_e32 vcc, 12, v0
	s_waitcnt vmcnt(47) lgkmcnt(7)
	v_mul_f32_e32 v23, v11, v8
	s_waitcnt vmcnt(46)
	v_mul_f32_e32 v24, v13, v7
	s_waitcnt vmcnt(45) lgkmcnt(6)
	v_mul_f32_e32 v66, v15, v6
	s_waitcnt vmcnt(44)
	v_mul_f32_e32 v67, v17, v5
	s_waitcnt vmcnt(43) lgkmcnt(5)
	v_mul_f32_e32 v68, v19, v4
	s_waitcnt vmcnt(42)
	v_mul_f32_e32 v69, v21, v3
	s_waitcnt vmcnt(41) lgkmcnt(4)
	v_mul_f32_e32 v70, v148, v2
	s_waitcnt vmcnt(40)
	v_mul_f32_e32 v71, v150, v27
	s_waitcnt vmcnt(39) lgkmcnt(3)
	v_mul_f32_e32 v72, v152, v28
	s_waitcnt vmcnt(38)
	v_mul_f32_e32 v73, v154, v29
	s_waitcnt vmcnt(37) lgkmcnt(2)
	v_mul_f32_e32 v74, v156, v30
	s_waitcnt vmcnt(36)
	v_mul_f32_e32 v75, v158, v31
	s_waitcnt vmcnt(35)
	v_fmac_f32_e32 v66, v16, v32
	s_waitcnt vmcnt(34)
	v_fmac_f32_e32 v24, v14, v33
	;; [unrolled: 2-line block ×3, first 2 shown]
	v_add_f32_e32 v23, 0, v23
	v_add_f32_e32 v23, v23, v24
	;; [unrolled: 1-line block ×3, first 2 shown]
	s_waitcnt vmcnt(29)
	v_fmac_f32_e32 v67, v18, v38
	v_fmac_f32_e32 v68, v20, v37
	v_add_f32_e32 v23, v23, v67
	v_fmac_f32_e32 v69, v22, v36
	v_add_f32_e32 v23, v23, v68
	buffer_load_dword v66, off, s[0:3], 0 offset:296
	buffer_load_dword v67, off, s[0:3], 0 offset:300
	v_fmac_f32_e32 v70, v149, v35
	v_add_f32_e32 v23, v23, v69
	s_waitcnt vmcnt(27)
	v_fmac_f32_e32 v71, v151, v42
	v_add_f32_e32 v23, v23, v70
	v_fmac_f32_e32 v72, v153, v41
	v_add_f32_e32 v23, v23, v71
	;; [unrolled: 2-line block ×3, first 2 shown]
	v_add_f32_e32 v23, v23, v73
	buffer_load_dword v68, off, s[0:3], 0 offset:304
	buffer_load_dword v69, off, s[0:3], 0 offset:308
	;; [unrolled: 1-line block ×6, first 2 shown]
	v_fmac_f32_e32 v74, v157, v39
	s_waitcnt vmcnt(29)
	v_fmac_f32_e32 v75, v159, v46
	v_add_f32_e32 v23, v23, v74
	v_add_f32_e32 v23, v23, v75
	buffer_load_dword v74, off, s[0:3], 0 offset:328
	buffer_load_dword v75, off, s[0:3], 0 offset:332
	ds_read_b128 v[168:171], v1 offset:736
	buffer_load_dword v76, off, s[0:3], 0 offset:336
	buffer_load_dword v77, off, s[0:3], 0 offset:340
	;; [unrolled: 1-line block ×6, first 2 shown]
	ds_read_b128 v[172:175], v1 offset:752
	buffer_load_dword v82, off, s[0:3], 0 offset:360
	buffer_load_dword v83, off, s[0:3], 0 offset:364
	;; [unrolled: 1-line block ×10, first 2 shown]
	ds_read_b128 v[176:179], v1 offset:768
	buffer_load_dword v235, off, s[0:3], 0 offset:400
	buffer_load_dword v236, off, s[0:3], 0 offset:404
	buffer_load_dword v237, off, s[0:3], 0 offset:412
	buffer_load_dword v238, off, s[0:3], 0 offset:416
	buffer_load_dword v239, off, s[0:3], 0 offset:420
	buffer_load_dword v240, off, s[0:3], 0 offset:408
	ds_read_b128 v[180:183], v1 offset:784
	buffer_load_dword v241, off, s[0:3], 0 offset:424
	buffer_load_dword v242, off, s[0:3], 0 offset:428
	;; [unrolled: 1-line block ×10, first 2 shown]
	v_mul_f32_e32 v8, v12, v8
	v_fma_f32 v8, v11, v34, -v8
	v_mul_f32_e32 v7, v14, v7
	v_add_f32_e32 v8, 0, v8
	v_fma_f32 v7, v13, v33, -v7
	v_mul_f32_e32 v6, v16, v6
	v_add_f32_e32 v7, v8, v7
	;; [unrolled: 3-line block ×3, first 2 shown]
	v_fma_f32 v5, v17, v38, -v5
	v_mul_f32_e32 v4, v20, v4
	buffer_load_dword v251, off, s[0:3], 0 offset:464
	buffer_load_dword v252, off, s[0:3], 0 offset:468
	;; [unrolled: 1-line block ×6, first 2 shown]
	v_add_f32_e32 v5, v6, v5
	v_fma_f32 v4, v19, v37, -v4
	v_mul_f32_e32 v3, v22, v3
	v_add_f32_e32 v4, v5, v4
	v_fma_f32 v3, v21, v36, -v3
	v_mul_f32_e32 v2, v149, v2
	v_add_f32_e32 v3, v4, v3
	v_fma_f32 v2, v148, v35, -v2
	v_add_f32_e32 v2, v3, v2
	v_mul_f32_e32 v3, v151, v27
	v_fma_f32 v3, v150, v42, -v3
	v_add_f32_e32 v2, v2, v3
	v_mul_f32_e32 v3, v153, v28
	;; [unrolled: 3-line block ×5, first 2 shown]
	s_waitcnt vmcnt(62) lgkmcnt(5)
	v_mul_f32_e32 v24, v160, v47
	v_fma_f32 v3, v158, v46, -v3
	v_fmac_f32_e32 v24, v161, v45
	v_add_f32_e32 v2, v2, v3
	v_mul_f32_e32 v3, v161, v47
	v_add_f32_e32 v23, v23, v24
	v_mul_f32_e32 v24, v162, v48
	v_fma_f32 v3, v160, v45, -v3
	v_fmac_f32_e32 v24, v163, v44
	v_add_f32_e32 v2, v2, v3
	v_mul_f32_e32 v3, v163, v48
	v_add_f32_e32 v23, v23, v24
	s_waitcnt lgkmcnt(4)
	v_mul_f32_e32 v24, v164, v49
	v_fma_f32 v3, v162, v44, -v3
	v_fmac_f32_e32 v24, v165, v43
	v_add_f32_e32 v2, v2, v3
	v_mul_f32_e32 v3, v165, v49
	v_add_f32_e32 v23, v23, v24
	v_mul_f32_e32 v24, v166, v50
	v_fma_f32 v3, v164, v43, -v3
	s_waitcnt vmcnt(58)
	v_fmac_f32_e32 v24, v167, v57
	v_add_f32_e32 v2, v2, v3
	v_mul_f32_e32 v3, v167, v50
	v_add_f32_e32 v23, v23, v24
	s_waitcnt lgkmcnt(3)
	v_mul_f32_e32 v24, v168, v52
	v_fma_f32 v3, v166, v57, -v3
	v_fmac_f32_e32 v24, v169, v51
	v_add_f32_e32 v2, v2, v3
	v_mul_f32_e32 v3, v169, v52
	v_add_f32_e32 v23, v23, v24
	v_mul_f32_e32 v24, v170, v54
	v_fma_f32 v3, v168, v51, -v3
	v_fmac_f32_e32 v24, v171, v53
	v_add_f32_e32 v2, v2, v3
	v_mul_f32_e32 v3, v171, v54
	v_add_f32_e32 v23, v23, v24
	s_waitcnt lgkmcnt(2)
	v_mul_f32_e32 v24, v172, v56
	v_fma_f32 v3, v170, v53, -v3
	v_fmac_f32_e32 v24, v173, v55
	v_add_f32_e32 v2, v2, v3
	v_mul_f32_e32 v3, v173, v56
	v_add_f32_e32 v23, v23, v24
	s_waitcnt vmcnt(54)
	v_mul_f32_e32 v24, v174, v59
	v_fma_f32 v3, v172, v55, -v3
	v_fmac_f32_e32 v24, v175, v58
	v_add_f32_e32 v2, v2, v3
	v_mul_f32_e32 v3, v175, v59
	v_add_f32_e32 v23, v23, v24
	s_waitcnt vmcnt(52) lgkmcnt(1)
	v_mul_f32_e32 v24, v176, v61
	v_fma_f32 v3, v174, v58, -v3
	v_fmac_f32_e32 v24, v177, v60
	v_add_f32_e32 v2, v2, v3
	v_mul_f32_e32 v3, v177, v61
	v_add_f32_e32 v23, v23, v24
	s_waitcnt vmcnt(50)
	v_mul_f32_e32 v24, v178, v63
	v_fma_f32 v3, v176, v60, -v3
	v_fmac_f32_e32 v24, v179, v62
	ds_read_b128 v[184:187], v1 offset:800
	ds_read_b128 v[188:191], v1 offset:816
	v_add_f32_e32 v2, v2, v3
	v_mul_f32_e32 v3, v179, v63
	v_add_f32_e32 v23, v23, v24
	s_waitcnt vmcnt(48) lgkmcnt(2)
	v_mul_f32_e32 v24, v180, v65
	v_fma_f32 v3, v178, v62, -v3
	v_fmac_f32_e32 v24, v181, v64
	v_add_f32_e32 v2, v2, v3
	v_mul_f32_e32 v3, v181, v65
	v_add_f32_e32 v23, v23, v24
	s_waitcnt vmcnt(46)
	v_mul_f32_e32 v24, v182, v67
	v_fma_f32 v3, v180, v64, -v3
	v_fmac_f32_e32 v24, v183, v66
	v_add_f32_e32 v2, v2, v3
	v_mul_f32_e32 v3, v183, v67
	v_add_f32_e32 v23, v23, v24
	s_waitcnt vmcnt(44) lgkmcnt(1)
	v_mul_f32_e32 v24, v184, v69
	v_fma_f32 v3, v182, v66, -v3
	v_fmac_f32_e32 v24, v185, v68
	v_add_f32_e32 v2, v2, v3
	v_mul_f32_e32 v3, v185, v69
	v_add_f32_e32 v23, v23, v24
	s_waitcnt vmcnt(43)
	v_mul_f32_e32 v24, v186, v70
	v_fma_f32 v3, v184, v68, -v3
	s_waitcnt vmcnt(40)
	v_fmac_f32_e32 v24, v187, v73
	ds_read_b128 v[192:195], v1 offset:832
	ds_read_b128 v[196:199], v1 offset:848
	v_add_f32_e32 v2, v2, v3
	v_mul_f32_e32 v3, v187, v70
	v_add_f32_e32 v23, v23, v24
	s_waitcnt lgkmcnt(2)
	v_mul_f32_e32 v24, v188, v72
	v_fma_f32 v3, v186, v73, -v3
	v_fmac_f32_e32 v24, v189, v71
	v_add_f32_e32 v2, v2, v3
	v_mul_f32_e32 v3, v189, v72
	v_add_f32_e32 v23, v23, v24
	s_waitcnt vmcnt(38)
	v_mul_f32_e32 v24, v190, v75
	v_fma_f32 v3, v188, v71, -v3
	v_fmac_f32_e32 v24, v191, v74
	v_add_f32_e32 v2, v2, v3
	v_mul_f32_e32 v3, v191, v75
	v_add_f32_e32 v23, v23, v24
	s_waitcnt vmcnt(36) lgkmcnt(1)
	v_mul_f32_e32 v24, v192, v77
	v_fma_f32 v3, v190, v74, -v3
	v_fmac_f32_e32 v24, v193, v76
	v_add_f32_e32 v2, v2, v3
	v_mul_f32_e32 v3, v193, v77
	v_add_f32_e32 v23, v23, v24
	s_waitcnt vmcnt(35)
	v_mul_f32_e32 v24, v194, v78
	v_fma_f32 v3, v192, v76, -v3
	s_waitcnt vmcnt(32)
	v_fmac_f32_e32 v24, v195, v81
	ds_read_b128 v[200:203], v1 offset:864
	ds_read_b128 v[204:207], v1 offset:880
	v_add_f32_e32 v2, v2, v3
	v_mul_f32_e32 v3, v195, v78
	v_add_f32_e32 v23, v23, v24
	s_waitcnt lgkmcnt(2)
	;; [unrolled: 31-line block ×4, first 2 shown]
	v_mul_f32_e32 v24, v212, v239
	v_fma_f32 v3, v210, v240, -v3
	v_fmac_f32_e32 v24, v213, v238
	v_add_f32_e32 v2, v2, v3
	v_mul_f32_e32 v3, v213, v239
	v_add_f32_e32 v23, v23, v24
	s_waitcnt vmcnt(14)
	v_mul_f32_e32 v24, v214, v242
	v_fma_f32 v3, v212, v238, -v3
	v_fmac_f32_e32 v24, v215, v241
	v_add_f32_e32 v2, v2, v3
	v_mul_f32_e32 v3, v215, v242
	v_add_f32_e32 v23, v23, v24
	s_waitcnt vmcnt(12) lgkmcnt(1)
	v_mul_f32_e32 v24, v216, v244
	v_fma_f32 v3, v214, v241, -v3
	v_fmac_f32_e32 v24, v217, v243
	v_add_f32_e32 v2, v2, v3
	v_mul_f32_e32 v3, v217, v244
	v_add_f32_e32 v23, v23, v24
	s_waitcnt vmcnt(11)
	v_mul_f32_e32 v24, v218, v245
	v_fma_f32 v3, v216, v243, -v3
	s_waitcnt vmcnt(8)
	v_fmac_f32_e32 v24, v219, v248
	v_add_f32_e32 v2, v2, v3
	v_mul_f32_e32 v3, v219, v245
	v_add_f32_e32 v23, v23, v24
	s_waitcnt lgkmcnt(0)
	v_mul_f32_e32 v24, v220, v247
	ds_read_b128 v[224:227], v1 offset:960
	v_fma_f32 v3, v218, v248, -v3
	v_fmac_f32_e32 v24, v221, v246
	v_add_f32_e32 v2, v2, v3
	v_mul_f32_e32 v3, v221, v247
	v_add_f32_e32 v23, v23, v24
	s_waitcnt vmcnt(6)
	v_mul_f32_e32 v24, v222, v250
	v_fma_f32 v3, v220, v246, -v3
	v_fmac_f32_e32 v24, v223, v249
	v_add_f32_e32 v2, v2, v3
	v_mul_f32_e32 v3, v223, v250
	v_add_f32_e32 v86, v23, v24
	ds_read_b64 v[23:24], v1 offset:976
	v_fma_f32 v3, v222, v249, -v3
	v_add_f32_e32 v2, v2, v3
	s_waitcnt vmcnt(4) lgkmcnt(1)
	v_mul_f32_e32 v3, v225, v252
	v_mul_f32_e32 v87, v224, v252
	v_fma_f32 v3, v224, v251, -v3
	v_fmac_f32_e32 v87, v225, v251
	v_add_f32_e32 v2, v2, v3
	s_waitcnt vmcnt(3)
	v_mul_f32_e32 v3, v227, v253
	v_add_f32_e32 v86, v86, v87
	v_mul_f32_e32 v87, v226, v253
	s_waitcnt vmcnt(0)
	v_fma_f32 v3, v226, v85, -v3
	v_fmac_f32_e32 v87, v227, v85
	v_add_f32_e32 v2, v2, v3
	s_waitcnt lgkmcnt(0)
	v_mul_f32_e32 v3, v24, v255
	v_add_f32_e32 v86, v86, v87
	v_mul_f32_e32 v87, v23, v255
	v_fma_f32 v3, v23, v254, -v3
	v_fmac_f32_e32 v87, v24, v254
	v_add_f32_e32 v2, v2, v3
	v_add_f32_e32 v86, v86, v87
	v_sub_f32_e32 v2, v9, v2
	v_sub_f32_e32 v3, v10, v86
	buffer_store_dword v2, off, s[0:3], 0 offset:104
	buffer_store_dword v3, off, s[0:3], 0 offset:108
	s_and_saveexec_b64 s[4:5], vcc
	s_cbranch_execz .LBB60_355
; %bb.354:
	buffer_load_dword v2, off, s[0:3], 0 offset:96
	buffer_load_dword v3, off, s[0:3], 0 offset:100
	s_waitcnt vmcnt(0)
	ds_write_b64 v147, v[2:3]
	buffer_store_dword v1, off, s[0:3], 0 offset:96
	buffer_store_dword v1, off, s[0:3], 0 offset:100
.LBB60_355:
	s_or_b64 exec, exec, s[4:5]
	s_waitcnt lgkmcnt(0)
	; wave barrier
	buffer_load_dword v8, off, s[0:3], 0 offset:108
	buffer_load_dword v7, off, s[0:3], 0 offset:116
	;; [unrolled: 1-line block ×40, first 2 shown]
	ds_read2_b64 v[162:165], v1 offset0:75 offset1:76
	ds_read2_b64 v[166:169], v1 offset0:77 offset1:78
	;; [unrolled: 1-line block ×7, first 2 shown]
	buffer_load_dword v34, off, s[0:3], 0 offset:256
	buffer_load_dword v35, off, s[0:3], 0 offset:260
	;; [unrolled: 1-line block ×8, first 2 shown]
	v_cmp_lt_u32_e32 vcc, 11, v0
	s_waitcnt vmcnt(47) lgkmcnt(6)
	v_mul_f32_e32 v27, v162, v8
	s_waitcnt vmcnt(46)
	v_mul_f32_e32 v28, v164, v7
	s_waitcnt vmcnt(45) lgkmcnt(5)
	v_mul_f32_e32 v29, v166, v6
	s_waitcnt vmcnt(44)
	v_mul_f32_e32 v30, v168, v5
	;; [unrolled: 4-line block ×6, first 2 shown]
	s_waitcnt vmcnt(35)
	v_fmac_f32_e32 v29, v167, v21
	s_waitcnt vmcnt(34)
	v_fmac_f32_e32 v28, v165, v24
	;; [unrolled: 2-line block ×3, first 2 shown]
	v_add_f32_e32 v27, 0, v27
	v_add_f32_e32 v27, v27, v28
	v_add_f32_e32 v27, v27, v29
	s_waitcnt vmcnt(29)
	v_fmac_f32_e32 v30, v169, v149
	v_fmac_f32_e32 v42, v171, v23
	v_add_f32_e32 v27, v27, v30
	v_fmac_f32_e32 v43, v173, v20
	v_add_f32_e32 v27, v27, v42
	;; [unrolled: 2-line block ×3, first 2 shown]
	s_waitcnt vmcnt(25)
	v_fmac_f32_e32 v45, v177, v22
	v_add_f32_e32 v27, v27, v44
	buffer_load_dword v42, off, s[0:3], 0 offset:288
	buffer_load_dword v43, off, s[0:3], 0 offset:292
	v_fmac_f32_e32 v46, v179, v19
	v_add_f32_e32 v27, v27, v45
	v_fmac_f32_e32 v47, v181, v17
	v_add_f32_e32 v27, v27, v46
	;; [unrolled: 2-line block ×3, first 2 shown]
	s_waitcnt vmcnt(23)
	v_fmac_f32_e32 v49, v185, v157
	v_add_f32_e32 v27, v27, v48
	v_add_f32_e32 v27, v27, v49
	ds_read2_b64 v[190:193], v1 offset0:89 offset1:90
	buffer_load_dword v44, off, s[0:3], 0 offset:296
	buffer_load_dword v45, off, s[0:3], 0 offset:300
	;; [unrolled: 1-line block ×6, first 2 shown]
	ds_read2_b64 v[194:197], v1 offset0:91 offset1:92
	buffer_load_dword v50, off, s[0:3], 0 offset:320
	buffer_load_dword v51, off, s[0:3], 0 offset:324
	ds_read2_b64 v[198:201], v1 offset0:93 offset1:94
	buffer_load_dword v52, off, s[0:3], 0 offset:328
	buffer_load_dword v53, off, s[0:3], 0 offset:332
	;; [unrolled: 1-line block ×16, first 2 shown]
	ds_read2_b64 v[202:205], v1 offset0:95 offset1:96
	buffer_load_dword v68, off, s[0:3], 0 offset:392
	buffer_load_dword v69, off, s[0:3], 0 offset:396
	;; [unrolled: 1-line block ×6, first 2 shown]
	ds_read2_b64 v[206:209], v1 offset0:97 offset1:98
	buffer_load_dword v74, off, s[0:3], 0 offset:416
	buffer_load_dword v75, off, s[0:3], 0 offset:420
	;; [unrolled: 1-line block ×10, first 2 shown]
	v_mul_f32_e32 v8, v163, v8
	v_fma_f32 v8, v162, v150, -v8
	v_mul_f32_e32 v7, v165, v7
	v_add_f32_e32 v8, 0, v8
	v_fma_f32 v7, v164, v24, -v7
	v_mul_f32_e32 v6, v167, v6
	v_add_f32_e32 v7, v8, v7
	v_fma_f32 v6, v166, v21, -v6
	v_mul_f32_e32 v5, v169, v5
	v_add_f32_e32 v6, v7, v6
	v_fma_f32 v5, v168, v149, -v5
	v_mul_f32_e32 v4, v171, v4
	buffer_load_dword v84, off, s[0:3], 0 offset:456
	buffer_load_dword v85, off, s[0:3], 0 offset:460
	buffer_load_dword v86, off, s[0:3], 0 offset:468
	buffer_load_dword v87, off, s[0:3], 0 offset:472
	buffer_load_dword v88, off, s[0:3], 0 offset:476
	buffer_load_dword v254, off, s[0:3], 0 offset:464
	v_add_f32_e32 v5, v6, v5
	v_fma_f32 v4, v170, v23, -v4
	v_mul_f32_e32 v3, v173, v3
	v_add_f32_e32 v4, v5, v4
	v_fma_f32 v3, v172, v20, -v3
	v_mul_f32_e32 v2, v175, v2
	v_add_f32_e32 v3, v4, v3
	v_fma_f32 v2, v174, v18, -v2
	ds_read2_b64 v[210:213], v1 offset0:99 offset1:100
	ds_read2_b64 v[214:217], v1 offset0:101 offset1:102
	buffer_load_dword v255, off, s[0:3], 0 offset:480
	buffer_load_dword v89, off, s[0:3], 0 offset:484
	v_add_f32_e32 v2, v3, v2
	v_mul_f32_e32 v3, v177, v11
	v_fma_f32 v3, v176, v22, -v3
	v_add_f32_e32 v2, v2, v3
	v_mul_f32_e32 v3, v179, v12
	v_fma_f32 v3, v178, v19, -v3
	;; [unrolled: 3-line block ×4, first 2 shown]
	v_add_f32_e32 v2, v2, v3
	v_mul_f32_e32 v3, v185, v15
	s_waitcnt vmcnt(62) lgkmcnt(7)
	v_mul_f32_e32 v28, v186, v156
	v_fma_f32 v3, v184, v157, -v3
	v_fmac_f32_e32 v28, v187, v153
	v_add_f32_e32 v2, v2, v3
	v_mul_f32_e32 v3, v187, v156
	v_add_f32_e32 v27, v27, v28
	v_mul_f32_e32 v28, v188, v154
	v_fma_f32 v3, v186, v153, -v3
	v_fmac_f32_e32 v28, v189, v151
	v_add_f32_e32 v2, v2, v3
	v_mul_f32_e32 v3, v189, v154
	v_add_f32_e32 v27, v27, v28
	s_waitcnt lgkmcnt(6)
	v_mul_f32_e32 v28, v190, v152
	v_fma_f32 v3, v188, v151, -v3
	v_fmac_f32_e32 v28, v191, v148
	v_add_f32_e32 v2, v2, v3
	v_mul_f32_e32 v3, v191, v152
	v_add_f32_e32 v27, v27, v28
	v_mul_f32_e32 v28, v192, v155
	v_fma_f32 v3, v190, v148, -v3
	s_waitcnt vmcnt(60)
	v_fmac_f32_e32 v28, v193, v33
	v_add_f32_e32 v2, v2, v3
	v_mul_f32_e32 v3, v193, v155
	v_add_f32_e32 v27, v27, v28
	s_waitcnt lgkmcnt(5)
	v_mul_f32_e32 v28, v194, v159
	v_fma_f32 v3, v192, v33, -v3
	v_fmac_f32_e32 v28, v195, v158
	v_add_f32_e32 v2, v2, v3
	v_mul_f32_e32 v3, v195, v159
	v_add_f32_e32 v27, v27, v28
	v_mul_f32_e32 v28, v196, v161
	v_fma_f32 v3, v194, v158, -v3
	v_fmac_f32_e32 v28, v197, v160
	v_add_f32_e32 v2, v2, v3
	v_mul_f32_e32 v3, v197, v161
	v_add_f32_e32 v27, v27, v28
	s_waitcnt lgkmcnt(4)
	v_mul_f32_e32 v28, v198, v32
	v_fma_f32 v3, v196, v160, -v3
	v_fmac_f32_e32 v28, v199, v31
	v_add_f32_e32 v2, v2, v3
	v_mul_f32_e32 v3, v199, v32
	v_add_f32_e32 v27, v27, v28
	s_waitcnt vmcnt(56)
	v_mul_f32_e32 v28, v200, v35
	v_fma_f32 v3, v198, v31, -v3
	v_fmac_f32_e32 v28, v201, v34
	v_add_f32_e32 v2, v2, v3
	v_mul_f32_e32 v3, v201, v35
	v_add_f32_e32 v27, v27, v28
	s_waitcnt vmcnt(54) lgkmcnt(3)
	v_mul_f32_e32 v28, v202, v37
	v_fma_f32 v3, v200, v34, -v3
	v_fmac_f32_e32 v28, v203, v36
	v_add_f32_e32 v2, v2, v3
	v_mul_f32_e32 v3, v203, v37
	v_add_f32_e32 v27, v27, v28
	s_waitcnt vmcnt(52)
	v_mul_f32_e32 v28, v204, v39
	v_fma_f32 v3, v202, v36, -v3
	v_fmac_f32_e32 v28, v205, v38
	v_add_f32_e32 v2, v2, v3
	v_mul_f32_e32 v3, v205, v39
	v_add_f32_e32 v27, v27, v28
	s_waitcnt vmcnt(50) lgkmcnt(2)
	;; [unrolled: 14-line block ×3, first 2 shown]
	v_mul_f32_e32 v28, v210, v45
	v_fma_f32 v3, v208, v42, -v3
	v_fmac_f32_e32 v28, v211, v44
	v_add_f32_e32 v2, v2, v3
	v_mul_f32_e32 v3, v211, v45
	v_add_f32_e32 v27, v27, v28
	s_waitcnt vmcnt(45)
	v_mul_f32_e32 v28, v212, v46
	v_fma_f32 v3, v210, v44, -v3
	s_waitcnt vmcnt(42)
	v_fmac_f32_e32 v28, v213, v49
	ds_read2_b64 v[218:221], v1 offset0:103 offset1:104
	ds_read2_b64 v[222:225], v1 offset0:105 offset1:106
	v_add_f32_e32 v2, v2, v3
	v_mul_f32_e32 v3, v213, v46
	v_add_f32_e32 v27, v27, v28
	s_waitcnt lgkmcnt(2)
	v_mul_f32_e32 v28, v214, v48
	v_fma_f32 v3, v212, v49, -v3
	v_fmac_f32_e32 v28, v215, v47
	v_add_f32_e32 v2, v2, v3
	v_mul_f32_e32 v3, v215, v48
	v_add_f32_e32 v27, v27, v28
	s_waitcnt vmcnt(40)
	v_mul_f32_e32 v28, v216, v51
	v_fma_f32 v3, v214, v47, -v3
	v_fmac_f32_e32 v28, v217, v50
	v_add_f32_e32 v2, v2, v3
	v_mul_f32_e32 v3, v217, v51
	v_add_f32_e32 v27, v27, v28
	s_waitcnt vmcnt(38) lgkmcnt(1)
	v_mul_f32_e32 v28, v218, v53
	v_fma_f32 v3, v216, v50, -v3
	v_fmac_f32_e32 v28, v219, v52
	v_add_f32_e32 v2, v2, v3
	v_mul_f32_e32 v3, v219, v53
	v_add_f32_e32 v27, v27, v28
	s_waitcnt vmcnt(37)
	v_mul_f32_e32 v28, v220, v54
	v_fma_f32 v3, v218, v52, -v3
	s_waitcnt vmcnt(34)
	v_fmac_f32_e32 v28, v221, v57
	ds_read2_b64 v[226:229], v1 offset0:107 offset1:108
	ds_read2_b64 v[230:233], v1 offset0:109 offset1:110
	v_add_f32_e32 v2, v2, v3
	v_mul_f32_e32 v3, v221, v54
	v_add_f32_e32 v27, v27, v28
	s_waitcnt lgkmcnt(2)
	v_mul_f32_e32 v28, v222, v56
	v_fma_f32 v3, v220, v57, -v3
	v_fmac_f32_e32 v28, v223, v55
	v_add_f32_e32 v2, v2, v3
	v_mul_f32_e32 v3, v223, v56
	v_add_f32_e32 v27, v27, v28
	s_waitcnt vmcnt(32)
	v_mul_f32_e32 v28, v224, v59
	v_fma_f32 v3, v222, v55, -v3
	v_fmac_f32_e32 v28, v225, v58
	v_add_f32_e32 v2, v2, v3
	v_mul_f32_e32 v3, v225, v59
	v_add_f32_e32 v27, v27, v28
	s_waitcnt vmcnt(30) lgkmcnt(1)
	v_mul_f32_e32 v28, v226, v61
	v_fma_f32 v3, v224, v58, -v3
	v_fmac_f32_e32 v28, v227, v60
	v_add_f32_e32 v2, v2, v3
	v_mul_f32_e32 v3, v227, v61
	v_add_f32_e32 v27, v27, v28
	s_waitcnt vmcnt(29)
	v_mul_f32_e32 v28, v228, v62
	v_fma_f32 v3, v226, v60, -v3
	s_waitcnt vmcnt(26)
	v_fmac_f32_e32 v28, v229, v65
	ds_read2_b64 v[234:237], v1 offset0:111 offset1:112
	ds_read2_b64 v[238:241], v1 offset0:113 offset1:114
	v_add_f32_e32 v2, v2, v3
	v_mul_f32_e32 v3, v229, v62
	v_add_f32_e32 v27, v27, v28
	s_waitcnt lgkmcnt(2)
	v_mul_f32_e32 v28, v230, v64
	v_fma_f32 v3, v228, v65, -v3
	v_fmac_f32_e32 v28, v231, v63
	v_add_f32_e32 v2, v2, v3
	v_mul_f32_e32 v3, v231, v64
	v_add_f32_e32 v27, v27, v28
	s_waitcnt vmcnt(24)
	v_mul_f32_e32 v28, v232, v67
	v_fma_f32 v3, v230, v63, -v3
	v_fmac_f32_e32 v28, v233, v66
	v_add_f32_e32 v2, v2, v3
	v_mul_f32_e32 v3, v233, v67
	v_add_f32_e32 v27, v27, v28
	s_waitcnt vmcnt(22) lgkmcnt(1)
	v_mul_f32_e32 v28, v234, v69
	v_fma_f32 v3, v232, v66, -v3
	v_fmac_f32_e32 v28, v235, v68
	v_add_f32_e32 v2, v2, v3
	v_mul_f32_e32 v3, v235, v69
	v_add_f32_e32 v27, v27, v28
	s_waitcnt vmcnt(21)
	v_mul_f32_e32 v28, v236, v70
	v_fma_f32 v3, v234, v68, -v3
	s_waitcnt vmcnt(18)
	v_fmac_f32_e32 v28, v237, v73
	ds_read2_b64 v[242:245], v1 offset0:115 offset1:116
	ds_read2_b64 v[246:249], v1 offset0:117 offset1:118
	v_add_f32_e32 v2, v2, v3
	v_mul_f32_e32 v3, v237, v70
	v_add_f32_e32 v27, v27, v28
	s_waitcnt lgkmcnt(2)
	v_mul_f32_e32 v28, v238, v72
	v_fma_f32 v3, v236, v73, -v3
	v_fmac_f32_e32 v28, v239, v71
	v_add_f32_e32 v2, v2, v3
	v_mul_f32_e32 v3, v239, v72
	v_add_f32_e32 v27, v27, v28
	s_waitcnt vmcnt(16)
	v_mul_f32_e32 v28, v240, v75
	v_fma_f32 v3, v238, v71, -v3
	v_fmac_f32_e32 v28, v241, v74
	v_add_f32_e32 v2, v2, v3
	v_mul_f32_e32 v3, v241, v75
	v_add_f32_e32 v27, v27, v28
	s_waitcnt vmcnt(14) lgkmcnt(1)
	v_mul_f32_e32 v28, v242, v77
	v_fma_f32 v3, v240, v74, -v3
	v_fmac_f32_e32 v28, v243, v76
	v_add_f32_e32 v2, v2, v3
	v_mul_f32_e32 v3, v243, v77
	v_add_f32_e32 v27, v27, v28
	s_waitcnt vmcnt(13)
	v_mul_f32_e32 v28, v244, v78
	v_fma_f32 v3, v242, v76, -v3
	s_waitcnt vmcnt(10)
	v_fmac_f32_e32 v28, v245, v81
	v_add_f32_e32 v2, v2, v3
	v_mul_f32_e32 v3, v245, v78
	v_add_f32_e32 v27, v27, v28
	s_waitcnt lgkmcnt(0)
	v_mul_f32_e32 v28, v246, v80
	ds_read2_b64 v[250:253], v1 offset0:119 offset1:120
	v_fma_f32 v3, v244, v81, -v3
	v_fmac_f32_e32 v28, v247, v79
	v_add_f32_e32 v2, v2, v3
	v_mul_f32_e32 v3, v247, v80
	v_add_f32_e32 v27, v27, v28
	s_waitcnt vmcnt(8)
	v_mul_f32_e32 v28, v248, v83
	v_fma_f32 v3, v246, v79, -v3
	v_fmac_f32_e32 v28, v249, v82
	v_add_f32_e32 v2, v2, v3
	v_mul_f32_e32 v3, v249, v83
	v_add_f32_e32 v90, v27, v28
	ds_read2_b64 v[27:30], v1 offset0:121 offset1:122
	v_fma_f32 v3, v248, v82, -v3
	v_add_f32_e32 v2, v2, v3
	s_waitcnt vmcnt(6) lgkmcnt(1)
	v_mul_f32_e32 v3, v251, v85
	v_mul_f32_e32 v1, v250, v85
	v_fma_f32 v3, v250, v84, -v3
	v_fmac_f32_e32 v1, v251, v84
	v_add_f32_e32 v2, v2, v3
	s_waitcnt vmcnt(5)
	v_mul_f32_e32 v3, v253, v86
	v_add_f32_e32 v1, v90, v1
	v_mul_f32_e32 v90, v252, v86
	s_waitcnt vmcnt(2)
	v_fma_f32 v3, v252, v254, -v3
	v_fmac_f32_e32 v90, v253, v254
	v_add_f32_e32 v2, v2, v3
	s_waitcnt lgkmcnt(0)
	v_mul_f32_e32 v3, v28, v88
	v_add_f32_e32 v1, v1, v90
	v_mul_f32_e32 v90, v27, v88
	v_fma_f32 v3, v27, v87, -v3
	v_fmac_f32_e32 v90, v28, v87
	v_add_f32_e32 v2, v2, v3
	s_waitcnt vmcnt(0)
	v_mul_f32_e32 v3, v30, v89
	v_add_f32_e32 v1, v1, v90
	v_mul_f32_e32 v90, v29, v89
	v_fma_f32 v3, v29, v255, -v3
	v_fmac_f32_e32 v90, v30, v255
	v_add_f32_e32 v2, v2, v3
	v_add_f32_e32 v1, v1, v90
	v_sub_f32_e32 v2, v9, v2
	v_sub_f32_e32 v1, v10, v1
	buffer_store_dword v2, off, s[0:3], 0 offset:96
	buffer_store_dword v1, off, s[0:3], 0 offset:100
	s_and_saveexec_b64 s[4:5], vcc
	s_cbranch_execz .LBB60_357
; %bb.356:
	buffer_load_dword v1, off, s[0:3], 0 offset:88
	buffer_load_dword v2, off, s[0:3], 0 offset:92
	v_mov_b32_e32 v3, 0
	buffer_store_dword v3, off, s[0:3], 0 offset:88
	buffer_store_dword v3, off, s[0:3], 0 offset:92
	s_waitcnt vmcnt(2)
	ds_write_b64 v147, v[1:2]
.LBB60_357:
	s_or_b64 exec, exec, s[4:5]
	s_waitcnt lgkmcnt(0)
	; wave barrier
	buffer_load_dword v8, off, s[0:3], 0 offset:100
	buffer_load_dword v7, off, s[0:3], 0 offset:108
	;; [unrolled: 1-line block ×40, first 2 shown]
	v_mov_b32_e32 v1, 0
	buffer_load_dword v58, off, s[0:3], 0 offset:248
	buffer_load_dword v59, off, s[0:3], 0 offset:252
	;; [unrolled: 1-line block ×10, first 2 shown]
	ds_read_b128 v[15:18], v1 offset:592
	ds_read_b128 v[19:22], v1 offset:608
	;; [unrolled: 1-line block ×8, first 2 shown]
	v_cmp_lt_u32_e32 vcc, 10, v0
	s_waitcnt vmcnt(49) lgkmcnt(7)
	v_mul_f32_e32 v23, v15, v8
	s_waitcnt vmcnt(48)
	v_mul_f32_e32 v24, v17, v7
	s_waitcnt vmcnt(47) lgkmcnt(6)
	v_mul_f32_e32 v68, v19, v6
	s_waitcnt vmcnt(46)
	v_mul_f32_e32 v69, v21, v5
	;; [unrolled: 4-line block ×5, first 2 shown]
	s_waitcnt vmcnt(39) lgkmcnt(2)
	v_mul_f32_e32 v76, v156, v14
	s_waitcnt vmcnt(38)
	v_fmac_f32_e32 v68, v20, v31
	s_waitcnt vmcnt(37)
	v_fmac_f32_e32 v24, v18, v32
	;; [unrolled: 2-line block ×3, first 2 shown]
	v_add_f32_e32 v23, 0, v23
	v_add_f32_e32 v23, v23, v24
	;; [unrolled: 1-line block ×3, first 2 shown]
	s_waitcnt vmcnt(32)
	v_fmac_f32_e32 v69, v22, v37
	v_fmac_f32_e32 v70, v28, v36
	v_add_f32_e32 v23, v23, v69
	v_fmac_f32_e32 v71, v30, v35
	v_add_f32_e32 v23, v23, v70
	buffer_load_dword v68, off, s[0:3], 0 offset:288
	buffer_load_dword v69, off, s[0:3], 0 offset:292
	v_fmac_f32_e32 v72, v149, v34
	v_add_f32_e32 v23, v23, v71
	s_waitcnt vmcnt(30)
	v_fmac_f32_e32 v73, v151, v41
	v_add_f32_e32 v23, v23, v72
	v_add_f32_e32 v23, v23, v73
	ds_read_b128 v[168:171], v1 offset:720
	buffer_load_dword v70, off, s[0:3], 0 offset:300
	buffer_load_dword v71, off, s[0:3], 0 offset:304
	;; [unrolled: 1-line block ×4, first 2 shown]
	v_fmac_f32_e32 v74, v153, v40
	v_fmac_f32_e32 v75, v155, v39
	v_add_f32_e32 v23, v23, v74
	v_add_f32_e32 v23, v23, v75
	ds_read_b128 v[172:175], v1 offset:736
	buffer_load_dword v74, off, s[0:3], 0 offset:312
	buffer_load_dword v75, off, s[0:3], 0 offset:316
	v_fmac_f32_e32 v76, v157, v38
	v_add_f32_e32 v23, v23, v76
	buffer_load_dword v76, off, s[0:3], 0 offset:320
	buffer_load_dword v77, off, s[0:3], 0 offset:324
	;; [unrolled: 1-line block ×14, first 2 shown]
	ds_read_b128 v[176:179], v1 offset:752
	buffer_load_dword v90, off, s[0:3], 0 offset:376
	buffer_load_dword v232, off, s[0:3], 0 offset:380
	ds_read_b128 v[180:183], v1 offset:768
	buffer_load_dword v233, off, s[0:3], 0 offset:384
	buffer_load_dword v234, off, s[0:3], 0 offset:388
	;; [unrolled: 1-line block ×16, first 2 shown]
	v_mul_f32_e32 v8, v16, v8
	v_fma_f32 v8, v15, v33, -v8
	v_mul_f32_e32 v7, v18, v7
	v_add_f32_e32 v8, 0, v8
	v_fma_f32 v7, v17, v32, -v7
	v_mul_f32_e32 v6, v20, v6
	v_add_f32_e32 v7, v8, v7
	v_fma_f32 v6, v19, v31, -v6
	v_mul_f32_e32 v5, v22, v5
	ds_read_b128 v[184:187], v1 offset:784
	buffer_load_dword v249, off, s[0:3], 0 offset:448
	buffer_load_dword v250, off, s[0:3], 0 offset:452
	;; [unrolled: 1-line block ×6, first 2 shown]
	v_add_f32_e32 v6, v7, v6
	v_fma_f32 v5, v21, v37, -v5
	v_mul_f32_e32 v4, v28, v4
	v_add_f32_e32 v5, v6, v5
	v_fma_f32 v4, v27, v36, -v4
	v_mul_f32_e32 v3, v30, v3
	;; [unrolled: 3-line block ×3, first 2 shown]
	v_add_f32_e32 v3, v4, v3
	v_fma_f32 v2, v148, v34, -v2
	v_add_f32_e32 v2, v3, v2
	v_mul_f32_e32 v3, v151, v11
	ds_read_b128 v[188:191], v1 offset:800
	buffer_load_dword v255, off, s[0:3], 0 offset:476
	buffer_load_dword v91, off, s[0:3], 0 offset:480
	;; [unrolled: 1-line block ×4, first 2 shown]
	v_fma_f32 v3, v150, v41, -v3
	v_add_f32_e32 v2, v2, v3
	v_mul_f32_e32 v3, v153, v12
	v_fma_f32 v3, v152, v40, -v3
	v_add_f32_e32 v2, v2, v3
	v_mul_f32_e32 v3, v155, v13
	;; [unrolled: 3-line block ×3, first 2 shown]
	s_waitcnt vmcnt(62)
	v_mul_f32_e32 v24, v158, v42
	v_fma_f32 v3, v156, v38, -v3
	v_fmac_f32_e32 v24, v159, v46
	v_add_f32_e32 v2, v2, v3
	v_mul_f32_e32 v3, v159, v42
	v_add_f32_e32 v23, v23, v24
	s_waitcnt lgkmcnt(7)
	v_mul_f32_e32 v24, v160, v47
	v_fma_f32 v3, v158, v46, -v3
	v_fmac_f32_e32 v24, v161, v45
	v_add_f32_e32 v2, v2, v3
	v_mul_f32_e32 v3, v161, v47
	v_add_f32_e32 v23, v23, v24
	v_mul_f32_e32 v24, v162, v48
	v_fma_f32 v3, v160, v45, -v3
	v_fmac_f32_e32 v24, v163, v44
	v_add_f32_e32 v2, v2, v3
	v_mul_f32_e32 v3, v163, v48
	v_add_f32_e32 v23, v23, v24
	s_waitcnt lgkmcnt(6)
	v_mul_f32_e32 v24, v164, v49
	v_fma_f32 v3, v162, v44, -v3
	v_fmac_f32_e32 v24, v165, v43
	v_add_f32_e32 v2, v2, v3
	v_mul_f32_e32 v3, v165, v49
	v_add_f32_e32 v23, v23, v24
	v_mul_f32_e32 v24, v166, v50
	v_fma_f32 v3, v164, v43, -v3
	v_fmac_f32_e32 v24, v167, v56
	v_add_f32_e32 v2, v2, v3
	v_mul_f32_e32 v3, v167, v50
	v_add_f32_e32 v23, v23, v24
	s_waitcnt lgkmcnt(5)
	v_mul_f32_e32 v24, v168, v57
	v_fma_f32 v3, v166, v56, -v3
	v_fmac_f32_e32 v24, v169, v55
	v_add_f32_e32 v2, v2, v3
	v_mul_f32_e32 v3, v169, v57
	v_add_f32_e32 v23, v23, v24
	v_mul_f32_e32 v24, v170, v52
	v_fma_f32 v3, v168, v55, -v3
	v_fmac_f32_e32 v24, v171, v51
	v_add_f32_e32 v2, v2, v3
	v_mul_f32_e32 v3, v171, v52
	v_add_f32_e32 v23, v23, v24
	s_waitcnt lgkmcnt(4)
	v_mul_f32_e32 v24, v172, v54
	v_fma_f32 v3, v170, v51, -v3
	v_fmac_f32_e32 v24, v173, v53
	v_add_f32_e32 v2, v2, v3
	v_mul_f32_e32 v3, v173, v54
	v_add_f32_e32 v23, v23, v24
	s_waitcnt vmcnt(58)
	v_mul_f32_e32 v24, v174, v59
	v_fma_f32 v3, v172, v53, -v3
	v_fmac_f32_e32 v24, v175, v58
	v_add_f32_e32 v2, v2, v3
	v_mul_f32_e32 v3, v175, v59
	v_add_f32_e32 v23, v23, v24
	s_waitcnt vmcnt(56) lgkmcnt(3)
	v_mul_f32_e32 v24, v176, v61
	v_fma_f32 v3, v174, v58, -v3
	v_fmac_f32_e32 v24, v177, v60
	v_add_f32_e32 v2, v2, v3
	v_mul_f32_e32 v3, v177, v61
	v_add_f32_e32 v23, v23, v24
	s_waitcnt vmcnt(54)
	v_mul_f32_e32 v24, v178, v63
	v_fma_f32 v3, v176, v60, -v3
	v_fmac_f32_e32 v24, v179, v62
	v_add_f32_e32 v2, v2, v3
	v_mul_f32_e32 v3, v179, v63
	v_add_f32_e32 v23, v23, v24
	s_waitcnt vmcnt(52) lgkmcnt(2)
	v_mul_f32_e32 v24, v180, v65
	v_fma_f32 v3, v178, v62, -v3
	v_fmac_f32_e32 v24, v181, v64
	v_add_f32_e32 v2, v2, v3
	v_mul_f32_e32 v3, v181, v65
	v_add_f32_e32 v23, v23, v24
	;; [unrolled: 14-line block ×3, first 2 shown]
	s_waitcnt vmcnt(47)
	v_mul_f32_e32 v24, v186, v70
	v_fma_f32 v3, v184, v68, -v3
	s_waitcnt vmcnt(44)
	v_fmac_f32_e32 v24, v187, v73
	ds_read_b128 v[192:195], v1 offset:816
	ds_read_b128 v[196:199], v1 offset:832
	v_add_f32_e32 v2, v2, v3
	v_mul_f32_e32 v3, v187, v70
	v_add_f32_e32 v23, v23, v24
	s_waitcnt lgkmcnt(2)
	v_mul_f32_e32 v24, v188, v72
	v_fma_f32 v3, v186, v73, -v3
	v_fmac_f32_e32 v24, v189, v71
	v_add_f32_e32 v2, v2, v3
	v_mul_f32_e32 v3, v189, v72
	v_add_f32_e32 v23, v23, v24
	s_waitcnt vmcnt(42)
	v_mul_f32_e32 v24, v190, v75
	v_fma_f32 v3, v188, v71, -v3
	v_fmac_f32_e32 v24, v191, v74
	v_add_f32_e32 v2, v2, v3
	v_mul_f32_e32 v3, v191, v75
	v_add_f32_e32 v23, v23, v24
	s_waitcnt vmcnt(40) lgkmcnt(1)
	v_mul_f32_e32 v24, v192, v77
	v_fma_f32 v3, v190, v74, -v3
	v_fmac_f32_e32 v24, v193, v76
	v_add_f32_e32 v2, v2, v3
	v_mul_f32_e32 v3, v193, v77
	v_add_f32_e32 v23, v23, v24
	s_waitcnt vmcnt(39)
	v_mul_f32_e32 v24, v194, v78
	v_fma_f32 v3, v192, v76, -v3
	s_waitcnt vmcnt(36)
	v_fmac_f32_e32 v24, v195, v81
	ds_read_b128 v[200:203], v1 offset:848
	ds_read_b128 v[204:207], v1 offset:864
	v_add_f32_e32 v2, v2, v3
	v_mul_f32_e32 v3, v195, v78
	v_add_f32_e32 v23, v23, v24
	s_waitcnt lgkmcnt(2)
	v_mul_f32_e32 v24, v196, v80
	v_fma_f32 v3, v194, v81, -v3
	v_fmac_f32_e32 v24, v197, v79
	v_add_f32_e32 v2, v2, v3
	v_mul_f32_e32 v3, v197, v80
	v_add_f32_e32 v23, v23, v24
	s_waitcnt vmcnt(34)
	v_mul_f32_e32 v24, v198, v83
	v_fma_f32 v3, v196, v79, -v3
	v_fmac_f32_e32 v24, v199, v82
	v_add_f32_e32 v2, v2, v3
	v_mul_f32_e32 v3, v199, v83
	v_add_f32_e32 v23, v23, v24
	s_waitcnt vmcnt(32) lgkmcnt(1)
	v_mul_f32_e32 v24, v200, v85
	v_fma_f32 v3, v198, v82, -v3
	v_fmac_f32_e32 v24, v201, v84
	v_add_f32_e32 v2, v2, v3
	v_mul_f32_e32 v3, v201, v85
	v_add_f32_e32 v23, v23, v24
	;; [unrolled: 31-line block ×5, first 2 shown]
	s_waitcnt vmcnt(7)
	v_mul_f32_e32 v24, v226, v251
	v_fma_f32 v3, v224, v249, -v3
	s_waitcnt vmcnt(4)
	v_fmac_f32_e32 v24, v227, v254
	v_add_f32_e32 v2, v2, v3
	v_mul_f32_e32 v3, v227, v251
	v_add_f32_e32 v94, v23, v24
	ds_read_b64 v[23:24], v1 offset:976
	v_fma_f32 v3, v226, v254, -v3
	v_add_f32_e32 v2, v2, v3
	s_waitcnt lgkmcnt(1)
	v_mul_f32_e32 v3, v229, v253
	v_mul_f32_e32 v95, v228, v253
	v_fma_f32 v3, v228, v252, -v3
	v_fmac_f32_e32 v95, v229, v252
	v_add_f32_e32 v2, v2, v3
	s_waitcnt vmcnt(3)
	v_mul_f32_e32 v3, v231, v255
	v_add_f32_e32 v94, v94, v95
	v_mul_f32_e32 v95, v230, v255
	s_waitcnt vmcnt(0)
	v_fma_f32 v3, v230, v93, -v3
	v_fmac_f32_e32 v95, v231, v93
	v_add_f32_e32 v2, v2, v3
	s_waitcnt lgkmcnt(0)
	v_mul_f32_e32 v3, v24, v92
	v_add_f32_e32 v94, v94, v95
	v_mul_f32_e32 v95, v23, v92
	v_fma_f32 v3, v23, v91, -v3
	v_fmac_f32_e32 v95, v24, v91
	v_add_f32_e32 v2, v2, v3
	v_add_f32_e32 v94, v94, v95
	v_sub_f32_e32 v2, v9, v2
	v_sub_f32_e32 v3, v10, v94
	buffer_store_dword v2, off, s[0:3], 0 offset:88
	buffer_store_dword v3, off, s[0:3], 0 offset:92
	s_and_saveexec_b64 s[4:5], vcc
	s_cbranch_execz .LBB60_359
; %bb.358:
	buffer_load_dword v2, off, s[0:3], 0 offset:80
	buffer_load_dword v3, off, s[0:3], 0 offset:84
	s_waitcnt vmcnt(0)
	ds_write_b64 v147, v[2:3]
	buffer_store_dword v1, off, s[0:3], 0 offset:80
	buffer_store_dword v1, off, s[0:3], 0 offset:84
.LBB60_359:
	s_or_b64 exec, exec, s[4:5]
	s_waitcnt lgkmcnt(0)
	; wave barrier
	buffer_load_dword v8, off, s[0:3], 0 offset:92
	buffer_load_dword v7, off, s[0:3], 0 offset:100
	;; [unrolled: 1-line block ×40, first 2 shown]
	ds_read2_b64 v[16:19], v1 offset0:73 offset1:74
	ds_read2_b64 v[20:23], v1 offset0:75 offset1:76
	;; [unrolled: 1-line block ×7, first 2 shown]
	buffer_load_dword v56, off, s[0:3], 0 offset:240
	buffer_load_dword v57, off, s[0:3], 0 offset:244
	;; [unrolled: 1-line block ×10, first 2 shown]
	ds_read2_b64 v[164:167], v1 offset0:87 offset1:88
	v_cmp_lt_u32_e32 vcc, 9, v0
	s_waitcnt vmcnt(49) lgkmcnt(7)
	v_mul_f32_e32 v66, v16, v8
	s_waitcnt vmcnt(48)
	v_mul_f32_e32 v67, v18, v7
	s_waitcnt vmcnt(47) lgkmcnt(6)
	v_mul_f32_e32 v68, v20, v6
	s_waitcnt vmcnt(46)
	v_mul_f32_e32 v69, v22, v5
	;; [unrolled: 4-line block ×6, first 2 shown]
	s_waitcnt vmcnt(37)
	v_fmac_f32_e32 v68, v21, v24
	s_waitcnt vmcnt(36)
	v_fmac_f32_e32 v67, v19, v31
	;; [unrolled: 2-line block ×3, first 2 shown]
	v_add_f32_e32 v66, 0, v66
	v_add_f32_e32 v66, v66, v67
	;; [unrolled: 1-line block ×3, first 2 shown]
	s_waitcnt vmcnt(31)
	v_fmac_f32_e32 v69, v23, v36
	v_fmac_f32_e32 v70, v28, v35
	v_add_f32_e32 v66, v66, v69
	v_fmac_f32_e32 v71, v30, v34
	v_add_f32_e32 v66, v66, v70
	;; [unrolled: 2-line block ×3, first 2 shown]
	s_waitcnt vmcnt(27)
	v_fmac_f32_e32 v73, v151, v40
	v_add_f32_e32 v66, v66, v72
	v_fmac_f32_e32 v74, v153, v39
	v_add_f32_e32 v66, v66, v73
	;; [unrolled: 2-line block ×4, first 2 shown]
	v_add_f32_e32 v66, v66, v76
	s_waitcnt vmcnt(23)
	v_fmac_f32_e32 v77, v159, v44
	s_waitcnt vmcnt(22) lgkmcnt(1)
	v_mul_f32_e32 v67, v160, v45
	v_add_f32_e32 v66, v66, v77
	v_fmac_f32_e32 v67, v161, v43
	buffer_load_dword v68, off, s[0:3], 0 offset:284
	v_add_f32_e32 v66, v66, v67
	s_waitcnt vmcnt(22)
	v_mul_f32_e32 v67, v162, v46
	v_fmac_f32_e32 v67, v163, v42
	buffer_load_dword v69, off, s[0:3], 0 offset:280
	buffer_load_dword v70, off, s[0:3], 0 offset:288
	;; [unrolled: 1-line block ×3, first 2 shown]
	ds_read2_b64 v[168:171], v1 offset0:89 offset1:90
	v_add_f32_e32 v66, v66, v67
	s_waitcnt vmcnt(24) lgkmcnt(1)
	v_mul_f32_e32 v67, v164, v47
	v_fmac_f32_e32 v67, v165, v41
	v_add_f32_e32 v66, v66, v67
	s_waitcnt vmcnt(23)
	v_mul_f32_e32 v67, v166, v48
	buffer_load_dword v72, off, s[0:3], 0 offset:296
	buffer_load_dword v73, off, s[0:3], 0 offset:300
	s_waitcnt vmcnt(19)
	v_fmac_f32_e32 v67, v167, v54
	v_add_f32_e32 v66, v66, v67
	s_waitcnt vmcnt(18) lgkmcnt(0)
	v_mul_f32_e32 v67, v168, v55
	v_fmac_f32_e32 v67, v169, v53
	ds_read2_b64 v[172:175], v1 offset0:91 offset1:92
	v_add_f32_e32 v66, v66, v67
	buffer_load_dword v67, off, s[0:3], 0 offset:304
	buffer_load_dword v74, off, s[0:3], 0 offset:308
	;; [unrolled: 1-line block ×8, first 2 shown]
	v_mul_f32_e32 v75, v170, v50
	v_fmac_f32_e32 v75, v171, v49
	v_add_f32_e32 v66, v66, v75
	s_waitcnt lgkmcnt(0)
	v_mul_f32_e32 v75, v172, v52
	v_fmac_f32_e32 v75, v173, v51
	v_add_f32_e32 v66, v66, v75
	buffer_load_dword v75, off, s[0:3], 0 offset:336
	buffer_load_dword v82, off, s[0:3], 0 offset:340
	ds_read2_b64 v[176:179], v1 offset0:93 offset1:94
	buffer_load_dword v84, off, s[0:3], 0 offset:344
	buffer_load_dword v85, off, s[0:3], 0 offset:348
	;; [unrolled: 1-line block ×6, first 2 shown]
	ds_read2_b64 v[180:183], v1 offset0:95 offset1:96
	buffer_load_dword v90, off, s[0:3], 0 offset:368
	buffer_load_dword v91, off, s[0:3], 0 offset:372
	s_waitcnt vmcnt(32)
	v_mul_f32_e32 v83, v174, v57
	v_fmac_f32_e32 v83, v175, v56
	v_add_f32_e32 v66, v66, v83
	s_waitcnt vmcnt(30) lgkmcnt(1)
	v_mul_f32_e32 v83, v176, v59
	v_fmac_f32_e32 v83, v177, v58
	v_add_f32_e32 v66, v66, v83
	buffer_load_dword v83, off, s[0:3], 0 offset:376
	buffer_load_dword v92, off, s[0:3], 0 offset:380
	;; [unrolled: 1-line block ×14, first 2 shown]
	s_waitcnt vmcnt(42)
	v_mul_f32_e32 v184, v178, v61
	v_fmac_f32_e32 v184, v179, v60
	v_add_f32_e32 v66, v66, v184
	s_waitcnt vmcnt(40) lgkmcnt(0)
	v_mul_f32_e32 v184, v180, v63
	v_fmac_f32_e32 v184, v181, v62
	v_add_f32_e32 v66, v66, v184
	ds_read2_b64 v[184:187], v1 offset0:97 offset1:98
	buffer_load_dword v244, off, s[0:3], 0 offset:432
	buffer_load_dword v245, off, s[0:3], 0 offset:436
	v_mul_f32_e32 v8, v17, v8
	v_fma_f32 v8, v16, v32, -v8
	v_mul_f32_e32 v7, v19, v7
	s_waitcnt vmcnt(40)
	v_mul_f32_e32 v188, v182, v65
	v_add_f32_e32 v8, 0, v8
	v_fma_f32 v7, v18, v31, -v7
	v_mul_f32_e32 v6, v21, v6
	v_fmac_f32_e32 v188, v183, v64
	v_add_f32_e32 v7, v8, v7
	v_fma_f32 v6, v20, v24, -v6
	v_mul_f32_e32 v5, v23, v5
	v_add_f32_e32 v66, v66, v188
	ds_read2_b64 v[188:191], v1 offset0:99 offset1:100
	buffer_load_dword v246, off, s[0:3], 0 offset:440
	buffer_load_dword v247, off, s[0:3], 0 offset:444
	;; [unrolled: 1-line block ×6, first 2 shown]
	v_add_f32_e32 v6, v7, v6
	v_fma_f32 v5, v22, v36, -v5
	v_mul_f32_e32 v4, v28, v4
	v_add_f32_e32 v5, v6, v5
	v_fma_f32 v4, v27, v35, -v4
	v_mul_f32_e32 v3, v30, v3
	;; [unrolled: 3-line block ×3, first 2 shown]
	v_add_f32_e32 v3, v4, v3
	v_fma_f32 v2, v148, v33, -v2
	v_add_f32_e32 v2, v3, v2
	v_mul_f32_e32 v3, v151, v11
	v_fma_f32 v3, v150, v40, -v3
	v_add_f32_e32 v2, v2, v3
	v_mul_f32_e32 v3, v153, v12
	buffer_load_dword v252, off, s[0:3], 0 offset:464
	buffer_load_dword v253, off, s[0:3], 0 offset:468
	;; [unrolled: 1-line block ×6, first 2 shown]
	v_fma_f32 v3, v152, v39, -v3
	v_add_f32_e32 v2, v2, v3
	v_mul_f32_e32 v3, v155, v13
	v_fma_f32 v3, v154, v38, -v3
	v_add_f32_e32 v2, v2, v3
	v_mul_f32_e32 v3, v157, v14
	v_fma_f32 v3, v156, v37, -v3
	v_add_f32_e32 v2, v2, v3
	v_mul_f32_e32 v3, v159, v15
	v_fma_f32 v3, v158, v44, -v3
	v_add_f32_e32 v2, v2, v3
	v_mul_f32_e32 v3, v161, v45
	v_fma_f32 v3, v160, v43, -v3
	v_add_f32_e32 v2, v2, v3
	v_mul_f32_e32 v3, v163, v46
	v_fma_f32 v3, v162, v42, -v3
	v_add_f32_e32 v2, v2, v3
	v_mul_f32_e32 v3, v165, v47
	v_fma_f32 v3, v164, v41, -v3
	v_add_f32_e32 v2, v2, v3
	v_mul_f32_e32 v3, v167, v48
	v_fma_f32 v3, v166, v54, -v3
	s_waitcnt vmcnt(51) lgkmcnt(1)
	v_mul_f32_e32 v192, v184, v68
	v_add_f32_e32 v2, v2, v3
	v_mul_f32_e32 v3, v169, v55
	s_waitcnt vmcnt(50)
	v_fmac_f32_e32 v192, v185, v69
	v_fma_f32 v3, v168, v53, -v3
	v_add_f32_e32 v66, v66, v192
	s_waitcnt vmcnt(48)
	v_mul_f32_e32 v192, v186, v71
	v_add_f32_e32 v2, v2, v3
	v_mul_f32_e32 v3, v171, v50
	v_fmac_f32_e32 v192, v187, v70
	v_fma_f32 v3, v170, v49, -v3
	v_add_f32_e32 v66, v66, v192
	s_waitcnt vmcnt(46) lgkmcnt(0)
	v_mul_f32_e32 v192, v188, v73
	v_add_f32_e32 v2, v2, v3
	v_mul_f32_e32 v3, v173, v52
	v_fmac_f32_e32 v192, v189, v72
	v_fma_f32 v3, v172, v51, -v3
	v_add_f32_e32 v66, v66, v192
	ds_read2_b64 v[192:195], v1 offset0:101 offset1:102
	v_add_f32_e32 v2, v2, v3
	v_mul_f32_e32 v3, v175, v57
	v_fma_f32 v3, v174, v56, -v3
	s_waitcnt vmcnt(44)
	v_mul_f32_e32 v196, v190, v74
	v_add_f32_e32 v2, v2, v3
	v_mul_f32_e32 v3, v177, v59
	v_fmac_f32_e32 v196, v191, v67
	v_fma_f32 v3, v176, v58, -v3
	v_add_f32_e32 v66, v66, v196
	ds_read2_b64 v[196:199], v1 offset0:103 offset1:104
	v_add_f32_e32 v2, v2, v3
	v_mul_f32_e32 v3, v179, v61
	s_waitcnt vmcnt(42) lgkmcnt(1)
	v_mul_f32_e32 v200, v192, v77
	v_fma_f32 v3, v178, v60, -v3
	v_fmac_f32_e32 v200, v193, v76
	v_add_f32_e32 v2, v2, v3
	v_mul_f32_e32 v3, v181, v63
	v_add_f32_e32 v66, v66, v200
	s_waitcnt vmcnt(41)
	v_mul_f32_e32 v200, v194, v78
	v_fma_f32 v3, v180, v62, -v3
	s_waitcnt vmcnt(38)
	v_fmac_f32_e32 v200, v195, v81
	v_add_f32_e32 v2, v2, v3
	v_mul_f32_e32 v3, v183, v65
	v_add_f32_e32 v66, v66, v200
	s_waitcnt lgkmcnt(0)
	v_mul_f32_e32 v200, v196, v80
	v_fma_f32 v3, v182, v64, -v3
	v_fmac_f32_e32 v200, v197, v79
	v_add_f32_e32 v2, v2, v3
	v_mul_f32_e32 v3, v185, v68
	v_add_f32_e32 v66, v66, v200
	ds_read2_b64 v[200:203], v1 offset0:105 offset1:106
	v_fma_f32 v3, v184, v69, -v3
	v_add_f32_e32 v2, v2, v3
	v_mul_f32_e32 v3, v187, v71
	s_waitcnt vmcnt(36)
	v_mul_f32_e32 v204, v198, v82
	v_fma_f32 v3, v186, v70, -v3
	v_fmac_f32_e32 v204, v199, v75
	v_add_f32_e32 v2, v2, v3
	v_mul_f32_e32 v3, v189, v73
	v_add_f32_e32 v66, v66, v204
	ds_read2_b64 v[204:207], v1 offset0:107 offset1:108
	v_fma_f32 v3, v188, v72, -v3
	s_waitcnt vmcnt(34) lgkmcnt(1)
	v_mul_f32_e32 v208, v200, v85
	v_add_f32_e32 v2, v2, v3
	v_mul_f32_e32 v3, v191, v74
	v_fmac_f32_e32 v208, v201, v84
	v_fma_f32 v3, v190, v67, -v3
	v_add_f32_e32 v66, v66, v208
	s_waitcnt vmcnt(33)
	v_mul_f32_e32 v208, v202, v86
	v_add_f32_e32 v2, v2, v3
	v_mul_f32_e32 v3, v193, v77
	s_waitcnt vmcnt(30)
	v_fmac_f32_e32 v208, v203, v89
	v_fma_f32 v3, v192, v76, -v3
	v_add_f32_e32 v66, v66, v208
	s_waitcnt lgkmcnt(0)
	v_mul_f32_e32 v208, v204, v88
	v_add_f32_e32 v2, v2, v3
	v_mul_f32_e32 v3, v195, v78
	v_fmac_f32_e32 v208, v205, v87
	v_fma_f32 v3, v194, v81, -v3
	v_add_f32_e32 v66, v66, v208
	ds_read2_b64 v[208:211], v1 offset0:109 offset1:110
	v_add_f32_e32 v2, v2, v3
	v_mul_f32_e32 v3, v197, v80
	v_fma_f32 v3, v196, v79, -v3
	s_waitcnt vmcnt(28)
	v_mul_f32_e32 v212, v206, v91
	v_add_f32_e32 v2, v2, v3
	v_mul_f32_e32 v3, v199, v82
	v_fmac_f32_e32 v212, v207, v90
	v_fma_f32 v3, v198, v75, -v3
	v_add_f32_e32 v66, v66, v212
	ds_read2_b64 v[212:215], v1 offset0:111 offset1:112
	v_add_f32_e32 v2, v2, v3
	v_mul_f32_e32 v3, v201, v85
	s_waitcnt vmcnt(26) lgkmcnt(1)
	v_mul_f32_e32 v216, v208, v92
	v_fma_f32 v3, v200, v84, -v3
	v_fmac_f32_e32 v216, v209, v83
	v_add_f32_e32 v2, v2, v3
	v_mul_f32_e32 v3, v203, v86
	v_add_f32_e32 v66, v66, v216
	s_waitcnt vmcnt(25)
	v_mul_f32_e32 v216, v210, v93
	v_fma_f32 v3, v202, v89, -v3
	s_waitcnt vmcnt(22)
	v_fmac_f32_e32 v216, v211, v96
	v_add_f32_e32 v2, v2, v3
	v_mul_f32_e32 v3, v205, v88
	v_add_f32_e32 v66, v66, v216
	s_waitcnt lgkmcnt(0)
	v_mul_f32_e32 v216, v212, v95
	v_fma_f32 v3, v204, v87, -v3
	v_fmac_f32_e32 v216, v213, v94
	v_add_f32_e32 v2, v2, v3
	v_mul_f32_e32 v3, v207, v91
	v_add_f32_e32 v66, v66, v216
	ds_read2_b64 v[216:219], v1 offset0:113 offset1:114
	v_fma_f32 v3, v206, v90, -v3
	v_add_f32_e32 v2, v2, v3
	v_mul_f32_e32 v3, v209, v92
	s_waitcnt vmcnt(20)
	v_mul_f32_e32 v220, v214, v237
	v_fma_f32 v3, v208, v83, -v3
	v_fmac_f32_e32 v220, v215, v236
	v_add_f32_e32 v2, v2, v3
	v_mul_f32_e32 v3, v211, v93
	v_add_f32_e32 v66, v66, v220
	ds_read2_b64 v[220:223], v1 offset0:115 offset1:116
	v_fma_f32 v3, v210, v96, -v3
	s_waitcnt vmcnt(18) lgkmcnt(1)
	v_mul_f32_e32 v224, v216, v239
	v_add_f32_e32 v2, v2, v3
	v_mul_f32_e32 v3, v213, v95
	v_fmac_f32_e32 v224, v217, v238
	v_fma_f32 v3, v212, v94, -v3
	v_add_f32_e32 v66, v66, v224
	s_waitcnt vmcnt(17)
	v_mul_f32_e32 v224, v218, v240
	v_add_f32_e32 v2, v2, v3
	v_mul_f32_e32 v3, v215, v237
	s_waitcnt vmcnt(14)
	v_fmac_f32_e32 v224, v219, v243
	v_fma_f32 v3, v214, v236, -v3
	v_add_f32_e32 v66, v66, v224
	s_waitcnt lgkmcnt(0)
	v_mul_f32_e32 v224, v220, v242
	v_add_f32_e32 v2, v2, v3
	v_mul_f32_e32 v3, v217, v239
	v_fmac_f32_e32 v224, v221, v241
	v_fma_f32 v3, v216, v238, -v3
	v_add_f32_e32 v66, v66, v224
	ds_read2_b64 v[224:227], v1 offset0:117 offset1:118
	v_add_f32_e32 v2, v2, v3
	v_mul_f32_e32 v3, v219, v240
	v_fma_f32 v3, v218, v243, -v3
	v_add_f32_e32 v2, v2, v3
	v_mul_f32_e32 v3, v221, v242
	s_waitcnt vmcnt(12)
	v_mul_f32_e32 v228, v222, v245
	v_fma_f32 v3, v220, v241, -v3
	v_fmac_f32_e32 v228, v223, v244
	v_add_f32_e32 v2, v2, v3
	v_mul_f32_e32 v3, v223, v245
	v_add_f32_e32 v66, v66, v228
	ds_read2_b64 v[228:231], v1 offset0:119 offset1:120
	s_waitcnt vmcnt(10) lgkmcnt(1)
	v_mul_f32_e32 v232, v224, v247
	v_fma_f32 v3, v222, v244, -v3
	v_fmac_f32_e32 v232, v225, v246
	v_add_f32_e32 v2, v2, v3
	v_mul_f32_e32 v3, v225, v247
	v_add_f32_e32 v66, v66, v232
	s_waitcnt vmcnt(9)
	v_mul_f32_e32 v232, v226, v248
	v_fma_f32 v3, v224, v246, -v3
	s_waitcnt vmcnt(6)
	v_fmac_f32_e32 v232, v227, v251
	v_add_f32_e32 v2, v2, v3
	v_mul_f32_e32 v3, v227, v248
	v_add_f32_e32 v66, v66, v232
	ds_read2_b64 v[232:235], v1 offset0:121 offset1:122
	v_fma_f32 v3, v226, v251, -v3
	v_add_f32_e32 v2, v2, v3
	s_waitcnt lgkmcnt(1)
	v_mul_f32_e32 v3, v229, v250
	v_mul_f32_e32 v99, v228, v250
	v_fma_f32 v3, v228, v249, -v3
	v_fmac_f32_e32 v99, v229, v249
	v_add_f32_e32 v2, v2, v3
	s_waitcnt vmcnt(4)
	v_mul_f32_e32 v3, v231, v253
	v_add_f32_e32 v1, v66, v99
	v_mul_f32_e32 v66, v230, v253
	v_fma_f32 v3, v230, v252, -v3
	v_fmac_f32_e32 v66, v231, v252
	v_add_f32_e32 v2, v2, v3
	s_waitcnt vmcnt(3) lgkmcnt(0)
	v_mul_f32_e32 v3, v233, v254
	v_add_f32_e32 v1, v1, v66
	v_mul_f32_e32 v66, v232, v254
	s_waitcnt vmcnt(0)
	v_fma_f32 v3, v232, v98, -v3
	v_fmac_f32_e32 v66, v233, v98
	v_add_f32_e32 v2, v2, v3
	v_mul_f32_e32 v3, v235, v97
	v_add_f32_e32 v1, v1, v66
	v_mul_f32_e32 v66, v234, v97
	v_fma_f32 v3, v234, v255, -v3
	v_fmac_f32_e32 v66, v235, v255
	v_add_f32_e32 v2, v2, v3
	v_add_f32_e32 v1, v1, v66
	v_sub_f32_e32 v2, v9, v2
	v_sub_f32_e32 v1, v10, v1
	buffer_store_dword v2, off, s[0:3], 0 offset:80
	buffer_store_dword v1, off, s[0:3], 0 offset:84
	s_and_saveexec_b64 s[4:5], vcc
	s_cbranch_execz .LBB60_361
; %bb.360:
	buffer_load_dword v1, off, s[0:3], 0 offset:72
	buffer_load_dword v2, off, s[0:3], 0 offset:76
	v_mov_b32_e32 v3, 0
	buffer_store_dword v3, off, s[0:3], 0 offset:72
	buffer_store_dword v3, off, s[0:3], 0 offset:76
	s_waitcnt vmcnt(2)
	ds_write_b64 v147, v[1:2]
.LBB60_361:
	s_or_b64 exec, exec, s[4:5]
	s_waitcnt lgkmcnt(0)
	; wave barrier
	buffer_load_dword v10, off, s[0:3], 0 offset:84
	buffer_load_dword v9, off, s[0:3], 0 offset:92
	;; [unrolled: 1-line block ×40, first 2 shown]
	v_mov_b32_e32 v1, 0
	buffer_load_dword v58, off, s[0:3], 0 offset:232
	buffer_load_dword v59, off, s[0:3], 0 offset:236
	;; [unrolled: 1-line block ×10, first 2 shown]
	ds_read_b128 v[17:20], v1 offset:576
	ds_read_b128 v[21:24], v1 offset:592
	;; [unrolled: 1-line block ×7, first 2 shown]
	v_cmp_lt_u32_e32 vcc, 8, v0
	s_waitcnt vmcnt(49) lgkmcnt(6)
	v_mul_f32_e32 v31, v17, v10
	s_waitcnt vmcnt(48)
	v_mul_f32_e32 v32, v19, v9
	s_waitcnt vmcnt(47) lgkmcnt(5)
	v_mul_f32_e32 v68, v21, v6
	s_waitcnt vmcnt(46)
	v_mul_f32_e32 v69, v23, v5
	;; [unrolled: 4-line block ×6, first 2 shown]
	s_waitcnt vmcnt(37)
	v_fmac_f32_e32 v68, v22, v33
	s_waitcnt vmcnt(36)
	v_fmac_f32_e32 v32, v20, v34
	;; [unrolled: 2-line block ×3, first 2 shown]
	v_add_f32_e32 v31, 0, v31
	v_add_f32_e32 v31, v31, v32
	;; [unrolled: 1-line block ×3, first 2 shown]
	s_waitcnt vmcnt(31)
	v_fmac_f32_e32 v69, v24, v39
	v_fmac_f32_e32 v70, v28, v38
	v_add_f32_e32 v31, v31, v69
	buffer_load_dword v68, off, s[0:3], 0 offset:272
	buffer_load_dword v69, off, s[0:3], 0 offset:276
	v_fmac_f32_e32 v71, v30, v37
	v_add_f32_e32 v31, v31, v70
	v_fmac_f32_e32 v72, v149, v36
	v_add_f32_e32 v31, v31, v71
	s_waitcnt vmcnt(29)
	v_fmac_f32_e32 v73, v151, v42
	v_add_f32_e32 v31, v31, v72
	v_fmac_f32_e32 v74, v153, v41
	v_add_f32_e32 v31, v31, v73
	ds_read_b128 v[164:167], v1 offset:688
	buffer_load_dword v70, off, s[0:3], 0 offset:284
	buffer_load_dword v71, off, s[0:3], 0 offset:280
	;; [unrolled: 1-line block ×4, first 2 shown]
	v_fmac_f32_e32 v75, v155, v40
	v_add_f32_e32 v31, v31, v74
	v_add_f32_e32 v31, v31, v75
	ds_read_b128 v[168:171], v1 offset:704
	ds_read_b128 v[172:175], v1 offset:720
	buffer_load_dword v74, off, s[0:3], 0 offset:296
	buffer_load_dword v75, off, s[0:3], 0 offset:300
	v_fmac_f32_e32 v76, v157, v16
	v_add_f32_e32 v31, v31, v76
	s_waitcnt vmcnt(31)
	v_fmac_f32_e32 v77, v159, v46
	v_add_f32_e32 v31, v31, v77
	buffer_load_dword v76, off, s[0:3], 0 offset:304
	buffer_load_dword v77, off, s[0:3], 0 offset:308
	buffer_load_dword v78, off, s[0:3], 0 offset:316
	buffer_load_dword v79, off, s[0:3], 0 offset:320
	buffer_load_dword v80, off, s[0:3], 0 offset:324
	buffer_load_dword v81, off, s[0:3], 0 offset:312
	buffer_load_dword v82, off, s[0:3], 0 offset:328
	buffer_load_dword v83, off, s[0:3], 0 offset:332
	ds_read_b128 v[176:179], v1 offset:736
	buffer_load_dword v84, off, s[0:3], 0 offset:336
	buffer_load_dword v85, off, s[0:3], 0 offset:340
	;; [unrolled: 1-line block ×6, first 2 shown]
	ds_read_b128 v[180:183], v1 offset:752
	buffer_load_dword v90, off, s[0:3], 0 offset:360
	buffer_load_dword v91, off, s[0:3], 0 offset:364
	;; [unrolled: 1-line block ×10, first 2 shown]
	ds_read_b128 v[184:187], v1 offset:768
	buffer_load_dword v100, off, s[0:3], 0 offset:400
	buffer_load_dword v236, off, s[0:3], 0 offset:404
	buffer_load_dword v237, off, s[0:3], 0 offset:412
	buffer_load_dword v238, off, s[0:3], 0 offset:416
	buffer_load_dword v239, off, s[0:3], 0 offset:420
	buffer_load_dword v240, off, s[0:3], 0 offset:408
	ds_read_b128 v[188:191], v1 offset:784
	buffer_load_dword v241, off, s[0:3], 0 offset:424
	buffer_load_dword v242, off, s[0:3], 0 offset:428
	v_mul_f32_e32 v10, v18, v10
	v_fma_f32 v10, v17, v35, -v10
	v_mul_f32_e32 v9, v20, v9
	v_add_f32_e32 v10, 0, v10
	v_fma_f32 v9, v19, v34, -v9
	v_mul_f32_e32 v6, v22, v6
	v_add_f32_e32 v9, v10, v9
	v_fma_f32 v6, v21, v33, -v6
	v_mul_f32_e32 v5, v24, v5
	buffer_load_dword v243, off, s[0:3], 0 offset:432
	buffer_load_dword v244, off, s[0:3], 0 offset:436
	;; [unrolled: 1-line block ×6, first 2 shown]
	v_add_f32_e32 v6, v9, v6
	v_fma_f32 v5, v23, v39, -v5
	v_mul_f32_e32 v4, v28, v4
	v_add_f32_e32 v5, v6, v5
	v_fma_f32 v4, v27, v38, -v4
	v_mul_f32_e32 v3, v30, v3
	v_add_f32_e32 v4, v5, v4
	v_fma_f32 v3, v29, v37, -v3
	v_mul_f32_e32 v2, v149, v2
	buffer_load_dword v249, off, s[0:3], 0 offset:456
	buffer_load_dword v250, off, s[0:3], 0 offset:460
	v_add_f32_e32 v3, v4, v3
	v_fma_f32 v2, v148, v36, -v2
	v_add_f32_e32 v2, v3, v2
	v_mul_f32_e32 v3, v151, v11
	v_fma_f32 v3, v150, v42, -v3
	v_add_f32_e32 v2, v2, v3
	v_mul_f32_e32 v3, v153, v12
	;; [unrolled: 3-line block ×3, first 2 shown]
	buffer_load_dword v251, off, s[0:3], 0 offset:464
	buffer_load_dword v252, off, s[0:3], 0 offset:468
	;; [unrolled: 1-line block ×6, first 2 shown]
	v_fma_f32 v3, v154, v40, -v3
	v_add_f32_e32 v2, v2, v3
	v_mul_f32_e32 v3, v157, v14
	v_fma_f32 v3, v156, v16, -v3
	v_add_f32_e32 v2, v2, v3
	v_mul_f32_e32 v3, v159, v15
	s_waitcnt vmcnt(62) lgkmcnt(7)
	v_mul_f32_e32 v32, v160, v47
	v_fma_f32 v3, v158, v46, -v3
	v_fmac_f32_e32 v32, v161, v45
	v_add_f32_e32 v2, v2, v3
	v_mul_f32_e32 v3, v161, v47
	v_add_f32_e32 v31, v31, v32
	v_mul_f32_e32 v32, v162, v48
	v_fma_f32 v3, v160, v45, -v3
	v_fmac_f32_e32 v32, v163, v44
	v_add_f32_e32 v2, v2, v3
	v_mul_f32_e32 v3, v163, v48
	v_add_f32_e32 v31, v31, v32
	s_waitcnt lgkmcnt(6)
	v_mul_f32_e32 v32, v164, v49
	v_fma_f32 v3, v162, v44, -v3
	v_fmac_f32_e32 v32, v165, v43
	v_add_f32_e32 v2, v2, v3
	v_mul_f32_e32 v3, v165, v49
	v_add_f32_e32 v31, v31, v32
	v_mul_f32_e32 v32, v166, v50
	v_fma_f32 v3, v164, v43, -v3
	v_fmac_f32_e32 v32, v167, v57
	v_add_f32_e32 v2, v2, v3
	v_mul_f32_e32 v3, v167, v50
	v_add_f32_e32 v31, v31, v32
	s_waitcnt lgkmcnt(5)
	;; [unrolled: 13-line block ×3, first 2 shown]
	v_mul_f32_e32 v32, v172, v56
	v_fma_f32 v3, v170, v53, -v3
	v_fmac_f32_e32 v32, v173, v55
	v_add_f32_e32 v2, v2, v3
	v_mul_f32_e32 v3, v173, v56
	v_add_f32_e32 v31, v31, v32
	v_mul_f32_e32 v32, v174, v59
	v_fma_f32 v3, v172, v55, -v3
	v_fmac_f32_e32 v32, v175, v58
	v_add_f32_e32 v2, v2, v3
	v_mul_f32_e32 v3, v175, v59
	v_add_f32_e32 v31, v31, v32
	s_waitcnt vmcnt(60) lgkmcnt(3)
	v_mul_f32_e32 v32, v176, v61
	v_fma_f32 v3, v174, v58, -v3
	v_fmac_f32_e32 v32, v177, v60
	v_add_f32_e32 v2, v2, v3
	v_mul_f32_e32 v3, v177, v61
	v_add_f32_e32 v31, v31, v32
	s_waitcnt vmcnt(58)
	v_mul_f32_e32 v32, v178, v63
	v_fma_f32 v3, v176, v60, -v3
	v_fmac_f32_e32 v32, v179, v62
	v_add_f32_e32 v2, v2, v3
	v_mul_f32_e32 v3, v179, v63
	v_add_f32_e32 v31, v31, v32
	s_waitcnt vmcnt(56) lgkmcnt(2)
	v_mul_f32_e32 v32, v180, v65
	v_fma_f32 v3, v178, v62, -v3
	v_fmac_f32_e32 v32, v181, v64
	v_add_f32_e32 v2, v2, v3
	v_mul_f32_e32 v3, v181, v65
	v_add_f32_e32 v31, v31, v32
	s_waitcnt vmcnt(54)
	;; [unrolled: 14-line block ×3, first 2 shown]
	v_mul_f32_e32 v32, v186, v70
	v_fma_f32 v3, v184, v68, -v3
	s_waitcnt vmcnt(50)
	v_fmac_f32_e32 v32, v187, v71
	ds_read_b128 v[192:195], v1 offset:800
	ds_read_b128 v[196:199], v1 offset:816
	v_add_f32_e32 v2, v2, v3
	v_mul_f32_e32 v3, v187, v70
	v_add_f32_e32 v31, v31, v32
	s_waitcnt vmcnt(48) lgkmcnt(2)
	v_mul_f32_e32 v32, v188, v73
	v_fma_f32 v3, v186, v71, -v3
	v_fmac_f32_e32 v32, v189, v72
	v_add_f32_e32 v2, v2, v3
	v_mul_f32_e32 v3, v189, v73
	v_add_f32_e32 v31, v31, v32
	s_waitcnt vmcnt(46)
	v_mul_f32_e32 v32, v190, v75
	v_fma_f32 v3, v188, v72, -v3
	v_fmac_f32_e32 v32, v191, v74
	v_add_f32_e32 v2, v2, v3
	v_mul_f32_e32 v3, v191, v75
	v_add_f32_e32 v31, v31, v32
	s_waitcnt vmcnt(44) lgkmcnt(1)
	v_mul_f32_e32 v32, v192, v77
	v_fma_f32 v3, v190, v74, -v3
	v_fmac_f32_e32 v32, v193, v76
	v_add_f32_e32 v2, v2, v3
	v_mul_f32_e32 v3, v193, v77
	v_add_f32_e32 v31, v31, v32
	s_waitcnt vmcnt(43)
	v_mul_f32_e32 v32, v194, v78
	v_fma_f32 v3, v192, v76, -v3
	s_waitcnt vmcnt(40)
	v_fmac_f32_e32 v32, v195, v81
	ds_read_b128 v[200:203], v1 offset:832
	ds_read_b128 v[204:207], v1 offset:848
	v_add_f32_e32 v2, v2, v3
	v_mul_f32_e32 v3, v195, v78
	v_add_f32_e32 v31, v31, v32
	s_waitcnt lgkmcnt(2)
	v_mul_f32_e32 v32, v196, v80
	v_fma_f32 v3, v194, v81, -v3
	v_fmac_f32_e32 v32, v197, v79
	v_add_f32_e32 v2, v2, v3
	v_mul_f32_e32 v3, v197, v80
	v_add_f32_e32 v31, v31, v32
	s_waitcnt vmcnt(38)
	v_mul_f32_e32 v32, v198, v83
	v_fma_f32 v3, v196, v79, -v3
	v_fmac_f32_e32 v32, v199, v82
	v_add_f32_e32 v2, v2, v3
	v_mul_f32_e32 v3, v199, v83
	v_add_f32_e32 v31, v31, v32
	s_waitcnt vmcnt(36) lgkmcnt(1)
	v_mul_f32_e32 v32, v200, v85
	v_fma_f32 v3, v198, v82, -v3
	v_fmac_f32_e32 v32, v201, v84
	v_add_f32_e32 v2, v2, v3
	v_mul_f32_e32 v3, v201, v85
	v_add_f32_e32 v31, v31, v32
	s_waitcnt vmcnt(35)
	v_mul_f32_e32 v32, v202, v86
	v_fma_f32 v3, v200, v84, -v3
	s_waitcnt vmcnt(32)
	v_fmac_f32_e32 v32, v203, v89
	ds_read_b128 v[208:211], v1 offset:864
	ds_read_b128 v[212:215], v1 offset:880
	v_add_f32_e32 v2, v2, v3
	v_mul_f32_e32 v3, v203, v86
	v_add_f32_e32 v31, v31, v32
	s_waitcnt lgkmcnt(2)
	;; [unrolled: 31-line block ×4, first 2 shown]
	v_mul_f32_e32 v32, v220, v239
	v_fma_f32 v3, v218, v240, -v3
	v_fmac_f32_e32 v32, v221, v238
	v_add_f32_e32 v2, v2, v3
	v_mul_f32_e32 v3, v221, v239
	v_add_f32_e32 v31, v31, v32
	s_waitcnt vmcnt(14)
	v_mul_f32_e32 v32, v222, v242
	v_fma_f32 v3, v220, v238, -v3
	v_fmac_f32_e32 v32, v223, v241
	v_add_f32_e32 v2, v2, v3
	v_mul_f32_e32 v3, v223, v242
	v_add_f32_e32 v31, v31, v32
	s_waitcnt vmcnt(12) lgkmcnt(1)
	v_mul_f32_e32 v32, v224, v244
	v_fma_f32 v3, v222, v241, -v3
	v_fmac_f32_e32 v32, v225, v243
	v_add_f32_e32 v2, v2, v3
	v_mul_f32_e32 v3, v225, v244
	v_add_f32_e32 v31, v31, v32
	s_waitcnt vmcnt(11)
	v_mul_f32_e32 v32, v226, v245
	v_fma_f32 v3, v224, v243, -v3
	s_waitcnt vmcnt(8)
	v_fmac_f32_e32 v32, v227, v248
	v_add_f32_e32 v2, v2, v3
	v_mul_f32_e32 v3, v227, v245
	v_add_f32_e32 v31, v31, v32
	s_waitcnt lgkmcnt(0)
	v_mul_f32_e32 v32, v228, v247
	ds_read_b128 v[232:235], v1 offset:960
	v_fma_f32 v3, v226, v248, -v3
	v_fmac_f32_e32 v32, v229, v246
	v_add_f32_e32 v2, v2, v3
	v_mul_f32_e32 v3, v229, v247
	v_add_f32_e32 v31, v31, v32
	s_waitcnt vmcnt(6)
	v_mul_f32_e32 v32, v230, v250
	v_fma_f32 v3, v228, v246, -v3
	v_fmac_f32_e32 v32, v231, v249
	v_add_f32_e32 v2, v2, v3
	v_mul_f32_e32 v3, v231, v250
	v_add_f32_e32 v102, v31, v32
	ds_read_b64 v[31:32], v1 offset:976
	v_fma_f32 v3, v230, v249, -v3
	v_add_f32_e32 v2, v2, v3
	s_waitcnt vmcnt(4) lgkmcnt(1)
	v_mul_f32_e32 v3, v233, v252
	v_mul_f32_e32 v103, v232, v252
	v_fma_f32 v3, v232, v251, -v3
	v_fmac_f32_e32 v103, v233, v251
	v_add_f32_e32 v2, v2, v3
	s_waitcnt vmcnt(3)
	v_mul_f32_e32 v3, v235, v253
	v_add_f32_e32 v102, v102, v103
	v_mul_f32_e32 v103, v234, v253
	s_waitcnt vmcnt(0)
	v_fma_f32 v3, v234, v101, -v3
	v_fmac_f32_e32 v103, v235, v101
	v_add_f32_e32 v2, v2, v3
	s_waitcnt lgkmcnt(0)
	v_mul_f32_e32 v3, v32, v255
	v_add_f32_e32 v102, v102, v103
	v_mul_f32_e32 v103, v31, v255
	v_fma_f32 v3, v31, v254, -v3
	v_fmac_f32_e32 v103, v32, v254
	v_add_f32_e32 v2, v2, v3
	v_add_f32_e32 v102, v102, v103
	v_sub_f32_e32 v2, v7, v2
	v_sub_f32_e32 v3, v8, v102
	buffer_store_dword v2, off, s[0:3], 0 offset:72
	buffer_store_dword v3, off, s[0:3], 0 offset:76
	s_and_saveexec_b64 s[4:5], vcc
	s_cbranch_execz .LBB60_363
; %bb.362:
	buffer_load_dword v2, off, s[0:3], 0 offset:64
	buffer_load_dword v3, off, s[0:3], 0 offset:68
	s_waitcnt vmcnt(0)
	ds_write_b64 v147, v[2:3]
	buffer_store_dword v1, off, s[0:3], 0 offset:64
	buffer_store_dword v1, off, s[0:3], 0 offset:68
.LBB60_363:
	s_or_b64 exec, exec, s[4:5]
	s_waitcnt lgkmcnt(0)
	; wave barrier
	buffer_load_dword v10, off, s[0:3], 0 offset:76
	buffer_load_dword v7, off, s[0:3], 0 offset:84
	;; [unrolled: 1-line block ×40, first 2 shown]
	ds_read2_b64 v[27:30], v1 offset0:71 offset1:72
	ds_read2_b64 v[148:151], v1 offset0:73 offset1:74
	;; [unrolled: 1-line block ×6, first 2 shown]
	buffer_load_dword v48, off, s[0:3], 0 offset:224
	buffer_load_dword v49, off, s[0:3], 0 offset:228
	;; [unrolled: 1-line block ×12, first 2 shown]
	ds_read2_b64 v[168:171], v1 offset0:83 offset1:84
	ds_read2_b64 v[172:175], v1 offset0:85 offset1:86
	v_cmp_lt_u32_e32 vcc, 7, v0
	s_waitcnt vmcnt(51) lgkmcnt(7)
	v_mul_f32_e32 v60, v27, v10
	s_waitcnt vmcnt(50)
	v_mul_f32_e32 v61, v29, v7
	s_waitcnt vmcnt(49) lgkmcnt(6)
	v_mul_f32_e32 v62, v148, v6
	s_waitcnt vmcnt(48)
	v_mul_f32_e32 v63, v150, v5
	s_waitcnt vmcnt(47) lgkmcnt(5)
	v_mul_f32_e32 v64, v152, v4
	s_waitcnt vmcnt(46)
	v_mul_f32_e32 v65, v154, v3
	s_waitcnt vmcnt(45) lgkmcnt(4)
	v_mul_f32_e32 v66, v156, v2
	s_waitcnt vmcnt(44)
	v_mul_f32_e32 v67, v158, v11
	s_waitcnt vmcnt(43) lgkmcnt(3)
	v_mul_f32_e32 v68, v160, v12
	s_waitcnt vmcnt(42)
	v_mul_f32_e32 v69, v162, v13
	s_waitcnt vmcnt(41) lgkmcnt(2)
	v_mul_f32_e32 v70, v164, v14
	s_waitcnt vmcnt(40)
	v_fmac_f32_e32 v62, v149, v21
	s_waitcnt vmcnt(39)
	v_fmac_f32_e32 v61, v30, v24
	;; [unrolled: 2-line block ×3, first 2 shown]
	v_add_f32_e32 v60, 0, v60
	v_add_f32_e32 v60, v60, v61
	;; [unrolled: 1-line block ×3, first 2 shown]
	s_waitcnt vmcnt(34)
	v_fmac_f32_e32 v63, v151, v32
	v_fmac_f32_e32 v64, v153, v23
	v_add_f32_e32 v60, v60, v63
	buffer_load_dword v62, off, s[0:3], 0 offset:272
	buffer_load_dword v63, off, s[0:3], 0 offset:276
	v_fmac_f32_e32 v65, v155, v20
	v_add_f32_e32 v60, v60, v64
	v_add_f32_e32 v60, v60, v65
	buffer_load_dword v64, off, s[0:3], 0 offset:280
	buffer_load_dword v65, off, s[0:3], 0 offset:284
	v_fmac_f32_e32 v66, v157, v17
	s_waitcnt vmcnt(34)
	v_fmac_f32_e32 v67, v159, v22
	v_add_f32_e32 v60, v60, v66
	v_add_f32_e32 v60, v60, v67
	ds_read2_b64 v[176:179], v1 offset0:87 offset1:88
	buffer_load_dword v66, off, s[0:3], 0 offset:288
	buffer_load_dword v67, off, s[0:3], 0 offset:292
	v_fmac_f32_e32 v68, v161, v19
	v_fmac_f32_e32 v69, v163, v16
	v_add_f32_e32 v60, v60, v68
	v_fmac_f32_e32 v70, v165, v15
	v_add_f32_e32 v60, v60, v69
	s_waitcnt vmcnt(35)
	v_mul_f32_e32 v61, v166, v18
	v_add_f32_e32 v60, v60, v70
	s_waitcnt vmcnt(31)
	v_fmac_f32_e32 v61, v167, v36
	v_add_f32_e32 v60, v60, v61
	s_waitcnt vmcnt(30) lgkmcnt(2)
	v_mul_f32_e32 v61, v168, v37
	v_fmac_f32_e32 v61, v169, v35
	v_add_f32_e32 v60, v60, v61
	s_waitcnt vmcnt(29)
	v_mul_f32_e32 v61, v170, v38
	v_fmac_f32_e32 v61, v171, v34
	v_add_f32_e32 v60, v60, v61
	s_waitcnt vmcnt(28) lgkmcnt(1)
	v_mul_f32_e32 v61, v172, v39
	v_fmac_f32_e32 v61, v173, v33
	v_add_f32_e32 v60, v60, v61
	s_waitcnt vmcnt(27)
	v_mul_f32_e32 v61, v174, v40
	s_waitcnt vmcnt(21)
	v_fmac_f32_e32 v61, v175, v46
	ds_read2_b64 v[180:183], v1 offset0:89 offset1:90
	v_add_f32_e32 v60, v60, v61
	s_waitcnt vmcnt(20) lgkmcnt(1)
	v_mul_f32_e32 v61, v176, v47
	v_fmac_f32_e32 v61, v177, v45
	v_add_f32_e32 v60, v60, v61
	v_mul_f32_e32 v61, v178, v42
	v_fmac_f32_e32 v61, v179, v41
	v_add_f32_e32 v60, v60, v61
	s_waitcnt lgkmcnt(0)
	v_mul_f32_e32 v61, v180, v44
	v_fmac_f32_e32 v61, v181, v43
	v_add_f32_e32 v60, v60, v61
	buffer_load_dword v61, off, s[0:3], 0 offset:296
	buffer_load_dword v68, off, s[0:3], 0 offset:300
	;; [unrolled: 1-line block ×6, first 2 shown]
	s_waitcnt vmcnt(22)
	v_mul_f32_e32 v73, v182, v49
	v_fmac_f32_e32 v73, v183, v48
	ds_read2_b64 v[184:187], v1 offset0:91 offset1:92
	v_add_f32_e32 v60, v60, v73
	buffer_load_dword v73, off, s[0:3], 0 offset:320
	buffer_load_dword v74, off, s[0:3], 0 offset:324
	ds_read2_b64 v[188:191], v1 offset0:93 offset1:94
	buffer_load_dword v76, off, s[0:3], 0 offset:328
	buffer_load_dword v77, off, s[0:3], 0 offset:332
	;; [unrolled: 1-line block ×14, first 2 shown]
	s_waitcnt vmcnt(36) lgkmcnt(1)
	v_mul_f32_e32 v75, v184, v51
	v_fmac_f32_e32 v75, v185, v50
	v_add_f32_e32 v60, v60, v75
	s_waitcnt vmcnt(34)
	v_mul_f32_e32 v75, v186, v53
	buffer_load_dword v90, off, s[0:3], 0 offset:384
	buffer_load_dword v91, off, s[0:3], 0 offset:388
	v_fmac_f32_e32 v75, v187, v52
	v_add_f32_e32 v60, v60, v75
	s_waitcnt vmcnt(34) lgkmcnt(0)
	v_mul_f32_e32 v75, v188, v55
	v_fmac_f32_e32 v75, v189, v54
	v_add_f32_e32 v60, v60, v75
	s_waitcnt vmcnt(32)
	v_mul_f32_e32 v75, v190, v57
	ds_read2_b64 v[192:195], v1 offset0:95 offset1:96
	v_fmac_f32_e32 v75, v191, v56
	v_add_f32_e32 v60, v60, v75
	buffer_load_dword v75, off, s[0:3], 0 offset:392
	buffer_load_dword v92, off, s[0:3], 0 offset:396
	;; [unrolled: 1-line block ×6, first 2 shown]
	ds_read2_b64 v[196:199], v1 offset0:97 offset1:98
	s_waitcnt vmcnt(36) lgkmcnt(1)
	v_mul_f32_e32 v97, v192, v59
	v_fmac_f32_e32 v97, v193, v58
	v_add_f32_e32 v60, v60, v97
	buffer_load_dword v97, off, s[0:3], 0 offset:416
	buffer_load_dword v98, off, s[0:3], 0 offset:420
	v_mul_f32_e32 v10, v28, v10
	v_fma_f32 v10, v27, v31, -v10
	v_mul_f32_e32 v7, v30, v7
	buffer_load_dword v100, off, s[0:3], 0 offset:424
	buffer_load_dword v101, off, s[0:3], 0 offset:428
	;; [unrolled: 1-line block ×6, first 2 shown]
	v_add_f32_e32 v10, 0, v10
	v_fma_f32 v7, v29, v24, -v7
	v_mul_f32_e32 v6, v149, v6
	v_add_f32_e32 v7, v10, v7
	s_waitcnt vmcnt(42)
	v_mul_f32_e32 v99, v194, v63
	v_fma_f32 v6, v148, v21, -v6
	v_mul_f32_e32 v5, v151, v5
	v_fmac_f32_e32 v99, v195, v62
	v_add_f32_e32 v6, v7, v6
	v_fma_f32 v5, v150, v32, -v5
	v_mul_f32_e32 v4, v153, v4
	v_add_f32_e32 v60, v60, v99
	s_waitcnt vmcnt(40) lgkmcnt(0)
	v_mul_f32_e32 v99, v196, v65
	v_add_f32_e32 v5, v6, v5
	v_fma_f32 v4, v152, v23, -v4
	v_mul_f32_e32 v3, v155, v3
	v_fmac_f32_e32 v99, v197, v64
	v_add_f32_e32 v4, v5, v4
	v_fma_f32 v3, v154, v20, -v3
	v_mul_f32_e32 v2, v157, v2
	v_add_f32_e32 v60, v60, v99
	buffer_load_dword v99, off, s[0:3], 0 offset:448
	buffer_load_dword v249, off, s[0:3], 0 offset:452
	v_add_f32_e32 v3, v4, v3
	v_fma_f32 v2, v156, v17, -v2
	v_add_f32_e32 v2, v3, v2
	v_mul_f32_e32 v3, v159, v11
	v_fma_f32 v3, v158, v22, -v3
	v_add_f32_e32 v2, v2, v3
	v_mul_f32_e32 v3, v161, v12
	;; [unrolled: 3-line block ×3, first 2 shown]
	buffer_load_dword v250, off, s[0:3], 0 offset:456
	buffer_load_dword v251, off, s[0:3], 0 offset:460
	;; [unrolled: 1-line block ×6, first 2 shown]
	v_fma_f32 v3, v162, v16, -v3
	s_waitcnt vmcnt(46)
	v_mul_f32_e32 v204, v198, v67
	v_add_f32_e32 v2, v2, v3
	v_mul_f32_e32 v3, v165, v14
	v_fmac_f32_e32 v204, v199, v66
	v_fma_f32 v3, v164, v15, -v3
	ds_read2_b64 v[200:203], v1 offset0:99 offset1:100
	v_add_f32_e32 v60, v60, v204
	ds_read2_b64 v[204:207], v1 offset0:101 offset1:102
	buffer_load_dword v105, off, s[0:3], 0 offset:480
	buffer_load_dword v106, off, s[0:3], 0 offset:484
	v_add_f32_e32 v2, v2, v3
	v_mul_f32_e32 v3, v167, v18
	v_fma_f32 v3, v166, v36, -v3
	v_add_f32_e32 v2, v2, v3
	v_mul_f32_e32 v3, v169, v37
	v_fma_f32 v3, v168, v35, -v3
	v_add_f32_e32 v2, v2, v3
	v_mul_f32_e32 v3, v171, v38
	v_fma_f32 v3, v170, v34, -v3
	v_add_f32_e32 v2, v2, v3
	v_mul_f32_e32 v3, v173, v39
	v_fma_f32 v3, v172, v33, -v3
	v_add_f32_e32 v2, v2, v3
	v_mul_f32_e32 v3, v175, v40
	v_fma_f32 v3, v174, v46, -v3
	v_add_f32_e32 v2, v2, v3
	v_mul_f32_e32 v3, v177, v47
	v_fma_f32 v3, v176, v45, -v3
	v_add_f32_e32 v2, v2, v3
	v_mul_f32_e32 v3, v179, v42
	v_fma_f32 v3, v178, v41, -v3
	v_add_f32_e32 v2, v2, v3
	v_mul_f32_e32 v3, v181, v44
	v_fma_f32 v3, v180, v43, -v3
	v_add_f32_e32 v2, v2, v3
	v_mul_f32_e32 v3, v183, v49
	v_fma_f32 v3, v182, v48, -v3
	v_add_f32_e32 v2, v2, v3
	v_mul_f32_e32 v3, v185, v51
	s_waitcnt vmcnt(46) lgkmcnt(1)
	v_mul_f32_e32 v208, v200, v68
	v_fma_f32 v3, v184, v50, -v3
	v_fmac_f32_e32 v208, v201, v61
	v_add_f32_e32 v2, v2, v3
	v_mul_f32_e32 v3, v187, v53
	v_add_f32_e32 v60, v60, v208
	s_waitcnt vmcnt(45)
	v_mul_f32_e32 v208, v202, v69
	v_fma_f32 v3, v186, v52, -v3
	s_waitcnt vmcnt(42)
	v_fmac_f32_e32 v208, v203, v72
	v_add_f32_e32 v2, v2, v3
	v_mul_f32_e32 v3, v189, v55
	v_add_f32_e32 v60, v60, v208
	s_waitcnt lgkmcnt(0)
	v_mul_f32_e32 v208, v204, v71
	v_fma_f32 v3, v188, v54, -v3
	v_fmac_f32_e32 v208, v205, v70
	v_add_f32_e32 v2, v2, v3
	v_mul_f32_e32 v3, v191, v57
	v_add_f32_e32 v60, v60, v208
	ds_read2_b64 v[208:211], v1 offset0:103 offset1:104
	v_fma_f32 v3, v190, v56, -v3
	v_add_f32_e32 v2, v2, v3
	v_mul_f32_e32 v3, v193, v59
	s_waitcnt vmcnt(40)
	v_mul_f32_e32 v212, v206, v74
	v_fma_f32 v3, v192, v58, -v3
	v_fmac_f32_e32 v212, v207, v73
	v_add_f32_e32 v2, v2, v3
	v_mul_f32_e32 v3, v195, v63
	v_add_f32_e32 v60, v60, v212
	ds_read2_b64 v[212:215], v1 offset0:105 offset1:106
	v_fma_f32 v3, v194, v62, -v3
	s_waitcnt vmcnt(38) lgkmcnt(1)
	v_mul_f32_e32 v216, v208, v77
	v_add_f32_e32 v2, v2, v3
	v_mul_f32_e32 v3, v197, v65
	v_fmac_f32_e32 v216, v209, v76
	v_fma_f32 v3, v196, v64, -v3
	v_add_f32_e32 v60, v60, v216
	s_waitcnt vmcnt(37)
	v_mul_f32_e32 v216, v210, v78
	v_add_f32_e32 v2, v2, v3
	v_mul_f32_e32 v3, v199, v67
	s_waitcnt vmcnt(34)
	v_fmac_f32_e32 v216, v211, v81
	v_fma_f32 v3, v198, v66, -v3
	v_add_f32_e32 v60, v60, v216
	s_waitcnt lgkmcnt(0)
	v_mul_f32_e32 v216, v212, v80
	v_add_f32_e32 v2, v2, v3
	v_mul_f32_e32 v3, v201, v68
	v_fmac_f32_e32 v216, v213, v79
	v_fma_f32 v3, v200, v61, -v3
	v_add_f32_e32 v60, v60, v216
	ds_read2_b64 v[216:219], v1 offset0:107 offset1:108
	v_add_f32_e32 v2, v2, v3
	v_mul_f32_e32 v3, v203, v69
	v_fma_f32 v3, v202, v72, -v3
	s_waitcnt vmcnt(32)
	v_mul_f32_e32 v220, v214, v83
	v_add_f32_e32 v2, v2, v3
	v_mul_f32_e32 v3, v205, v71
	v_fmac_f32_e32 v220, v215, v82
	v_fma_f32 v3, v204, v70, -v3
	v_add_f32_e32 v60, v60, v220
	ds_read2_b64 v[220:223], v1 offset0:109 offset1:110
	v_add_f32_e32 v2, v2, v3
	v_mul_f32_e32 v3, v207, v74
	s_waitcnt vmcnt(30) lgkmcnt(1)
	v_mul_f32_e32 v224, v216, v85
	v_fma_f32 v3, v206, v73, -v3
	v_fmac_f32_e32 v224, v217, v84
	v_add_f32_e32 v2, v2, v3
	v_mul_f32_e32 v3, v209, v77
	v_add_f32_e32 v60, v60, v224
	s_waitcnt vmcnt(29)
	v_mul_f32_e32 v224, v218, v86
	v_fma_f32 v3, v208, v76, -v3
	s_waitcnt vmcnt(26)
	v_fmac_f32_e32 v224, v219, v89
	v_add_f32_e32 v2, v2, v3
	v_mul_f32_e32 v3, v211, v78
	v_add_f32_e32 v60, v60, v224
	s_waitcnt lgkmcnt(0)
	v_mul_f32_e32 v224, v220, v88
	v_fma_f32 v3, v210, v81, -v3
	v_fmac_f32_e32 v224, v221, v87
	v_add_f32_e32 v2, v2, v3
	v_mul_f32_e32 v3, v213, v80
	v_add_f32_e32 v60, v60, v224
	ds_read2_b64 v[224:227], v1 offset0:111 offset1:112
	v_fma_f32 v3, v212, v79, -v3
	v_add_f32_e32 v2, v2, v3
	v_mul_f32_e32 v3, v215, v83
	s_waitcnt vmcnt(24)
	v_mul_f32_e32 v228, v222, v91
	v_fma_f32 v3, v214, v82, -v3
	v_fmac_f32_e32 v228, v223, v90
	v_add_f32_e32 v2, v2, v3
	v_mul_f32_e32 v3, v217, v85
	v_add_f32_e32 v60, v60, v228
	ds_read2_b64 v[228:231], v1 offset0:113 offset1:114
	v_fma_f32 v3, v216, v84, -v3
	s_waitcnt vmcnt(22) lgkmcnt(1)
	v_mul_f32_e32 v232, v224, v92
	v_add_f32_e32 v2, v2, v3
	v_mul_f32_e32 v3, v219, v86
	v_fmac_f32_e32 v232, v225, v75
	v_fma_f32 v3, v218, v89, -v3
	v_add_f32_e32 v60, v60, v232
	s_waitcnt vmcnt(21)
	v_mul_f32_e32 v232, v226, v93
	v_add_f32_e32 v2, v2, v3
	v_mul_f32_e32 v3, v221, v88
	s_waitcnt vmcnt(18)
	v_fmac_f32_e32 v232, v227, v96
	v_fma_f32 v3, v220, v87, -v3
	v_add_f32_e32 v60, v60, v232
	s_waitcnt lgkmcnt(0)
	v_mul_f32_e32 v232, v228, v95
	v_add_f32_e32 v2, v2, v3
	v_mul_f32_e32 v3, v223, v91
	v_fmac_f32_e32 v232, v229, v94
	v_fma_f32 v3, v222, v90, -v3
	v_add_f32_e32 v60, v60, v232
	ds_read2_b64 v[232:235], v1 offset0:115 offset1:116
	v_add_f32_e32 v2, v2, v3
	v_mul_f32_e32 v3, v225, v92
	v_fma_f32 v3, v224, v75, -v3
	s_waitcnt vmcnt(16)
	v_mul_f32_e32 v236, v230, v98
	v_add_f32_e32 v2, v2, v3
	v_mul_f32_e32 v3, v227, v93
	v_fmac_f32_e32 v236, v231, v97
	v_fma_f32 v3, v226, v96, -v3
	v_add_f32_e32 v60, v60, v236
	ds_read2_b64 v[236:239], v1 offset0:117 offset1:118
	v_add_f32_e32 v2, v2, v3
	v_mul_f32_e32 v3, v229, v95
	s_waitcnt vmcnt(14) lgkmcnt(1)
	v_mul_f32_e32 v240, v232, v101
	v_fma_f32 v3, v228, v94, -v3
	v_fmac_f32_e32 v240, v233, v100
	v_add_f32_e32 v2, v2, v3
	v_mul_f32_e32 v3, v231, v98
	v_add_f32_e32 v60, v60, v240
	s_waitcnt vmcnt(13)
	v_mul_f32_e32 v240, v234, v102
	v_fma_f32 v3, v230, v97, -v3
	s_waitcnt vmcnt(10)
	v_fmac_f32_e32 v240, v235, v248
	v_add_f32_e32 v2, v2, v3
	v_mul_f32_e32 v3, v233, v101
	v_add_f32_e32 v60, v60, v240
	s_waitcnt lgkmcnt(0)
	v_mul_f32_e32 v240, v236, v104
	v_fma_f32 v3, v232, v100, -v3
	v_fmac_f32_e32 v240, v237, v103
	v_add_f32_e32 v2, v2, v3
	v_mul_f32_e32 v3, v235, v102
	v_add_f32_e32 v60, v60, v240
	ds_read2_b64 v[240:243], v1 offset0:119 offset1:120
	v_fma_f32 v3, v234, v248, -v3
	v_add_f32_e32 v2, v2, v3
	v_mul_f32_e32 v3, v237, v104
	s_waitcnt vmcnt(8)
	v_mul_f32_e32 v244, v238, v249
	v_fma_f32 v3, v236, v103, -v3
	v_fmac_f32_e32 v244, v239, v99
	v_add_f32_e32 v2, v2, v3
	v_mul_f32_e32 v3, v239, v249
	v_add_f32_e32 v60, v60, v244
	ds_read2_b64 v[244:247], v1 offset0:121 offset1:122
	v_fma_f32 v3, v238, v99, -v3
	v_add_f32_e32 v2, v2, v3
	s_waitcnt vmcnt(6) lgkmcnt(1)
	v_mul_f32_e32 v3, v241, v251
	v_mul_f32_e32 v1, v240, v251
	v_fma_f32 v3, v240, v250, -v3
	v_fmac_f32_e32 v1, v241, v250
	v_add_f32_e32 v2, v2, v3
	s_waitcnt vmcnt(5)
	v_mul_f32_e32 v3, v243, v252
	v_add_f32_e32 v1, v60, v1
	v_mul_f32_e32 v60, v242, v252
	s_waitcnt vmcnt(2)
	v_fma_f32 v3, v242, v255, -v3
	v_fmac_f32_e32 v60, v243, v255
	v_add_f32_e32 v2, v2, v3
	s_waitcnt lgkmcnt(0)
	v_mul_f32_e32 v3, v245, v254
	v_add_f32_e32 v1, v1, v60
	v_mul_f32_e32 v60, v244, v254
	v_fma_f32 v3, v244, v253, -v3
	v_fmac_f32_e32 v60, v245, v253
	v_add_f32_e32 v2, v2, v3
	s_waitcnt vmcnt(0)
	v_mul_f32_e32 v3, v247, v106
	v_add_f32_e32 v1, v1, v60
	v_mul_f32_e32 v60, v246, v106
	v_fma_f32 v3, v246, v105, -v3
	v_fmac_f32_e32 v60, v247, v105
	v_add_f32_e32 v2, v2, v3
	v_add_f32_e32 v1, v1, v60
	v_sub_f32_e32 v2, v8, v2
	v_sub_f32_e32 v1, v9, v1
	buffer_store_dword v2, off, s[0:3], 0 offset:64
	buffer_store_dword v1, off, s[0:3], 0 offset:68
	s_and_saveexec_b64 s[4:5], vcc
	s_cbranch_execz .LBB60_365
; %bb.364:
	buffer_load_dword v1, off, s[0:3], 0 offset:56
	buffer_load_dword v2, off, s[0:3], 0 offset:60
	v_mov_b32_e32 v3, 0
	buffer_store_dword v3, off, s[0:3], 0 offset:56
	buffer_store_dword v3, off, s[0:3], 0 offset:60
	s_waitcnt vmcnt(2)
	ds_write_b64 v147, v[1:2]
.LBB60_365:
	s_or_b64 exec, exec, s[4:5]
	s_waitcnt lgkmcnt(0)
	; wave barrier
	buffer_load_dword v10, off, s[0:3], 0 offset:68
	buffer_load_dword v9, off, s[0:3], 0 offset:76
	;; [unrolled: 1-line block ×40, first 2 shown]
	v_mov_b32_e32 v1, 0
	buffer_load_dword v45, off, s[0:3], 0 offset:216
	buffer_load_dword v46, off, s[0:3], 0 offset:220
	;; [unrolled: 1-line block ×11, first 2 shown]
	ds_read_b128 v[27:30], v1 offset:560
	ds_read_b128 v[161:164], v1 offset:576
	;; [unrolled: 1-line block ×8, first 2 shown]
	v_cmp_lt_u32_e32 vcc, 6, v0
	s_waitcnt vmcnt(50) lgkmcnt(7)
	v_mul_f32_e32 v31, v27, v10
	s_waitcnt vmcnt(49)
	v_mul_f32_e32 v32, v29, v9
	s_waitcnt vmcnt(48) lgkmcnt(6)
	v_mul_f32_e32 v33, v161, v8
	s_waitcnt vmcnt(47)
	v_mul_f32_e32 v34, v163, v7
	;; [unrolled: 4-line block ×5, first 2 shown]
	s_waitcnt vmcnt(40) lgkmcnt(2)
	v_mul_f32_e32 v56, v177, v14
	s_waitcnt vmcnt(39)
	v_fmac_f32_e32 v33, v162, v21
	s_waitcnt vmcnt(38)
	v_fmac_f32_e32 v32, v30, v24
	s_waitcnt vmcnt(37)
	v_fmac_f32_e32 v31, v28, v149
	v_add_f32_e32 v31, 0, v31
	v_add_f32_e32 v31, v31, v32
	;; [unrolled: 1-line block ×3, first 2 shown]
	s_waitcnt vmcnt(33)
	v_fmac_f32_e32 v34, v164, v148
	v_fmac_f32_e32 v35, v166, v23
	v_add_f32_e32 v31, v31, v34
	v_fmac_f32_e32 v36, v168, v20
	v_add_f32_e32 v31, v31, v35
	;; [unrolled: 2-line block ×3, first 2 shown]
	s_waitcnt vmcnt(29)
	v_fmac_f32_e32 v38, v172, v22
	v_add_f32_e32 v31, v31, v37
	v_fmac_f32_e32 v39, v174, v19
	v_add_f32_e32 v31, v31, v38
	;; [unrolled: 2-line block ×4, first 2 shown]
	v_add_f32_e32 v31, v31, v56
	buffer_load_dword v56, off, s[0:3], 0 offset:256
	buffer_load_dword v57, off, s[0:3], 0 offset:264
	;; [unrolled: 1-line block ×5, first 2 shown]
	ds_read_b128 v[189:192], v1 offset:688
	buffer_load_dword v61, off, s[0:3], 0 offset:280
	buffer_load_dword v62, off, s[0:3], 0 offset:284
	ds_read_b128 v[193:196], v1 offset:704
	buffer_load_dword v63, off, s[0:3], 0 offset:288
	buffer_load_dword v64, off, s[0:3], 0 offset:292
	;; [unrolled: 3-line block ×3, first 2 shown]
	buffer_load_dword v67, off, s[0:3], 0 offset:308
	buffer_load_dword v68, off, s[0:3], 0 offset:296
	ds_read_b128 v[201:204], v1 offset:736
	buffer_load_dword v69, off, s[0:3], 0 offset:312
	buffer_load_dword v70, off, s[0:3], 0 offset:316
	;; [unrolled: 1-line block ×16, first 2 shown]
	ds_read_b128 v[205:208], v1 offset:752
	buffer_load_dword v85, off, s[0:3], 0 offset:376
	buffer_load_dword v86, off, s[0:3], 0 offset:380
	ds_read_b128 v[209:212], v1 offset:768
	buffer_load_dword v87, off, s[0:3], 0 offset:384
	buffer_load_dword v88, off, s[0:3], 0 offset:388
	;; [unrolled: 1-line block ×8, first 2 shown]
	v_mul_f32_e32 v10, v28, v10
	buffer_load_dword v95, off, s[0:3], 0 offset:416
	buffer_load_dword v96, off, s[0:3], 0 offset:420
	;; [unrolled: 1-line block ×6, first 2 shown]
	v_fma_f32 v10, v27, v149, -v10
	v_mul_f32_e32 v9, v30, v9
	v_add_f32_e32 v10, 0, v10
	v_fma_f32 v9, v29, v24, -v9
	v_mul_f32_e32 v8, v162, v8
	v_add_f32_e32 v9, v10, v9
	;; [unrolled: 3-line block ×5, first 2 shown]
	v_fma_f32 v5, v167, v20, -v5
	v_mul_f32_e32 v4, v170, v4
	buffer_load_dword v101, off, s[0:3], 0 offset:440
	buffer_load_dword v102, off, s[0:3], 0 offset:444
	v_add_f32_e32 v5, v6, v5
	v_fma_f32 v4, v169, v17, -v4
	v_add_f32_e32 v4, v5, v4
	v_mul_f32_e32 v5, v172, v11
	v_fma_f32 v5, v171, v22, -v5
	v_add_f32_e32 v4, v4, v5
	v_mul_f32_e32 v5, v174, v12
	v_fma_f32 v5, v173, v19, -v5
	s_waitcnt vmcnt(62)
	v_mul_f32_e32 v32, v179, v18
	ds_read_b128 v[213:216], v1 offset:784
	buffer_load_dword v103, off, s[0:3], 0 offset:448
	buffer_load_dword v104, off, s[0:3], 0 offset:452
	;; [unrolled: 1-line block ×6, first 2 shown]
	v_add_f32_e32 v4, v4, v5
	v_mul_f32_e32 v5, v176, v13
	v_fmac_f32_e32 v32, v180, v156
	v_fma_f32 v5, v175, v16, -v5
	v_add_f32_e32 v31, v31, v32
	s_waitcnt lgkmcnt(8)
	v_mul_f32_e32 v32, v181, v155
	v_add_f32_e32 v4, v4, v5
	v_mul_f32_e32 v5, v178, v14
	v_fmac_f32_e32 v32, v182, v153
	v_fma_f32 v5, v177, v15, -v5
	v_add_f32_e32 v31, v31, v32
	v_mul_f32_e32 v32, v183, v154
	v_add_f32_e32 v4, v4, v5
	v_mul_f32_e32 v5, v180, v18
	v_fmac_f32_e32 v32, v184, v151
	ds_read_b128 v[217:220], v1 offset:800
	buffer_load_dword v255, off, s[0:3], 0 offset:476
	buffer_load_dword v107, off, s[0:3], 0 offset:480
	;; [unrolled: 1-line block ×4, first 2 shown]
	v_fma_f32 v5, v179, v156, -v5
	v_add_f32_e32 v31, v31, v32
	s_waitcnt lgkmcnt(8)
	v_mul_f32_e32 v32, v185, v152
	v_add_f32_e32 v4, v4, v5
	v_mul_f32_e32 v5, v182, v155
	v_fmac_f32_e32 v32, v186, v150
	v_fma_f32 v5, v181, v153, -v5
	v_add_f32_e32 v31, v31, v32
	v_mul_f32_e32 v32, v187, v157
	v_add_f32_e32 v4, v4, v5
	v_mul_f32_e32 v5, v184, v154
	s_waitcnt vmcnt(62)
	v_fmac_f32_e32 v32, v188, v44
	v_fma_f32 v5, v183, v151, -v5
	v_add_f32_e32 v31, v31, v32
	s_waitcnt lgkmcnt(7)
	v_mul_f32_e32 v32, v189, v159
	v_add_f32_e32 v4, v4, v5
	v_mul_f32_e32 v5, v186, v152
	v_fmac_f32_e32 v32, v190, v158
	v_fma_f32 v5, v185, v150, -v5
	v_add_f32_e32 v31, v31, v32
	v_mul_f32_e32 v32, v191, v41
	v_add_f32_e32 v4, v4, v5
	v_mul_f32_e32 v5, v188, v157
	v_fmac_f32_e32 v32, v192, v160
	v_fma_f32 v5, v187, v44, -v5
	v_add_f32_e32 v31, v31, v32
	s_waitcnt lgkmcnt(6)
	v_mul_f32_e32 v32, v193, v43
	v_add_f32_e32 v4, v4, v5
	v_mul_f32_e32 v5, v190, v159
	v_fmac_f32_e32 v32, v194, v42
	v_fma_f32 v5, v189, v158, -v5
	v_add_f32_e32 v31, v31, v32
	v_mul_f32_e32 v32, v195, v46
	v_add_f32_e32 v4, v4, v5
	v_mul_f32_e32 v5, v192, v41
	;; [unrolled: 13-line block ×3, first 2 shown]
	v_fmac_f32_e32 v32, v200, v49
	v_fma_f32 v5, v195, v45, -v5
	v_add_f32_e32 v31, v31, v32
	s_waitcnt vmcnt(60) lgkmcnt(4)
	v_mul_f32_e32 v32, v201, v52
	v_add_f32_e32 v4, v4, v5
	v_mul_f32_e32 v5, v198, v48
	v_fmac_f32_e32 v32, v202, v51
	v_fma_f32 v5, v197, v47, -v5
	v_add_f32_e32 v31, v31, v32
	s_waitcnt vmcnt(58)
	v_mul_f32_e32 v32, v203, v54
	v_add_f32_e32 v4, v4, v5
	v_mul_f32_e32 v5, v200, v50
	v_fmac_f32_e32 v32, v204, v53
	v_fma_f32 v5, v199, v49, -v5
	v_add_f32_e32 v31, v31, v32
	s_waitcnt vmcnt(57) lgkmcnt(3)
	v_mul_f32_e32 v32, v205, v55
	v_add_f32_e32 v4, v4, v5
	v_mul_f32_e32 v5, v202, v52
	s_waitcnt vmcnt(56)
	v_fmac_f32_e32 v32, v206, v56
	v_fma_f32 v5, v201, v51, -v5
	v_add_f32_e32 v31, v31, v32
	s_waitcnt vmcnt(54)
	v_mul_f32_e32 v32, v207, v58
	v_add_f32_e32 v4, v4, v5
	v_mul_f32_e32 v5, v204, v54
	v_fmac_f32_e32 v32, v208, v57
	v_fma_f32 v5, v203, v53, -v5
	v_add_f32_e32 v31, v31, v32
	s_waitcnt vmcnt(52) lgkmcnt(2)
	v_mul_f32_e32 v32, v209, v60
	v_add_f32_e32 v4, v4, v5
	v_mul_f32_e32 v5, v206, v55
	v_fmac_f32_e32 v32, v210, v59
	v_fma_f32 v5, v205, v56, -v5
	v_add_f32_e32 v31, v31, v32
	s_waitcnt vmcnt(50)
	v_mul_f32_e32 v32, v211, v62
	v_add_f32_e32 v4, v4, v5
	v_mul_f32_e32 v5, v208, v58
	v_fmac_f32_e32 v32, v212, v61
	v_fma_f32 v5, v207, v57, -v5
	v_add_f32_e32 v31, v31, v32
	s_waitcnt vmcnt(48) lgkmcnt(1)
	v_mul_f32_e32 v32, v213, v64
	v_add_f32_e32 v4, v4, v5
	v_mul_f32_e32 v5, v210, v60
	v_fmac_f32_e32 v32, v214, v63
	v_fma_f32 v5, v209, v59, -v5
	v_add_f32_e32 v31, v31, v32
	s_waitcnt vmcnt(47)
	v_mul_f32_e32 v32, v215, v65
	v_add_f32_e32 v4, v4, v5
	v_mul_f32_e32 v5, v212, v62
	s_waitcnt vmcnt(44)
	v_fmac_f32_e32 v32, v216, v68
	ds_read_b128 v[221:224], v1 offset:816
	ds_read_b128 v[225:228], v1 offset:832
	v_fma_f32 v5, v211, v61, -v5
	v_add_f32_e32 v31, v31, v32
	s_waitcnt lgkmcnt(2)
	v_mul_f32_e32 v32, v217, v67
	v_add_f32_e32 v4, v4, v5
	v_mul_f32_e32 v5, v214, v64
	v_fmac_f32_e32 v32, v218, v66
	v_fma_f32 v5, v213, v63, -v5
	v_add_f32_e32 v31, v31, v32
	s_waitcnt vmcnt(42)
	v_mul_f32_e32 v32, v219, v70
	v_add_f32_e32 v4, v4, v5
	v_mul_f32_e32 v5, v216, v65
	v_fmac_f32_e32 v32, v220, v69
	v_fma_f32 v5, v215, v68, -v5
	v_add_f32_e32 v31, v31, v32
	s_waitcnt vmcnt(40) lgkmcnt(1)
	v_mul_f32_e32 v32, v221, v72
	v_add_f32_e32 v4, v4, v5
	v_mul_f32_e32 v5, v218, v67
	v_fmac_f32_e32 v32, v222, v71
	v_fma_f32 v5, v217, v66, -v5
	v_add_f32_e32 v31, v31, v32
	s_waitcnt vmcnt(39)
	v_mul_f32_e32 v32, v223, v73
	v_add_f32_e32 v4, v4, v5
	v_mul_f32_e32 v5, v220, v70
	s_waitcnt vmcnt(36)
	v_fmac_f32_e32 v32, v224, v76
	ds_read_b128 v[229:232], v1 offset:848
	ds_read_b128 v[233:236], v1 offset:864
	v_fma_f32 v5, v219, v69, -v5
	v_add_f32_e32 v31, v31, v32
	s_waitcnt lgkmcnt(2)
	;; [unrolled: 31-line block ×4, first 2 shown]
	v_mul_f32_e32 v32, v241, v91
	v_add_f32_e32 v4, v4, v5
	v_mul_f32_e32 v5, v238, v88
	v_fmac_f32_e32 v32, v242, v90
	v_fma_f32 v5, v237, v87, -v5
	v_add_f32_e32 v31, v31, v32
	s_waitcnt vmcnt(18)
	v_mul_f32_e32 v32, v243, v94
	v_add_f32_e32 v4, v4, v5
	v_mul_f32_e32 v5, v240, v89
	v_fmac_f32_e32 v32, v244, v93
	v_fma_f32 v5, v239, v92, -v5
	v_add_f32_e32 v31, v31, v32
	s_waitcnt vmcnt(16) lgkmcnt(1)
	v_mul_f32_e32 v32, v245, v96
	v_add_f32_e32 v4, v4, v5
	v_mul_f32_e32 v5, v242, v91
	v_fmac_f32_e32 v32, v246, v95
	v_fma_f32 v5, v241, v90, -v5
	v_add_f32_e32 v31, v31, v32
	s_waitcnt vmcnt(15)
	v_mul_f32_e32 v32, v247, v97
	v_add_f32_e32 v4, v4, v5
	v_mul_f32_e32 v5, v244, v94
	s_waitcnt vmcnt(12)
	v_fmac_f32_e32 v32, v248, v100
	v_fma_f32 v5, v243, v93, -v5
	v_add_f32_e32 v31, v31, v32
	s_waitcnt lgkmcnt(0)
	v_mul_f32_e32 v32, v249, v99
	v_add_f32_e32 v4, v4, v5
	v_mul_f32_e32 v5, v246, v96
	v_fmac_f32_e32 v32, v250, v98
	v_fma_f32 v5, v245, v95, -v5
	v_add_f32_e32 v35, v31, v32
	ds_read_b128 v[31:34], v1 offset:944
	v_add_f32_e32 v4, v4, v5
	v_mul_f32_e32 v5, v248, v97
	v_fma_f32 v5, v247, v100, -v5
	v_add_f32_e32 v4, v4, v5
	v_mul_f32_e32 v5, v250, v99
	s_waitcnt vmcnt(10)
	v_mul_f32_e32 v36, v251, v102
	v_fma_f32 v5, v249, v98, -v5
	v_fmac_f32_e32 v36, v252, v101
	v_add_f32_e32 v4, v4, v5
	v_mul_f32_e32 v5, v252, v102
	v_add_f32_e32 v39, v35, v36
	ds_read_b128 v[35:38], v1 offset:960
	s_waitcnt vmcnt(8) lgkmcnt(1)
	v_mul_f32_e32 v40, v31, v104
	v_fma_f32 v5, v251, v101, -v5
	v_fmac_f32_e32 v40, v32, v103
	v_add_f32_e32 v4, v4, v5
	v_mul_f32_e32 v5, v32, v104
	v_add_f32_e32 v39, v39, v40
	s_waitcnt vmcnt(7)
	v_mul_f32_e32 v40, v33, v105
	v_fma_f32 v5, v31, v103, -v5
	s_waitcnt vmcnt(4)
	v_fmac_f32_e32 v40, v34, v254
	v_add_f32_e32 v4, v4, v5
	v_mul_f32_e32 v5, v34, v105
	v_add_f32_e32 v110, v39, v40
	ds_read_b64 v[39:40], v1 offset:976
	v_fma_f32 v5, v33, v254, -v5
	v_add_f32_e32 v4, v4, v5
	s_waitcnt lgkmcnt(1)
	v_mul_f32_e32 v5, v36, v253
	v_mul_f32_e32 v111, v35, v253
	v_fma_f32 v5, v35, v106, -v5
	v_fmac_f32_e32 v111, v36, v106
	v_add_f32_e32 v4, v4, v5
	s_waitcnt vmcnt(3)
	v_mul_f32_e32 v5, v38, v255
	v_add_f32_e32 v110, v110, v111
	v_mul_f32_e32 v111, v37, v255
	s_waitcnt vmcnt(0)
	v_fma_f32 v5, v37, v109, -v5
	v_fmac_f32_e32 v111, v38, v109
	v_add_f32_e32 v4, v4, v5
	s_waitcnt lgkmcnt(0)
	v_mul_f32_e32 v5, v40, v108
	v_add_f32_e32 v110, v110, v111
	v_mul_f32_e32 v111, v39, v108
	v_fma_f32 v5, v39, v107, -v5
	v_fmac_f32_e32 v111, v40, v107
	v_add_f32_e32 v4, v4, v5
	v_add_f32_e32 v110, v110, v111
	v_sub_f32_e32 v2, v2, v4
	v_sub_f32_e32 v3, v3, v110
	buffer_store_dword v2, off, s[0:3], 0 offset:56
	buffer_store_dword v3, off, s[0:3], 0 offset:60
	s_and_saveexec_b64 s[4:5], vcc
	s_cbranch_execz .LBB60_367
; %bb.366:
	buffer_load_dword v2, off, s[0:3], 0 offset:48
	buffer_load_dword v3, off, s[0:3], 0 offset:52
	s_waitcnt vmcnt(0)
	ds_write_b64 v147, v[2:3]
	buffer_store_dword v1, off, s[0:3], 0 offset:48
	buffer_store_dword v1, off, s[0:3], 0 offset:52
.LBB60_367:
	s_or_b64 exec, exec, s[4:5]
	s_waitcnt lgkmcnt(0)
	; wave barrier
	buffer_load_dword v10, off, s[0:3], 0 offset:60
	buffer_load_dword v9, off, s[0:3], 0 offset:68
	;; [unrolled: 1-line block ×40, first 2 shown]
	ds_read2_b64 v[27:30], v1 offset0:69 offset1:70
	ds_read2_b64 v[31:34], v1 offset0:71 offset1:72
	;; [unrolled: 1-line block ×6, first 2 shown]
	buffer_load_dword v46, off, s[0:3], 0 offset:208
	buffer_load_dword v47, off, s[0:3], 0 offset:212
	;; [unrolled: 1-line block ×12, first 2 shown]
	ds_read2_b64 v[170:173], v1 offset0:81 offset1:82
	ds_read2_b64 v[174:177], v1 offset0:83 offset1:84
	v_cmp_lt_u32_e32 vcc, 5, v0
	s_waitcnt vmcnt(51) lgkmcnt(7)
	v_mul_f32_e32 v58, v27, v10
	s_waitcnt vmcnt(50)
	v_mul_f32_e32 v59, v29, v9
	s_waitcnt vmcnt(49) lgkmcnt(6)
	v_mul_f32_e32 v60, v31, v8
	s_waitcnt vmcnt(48)
	v_mul_f32_e32 v61, v33, v7
	s_waitcnt vmcnt(47) lgkmcnt(5)
	v_mul_f32_e32 v62, v35, v6
	s_waitcnt vmcnt(46)
	v_mul_f32_e32 v63, v37, v3
	s_waitcnt vmcnt(45) lgkmcnt(4)
	v_mul_f32_e32 v64, v158, v2
	s_waitcnt vmcnt(44)
	v_mul_f32_e32 v65, v160, v11
	s_waitcnt vmcnt(43) lgkmcnt(3)
	v_mul_f32_e32 v66, v162, v12
	s_waitcnt vmcnt(42)
	v_mul_f32_e32 v67, v164, v13
	s_waitcnt vmcnt(41) lgkmcnt(2)
	v_mul_f32_e32 v68, v166, v14
	s_waitcnt vmcnt(40)
	v_fmac_f32_e32 v60, v32, v21
	s_waitcnt vmcnt(39)
	v_fmac_f32_e32 v59, v30, v24
	;; [unrolled: 2-line block ×3, first 2 shown]
	v_add_f32_e32 v58, 0, v58
	v_add_f32_e32 v58, v58, v59
	;; [unrolled: 1-line block ×3, first 2 shown]
	s_waitcnt vmcnt(34)
	v_fmac_f32_e32 v61, v34, v148
	v_fmac_f32_e32 v62, v36, v23
	v_add_f32_e32 v58, v58, v61
	v_fmac_f32_e32 v63, v38, v20
	v_add_f32_e32 v58, v58, v62
	;; [unrolled: 2-line block ×3, first 2 shown]
	s_waitcnt vmcnt(30)
	v_fmac_f32_e32 v65, v161, v22
	v_add_f32_e32 v58, v58, v64
	v_fmac_f32_e32 v66, v163, v19
	v_add_f32_e32 v58, v58, v65
	;; [unrolled: 2-line block ×4, first 2 shown]
	s_waitcnt vmcnt(29)
	v_mul_f32_e32 v59, v168, v18
	v_add_f32_e32 v58, v58, v68
	s_waitcnt vmcnt(25)
	v_fmac_f32_e32 v59, v169, v156
	v_add_f32_e32 v58, v58, v59
	s_waitcnt vmcnt(24) lgkmcnt(1)
	v_mul_f32_e32 v59, v170, v155
	buffer_load_dword v60, off, s[0:3], 0 offset:260
	buffer_load_dword v61, off, s[0:3], 0 offset:256
	;; [unrolled: 1-line block ×4, first 2 shown]
	v_fmac_f32_e32 v59, v171, v153
	v_add_f32_e32 v58, v58, v59
	s_waitcnt vmcnt(27)
	v_mul_f32_e32 v59, v172, v154
	v_fmac_f32_e32 v59, v173, v151
	v_add_f32_e32 v58, v58, v59
	buffer_load_dword v59, off, s[0:3], 0 offset:272
	buffer_load_dword v64, off, s[0:3], 0 offset:276
	ds_read2_b64 v[178:181], v1 offset0:85 offset1:86
	ds_read2_b64 v[182:185], v1 offset0:87 offset1:88
	s_waitcnt vmcnt(28) lgkmcnt(2)
	v_mul_f32_e32 v65, v174, v152
	v_fmac_f32_e32 v65, v175, v150
	v_add_f32_e32 v58, v58, v65
	s_waitcnt vmcnt(27)
	v_mul_f32_e32 v65, v176, v157
	s_waitcnt vmcnt(21)
	v_fmac_f32_e32 v65, v177, v44
	v_add_f32_e32 v58, v58, v65
	s_waitcnt vmcnt(20) lgkmcnt(1)
	v_mul_f32_e32 v65, v178, v45
	v_fmac_f32_e32 v65, v179, v43
	v_add_f32_e32 v58, v58, v65
	v_mul_f32_e32 v65, v180, v40
	buffer_load_dword v66, off, s[0:3], 0 offset:284
	v_fmac_f32_e32 v65, v181, v39
	buffer_load_dword v67, off, s[0:3], 0 offset:280
	buffer_load_dword v68, off, s[0:3], 0 offset:288
	;; [unrolled: 1-line block ×3, first 2 shown]
	ds_read2_b64 v[186:189], v1 offset0:89 offset1:90
	v_add_f32_e32 v58, v58, v65
	s_waitcnt lgkmcnt(1)
	v_mul_f32_e32 v65, v182, v42
	v_fmac_f32_e32 v65, v183, v41
	v_add_f32_e32 v58, v58, v65
	s_waitcnt vmcnt(20)
	v_mul_f32_e32 v65, v184, v47
	v_fmac_f32_e32 v65, v185, v46
	buffer_load_dword v70, off, s[0:3], 0 offset:296
	buffer_load_dword v71, off, s[0:3], 0 offset:300
	v_add_f32_e32 v58, v58, v65
	s_waitcnt vmcnt(20) lgkmcnt(0)
	v_mul_f32_e32 v65, v186, v49
	v_fmac_f32_e32 v65, v187, v48
	ds_read2_b64 v[190:193], v1 offset0:91 offset1:92
	v_add_f32_e32 v58, v58, v65
	buffer_load_dword v65, off, s[0:3], 0 offset:304
	buffer_load_dword v72, off, s[0:3], 0 offset:308
	s_waitcnt vmcnt(20)
	v_mul_f32_e32 v73, v188, v51
	v_fmac_f32_e32 v73, v189, v50
	buffer_load_dword v74, off, s[0:3], 0 offset:312
	buffer_load_dword v75, off, s[0:3], 0 offset:316
	;; [unrolled: 1-line block ×6, first 2 shown]
	v_add_f32_e32 v58, v58, v73
	s_waitcnt vmcnt(24) lgkmcnt(0)
	v_mul_f32_e32 v73, v190, v53
	v_fmac_f32_e32 v73, v191, v52
	v_add_f32_e32 v58, v58, v73
	buffer_load_dword v73, off, s[0:3], 0 offset:336
	buffer_load_dword v80, off, s[0:3], 0 offset:340
	ds_read2_b64 v[194:197], v1 offset0:93 offset1:94
	buffer_load_dword v82, off, s[0:3], 0 offset:344
	buffer_load_dword v83, off, s[0:3], 0 offset:348
	buffer_load_dword v84, off, s[0:3], 0 offset:356
	buffer_load_dword v85, off, s[0:3], 0 offset:360
	buffer_load_dword v86, off, s[0:3], 0 offset:364
	buffer_load_dword v87, off, s[0:3], 0 offset:352
	ds_read2_b64 v[198:201], v1 offset0:95 offset1:96
	buffer_load_dword v88, off, s[0:3], 0 offset:368
	buffer_load_dword v89, off, s[0:3], 0 offset:372
	s_waitcnt vmcnt(32)
	v_mul_f32_e32 v81, v192, v55
	v_fmac_f32_e32 v81, v193, v54
	v_add_f32_e32 v58, v58, v81
	s_waitcnt vmcnt(30) lgkmcnt(1)
	v_mul_f32_e32 v81, v194, v57
	v_fmac_f32_e32 v81, v195, v56
	v_add_f32_e32 v58, v58, v81
	buffer_load_dword v81, off, s[0:3], 0 offset:376
	buffer_load_dword v90, off, s[0:3], 0 offset:380
	;; [unrolled: 1-line block ×8, first 2 shown]
	v_mul_f32_e32 v10, v28, v10
	v_fma_f32 v10, v27, v149, -v10
	v_mul_f32_e32 v9, v30, v9
	v_add_f32_e32 v10, 0, v10
	v_fma_f32 v9, v29, v24, -v9
	v_mul_f32_e32 v8, v32, v8
	v_add_f32_e32 v9, v10, v9
	;; [unrolled: 3-line block ×6, first 2 shown]
	v_fma_f32 v2, v158, v17, -v2
	v_add_f32_e32 v2, v3, v2
	s_waitcnt vmcnt(37)
	v_mul_f32_e32 v95, v196, v60
	s_waitcnt vmcnt(36)
	v_fmac_f32_e32 v95, v197, v61
	v_add_f32_e32 v58, v58, v95
	s_waitcnt vmcnt(34) lgkmcnt(0)
	v_mul_f32_e32 v95, v198, v63
	v_fmac_f32_e32 v95, v199, v62
	v_add_f32_e32 v58, v58, v95
	buffer_load_dword v95, off, s[0:3], 0 offset:408
	buffer_load_dword v98, off, s[0:3], 0 offset:412
	;; [unrolled: 1-line block ×6, first 2 shown]
	ds_read2_b64 v[202:205], v1 offset0:97 offset1:98
	v_mul_f32_e32 v3, v161, v11
	s_waitcnt vmcnt(38)
	v_mul_f32_e32 v103, v200, v64
	v_fmac_f32_e32 v103, v201, v59
	v_add_f32_e32 v58, v58, v103
	buffer_load_dword v103, off, s[0:3], 0 offset:432
	buffer_load_dword v104, off, s[0:3], 0 offset:436
	v_fma_f32 v3, v160, v22, -v3
	v_add_f32_e32 v2, v2, v3
	v_mul_f32_e32 v3, v163, v12
	v_fma_f32 v3, v162, v19, -v3
	v_add_f32_e32 v2, v2, v3
	v_mul_f32_e32 v3, v165, v13
	ds_read2_b64 v[206:209], v1 offset0:99 offset1:100
	buffer_load_dword v106, off, s[0:3], 0 offset:440
	buffer_load_dword v107, off, s[0:3], 0 offset:444
	;; [unrolled: 1-line block ×6, first 2 shown]
	v_fma_f32 v3, v164, v16, -v3
	v_add_f32_e32 v2, v2, v3
	v_mul_f32_e32 v3, v167, v14
	v_fma_f32 v3, v166, v15, -v3
	v_add_f32_e32 v2, v2, v3
	v_mul_f32_e32 v3, v169, v18
	v_fma_f32 v3, v168, v156, -v3
	v_add_f32_e32 v2, v2, v3
	v_mul_f32_e32 v3, v171, v155
	buffer_load_dword v112, off, s[0:3], 0 offset:464
	buffer_load_dword v254, off, s[0:3], 0 offset:468
	;; [unrolled: 1-line block ×6, first 2 shown]
	v_fma_f32 v3, v170, v153, -v3
	v_add_f32_e32 v2, v2, v3
	v_mul_f32_e32 v3, v173, v154
	v_fma_f32 v3, v172, v151, -v3
	v_add_f32_e32 v2, v2, v3
	v_mul_f32_e32 v3, v175, v152
	;; [unrolled: 3-line block ×15, first 2 shown]
	v_fma_f32 v3, v200, v59, -v3
	v_add_f32_e32 v2, v2, v3
	s_waitcnt vmcnt(51) lgkmcnt(1)
	v_mul_f32_e32 v3, v203, v66
	v_mul_f32_e32 v105, v202, v66
	s_waitcnt vmcnt(50)
	v_fma_f32 v3, v202, v67, -v3
	v_fmac_f32_e32 v105, v203, v67
	v_add_f32_e32 v2, v2, v3
	s_waitcnt vmcnt(48)
	v_mul_f32_e32 v3, v205, v69
	v_add_f32_e32 v58, v58, v105
	v_mul_f32_e32 v105, v204, v69
	ds_read2_b64 v[210:213], v1 offset0:101 offset1:102
	ds_read2_b64 v[214:217], v1 offset0:103 offset1:104
	v_fma_f32 v3, v204, v68, -v3
	v_fmac_f32_e32 v105, v205, v68
	v_add_f32_e32 v2, v2, v3
	s_waitcnt vmcnt(46) lgkmcnt(2)
	v_mul_f32_e32 v3, v207, v71
	v_add_f32_e32 v58, v58, v105
	v_mul_f32_e32 v105, v206, v71
	v_fma_f32 v3, v206, v70, -v3
	v_fmac_f32_e32 v105, v207, v70
	v_add_f32_e32 v2, v2, v3
	s_waitcnt vmcnt(44)
	v_mul_f32_e32 v3, v209, v72
	v_add_f32_e32 v58, v58, v105
	v_mul_f32_e32 v105, v208, v72
	v_fma_f32 v3, v208, v65, -v3
	v_fmac_f32_e32 v105, v209, v65
	v_add_f32_e32 v2, v2, v3
	s_waitcnt vmcnt(42) lgkmcnt(1)
	v_mul_f32_e32 v3, v211, v75
	v_add_f32_e32 v58, v58, v105
	v_mul_f32_e32 v105, v210, v75
	v_fma_f32 v3, v210, v74, -v3
	v_fmac_f32_e32 v105, v211, v74
	v_add_f32_e32 v2, v2, v3
	s_waitcnt vmcnt(41)
	v_mul_f32_e32 v3, v213, v76
	v_add_f32_e32 v58, v58, v105
	v_mul_f32_e32 v105, v212, v76
	ds_read2_b64 v[218:221], v1 offset0:105 offset1:106
	ds_read2_b64 v[222:225], v1 offset0:107 offset1:108
	s_waitcnt vmcnt(38)
	v_fma_f32 v3, v212, v79, -v3
	v_fmac_f32_e32 v105, v213, v79
	v_add_f32_e32 v2, v2, v3
	s_waitcnt lgkmcnt(2)
	v_mul_f32_e32 v3, v215, v78
	v_add_f32_e32 v58, v58, v105
	v_mul_f32_e32 v105, v214, v78
	v_fma_f32 v3, v214, v77, -v3
	v_fmac_f32_e32 v105, v215, v77
	v_add_f32_e32 v2, v2, v3
	s_waitcnt vmcnt(36)
	v_mul_f32_e32 v3, v217, v80
	v_add_f32_e32 v58, v58, v105
	v_mul_f32_e32 v105, v216, v80
	v_fma_f32 v3, v216, v73, -v3
	v_fmac_f32_e32 v105, v217, v73
	v_add_f32_e32 v2, v2, v3
	s_waitcnt vmcnt(34) lgkmcnt(1)
	v_mul_f32_e32 v3, v219, v83
	v_add_f32_e32 v58, v58, v105
	v_mul_f32_e32 v105, v218, v83
	v_fma_f32 v3, v218, v82, -v3
	v_fmac_f32_e32 v105, v219, v82
	v_add_f32_e32 v2, v2, v3
	s_waitcnt vmcnt(33)
	v_mul_f32_e32 v3, v221, v84
	v_add_f32_e32 v58, v58, v105
	v_mul_f32_e32 v105, v220, v84
	ds_read2_b64 v[226:229], v1 offset0:109 offset1:110
	ds_read2_b64 v[230:233], v1 offset0:111 offset1:112
	s_waitcnt vmcnt(30)
	v_fma_f32 v3, v220, v87, -v3
	v_fmac_f32_e32 v105, v221, v87
	v_add_f32_e32 v2, v2, v3
	s_waitcnt lgkmcnt(2)
	;; [unrolled: 31-line block ×4, first 2 shown]
	v_mul_f32_e32 v3, v239, v101
	v_add_f32_e32 v58, v58, v105
	v_mul_f32_e32 v105, v238, v101
	v_fma_f32 v3, v238, v100, -v3
	v_fmac_f32_e32 v105, v239, v100
	v_add_f32_e32 v2, v2, v3
	s_waitcnt vmcnt(12)
	v_mul_f32_e32 v3, v241, v104
	v_add_f32_e32 v58, v58, v105
	v_mul_f32_e32 v105, v240, v104
	v_fma_f32 v3, v240, v103, -v3
	v_fmac_f32_e32 v105, v241, v103
	v_add_f32_e32 v2, v2, v3
	s_waitcnt vmcnt(10) lgkmcnt(1)
	v_mul_f32_e32 v3, v243, v107
	v_add_f32_e32 v58, v58, v105
	v_mul_f32_e32 v105, v242, v107
	v_fma_f32 v3, v242, v106, -v3
	v_fmac_f32_e32 v105, v243, v106
	v_add_f32_e32 v2, v2, v3
	s_waitcnt vmcnt(9)
	v_mul_f32_e32 v3, v245, v108
	v_add_f32_e32 v58, v58, v105
	v_mul_f32_e32 v105, v244, v108
	ds_read2_b64 v[250:253], v1 offset0:121 offset1:122
	s_waitcnt vmcnt(6)
	v_fma_f32 v3, v244, v111, -v3
	v_fmac_f32_e32 v105, v245, v111
	v_add_f32_e32 v2, v2, v3
	s_waitcnt lgkmcnt(1)
	v_mul_f32_e32 v3, v247, v110
	v_add_f32_e32 v58, v58, v105
	v_mul_f32_e32 v105, v246, v110
	v_fma_f32 v3, v246, v109, -v3
	v_fmac_f32_e32 v105, v247, v109
	v_add_f32_e32 v2, v2, v3
	s_waitcnt vmcnt(4)
	v_mul_f32_e32 v3, v249, v254
	v_add_f32_e32 v1, v58, v105
	v_mul_f32_e32 v58, v248, v254
	v_fma_f32 v3, v248, v112, -v3
	v_fmac_f32_e32 v58, v249, v112
	v_add_f32_e32 v2, v2, v3
	s_waitcnt vmcnt(3) lgkmcnt(0)
	v_mul_f32_e32 v3, v251, v255
	v_add_f32_e32 v1, v1, v58
	v_mul_f32_e32 v58, v250, v255
	s_waitcnt vmcnt(0)
	v_fma_f32 v3, v250, v115, -v3
	v_fmac_f32_e32 v58, v251, v115
	v_add_f32_e32 v2, v2, v3
	v_mul_f32_e32 v3, v253, v114
	v_add_f32_e32 v1, v1, v58
	v_mul_f32_e32 v58, v252, v114
	v_fma_f32 v3, v252, v113, -v3
	v_fmac_f32_e32 v58, v253, v113
	v_add_f32_e32 v2, v2, v3
	v_add_f32_e32 v1, v1, v58
	v_sub_f32_e32 v2, v4, v2
	v_sub_f32_e32 v1, v5, v1
	buffer_store_dword v2, off, s[0:3], 0 offset:48
	buffer_store_dword v1, off, s[0:3], 0 offset:52
	s_and_saveexec_b64 s[4:5], vcc
	s_cbranch_execz .LBB60_369
; %bb.368:
	buffer_load_dword v1, off, s[0:3], 0 offset:40
	buffer_load_dword v2, off, s[0:3], 0 offset:44
	v_mov_b32_e32 v3, 0
	buffer_store_dword v3, off, s[0:3], 0 offset:40
	buffer_store_dword v3, off, s[0:3], 0 offset:44
	s_waitcnt vmcnt(2)
	ds_write_b64 v147, v[1:2]
.LBB60_369:
	s_or_b64 exec, exec, s[4:5]
	s_waitcnt lgkmcnt(0)
	; wave barrier
	buffer_load_dword v10, off, s[0:3], 0 offset:52
	buffer_load_dword v9, off, s[0:3], 0 offset:60
	buffer_load_dword v8, off, s[0:3], 0 offset:68
	buffer_load_dword v7, off, s[0:3], 0 offset:76
	buffer_load_dword v6, off, s[0:3], 0 offset:84
	buffer_load_dword v5, off, s[0:3], 0 offset:92
	buffer_load_dword v4, off, s[0:3], 0 offset:100
	buffer_load_dword v11, off, s[0:3], 0 offset:108
	buffer_load_dword v12, off, s[0:3], 0 offset:116
	buffer_load_dword v13, off, s[0:3], 0 offset:124
	buffer_load_dword v14, off, s[0:3], 0 offset:132
	buffer_load_dword v21, off, s[0:3], 0 offset:64
	buffer_load_dword v24, off, s[0:3], 0 offset:56
	buffer_load_dword v149, off, s[0:3], 0 offset:48
	buffer_load_dword v17, off, s[0:3], 0 offset:96
	buffer_load_dword v20, off, s[0:3], 0 offset:88
	buffer_load_dword v23, off, s[0:3], 0 offset:80
	buffer_load_dword v148, off, s[0:3], 0 offset:72
	buffer_load_dword v15, off, s[0:3], 0 offset:128
	buffer_load_dword v16, off, s[0:3], 0 offset:120
	buffer_load_dword v19, off, s[0:3], 0 offset:112
	buffer_load_dword v22, off, s[0:3], 0 offset:104
	buffer_load_dword v18, off, s[0:3], 0 offset:140
	buffer_load_dword v150, off, s[0:3], 0 offset:160
	buffer_load_dword v151, off, s[0:3], 0 offset:164
	buffer_load_dword v152, off, s[0:3], 0 offset:152
	buffer_load_dword v153, off, s[0:3], 0 offset:144
	buffer_load_dword v157, off, s[0:3], 0 offset:136
	buffer_load_dword v155, off, s[0:3], 0 offset:148
	buffer_load_dword v154, off, s[0:3], 0 offset:156
	buffer_load_dword v156, off, s[0:3], 0 offset:172
	buffer_load_dword v158, off, s[0:3], 0 offset:176
	buffer_load_dword v159, off, s[0:3], 0 offset:180
	buffer_load_dword v160, off, s[0:3], 0 offset:184
	buffer_load_dword v161, off, s[0:3], 0 offset:188
	buffer_load_dword v162, off, s[0:3], 0 offset:192
	buffer_load_dword v163, off, s[0:3], 0 offset:196
	buffer_load_dword v45, off, s[0:3], 0 offset:168
	buffer_load_dword v2, off, s[0:3], 0 offset:40
	buffer_load_dword v3, off, s[0:3], 0 offset:44
	v_mov_b32_e32 v1, 0
	buffer_load_dword v46, off, s[0:3], 0 offset:200
	buffer_load_dword v47, off, s[0:3], 0 offset:204
	;; [unrolled: 1-line block ×12, first 2 shown]
	ds_read_b128 v[27:30], v1 offset:544
	ds_read_b128 v[31:34], v1 offset:560
	;; [unrolled: 1-line block ×6, first 2 shown]
	v_cmp_lt_u32_e32 vcc, 4, v0
	s_waitcnt vmcnt(51) lgkmcnt(5)
	v_mul_f32_e32 v39, v27, v10
	s_waitcnt vmcnt(50)
	v_mul_f32_e32 v40, v29, v9
	s_waitcnt vmcnt(49) lgkmcnt(4)
	v_mul_f32_e32 v41, v31, v8
	s_waitcnt vmcnt(48)
	v_mul_f32_e32 v42, v33, v7
	;; [unrolled: 4-line block ×5, first 2 shown]
	s_waitcnt vmcnt(41) lgkmcnt(0)
	v_mul_f32_e32 v62, v172, v14
	s_waitcnt vmcnt(40)
	v_fmac_f32_e32 v41, v32, v21
	s_waitcnt vmcnt(39)
	v_fmac_f32_e32 v40, v30, v24
	;; [unrolled: 2-line block ×3, first 2 shown]
	v_add_f32_e32 v39, 0, v39
	v_add_f32_e32 v39, v39, v40
	;; [unrolled: 1-line block ×3, first 2 shown]
	s_waitcnt vmcnt(34)
	v_fmac_f32_e32 v42, v34, v148
	v_fmac_f32_e32 v43, v36, v23
	v_add_f32_e32 v39, v39, v42
	v_fmac_f32_e32 v44, v38, v20
	v_add_f32_e32 v39, v39, v43
	;; [unrolled: 2-line block ×3, first 2 shown]
	s_waitcnt vmcnt(30)
	v_fmac_f32_e32 v59, v167, v22
	v_add_f32_e32 v39, v39, v58
	v_fmac_f32_e32 v60, v169, v19
	v_add_f32_e32 v39, v39, v59
	buffer_load_dword v58, off, s[0:3], 0 offset:248
	buffer_load_dword v59, off, s[0:3], 0 offset:252
	v_fmac_f32_e32 v61, v171, v16
	v_add_f32_e32 v39, v39, v60
	v_add_f32_e32 v39, v39, v61
	ds_read_b128 v[176:179], v1 offset:640
	buffer_load_dword v60, off, s[0:3], 0 offset:256
	buffer_load_dword v61, off, s[0:3], 0 offset:260
	v_fmac_f32_e32 v62, v173, v15
	v_add_f32_e32 v39, v39, v62
	ds_read_b128 v[180:183], v1 offset:656
	buffer_load_dword v62, off, s[0:3], 0 offset:264
	buffer_load_dword v63, off, s[0:3], 0 offset:268
	ds_read_b128 v[184:187], v1 offset:672
	buffer_load_dword v64, off, s[0:3], 0 offset:272
	buffer_load_dword v65, off, s[0:3], 0 offset:276
	ds_read_b128 v[188:191], v1 offset:688
	buffer_load_dword v66, off, s[0:3], 0 offset:284
	buffer_load_dword v67, off, s[0:3], 0 offset:280
	buffer_load_dword v68, off, s[0:3], 0 offset:288
	buffer_load_dword v69, off, s[0:3], 0 offset:292
	ds_read_b128 v[192:195], v1 offset:704
	ds_read_b128 v[196:199], v1 offset:720
	buffer_load_dword v70, off, s[0:3], 0 offset:296
	buffer_load_dword v71, off, s[0:3], 0 offset:300
	;; [unrolled: 1-line block ×10, first 2 shown]
	ds_read_b128 v[200:203], v1 offset:736
	buffer_load_dword v80, off, s[0:3], 0 offset:336
	buffer_load_dword v81, off, s[0:3], 0 offset:340
	;; [unrolled: 1-line block ×6, first 2 shown]
	ds_read_b128 v[204:207], v1 offset:752
	buffer_load_dword v86, off, s[0:3], 0 offset:360
	buffer_load_dword v87, off, s[0:3], 0 offset:364
	;; [unrolled: 1-line block ×10, first 2 shown]
	v_mul_f32_e32 v10, v28, v10
	v_fma_f32 v10, v27, v149, -v10
	v_mul_f32_e32 v9, v30, v9
	ds_read_b128 v[208:211], v1 offset:768
	buffer_load_dword v96, off, s[0:3], 0 offset:400
	buffer_load_dword v97, off, s[0:3], 0 offset:404
	;; [unrolled: 1-line block ×6, first 2 shown]
	v_add_f32_e32 v10, 0, v10
	v_fma_f32 v9, v29, v24, -v9
	v_mul_f32_e32 v8, v32, v8
	v_add_f32_e32 v9, v10, v9
	v_fma_f32 v8, v31, v21, -v8
	v_mul_f32_e32 v7, v34, v7
	;; [unrolled: 3-line block ×3, first 2 shown]
	ds_read_b128 v[212:215], v1 offset:784
	buffer_load_dword v102, off, s[0:3], 0 offset:424
	buffer_load_dword v103, off, s[0:3], 0 offset:428
	v_add_f32_e32 v7, v8, v7
	v_fma_f32 v6, v35, v23, -v6
	v_mul_f32_e32 v5, v38, v5
	v_add_f32_e32 v6, v7, v6
	v_fma_f32 v5, v37, v20, -v5
	v_mul_f32_e32 v4, v165, v4
	v_add_f32_e32 v5, v6, v5
	v_fma_f32 v4, v164, v17, -v4
	v_add_f32_e32 v4, v5, v4
	v_mul_f32_e32 v5, v167, v11
	v_fma_f32 v5, v166, v22, -v5
	buffer_load_dword v104, off, s[0:3], 0 offset:432
	buffer_load_dword v105, off, s[0:3], 0 offset:436
	;; [unrolled: 1-line block ×6, first 2 shown]
	v_add_f32_e32 v4, v4, v5
	v_mul_f32_e32 v5, v169, v12
	v_fma_f32 v5, v168, v19, -v5
	v_add_f32_e32 v4, v4, v5
	v_mul_f32_e32 v5, v171, v13
	s_waitcnt vmcnt(62)
	v_mul_f32_e32 v40, v174, v18
	v_fma_f32 v5, v170, v16, -v5
	v_fmac_f32_e32 v40, v175, v157
	v_add_f32_e32 v4, v4, v5
	v_mul_f32_e32 v5, v173, v14
	v_add_f32_e32 v39, v39, v40
	s_waitcnt lgkmcnt(9)
	v_mul_f32_e32 v40, v176, v155
	buffer_load_dword v110, off, s[0:3], 0 offset:456
	buffer_load_dword v111, off, s[0:3], 0 offset:460
	v_fma_f32 v5, v172, v15, -v5
	v_fmac_f32_e32 v40, v177, v153
	v_add_f32_e32 v4, v4, v5
	v_mul_f32_e32 v5, v175, v18
	v_add_f32_e32 v39, v39, v40
	v_mul_f32_e32 v40, v178, v154
	v_fma_f32 v5, v174, v157, -v5
	v_fmac_f32_e32 v40, v179, v152
	v_add_f32_e32 v4, v4, v5
	v_mul_f32_e32 v5, v177, v155
	v_add_f32_e32 v39, v39, v40
	s_waitcnt lgkmcnt(8)
	v_mul_f32_e32 v40, v180, v151
	v_fma_f32 v5, v176, v153, -v5
	v_fmac_f32_e32 v40, v181, v150
	v_add_f32_e32 v4, v4, v5
	v_mul_f32_e32 v5, v179, v154
	v_add_f32_e32 v39, v39, v40
	v_mul_f32_e32 v40, v182, v156
	buffer_load_dword v112, off, s[0:3], 0 offset:464
	buffer_load_dword v113, off, s[0:3], 0 offset:468
	;; [unrolled: 1-line block ×6, first 2 shown]
	v_fma_f32 v5, v178, v152, -v5
	v_fmac_f32_e32 v40, v183, v45
	v_add_f32_e32 v4, v4, v5
	v_mul_f32_e32 v5, v181, v151
	v_add_f32_e32 v39, v39, v40
	s_waitcnt lgkmcnt(7)
	v_mul_f32_e32 v40, v184, v159
	v_fma_f32 v5, v180, v150, -v5
	v_fmac_f32_e32 v40, v185, v158
	v_add_f32_e32 v4, v4, v5
	v_mul_f32_e32 v5, v183, v156
	v_add_f32_e32 v39, v39, v40
	v_mul_f32_e32 v40, v186, v161
	v_fma_f32 v5, v182, v45, -v5
	v_fmac_f32_e32 v40, v187, v160
	v_add_f32_e32 v4, v4, v5
	v_mul_f32_e32 v5, v185, v159
	v_add_f32_e32 v39, v39, v40
	s_waitcnt lgkmcnt(6)
	v_mul_f32_e32 v40, v188, v163
	v_fma_f32 v5, v184, v158, -v5
	v_fmac_f32_e32 v40, v189, v162
	v_add_f32_e32 v4, v4, v5
	v_mul_f32_e32 v5, v187, v161
	v_add_f32_e32 v39, v39, v40
	v_mul_f32_e32 v40, v190, v47
	v_fma_f32 v5, v186, v160, -v5
	v_fmac_f32_e32 v40, v191, v46
	v_add_f32_e32 v4, v4, v5
	v_mul_f32_e32 v5, v189, v163
	v_add_f32_e32 v39, v39, v40
	s_waitcnt vmcnt(62) lgkmcnt(5)
	v_mul_f32_e32 v40, v192, v49
	v_fma_f32 v5, v188, v162, -v5
	v_fmac_f32_e32 v40, v193, v48
	v_add_f32_e32 v4, v4, v5
	v_mul_f32_e32 v5, v191, v47
	v_add_f32_e32 v39, v39, v40
	v_mul_f32_e32 v40, v194, v51
	v_fma_f32 v5, v190, v46, -v5
	v_fmac_f32_e32 v40, v195, v50
	v_add_f32_e32 v4, v4, v5
	v_mul_f32_e32 v5, v193, v49
	v_add_f32_e32 v39, v39, v40
	s_waitcnt lgkmcnt(4)
	v_mul_f32_e32 v40, v196, v53
	v_fma_f32 v5, v192, v48, -v5
	v_fmac_f32_e32 v40, v197, v52
	v_add_f32_e32 v4, v4, v5
	v_mul_f32_e32 v5, v195, v51
	v_add_f32_e32 v39, v39, v40
	v_mul_f32_e32 v40, v198, v55
	v_fma_f32 v5, v194, v50, -v5
	v_fmac_f32_e32 v40, v199, v54
	v_add_f32_e32 v4, v4, v5
	v_mul_f32_e32 v5, v197, v53
	v_add_f32_e32 v39, v39, v40
	s_waitcnt vmcnt(60) lgkmcnt(3)
	v_mul_f32_e32 v40, v200, v57
	v_fma_f32 v5, v196, v52, -v5
	v_fmac_f32_e32 v40, v201, v56
	v_add_f32_e32 v4, v4, v5
	v_mul_f32_e32 v5, v199, v55
	v_add_f32_e32 v39, v39, v40
	s_waitcnt vmcnt(58)
	v_mul_f32_e32 v40, v202, v59
	v_fma_f32 v5, v198, v54, -v5
	v_fmac_f32_e32 v40, v203, v58
	v_add_f32_e32 v4, v4, v5
	v_mul_f32_e32 v5, v201, v57
	v_add_f32_e32 v39, v39, v40
	s_waitcnt vmcnt(56) lgkmcnt(2)
	v_mul_f32_e32 v40, v204, v61
	v_fma_f32 v5, v200, v56, -v5
	v_fmac_f32_e32 v40, v205, v60
	v_add_f32_e32 v4, v4, v5
	v_mul_f32_e32 v5, v203, v59
	v_add_f32_e32 v39, v39, v40
	s_waitcnt vmcnt(54)
	;; [unrolled: 14-line block ×3, first 2 shown]
	v_mul_f32_e32 v40, v210, v66
	v_fma_f32 v5, v206, v62, -v5
	s_waitcnt vmcnt(50)
	v_fmac_f32_e32 v40, v211, v67
	ds_read_b128 v[216:219], v1 offset:800
	ds_read_b128 v[220:223], v1 offset:816
	v_add_f32_e32 v4, v4, v5
	v_mul_f32_e32 v5, v209, v65
	v_add_f32_e32 v39, v39, v40
	s_waitcnt vmcnt(48) lgkmcnt(2)
	v_mul_f32_e32 v40, v212, v69
	v_fma_f32 v5, v208, v64, -v5
	v_fmac_f32_e32 v40, v213, v68
	v_add_f32_e32 v4, v4, v5
	v_mul_f32_e32 v5, v211, v66
	v_add_f32_e32 v39, v39, v40
	s_waitcnt vmcnt(46)
	v_mul_f32_e32 v40, v214, v71
	v_fma_f32 v5, v210, v67, -v5
	v_fmac_f32_e32 v40, v215, v70
	v_add_f32_e32 v4, v4, v5
	v_mul_f32_e32 v5, v213, v69
	v_add_f32_e32 v39, v39, v40
	s_waitcnt vmcnt(44) lgkmcnt(1)
	v_mul_f32_e32 v40, v216, v73
	v_fma_f32 v5, v212, v68, -v5
	v_fmac_f32_e32 v40, v217, v72
	v_add_f32_e32 v4, v4, v5
	v_mul_f32_e32 v5, v215, v71
	v_add_f32_e32 v39, v39, v40
	s_waitcnt vmcnt(43)
	v_mul_f32_e32 v40, v218, v74
	v_fma_f32 v5, v214, v70, -v5
	s_waitcnt vmcnt(40)
	v_fmac_f32_e32 v40, v219, v77
	ds_read_b128 v[224:227], v1 offset:832
	ds_read_b128 v[228:231], v1 offset:848
	v_add_f32_e32 v4, v4, v5
	v_mul_f32_e32 v5, v217, v73
	v_add_f32_e32 v39, v39, v40
	s_waitcnt lgkmcnt(2)
	v_mul_f32_e32 v40, v220, v76
	v_fma_f32 v5, v216, v72, -v5
	v_fmac_f32_e32 v40, v221, v75
	v_add_f32_e32 v4, v4, v5
	v_mul_f32_e32 v5, v219, v74
	v_add_f32_e32 v39, v39, v40
	s_waitcnt vmcnt(38)
	v_mul_f32_e32 v40, v222, v79
	v_fma_f32 v5, v218, v77, -v5
	v_fmac_f32_e32 v40, v223, v78
	v_add_f32_e32 v4, v4, v5
	v_mul_f32_e32 v5, v221, v76
	v_add_f32_e32 v39, v39, v40
	s_waitcnt vmcnt(36) lgkmcnt(1)
	v_mul_f32_e32 v40, v224, v81
	v_fma_f32 v5, v220, v75, -v5
	v_fmac_f32_e32 v40, v225, v80
	v_add_f32_e32 v4, v4, v5
	v_mul_f32_e32 v5, v223, v79
	v_add_f32_e32 v39, v39, v40
	s_waitcnt vmcnt(35)
	v_mul_f32_e32 v40, v226, v82
	v_fma_f32 v5, v222, v78, -v5
	s_waitcnt vmcnt(32)
	v_fmac_f32_e32 v40, v227, v85
	ds_read_b128 v[232:235], v1 offset:864
	ds_read_b128 v[236:239], v1 offset:880
	v_add_f32_e32 v4, v4, v5
	v_mul_f32_e32 v5, v225, v81
	v_add_f32_e32 v39, v39, v40
	s_waitcnt lgkmcnt(2)
	;; [unrolled: 31-line block ×4, first 2 shown]
	v_mul_f32_e32 v40, v244, v100
	v_fma_f32 v5, v240, v96, -v5
	v_fmac_f32_e32 v40, v245, v99
	v_add_f32_e32 v4, v4, v5
	v_mul_f32_e32 v5, v243, v98
	v_add_f32_e32 v39, v39, v40
	s_waitcnt vmcnt(14)
	v_mul_f32_e32 v40, v246, v103
	v_fma_f32 v5, v242, v101, -v5
	v_fmac_f32_e32 v40, v247, v102
	v_add_f32_e32 v4, v4, v5
	v_mul_f32_e32 v5, v245, v100
	v_add_f32_e32 v39, v39, v40
	s_waitcnt vmcnt(12) lgkmcnt(1)
	v_mul_f32_e32 v40, v248, v105
	v_fma_f32 v5, v244, v99, -v5
	v_fmac_f32_e32 v40, v249, v104
	v_add_f32_e32 v4, v4, v5
	v_mul_f32_e32 v5, v247, v103
	v_add_f32_e32 v39, v39, v40
	s_waitcnt vmcnt(11)
	v_mul_f32_e32 v40, v250, v106
	v_fma_f32 v5, v246, v102, -v5
	s_waitcnt vmcnt(8)
	v_fmac_f32_e32 v40, v251, v109
	v_add_f32_e32 v4, v4, v5
	v_mul_f32_e32 v5, v249, v105
	v_add_f32_e32 v39, v39, v40
	s_waitcnt lgkmcnt(0)
	v_mul_f32_e32 v40, v252, v108
	v_fma_f32 v5, v248, v104, -v5
	v_fmac_f32_e32 v40, v253, v107
	v_add_f32_e32 v4, v4, v5
	v_mul_f32_e32 v5, v251, v106
	v_add_f32_e32 v43, v39, v40
	ds_read_b128 v[39:42], v1 offset:960
	v_fma_f32 v5, v250, v109, -v5
	v_add_f32_e32 v4, v4, v5
	v_mul_f32_e32 v5, v253, v108
	s_waitcnt vmcnt(6)
	v_mul_f32_e32 v44, v254, v111
	v_fma_f32 v5, v252, v107, -v5
	v_fmac_f32_e32 v44, v255, v110
	v_add_f32_e32 v4, v4, v5
	v_mul_f32_e32 v5, v255, v111
	v_add_f32_e32 v118, v43, v44
	ds_read_b64 v[43:44], v1 offset:976
	v_fma_f32 v5, v254, v110, -v5
	v_add_f32_e32 v4, v4, v5
	s_waitcnt vmcnt(4) lgkmcnt(1)
	v_mul_f32_e32 v5, v40, v113
	v_mul_f32_e32 v119, v39, v113
	v_fma_f32 v5, v39, v112, -v5
	v_fmac_f32_e32 v119, v40, v112
	v_add_f32_e32 v4, v4, v5
	s_waitcnt vmcnt(3)
	v_mul_f32_e32 v5, v42, v114
	v_add_f32_e32 v118, v118, v119
	v_mul_f32_e32 v119, v41, v114
	s_waitcnt vmcnt(0)
	v_fma_f32 v5, v41, v117, -v5
	v_fmac_f32_e32 v119, v42, v117
	v_add_f32_e32 v4, v4, v5
	s_waitcnt lgkmcnt(0)
	v_mul_f32_e32 v5, v44, v116
	v_add_f32_e32 v118, v118, v119
	v_mul_f32_e32 v119, v43, v116
	v_fma_f32 v5, v43, v115, -v5
	v_fmac_f32_e32 v119, v44, v115
	v_add_f32_e32 v4, v4, v5
	v_add_f32_e32 v118, v118, v119
	v_sub_f32_e32 v2, v2, v4
	v_sub_f32_e32 v3, v3, v118
	buffer_store_dword v2, off, s[0:3], 0 offset:40
	buffer_store_dword v3, off, s[0:3], 0 offset:44
	s_and_saveexec_b64 s[4:5], vcc
	s_cbranch_execz .LBB60_371
; %bb.370:
	buffer_load_dword v2, off, s[0:3], 0 offset:32
	buffer_load_dword v3, off, s[0:3], 0 offset:36
	s_waitcnt vmcnt(0)
	ds_write_b64 v147, v[2:3]
	buffer_store_dword v1, off, s[0:3], 0 offset:32
	buffer_store_dword v1, off, s[0:3], 0 offset:36
.LBB60_371:
	s_or_b64 exec, exec, s[4:5]
	s_waitcnt lgkmcnt(0)
	; wave barrier
	buffer_load_dword v10, off, s[0:3], 0 offset:44
	buffer_load_dword v9, off, s[0:3], 0 offset:52
	buffer_load_dword v8, off, s[0:3], 0 offset:60
	buffer_load_dword v7, off, s[0:3], 0 offset:68
	buffer_load_dword v6, off, s[0:3], 0 offset:76
	buffer_load_dword v5, off, s[0:3], 0 offset:84
	buffer_load_dword v4, off, s[0:3], 0 offset:92
	buffer_load_dword v11, off, s[0:3], 0 offset:100
	buffer_load_dword v12, off, s[0:3], 0 offset:108
	buffer_load_dword v13, off, s[0:3], 0 offset:116
	buffer_load_dword v17, off, s[0:3], 0 offset:56
	buffer_load_dword v21, off, s[0:3], 0 offset:48
	buffer_load_dword v148, off, s[0:3], 0 offset:40
	buffer_load_dword v14, off, s[0:3], 0 offset:88
	buffer_load_dword v16, off, s[0:3], 0 offset:80
	buffer_load_dword v20, off, s[0:3], 0 offset:72
	buffer_load_dword v24, off, s[0:3], 0 offset:64
	buffer_load_dword v15, off, s[0:3], 0 offset:120
	buffer_load_dword v18, off, s[0:3], 0 offset:112
	buffer_load_dword v22, off, s[0:3], 0 offset:104
	buffer_load_dword v149, off, s[0:3], 0 offset:96
	buffer_load_dword v19, off, s[0:3], 0 offset:124
	buffer_load_dword v23, off, s[0:3], 0 offset:132
	buffer_load_dword v150, off, s[0:3], 0 offset:152
	buffer_load_dword v151, off, s[0:3], 0 offset:144
	buffer_load_dword v153, off, s[0:3], 0 offset:136
	buffer_load_dword v156, off, s[0:3], 0 offset:128
	buffer_load_dword v155, off, s[0:3], 0 offset:140
	buffer_load_dword v154, off, s[0:3], 0 offset:148
	buffer_load_dword v152, off, s[0:3], 0 offset:156
	buffer_load_dword v157, off, s[0:3], 0 offset:164
	buffer_load_dword v158, off, s[0:3], 0 offset:168
	buffer_load_dword v159, off, s[0:3], 0 offset:172
	buffer_load_dword v160, off, s[0:3], 0 offset:176
	buffer_load_dword v161, off, s[0:3], 0 offset:180
	buffer_load_dword v162, off, s[0:3], 0 offset:184
	buffer_load_dword v163, off, s[0:3], 0 offset:188
	buffer_load_dword v47, off, s[0:3], 0 offset:160
	buffer_load_dword v2, off, s[0:3], 0 offset:32
	buffer_load_dword v3, off, s[0:3], 0 offset:36
	ds_read2_b64 v[27:30], v1 offset0:67 offset1:68
	ds_read2_b64 v[31:34], v1 offset0:69 offset1:70
	;; [unrolled: 1-line block ×6, first 2 shown]
	buffer_load_dword v48, off, s[0:3], 0 offset:192
	buffer_load_dword v49, off, s[0:3], 0 offset:196
	buffer_load_dword v50, off, s[0:3], 0 offset:200
	buffer_load_dword v51, off, s[0:3], 0 offset:204
	buffer_load_dword v52, off, s[0:3], 0 offset:208
	buffer_load_dword v53, off, s[0:3], 0 offset:212
	buffer_load_dword v54, off, s[0:3], 0 offset:216
	buffer_load_dword v55, off, s[0:3], 0 offset:220
	buffer_load_dword v56, off, s[0:3], 0 offset:224
	buffer_load_dword v57, off, s[0:3], 0 offset:228
	buffer_load_dword v58, off, s[0:3], 0 offset:232
	buffer_load_dword v59, off, s[0:3], 0 offset:236
	buffer_load_dword v60, off, s[0:3], 0 offset:240
	buffer_load_dword v61, off, s[0:3], 0 offset:244
	v_cmp_lt_u32_e32 vcc, 3, v0
	s_waitcnt vmcnt(53) lgkmcnt(5)
	v_mul_f32_e32 v43, v27, v10
	s_waitcnt vmcnt(52)
	v_mul_f32_e32 v44, v29, v9
	s_waitcnt vmcnt(51) lgkmcnt(4)
	v_mul_f32_e32 v45, v31, v8
	s_waitcnt vmcnt(50)
	v_mul_f32_e32 v46, v33, v7
	;; [unrolled: 4-line block ×5, first 2 shown]
	s_waitcnt vmcnt(43)
	v_fmac_f32_e32 v45, v32, v17
	s_waitcnt vmcnt(42)
	v_fmac_f32_e32 v44, v30, v21
	;; [unrolled: 2-line block ×3, first 2 shown]
	v_add_f32_e32 v43, 0, v43
	v_add_f32_e32 v43, v43, v44
	;; [unrolled: 1-line block ×3, first 2 shown]
	s_waitcnt vmcnt(37)
	v_fmac_f32_e32 v46, v34, v24
	v_fmac_f32_e32 v62, v36, v20
	v_add_f32_e32 v43, v43, v46
	v_fmac_f32_e32 v63, v38, v16
	v_add_f32_e32 v43, v43, v62
	v_fmac_f32_e32 v64, v40, v14
	v_add_f32_e32 v43, v43, v63
	buffer_load_dword v62, off, s[0:3], 0 offset:248
	buffer_load_dword v63, off, s[0:3], 0 offset:252
	s_waitcnt vmcnt(35)
	v_fmac_f32_e32 v65, v42, v149
	v_add_f32_e32 v43, v43, v64
	v_fmac_f32_e32 v66, v165, v22
	v_add_f32_e32 v43, v43, v65
	ds_read2_b64 v[172:175], v1 offset0:79 offset1:80
	ds_read2_b64 v[176:179], v1 offset0:81 offset1:82
	buffer_load_dword v64, off, s[0:3], 0 offset:256
	buffer_load_dword v65, off, s[0:3], 0 offset:260
	v_fmac_f32_e32 v67, v167, v18
	v_add_f32_e32 v43, v43, v66
	v_add_f32_e32 v43, v43, v67
	buffer_load_dword v66, off, s[0:3], 0 offset:264
	buffer_load_dword v67, off, s[0:3], 0 offset:268
	ds_read2_b64 v[180:183], v1 offset0:83 offset1:84
	ds_read2_b64 v[184:187], v1 offset0:85 offset1:86
	buffer_load_dword v68, off, s[0:3], 0 offset:272
	buffer_load_dword v69, off, s[0:3], 0 offset:276
	;; [unrolled: 1-line block ×4, first 2 shown]
	ds_read2_b64 v[188:191], v1 offset0:87 offset1:88
	buffer_load_dword v72, off, s[0:3], 0 offset:288
	buffer_load_dword v73, off, s[0:3], 0 offset:292
	ds_read2_b64 v[192:195], v1 offset0:89 offset1:90
	buffer_load_dword v74, off, s[0:3], 0 offset:296
	buffer_load_dword v75, off, s[0:3], 0 offset:300
	;; [unrolled: 1-line block ×6, first 2 shown]
	ds_read2_b64 v[196:199], v1 offset0:91 offset1:92
	buffer_load_dword v80, off, s[0:3], 0 offset:320
	buffer_load_dword v81, off, s[0:3], 0 offset:324
	ds_read2_b64 v[200:203], v1 offset0:93 offset1:94
	buffer_load_dword v82, off, s[0:3], 0 offset:328
	buffer_load_dword v83, off, s[0:3], 0 offset:332
	;; [unrolled: 1-line block ×16, first 2 shown]
	v_mul_f32_e32 v10, v28, v10
	v_fma_f32 v10, v27, v148, -v10
	v_mul_f32_e32 v9, v30, v9
	v_add_f32_e32 v10, 0, v10
	v_fma_f32 v9, v29, v21, -v9
	v_mul_f32_e32 v8, v32, v8
	v_add_f32_e32 v9, v10, v9
	v_fma_f32 v8, v31, v17, -v8
	v_mul_f32_e32 v7, v34, v7
	ds_read2_b64 v[204:207], v1 offset0:95 offset1:96
	buffer_load_dword v98, off, s[0:3], 0 offset:392
	buffer_load_dword v99, off, s[0:3], 0 offset:396
	;; [unrolled: 1-line block ×6, first 2 shown]
	v_add_f32_e32 v8, v9, v8
	v_fma_f32 v7, v33, v24, -v7
	v_mul_f32_e32 v6, v36, v6
	v_add_f32_e32 v7, v8, v7
	v_fma_f32 v6, v35, v20, -v6
	v_mul_f32_e32 v5, v38, v5
	;; [unrolled: 3-line block ×3, first 2 shown]
	ds_read2_b64 v[208:211], v1 offset0:97 offset1:98
	buffer_load_dword v104, off, s[0:3], 0 offset:416
	buffer_load_dword v105, off, s[0:3], 0 offset:420
	v_add_f32_e32 v5, v6, v5
	v_fma_f32 v4, v39, v14, -v4
	v_add_f32_e32 v4, v5, v4
	v_mul_f32_e32 v5, v42, v11
	v_fma_f32 v5, v41, v149, -v5
	v_add_f32_e32 v4, v4, v5
	v_mul_f32_e32 v5, v165, v12
	v_fma_f32 v5, v164, v22, -v5
	buffer_load_dword v106, off, s[0:3], 0 offset:424
	buffer_load_dword v107, off, s[0:3], 0 offset:428
	;; [unrolled: 1-line block ×6, first 2 shown]
	v_add_f32_e32 v4, v4, v5
	v_mul_f32_e32 v5, v167, v13
	s_waitcnt vmcnt(62) lgkmcnt(10)
	v_mul_f32_e32 v44, v168, v19
	v_fma_f32 v5, v166, v18, -v5
	v_fmac_f32_e32 v44, v169, v15
	v_add_f32_e32 v4, v4, v5
	v_mul_f32_e32 v5, v169, v19
	v_add_f32_e32 v43, v43, v44
	v_mul_f32_e32 v44, v170, v23
	buffer_load_dword v112, off, s[0:3], 0 offset:448
	buffer_load_dword v113, off, s[0:3], 0 offset:452
	v_fma_f32 v5, v168, v15, -v5
	v_fmac_f32_e32 v44, v171, v156
	v_add_f32_e32 v4, v4, v5
	v_mul_f32_e32 v5, v171, v23
	v_add_f32_e32 v43, v43, v44
	s_waitcnt lgkmcnt(9)
	v_mul_f32_e32 v44, v172, v155
	v_fma_f32 v5, v170, v156, -v5
	v_fmac_f32_e32 v44, v173, v153
	v_add_f32_e32 v4, v4, v5
	v_mul_f32_e32 v5, v173, v155
	v_add_f32_e32 v43, v43, v44
	v_mul_f32_e32 v44, v174, v154
	v_fma_f32 v5, v172, v153, -v5
	v_fmac_f32_e32 v44, v175, v151
	v_add_f32_e32 v4, v4, v5
	v_mul_f32_e32 v5, v175, v154
	v_add_f32_e32 v43, v43, v44
	s_waitcnt lgkmcnt(8)
	v_mul_f32_e32 v44, v176, v152
	buffer_load_dword v114, off, s[0:3], 0 offset:456
	buffer_load_dword v115, off, s[0:3], 0 offset:460
	;; [unrolled: 1-line block ×6, first 2 shown]
	v_fma_f32 v5, v174, v151, -v5
	v_fmac_f32_e32 v44, v177, v150
	v_add_f32_e32 v4, v4, v5
	v_mul_f32_e32 v5, v177, v152
	v_add_f32_e32 v43, v43, v44
	v_mul_f32_e32 v44, v178, v157
	v_fma_f32 v5, v176, v150, -v5
	v_fmac_f32_e32 v44, v179, v47
	ds_read2_b64 v[212:215], v1 offset0:99 offset1:100
	ds_read2_b64 v[216:219], v1 offset0:101 offset1:102
	buffer_load_dword v120, off, s[0:3], 0 offset:480
	buffer_load_dword v121, off, s[0:3], 0 offset:484
	v_add_f32_e32 v4, v4, v5
	v_mul_f32_e32 v5, v179, v157
	v_add_f32_e32 v43, v43, v44
	s_waitcnt lgkmcnt(9)
	v_mul_f32_e32 v44, v180, v159
	v_fma_f32 v5, v178, v47, -v5
	v_fmac_f32_e32 v44, v181, v158
	v_add_f32_e32 v4, v4, v5
	v_mul_f32_e32 v5, v181, v159
	v_add_f32_e32 v43, v43, v44
	v_mul_f32_e32 v44, v182, v161
	v_fma_f32 v5, v180, v158, -v5
	v_fmac_f32_e32 v44, v183, v160
	v_add_f32_e32 v4, v4, v5
	v_mul_f32_e32 v5, v183, v161
	v_add_f32_e32 v43, v43, v44
	s_waitcnt lgkmcnt(8)
	v_mul_f32_e32 v44, v184, v163
	v_fma_f32 v5, v182, v160, -v5
	v_fmac_f32_e32 v44, v185, v162
	v_add_f32_e32 v4, v4, v5
	v_mul_f32_e32 v5, v185, v163
	v_add_f32_e32 v43, v43, v44
	v_mul_f32_e32 v44, v186, v49
	v_fma_f32 v5, v184, v162, -v5
	v_fmac_f32_e32 v44, v187, v48
	v_add_f32_e32 v4, v4, v5
	v_mul_f32_e32 v5, v187, v49
	v_add_f32_e32 v43, v43, v44
	s_waitcnt vmcnt(62) lgkmcnt(7)
	v_mul_f32_e32 v44, v188, v51
	v_fma_f32 v5, v186, v48, -v5
	v_fmac_f32_e32 v44, v189, v50
	v_add_f32_e32 v4, v4, v5
	v_mul_f32_e32 v5, v189, v51
	v_add_f32_e32 v43, v43, v44
	v_mul_f32_e32 v44, v190, v53
	v_fma_f32 v5, v188, v50, -v5
	v_fmac_f32_e32 v44, v191, v52
	v_add_f32_e32 v4, v4, v5
	v_mul_f32_e32 v5, v191, v53
	v_add_f32_e32 v43, v43, v44
	s_waitcnt lgkmcnt(6)
	v_mul_f32_e32 v44, v192, v55
	v_fma_f32 v5, v190, v52, -v5
	v_fmac_f32_e32 v44, v193, v54
	v_add_f32_e32 v4, v4, v5
	v_mul_f32_e32 v5, v193, v55
	v_add_f32_e32 v43, v43, v44
	v_mul_f32_e32 v44, v194, v57
	v_fma_f32 v5, v192, v54, -v5
	v_fmac_f32_e32 v44, v195, v56
	v_add_f32_e32 v4, v4, v5
	v_mul_f32_e32 v5, v195, v57
	v_add_f32_e32 v43, v43, v44
	s_waitcnt lgkmcnt(5)
	v_mul_f32_e32 v44, v196, v59
	v_fma_f32 v5, v194, v56, -v5
	v_fmac_f32_e32 v44, v197, v58
	v_add_f32_e32 v4, v4, v5
	v_mul_f32_e32 v5, v197, v59
	v_add_f32_e32 v43, v43, v44
	s_waitcnt vmcnt(60)
	v_mul_f32_e32 v44, v198, v61
	v_fma_f32 v5, v196, v58, -v5
	v_fmac_f32_e32 v44, v199, v60
	v_add_f32_e32 v4, v4, v5
	v_mul_f32_e32 v5, v199, v61
	v_add_f32_e32 v43, v43, v44
	s_waitcnt vmcnt(58) lgkmcnt(4)
	v_mul_f32_e32 v44, v200, v63
	v_fma_f32 v5, v198, v60, -v5
	v_fmac_f32_e32 v44, v201, v62
	v_add_f32_e32 v4, v4, v5
	v_mul_f32_e32 v5, v201, v63
	v_add_f32_e32 v43, v43, v44
	s_waitcnt vmcnt(56)
	v_mul_f32_e32 v44, v202, v65
	v_fma_f32 v5, v200, v62, -v5
	v_fmac_f32_e32 v44, v203, v64
	v_add_f32_e32 v4, v4, v5
	v_mul_f32_e32 v5, v203, v65
	v_add_f32_e32 v43, v43, v44
	s_waitcnt vmcnt(54) lgkmcnt(3)
	;; [unrolled: 14-line block ×4, first 2 shown]
	v_mul_f32_e32 v44, v212, v75
	v_fma_f32 v5, v210, v72, -v5
	v_fmac_f32_e32 v44, v213, v74
	v_add_f32_e32 v4, v4, v5
	v_mul_f32_e32 v5, v213, v75
	v_add_f32_e32 v43, v43, v44
	s_waitcnt vmcnt(45)
	v_mul_f32_e32 v44, v214, v76
	v_fma_f32 v5, v212, v74, -v5
	s_waitcnt vmcnt(42)
	v_fmac_f32_e32 v44, v215, v79
	ds_read2_b64 v[220:223], v1 offset0:103 offset1:104
	ds_read2_b64 v[224:227], v1 offset0:105 offset1:106
	v_add_f32_e32 v4, v4, v5
	v_mul_f32_e32 v5, v215, v76
	v_add_f32_e32 v43, v43, v44
	s_waitcnt lgkmcnt(2)
	v_mul_f32_e32 v44, v216, v78
	v_fma_f32 v5, v214, v79, -v5
	v_fmac_f32_e32 v44, v217, v77
	v_add_f32_e32 v4, v4, v5
	v_mul_f32_e32 v5, v217, v78
	v_add_f32_e32 v43, v43, v44
	s_waitcnt vmcnt(40)
	v_mul_f32_e32 v44, v218, v81
	v_fma_f32 v5, v216, v77, -v5
	v_fmac_f32_e32 v44, v219, v80
	v_add_f32_e32 v4, v4, v5
	v_mul_f32_e32 v5, v219, v81
	v_add_f32_e32 v43, v43, v44
	s_waitcnt vmcnt(38) lgkmcnt(1)
	v_mul_f32_e32 v44, v220, v83
	v_fma_f32 v5, v218, v80, -v5
	v_fmac_f32_e32 v44, v221, v82
	v_add_f32_e32 v4, v4, v5
	v_mul_f32_e32 v5, v221, v83
	v_add_f32_e32 v43, v43, v44
	s_waitcnt vmcnt(37)
	v_mul_f32_e32 v44, v222, v84
	v_fma_f32 v5, v220, v82, -v5
	s_waitcnt vmcnt(34)
	v_fmac_f32_e32 v44, v223, v87
	ds_read2_b64 v[228:231], v1 offset0:107 offset1:108
	ds_read2_b64 v[232:235], v1 offset0:109 offset1:110
	v_add_f32_e32 v4, v4, v5
	v_mul_f32_e32 v5, v223, v84
	v_add_f32_e32 v43, v43, v44
	s_waitcnt lgkmcnt(2)
	v_mul_f32_e32 v44, v224, v86
	v_fma_f32 v5, v222, v87, -v5
	v_fmac_f32_e32 v44, v225, v85
	v_add_f32_e32 v4, v4, v5
	v_mul_f32_e32 v5, v225, v86
	v_add_f32_e32 v43, v43, v44
	s_waitcnt vmcnt(32)
	v_mul_f32_e32 v44, v226, v89
	v_fma_f32 v5, v224, v85, -v5
	v_fmac_f32_e32 v44, v227, v88
	v_add_f32_e32 v4, v4, v5
	v_mul_f32_e32 v5, v227, v89
	v_add_f32_e32 v43, v43, v44
	s_waitcnt vmcnt(30) lgkmcnt(1)
	;; [unrolled: 31-line block ×4, first 2 shown]
	v_mul_f32_e32 v44, v244, v107
	v_fma_f32 v5, v242, v104, -v5
	v_fmac_f32_e32 v44, v245, v106
	v_add_f32_e32 v4, v4, v5
	v_mul_f32_e32 v5, v245, v107
	v_add_f32_e32 v43, v43, v44
	s_waitcnt vmcnt(13)
	v_mul_f32_e32 v44, v246, v108
	v_fma_f32 v5, v244, v106, -v5
	s_waitcnt vmcnt(10)
	v_fmac_f32_e32 v44, v247, v111
	v_add_f32_e32 v4, v4, v5
	v_mul_f32_e32 v5, v247, v108
	v_add_f32_e32 v43, v43, v44
	s_waitcnt lgkmcnt(0)
	v_mul_f32_e32 v44, v248, v110
	ds_read2_b64 v[252:255], v1 offset0:119 offset1:120
	v_fma_f32 v5, v246, v111, -v5
	v_fmac_f32_e32 v44, v249, v109
	v_add_f32_e32 v4, v4, v5
	v_mul_f32_e32 v5, v249, v110
	v_add_f32_e32 v43, v43, v44
	s_waitcnt vmcnt(8)
	v_mul_f32_e32 v44, v250, v113
	v_fma_f32 v5, v248, v109, -v5
	v_fmac_f32_e32 v44, v251, v112
	v_add_f32_e32 v4, v4, v5
	v_mul_f32_e32 v5, v251, v113
	v_add_f32_e32 v122, v43, v44
	ds_read2_b64 v[43:46], v1 offset0:121 offset1:122
	v_fma_f32 v5, v250, v112, -v5
	v_add_f32_e32 v4, v4, v5
	s_waitcnt vmcnt(6) lgkmcnt(1)
	v_mul_f32_e32 v5, v253, v115
	v_mul_f32_e32 v1, v252, v115
	v_fma_f32 v5, v252, v114, -v5
	v_fmac_f32_e32 v1, v253, v114
	v_add_f32_e32 v4, v4, v5
	s_waitcnt vmcnt(5)
	v_mul_f32_e32 v5, v255, v116
	v_add_f32_e32 v1, v122, v1
	v_mul_f32_e32 v122, v254, v116
	s_waitcnt vmcnt(2)
	v_fma_f32 v5, v254, v119, -v5
	v_fmac_f32_e32 v122, v255, v119
	v_add_f32_e32 v4, v4, v5
	s_waitcnt lgkmcnt(0)
	v_mul_f32_e32 v5, v44, v118
	v_add_f32_e32 v1, v1, v122
	v_mul_f32_e32 v122, v43, v118
	v_fma_f32 v5, v43, v117, -v5
	v_fmac_f32_e32 v122, v44, v117
	v_add_f32_e32 v4, v4, v5
	s_waitcnt vmcnt(0)
	v_mul_f32_e32 v5, v46, v121
	v_add_f32_e32 v1, v1, v122
	v_mul_f32_e32 v122, v45, v121
	v_fma_f32 v5, v45, v120, -v5
	v_fmac_f32_e32 v122, v46, v120
	v_add_f32_e32 v4, v4, v5
	v_add_f32_e32 v1, v1, v122
	v_sub_f32_e32 v2, v2, v4
	v_sub_f32_e32 v1, v3, v1
	buffer_store_dword v2, off, s[0:3], 0 offset:32
	buffer_store_dword v1, off, s[0:3], 0 offset:36
	s_and_saveexec_b64 s[4:5], vcc
	s_cbranch_execz .LBB60_373
; %bb.372:
	buffer_load_dword v1, off, s[0:3], 0 offset:24
	buffer_load_dword v2, off, s[0:3], 0 offset:28
	v_mov_b32_e32 v3, 0
	buffer_store_dword v3, off, s[0:3], 0 offset:24
	buffer_store_dword v3, off, s[0:3], 0 offset:28
	s_waitcnt vmcnt(2)
	ds_write_b64 v147, v[1:2]
.LBB60_373:
	s_or_b64 exec, exec, s[4:5]
	s_waitcnt lgkmcnt(0)
	; wave barrier
	buffer_load_dword v9, off, s[0:3], 0 offset:36
	buffer_load_dword v8, off, s[0:3], 0 offset:44
	;; [unrolled: 1-line block ×52, first 2 shown]
	v_mov_b32_e32 v148, 0
	ds_read_b128 v[27:30], v148 offset:528
	ds_read_b128 v[31:34], v148 offset:544
	;; [unrolled: 1-line block ×6, first 2 shown]
	buffer_load_dword v65, off, s[0:3], 0 offset:236
	buffer_load_dword v66, off, s[0:3], 0 offset:232
	;; [unrolled: 1-line block ×4, first 2 shown]
	ds_read_b128 v[181:184], v148 offset:624
	buffer_load_dword v69, off, s[0:3], 0 offset:248
	buffer_load_dword v70, off, s[0:3], 0 offset:252
	;; [unrolled: 1-line block ×3, first 2 shown]
	ds_read_b128 v[185:188], v148 offset:640
	ds_read_b128 v[189:192], v148 offset:656
	;; [unrolled: 1-line block ×3, first 2 shown]
	buffer_load_dword v72, off, s[0:3], 0 offset:256
	buffer_load_dword v73, off, s[0:3], 0 offset:264
	;; [unrolled: 1-line block ×5, first 2 shown]
	ds_read_b128 v[197:200], v148 offset:688
	buffer_load_dword v77, off, s[0:3], 0 offset:280
	buffer_load_dword v78, off, s[0:3], 0 offset:284
	ds_read_b128 v[201:204], v148 offset:704
	buffer_load_dword v79, off, s[0:3], 0 offset:288
	buffer_load_dword v80, off, s[0:3], 0 offset:292
	;; [unrolled: 3-line block ×3, first 2 shown]
	buffer_load_dword v83, off, s[0:3], 0 offset:308
	buffer_load_dword v84, off, s[0:3], 0 offset:296
	ds_read_b128 v[209:212], v148 offset:736
	buffer_load_dword v85, off, s[0:3], 0 offset:312
	buffer_load_dword v86, off, s[0:3], 0 offset:316
	;; [unrolled: 1-line block ×16, first 2 shown]
	ds_read_b128 v[213:216], v148 offset:752
	buffer_load_dword v101, off, s[0:3], 0 offset:376
	buffer_load_dword v102, off, s[0:3], 0 offset:380
	ds_read_b128 v[217:220], v148 offset:768
	buffer_load_dword v103, off, s[0:3], 0 offset:384
	buffer_load_dword v104, off, s[0:3], 0 offset:388
	;; [unrolled: 1-line block ×16, first 2 shown]
	ds_read_b128 v[221:224], v148 offset:784
	buffer_load_dword v119, off, s[0:3], 0 offset:448
	buffer_load_dword v120, off, s[0:3], 0 offset:452
	buffer_load_dword v121, off, s[0:3], 0 offset:460
	buffer_load_dword v122, off, s[0:3], 0 offset:464
	buffer_load_dword v253, off, s[0:3], 0 offset:468
	buffer_load_dword v254, off, s[0:3], 0 offset:456
	ds_read_b128 v[225:228], v148 offset:800
	buffer_load_dword v255, off, s[0:3], 0 offset:476
	buffer_load_dword v123, off, s[0:3], 0 offset:480
	;; [unrolled: 1-line block ×4, first 2 shown]
	ds_read_b128 v[229:232], v148 offset:816
	ds_read_b128 v[233:236], v148 offset:832
	;; [unrolled: 1-line block ×6, first 2 shown]
	v_cmp_lt_u32_e32 vcc, 2, v0
	s_waitcnt vmcnt(62) lgkmcnt(14)
	v_mul_f32_e32 v47, v27, v9
	v_mul_f32_e32 v48, v29, v8
	;; [unrolled: 1-line block ×7, first 2 shown]
	v_fmac_f32_e32 v49, v32, v14
	v_fmac_f32_e32 v48, v30, v16
	;; [unrolled: 1-line block ×3, first 2 shown]
	v_add_f32_e32 v47, 0, v47
	v_add_f32_e32 v47, v47, v48
	v_fma_f32 v9, v27, v19, -v9
	v_add_f32_e32 v47, v47, v49
	v_add_f32_e32 v9, 0, v9
	v_fma_f32 v8, v29, v16, -v8
	v_mul_f32_e32 v7, v32, v7
	v_fmac_f32_e32 v50, v34, v149
	v_mul_f32_e32 v52, v37, v4
	v_fmac_f32_e32 v51, v36, v24
	v_add_f32_e32 v47, v47, v50
	v_add_f32_e32 v8, v9, v8
	v_fma_f32 v7, v31, v14, -v7
	v_mul_f32_e32 v6, v34, v6
	v_mul_f32_e32 v53, v39, v3
	v_fmac_f32_e32 v52, v38, v22
	v_add_f32_e32 v47, v47, v51
	v_add_f32_e32 v7, v8, v7
	v_fma_f32 v6, v33, v149, -v6
	v_mul_f32_e32 v5, v36, v5
	;; [unrolled: 6-line block ×5, first 2 shown]
	v_fmac_f32_e32 v56, v46, v17
	v_add_f32_e32 v47, v47, v55
	v_add_f32_e32 v3, v4, v3
	v_mul_f32_e32 v4, v42, v12
	v_add_f32_e32 v47, v47, v56
	v_fmac_f32_e32 v57, v178, v15
	v_mul_f32_e32 v48, v179, v18
	v_fma_f32 v4, v41, v23, -v4
	v_add_f32_e32 v47, v47, v57
	v_fmac_f32_e32 v48, v180, v156
	v_add_f32_e32 v3, v3, v4
	v_mul_f32_e32 v4, v44, v11
	v_add_f32_e32 v47, v47, v48
	v_mul_f32_e32 v48, v181, v155
	v_fma_f32 v4, v43, v21, -v4
	v_fmac_f32_e32 v48, v182, v153
	v_add_f32_e32 v3, v3, v4
	v_mul_f32_e32 v4, v46, v10
	v_add_f32_e32 v47, v47, v48
	v_mul_f32_e32 v48, v183, v154
	v_fma_f32 v4, v45, v17, -v4
	;; [unrolled: 6-line block ×8, first 2 shown]
	v_fmac_f32_e32 v48, v196, v165
	v_add_f32_e32 v3, v3, v4
	v_mul_f32_e32 v4, v190, v160
	v_add_f32_e32 v47, v47, v48
	s_waitcnt lgkmcnt(13)
	v_mul_f32_e32 v48, v197, v168
	v_fma_f32 v4, v189, v159, -v4
	v_fmac_f32_e32 v48, v198, v167
	v_add_f32_e32 v3, v3, v4
	v_mul_f32_e32 v4, v192, v162
	v_add_f32_e32 v47, v47, v48
	v_mul_f32_e32 v48, v199, v170
	v_fma_f32 v4, v191, v161, -v4
	v_fmac_f32_e32 v48, v200, v169
	v_add_f32_e32 v3, v3, v4
	v_mul_f32_e32 v4, v194, v164
	v_add_f32_e32 v47, v47, v48
	s_waitcnt lgkmcnt(12)
	v_mul_f32_e32 v48, v201, v172
	v_fma_f32 v4, v193, v163, -v4
	v_fmac_f32_e32 v48, v202, v171
	v_add_f32_e32 v3, v3, v4
	v_mul_f32_e32 v4, v196, v166
	v_add_f32_e32 v47, v47, v48
	v_mul_f32_e32 v48, v203, v174
	v_fma_f32 v4, v195, v165, -v4
	;; [unrolled: 13-line block ×3, first 2 shown]
	v_fmac_f32_e32 v48, v208, v66
	v_add_f32_e32 v3, v3, v4
	v_mul_f32_e32 v4, v202, v172
	v_add_f32_e32 v47, v47, v48
	s_waitcnt vmcnt(60) lgkmcnt(10)
	v_mul_f32_e32 v48, v209, v68
	v_fma_f32 v4, v201, v171, -v4
	v_fmac_f32_e32 v48, v210, v67
	v_add_f32_e32 v3, v3, v4
	v_mul_f32_e32 v4, v204, v174
	v_add_f32_e32 v47, v47, v48
	s_waitcnt vmcnt(58)
	v_mul_f32_e32 v48, v211, v70
	v_fma_f32 v4, v203, v173, -v4
	v_fmac_f32_e32 v48, v212, v69
	v_add_f32_e32 v3, v3, v4
	v_mul_f32_e32 v4, v206, v176
	v_add_f32_e32 v47, v47, v48
	s_waitcnt vmcnt(57) lgkmcnt(9)
	v_mul_f32_e32 v48, v213, v71
	v_fma_f32 v4, v205, v175, -v4
	s_waitcnt vmcnt(56)
	v_fmac_f32_e32 v48, v214, v72
	v_add_f32_e32 v3, v3, v4
	v_mul_f32_e32 v4, v208, v65
	v_add_f32_e32 v47, v47, v48
	s_waitcnt vmcnt(54)
	v_mul_f32_e32 v48, v215, v74
	v_fma_f32 v4, v207, v66, -v4
	v_fmac_f32_e32 v48, v216, v73
	v_add_f32_e32 v3, v3, v4
	v_mul_f32_e32 v4, v210, v68
	v_add_f32_e32 v47, v47, v48
	s_waitcnt vmcnt(52) lgkmcnt(8)
	v_mul_f32_e32 v48, v217, v76
	v_fma_f32 v4, v209, v67, -v4
	v_fmac_f32_e32 v48, v218, v75
	v_add_f32_e32 v3, v3, v4
	v_mul_f32_e32 v4, v212, v70
	v_add_f32_e32 v47, v47, v48
	s_waitcnt vmcnt(50)
	v_mul_f32_e32 v48, v219, v78
	v_fma_f32 v4, v211, v69, -v4
	v_fmac_f32_e32 v48, v220, v77
	v_add_f32_e32 v3, v3, v4
	v_mul_f32_e32 v4, v214, v71
	v_add_f32_e32 v47, v47, v48
	s_waitcnt vmcnt(48) lgkmcnt(7)
	v_mul_f32_e32 v48, v221, v80
	v_fma_f32 v4, v213, v72, -v4
	v_fmac_f32_e32 v48, v222, v79
	v_add_f32_e32 v3, v3, v4
	v_mul_f32_e32 v4, v216, v74
	v_add_f32_e32 v47, v47, v48
	s_waitcnt vmcnt(47)
	v_mul_f32_e32 v48, v223, v81
	v_fma_f32 v4, v215, v73, -v4
	s_waitcnt vmcnt(44)
	v_fmac_f32_e32 v48, v224, v84
	v_add_f32_e32 v3, v3, v4
	v_mul_f32_e32 v4, v218, v76
	v_add_f32_e32 v47, v47, v48
	s_waitcnt lgkmcnt(6)
	v_mul_f32_e32 v48, v225, v83
	v_fma_f32 v4, v217, v75, -v4
	v_fmac_f32_e32 v48, v226, v82
	v_add_f32_e32 v3, v3, v4
	v_mul_f32_e32 v4, v220, v78
	v_add_f32_e32 v47, v47, v48
	s_waitcnt vmcnt(42)
	v_mul_f32_e32 v48, v227, v86
	v_fma_f32 v4, v219, v77, -v4
	v_fmac_f32_e32 v48, v228, v85
	v_add_f32_e32 v3, v3, v4
	v_mul_f32_e32 v4, v222, v80
	v_add_f32_e32 v47, v47, v48
	s_waitcnt vmcnt(40) lgkmcnt(5)
	v_mul_f32_e32 v48, v229, v88
	v_fma_f32 v4, v221, v79, -v4
	v_fmac_f32_e32 v48, v230, v87
	v_add_f32_e32 v3, v3, v4
	v_mul_f32_e32 v4, v224, v81
	v_add_f32_e32 v47, v47, v48
	s_waitcnt vmcnt(39)
	v_mul_f32_e32 v48, v231, v89
	v_fma_f32 v4, v223, v84, -v4
	s_waitcnt vmcnt(36)
	v_fmac_f32_e32 v48, v232, v92
	v_add_f32_e32 v3, v3, v4
	v_mul_f32_e32 v4, v226, v83
	v_add_f32_e32 v47, v47, v48
	s_waitcnt lgkmcnt(4)
	;; [unrolled: 29-line block ×4, first 2 shown]
	v_mul_f32_e32 v48, v249, v107
	v_fma_f32 v4, v241, v98, -v4
	v_fmac_f32_e32 v48, v250, v106
	v_add_f32_e32 v3, v3, v4
	v_mul_f32_e32 v4, v244, v102
	v_add_f32_e32 v51, v47, v48
	ds_read_b128 v[47:50], v148 offset:912
	v_fma_f32 v4, v243, v101, -v4
	v_add_f32_e32 v3, v3, v4
	v_mul_f32_e32 v4, v246, v104
	s_waitcnt vmcnt(18)
	v_mul_f32_e32 v52, v251, v110
	v_fma_f32 v4, v245, v103, -v4
	v_fmac_f32_e32 v52, v252, v109
	v_add_f32_e32 v3, v3, v4
	v_mul_f32_e32 v4, v248, v105
	v_add_f32_e32 v55, v51, v52
	ds_read_b128 v[51:54], v148 offset:928
	v_fma_f32 v4, v247, v108, -v4
	s_waitcnt vmcnt(16) lgkmcnt(1)
	v_mul_f32_e32 v56, v47, v112
	v_add_f32_e32 v3, v3, v4
	v_mul_f32_e32 v4, v250, v107
	v_fmac_f32_e32 v56, v48, v111
	v_fma_f32 v4, v249, v106, -v4
	v_add_f32_e32 v55, v55, v56
	s_waitcnt vmcnt(15)
	v_mul_f32_e32 v56, v49, v113
	v_add_f32_e32 v3, v3, v4
	v_mul_f32_e32 v4, v252, v110
	s_waitcnt vmcnt(12)
	v_fmac_f32_e32 v56, v50, v116
	v_fma_f32 v4, v251, v109, -v4
	v_add_f32_e32 v55, v55, v56
	s_waitcnt lgkmcnt(0)
	v_mul_f32_e32 v56, v51, v115
	v_add_f32_e32 v3, v3, v4
	v_mul_f32_e32 v4, v48, v112
	v_fmac_f32_e32 v56, v52, v114
	v_fma_f32 v4, v47, v111, -v4
	v_add_f32_e32 v59, v55, v56
	ds_read_b128 v[55:58], v148 offset:944
	v_add_f32_e32 v3, v3, v4
	v_mul_f32_e32 v4, v50, v113
	v_fma_f32 v4, v49, v116, -v4
	v_add_f32_e32 v3, v3, v4
	v_mul_f32_e32 v4, v52, v115
	s_waitcnt vmcnt(10)
	v_mul_f32_e32 v60, v53, v118
	v_fma_f32 v4, v51, v114, -v4
	v_fmac_f32_e32 v60, v54, v117
	v_add_f32_e32 v3, v3, v4
	v_mul_f32_e32 v4, v54, v118
	v_add_f32_e32 v63, v59, v60
	ds_read_b128 v[59:62], v148 offset:960
	s_waitcnt vmcnt(8) lgkmcnt(1)
	v_mul_f32_e32 v64, v55, v120
	v_fma_f32 v4, v53, v117, -v4
	v_fmac_f32_e32 v64, v56, v119
	v_add_f32_e32 v3, v3, v4
	v_mul_f32_e32 v4, v56, v120
	v_add_f32_e32 v63, v63, v64
	s_waitcnt vmcnt(7)
	v_mul_f32_e32 v64, v57, v121
	v_fma_f32 v4, v55, v119, -v4
	s_waitcnt vmcnt(4)
	v_fmac_f32_e32 v64, v58, v254
	v_add_f32_e32 v3, v3, v4
	v_mul_f32_e32 v4, v58, v121
	v_add_f32_e32 v126, v63, v64
	ds_read_b64 v[63:64], v148 offset:976
	v_fma_f32 v4, v57, v254, -v4
	v_add_f32_e32 v3, v3, v4
	s_waitcnt lgkmcnt(1)
	v_mul_f32_e32 v4, v60, v253
	v_mul_f32_e32 v127, v59, v253
	v_fma_f32 v4, v59, v122, -v4
	v_fmac_f32_e32 v127, v60, v122
	v_add_f32_e32 v3, v3, v4
	s_waitcnt vmcnt(3)
	v_mul_f32_e32 v4, v62, v255
	v_add_f32_e32 v126, v126, v127
	v_mul_f32_e32 v127, v61, v255
	s_waitcnt vmcnt(0)
	v_fma_f32 v4, v61, v125, -v4
	v_fmac_f32_e32 v127, v62, v125
	v_add_f32_e32 v3, v3, v4
	s_waitcnt lgkmcnt(0)
	v_mul_f32_e32 v4, v64, v124
	v_add_f32_e32 v126, v126, v127
	v_mul_f32_e32 v127, v63, v124
	v_fma_f32 v4, v63, v123, -v4
	v_fmac_f32_e32 v127, v64, v123
	v_add_f32_e32 v3, v3, v4
	v_add_f32_e32 v126, v126, v127
	v_sub_f32_e32 v1, v1, v3
	v_sub_f32_e32 v2, v2, v126
	buffer_store_dword v1, off, s[0:3], 0 offset:24
	buffer_store_dword v2, off, s[0:3], 0 offset:28
	s_and_saveexec_b64 s[4:5], vcc
	s_cbranch_execz .LBB60_375
; %bb.374:
	buffer_load_dword v1, off, s[0:3], 0 offset:16
	buffer_load_dword v2, off, s[0:3], 0 offset:20
	s_waitcnt vmcnt(0)
	ds_write_b64 v147, v[1:2]
	buffer_store_dword v148, off, s[0:3], 0 offset:16
	buffer_store_dword v148, off, s[0:3], 0 offset:20
.LBB60_375:
	s_or_b64 exec, exec, s[4:5]
	s_waitcnt lgkmcnt(0)
	; wave barrier
	buffer_load_dword v157, off, s[0:3], 0 offset:28
	buffer_load_dword v156, off, s[0:3], 0 offset:36
	;; [unrolled: 1-line block ×34, first 2 shown]
	ds_read2_b64 v[17:20], v148 offset0:65 offset1:66
	ds_read2_b64 v[9:12], v148 offset0:67 offset1:68
	;; [unrolled: 1-line block ×4, first 2 shown]
	buffer_load_dword v183, off, s[0:3], 0 offset:156
	buffer_load_dword v184, off, s[0:3], 0 offset:160
	;; [unrolled: 1-line block ×6, first 2 shown]
	ds_read2_b64 v[21:24], v148 offset0:73 offset1:74
	ds_read2_b64 v[13:16], v148 offset0:75 offset1:76
	buffer_load_dword v188, off, s[0:3], 0 offset:176
	buffer_load_dword v190, off, s[0:3], 0 offset:180
	;; [unrolled: 1-line block ×16, first 2 shown]
	v_cmp_lt_u32_e32 vcc, 1, v0
	s_waitcnt vmcnt(55) lgkmcnt(5)
	v_mul_f32_e32 v27, v17, v157
	s_waitcnt vmcnt(54)
	v_mul_f32_e32 v28, v19, v156
	s_waitcnt vmcnt(53) lgkmcnt(4)
	v_mul_f32_e32 v29, v9, v155
	s_waitcnt vmcnt(52)
	v_mul_f32_e32 v30, v11, v154
	;; [unrolled: 4-line block ×4, first 2 shown]
	s_waitcnt vmcnt(47) lgkmcnt(1)
	v_mul_f32_e32 v35, v21, v159
	s_waitcnt vmcnt(46)
	v_fmac_f32_e32 v29, v10, v162
	s_waitcnt vmcnt(45)
	v_fmac_f32_e32 v28, v20, v165
	;; [unrolled: 2-line block ×3, first 2 shown]
	v_add_f32_e32 v27, 0, v27
	v_add_f32_e32 v27, v27, v28
	;; [unrolled: 1-line block ×3, first 2 shown]
	s_waitcnt vmcnt(40)
	v_fmac_f32_e32 v30, v12, v166
	v_fmac_f32_e32 v31, v6, v163
	v_add_f32_e32 v27, v27, v30
	v_fmac_f32_e32 v32, v8, v161
	v_add_f32_e32 v27, v27, v31
	;; [unrolled: 2-line block ×3, first 2 shown]
	s_waitcnt vmcnt(36)
	v_fmac_f32_e32 v34, v4, v173
	v_add_f32_e32 v27, v27, v33
	v_fmac_f32_e32 v35, v22, v170
	v_add_f32_e32 v27, v27, v34
	s_waitcnt vmcnt(35)
	v_mul_f32_e32 v28, v23, v171
	v_add_f32_e32 v27, v27, v35
	v_fmac_f32_e32 v28, v24, v167
	v_add_f32_e32 v27, v27, v28
	s_waitcnt vmcnt(34) lgkmcnt(0)
	v_mul_f32_e32 v28, v13, v169
	v_fmac_f32_e32 v28, v14, v164
	v_add_f32_e32 v31, v27, v28
	ds_read2_b64 v[27:30], v148 offset0:77 offset1:78
	s_waitcnt vmcnt(33)
	v_mul_f32_e32 v32, v15, v172
	s_waitcnt vmcnt(29)
	v_fmac_f32_e32 v32, v16, v180
	buffer_load_dword v70, off, s[0:3], 0 offset:240
	buffer_load_dword v71, off, s[0:3], 0 offset:244
	v_add_f32_e32 v35, v31, v32
	ds_read2_b64 v[31:34], v148 offset0:79 offset1:80
	s_waitcnt vmcnt(30) lgkmcnt(1)
	v_mul_f32_e32 v36, v27, v179
	v_fmac_f32_e32 v36, v28, v177
	v_add_f32_e32 v35, v35, v36
	s_waitcnt vmcnt(29)
	v_mul_f32_e32 v36, v29, v178
	v_fmac_f32_e32 v36, v30, v175
	v_add_f32_e32 v35, v35, v36
	s_waitcnt vmcnt(28) lgkmcnt(0)
	v_mul_f32_e32 v36, v31, v176
	v_fmac_f32_e32 v36, v32, v174
	buffer_load_dword v72, off, s[0:3], 0 offset:248
	buffer_load_dword v73, off, s[0:3], 0 offset:252
	v_add_f32_e32 v39, v35, v36
	ds_read2_b64 v[35:38], v148 offset0:81 offset1:82
	s_waitcnt vmcnt(26)
	v_mul_f32_e32 v40, v33, v182
	v_fmac_f32_e32 v40, v34, v181
	v_add_f32_e32 v43, v39, v40
	ds_read2_b64 v[39:42], v148 offset0:83 offset1:84
	s_waitcnt vmcnt(25) lgkmcnt(1)
	v_mul_f32_e32 v44, v35, v183
	s_waitcnt vmcnt(20)
	v_fmac_f32_e32 v44, v36, v189
	v_add_f32_e32 v43, v43, v44
	v_mul_f32_e32 v44, v37, v185
	v_fmac_f32_e32 v44, v38, v184
	v_add_f32_e32 v43, v43, v44
	s_waitcnt lgkmcnt(0)
	v_mul_f32_e32 v44, v39, v187
	v_fmac_f32_e32 v44, v40, v186
	buffer_load_dword v74, off, s[0:3], 0 offset:260
	buffer_load_dword v75, off, s[0:3], 0 offset:256
	;; [unrolled: 1-line block ×6, first 2 shown]
	v_add_f32_e32 v47, v43, v44
	ds_read2_b64 v[43:46], v148 offset0:85 offset1:86
	s_waitcnt vmcnt(24)
	v_mul_f32_e32 v48, v41, v190
	v_fmac_f32_e32 v48, v42, v188
	v_add_f32_e32 v51, v47, v48
	ds_read2_b64 v[47:50], v148 offset0:87 offset1:88
	s_waitcnt vmcnt(22) lgkmcnt(1)
	v_mul_f32_e32 v52, v43, v192
	v_fmac_f32_e32 v52, v44, v191
	buffer_load_dword v80, off, s[0:3], 0 offset:284
	v_add_f32_e32 v51, v51, v52
	s_waitcnt vmcnt(21)
	v_mul_f32_e32 v52, v45, v194
	v_fmac_f32_e32 v52, v46, v193
	v_add_f32_e32 v51, v51, v52
	s_waitcnt vmcnt(19) lgkmcnt(0)
	v_mul_f32_e32 v52, v47, v196
	buffer_load_dword v81, off, s[0:3], 0 offset:280
	buffer_load_dword v82, off, s[0:3], 0 offset:288
	;; [unrolled: 1-line block ×3, first 2 shown]
	v_fmac_f32_e32 v52, v48, v195
	v_add_f32_e32 v55, v51, v52
	s_waitcnt vmcnt(20)
	v_mul_f32_e32 v56, v49, v198
	ds_read2_b64 v[51:54], v148 offset0:89 offset1:90
	buffer_load_dword v84, off, s[0:3], 0 offset:296
	buffer_load_dword v85, off, s[0:3], 0 offset:300
	v_fmac_f32_e32 v56, v50, v197
	v_add_f32_e32 v59, v55, v56
	ds_read2_b64 v[55:58], v148 offset0:91 offset1:92
	buffer_load_dword v86, off, s[0:3], 0 offset:304
	buffer_load_dword v87, off, s[0:3], 0 offset:308
	;; [unrolled: 1-line block ×8, first 2 shown]
	s_waitcnt vmcnt(28) lgkmcnt(1)
	v_mul_f32_e32 v60, v51, v200
	v_fmac_f32_e32 v60, v52, v199
	buffer_load_dword v94, off, s[0:3], 0 offset:336
	buffer_load_dword v95, off, s[0:3], 0 offset:340
	v_add_f32_e32 v59, v59, v60
	s_waitcnt vmcnt(28)
	v_mul_f32_e32 v60, v53, v67
	v_fmac_f32_e32 v60, v54, v201
	v_add_f32_e32 v59, v59, v60
	s_waitcnt vmcnt(26) lgkmcnt(0)
	v_mul_f32_e32 v60, v55, v69
	v_fmac_f32_e32 v60, v56, v68
	v_add_f32_e32 v63, v59, v60
	ds_read2_b64 v[59:62], v148 offset0:93 offset1:94
	buffer_load_dword v96, off, s[0:3], 0 offset:344
	buffer_load_dword v97, off, s[0:3], 0 offset:348
	;; [unrolled: 1-line block ×6, first 2 shown]
	ds_read2_b64 v[202:205], v148 offset0:95 offset1:96
	buffer_load_dword v102, off, s[0:3], 0 offset:368
	buffer_load_dword v103, off, s[0:3], 0 offset:372
	v_mul_f32_e32 v18, v18, v157
	v_fma_f32 v17, v17, v168, -v18
	v_mul_f32_e32 v18, v20, v156
	v_add_f32_e32 v17, 0, v17
	v_fma_f32 v18, v19, v165, -v18
	v_mul_f32_e32 v10, v10, v155
	buffer_load_dword v104, off, s[0:3], 0 offset:376
	buffer_load_dword v105, off, s[0:3], 0 offset:380
	;; [unrolled: 1-line block ×6, first 2 shown]
	v_add_f32_e32 v17, v17, v18
	v_fma_f32 v9, v9, v162, -v10
	v_mul_f32_e32 v10, v12, v154
	v_add_f32_e32 v9, v17, v9
	v_fma_f32 v10, v11, v166, -v10
	v_mul_f32_e32 v6, v6, v153
	v_add_f32_e32 v9, v9, v10
	v_fma_f32 v5, v5, v163, -v6
	v_mul_f32_e32 v6, v8, v152
	buffer_load_dword v110, off, s[0:3], 0 offset:400
	buffer_load_dword v111, off, s[0:3], 0 offset:404
	v_add_f32_e32 v5, v9, v5
	v_fma_f32 v6, v7, v161, -v6
	v_mul_f32_e32 v2, v2, v151
	v_add_f32_e32 v5, v5, v6
	v_fma_f32 v1, v1, v160, -v2
	v_mul_f32_e32 v2, v4, v158
	v_add_f32_e32 v1, v5, v1
	v_fma_f32 v2, v3, v173, -v2
	v_add_f32_e32 v1, v1, v2
	v_mul_f32_e32 v2, v22, v159
	v_fma_f32 v2, v21, v170, -v2
	buffer_load_dword v112, off, s[0:3], 0 offset:408
	buffer_load_dword v113, off, s[0:3], 0 offset:412
	;; [unrolled: 1-line block ×6, first 2 shown]
	v_add_f32_e32 v1, v1, v2
	v_mul_f32_e32 v2, v24, v171
	v_fma_f32 v2, v23, v167, -v2
	v_add_f32_e32 v1, v1, v2
	v_mul_f32_e32 v2, v14, v169
	ds_read2_b64 v[206:209], v148 offset0:97 offset1:98
	buffer_load_dword v118, off, s[0:3], 0 offset:432
	buffer_load_dword v119, off, s[0:3], 0 offset:436
	v_fma_f32 v2, v13, v164, -v2
	v_add_f32_e32 v1, v1, v2
	v_mul_f32_e32 v2, v16, v172
	v_fma_f32 v2, v15, v180, -v2
	v_add_f32_e32 v1, v1, v2
	v_mul_f32_e32 v2, v28, v179
	v_fma_f32 v2, v27, v177, -v2
	ds_read2_b64 v[210:213], v148 offset0:99 offset1:100
	buffer_load_dword v120, off, s[0:3], 0 offset:440
	buffer_load_dword v121, off, s[0:3], 0 offset:444
	;; [unrolled: 1-line block ×6, first 2 shown]
	v_add_f32_e32 v1, v1, v2
	v_mul_f32_e32 v2, v30, v178
	v_fma_f32 v2, v29, v175, -v2
	v_add_f32_e32 v1, v1, v2
	v_mul_f32_e32 v2, v32, v176
	v_fma_f32 v2, v31, v174, -v2
	;; [unrolled: 3-line block ×3, first 2 shown]
	v_add_f32_e32 v1, v1, v2
	v_mul_f32_e32 v2, v36, v183
	buffer_load_dword v126, off, s[0:3], 0 offset:464
	buffer_load_dword v127, off, s[0:3], 0 offset:468
	;; [unrolled: 1-line block ×6, first 2 shown]
	v_fma_f32 v2, v35, v189, -v2
	v_add_f32_e32 v1, v1, v2
	v_mul_f32_e32 v2, v38, v185
	v_fma_f32 v2, v37, v184, -v2
	v_add_f32_e32 v1, v1, v2
	v_mul_f32_e32 v2, v40, v187
	v_fma_f32 v2, v39, v186, -v2
	v_add_f32_e32 v1, v1, v2
	v_mul_f32_e32 v2, v42, v190
	v_fma_f32 v2, v41, v188, -v2
	v_add_f32_e32 v1, v1, v2
	v_mul_f32_e32 v2, v44, v192
	v_fma_f32 v2, v43, v191, -v2
	v_add_f32_e32 v1, v1, v2
	v_mul_f32_e32 v2, v46, v194
	v_fma_f32 v2, v45, v193, -v2
	v_add_f32_e32 v1, v1, v2
	v_mul_f32_e32 v2, v48, v196
	v_fma_f32 v2, v47, v195, -v2
	v_add_f32_e32 v1, v1, v2
	v_mul_f32_e32 v2, v50, v198
	v_fma_f32 v2, v49, v197, -v2
	v_add_f32_e32 v1, v1, v2
	v_mul_f32_e32 v2, v52, v200
	v_fma_f32 v2, v51, v199, -v2
	v_add_f32_e32 v1, v1, v2
	v_mul_f32_e32 v2, v54, v67
	v_fma_f32 v2, v53, v201, -v2
	v_add_f32_e32 v1, v1, v2
	v_mul_f32_e32 v2, v56, v69
	s_waitcnt vmcnt(60)
	v_mul_f32_e32 v64, v57, v71
	v_fma_f32 v2, v55, v68, -v2
	v_fmac_f32_e32 v64, v58, v70
	v_add_f32_e32 v1, v1, v2
	v_mul_f32_e32 v2, v58, v71
	v_add_f32_e32 v63, v63, v64
	s_waitcnt vmcnt(58) lgkmcnt(3)
	v_mul_f32_e32 v64, v59, v73
	v_fma_f32 v2, v57, v70, -v2
	v_fmac_f32_e32 v64, v60, v72
	v_add_f32_e32 v1, v1, v2
	v_mul_f32_e32 v2, v60, v73
	v_add_f32_e32 v63, v63, v64
	s_waitcnt vmcnt(57)
	v_mul_f32_e32 v64, v61, v74
	v_fma_f32 v2, v59, v72, -v2
	s_waitcnt vmcnt(56)
	v_fmac_f32_e32 v64, v62, v75
	v_add_f32_e32 v1, v1, v2
	v_mul_f32_e32 v2, v62, v74
	v_add_f32_e32 v63, v63, v64
	s_waitcnt vmcnt(54) lgkmcnt(2)
	v_mul_f32_e32 v64, v202, v77
	v_fma_f32 v2, v61, v75, -v2
	v_fmac_f32_e32 v64, v203, v76
	v_add_f32_e32 v1, v1, v2
	v_mul_f32_e32 v2, v203, v77
	v_add_f32_e32 v63, v63, v64
	s_waitcnt vmcnt(52)
	v_mul_f32_e32 v64, v204, v79
	v_fma_f32 v2, v202, v76, -v2
	v_fmac_f32_e32 v64, v205, v78
	v_add_f32_e32 v1, v1, v2
	v_mul_f32_e32 v2, v205, v79
	v_add_f32_e32 v63, v63, v64
	s_waitcnt vmcnt(51) lgkmcnt(1)
	v_mul_f32_e32 v64, v206, v80
	v_fma_f32 v2, v204, v78, -v2
	s_waitcnt vmcnt(50)
	v_fmac_f32_e32 v64, v207, v81
	v_add_f32_e32 v1, v1, v2
	v_mul_f32_e32 v2, v207, v80
	v_add_f32_e32 v63, v63, v64
	s_waitcnt vmcnt(48)
	v_mul_f32_e32 v64, v208, v83
	v_fma_f32 v2, v206, v81, -v2
	v_fmac_f32_e32 v64, v209, v82
	ds_read2_b64 v[214:217], v148 offset0:101 offset1:102
	ds_read2_b64 v[218:221], v148 offset0:103 offset1:104
	v_add_f32_e32 v1, v1, v2
	v_mul_f32_e32 v2, v209, v83
	v_add_f32_e32 v63, v63, v64
	s_waitcnt vmcnt(46) lgkmcnt(2)
	v_mul_f32_e32 v64, v210, v85
	v_fma_f32 v2, v208, v82, -v2
	v_fmac_f32_e32 v64, v211, v84
	v_add_f32_e32 v1, v1, v2
	v_mul_f32_e32 v2, v211, v85
	v_add_f32_e32 v63, v63, v64
	s_waitcnt vmcnt(44)
	v_mul_f32_e32 v64, v212, v87
	v_fma_f32 v2, v210, v84, -v2
	v_fmac_f32_e32 v64, v213, v86
	v_add_f32_e32 v1, v1, v2
	v_mul_f32_e32 v2, v213, v87
	v_add_f32_e32 v63, v63, v64
	s_waitcnt vmcnt(42) lgkmcnt(1)
	v_mul_f32_e32 v64, v214, v89
	v_fma_f32 v2, v212, v86, -v2
	v_fmac_f32_e32 v64, v215, v88
	v_add_f32_e32 v1, v1, v2
	v_mul_f32_e32 v2, v215, v89
	v_add_f32_e32 v63, v63, v64
	s_waitcnt vmcnt(41)
	v_mul_f32_e32 v64, v216, v90
	v_fma_f32 v2, v214, v88, -v2
	s_waitcnt vmcnt(38)
	v_fmac_f32_e32 v64, v217, v93
	ds_read2_b64 v[222:225], v148 offset0:105 offset1:106
	ds_read2_b64 v[226:229], v148 offset0:107 offset1:108
	v_add_f32_e32 v1, v1, v2
	v_mul_f32_e32 v2, v217, v90
	v_add_f32_e32 v63, v63, v64
	s_waitcnt lgkmcnt(2)
	v_mul_f32_e32 v64, v218, v92
	v_fma_f32 v2, v216, v93, -v2
	v_fmac_f32_e32 v64, v219, v91
	v_add_f32_e32 v1, v1, v2
	v_mul_f32_e32 v2, v219, v92
	v_add_f32_e32 v63, v63, v64
	s_waitcnt vmcnt(36)
	v_mul_f32_e32 v64, v220, v95
	v_fma_f32 v2, v218, v91, -v2
	v_fmac_f32_e32 v64, v221, v94
	v_add_f32_e32 v1, v1, v2
	v_mul_f32_e32 v2, v221, v95
	v_add_f32_e32 v63, v63, v64
	s_waitcnt vmcnt(34) lgkmcnt(1)
	v_mul_f32_e32 v64, v222, v97
	v_fma_f32 v2, v220, v94, -v2
	v_fmac_f32_e32 v64, v223, v96
	v_add_f32_e32 v1, v1, v2
	v_mul_f32_e32 v2, v223, v97
	v_add_f32_e32 v63, v63, v64
	s_waitcnt vmcnt(33)
	v_mul_f32_e32 v64, v224, v98
	v_fma_f32 v2, v222, v96, -v2
	s_waitcnt vmcnt(30)
	v_fmac_f32_e32 v64, v225, v101
	ds_read2_b64 v[230:233], v148 offset0:109 offset1:110
	ds_read2_b64 v[234:237], v148 offset0:111 offset1:112
	v_add_f32_e32 v1, v1, v2
	v_mul_f32_e32 v2, v225, v98
	v_add_f32_e32 v63, v63, v64
	s_waitcnt lgkmcnt(2)
	v_mul_f32_e32 v64, v226, v100
	v_fma_f32 v2, v224, v101, -v2
	v_fmac_f32_e32 v64, v227, v99
	v_add_f32_e32 v1, v1, v2
	v_mul_f32_e32 v2, v227, v100
	v_add_f32_e32 v63, v63, v64
	s_waitcnt vmcnt(28)
	v_mul_f32_e32 v64, v228, v103
	v_fma_f32 v2, v226, v99, -v2
	v_fmac_f32_e32 v64, v229, v102
	v_add_f32_e32 v1, v1, v2
	v_mul_f32_e32 v2, v229, v103
	v_add_f32_e32 v63, v63, v64
	s_waitcnt vmcnt(26) lgkmcnt(1)
	v_mul_f32_e32 v64, v230, v105
	v_fma_f32 v2, v228, v102, -v2
	v_fmac_f32_e32 v64, v231, v104
	v_add_f32_e32 v1, v1, v2
	v_mul_f32_e32 v2, v231, v105
	v_add_f32_e32 v63, v63, v64
	s_waitcnt vmcnt(25)
	v_mul_f32_e32 v64, v232, v106
	v_fma_f32 v2, v230, v104, -v2
	s_waitcnt vmcnt(22)
	v_fmac_f32_e32 v64, v233, v109
	ds_read2_b64 v[238:241], v148 offset0:113 offset1:114
	ds_read2_b64 v[242:245], v148 offset0:115 offset1:116
	v_add_f32_e32 v1, v1, v2
	v_mul_f32_e32 v2, v233, v106
	v_add_f32_e32 v63, v63, v64
	s_waitcnt lgkmcnt(2)
	v_mul_f32_e32 v64, v234, v108
	v_fma_f32 v2, v232, v109, -v2
	v_fmac_f32_e32 v64, v235, v107
	v_add_f32_e32 v1, v1, v2
	v_mul_f32_e32 v2, v235, v108
	v_add_f32_e32 v63, v63, v64
	s_waitcnt vmcnt(20)
	v_mul_f32_e32 v64, v236, v111
	v_fma_f32 v2, v234, v107, -v2
	v_fmac_f32_e32 v64, v237, v110
	v_add_f32_e32 v1, v1, v2
	v_mul_f32_e32 v2, v237, v111
	v_add_f32_e32 v63, v63, v64
	s_waitcnt vmcnt(18) lgkmcnt(1)
	v_mul_f32_e32 v64, v238, v113
	v_fma_f32 v2, v236, v110, -v2
	v_fmac_f32_e32 v64, v239, v112
	v_add_f32_e32 v1, v1, v2
	v_mul_f32_e32 v2, v239, v113
	v_add_f32_e32 v63, v63, v64
	s_waitcnt vmcnt(17)
	v_mul_f32_e32 v64, v240, v114
	v_fma_f32 v2, v238, v112, -v2
	s_waitcnt vmcnt(14)
	v_fmac_f32_e32 v64, v241, v117
	ds_read2_b64 v[246:249], v148 offset0:117 offset1:118
	ds_read2_b64 v[250:253], v148 offset0:119 offset1:120
	v_add_f32_e32 v1, v1, v2
	v_mul_f32_e32 v2, v241, v114
	v_add_f32_e32 v63, v63, v64
	s_waitcnt lgkmcnt(2)
	v_mul_f32_e32 v64, v242, v116
	v_fma_f32 v2, v240, v117, -v2
	v_fmac_f32_e32 v64, v243, v115
	v_add_f32_e32 v1, v1, v2
	v_mul_f32_e32 v2, v243, v116
	v_add_f32_e32 v63, v63, v64
	s_waitcnt vmcnt(12)
	v_mul_f32_e32 v64, v244, v119
	v_fma_f32 v2, v242, v115, -v2
	v_fmac_f32_e32 v64, v245, v118
	v_add_f32_e32 v1, v1, v2
	v_mul_f32_e32 v2, v245, v119
	v_add_f32_e32 v63, v63, v64
	s_waitcnt vmcnt(10) lgkmcnt(1)
	v_mul_f32_e32 v64, v246, v121
	v_fma_f32 v2, v244, v118, -v2
	v_fmac_f32_e32 v64, v247, v120
	v_add_f32_e32 v1, v1, v2
	v_mul_f32_e32 v2, v247, v121
	v_add_f32_e32 v63, v63, v64
	s_waitcnt vmcnt(9)
	v_mul_f32_e32 v64, v248, v122
	v_fma_f32 v2, v246, v120, -v2
	s_waitcnt vmcnt(6)
	v_fmac_f32_e32 v64, v249, v125
	v_add_f32_e32 v1, v1, v2
	v_mul_f32_e32 v2, v249, v122
	v_add_f32_e32 v130, v63, v64
	ds_read2_b64 v[63:66], v148 offset0:121 offset1:122
	v_fma_f32 v2, v248, v125, -v2
	v_add_f32_e32 v1, v1, v2
	s_waitcnt lgkmcnt(1)
	v_mul_f32_e32 v2, v251, v124
	v_mul_f32_e32 v131, v250, v124
	v_fma_f32 v2, v250, v123, -v2
	v_fmac_f32_e32 v131, v251, v123
	v_add_f32_e32 v1, v1, v2
	s_waitcnt vmcnt(4)
	v_mul_f32_e32 v2, v253, v127
	v_add_f32_e32 v130, v130, v131
	v_mul_f32_e32 v131, v252, v127
	v_fma_f32 v2, v252, v126, -v2
	v_fmac_f32_e32 v131, v253, v126
	v_add_f32_e32 v1, v1, v2
	s_waitcnt vmcnt(3) lgkmcnt(0)
	v_mul_f32_e32 v2, v64, v128
	v_add_f32_e32 v130, v130, v131
	v_mul_f32_e32 v131, v63, v128
	s_waitcnt vmcnt(0)
	v_fma_f32 v2, v63, v129, -v2
	v_fmac_f32_e32 v131, v64, v129
	v_add_f32_e32 v1, v1, v2
	v_mul_f32_e32 v2, v66, v255
	v_add_f32_e32 v130, v130, v131
	v_mul_f32_e32 v131, v65, v255
	v_fma_f32 v2, v65, v254, -v2
	v_fmac_f32_e32 v131, v66, v254
	v_add_f32_e32 v1, v1, v2
	v_add_f32_e32 v130, v130, v131
	v_sub_f32_e32 v1, v149, v1
	v_sub_f32_e32 v2, v150, v130
	buffer_store_dword v1, off, s[0:3], 0 offset:16
	buffer_store_dword v2, off, s[0:3], 0 offset:20
	s_and_saveexec_b64 s[4:5], vcc
	s_cbranch_execz .LBB60_377
; %bb.376:
	buffer_load_dword v1, off, s[0:3], 0 offset:8
	buffer_load_dword v2, off, s[0:3], 0 offset:12
	v_mov_b32_e32 v3, 0
	buffer_store_dword v3, off, s[0:3], 0 offset:8
	buffer_store_dword v3, off, s[0:3], 0 offset:12
	s_waitcnt vmcnt(2)
	ds_write_b64 v147, v[1:2]
.LBB60_377:
	s_or_b64 exec, exec, s[4:5]
	s_waitcnt lgkmcnt(0)
	; wave barrier
	buffer_load_dword v9, off, s[0:3], 0 offset:20
	buffer_load_dword v8, off, s[0:3], 0 offset:28
	;; [unrolled: 1-line block ×56, first 2 shown]
	v_mov_b32_e32 v24, 0
	ds_read_b128 v[27:30], v24 offset:512
	ds_read_b128 v[31:34], v24 offset:528
	;; [unrolled: 1-line block ×6, first 2 shown]
	buffer_load_dword v71, off, s[0:3], 0 offset:232
	buffer_load_dword v72, off, s[0:3], 0 offset:236
	v_cmp_ne_u32_e32 vcc, 0, v0
	s_waitcnt vmcnt(57) lgkmcnt(5)
	v_mul_f32_e32 v51, v27, v9
	s_waitcnt vmcnt(56)
	v_mul_f32_e32 v52, v29, v8
	s_waitcnt vmcnt(55) lgkmcnt(4)
	v_mul_f32_e32 v53, v31, v7
	s_waitcnt vmcnt(54)
	v_mul_f32_e32 v54, v33, v6
	;; [unrolled: 4-line block ×4, first 2 shown]
	s_waitcnt vmcnt(49) lgkmcnt(1)
	v_mul_f32_e32 v59, v43, v11
	s_waitcnt vmcnt(48)
	v_fmac_f32_e32 v53, v32, v14
	s_waitcnt vmcnt(47)
	v_fmac_f32_e32 v52, v30, v17
	;; [unrolled: 2-line block ×3, first 2 shown]
	v_add_f32_e32 v51, 0, v51
	v_add_f32_e32 v51, v51, v52
	;; [unrolled: 1-line block ×3, first 2 shown]
	s_waitcnt vmcnt(42)
	v_fmac_f32_e32 v54, v34, v18
	v_fmac_f32_e32 v55, v36, v15
	v_add_f32_e32 v51, v51, v54
	v_fmac_f32_e32 v56, v38, v13
	v_add_f32_e32 v51, v51, v55
	v_fmac_f32_e32 v57, v40, v12
	v_add_f32_e32 v51, v51, v56
	s_waitcnt vmcnt(38)
	v_fmac_f32_e32 v58, v42, v149
	v_add_f32_e32 v51, v51, v57
	v_add_f32_e32 v51, v51, v58
	v_fmac_f32_e32 v59, v44, v22
	s_waitcnt vmcnt(37)
	v_mul_f32_e32 v52, v45, v23
	v_add_f32_e32 v51, v51, v59
	v_fmac_f32_e32 v52, v46, v19
	v_add_f32_e32 v51, v51, v52
	s_waitcnt vmcnt(36) lgkmcnt(0)
	v_mul_f32_e32 v52, v47, v21
	v_fmac_f32_e32 v52, v48, v16
	v_add_f32_e32 v55, v51, v52
	ds_read_b128 v[51:54], v24 offset:608
	s_waitcnt vmcnt(35)
	v_mul_f32_e32 v56, v49, v148
	s_waitcnt vmcnt(30)
	v_fmac_f32_e32 v56, v50, v157
	v_add_f32_e32 v59, v55, v56
	ds_read_b128 v[55:58], v24 offset:624
	s_waitcnt vmcnt(29) lgkmcnt(1)
	v_mul_f32_e32 v60, v51, v156
	v_fmac_f32_e32 v60, v52, v153
	buffer_load_dword v73, off, s[0:3], 0 offset:240
	buffer_load_dword v74, off, s[0:3], 0 offset:244
	v_add_f32_e32 v59, v59, v60
	s_waitcnt vmcnt(30)
	v_mul_f32_e32 v60, v53, v154
	v_fmac_f32_e32 v60, v54, v152
	v_add_f32_e32 v59, v59, v60
	s_waitcnt lgkmcnt(0)
	v_mul_f32_e32 v60, v55, v151
	buffer_load_dword v75, off, s[0:3], 0 offset:248
	buffer_load_dword v76, off, s[0:3], 0 offset:252
	v_fmac_f32_e32 v60, v56, v150
	v_add_f32_e32 v63, v59, v60
	s_waitcnt vmcnt(28)
	v_mul_f32_e32 v64, v57, v158
	ds_read_b128 v[59:62], v24 offset:640
	buffer_load_dword v77, off, s[0:3], 0 offset:256
	buffer_load_dword v78, off, s[0:3], 0 offset:260
	v_fmac_f32_e32 v64, v58, v155
	v_add_f32_e32 v67, v63, v64
	ds_read_b128 v[63:66], v24 offset:656
	buffer_load_dword v79, off, s[0:3], 0 offset:264
	buffer_load_dword v80, off, s[0:3], 0 offset:268
	ds_read_b128 v[181:184], v24 offset:672
	buffer_load_dword v81, off, s[0:3], 0 offset:272
	buffer_load_dword v82, off, s[0:3], 0 offset:276
	;; [unrolled: 3-line block ×3, first 2 shown]
	buffer_load_dword v85, off, s[0:3], 0 offset:288
	buffer_load_dword v86, off, s[0:3], 0 offset:292
	ds_read_b128 v[189:192], v24 offset:704
	ds_read_b128 v[193:196], v24 offset:720
	buffer_load_dword v87, off, s[0:3], 0 offset:296
	buffer_load_dword v88, off, s[0:3], 0 offset:300
	;; [unrolled: 1-line block ×10, first 2 shown]
	ds_read_b128 v[197:200], v24 offset:736
	buffer_load_dword v97, off, s[0:3], 0 offset:336
	buffer_load_dword v98, off, s[0:3], 0 offset:340
	buffer_load_dword v99, off, s[0:3], 0 offset:348
	buffer_load_dword v100, off, s[0:3], 0 offset:352
	buffer_load_dword v101, off, s[0:3], 0 offset:356
	buffer_load_dword v102, off, s[0:3], 0 offset:344
	ds_read_b128 v[201:204], v24 offset:752
	buffer_load_dword v103, off, s[0:3], 0 offset:360
	buffer_load_dword v104, off, s[0:3], 0 offset:364
	v_mul_f32_e32 v9, v28, v9
	v_fma_f32 v9, v27, v20, -v9
	v_mul_f32_e32 v8, v30, v8
	buffer_load_dword v105, off, s[0:3], 0 offset:368
	buffer_load_dword v106, off, s[0:3], 0 offset:372
	;; [unrolled: 1-line block ×6, first 2 shown]
	v_add_f32_e32 v9, 0, v9
	v_fma_f32 v8, v29, v17, -v8
	v_mul_f32_e32 v7, v32, v7
	v_add_f32_e32 v8, v9, v8
	v_fma_f32 v7, v31, v14, -v7
	v_mul_f32_e32 v6, v34, v6
	v_add_f32_e32 v7, v8, v7
	v_fma_f32 v6, v33, v18, -v6
	v_mul_f32_e32 v5, v36, v5
	buffer_load_dword v111, off, s[0:3], 0 offset:392
	buffer_load_dword v112, off, s[0:3], 0 offset:396
	v_add_f32_e32 v6, v7, v6
	v_fma_f32 v5, v35, v15, -v5
	v_mul_f32_e32 v4, v38, v4
	v_add_f32_e32 v5, v6, v5
	v_fma_f32 v4, v37, v13, -v4
	v_mul_f32_e32 v3, v40, v3
	v_add_f32_e32 v4, v5, v4
	v_fma_f32 v3, v39, v12, -v3
	v_add_f32_e32 v3, v4, v3
	v_mul_f32_e32 v4, v42, v10
	v_fma_f32 v4, v41, v149, -v4
	ds_read_b128 v[205:208], v24 offset:768
	buffer_load_dword v113, off, s[0:3], 0 offset:400
	buffer_load_dword v114, off, s[0:3], 0 offset:404
	;; [unrolled: 1-line block ×6, first 2 shown]
	v_add_f32_e32 v3, v3, v4
	v_mul_f32_e32 v4, v44, v11
	v_fma_f32 v4, v43, v22, -v4
	v_add_f32_e32 v3, v3, v4
	v_mul_f32_e32 v4, v46, v23
	ds_read_b128 v[209:212], v24 offset:784
	buffer_load_dword v119, off, s[0:3], 0 offset:424
	buffer_load_dword v120, off, s[0:3], 0 offset:428
	v_fma_f32 v4, v45, v19, -v4
	v_add_f32_e32 v3, v3, v4
	v_mul_f32_e32 v4, v48, v21
	v_fma_f32 v4, v47, v16, -v4
	v_add_f32_e32 v3, v3, v4
	v_mul_f32_e32 v4, v50, v148
	v_fma_f32 v4, v49, v157, -v4
	buffer_load_dword v121, off, s[0:3], 0 offset:432
	buffer_load_dword v122, off, s[0:3], 0 offset:436
	;; [unrolled: 1-line block ×6, first 2 shown]
	v_add_f32_e32 v3, v3, v4
	v_mul_f32_e32 v4, v52, v156
	v_fma_f32 v4, v51, v153, -v4
	v_add_f32_e32 v3, v3, v4
	v_mul_f32_e32 v4, v54, v154
	v_fma_f32 v4, v53, v152, -v4
	v_add_f32_e32 v3, v3, v4
	v_mul_f32_e32 v4, v56, v151
	s_waitcnt vmcnt(62) lgkmcnt(9)
	v_mul_f32_e32 v68, v59, v160
	buffer_load_dword v127, off, s[0:3], 0 offset:456
	buffer_load_dword v128, off, s[0:3], 0 offset:460
	v_fma_f32 v4, v55, v150, -v4
	v_fmac_f32_e32 v68, v60, v159
	v_add_f32_e32 v3, v3, v4
	v_mul_f32_e32 v4, v58, v158
	v_add_f32_e32 v67, v67, v68
	v_mul_f32_e32 v68, v61, v162
	v_fma_f32 v4, v57, v155, -v4
	v_fmac_f32_e32 v68, v62, v161
	v_add_f32_e32 v3, v3, v4
	v_mul_f32_e32 v4, v60, v160
	v_add_f32_e32 v67, v67, v68
	s_waitcnt lgkmcnt(8)
	v_mul_f32_e32 v68, v63, v164
	v_fma_f32 v4, v59, v159, -v4
	v_fmac_f32_e32 v68, v64, v163
	v_add_f32_e32 v3, v3, v4
	v_mul_f32_e32 v4, v62, v162
	v_add_f32_e32 v67, v67, v68
	v_mul_f32_e32 v68, v65, v166
	buffer_load_dword v129, off, s[0:3], 0 offset:464
	buffer_load_dword v130, off, s[0:3], 0 offset:468
	;; [unrolled: 1-line block ×6, first 2 shown]
	v_fma_f32 v4, v61, v161, -v4
	v_fmac_f32_e32 v68, v66, v165
	v_add_f32_e32 v3, v3, v4
	v_mul_f32_e32 v4, v64, v164
	v_add_f32_e32 v67, v67, v68
	s_waitcnt lgkmcnt(7)
	v_mul_f32_e32 v68, v181, v168
	v_fma_f32 v4, v63, v163, -v4
	v_fmac_f32_e32 v68, v182, v167
	v_add_f32_e32 v3, v3, v4
	v_mul_f32_e32 v4, v66, v166
	v_add_f32_e32 v67, v67, v68
	v_mul_f32_e32 v68, v183, v170
	v_fma_f32 v4, v65, v165, -v4
	v_fmac_f32_e32 v68, v184, v169
	v_add_f32_e32 v3, v3, v4
	v_mul_f32_e32 v4, v182, v168
	v_add_f32_e32 v67, v67, v68
	s_waitcnt lgkmcnt(6)
	v_mul_f32_e32 v68, v185, v172
	v_fma_f32 v4, v181, v167, -v4
	v_fmac_f32_e32 v68, v186, v171
	v_add_f32_e32 v3, v3, v4
	v_mul_f32_e32 v4, v184, v170
	v_add_f32_e32 v67, v67, v68
	v_mul_f32_e32 v68, v187, v174
	v_fma_f32 v4, v183, v169, -v4
	v_fmac_f32_e32 v68, v188, v173
	v_add_f32_e32 v3, v3, v4
	v_mul_f32_e32 v4, v186, v172
	v_add_f32_e32 v67, v67, v68
	s_waitcnt vmcnt(62) lgkmcnt(5)
	v_mul_f32_e32 v68, v189, v176
	v_fma_f32 v4, v185, v171, -v4
	v_fmac_f32_e32 v68, v190, v175
	v_add_f32_e32 v3, v3, v4
	v_mul_f32_e32 v4, v188, v174
	v_add_f32_e32 v67, v67, v68
	v_mul_f32_e32 v68, v191, v178
	v_fma_f32 v4, v187, v173, -v4
	v_fmac_f32_e32 v68, v192, v177
	v_add_f32_e32 v3, v3, v4
	v_mul_f32_e32 v4, v190, v176
	v_add_f32_e32 v67, v67, v68
	s_waitcnt lgkmcnt(4)
	v_mul_f32_e32 v68, v193, v180
	v_fma_f32 v4, v189, v175, -v4
	v_fmac_f32_e32 v68, v194, v179
	v_add_f32_e32 v3, v3, v4
	v_mul_f32_e32 v4, v192, v178
	v_add_f32_e32 v67, v67, v68
	v_mul_f32_e32 v68, v195, v72
	v_fma_f32 v4, v191, v177, -v4
	v_fmac_f32_e32 v68, v196, v71
	v_add_f32_e32 v3, v3, v4
	v_mul_f32_e32 v4, v194, v180
	v_add_f32_e32 v67, v67, v68
	s_waitcnt vmcnt(60) lgkmcnt(3)
	v_mul_f32_e32 v68, v197, v74
	v_fma_f32 v4, v193, v179, -v4
	v_fmac_f32_e32 v68, v198, v73
	v_add_f32_e32 v3, v3, v4
	v_mul_f32_e32 v4, v196, v72
	v_add_f32_e32 v67, v67, v68
	s_waitcnt vmcnt(58)
	v_mul_f32_e32 v68, v199, v76
	v_fma_f32 v4, v195, v71, -v4
	v_fmac_f32_e32 v68, v200, v75
	v_add_f32_e32 v3, v3, v4
	v_mul_f32_e32 v4, v198, v74
	v_add_f32_e32 v67, v67, v68
	s_waitcnt vmcnt(56) lgkmcnt(2)
	v_mul_f32_e32 v68, v201, v78
	v_fma_f32 v4, v197, v73, -v4
	v_fmac_f32_e32 v68, v202, v77
	v_add_f32_e32 v3, v3, v4
	v_mul_f32_e32 v4, v200, v76
	v_add_f32_e32 v67, v67, v68
	s_waitcnt vmcnt(54)
	;; [unrolled: 14-line block ×3, first 2 shown]
	v_mul_f32_e32 v68, v207, v83
	v_fma_f32 v4, v203, v79, -v4
	s_waitcnt vmcnt(50)
	v_fmac_f32_e32 v68, v208, v84
	ds_read_b128 v[213:216], v24 offset:800
	ds_read_b128 v[217:220], v24 offset:816
	v_add_f32_e32 v3, v3, v4
	v_mul_f32_e32 v4, v206, v82
	v_add_f32_e32 v67, v67, v68
	s_waitcnt vmcnt(48) lgkmcnt(2)
	v_mul_f32_e32 v68, v209, v86
	v_fma_f32 v4, v205, v81, -v4
	v_fmac_f32_e32 v68, v210, v85
	v_add_f32_e32 v3, v3, v4
	v_mul_f32_e32 v4, v208, v83
	v_add_f32_e32 v67, v67, v68
	s_waitcnt vmcnt(46)
	v_mul_f32_e32 v68, v211, v88
	v_fma_f32 v4, v207, v84, -v4
	v_fmac_f32_e32 v68, v212, v87
	v_add_f32_e32 v3, v3, v4
	v_mul_f32_e32 v4, v210, v86
	v_add_f32_e32 v67, v67, v68
	s_waitcnt vmcnt(44) lgkmcnt(1)
	v_mul_f32_e32 v68, v213, v90
	v_fma_f32 v4, v209, v85, -v4
	v_fmac_f32_e32 v68, v214, v89
	v_add_f32_e32 v3, v3, v4
	v_mul_f32_e32 v4, v212, v88
	v_add_f32_e32 v67, v67, v68
	s_waitcnt vmcnt(43)
	v_mul_f32_e32 v68, v215, v91
	v_fma_f32 v4, v211, v87, -v4
	s_waitcnt vmcnt(40)
	v_fmac_f32_e32 v68, v216, v94
	ds_read_b128 v[221:224], v24 offset:832
	ds_read_b128 v[225:228], v24 offset:848
	v_add_f32_e32 v3, v3, v4
	v_mul_f32_e32 v4, v214, v90
	v_add_f32_e32 v67, v67, v68
	s_waitcnt lgkmcnt(2)
	v_mul_f32_e32 v68, v217, v93
	v_fma_f32 v4, v213, v89, -v4
	v_fmac_f32_e32 v68, v218, v92
	v_add_f32_e32 v3, v3, v4
	v_mul_f32_e32 v4, v216, v91
	v_add_f32_e32 v67, v67, v68
	s_waitcnt vmcnt(38)
	v_mul_f32_e32 v68, v219, v96
	v_fma_f32 v4, v215, v94, -v4
	v_fmac_f32_e32 v68, v220, v95
	v_add_f32_e32 v3, v3, v4
	v_mul_f32_e32 v4, v218, v93
	v_add_f32_e32 v67, v67, v68
	s_waitcnt vmcnt(36) lgkmcnt(1)
	v_mul_f32_e32 v68, v221, v98
	v_fma_f32 v4, v217, v92, -v4
	v_fmac_f32_e32 v68, v222, v97
	v_add_f32_e32 v3, v3, v4
	v_mul_f32_e32 v4, v220, v96
	v_add_f32_e32 v67, v67, v68
	s_waitcnt vmcnt(35)
	v_mul_f32_e32 v68, v223, v99
	v_fma_f32 v4, v219, v95, -v4
	s_waitcnt vmcnt(32)
	v_fmac_f32_e32 v68, v224, v102
	ds_read_b128 v[229:232], v24 offset:864
	ds_read_b128 v[233:236], v24 offset:880
	v_add_f32_e32 v3, v3, v4
	v_mul_f32_e32 v4, v222, v98
	v_add_f32_e32 v67, v67, v68
	s_waitcnt lgkmcnt(2)
	;; [unrolled: 31-line block ×4, first 2 shown]
	v_mul_f32_e32 v68, v241, v117
	v_fma_f32 v4, v237, v113, -v4
	v_fmac_f32_e32 v68, v242, v116
	v_add_f32_e32 v3, v3, v4
	v_mul_f32_e32 v4, v240, v115
	v_add_f32_e32 v67, v67, v68
	s_waitcnt vmcnt(14)
	v_mul_f32_e32 v68, v243, v120
	v_fma_f32 v4, v239, v118, -v4
	v_fmac_f32_e32 v68, v244, v119
	v_add_f32_e32 v3, v3, v4
	v_mul_f32_e32 v4, v242, v117
	v_add_f32_e32 v67, v67, v68
	s_waitcnt vmcnt(12) lgkmcnt(1)
	v_mul_f32_e32 v68, v245, v122
	v_fma_f32 v4, v241, v116, -v4
	v_fmac_f32_e32 v68, v246, v121
	v_add_f32_e32 v3, v3, v4
	v_mul_f32_e32 v4, v244, v120
	v_add_f32_e32 v67, v67, v68
	s_waitcnt vmcnt(11)
	v_mul_f32_e32 v68, v247, v123
	v_fma_f32 v4, v243, v119, -v4
	s_waitcnt vmcnt(8)
	v_fmac_f32_e32 v68, v248, v126
	v_add_f32_e32 v3, v3, v4
	v_mul_f32_e32 v4, v246, v122
	v_add_f32_e32 v67, v67, v68
	s_waitcnt lgkmcnt(0)
	v_mul_f32_e32 v68, v249, v125
	v_fma_f32 v4, v245, v121, -v4
	v_fmac_f32_e32 v68, v250, v124
	v_add_f32_e32 v3, v3, v4
	v_mul_f32_e32 v4, v248, v123
	v_add_f32_e32 v134, v67, v68
	ds_read_b128 v[67:70], v24 offset:960
	v_fma_f32 v4, v247, v126, -v4
	v_add_f32_e32 v3, v3, v4
	v_mul_f32_e32 v4, v250, v125
	s_waitcnt vmcnt(6)
	v_mul_f32_e32 v253, v251, v128
	v_fma_f32 v4, v249, v124, -v4
	v_fmac_f32_e32 v253, v252, v127
	v_add_f32_e32 v3, v3, v4
	v_mul_f32_e32 v4, v252, v128
	v_add_f32_e32 v134, v134, v253
	ds_read_b64 v[253:254], v24 offset:976
	v_fma_f32 v4, v251, v127, -v4
	v_add_f32_e32 v3, v3, v4
	s_waitcnt vmcnt(4) lgkmcnt(1)
	v_mul_f32_e32 v4, v68, v130
	v_mul_f32_e32 v135, v67, v130
	v_fma_f32 v4, v67, v129, -v4
	v_fmac_f32_e32 v135, v68, v129
	v_add_f32_e32 v3, v3, v4
	s_waitcnt vmcnt(3)
	v_mul_f32_e32 v4, v70, v131
	v_add_f32_e32 v134, v134, v135
	v_mul_f32_e32 v135, v69, v131
	s_waitcnt vmcnt(0)
	v_fma_f32 v4, v69, v133, -v4
	v_fmac_f32_e32 v135, v70, v133
	v_add_f32_e32 v3, v3, v4
	s_waitcnt lgkmcnt(0)
	v_mul_f32_e32 v4, v254, v255
	v_add_f32_e32 v134, v134, v135
	v_mul_f32_e32 v135, v253, v255
	v_fma_f32 v4, v253, v132, -v4
	v_fmac_f32_e32 v135, v254, v132
	v_add_f32_e32 v3, v3, v4
	v_add_f32_e32 v134, v134, v135
	v_sub_f32_e32 v1, v1, v3
	v_sub_f32_e32 v2, v2, v134
	buffer_store_dword v1, off, s[0:3], 0 offset:8
	buffer_store_dword v2, off, s[0:3], 0 offset:12
	s_and_saveexec_b64 s[4:5], vcc
	s_cbranch_execz .LBB60_379
; %bb.378:
	buffer_load_dword v0, off, s[0:3], 0
	buffer_load_dword v1, off, s[0:3], 0 offset:4
	s_waitcnt vmcnt(0)
	ds_write_b64 v147, v[0:1]
	buffer_store_dword v24, off, s[0:3], 0
	buffer_store_dword v24, off, s[0:3], 0 offset:4
.LBB60_379:
	s_or_b64 exec, exec, s[4:5]
	s_waitcnt lgkmcnt(0)
	; wave barrier
	buffer_load_dword v155, off, s[0:3], 0 offset:12
	buffer_load_dword v154, off, s[0:3], 0 offset:20
	;; [unrolled: 1-line block ×30, first 2 shown]
	buffer_load_dword v147, off, s[0:3], 0
	buffer_load_dword v148, off, s[0:3], 0 offset:4
	buffer_load_dword v179, off, s[0:3], 0 offset:132
	;; [unrolled: 1-line block ×9, first 2 shown]
	ds_read2_b64 v[20:23], v24 offset0:63 offset1:64
	ds_read2_b64 v[16:19], v24 offset0:65 offset1:66
	;; [unrolled: 1-line block ×6, first 2 shown]
	buffer_load_dword v186, off, s[0:3], 0 offset:160
	buffer_load_dword v188, off, s[0:3], 0 offset:164
	buffer_load_dword v189, off, s[0:3], 0 offset:168
	buffer_load_dword v190, off, s[0:3], 0 offset:172
	buffer_load_dword v191, off, s[0:3], 0 offset:176
	buffer_load_dword v192, off, s[0:3], 0 offset:180
	buffer_load_dword v193, off, s[0:3], 0 offset:184
	buffer_load_dword v194, off, s[0:3], 0 offset:188
	buffer_load_dword v195, off, s[0:3], 0 offset:192
	buffer_load_dword v196, off, s[0:3], 0 offset:196
	buffer_load_dword v197, off, s[0:3], 0 offset:200
	buffer_load_dword v198, off, s[0:3], 0 offset:204
	buffer_load_dword v199, off, s[0:3], 0 offset:208
	buffer_load_dword v200, off, s[0:3], 0 offset:212
	buffer_load_dword v201, off, s[0:3], 0 offset:216
	buffer_load_dword v202, off, s[0:3], 0 offset:220
	buffer_load_dword v71, off, s[0:3], 0 offset:224
	buffer_load_dword v72, off, s[0:3], 0 offset:228
	buffer_load_dword v73, off, s[0:3], 0 offset:236
	s_and_b64 vcc, exec, s[22:23]
	s_waitcnt vmcnt(58) lgkmcnt(5)
	v_mul_f32_e32 v27, v20, v155
	s_waitcnt vmcnt(57)
	v_mul_f32_e32 v28, v22, v154
	s_waitcnt vmcnt(56) lgkmcnt(4)
	v_mul_f32_e32 v29, v16, v153
	s_waitcnt vmcnt(55)
	v_mul_f32_e32 v30, v18, v152
	;; [unrolled: 4-line block ×4, first 2 shown]
	s_waitcnt vmcnt(50) lgkmcnt(1)
	v_mul_f32_e32 v35, v4, v157
	s_waitcnt vmcnt(49)
	v_fmac_f32_e32 v29, v17, v160
	s_waitcnt vmcnt(48)
	v_fmac_f32_e32 v28, v23, v163
	s_waitcnt vmcnt(47)
	v_fmac_f32_e32 v27, v21, v166
	v_add_f32_e32 v27, 0, v27
	v_add_f32_e32 v27, v27, v28
	;; [unrolled: 1-line block ×3, first 2 shown]
	s_waitcnt vmcnt(43)
	v_fmac_f32_e32 v30, v19, v164
	v_fmac_f32_e32 v31, v13, v161
	v_add_f32_e32 v27, v27, v30
	v_fmac_f32_e32 v32, v15, v159
	v_add_f32_e32 v27, v27, v31
	;; [unrolled: 2-line block ×3, first 2 shown]
	s_waitcnt vmcnt(39)
	v_fmac_f32_e32 v34, v11, v171
	v_add_f32_e32 v27, v27, v33
	v_fmac_f32_e32 v35, v5, v168
	v_add_f32_e32 v27, v27, v34
	s_waitcnt vmcnt(38)
	v_mul_f32_e32 v28, v6, v169
	v_add_f32_e32 v27, v27, v35
	v_fmac_f32_e32 v28, v7, v165
	v_add_f32_e32 v27, v27, v28
	s_waitcnt vmcnt(37) lgkmcnt(0)
	v_mul_f32_e32 v28, v0, v167
	v_fmac_f32_e32 v28, v1, v162
	v_add_f32_e32 v31, v27, v28
	ds_read2_b64 v[27:30], v24 offset0:75 offset1:76
	s_waitcnt vmcnt(36)
	v_mul_f32_e32 v32, v2, v170
	s_waitcnt vmcnt(30)
	v_fmac_f32_e32 v32, v3, v178
	v_add_f32_e32 v35, v31, v32
	ds_read2_b64 v[31:34], v24 offset0:77 offset1:78
	s_waitcnt vmcnt(29) lgkmcnt(1)
	v_mul_f32_e32 v36, v27, v177
	v_fmac_f32_e32 v36, v28, v176
	v_add_f32_e32 v35, v35, v36
	v_mul_f32_e32 v36, v29, v173
	v_fmac_f32_e32 v36, v30, v172
	buffer_load_dword v74, off, s[0:3], 0 offset:232
	buffer_load_dword v75, off, s[0:3], 0 offset:240
	;; [unrolled: 1-line block ×3, first 2 shown]
	v_add_f32_e32 v35, v35, v36
	s_waitcnt lgkmcnt(0)
	v_mul_f32_e32 v36, v31, v175
	v_fmac_f32_e32 v36, v32, v174
	buffer_load_dword v77, off, s[0:3], 0 offset:248
	buffer_load_dword v78, off, s[0:3], 0 offset:252
	s_waitcnt vmcnt(31)
	v_mul_f32_e32 v40, v33, v179
	v_add_f32_e32 v39, v35, v36
	s_waitcnt vmcnt(24)
	v_fmac_f32_e32 v40, v34, v187
	ds_read2_b64 v[35:38], v24 offset0:79 offset1:80
	v_add_f32_e32 v43, v39, v40
	ds_read2_b64 v[39:42], v24 offset0:81 offset1:82
	buffer_load_dword v79, off, s[0:3], 0 offset:256
	buffer_load_dword v80, off, s[0:3], 0 offset:260
	;; [unrolled: 1-line block ×4, first 2 shown]
	s_waitcnt lgkmcnt(1)
	v_mul_f32_e32 v44, v35, v181
	v_fmac_f32_e32 v44, v36, v180
	v_add_f32_e32 v43, v43, v44
	v_mul_f32_e32 v44, v37, v183
	v_fmac_f32_e32 v44, v38, v182
	v_add_f32_e32 v43, v43, v44
	s_waitcnt lgkmcnt(0)
	v_mul_f32_e32 v44, v39, v185
	v_fmac_f32_e32 v44, v40, v184
	s_waitcnt vmcnt(26)
	v_mul_f32_e32 v48, v41, v188
	v_add_f32_e32 v47, v43, v44
	v_fmac_f32_e32 v48, v42, v186
	ds_read2_b64 v[43:46], v24 offset0:83 offset1:84
	v_add_f32_e32 v51, v47, v48
	ds_read2_b64 v[47:50], v24 offset0:85 offset1:86
	buffer_load_dword v83, off, s[0:3], 0 offset:272
	buffer_load_dword v84, off, s[0:3], 0 offset:276
	;; [unrolled: 1-line block ×4, first 2 shown]
	s_waitcnt vmcnt(28) lgkmcnt(1)
	v_mul_f32_e32 v52, v43, v190
	v_fmac_f32_e32 v52, v44, v189
	v_add_f32_e32 v51, v51, v52
	s_waitcnt vmcnt(26)
	v_mul_f32_e32 v52, v45, v192
	v_fmac_f32_e32 v52, v46, v191
	v_add_f32_e32 v51, v51, v52
	s_waitcnt vmcnt(24) lgkmcnt(0)
	v_mul_f32_e32 v52, v47, v194
	v_fmac_f32_e32 v52, v48, v193
	v_add_f32_e32 v55, v51, v52
	ds_read2_b64 v[51:54], v24 offset0:87 offset1:88
	buffer_load_dword v87, off, s[0:3], 0 offset:288
	buffer_load_dword v88, off, s[0:3], 0 offset:292
	s_waitcnt vmcnt(24)
	v_mul_f32_e32 v56, v49, v196
	v_fmac_f32_e32 v56, v50, v195
	v_add_f32_e32 v59, v55, v56
	ds_read2_b64 v[55:58], v24 offset0:89 offset1:90
	s_waitcnt vmcnt(22) lgkmcnt(1)
	v_mul_f32_e32 v60, v51, v198
	v_fmac_f32_e32 v60, v52, v197
	buffer_load_dword v89, off, s[0:3], 0 offset:296
	buffer_load_dword v90, off, s[0:3], 0 offset:300
	;; [unrolled: 1-line block ×6, first 2 shown]
	v_add_f32_e32 v59, v59, v60
	s_waitcnt vmcnt(26)
	v_mul_f32_e32 v60, v53, v200
	v_fmac_f32_e32 v60, v54, v199
	v_add_f32_e32 v59, v59, v60
	s_waitcnt vmcnt(24) lgkmcnt(0)
	v_mul_f32_e32 v60, v55, v202
	v_fmac_f32_e32 v60, v56, v201
	v_add_f32_e32 v63, v59, v60
	ds_read2_b64 v[59:62], v24 offset0:91 offset1:92
	buffer_load_dword v95, off, s[0:3], 0 offset:320
	buffer_load_dword v96, off, s[0:3], 0 offset:324
	s_waitcnt vmcnt(24)
	v_mul_f32_e32 v64, v57, v72
	v_fmac_f32_e32 v64, v58, v71
	v_add_f32_e32 v67, v63, v64
	ds_read2_b64 v[63:66], v24 offset0:93 offset1:94
	buffer_load_dword v97, off, s[0:3], 0 offset:328
	buffer_load_dword v98, off, s[0:3], 0 offset:332
	;; [unrolled: 1-line block ×14, first 2 shown]
	s_waitcnt vmcnt(37) lgkmcnt(1)
	v_mul_f32_e32 v68, v59, v73
	buffer_load_dword v113, off, s[0:3], 0 offset:384
	buffer_load_dword v114, off, s[0:3], 0 offset:388
	v_mul_f32_e32 v21, v21, v155
	v_fma_f32 v20, v20, v166, -v21
	v_mul_f32_e32 v21, v23, v154
	v_add_f32_e32 v20, 0, v20
	v_fma_f32 v21, v22, v163, -v21
	v_mul_f32_e32 v17, v17, v153
	v_add_f32_e32 v20, v20, v21
	;; [unrolled: 3-line block ×4, first 2 shown]
	s_waitcnt vmcnt(38)
	v_fmac_f32_e32 v68, v60, v74
	v_add_f32_e32 v67, v67, v68
	s_waitcnt vmcnt(36)
	v_mul_f32_e32 v68, v61, v76
	v_fmac_f32_e32 v68, v62, v75
	v_add_f32_e32 v67, v67, v68
	v_fma_f32 v12, v12, v161, -v13
	s_waitcnt vmcnt(34) lgkmcnt(0)
	v_mul_f32_e32 v68, v63, v78
	v_fmac_f32_e32 v68, v64, v77
	v_add_f32_e32 v111, v67, v68
	ds_read2_b64 v[67:70], v24 offset0:95 offset1:96
	v_mul_f32_e32 v13, v15, v150
	v_add_f32_e32 v12, v16, v12
	v_fma_f32 v13, v14, v159, -v13
	s_waitcnt vmcnt(32)
	v_mul_f32_e32 v112, v65, v80
	v_fmac_f32_e32 v112, v66, v79
	v_add_f32_e32 v111, v111, v112
	buffer_load_dword v112, off, s[0:3], 0 offset:392
	buffer_load_dword v115, off, s[0:3], 0 offset:396
	;; [unrolled: 1-line block ×6, first 2 shown]
	s_waitcnt vmcnt(36) lgkmcnt(0)
	v_mul_f32_e32 v120, v67, v82
	v_fmac_f32_e32 v120, v68, v81
	v_mul_f32_e32 v9, v9, v149
	ds_read2_b64 v[203:206], v24 offset0:97 offset1:98
	v_add_f32_e32 v111, v111, v120
	buffer_load_dword v120, off, s[0:3], 0 offset:416
	buffer_load_dword v121, off, s[0:3], 0 offset:420
	v_add_f32_e32 v12, v12, v13
	v_fma_f32 v8, v8, v158, -v9
	v_mul_f32_e32 v9, v11, v156
	v_add_f32_e32 v8, v12, v8
	v_fma_f32 v9, v10, v171, -v9
	v_mul_f32_e32 v5, v5, v157
	;; [unrolled: 3-line block ×5, first 2 shown]
	v_add_f32_e32 v0, v4, v0
	v_fma_f32 v1, v2, v178, -v1
	buffer_load_dword v123, off, s[0:3], 0 offset:424
	buffer_load_dword v124, off, s[0:3], 0 offset:428
	;; [unrolled: 1-line block ×6, first 2 shown]
	v_add_f32_e32 v0, v0, v1
	v_mul_f32_e32 v1, v28, v177
	s_waitcnt vmcnt(42)
	v_mul_f32_e32 v122, v69, v84
	v_fma_f32 v1, v27, v176, -v1
	v_fmac_f32_e32 v122, v70, v83
	v_add_f32_e32 v0, v0, v1
	v_mul_f32_e32 v1, v30, v173
	v_add_f32_e32 v111, v111, v122
	s_waitcnt vmcnt(40) lgkmcnt(0)
	v_mul_f32_e32 v122, v203, v86
	v_fma_f32 v1, v29, v172, -v1
	v_fmac_f32_e32 v122, v204, v85
	v_add_f32_e32 v0, v0, v1
	v_mul_f32_e32 v1, v32, v175
	v_add_f32_e32 v111, v111, v122
	buffer_load_dword v122, off, s[0:3], 0 offset:448
	buffer_load_dword v129, off, s[0:3], 0 offset:452
	v_fma_f32 v1, v31, v174, -v1
	v_add_f32_e32 v0, v0, v1
	v_mul_f32_e32 v1, v34, v179
	v_fma_f32 v1, v33, v187, -v1
	v_add_f32_e32 v0, v0, v1
	v_mul_f32_e32 v1, v36, v181
	;; [unrolled: 3-line block ×3, first 2 shown]
	buffer_load_dword v131, off, s[0:3], 0 offset:456
	buffer_load_dword v132, off, s[0:3], 0 offset:460
	;; [unrolled: 1-line block ×6, first 2 shown]
	v_fma_f32 v1, v37, v182, -v1
	s_waitcnt vmcnt(46)
	v_mul_f32_e32 v130, v205, v88
	v_add_f32_e32 v0, v0, v1
	v_mul_f32_e32 v1, v40, v185
	v_fmac_f32_e32 v130, v206, v87
	v_fma_f32 v1, v39, v184, -v1
	ds_read2_b64 v[207:210], v24 offset0:99 offset1:100
	ds_read2_b64 v[211:214], v24 offset0:101 offset1:102
	v_add_f32_e32 v111, v111, v130
	buffer_load_dword v130, off, s[0:3], 0 offset:480
	buffer_load_dword v255, off, s[0:3], 0 offset:484
	v_add_f32_e32 v0, v0, v1
	v_mul_f32_e32 v1, v42, v188
	v_fma_f32 v1, v41, v186, -v1
	v_add_f32_e32 v0, v0, v1
	v_mul_f32_e32 v1, v44, v190
	v_fma_f32 v1, v43, v189, -v1
	;; [unrolled: 3-line block ×9, first 2 shown]
	v_add_f32_e32 v0, v0, v1
	v_mul_f32_e32 v1, v60, v73
	s_waitcnt vmcnt(46) lgkmcnt(1)
	v_mul_f32_e32 v215, v207, v90
	v_fma_f32 v1, v59, v74, -v1
	v_fmac_f32_e32 v215, v208, v89
	v_add_f32_e32 v0, v0, v1
	v_mul_f32_e32 v1, v62, v76
	v_add_f32_e32 v111, v111, v215
	s_waitcnt vmcnt(45)
	v_mul_f32_e32 v215, v209, v91
	v_fma_f32 v1, v61, v75, -v1
	s_waitcnt vmcnt(42)
	v_fmac_f32_e32 v215, v210, v94
	v_add_f32_e32 v0, v0, v1
	v_mul_f32_e32 v1, v64, v78
	v_add_f32_e32 v111, v111, v215
	s_waitcnt lgkmcnt(0)
	v_mul_f32_e32 v215, v211, v93
	v_fma_f32 v1, v63, v77, -v1
	v_fmac_f32_e32 v215, v212, v92
	v_add_f32_e32 v0, v0, v1
	v_mul_f32_e32 v1, v66, v80
	v_add_f32_e32 v111, v111, v215
	ds_read2_b64 v[215:218], v24 offset0:103 offset1:104
	v_fma_f32 v1, v65, v79, -v1
	v_add_f32_e32 v0, v0, v1
	v_mul_f32_e32 v1, v68, v82
	s_waitcnt vmcnt(40)
	v_mul_f32_e32 v219, v213, v96
	v_fma_f32 v1, v67, v81, -v1
	v_fmac_f32_e32 v219, v214, v95
	v_add_f32_e32 v0, v0, v1
	v_mul_f32_e32 v1, v70, v84
	v_add_f32_e32 v111, v111, v219
	ds_read2_b64 v[219:222], v24 offset0:105 offset1:106
	v_fma_f32 v1, v69, v83, -v1
	s_waitcnt vmcnt(38) lgkmcnt(1)
	v_mul_f32_e32 v223, v215, v98
	v_add_f32_e32 v0, v0, v1
	v_mul_f32_e32 v1, v204, v86
	v_fmac_f32_e32 v223, v216, v97
	v_fma_f32 v1, v203, v85, -v1
	v_add_f32_e32 v111, v111, v223
	s_waitcnt vmcnt(37)
	v_mul_f32_e32 v223, v217, v99
	v_add_f32_e32 v0, v0, v1
	v_mul_f32_e32 v1, v206, v88
	s_waitcnt vmcnt(34)
	v_fmac_f32_e32 v223, v218, v102
	v_fma_f32 v1, v205, v87, -v1
	v_add_f32_e32 v111, v111, v223
	s_waitcnt lgkmcnt(0)
	v_mul_f32_e32 v223, v219, v101
	v_add_f32_e32 v0, v0, v1
	v_mul_f32_e32 v1, v208, v90
	v_fmac_f32_e32 v223, v220, v100
	v_fma_f32 v1, v207, v89, -v1
	v_add_f32_e32 v111, v111, v223
	ds_read2_b64 v[223:226], v24 offset0:107 offset1:108
	v_add_f32_e32 v0, v0, v1
	v_mul_f32_e32 v1, v210, v91
	v_fma_f32 v1, v209, v94, -v1
	s_waitcnt vmcnt(32)
	v_mul_f32_e32 v227, v221, v104
	v_add_f32_e32 v0, v0, v1
	v_mul_f32_e32 v1, v212, v93
	v_fmac_f32_e32 v227, v222, v103
	v_fma_f32 v1, v211, v92, -v1
	v_add_f32_e32 v111, v111, v227
	ds_read2_b64 v[227:230], v24 offset0:109 offset1:110
	v_add_f32_e32 v0, v0, v1
	v_mul_f32_e32 v1, v214, v96
	s_waitcnt vmcnt(30) lgkmcnt(1)
	v_mul_f32_e32 v231, v223, v106
	v_fma_f32 v1, v213, v95, -v1
	v_fmac_f32_e32 v231, v224, v105
	v_add_f32_e32 v0, v0, v1
	v_mul_f32_e32 v1, v216, v98
	v_add_f32_e32 v111, v111, v231
	s_waitcnt vmcnt(29)
	v_mul_f32_e32 v231, v225, v107
	v_fma_f32 v1, v215, v97, -v1
	s_waitcnt vmcnt(26)
	v_fmac_f32_e32 v231, v226, v110
	v_add_f32_e32 v0, v0, v1
	v_mul_f32_e32 v1, v218, v99
	v_add_f32_e32 v111, v111, v231
	s_waitcnt lgkmcnt(0)
	v_mul_f32_e32 v231, v227, v109
	v_fma_f32 v1, v217, v102, -v1
	v_fmac_f32_e32 v231, v228, v108
	v_add_f32_e32 v0, v0, v1
	v_mul_f32_e32 v1, v220, v101
	v_add_f32_e32 v111, v111, v231
	ds_read2_b64 v[231:234], v24 offset0:111 offset1:112
	v_fma_f32 v1, v219, v100, -v1
	v_add_f32_e32 v0, v0, v1
	v_mul_f32_e32 v1, v222, v104
	s_waitcnt vmcnt(24)
	v_mul_f32_e32 v235, v229, v114
	v_fma_f32 v1, v221, v103, -v1
	v_fmac_f32_e32 v235, v230, v113
	v_add_f32_e32 v0, v0, v1
	v_mul_f32_e32 v1, v224, v106
	v_add_f32_e32 v111, v111, v235
	ds_read2_b64 v[235:238], v24 offset0:113 offset1:114
	v_fma_f32 v1, v223, v105, -v1
	s_waitcnt vmcnt(22) lgkmcnt(1)
	v_mul_f32_e32 v239, v231, v115
	v_add_f32_e32 v0, v0, v1
	v_mul_f32_e32 v1, v226, v107
	v_fmac_f32_e32 v239, v232, v112
	v_fma_f32 v1, v225, v110, -v1
	v_add_f32_e32 v111, v111, v239
	s_waitcnt vmcnt(21)
	v_mul_f32_e32 v239, v233, v116
	v_add_f32_e32 v0, v0, v1
	v_mul_f32_e32 v1, v228, v109
	s_waitcnt vmcnt(18)
	v_fmac_f32_e32 v239, v234, v119
	v_fma_f32 v1, v227, v108, -v1
	v_add_f32_e32 v111, v111, v239
	s_waitcnt lgkmcnt(0)
	v_mul_f32_e32 v239, v235, v118
	v_add_f32_e32 v0, v0, v1
	v_mul_f32_e32 v1, v230, v114
	v_fmac_f32_e32 v239, v236, v117
	v_fma_f32 v1, v229, v113, -v1
	v_add_f32_e32 v111, v111, v239
	ds_read2_b64 v[239:242], v24 offset0:115 offset1:116
	v_add_f32_e32 v0, v0, v1
	v_mul_f32_e32 v1, v232, v115
	v_fma_f32 v1, v231, v112, -v1
	s_waitcnt vmcnt(16)
	v_mul_f32_e32 v243, v237, v121
	v_add_f32_e32 v0, v0, v1
	v_mul_f32_e32 v1, v234, v116
	v_fmac_f32_e32 v243, v238, v120
	v_fma_f32 v1, v233, v119, -v1
	v_add_f32_e32 v111, v111, v243
	ds_read2_b64 v[243:246], v24 offset0:117 offset1:118
	v_add_f32_e32 v0, v0, v1
	v_mul_f32_e32 v1, v236, v118
	s_waitcnt vmcnt(14) lgkmcnt(1)
	v_mul_f32_e32 v247, v239, v124
	v_fma_f32 v1, v235, v117, -v1
	v_fmac_f32_e32 v247, v240, v123
	v_add_f32_e32 v0, v0, v1
	v_mul_f32_e32 v1, v238, v121
	v_add_f32_e32 v111, v111, v247
	s_waitcnt vmcnt(13)
	v_mul_f32_e32 v247, v241, v125
	v_fma_f32 v1, v237, v120, -v1
	s_waitcnt vmcnt(10)
	v_fmac_f32_e32 v247, v242, v128
	v_add_f32_e32 v0, v0, v1
	v_mul_f32_e32 v1, v240, v124
	v_add_f32_e32 v111, v111, v247
	s_waitcnt lgkmcnt(0)
	v_mul_f32_e32 v247, v243, v127
	v_fma_f32 v1, v239, v123, -v1
	v_fmac_f32_e32 v247, v244, v126
	v_add_f32_e32 v0, v0, v1
	v_mul_f32_e32 v1, v242, v125
	v_add_f32_e32 v111, v111, v247
	ds_read2_b64 v[247:250], v24 offset0:119 offset1:120
	v_fma_f32 v1, v241, v128, -v1
	v_add_f32_e32 v0, v0, v1
	v_mul_f32_e32 v1, v244, v127
	s_waitcnt vmcnt(8)
	v_mul_f32_e32 v251, v245, v129
	v_fma_f32 v1, v243, v126, -v1
	v_fmac_f32_e32 v251, v246, v122
	v_add_f32_e32 v0, v0, v1
	v_mul_f32_e32 v1, v246, v129
	v_add_f32_e32 v111, v111, v251
	ds_read2_b64 v[251:254], v24 offset0:121 offset1:122
	v_fma_f32 v1, v245, v122, -v1
	v_add_f32_e32 v0, v0, v1
	s_waitcnt vmcnt(6) lgkmcnt(1)
	v_mul_f32_e32 v1, v248, v132
	v_mul_f32_e32 v24, v247, v132
	v_fma_f32 v1, v247, v131, -v1
	v_fmac_f32_e32 v24, v248, v131
	v_add_f32_e32 v0, v0, v1
	s_waitcnt vmcnt(5)
	v_mul_f32_e32 v1, v250, v133
	v_add_f32_e32 v24, v111, v24
	v_mul_f32_e32 v111, v249, v133
	s_waitcnt vmcnt(2)
	v_fma_f32 v1, v249, v136, -v1
	v_fmac_f32_e32 v111, v250, v136
	v_add_f32_e32 v0, v0, v1
	s_waitcnt lgkmcnt(0)
	v_mul_f32_e32 v1, v252, v135
	v_add_f32_e32 v24, v24, v111
	v_mul_f32_e32 v111, v251, v135
	v_fma_f32 v1, v251, v134, -v1
	v_fmac_f32_e32 v111, v252, v134
	v_add_f32_e32 v0, v0, v1
	s_waitcnt vmcnt(0)
	v_mul_f32_e32 v1, v254, v255
	v_add_f32_e32 v24, v24, v111
	v_mul_f32_e32 v111, v253, v255
	v_fma_f32 v1, v253, v130, -v1
	v_fmac_f32_e32 v111, v254, v130
	v_add_f32_e32 v0, v0, v1
	v_add_f32_e32 v24, v24, v111
	v_sub_f32_e32 v0, v147, v0
	v_sub_f32_e32 v1, v148, v24
	buffer_store_dword v0, off, s[0:3], 0
	buffer_store_dword v1, off, s[0:3], 0 offset:4
	s_cbranch_vccz .LBB60_500
; %bb.380:
	v_mov_b32_e32 v0, 0
	global_load_dword v1, v0, s[20:21] offset:236
	s_waitcnt vmcnt(0)
	v_add_u32_e32 v1, -1, v1
	v_cmp_ne_u32_e32 vcc, 59, v1
	s_cbranch_vccz .LBB60_382
; %bb.381:
	v_lshlrev_b32_e32 v1, 3, v1
	buffer_load_dword v2, v1, s[0:3], 0 offen
	buffer_load_dword v3, v1, s[0:3], 0 offen offset:4
	buffer_load_dword v4, off, s[0:3], 0 offset:472
	buffer_load_dword v5, off, s[0:3], 0 offset:476
	s_waitcnt vmcnt(3)
	buffer_store_dword v2, off, s[0:3], 0 offset:472
	s_waitcnt vmcnt(3)
	buffer_store_dword v3, off, s[0:3], 0 offset:476
	s_waitcnt vmcnt(3)
	buffer_store_dword v4, v1, s[0:3], 0 offen
	s_waitcnt vmcnt(3)
	buffer_store_dword v5, v1, s[0:3], 0 offen offset:4
.LBB60_382:
	global_load_dword v0, v0, s[20:21] offset:232
	s_waitcnt vmcnt(0)
	v_add_u32_e32 v0, -1, v0
	v_cmp_eq_u32_e32 vcc, 58, v0
	s_cbranch_vccnz .LBB60_384
; %bb.383:
	v_lshlrev_b32_e32 v0, 3, v0
	buffer_load_dword v1, v0, s[0:3], 0 offen
	buffer_load_dword v2, v0, s[0:3], 0 offen offset:4
	buffer_load_dword v3, off, s[0:3], 0 offset:468
	buffer_load_dword v4, off, s[0:3], 0 offset:464
	s_waitcnt vmcnt(3)
	buffer_store_dword v1, off, s[0:3], 0 offset:464
	s_waitcnt vmcnt(3)
	buffer_store_dword v2, off, s[0:3], 0 offset:468
	s_waitcnt vmcnt(3)
	buffer_store_dword v3, v0, s[0:3], 0 offen offset:4
	s_waitcnt vmcnt(3)
	buffer_store_dword v4, v0, s[0:3], 0 offen
.LBB60_384:
	v_mov_b32_e32 v0, 0
	global_load_dword v1, v0, s[20:21] offset:228
	s_waitcnt vmcnt(0)
	v_add_u32_e32 v1, -1, v1
	v_cmp_eq_u32_e32 vcc, 57, v1
	s_cbranch_vccnz .LBB60_386
; %bb.385:
	v_lshlrev_b32_e32 v1, 3, v1
	buffer_load_dword v2, v1, s[0:3], 0 offen
	buffer_load_dword v3, v1, s[0:3], 0 offen offset:4
	buffer_load_dword v4, off, s[0:3], 0 offset:456
	buffer_load_dword v5, off, s[0:3], 0 offset:460
	s_waitcnt vmcnt(3)
	buffer_store_dword v2, off, s[0:3], 0 offset:456
	s_waitcnt vmcnt(3)
	buffer_store_dword v3, off, s[0:3], 0 offset:460
	s_waitcnt vmcnt(3)
	buffer_store_dword v4, v1, s[0:3], 0 offen
	s_waitcnt vmcnt(3)
	buffer_store_dword v5, v1, s[0:3], 0 offen offset:4
.LBB60_386:
	global_load_dword v0, v0, s[20:21] offset:224
	s_waitcnt vmcnt(0)
	v_add_u32_e32 v0, -1, v0
	v_cmp_eq_u32_e32 vcc, 56, v0
	s_cbranch_vccnz .LBB60_388
; %bb.387:
	v_lshlrev_b32_e32 v0, 3, v0
	buffer_load_dword v1, v0, s[0:3], 0 offen
	buffer_load_dword v2, v0, s[0:3], 0 offen offset:4
	buffer_load_dword v3, off, s[0:3], 0 offset:452
	buffer_load_dword v4, off, s[0:3], 0 offset:448
	s_waitcnt vmcnt(3)
	buffer_store_dword v1, off, s[0:3], 0 offset:448
	s_waitcnt vmcnt(3)
	buffer_store_dword v2, off, s[0:3], 0 offset:452
	s_waitcnt vmcnt(3)
	buffer_store_dword v3, v0, s[0:3], 0 offen offset:4
	s_waitcnt vmcnt(3)
	buffer_store_dword v4, v0, s[0:3], 0 offen
.LBB60_388:
	v_mov_b32_e32 v0, 0
	global_load_dword v1, v0, s[20:21] offset:220
	s_waitcnt vmcnt(0)
	v_add_u32_e32 v1, -1, v1
	v_cmp_eq_u32_e32 vcc, 55, v1
	s_cbranch_vccnz .LBB60_390
; %bb.389:
	v_lshlrev_b32_e32 v1, 3, v1
	buffer_load_dword v2, v1, s[0:3], 0 offen
	buffer_load_dword v3, v1, s[0:3], 0 offen offset:4
	buffer_load_dword v4, off, s[0:3], 0 offset:440
	buffer_load_dword v5, off, s[0:3], 0 offset:444
	s_waitcnt vmcnt(3)
	buffer_store_dword v2, off, s[0:3], 0 offset:440
	s_waitcnt vmcnt(3)
	buffer_store_dword v3, off, s[0:3], 0 offset:444
	s_waitcnt vmcnt(3)
	buffer_store_dword v4, v1, s[0:3], 0 offen
	s_waitcnt vmcnt(3)
	buffer_store_dword v5, v1, s[0:3], 0 offen offset:4
.LBB60_390:
	;; [unrolled: 41-line block ×29, first 2 shown]
	global_load_dword v0, v0, s[20:21]
	s_waitcnt vmcnt(0)
	v_add_u32_e32 v0, -1, v0
	v_cmp_eq_u32_e32 vcc, 0, v0
	s_cbranch_vccnz .LBB60_500
; %bb.499:
	v_lshlrev_b32_e32 v0, 3, v0
	buffer_load_dword v1, v0, s[0:3], 0 offen
	buffer_load_dword v2, v0, s[0:3], 0 offen offset:4
	buffer_load_dword v3, off, s[0:3], 0 offset:4
	buffer_load_dword v4, off, s[0:3], 0
	s_waitcnt vmcnt(3)
	buffer_store_dword v1, off, s[0:3], 0
	s_waitcnt vmcnt(3)
	buffer_store_dword v2, off, s[0:3], 0 offset:4
	s_waitcnt vmcnt(3)
	buffer_store_dword v3, v0, s[0:3], 0 offen offset:4
	s_waitcnt vmcnt(3)
	buffer_store_dword v4, v0, s[0:3], 0 offen
.LBB60_500:
	buffer_load_dword v0, off, s[0:3], 0
	s_nop 0
	buffer_load_dword v1, off, s[0:3], 0 offset:4
	buffer_load_dword v2, off, s[0:3], 0 offset:8
	;; [unrolled: 1-line block ×121, first 2 shown]
	s_waitcnt vmcnt(62)
	global_store_dwordx2 v[25:26], v[0:1], off
	buffer_load_dword v0, off, s[0:3], 0 offset:488 ; 4-byte Folded Reload
	s_nop 0
	buffer_load_dword v1, off, s[0:3], 0 offset:492 ; 4-byte Folded Reload
	s_waitcnt vmcnt(0)
	global_store_dwordx2 v[0:1], v[2:3], off
	buffer_load_dword v0, off, s[0:3], 0 offset:496 ; 4-byte Folded Reload
	s_nop 0
	buffer_load_dword v1, off, s[0:3], 0 offset:500 ; 4-byte Folded Reload
	;; [unrolled: 5-line block ×55, first 2 shown]
	s_waitcnt vmcnt(0)
	global_store_dwordx2 v[0:1], v[189:190], off
	global_store_dwordx2 v[137:138], v[191:192], off
	;; [unrolled: 1-line block ×6, first 2 shown]
	s_endpgm
	.section	.rodata,"a",@progbits
	.p2align	6, 0x0
	.amdhsa_kernel _ZN9rocsolver6v33100L18getri_kernel_smallILi61E19rocblas_complex_numIfEPS3_EEvT1_iilPiilS6_bb
		.amdhsa_group_segment_fixed_size 984
		.amdhsa_private_segment_fixed_size 944
		.amdhsa_kernarg_size 60
		.amdhsa_user_sgpr_count 6
		.amdhsa_user_sgpr_private_segment_buffer 1
		.amdhsa_user_sgpr_dispatch_ptr 0
		.amdhsa_user_sgpr_queue_ptr 0
		.amdhsa_user_sgpr_kernarg_segment_ptr 1
		.amdhsa_user_sgpr_dispatch_id 0
		.amdhsa_user_sgpr_flat_scratch_init 0
		.amdhsa_user_sgpr_private_segment_size 0
		.amdhsa_uses_dynamic_stack 0
		.amdhsa_system_sgpr_private_segment_wavefront_offset 1
		.amdhsa_system_sgpr_workgroup_id_x 1
		.amdhsa_system_sgpr_workgroup_id_y 0
		.amdhsa_system_sgpr_workgroup_id_z 0
		.amdhsa_system_sgpr_workgroup_info 0
		.amdhsa_system_vgpr_workitem_id 0
		.amdhsa_next_free_vgpr 256
		.amdhsa_next_free_sgpr 24
		.amdhsa_reserve_vcc 1
		.amdhsa_reserve_flat_scratch 0
		.amdhsa_float_round_mode_32 0
		.amdhsa_float_round_mode_16_64 0
		.amdhsa_float_denorm_mode_32 3
		.amdhsa_float_denorm_mode_16_64 3
		.amdhsa_dx10_clamp 1
		.amdhsa_ieee_mode 1
		.amdhsa_fp16_overflow 0
		.amdhsa_exception_fp_ieee_invalid_op 0
		.amdhsa_exception_fp_denorm_src 0
		.amdhsa_exception_fp_ieee_div_zero 0
		.amdhsa_exception_fp_ieee_overflow 0
		.amdhsa_exception_fp_ieee_underflow 0
		.amdhsa_exception_fp_ieee_inexact 0
		.amdhsa_exception_int_div_zero 0
	.end_amdhsa_kernel
	.section	.text._ZN9rocsolver6v33100L18getri_kernel_smallILi61E19rocblas_complex_numIfEPS3_EEvT1_iilPiilS6_bb,"axG",@progbits,_ZN9rocsolver6v33100L18getri_kernel_smallILi61E19rocblas_complex_numIfEPS3_EEvT1_iilPiilS6_bb,comdat
.Lfunc_end60:
	.size	_ZN9rocsolver6v33100L18getri_kernel_smallILi61E19rocblas_complex_numIfEPS3_EEvT1_iilPiilS6_bb, .Lfunc_end60-_ZN9rocsolver6v33100L18getri_kernel_smallILi61E19rocblas_complex_numIfEPS3_EEvT1_iilPiilS6_bb
                                        ; -- End function
	.set _ZN9rocsolver6v33100L18getri_kernel_smallILi61E19rocblas_complex_numIfEPS3_EEvT1_iilPiilS6_bb.num_vgpr, 256
	.set _ZN9rocsolver6v33100L18getri_kernel_smallILi61E19rocblas_complex_numIfEPS3_EEvT1_iilPiilS6_bb.num_agpr, 0
	.set _ZN9rocsolver6v33100L18getri_kernel_smallILi61E19rocblas_complex_numIfEPS3_EEvT1_iilPiilS6_bb.numbered_sgpr, 24
	.set _ZN9rocsolver6v33100L18getri_kernel_smallILi61E19rocblas_complex_numIfEPS3_EEvT1_iilPiilS6_bb.num_named_barrier, 0
	.set _ZN9rocsolver6v33100L18getri_kernel_smallILi61E19rocblas_complex_numIfEPS3_EEvT1_iilPiilS6_bb.private_seg_size, 944
	.set _ZN9rocsolver6v33100L18getri_kernel_smallILi61E19rocblas_complex_numIfEPS3_EEvT1_iilPiilS6_bb.uses_vcc, 1
	.set _ZN9rocsolver6v33100L18getri_kernel_smallILi61E19rocblas_complex_numIfEPS3_EEvT1_iilPiilS6_bb.uses_flat_scratch, 0
	.set _ZN9rocsolver6v33100L18getri_kernel_smallILi61E19rocblas_complex_numIfEPS3_EEvT1_iilPiilS6_bb.has_dyn_sized_stack, 0
	.set _ZN9rocsolver6v33100L18getri_kernel_smallILi61E19rocblas_complex_numIfEPS3_EEvT1_iilPiilS6_bb.has_recursion, 0
	.set _ZN9rocsolver6v33100L18getri_kernel_smallILi61E19rocblas_complex_numIfEPS3_EEvT1_iilPiilS6_bb.has_indirect_call, 0
	.section	.AMDGPU.csdata,"",@progbits
; Kernel info:
; codeLenInByte = 132280
; TotalNumSgprs: 28
; NumVgprs: 256
; ScratchSize: 944
; MemoryBound: 0
; FloatMode: 240
; IeeeMode: 1
; LDSByteSize: 984 bytes/workgroup (compile time only)
; SGPRBlocks: 3
; VGPRBlocks: 63
; NumSGPRsForWavesPerEU: 28
; NumVGPRsForWavesPerEU: 256
; Occupancy: 1
; WaveLimiterHint : 1
; COMPUTE_PGM_RSRC2:SCRATCH_EN: 1
; COMPUTE_PGM_RSRC2:USER_SGPR: 6
; COMPUTE_PGM_RSRC2:TRAP_HANDLER: 0
; COMPUTE_PGM_RSRC2:TGID_X_EN: 1
; COMPUTE_PGM_RSRC2:TGID_Y_EN: 0
; COMPUTE_PGM_RSRC2:TGID_Z_EN: 0
; COMPUTE_PGM_RSRC2:TIDIG_COMP_CNT: 0
	.section	.text._ZN9rocsolver6v33100L18getri_kernel_smallILi62E19rocblas_complex_numIfEPS3_EEvT1_iilPiilS6_bb,"axG",@progbits,_ZN9rocsolver6v33100L18getri_kernel_smallILi62E19rocblas_complex_numIfEPS3_EEvT1_iilPiilS6_bb,comdat
	.globl	_ZN9rocsolver6v33100L18getri_kernel_smallILi62E19rocblas_complex_numIfEPS3_EEvT1_iilPiilS6_bb ; -- Begin function _ZN9rocsolver6v33100L18getri_kernel_smallILi62E19rocblas_complex_numIfEPS3_EEvT1_iilPiilS6_bb
	.p2align	8
	.type	_ZN9rocsolver6v33100L18getri_kernel_smallILi62E19rocblas_complex_numIfEPS3_EEvT1_iilPiilS6_bb,@function
_ZN9rocsolver6v33100L18getri_kernel_smallILi62E19rocblas_complex_numIfEPS3_EEvT1_iilPiilS6_bb: ; @_ZN9rocsolver6v33100L18getri_kernel_smallILi62E19rocblas_complex_numIfEPS3_EEvT1_iilPiilS6_bb
; %bb.0:
	s_add_u32 s0, s0, s7
	s_addc_u32 s1, s1, 0
	v_cmp_gt_u32_e32 vcc, 62, v0
	s_and_saveexec_b64 s[8:9], vcc
	s_cbranch_execz .LBB61_262
; %bb.1:
	s_load_dword s12, s[4:5], 0x38
	s_load_dwordx4 s[16:19], s[4:5], 0x10
	s_load_dwordx4 s[8:11], s[4:5], 0x28
                                        ; implicit-def: $sgpr20_sgpr21
	s_waitcnt lgkmcnt(0)
	s_bitcmp1_b32 s12, 8
	s_cselect_b64 s[22:23], -1, 0
	s_ashr_i32 s7, s6, 31
	s_bfe_u32 s12, s12, 0x10008
	s_cmp_eq_u32 s12, 0
	s_cbranch_scc1 .LBB61_3
; %bb.2:
	s_load_dword s12, s[4:5], 0x20
	s_mul_i32 s13, s8, s7
	s_mul_hi_u32 s14, s8, s6
	s_mul_i32 s9, s9, s6
	s_add_i32 s14, s14, s13
	s_add_i32 s9, s14, s9
	s_mul_i32 s8, s8, s6
	s_waitcnt lgkmcnt(0)
	s_ashr_i32 s13, s12, 31
	s_lshl_b64 s[8:9], s[8:9], 2
	s_add_u32 s14, s18, s8
	s_addc_u32 s15, s19, s9
	s_lshl_b64 s[8:9], s[12:13], 2
	s_add_u32 s20, s14, s8
	s_addc_u32 s21, s15, s9
.LBB61_3:
	s_load_dwordx4 s[12:15], s[4:5], 0x0
	s_load_dword s8, s[4:5], 0x38
	s_mul_i32 s9, s16, s7
	s_mul_hi_u32 s18, s16, s6
	s_add_i32 s9, s18, s9
	s_waitcnt lgkmcnt(0)
	s_ashr_i32 s5, s14, 31
	s_mov_b32 s4, s14
	s_mul_i32 s14, s17, s6
	s_add_i32 s17, s9, s14
	s_mul_i32 s16, s16, s6
	s_lshl_b64 s[16:17], s[16:17], 3
	s_add_u32 s9, s12, s16
	s_addc_u32 s12, s13, s17
	s_lshl_b64 s[4:5], s[4:5], 3
	s_add_u32 s4, s9, s4
	s_addc_u32 s5, s12, s5
	v_lshlrev_b32_e32 v57, 3, v0
	v_mov_b32_e32 v1, s5
	v_add_co_u32_e32 v120, vcc, s4, v57
	s_ashr_i32 s13, s15, 31
	s_mov_b32 s12, s15
	v_addc_co_u32_e32 v121, vcc, 0, v1, vcc
	s_lshl_b64 s[12:13], s[12:13], 3
	v_mov_b32_e32 v1, s13
	v_add_co_u32_e32 v7, vcc, s12, v120
	v_addc_co_u32_e32 v8, vcc, v121, v1, vcc
	global_load_dwordx2 v[3:4], v57, s[4:5]
	s_nop 0
	buffer_store_dword v7, off, s[0:3], 0 offset:496 ; 4-byte Folded Spill
	s_nop 0
	buffer_store_dword v8, off, s[0:3], 0 offset:500 ; 4-byte Folded Spill
	s_add_i32 s9, s15, s15
	v_add_u32_e32 v1, s9, v0
	v_ashrrev_i32_e32 v2, 31, v1
	v_lshlrev_b64 v[5:6], 3, v[1:2]
	v_mov_b32_e32 v2, s5
	v_add_co_u32_e32 v9, vcc, s4, v5
	v_add_u32_e32 v1, s15, v1
	v_addc_co_u32_e32 v10, vcc, v2, v6, vcc
	v_ashrrev_i32_e32 v2, 31, v1
	v_lshlrev_b64 v[5:6], 3, v[1:2]
	v_mov_b32_e32 v2, s5
	v_add_co_u32_e32 v11, vcc, s4, v5
	v_add_u32_e32 v1, s15, v1
	v_addc_co_u32_e32 v12, vcc, v2, v6, vcc
	v_ashrrev_i32_e32 v2, 31, v1
	v_lshlrev_b64 v[5:6], 3, v[1:2]
	v_mov_b32_e32 v2, s5
	v_add_co_u32_e32 v13, vcc, s4, v5
	v_addc_co_u32_e32 v14, vcc, v2, v6, vcc
	v_add_u32_e32 v1, s15, v1
	v_ashrrev_i32_e32 v2, 31, v1
	s_bitcmp0_b32 s8, 0
	s_mov_b64 s[8:9], -1
	global_load_dwordx2 v[5:6], v[7:8], off
	s_nop 0
	buffer_store_dword v9, off, s[0:3], 0 offset:504 ; 4-byte Folded Spill
	s_nop 0
	buffer_store_dword v10, off, s[0:3], 0 offset:508 ; 4-byte Folded Spill
	global_load_dwordx2 v[7:8], v[9:10], off
	s_nop 0
	buffer_store_dword v11, off, s[0:3], 0 offset:512 ; 4-byte Folded Spill
	s_nop 0
	buffer_store_dword v12, off, s[0:3], 0 offset:516 ; 4-byte Folded Spill
	global_load_dwordx2 v[9:10], v[11:12], off
	s_nop 0
	buffer_store_dword v13, off, s[0:3], 0 offset:520 ; 4-byte Folded Spill
	s_nop 0
	buffer_store_dword v14, off, s[0:3], 0 offset:524 ; 4-byte Folded Spill
	global_load_dwordx2 v[11:12], v[13:14], off
	v_lshlrev_b64 v[13:14], 3, v[1:2]
	v_mov_b32_e32 v2, s5
	v_add_co_u32_e32 v15, vcc, s4, v13
	v_addc_co_u32_e32 v16, vcc, v2, v14, vcc
	buffer_store_dword v15, off, s[0:3], 0 offset:528 ; 4-byte Folded Spill
	s_nop 0
	buffer_store_dword v16, off, s[0:3], 0 offset:532 ; 4-byte Folded Spill
	v_add_u32_e32 v1, s15, v1
	v_ashrrev_i32_e32 v2, 31, v1
	v_lshlrev_b64 v[13:14], 3, v[1:2]
	v_mov_b32_e32 v2, s5
	v_add_co_u32_e32 v17, vcc, s4, v13
	v_add_u32_e32 v1, s15, v1
	v_addc_co_u32_e32 v18, vcc, v2, v14, vcc
	v_ashrrev_i32_e32 v2, 31, v1
	v_lshlrev_b64 v[13:14], 3, v[1:2]
	v_mov_b32_e32 v2, s5
	v_add_co_u32_e32 v19, vcc, s4, v13
	v_add_u32_e32 v1, s15, v1
	v_addc_co_u32_e32 v20, vcc, v2, v14, vcc
	v_ashrrev_i32_e32 v2, 31, v1
	v_lshlrev_b64 v[13:14], 3, v[1:2]
	v_mov_b32_e32 v2, s5
	v_add_co_u32_e32 v21, vcc, s4, v13
	v_addc_co_u32_e32 v22, vcc, v2, v14, vcc
	v_add_u32_e32 v1, s15, v1
	v_ashrrev_i32_e32 v2, 31, v1
	global_load_dwordx2 v[13:14], v[15:16], off
	s_nop 0
	buffer_store_dword v17, off, s[0:3], 0 offset:536 ; 4-byte Folded Spill
	s_nop 0
	buffer_store_dword v18, off, s[0:3], 0 offset:540 ; 4-byte Folded Spill
	global_load_dwordx2 v[15:16], v[17:18], off
	s_nop 0
	buffer_store_dword v19, off, s[0:3], 0 offset:544 ; 4-byte Folded Spill
	s_nop 0
	buffer_store_dword v20, off, s[0:3], 0 offset:548 ; 4-byte Folded Spill
	global_load_dwordx2 v[17:18], v[19:20], off
	s_nop 0
	buffer_store_dword v21, off, s[0:3], 0 offset:552 ; 4-byte Folded Spill
	s_nop 0
	buffer_store_dword v22, off, s[0:3], 0 offset:556 ; 4-byte Folded Spill
	global_load_dwordx2 v[19:20], v[21:22], off
	v_lshlrev_b64 v[21:22], 3, v[1:2]
	v_mov_b32_e32 v2, s5
	v_add_co_u32_e32 v23, vcc, s4, v21
	v_addc_co_u32_e32 v24, vcc, v2, v22, vcc
	buffer_store_dword v23, off, s[0:3], 0 offset:560 ; 4-byte Folded Spill
	s_nop 0
	buffer_store_dword v24, off, s[0:3], 0 offset:564 ; 4-byte Folded Spill
	v_add_u32_e32 v1, s15, v1
	v_ashrrev_i32_e32 v2, 31, v1
	v_lshlrev_b64 v[21:22], 3, v[1:2]
	v_mov_b32_e32 v2, s5
	v_add_co_u32_e32 v25, vcc, s4, v21
	v_add_u32_e32 v1, s15, v1
	v_addc_co_u32_e32 v26, vcc, v2, v22, vcc
	v_ashrrev_i32_e32 v2, 31, v1
	v_lshlrev_b64 v[21:22], 3, v[1:2]
	v_mov_b32_e32 v2, s5
	v_add_co_u32_e32 v27, vcc, s4, v21
	v_add_u32_e32 v1, s15, v1
	v_addc_co_u32_e32 v28, vcc, v2, v22, vcc
	v_ashrrev_i32_e32 v2, 31, v1
	v_lshlrev_b64 v[21:22], 3, v[1:2]
	v_mov_b32_e32 v2, s5
	v_add_co_u32_e32 v29, vcc, s4, v21
	v_addc_co_u32_e32 v30, vcc, v2, v22, vcc
	v_add_u32_e32 v1, s15, v1
	v_ashrrev_i32_e32 v2, 31, v1
	;; [unrolled: 43-line block ×3, first 2 shown]
	global_load_dwordx2 v[29:30], v[31:32], off
	s_nop 0
	buffer_store_dword v33, off, s[0:3], 0 offset:600 ; 4-byte Folded Spill
	s_nop 0
	buffer_store_dword v34, off, s[0:3], 0 offset:604 ; 4-byte Folded Spill
	global_load_dwordx2 v[31:32], v[33:34], off
	s_nop 0
	buffer_store_dword v35, off, s[0:3], 0 offset:608 ; 4-byte Folded Spill
	s_nop 0
	buffer_store_dword v36, off, s[0:3], 0 offset:612 ; 4-byte Folded Spill
	;; [unrolled: 5-line block ×3, first 2 shown]
	global_load_dwordx2 v[35:36], v[37:38], off
	v_lshlrev_b64 v[37:38], 3, v[1:2]
	v_mov_b32_e32 v2, s5
	v_add_co_u32_e32 v39, vcc, s4, v37
	v_addc_co_u32_e32 v40, vcc, v2, v38, vcc
	buffer_store_dword v39, off, s[0:3], 0 offset:624 ; 4-byte Folded Spill
	s_nop 0
	buffer_store_dword v40, off, s[0:3], 0 offset:628 ; 4-byte Folded Spill
	v_add_u32_e32 v1, s15, v1
	v_ashrrev_i32_e32 v2, 31, v1
	v_lshlrev_b64 v[37:38], 3, v[1:2]
	v_mov_b32_e32 v2, s5
	v_add_co_u32_e32 v41, vcc, s4, v37
	v_add_u32_e32 v1, s15, v1
	v_addc_co_u32_e32 v42, vcc, v2, v38, vcc
	v_ashrrev_i32_e32 v2, 31, v1
	v_lshlrev_b64 v[37:38], 3, v[1:2]
	v_mov_b32_e32 v2, s5
	v_add_co_u32_e32 v43, vcc, s4, v37
	v_addc_co_u32_e32 v44, vcc, v2, v38, vcc
	v_add_u32_e32 v1, s15, v1
	v_ashrrev_i32_e32 v2, 31, v1
	v_add_u32_e32 v45, s15, v1
	v_ashrrev_i32_e32 v46, 31, v45
	global_load_dwordx2 v[37:38], v[39:40], off
	s_nop 0
	buffer_store_dword v41, off, s[0:3], 0 offset:632 ; 4-byte Folded Spill
	s_nop 0
	buffer_store_dword v42, off, s[0:3], 0 offset:636 ; 4-byte Folded Spill
	global_load_dwordx2 v[39:40], v[41:42], off
	s_nop 0
	buffer_store_dword v43, off, s[0:3], 0 offset:640 ; 4-byte Folded Spill
	s_nop 0
	buffer_store_dword v44, off, s[0:3], 0 offset:644 ; 4-byte Folded Spill
	global_load_dwordx2 v[41:42], v[43:44], off
	v_lshlrev_b64 v[43:44], 3, v[1:2]
	v_mov_b32_e32 v2, s5
	v_add_co_u32_e32 v43, vcc, s4, v43
	v_addc_co_u32_e32 v44, vcc, v2, v44, vcc
	buffer_store_dword v43, off, s[0:3], 0 offset:648 ; 4-byte Folded Spill
	s_nop 0
	buffer_store_dword v44, off, s[0:3], 0 offset:652 ; 4-byte Folded Spill
	v_lshlrev_b64 v[1:2], 3, v[45:46]
	v_mov_b32_e32 v46, s5
	v_add_co_u32_e32 v1, vcc, s4, v1
	v_addc_co_u32_e32 v2, vcc, v46, v2, vcc
	global_load_dwordx2 v[43:44], v[43:44], off
	s_nop 0
	buffer_store_dword v1, off, s[0:3], 0 offset:656 ; 4-byte Folded Spill
	s_nop 0
	buffer_store_dword v2, off, s[0:3], 0 offset:660 ; 4-byte Folded Spill
	global_load_dwordx2 v[1:2], v[1:2], off
	s_waitcnt vmcnt(62)
	buffer_store_dword v4, off, s[0:3], 0 offset:4
	buffer_store_dword v3, off, s[0:3], 0
	s_waitcnt vmcnt(62)
	buffer_store_dword v6, off, s[0:3], 0 offset:12
	buffer_store_dword v5, off, s[0:3], 0 offset:8
	s_waitcnt vmcnt(61)
	buffer_store_dword v8, off, s[0:3], 0 offset:20
	buffer_store_dword v7, off, s[0:3], 0 offset:16
	;; [unrolled: 3-line block ×20, first 2 shown]
	v_add_u32_e32 v3, s15, v45
	v_ashrrev_i32_e32 v4, 31, v3
	v_lshlrev_b64 v[4:5], 3, v[3:4]
	v_mov_b32_e32 v6, s5
	v_add_co_u32_e32 v7, vcc, s4, v4
	v_addc_co_u32_e32 v8, vcc, v6, v5, vcc
	buffer_store_dword v7, off, s[0:3], 0 offset:664 ; 4-byte Folded Spill
	s_nop 0
	buffer_store_dword v8, off, s[0:3], 0 offset:668 ; 4-byte Folded Spill
	v_add_u32_e32 v3, s15, v3
	v_ashrrev_i32_e32 v4, 31, v3
	v_lshlrev_b64 v[4:5], 3, v[3:4]
	v_add_u32_e32 v9, s15, v3
	v_add_co_u32_e32 v11, vcc, s4, v4
	v_addc_co_u32_e32 v12, vcc, v6, v5, vcc
	v_ashrrev_i32_e32 v10, 31, v9
	v_lshlrev_b64 v[3:4], 3, v[9:10]
	v_mov_b32_e32 v5, s5
	v_add_co_u32_e32 v3, vcc, s4, v3
	v_addc_co_u32_e32 v4, vcc, v5, v4, vcc
	v_add_u32_e32 v9, s15, v9
	v_ashrrev_i32_e32 v10, 31, v9
	global_load_dwordx2 v[7:8], v[7:8], off
	s_nop 0
	buffer_store_dword v11, off, s[0:3], 0 offset:672 ; 4-byte Folded Spill
	s_nop 0
	buffer_store_dword v12, off, s[0:3], 0 offset:676 ; 4-byte Folded Spill
	global_load_dwordx2 v[5:6], v[11:12], off
	s_nop 0
	buffer_store_dword v3, off, s[0:3], 0 offset:680 ; 4-byte Folded Spill
	s_nop 0
	buffer_store_dword v4, off, s[0:3], 0 offset:684 ; 4-byte Folded Spill
	v_lshlrev_b64 v[10:11], 3, v[9:10]
	s_waitcnt vmcnt(50)
	buffer_store_dword v1, off, s[0:3], 0 offset:168
	v_mov_b32_e32 v1, s5
	v_add_co_u32_e32 v12, vcc, s4, v10
	v_addc_co_u32_e32 v13, vcc, v1, v11, vcc
	v_add_u32_e32 v9, s15, v9
	v_ashrrev_i32_e32 v10, 31, v9
	v_lshlrev_b64 v[10:11], 3, v[9:10]
	v_add_u32_e32 v9, s15, v9
	v_add_co_u32_e32 v19, vcc, s4, v10
	v_addc_co_u32_e32 v20, vcc, v1, v11, vcc
	v_ashrrev_i32_e32 v10, 31, v9
	v_lshlrev_b64 v[10:11], 3, v[9:10]
	v_add_u32_e32 v17, s15, v9
	v_add_co_u32_e32 v21, vcc, s4, v10
	v_addc_co_u32_e32 v22, vcc, v1, v11, vcc
	;; [unrolled: 5-line block ×3, first 2 shown]
	v_ashrrev_i32_e32 v18, 31, v17
	global_load_dwordx2 v[3:4], v[3:4], off
	s_nop 0
	buffer_store_dword v12, off, s[0:3], 0 offset:688 ; 4-byte Folded Spill
	s_nop 0
	buffer_store_dword v13, off, s[0:3], 0 offset:692 ; 4-byte Folded Spill
	global_load_dwordx2 v[15:16], v[12:13], off
	s_nop 0
	buffer_store_dword v19, off, s[0:3], 0 offset:696 ; 4-byte Folded Spill
	s_nop 0
	buffer_store_dword v20, off, s[0:3], 0 offset:700 ; 4-byte Folded Spill
	global_load_dwordx2 v[13:14], v[19:20], off
	s_nop 0
	buffer_store_dword v21, off, s[0:3], 0 offset:704 ; 4-byte Folded Spill
	s_nop 0
	buffer_store_dword v22, off, s[0:3], 0 offset:708 ; 4-byte Folded Spill
	v_lshlrev_b64 v[18:19], 3, v[17:18]
	v_add_u32_e32 v17, s15, v17
	v_add_co_u32_e32 v20, vcc, s4, v18
	v_ashrrev_i32_e32 v18, 31, v17
	global_load_dwordx2 v[11:12], v[21:22], off
	s_nop 0
	buffer_store_dword v9, off, s[0:3], 0 offset:712 ; 4-byte Folded Spill
	s_nop 0
	buffer_store_dword v10, off, s[0:3], 0 offset:716 ; 4-byte Folded Spill
	v_addc_co_u32_e32 v21, vcc, v1, v19, vcc
	v_lshlrev_b64 v[18:19], 3, v[17:18]
	v_add_u32_e32 v17, s15, v17
	v_add_co_u32_e32 v27, vcc, s4, v18
	v_addc_co_u32_e32 v28, vcc, v1, v19, vcc
	v_ashrrev_i32_e32 v18, 31, v17
	v_lshlrev_b64 v[18:19], 3, v[17:18]
	v_add_u32_e32 v25, s15, v17
	v_add_co_u32_e32 v29, vcc, s4, v18
	v_addc_co_u32_e32 v30, vcc, v1, v19, vcc
	v_ashrrev_i32_e32 v26, 31, v25
	v_lshlrev_b64 v[17:18], 3, v[25:26]
	v_add_u32_e32 v25, s15, v25
	v_add_co_u32_e32 v17, vcc, s4, v17
	v_addc_co_u32_e32 v18, vcc, v1, v18, vcc
	v_ashrrev_i32_e32 v26, 31, v25
	global_load_dwordx2 v[9:10], v[9:10], off
	s_nop 0
	buffer_store_dword v20, off, s[0:3], 0 offset:720 ; 4-byte Folded Spill
	s_nop 0
	buffer_store_dword v21, off, s[0:3], 0 offset:724 ; 4-byte Folded Spill
	global_load_dwordx2 v[23:24], v[20:21], off
	s_nop 0
	buffer_store_dword v27, off, s[0:3], 0 offset:728 ; 4-byte Folded Spill
	s_nop 0
	buffer_store_dword v28, off, s[0:3], 0 offset:732 ; 4-byte Folded Spill
	global_load_dwordx2 v[21:22], v[27:28], off
	s_nop 0
	buffer_store_dword v29, off, s[0:3], 0 offset:736 ; 4-byte Folded Spill
	s_nop 0
	buffer_store_dword v30, off, s[0:3], 0 offset:740 ; 4-byte Folded Spill
	v_lshlrev_b64 v[26:27], 3, v[25:26]
	v_add_u32_e32 v25, s15, v25
	v_add_co_u32_e32 v28, vcc, s4, v26
	v_ashrrev_i32_e32 v26, 31, v25
	global_load_dwordx2 v[19:20], v[29:30], off
	s_nop 0
	buffer_store_dword v17, off, s[0:3], 0 offset:744 ; 4-byte Folded Spill
	s_nop 0
	buffer_store_dword v18, off, s[0:3], 0 offset:748 ; 4-byte Folded Spill
	v_addc_co_u32_e32 v29, vcc, v1, v27, vcc
	v_lshlrev_b64 v[26:27], 3, v[25:26]
	v_add_u32_e32 v25, s15, v25
	v_add_co_u32_e32 v35, vcc, s4, v26
	v_addc_co_u32_e32 v36, vcc, v1, v27, vcc
	v_ashrrev_i32_e32 v26, 31, v25
	v_lshlrev_b64 v[26:27], 3, v[25:26]
	v_add_u32_e32 v33, s15, v25
	v_add_co_u32_e32 v37, vcc, s4, v26
	v_addc_co_u32_e32 v38, vcc, v1, v27, vcc
	v_ashrrev_i32_e32 v34, 31, v33
	v_lshlrev_b64 v[25:26], 3, v[33:34]
	v_add_u32_e32 v33, s15, v33
	v_add_co_u32_e32 v25, vcc, s4, v25
	v_addc_co_u32_e32 v26, vcc, v1, v26, vcc
	;; [unrolled: 40-line block ×5, first 2 shown]
	v_ashrrev_i32_e32 v59, 31, v58
	global_load_dwordx2 v[41:42], v[41:42], off
	s_nop 0
	buffer_store_dword v52, off, s[0:3], 0 offset:848 ; 4-byte Folded Spill
	s_nop 0
	buffer_store_dword v53, off, s[0:3], 0 offset:852 ; 4-byte Folded Spill
	global_load_dwordx2 v[55:56], v[52:53], off
	s_nop 0
	buffer_store_dword v60, off, s[0:3], 0 offset:856 ; 4-byte Folded Spill
	s_nop 0
	buffer_store_dword v61, off, s[0:3], 0 offset:860 ; 4-byte Folded Spill
	;; [unrolled: 5-line block ×3, first 2 shown]
	v_lshlrev_b64 v[59:60], 3, v[58:59]
	v_add_u32_e32 v58, s15, v58
	v_add_co_u32_e32 v61, vcc, s4, v59
	v_ashrrev_i32_e32 v59, 31, v58
	global_load_dwordx2 v[51:52], v[62:63], off
	s_nop 0
	buffer_store_dword v49, off, s[0:3], 0 offset:872 ; 4-byte Folded Spill
	s_nop 0
	buffer_store_dword v50, off, s[0:3], 0 offset:876 ; 4-byte Folded Spill
	v_addc_co_u32_e32 v62, vcc, v1, v60, vcc
	v_lshlrev_b64 v[59:60], 3, v[58:59]
	v_add_u32_e32 v58, s15, v58
	v_add_co_u32_e32 v63, vcc, s4, v59
	v_ashrrev_i32_e32 v59, 31, v58
	v_addc_co_u32_e32 v64, vcc, v1, v60, vcc
	v_lshlrev_b64 v[59:60], 3, v[58:59]
	v_add_u32_e32 v58, s15, v58
	v_add_co_u32_e32 v65, vcc, s4, v59
	v_ashrrev_i32_e32 v59, 31, v58
	v_addc_co_u32_e32 v66, vcc, v1, v60, vcc
	v_lshlrev_b64 v[59:60], 3, v[58:59]
	v_add_co_u32_e32 v67, vcc, s4, v59
	v_addc_co_u32_e32 v68, vcc, v1, v60, vcc
	global_load_dwordx2 v[49:50], v[49:50], off
	s_nop 0
	buffer_store_dword v61, off, s[0:3], 0 offset:880 ; 4-byte Folded Spill
	s_nop 0
	buffer_store_dword v62, off, s[0:3], 0 offset:884 ; 4-byte Folded Spill
	global_load_dwordx2 v[59:60], v[61:62], off
	s_nop 0
	buffer_store_dword v63, off, s[0:3], 0 offset:888 ; 4-byte Folded Spill
	s_nop 0
	buffer_store_dword v64, off, s[0:3], 0 offset:892 ; 4-byte Folded Spill
	;; [unrolled: 5-line block ×4, first 2 shown]
	global_load_dwordx2 v[65:66], v[67:68], off
	v_add_u32_e32 v67, s15, v58
	v_ashrrev_i32_e32 v68, 31, v67
	v_lshlrev_b64 v[68:69], 3, v[67:68]
	v_add_u32_e32 v67, s15, v67
	v_add_co_u32_e32 v70, vcc, s4, v68
	v_addc_co_u32_e32 v71, vcc, v1, v69, vcc
	buffer_store_dword v70, off, s[0:3], 0 offset:912 ; 4-byte Folded Spill
	s_nop 0
	buffer_store_dword v71, off, s[0:3], 0 offset:916 ; 4-byte Folded Spill
	v_ashrrev_i32_e32 v68, 31, v67
	v_lshlrev_b64 v[68:69], 3, v[67:68]
	v_add_u32_e32 v67, s15, v67
	v_add_co_u32_e32 v72, vcc, s4, v68
	v_ashrrev_i32_e32 v68, 31, v67
	v_addc_co_u32_e32 v73, vcc, v1, v69, vcc
	v_lshlrev_b64 v[68:69], 3, v[67:68]
	v_add_u32_e32 v67, s15, v67
	v_add_co_u32_e32 v74, vcc, s4, v68
	v_ashrrev_i32_e32 v68, 31, v67
	v_addc_co_u32_e32 v75, vcc, v1, v69, vcc
	v_lshlrev_b64 v[68:69], 3, v[67:68]
	v_add_co_u32_e32 v76, vcc, s4, v68
	v_addc_co_u32_e32 v77, vcc, v1, v69, vcc
	global_load_dwordx2 v[68:69], v[70:71], off
	s_nop 0
	buffer_store_dword v72, off, s[0:3], 0 offset:920 ; 4-byte Folded Spill
	s_nop 0
	buffer_store_dword v73, off, s[0:3], 0 offset:924 ; 4-byte Folded Spill
	global_load_dwordx2 v[70:71], v[72:73], off
	s_nop 0
	buffer_store_dword v74, off, s[0:3], 0 offset:928 ; 4-byte Folded Spill
	s_nop 0
	buffer_store_dword v75, off, s[0:3], 0 offset:932 ; 4-byte Folded Spill
	;; [unrolled: 5-line block ×3, first 2 shown]
	global_load_dwordx2 v[74:75], v[76:77], off
	v_add_u32_e32 v76, s15, v67
	v_ashrrev_i32_e32 v77, 31, v76
	v_lshlrev_b64 v[77:78], 3, v[76:77]
	v_add_u32_e32 v76, s15, v76
	v_add_co_u32_e32 v79, vcc, s4, v77
	v_addc_co_u32_e32 v80, vcc, v1, v78, vcc
	buffer_store_dword v79, off, s[0:3], 0 offset:944 ; 4-byte Folded Spill
	s_nop 0
	buffer_store_dword v80, off, s[0:3], 0 offset:948 ; 4-byte Folded Spill
	v_ashrrev_i32_e32 v77, 31, v76
	v_lshlrev_b64 v[77:78], 3, v[76:77]
	v_add_u32_e32 v76, s15, v76
	v_add_co_u32_e32 v236, vcc, s4, v77
	v_ashrrev_i32_e32 v77, 31, v76
	v_addc_co_u32_e32 v237, vcc, v1, v78, vcc
	v_lshlrev_b64 v[77:78], 3, v[76:77]
	v_add_u32_e32 v76, s15, v76
	v_add_co_u32_e32 v238, vcc, s4, v77
	v_ashrrev_i32_e32 v77, 31, v76
	v_addc_co_u32_e32 v239, vcc, v1, v78, vcc
	v_lshlrev_b64 v[77:78], 3, v[76:77]
	v_add_u32_e32 v85, s15, v76
	v_add_co_u32_e32 v240, vcc, s4, v77
	v_addc_co_u32_e32 v241, vcc, v1, v78, vcc
	global_load_dwordx2 v[77:78], v[79:80], off
	s_nop 0
	global_load_dwordx2 v[79:80], v[236:237], off
	global_load_dwordx2 v[81:82], v[238:239], off
	;; [unrolled: 1-line block ×3, first 2 shown]
	v_ashrrev_i32_e32 v86, 31, v85
	v_lshlrev_b64 v[85:86], 3, v[85:86]
	v_add_co_u32_e32 v242, vcc, s4, v85
	v_addc_co_u32_e32 v243, vcc, v1, v86, vcc
	global_load_dwordx2 v[85:86], v[242:243], off
	s_nop 0
	buffer_store_dword v2, off, s[0:3], 0 offset:172
	s_waitcnt vmcnt(62)
	buffer_store_dword v7, off, s[0:3], 0 offset:176
	buffer_store_dword v8, off, s[0:3], 0 offset:180
	;; [unrolled: 1-line block ×34, first 2 shown]
	s_waitcnt vmcnt(62)
	buffer_store_dword v35, off, s[0:3], 0 offset:312
	buffer_store_dword v36, off, s[0:3], 0 offset:316
	;; [unrolled: 1-line block ×22, first 2 shown]
	s_waitcnt vmcnt(62)
	buffer_store_dword v62, off, s[0:3], 0 offset:404
	buffer_store_dword v61, off, s[0:3], 0 offset:400
	;; [unrolled: 1-line block ×14, first 2 shown]
	s_waitcnt vmcnt(62)
	buffer_store_dword v77, off, s[0:3], 0 offset:456
	buffer_store_dword v78, off, s[0:3], 0 offset:460
	;; [unrolled: 1-line block ×10, first 2 shown]
	s_cbranch_scc1 .LBB61_260
; %bb.4:
	v_cmp_eq_u32_e64 s[4:5], 0, v0
	s_and_saveexec_b64 s[8:9], s[4:5]
; %bb.5:
	v_mov_b32_e32 v1, 0
	ds_write_b32 v1, v1 offset:992
; %bb.6:
	s_or_b64 exec, exec, s[8:9]
	v_mov_b32_e32 v1, 0
	v_lshl_add_u32 v4, v0, 3, v1
	s_waitcnt lgkmcnt(0)
	; wave barrier
	buffer_load_dword v1, v4, s[0:3], 0 offen
	buffer_load_dword v2, v4, s[0:3], 0 offen offset:4
	s_waitcnt vmcnt(1)
	v_cmp_eq_f32_e32 vcc, 0, v1
	s_waitcnt vmcnt(0)
	v_cmp_eq_f32_e64 s[8:9], 0, v2
	s_and_b64 s[8:9], vcc, s[8:9]
	s_and_saveexec_b64 s[12:13], s[8:9]
	s_cbranch_execz .LBB61_10
; %bb.7:
	v_mov_b32_e32 v1, 0
	ds_read_b32 v3, v1 offset:992
	v_add_u32_e32 v2, 1, v0
	s_waitcnt lgkmcnt(0)
	v_readfirstlane_b32 s8, v3
	s_cmp_eq_u32 s8, 0
	s_cselect_b64 s[14:15], -1, 0
	v_cmp_gt_i32_e32 vcc, s8, v2
	s_or_b64 s[14:15], s[14:15], vcc
	s_and_b64 exec, exec, s[14:15]
	s_cbranch_execz .LBB61_10
; %bb.8:
	s_mov_b64 s[14:15], 0
	v_mov_b32_e32 v3, s8
.LBB61_9:                               ; =>This Inner Loop Header: Depth=1
	ds_cmpst_rtn_b32 v3, v1, v3, v2 offset:992
	s_waitcnt lgkmcnt(0)
	v_cmp_ne_u32_e32 vcc, 0, v3
	v_cmp_le_i32_e64 s[8:9], v3, v2
	s_and_b64 s[8:9], vcc, s[8:9]
	s_and_b64 s[8:9], exec, s[8:9]
	s_or_b64 s[14:15], s[8:9], s[14:15]
	s_andn2_b64 exec, exec, s[14:15]
	s_cbranch_execnz .LBB61_9
.LBB61_10:
	s_or_b64 exec, exec, s[12:13]
	v_mov_b32_e32 v2, 0
	; wave barrier
	ds_read_b32 v1, v2 offset:992
	s_and_saveexec_b64 s[8:9], s[4:5]
	s_cbranch_execz .LBB61_12
; %bb.11:
	s_lshl_b64 s[12:13], s[6:7], 2
	s_add_u32 s12, s10, s12
	s_addc_u32 s13, s11, s13
	s_waitcnt lgkmcnt(0)
	global_store_dword v2, v1, s[12:13]
.LBB61_12:
	s_or_b64 exec, exec, s[8:9]
	s_waitcnt lgkmcnt(0)
	v_cmp_ne_u32_e32 vcc, 0, v1
	s_mov_b64 s[8:9], 0
	s_cbranch_vccnz .LBB61_260
; %bb.13:
	buffer_load_dword v2, v4, s[0:3], 0 offen
	buffer_load_dword v3, v4, s[0:3], 0 offen offset:4
                                        ; implicit-def: $vgpr6
                                        ; implicit-def: $vgpr5
                                        ; implicit-def: $vgpr1
	s_waitcnt vmcnt(0)
	v_cmp_ngt_f32_e64 s[8:9], |v2|, |v3|
	s_and_saveexec_b64 s[12:13], s[8:9]
	s_xor_b64 s[8:9], exec, s[12:13]
	s_cbranch_execz .LBB61_15
; %bb.14:
	v_div_scale_f32 v1, s[12:13], v3, v3, v2
	v_div_scale_f32 v5, vcc, v2, v3, v2
	v_rcp_f32_e32 v6, v1
	v_fma_f32 v7, -v1, v6, 1.0
	v_fmac_f32_e32 v6, v7, v6
	v_mul_f32_e32 v7, v5, v6
	v_fma_f32 v8, -v1, v7, v5
	v_fmac_f32_e32 v7, v8, v6
	v_fma_f32 v1, -v1, v7, v5
	v_div_fmas_f32 v1, v1, v6, v7
	v_div_fixup_f32 v1, v1, v3, v2
	v_fmac_f32_e32 v3, v2, v1
	v_div_scale_f32 v2, s[12:13], v3, v3, 1.0
	v_div_scale_f32 v5, vcc, 1.0, v3, 1.0
	v_rcp_f32_e32 v6, v2
	v_fma_f32 v7, -v2, v6, 1.0
	v_fmac_f32_e32 v6, v7, v6
	v_mul_f32_e32 v7, v5, v6
	v_fma_f32 v8, -v2, v7, v5
	v_fmac_f32_e32 v7, v8, v6
	v_fma_f32 v2, -v2, v7, v5
	v_div_fmas_f32 v2, v2, v6, v7
	v_div_fixup_f32 v2, v2, v3, 1.0
	v_mul_f32_e32 v6, v1, v2
	v_xor_b32_e32 v5, 0x80000000, v2
	v_xor_b32_e32 v1, 0x80000000, v6
                                        ; implicit-def: $vgpr2
                                        ; implicit-def: $vgpr3
.LBB61_15:
	s_andn2_saveexec_b64 s[8:9], s[8:9]
	s_cbranch_execz .LBB61_17
; %bb.16:
	v_div_scale_f32 v1, s[12:13], v2, v2, v3
	v_div_scale_f32 v5, vcc, v3, v2, v3
	v_rcp_f32_e32 v6, v1
	v_fma_f32 v7, -v1, v6, 1.0
	v_fmac_f32_e32 v6, v7, v6
	v_mul_f32_e32 v7, v5, v6
	v_fma_f32 v8, -v1, v7, v5
	v_fmac_f32_e32 v7, v8, v6
	v_fma_f32 v1, -v1, v7, v5
	v_div_fmas_f32 v1, v1, v6, v7
	v_div_fixup_f32 v5, v1, v2, v3
	v_fmac_f32_e32 v2, v3, v5
	v_div_scale_f32 v1, s[12:13], v2, v2, 1.0
	v_div_scale_f32 v3, vcc, 1.0, v2, 1.0
	v_rcp_f32_e32 v6, v1
	v_fma_f32 v7, -v1, v6, 1.0
	v_fmac_f32_e32 v6, v7, v6
	v_mul_f32_e32 v7, v3, v6
	v_fma_f32 v8, -v1, v7, v3
	v_fmac_f32_e32 v7, v8, v6
	v_fma_f32 v1, -v1, v7, v3
	v_div_fmas_f32 v1, v1, v6, v7
	v_div_fixup_f32 v6, v1, v2, 1.0
	v_xor_b32_e32 v1, 0x80000000, v6
	v_mul_f32_e64 v5, v5, -v6
.LBB61_17:
	s_or_b64 exec, exec, s[8:9]
	buffer_store_dword v6, v4, s[0:3], 0 offen
	buffer_store_dword v5, v4, s[0:3], 0 offen offset:4
	buffer_load_dword v7, off, s[0:3], 0 offset:12
	s_nop 0
	buffer_load_dword v6, off, s[0:3], 0 offset:8
	v_xor_b32_e32 v2, 0x80000000, v5
	v_add_u32_e32 v3, 0x1f0, v57
	s_waitcnt vmcnt(0)
	ds_write2_b64 v57, v[1:2], v[6:7] offset1:62
	s_waitcnt lgkmcnt(0)
	; wave barrier
	s_and_saveexec_b64 s[8:9], s[4:5]
	s_cbranch_execz .LBB61_19
; %bb.18:
	buffer_load_dword v7, v4, s[0:3], 0 offen offset:4
	buffer_load_dword v8, v4, s[0:3], 0 offen
	ds_read_b64 v[1:2], v3
	v_mov_b32_e32 v5, 0
	ds_read_b64 v[5:6], v5 offset:8
	s_waitcnt vmcnt(1) lgkmcnt(1)
	v_mul_f32_e32 v9, v2, v7
	v_mul_f32_e32 v7, v1, v7
	s_waitcnt vmcnt(0)
	v_fmac_f32_e32 v7, v2, v8
	v_fma_f32 v1, v1, v8, -v9
	v_add_f32_e32 v2, 0, v7
	v_add_f32_e32 v1, 0, v1
	s_waitcnt lgkmcnt(0)
	v_mul_f32_e32 v7, v2, v6
	v_mul_f32_e32 v6, v1, v6
	v_fma_f32 v1, v1, v5, -v7
	v_fmac_f32_e32 v6, v2, v5
	buffer_store_dword v1, off, s[0:3], 0 offset:8
	buffer_store_dword v6, off, s[0:3], 0 offset:12
.LBB61_19:
	s_or_b64 exec, exec, s[8:9]
	; wave barrier
	buffer_load_dword v1, off, s[0:3], 0 offset:16
	buffer_load_dword v2, off, s[0:3], 0 offset:20
	v_cmp_gt_u32_e32 vcc, 2, v0
	s_waitcnt vmcnt(0)
	ds_write_b64 v3, v[1:2]
	s_waitcnt lgkmcnt(0)
	; wave barrier
	s_and_saveexec_b64 s[8:9], vcc
	s_cbranch_execz .LBB61_23
; %bb.20:
	buffer_load_dword v5, v4, s[0:3], 0 offen offset:4
	s_nop 0
	buffer_load_dword v4, v4, s[0:3], 0 offen
	ds_read_b64 v[1:2], v3
	s_waitcnt vmcnt(1) lgkmcnt(0)
	v_mul_f32_e32 v6, v2, v5
	v_mul_f32_e32 v5, v1, v5
	s_waitcnt vmcnt(0)
	v_fma_f32 v1, v1, v4, -v6
	v_fmac_f32_e32 v5, v2, v4
	v_add_f32_e32 v2, 0, v1
	v_add_f32_e32 v1, 0, v5
	s_and_saveexec_b64 s[12:13], s[4:5]
	s_cbranch_execz .LBB61_22
; %bb.21:
	buffer_load_dword v6, off, s[0:3], 0 offset:12
	buffer_load_dword v7, off, s[0:3], 0 offset:8
	v_mov_b32_e32 v4, 0
	ds_read_b64 v[4:5], v4 offset:504
	s_waitcnt vmcnt(1) lgkmcnt(0)
	v_mul_f32_e32 v8, v4, v6
	v_mul_f32_e32 v6, v5, v6
	s_waitcnt vmcnt(0)
	v_fmac_f32_e32 v8, v5, v7
	v_fma_f32 v4, v4, v7, -v6
	v_add_f32_e32 v1, v1, v8
	v_add_f32_e32 v2, v2, v4
.LBB61_22:
	s_or_b64 exec, exec, s[12:13]
	v_mov_b32_e32 v4, 0
	ds_read_b64 v[4:5], v4 offset:16
	s_waitcnt lgkmcnt(0)
	v_mul_f32_e32 v6, v1, v5
	v_mul_f32_e32 v5, v2, v5
	v_fma_f32 v2, v2, v4, -v6
	v_fmac_f32_e32 v5, v1, v4
	buffer_store_dword v2, off, s[0:3], 0 offset:16
	buffer_store_dword v5, off, s[0:3], 0 offset:20
.LBB61_23:
	s_or_b64 exec, exec, s[8:9]
	; wave barrier
	buffer_load_dword v1, off, s[0:3], 0 offset:24
	buffer_load_dword v2, off, s[0:3], 0 offset:28
	v_cmp_gt_u32_e32 vcc, 3, v0
	s_waitcnt vmcnt(0)
	ds_write_b64 v3, v[1:2]
	v_add_u32_e32 v1, -1, v0
	s_waitcnt lgkmcnt(0)
	; wave barrier
	s_and_saveexec_b64 s[4:5], vcc
	s_cbranch_execz .LBB61_27
; %bb.24:
	v_add_u32_e32 v4, -1, v0
	v_add_u32_e32 v5, 0x1f0, v57
	v_mov_b32_e32 v6, v57
	v_mov_b32_e32 v2, 0
	s_mov_b64 s[8:9], 0
	v_mov_b32_e32 v7, 0
.LBB61_25:                              ; =>This Inner Loop Header: Depth=1
	buffer_load_dword v10, v6, s[0:3], 0 offen offset:4
	buffer_load_dword v11, v6, s[0:3], 0 offen
	ds_read_b64 v[8:9], v5
	v_add_u32_e32 v4, 1, v4
	v_cmp_lt_u32_e32 vcc, 1, v4
	v_add_u32_e32 v5, 8, v5
	v_add_u32_e32 v6, 8, v6
	s_or_b64 s[8:9], vcc, s[8:9]
	s_waitcnt vmcnt(1) lgkmcnt(0)
	v_mul_f32_e32 v12, v9, v10
	v_mul_f32_e32 v10, v8, v10
	s_waitcnt vmcnt(0)
	v_fma_f32 v8, v8, v11, -v12
	v_fmac_f32_e32 v10, v9, v11
	v_add_f32_e32 v7, v7, v8
	v_add_f32_e32 v2, v2, v10
	s_andn2_b64 exec, exec, s[8:9]
	s_cbranch_execnz .LBB61_25
; %bb.26:
	s_or_b64 exec, exec, s[8:9]
	v_mov_b32_e32 v4, 0
	ds_read_b64 v[4:5], v4 offset:24
	s_waitcnt lgkmcnt(0)
	v_mul_f32_e32 v6, v2, v5
	v_mul_f32_e32 v5, v7, v5
	v_fma_f32 v6, v7, v4, -v6
	v_fmac_f32_e32 v5, v2, v4
	buffer_store_dword v6, off, s[0:3], 0 offset:24
	buffer_store_dword v5, off, s[0:3], 0 offset:28
.LBB61_27:
	s_or_b64 exec, exec, s[4:5]
	; wave barrier
	buffer_load_dword v4, off, s[0:3], 0 offset:32
	buffer_load_dword v5, off, s[0:3], 0 offset:36
	v_cmp_gt_u32_e32 vcc, 4, v0
	s_waitcnt vmcnt(0)
	ds_write_b64 v3, v[4:5]
	s_waitcnt lgkmcnt(0)
	; wave barrier
	s_and_saveexec_b64 s[4:5], vcc
	s_cbranch_execz .LBB61_31
; %bb.28:
	v_add_u32_e32 v4, -1, v0
	v_add_u32_e32 v5, 0x1f0, v57
	v_mov_b32_e32 v6, v57
	v_mov_b32_e32 v2, 0
	s_mov_b64 s[8:9], 0
	v_mov_b32_e32 v7, 0
.LBB61_29:                              ; =>This Inner Loop Header: Depth=1
	buffer_load_dword v10, v6, s[0:3], 0 offen offset:4
	buffer_load_dword v11, v6, s[0:3], 0 offen
	ds_read_b64 v[8:9], v5
	v_add_u32_e32 v4, 1, v4
	v_cmp_lt_u32_e32 vcc, 2, v4
	v_add_u32_e32 v5, 8, v5
	v_add_u32_e32 v6, 8, v6
	s_or_b64 s[8:9], vcc, s[8:9]
	s_waitcnt vmcnt(1) lgkmcnt(0)
	v_mul_f32_e32 v12, v9, v10
	v_mul_f32_e32 v10, v8, v10
	s_waitcnt vmcnt(0)
	v_fma_f32 v8, v8, v11, -v12
	v_fmac_f32_e32 v10, v9, v11
	v_add_f32_e32 v7, v7, v8
	v_add_f32_e32 v2, v2, v10
	s_andn2_b64 exec, exec, s[8:9]
	s_cbranch_execnz .LBB61_29
; %bb.30:
	s_or_b64 exec, exec, s[8:9]
	v_mov_b32_e32 v4, 0
	ds_read_b64 v[4:5], v4 offset:32
	s_waitcnt lgkmcnt(0)
	v_mul_f32_e32 v6, v2, v5
	v_mul_f32_e32 v5, v7, v5
	v_fma_f32 v6, v7, v4, -v6
	v_fmac_f32_e32 v5, v2, v4
	buffer_store_dword v6, off, s[0:3], 0 offset:32
	buffer_store_dword v5, off, s[0:3], 0 offset:36
.LBB61_31:
	s_or_b64 exec, exec, s[4:5]
	; wave barrier
	buffer_load_dword v4, off, s[0:3], 0 offset:40
	buffer_load_dword v5, off, s[0:3], 0 offset:44
	v_cmp_gt_u32_e32 vcc, 5, v0
	s_waitcnt vmcnt(0)
	ds_write_b64 v3, v[4:5]
	;; [unrolled: 49-line block ×19, first 2 shown]
	s_waitcnt lgkmcnt(0)
	; wave barrier
	s_and_saveexec_b64 s[4:5], vcc
	s_cbranch_execz .LBB61_103
; %bb.100:
	v_add_u32_e32 v4, -1, v0
	v_add_u32_e32 v5, 0x1f0, v57
	v_mov_b32_e32 v6, v57
	v_mov_b32_e32 v2, 0
	s_mov_b64 s[8:9], 0
	v_mov_b32_e32 v7, 0
.LBB61_101:                             ; =>This Inner Loop Header: Depth=1
	buffer_load_dword v10, v6, s[0:3], 0 offen offset:4
	buffer_load_dword v11, v6, s[0:3], 0 offen
	ds_read_b64 v[8:9], v5
	v_add_u32_e32 v4, 1, v4
	v_cmp_lt_u32_e32 vcc, 20, v4
	v_add_u32_e32 v5, 8, v5
	v_add_u32_e32 v6, 8, v6
	s_or_b64 s[8:9], vcc, s[8:9]
	s_waitcnt vmcnt(1) lgkmcnt(0)
	v_mul_f32_e32 v12, v9, v10
	v_mul_f32_e32 v10, v8, v10
	s_waitcnt vmcnt(0)
	v_fma_f32 v8, v8, v11, -v12
	v_fmac_f32_e32 v10, v9, v11
	v_add_f32_e32 v7, v7, v8
	v_add_f32_e32 v2, v2, v10
	s_andn2_b64 exec, exec, s[8:9]
	s_cbranch_execnz .LBB61_101
; %bb.102:
	s_or_b64 exec, exec, s[8:9]
	v_mov_b32_e32 v4, 0
	ds_read_b64 v[4:5], v4 offset:176
	s_waitcnt lgkmcnt(0)
	v_mul_f32_e32 v6, v2, v5
	v_mul_f32_e32 v5, v7, v5
	v_fma_f32 v6, v7, v4, -v6
	v_fmac_f32_e32 v5, v2, v4
	buffer_store_dword v6, off, s[0:3], 0 offset:176
	buffer_store_dword v5, off, s[0:3], 0 offset:180
.LBB61_103:
	s_or_b64 exec, exec, s[4:5]
	; wave barrier
	buffer_load_dword v4, off, s[0:3], 0 offset:184
	buffer_load_dword v5, off, s[0:3], 0 offset:188
	v_cmp_gt_u32_e32 vcc, 23, v0
	s_waitcnt vmcnt(0)
	ds_write_b64 v3, v[4:5]
	s_waitcnt lgkmcnt(0)
	; wave barrier
	s_and_saveexec_b64 s[4:5], vcc
	s_cbranch_execz .LBB61_107
; %bb.104:
	v_add_u32_e32 v4, -1, v0
	v_add_u32_e32 v5, 0x1f0, v57
	v_mov_b32_e32 v6, v57
	v_mov_b32_e32 v2, 0
	s_mov_b64 s[8:9], 0
	v_mov_b32_e32 v7, 0
.LBB61_105:                             ; =>This Inner Loop Header: Depth=1
	buffer_load_dword v10, v6, s[0:3], 0 offen offset:4
	buffer_load_dword v11, v6, s[0:3], 0 offen
	ds_read_b64 v[8:9], v5
	v_add_u32_e32 v4, 1, v4
	v_cmp_lt_u32_e32 vcc, 21, v4
	v_add_u32_e32 v5, 8, v5
	v_add_u32_e32 v6, 8, v6
	s_or_b64 s[8:9], vcc, s[8:9]
	s_waitcnt vmcnt(1) lgkmcnt(0)
	v_mul_f32_e32 v12, v9, v10
	v_mul_f32_e32 v10, v8, v10
	s_waitcnt vmcnt(0)
	v_fma_f32 v8, v8, v11, -v12
	v_fmac_f32_e32 v10, v9, v11
	v_add_f32_e32 v7, v7, v8
	v_add_f32_e32 v2, v2, v10
	s_andn2_b64 exec, exec, s[8:9]
	s_cbranch_execnz .LBB61_105
; %bb.106:
	s_or_b64 exec, exec, s[8:9]
	v_mov_b32_e32 v4, 0
	ds_read_b64 v[4:5], v4 offset:184
	s_waitcnt lgkmcnt(0)
	v_mul_f32_e32 v6, v2, v5
	v_mul_f32_e32 v5, v7, v5
	v_fma_f32 v6, v7, v4, -v6
	v_fmac_f32_e32 v5, v2, v4
	buffer_store_dword v6, off, s[0:3], 0 offset:184
	buffer_store_dword v5, off, s[0:3], 0 offset:188
.LBB61_107:
	s_or_b64 exec, exec, s[4:5]
	; wave barrier
	buffer_load_dword v4, off, s[0:3], 0 offset:192
	buffer_load_dword v5, off, s[0:3], 0 offset:196
	v_cmp_gt_u32_e32 vcc, 24, v0
	s_waitcnt vmcnt(0)
	ds_write_b64 v3, v[4:5]
	;; [unrolled: 49-line block ×38, first 2 shown]
	s_waitcnt lgkmcnt(0)
	; wave barrier
	s_and_saveexec_b64 s[4:5], vcc
	s_cbranch_execz .LBB61_255
; %bb.252:
	v_add_u32_e32 v4, -1, v0
	v_add_u32_e32 v5, 0x1f0, v57
	v_mov_b32_e32 v6, v57
	v_mov_b32_e32 v2, 0
	s_mov_b64 s[8:9], 0
	v_mov_b32_e32 v7, 0
.LBB61_253:                             ; =>This Inner Loop Header: Depth=1
	buffer_load_dword v10, v6, s[0:3], 0 offen offset:4
	buffer_load_dword v11, v6, s[0:3], 0 offen
	ds_read_b64 v[8:9], v5
	v_add_u32_e32 v4, 1, v4
	v_cmp_lt_u32_e32 vcc, 58, v4
	v_add_u32_e32 v5, 8, v5
	v_add_u32_e32 v6, 8, v6
	s_or_b64 s[8:9], vcc, s[8:9]
	s_waitcnt vmcnt(1) lgkmcnt(0)
	v_mul_f32_e32 v12, v9, v10
	v_mul_f32_e32 v10, v8, v10
	s_waitcnt vmcnt(0)
	v_fma_f32 v8, v8, v11, -v12
	v_fmac_f32_e32 v10, v9, v11
	v_add_f32_e32 v7, v7, v8
	v_add_f32_e32 v2, v2, v10
	s_andn2_b64 exec, exec, s[8:9]
	s_cbranch_execnz .LBB61_253
; %bb.254:
	s_or_b64 exec, exec, s[8:9]
	v_mov_b32_e32 v4, 0
	ds_read_b64 v[4:5], v4 offset:480
	s_waitcnt lgkmcnt(0)
	v_mul_f32_e32 v6, v2, v5
	v_mul_f32_e32 v5, v7, v5
	v_fma_f32 v6, v7, v4, -v6
	v_fmac_f32_e32 v5, v2, v4
	buffer_store_dword v6, off, s[0:3], 0 offset:480
	buffer_store_dword v5, off, s[0:3], 0 offset:484
.LBB61_255:
	s_or_b64 exec, exec, s[4:5]
	; wave barrier
	buffer_load_dword v4, off, s[0:3], 0 offset:488
	buffer_load_dword v5, off, s[0:3], 0 offset:492
	v_cmp_ne_u32_e32 vcc, 61, v0
	s_waitcnt vmcnt(0)
	ds_write_b64 v3, v[4:5]
	s_waitcnt lgkmcnt(0)
	; wave barrier
	s_and_saveexec_b64 s[4:5], vcc
	s_cbranch_execz .LBB61_259
; %bb.256:
	v_add_u32_e32 v3, 0x1f0, v57
	v_mov_b32_e32 v4, v57
	v_mov_b32_e32 v2, 0
	s_mov_b64 s[8:9], 0
	v_mov_b32_e32 v5, 0
.LBB61_257:                             ; =>This Inner Loop Header: Depth=1
	buffer_load_dword v8, v4, s[0:3], 0 offen offset:4
	buffer_load_dword v9, v4, s[0:3], 0 offen
	ds_read_b64 v[6:7], v3
	v_add_u32_e32 v1, 1, v1
	v_cmp_lt_u32_e32 vcc, 59, v1
	v_add_u32_e32 v3, 8, v3
	v_add_u32_e32 v4, 8, v4
	s_or_b64 s[8:9], vcc, s[8:9]
	s_waitcnt vmcnt(1) lgkmcnt(0)
	v_mul_f32_e32 v10, v7, v8
	v_mul_f32_e32 v8, v6, v8
	s_waitcnt vmcnt(0)
	v_fma_f32 v6, v6, v9, -v10
	v_fmac_f32_e32 v8, v7, v9
	v_add_f32_e32 v5, v5, v6
	v_add_f32_e32 v2, v2, v8
	s_andn2_b64 exec, exec, s[8:9]
	s_cbranch_execnz .LBB61_257
; %bb.258:
	s_or_b64 exec, exec, s[8:9]
	v_mov_b32_e32 v1, 0
	ds_read_b64 v[3:4], v1 offset:488
	s_waitcnt lgkmcnt(0)
	v_mul_f32_e32 v1, v2, v4
	v_mul_f32_e32 v4, v5, v4
	v_fma_f32 v1, v5, v3, -v1
	v_fmac_f32_e32 v4, v2, v3
	buffer_store_dword v1, off, s[0:3], 0 offset:488
	buffer_store_dword v4, off, s[0:3], 0 offset:492
.LBB61_259:
	s_or_b64 exec, exec, s[4:5]
	s_mov_b64 s[8:9], -1
	; wave barrier
.LBB61_260:
	s_and_b64 vcc, exec, s[8:9]
	s_cbranch_vccz .LBB61_262
; %bb.261:
	s_lshl_b64 s[4:5], s[6:7], 2
	s_add_u32 s4, s10, s4
	s_addc_u32 s5, s11, s5
	v_mov_b32_e32 v1, 0
	global_load_dword v1, v1, s[4:5]
	s_waitcnt vmcnt(0)
	v_cmp_ne_u32_e32 vcc, 0, v1
	s_cbranch_vccz .LBB61_263
.LBB61_262:
	s_endpgm
.LBB61_263:
	v_mov_b32_e32 v1, 0x1f0
	v_lshl_add_u32 v25, v0, 3, v1
	v_cmp_eq_u32_e32 vcc, 61, v0
	s_and_saveexec_b64 s[4:5], vcc
	s_cbranch_execz .LBB61_265
; %bb.264:
	buffer_load_dword v1, off, s[0:3], 0 offset:480
	buffer_load_dword v2, off, s[0:3], 0 offset:484
	v_mov_b32_e32 v3, 0
	buffer_store_dword v3, off, s[0:3], 0 offset:480
	buffer_store_dword v3, off, s[0:3], 0 offset:484
	s_waitcnt vmcnt(2)
	ds_write_b64 v25, v[1:2]
.LBB61_265:
	s_or_b64 exec, exec, s[4:5]
	s_waitcnt lgkmcnt(0)
	; wave barrier
	buffer_load_dword v4, off, s[0:3], 0 offset:492
	buffer_load_dword v5, off, s[0:3], 0 offset:488
	;; [unrolled: 1-line block ×4, first 2 shown]
	v_mov_b32_e32 v1, 0
	ds_read_b64 v[2:3], v1 offset:984
	v_cmp_lt_u32_e32 vcc, 59, v0
	s_waitcnt vmcnt(3) lgkmcnt(0)
	v_mul_f32_e32 v8, v2, v4
	v_mul_f32_e32 v4, v3, v4
	s_waitcnt vmcnt(2)
	v_fma_f32 v2, v2, v5, -v4
	v_fmac_f32_e32 v8, v3, v5
	v_add_f32_e32 v2, 0, v2
	v_add_f32_e32 v3, 0, v8
	s_waitcnt vmcnt(1)
	v_sub_f32_e32 v2, v6, v2
	s_waitcnt vmcnt(0)
	v_sub_f32_e32 v3, v7, v3
	buffer_store_dword v2, off, s[0:3], 0 offset:480
	buffer_store_dword v3, off, s[0:3], 0 offset:484
	s_and_saveexec_b64 s[4:5], vcc
	s_cbranch_execz .LBB61_267
; %bb.266:
	buffer_load_dword v2, off, s[0:3], 0 offset:472
	buffer_load_dword v3, off, s[0:3], 0 offset:476
	s_waitcnt vmcnt(0)
	ds_write_b64 v25, v[2:3]
	buffer_store_dword v1, off, s[0:3], 0 offset:472
	buffer_store_dword v1, off, s[0:3], 0 offset:476
.LBB61_267:
	s_or_b64 exec, exec, s[4:5]
	s_waitcnt lgkmcnt(0)
	; wave barrier
	buffer_load_dword v5, off, s[0:3], 0 offset:484
	buffer_load_dword v6, off, s[0:3], 0 offset:492
	;; [unrolled: 1-line block ×6, first 2 shown]
	ds_read_b128 v[1:4], v1 offset:976
	v_cmp_lt_u32_e32 vcc, 58, v0
	s_waitcnt vmcnt(5) lgkmcnt(0)
	v_mul_f32_e32 v11, v1, v5
	v_mul_f32_e32 v5, v2, v5
	s_waitcnt vmcnt(4)
	v_mul_f32_e32 v12, v3, v6
	v_mul_f32_e32 v6, v4, v6
	s_waitcnt vmcnt(3)
	v_fma_f32 v1, v1, v7, -v5
	v_fmac_f32_e32 v11, v2, v7
	s_waitcnt vmcnt(2)
	v_fma_f32 v2, v3, v8, -v6
	v_add_f32_e32 v1, 0, v1
	v_fmac_f32_e32 v12, v4, v8
	v_add_f32_e32 v3, 0, v11
	v_add_f32_e32 v1, v1, v2
	;; [unrolled: 1-line block ×3, first 2 shown]
	s_waitcnt vmcnt(1)
	v_sub_f32_e32 v1, v9, v1
	s_waitcnt vmcnt(0)
	v_sub_f32_e32 v2, v10, v3
	buffer_store_dword v1, off, s[0:3], 0 offset:472
	buffer_store_dword v2, off, s[0:3], 0 offset:476
	s_and_saveexec_b64 s[4:5], vcc
	s_cbranch_execz .LBB61_269
; %bb.268:
	buffer_load_dword v1, off, s[0:3], 0 offset:464
	buffer_load_dword v2, off, s[0:3], 0 offset:468
	v_mov_b32_e32 v3, 0
	buffer_store_dword v3, off, s[0:3], 0 offset:464
	buffer_store_dword v3, off, s[0:3], 0 offset:468
	s_waitcnt vmcnt(2)
	ds_write_b64 v25, v[1:2]
.LBB61_269:
	s_or_b64 exec, exec, s[4:5]
	s_waitcnt lgkmcnt(0)
	; wave barrier
	buffer_load_dword v8, off, s[0:3], 0 offset:476
	buffer_load_dword v9, off, s[0:3], 0 offset:484
	;; [unrolled: 1-line block ×8, first 2 shown]
	v_mov_b32_e32 v1, 0
	ds_read2_b64 v[2:5], v1 offset0:121 offset1:122
	ds_read_b64 v[6:7], v1 offset:984
	v_cmp_lt_u32_e32 vcc, 57, v0
	s_waitcnt vmcnt(7) lgkmcnt(1)
	v_mul_f32_e32 v16, v2, v8
	v_mul_f32_e32 v8, v3, v8
	s_waitcnt vmcnt(6)
	v_mul_f32_e32 v17, v4, v9
	v_mul_f32_e32 v9, v5, v9
	s_waitcnt vmcnt(4)
	v_fma_f32 v2, v2, v11, -v8
	s_waitcnt lgkmcnt(0)
	v_mul_f32_e32 v18, v6, v10
	v_mul_f32_e32 v10, v7, v10
	v_fmac_f32_e32 v16, v3, v11
	s_waitcnt vmcnt(3)
	v_fma_f32 v3, v4, v12, -v9
	v_add_f32_e32 v2, 0, v2
	v_fmac_f32_e32 v17, v5, v12
	s_waitcnt vmcnt(2)
	v_fma_f32 v4, v6, v13, -v10
	v_add_f32_e32 v5, 0, v16
	v_add_f32_e32 v2, v2, v3
	v_fmac_f32_e32 v18, v7, v13
	v_add_f32_e32 v5, v5, v17
	v_add_f32_e32 v2, v2, v4
	;; [unrolled: 1-line block ×3, first 2 shown]
	s_waitcnt vmcnt(1)
	v_sub_f32_e32 v2, v14, v2
	s_waitcnt vmcnt(0)
	v_sub_f32_e32 v3, v15, v3
	buffer_store_dword v2, off, s[0:3], 0 offset:464
	buffer_store_dword v3, off, s[0:3], 0 offset:468
	s_and_saveexec_b64 s[4:5], vcc
	s_cbranch_execz .LBB61_271
; %bb.270:
	buffer_load_dword v2, off, s[0:3], 0 offset:456
	buffer_load_dword v3, off, s[0:3], 0 offset:460
	s_waitcnt vmcnt(0)
	ds_write_b64 v25, v[2:3]
	buffer_store_dword v1, off, s[0:3], 0 offset:456
	buffer_store_dword v1, off, s[0:3], 0 offset:460
.LBB61_271:
	s_or_b64 exec, exec, s[4:5]
	s_waitcnt lgkmcnt(0)
	; wave barrier
	buffer_load_dword v10, off, s[0:3], 0 offset:468
	buffer_load_dword v11, off, s[0:3], 0 offset:476
	;; [unrolled: 1-line block ×10, first 2 shown]
	ds_read_b128 v[2:5], v1 offset:960
	ds_read_b128 v[6:9], v1 offset:976
	v_cmp_lt_u32_e32 vcc, 56, v0
	s_waitcnt vmcnt(9) lgkmcnt(1)
	v_mul_f32_e32 v1, v2, v10
	v_mul_f32_e32 v10, v3, v10
	s_waitcnt vmcnt(8)
	v_mul_f32_e32 v20, v4, v11
	v_mul_f32_e32 v11, v5, v11
	s_waitcnt vmcnt(5)
	v_fma_f32 v2, v2, v14, -v10
	s_waitcnt lgkmcnt(0)
	v_mul_f32_e32 v21, v6, v12
	v_mul_f32_e32 v12, v7, v12
	v_fmac_f32_e32 v1, v3, v14
	s_waitcnt vmcnt(4)
	v_fma_f32 v3, v4, v15, -v11
	v_add_f32_e32 v2, 0, v2
	v_mul_f32_e32 v22, v8, v13
	v_mul_f32_e32 v13, v9, v13
	v_fmac_f32_e32 v20, v5, v15
	s_waitcnt vmcnt(3)
	v_fma_f32 v4, v6, v16, -v12
	v_add_f32_e32 v1, 0, v1
	v_add_f32_e32 v2, v2, v3
	v_fmac_f32_e32 v21, v7, v16
	s_waitcnt vmcnt(2)
	v_fma_f32 v5, v8, v17, -v13
	v_add_f32_e32 v1, v1, v20
	v_add_f32_e32 v2, v2, v4
	v_fmac_f32_e32 v22, v9, v17
	v_add_f32_e32 v1, v1, v21
	v_add_f32_e32 v2, v2, v5
	;; [unrolled: 1-line block ×3, first 2 shown]
	s_waitcnt vmcnt(1)
	v_sub_f32_e32 v2, v18, v2
	s_waitcnt vmcnt(0)
	v_sub_f32_e32 v1, v19, v1
	buffer_store_dword v2, off, s[0:3], 0 offset:456
	buffer_store_dword v1, off, s[0:3], 0 offset:460
	s_and_saveexec_b64 s[4:5], vcc
	s_cbranch_execz .LBB61_273
; %bb.272:
	buffer_load_dword v1, off, s[0:3], 0 offset:448
	buffer_load_dword v2, off, s[0:3], 0 offset:452
	v_mov_b32_e32 v3, 0
	buffer_store_dword v3, off, s[0:3], 0 offset:448
	buffer_store_dword v3, off, s[0:3], 0 offset:452
	s_waitcnt vmcnt(2)
	ds_write_b64 v25, v[1:2]
.LBB61_273:
	s_or_b64 exec, exec, s[4:5]
	s_waitcnt lgkmcnt(0)
	; wave barrier
	buffer_load_dword v12, off, s[0:3], 0 offset:460
	buffer_load_dword v13, off, s[0:3], 0 offset:468
	;; [unrolled: 1-line block ×12, first 2 shown]
	v_mov_b32_e32 v1, 0
	ds_read2_b64 v[2:5], v1 offset0:119 offset1:120
	ds_read2_b64 v[6:9], v1 offset0:121 offset1:122
	ds_read_b64 v[10:11], v1 offset:984
	v_cmp_lt_u32_e32 vcc, 55, v0
	s_waitcnt vmcnt(11) lgkmcnt(2)
	v_mul_f32_e32 v24, v2, v12
	v_mul_f32_e32 v12, v3, v12
	s_waitcnt vmcnt(10)
	v_mul_f32_e32 v26, v4, v13
	v_mul_f32_e32 v13, v5, v13
	s_waitcnt vmcnt(9) lgkmcnt(1)
	v_mul_f32_e32 v27, v6, v14
	s_waitcnt vmcnt(6)
	v_fma_f32 v2, v2, v17, -v12
	v_mul_f32_e32 v14, v7, v14
	v_fmac_f32_e32 v24, v3, v17
	s_waitcnt vmcnt(5)
	v_fma_f32 v3, v4, v18, -v13
	v_add_f32_e32 v2, 0, v2
	v_mul_f32_e32 v28, v8, v15
	v_mul_f32_e32 v15, v9, v15
	v_fmac_f32_e32 v26, v5, v18
	s_waitcnt vmcnt(4)
	v_fmac_f32_e32 v27, v7, v19
	v_fma_f32 v4, v6, v19, -v14
	v_add_f32_e32 v7, 0, v24
	v_add_f32_e32 v2, v2, v3
	s_waitcnt lgkmcnt(0)
	v_mul_f32_e32 v29, v10, v16
	v_mul_f32_e32 v16, v11, v16
	s_waitcnt vmcnt(3)
	v_fma_f32 v5, v8, v20, -v15
	v_add_f32_e32 v7, v7, v26
	v_add_f32_e32 v2, v2, v4
	v_fmac_f32_e32 v28, v9, v20
	s_waitcnt vmcnt(2)
	v_fma_f32 v6, v10, v21, -v16
	v_add_f32_e32 v3, v7, v27
	v_add_f32_e32 v2, v2, v5
	v_fmac_f32_e32 v29, v11, v21
	v_add_f32_e32 v3, v3, v28
	v_add_f32_e32 v2, v2, v6
	;; [unrolled: 1-line block ×3, first 2 shown]
	s_waitcnt vmcnt(1)
	v_sub_f32_e32 v2, v22, v2
	s_waitcnt vmcnt(0)
	v_sub_f32_e32 v3, v23, v3
	buffer_store_dword v2, off, s[0:3], 0 offset:448
	buffer_store_dword v3, off, s[0:3], 0 offset:452
	s_and_saveexec_b64 s[4:5], vcc
	s_cbranch_execz .LBB61_275
; %bb.274:
	buffer_load_dword v2, off, s[0:3], 0 offset:440
	buffer_load_dword v3, off, s[0:3], 0 offset:444
	s_waitcnt vmcnt(0)
	ds_write_b64 v25, v[2:3]
	buffer_store_dword v1, off, s[0:3], 0 offset:440
	buffer_store_dword v1, off, s[0:3], 0 offset:444
.LBB61_275:
	s_or_b64 exec, exec, s[4:5]
	s_waitcnt lgkmcnt(0)
	; wave barrier
	buffer_load_dword v14, off, s[0:3], 0 offset:452
	buffer_load_dword v15, off, s[0:3], 0 offset:460
	;; [unrolled: 1-line block ×14, first 2 shown]
	ds_read_b128 v[2:5], v1 offset:944
	ds_read_b128 v[6:9], v1 offset:960
	;; [unrolled: 1-line block ×3, first 2 shown]
	v_cmp_lt_u32_e32 vcc, 54, v0
	s_waitcnt vmcnt(13) lgkmcnt(2)
	v_mul_f32_e32 v1, v2, v14
	v_mul_f32_e32 v14, v3, v14
	s_waitcnt vmcnt(12)
	v_mul_f32_e32 v29, v4, v15
	v_mul_f32_e32 v15, v5, v15
	s_waitcnt vmcnt(11) lgkmcnt(1)
	v_mul_f32_e32 v30, v6, v16
	v_mul_f32_e32 v16, v7, v16
	s_waitcnt vmcnt(7)
	v_fma_f32 v2, v2, v20, -v14
	v_fmac_f32_e32 v1, v3, v20
	s_waitcnt vmcnt(6)
	v_fma_f32 v3, v4, v21, -v15
	v_add_f32_e32 v2, 0, v2
	v_mul_f32_e32 v31, v8, v17
	v_mul_f32_e32 v17, v9, v17
	v_fmac_f32_e32 v29, v5, v21
	s_waitcnt vmcnt(5)
	v_fma_f32 v4, v6, v22, -v16
	v_add_f32_e32 v1, 0, v1
	v_add_f32_e32 v2, v2, v3
	s_waitcnt lgkmcnt(0)
	v_mul_f32_e32 v32, v10, v18
	v_mul_f32_e32 v18, v11, v18
	v_fmac_f32_e32 v30, v7, v22
	s_waitcnt vmcnt(4)
	v_fma_f32 v5, v8, v23, -v17
	v_add_f32_e32 v1, v1, v29
	v_add_f32_e32 v2, v2, v4
	v_mul_f32_e32 v33, v12, v19
	v_mul_f32_e32 v19, v13, v19
	v_fmac_f32_e32 v31, v9, v23
	s_waitcnt vmcnt(3)
	v_fma_f32 v6, v10, v24, -v18
	v_add_f32_e32 v1, v1, v30
	v_add_f32_e32 v2, v2, v5
	v_fmac_f32_e32 v32, v11, v24
	s_waitcnt vmcnt(2)
	v_fma_f32 v7, v12, v26, -v19
	v_add_f32_e32 v1, v1, v31
	v_add_f32_e32 v2, v2, v6
	v_fmac_f32_e32 v33, v13, v26
	v_add_f32_e32 v1, v1, v32
	v_add_f32_e32 v2, v2, v7
	;; [unrolled: 1-line block ×3, first 2 shown]
	s_waitcnt vmcnt(1)
	v_sub_f32_e32 v2, v27, v2
	s_waitcnt vmcnt(0)
	v_sub_f32_e32 v1, v28, v1
	buffer_store_dword v2, off, s[0:3], 0 offset:440
	buffer_store_dword v1, off, s[0:3], 0 offset:444
	s_and_saveexec_b64 s[4:5], vcc
	s_cbranch_execz .LBB61_277
; %bb.276:
	buffer_load_dword v1, off, s[0:3], 0 offset:432
	buffer_load_dword v2, off, s[0:3], 0 offset:436
	v_mov_b32_e32 v3, 0
	buffer_store_dword v3, off, s[0:3], 0 offset:432
	buffer_store_dword v3, off, s[0:3], 0 offset:436
	s_waitcnt vmcnt(2)
	ds_write_b64 v25, v[1:2]
.LBB61_277:
	s_or_b64 exec, exec, s[4:5]
	s_waitcnt lgkmcnt(0)
	; wave barrier
	buffer_load_dword v16, off, s[0:3], 0 offset:444
	buffer_load_dword v17, off, s[0:3], 0 offset:452
	;; [unrolled: 1-line block ×16, first 2 shown]
	v_mov_b32_e32 v1, 0
	ds_read2_b64 v[2:5], v1 offset0:117 offset1:118
	ds_read2_b64 v[6:9], v1 offset0:119 offset1:120
	;; [unrolled: 1-line block ×3, first 2 shown]
	ds_read_b64 v[14:15], v1 offset:984
	v_cmp_lt_u32_e32 vcc, 53, v0
	s_waitcnt vmcnt(15) lgkmcnt(3)
	v_mul_f32_e32 v33, v2, v16
	v_mul_f32_e32 v16, v3, v16
	s_waitcnt vmcnt(14)
	v_mul_f32_e32 v34, v4, v17
	v_mul_f32_e32 v17, v5, v17
	s_waitcnt vmcnt(13) lgkmcnt(2)
	v_mul_f32_e32 v35, v6, v18
	s_waitcnt vmcnt(12)
	v_mul_f32_e32 v36, v8, v19
	v_mul_f32_e32 v18, v7, v18
	s_waitcnt vmcnt(8)
	v_fma_f32 v2, v2, v23, -v16
	v_fmac_f32_e32 v33, v3, v23
	s_waitcnt vmcnt(7)
	v_fma_f32 v3, v4, v24, -v17
	v_add_f32_e32 v2, 0, v2
	v_mul_f32_e32 v19, v9, v19
	v_fmac_f32_e32 v34, v5, v24
	s_waitcnt vmcnt(5)
	v_fmac_f32_e32 v36, v9, v27
	v_fma_f32 v4, v6, v26, -v18
	v_add_f32_e32 v9, 0, v33
	v_add_f32_e32 v2, v2, v3
	s_waitcnt lgkmcnt(1)
	v_mul_f32_e32 v37, v10, v20
	v_mul_f32_e32 v20, v11, v20
	v_fmac_f32_e32 v35, v7, v26
	v_fma_f32 v5, v8, v27, -v19
	v_add_f32_e32 v9, v9, v34
	v_add_f32_e32 v2, v2, v4
	v_mul_f32_e32 v38, v12, v21
	v_mul_f32_e32 v21, v13, v21
	s_waitcnt vmcnt(4)
	v_fma_f32 v6, v10, v28, -v20
	v_add_f32_e32 v3, v9, v35
	v_add_f32_e32 v2, v2, v5
	s_waitcnt lgkmcnt(0)
	v_mul_f32_e32 v39, v14, v22
	v_mul_f32_e32 v22, v15, v22
	v_fmac_f32_e32 v37, v11, v28
	s_waitcnt vmcnt(3)
	v_fma_f32 v7, v12, v29, -v21
	v_add_f32_e32 v3, v3, v36
	v_add_f32_e32 v2, v2, v6
	v_fmac_f32_e32 v38, v13, v29
	s_waitcnt vmcnt(2)
	v_fma_f32 v8, v14, v30, -v22
	v_add_f32_e32 v3, v3, v37
	v_add_f32_e32 v2, v2, v7
	v_fmac_f32_e32 v39, v15, v30
	v_add_f32_e32 v3, v3, v38
	v_add_f32_e32 v2, v2, v8
	;; [unrolled: 1-line block ×3, first 2 shown]
	s_waitcnt vmcnt(1)
	v_sub_f32_e32 v2, v31, v2
	s_waitcnt vmcnt(0)
	v_sub_f32_e32 v3, v32, v3
	buffer_store_dword v2, off, s[0:3], 0 offset:432
	buffer_store_dword v3, off, s[0:3], 0 offset:436
	s_and_saveexec_b64 s[4:5], vcc
	s_cbranch_execz .LBB61_279
; %bb.278:
	buffer_load_dword v2, off, s[0:3], 0 offset:424
	buffer_load_dword v3, off, s[0:3], 0 offset:428
	s_waitcnt vmcnt(0)
	ds_write_b64 v25, v[2:3]
	buffer_store_dword v1, off, s[0:3], 0 offset:424
	buffer_store_dword v1, off, s[0:3], 0 offset:428
.LBB61_279:
	s_or_b64 exec, exec, s[4:5]
	s_waitcnt lgkmcnt(0)
	; wave barrier
	buffer_load_dword v18, off, s[0:3], 0 offset:436
	buffer_load_dword v19, off, s[0:3], 0 offset:444
	;; [unrolled: 1-line block ×18, first 2 shown]
	ds_read_b128 v[2:5], v1 offset:928
	ds_read_b128 v[6:9], v1 offset:944
	;; [unrolled: 1-line block ×4, first 2 shown]
	v_cmp_lt_u32_e32 vcc, 52, v0
	s_waitcnt vmcnt(17) lgkmcnt(3)
	v_mul_f32_e32 v1, v2, v18
	v_mul_f32_e32 v18, v3, v18
	s_waitcnt vmcnt(16)
	v_mul_f32_e32 v37, v4, v19
	v_mul_f32_e32 v19, v5, v19
	s_waitcnt vmcnt(15) lgkmcnt(2)
	v_mul_f32_e32 v38, v6, v20
	v_mul_f32_e32 v20, v7, v20
	s_waitcnt vmcnt(14)
	v_mul_f32_e32 v39, v8, v21
	v_mul_f32_e32 v21, v9, v21
	s_waitcnt vmcnt(9)
	v_fma_f32 v2, v2, v27, -v18
	v_fmac_f32_e32 v1, v3, v27
	s_waitcnt vmcnt(8)
	v_fma_f32 v3, v4, v28, -v19
	v_add_f32_e32 v2, 0, v2
	v_fmac_f32_e32 v37, v5, v28
	s_waitcnt vmcnt(7)
	v_fma_f32 v4, v6, v29, -v20
	v_add_f32_e32 v1, 0, v1
	v_add_f32_e32 v2, v2, v3
	s_waitcnt lgkmcnt(1)
	v_mul_f32_e32 v40, v10, v22
	v_mul_f32_e32 v22, v11, v22
	v_fmac_f32_e32 v38, v7, v29
	s_waitcnt vmcnt(6)
	v_fma_f32 v5, v8, v30, -v21
	v_add_f32_e32 v1, v1, v37
	v_add_f32_e32 v2, v2, v4
	v_mul_f32_e32 v41, v12, v23
	v_mul_f32_e32 v23, v13, v23
	v_fmac_f32_e32 v39, v9, v30
	s_waitcnt vmcnt(5)
	v_fma_f32 v6, v10, v31, -v22
	v_add_f32_e32 v1, v1, v38
	v_add_f32_e32 v2, v2, v5
	s_waitcnt lgkmcnt(0)
	v_mul_f32_e32 v42, v14, v24
	v_mul_f32_e32 v24, v15, v24
	v_fmac_f32_e32 v40, v11, v31
	s_waitcnt vmcnt(4)
	v_fma_f32 v7, v12, v32, -v23
	v_add_f32_e32 v1, v1, v39
	v_add_f32_e32 v2, v2, v6
	v_mul_f32_e32 v43, v16, v26
	v_mul_f32_e32 v26, v17, v26
	v_fmac_f32_e32 v41, v13, v32
	s_waitcnt vmcnt(3)
	v_fma_f32 v8, v14, v33, -v24
	v_add_f32_e32 v1, v1, v40
	v_add_f32_e32 v2, v2, v7
	v_fmac_f32_e32 v42, v15, v33
	s_waitcnt vmcnt(2)
	v_fma_f32 v9, v16, v34, -v26
	v_add_f32_e32 v1, v1, v41
	v_add_f32_e32 v2, v2, v8
	v_fmac_f32_e32 v43, v17, v34
	v_add_f32_e32 v1, v1, v42
	v_add_f32_e32 v2, v2, v9
	v_add_f32_e32 v1, v1, v43
	s_waitcnt vmcnt(1)
	v_sub_f32_e32 v2, v35, v2
	s_waitcnt vmcnt(0)
	v_sub_f32_e32 v1, v36, v1
	buffer_store_dword v2, off, s[0:3], 0 offset:424
	buffer_store_dword v1, off, s[0:3], 0 offset:428
	s_and_saveexec_b64 s[4:5], vcc
	s_cbranch_execz .LBB61_281
; %bb.280:
	buffer_load_dword v1, off, s[0:3], 0 offset:416
	buffer_load_dword v2, off, s[0:3], 0 offset:420
	v_mov_b32_e32 v3, 0
	buffer_store_dword v3, off, s[0:3], 0 offset:416
	buffer_store_dword v3, off, s[0:3], 0 offset:420
	s_waitcnt vmcnt(2)
	ds_write_b64 v25, v[1:2]
.LBB61_281:
	s_or_b64 exec, exec, s[4:5]
	s_waitcnt lgkmcnt(0)
	; wave barrier
	buffer_load_dword v20, off, s[0:3], 0 offset:428
	buffer_load_dword v21, off, s[0:3], 0 offset:436
	;; [unrolled: 1-line block ×20, first 2 shown]
	v_mov_b32_e32 v1, 0
	ds_read2_b64 v[2:5], v1 offset0:115 offset1:116
	ds_read2_b64 v[6:9], v1 offset0:117 offset1:118
	;; [unrolled: 1-line block ×4, first 2 shown]
	ds_read_b64 v[18:19], v1 offset:984
	v_cmp_lt_u32_e32 vcc, 51, v0
	s_waitcnt vmcnt(19) lgkmcnt(4)
	v_mul_f32_e32 v41, v2, v20
	v_mul_f32_e32 v20, v3, v20
	s_waitcnt vmcnt(18)
	v_mul_f32_e32 v42, v4, v21
	v_mul_f32_e32 v21, v5, v21
	s_waitcnt vmcnt(17) lgkmcnt(3)
	v_mul_f32_e32 v43, v6, v22
	s_waitcnt vmcnt(15) lgkmcnt(2)
	v_mul_f32_e32 v45, v10, v24
	v_mul_f32_e32 v22, v7, v22
	;; [unrolled: 1-line block ×4, first 2 shown]
	s_waitcnt vmcnt(10)
	v_fma_f32 v2, v2, v30, -v20
	v_fmac_f32_e32 v41, v3, v30
	s_waitcnt vmcnt(9)
	v_fma_f32 v3, v4, v31, -v21
	v_add_f32_e32 v2, 0, v2
	v_mul_f32_e32 v24, v11, v24
	v_fmac_f32_e32 v42, v5, v31
	s_waitcnt vmcnt(6)
	v_fmac_f32_e32 v45, v11, v34
	v_fma_f32 v4, v6, v32, -v22
	v_add_f32_e32 v11, 0, v41
	v_add_f32_e32 v2, v2, v3
	v_fmac_f32_e32 v43, v7, v32
	v_fma_f32 v5, v8, v33, -v23
	v_add_f32_e32 v11, v11, v42
	v_add_f32_e32 v2, v2, v4
	v_mul_f32_e32 v46, v12, v26
	v_mul_f32_e32 v26, v13, v26
	v_fmac_f32_e32 v44, v9, v33
	v_fma_f32 v6, v10, v34, -v24
	v_add_f32_e32 v3, v11, v43
	v_add_f32_e32 v2, v2, v5
	s_waitcnt lgkmcnt(1)
	v_mul_f32_e32 v47, v14, v27
	v_mul_f32_e32 v27, v15, v27
	s_waitcnt vmcnt(5)
	v_fma_f32 v7, v12, v35, -v26
	v_add_f32_e32 v3, v3, v44
	v_add_f32_e32 v2, v2, v6
	v_mul_f32_e32 v48, v16, v28
	v_mul_f32_e32 v28, v17, v28
	v_fmac_f32_e32 v46, v13, v35
	s_waitcnt vmcnt(4)
	v_fma_f32 v8, v14, v36, -v27
	v_add_f32_e32 v3, v3, v45
	v_add_f32_e32 v2, v2, v7
	s_waitcnt lgkmcnt(0)
	v_mul_f32_e32 v49, v18, v29
	v_mul_f32_e32 v29, v19, v29
	v_fmac_f32_e32 v47, v15, v36
	s_waitcnt vmcnt(3)
	v_fma_f32 v9, v16, v37, -v28
	v_add_f32_e32 v3, v3, v46
	v_add_f32_e32 v2, v2, v8
	v_fmac_f32_e32 v48, v17, v37
	s_waitcnt vmcnt(2)
	v_fma_f32 v10, v18, v38, -v29
	v_add_f32_e32 v3, v3, v47
	v_add_f32_e32 v2, v2, v9
	v_fmac_f32_e32 v49, v19, v38
	v_add_f32_e32 v3, v3, v48
	v_add_f32_e32 v2, v2, v10
	;; [unrolled: 1-line block ×3, first 2 shown]
	s_waitcnt vmcnt(1)
	v_sub_f32_e32 v2, v39, v2
	s_waitcnt vmcnt(0)
	v_sub_f32_e32 v3, v40, v3
	buffer_store_dword v2, off, s[0:3], 0 offset:416
	buffer_store_dword v3, off, s[0:3], 0 offset:420
	s_and_saveexec_b64 s[4:5], vcc
	s_cbranch_execz .LBB61_283
; %bb.282:
	buffer_load_dword v2, off, s[0:3], 0 offset:408
	buffer_load_dword v3, off, s[0:3], 0 offset:412
	s_waitcnt vmcnt(0)
	ds_write_b64 v25, v[2:3]
	buffer_store_dword v1, off, s[0:3], 0 offset:408
	buffer_store_dword v1, off, s[0:3], 0 offset:412
.LBB61_283:
	s_or_b64 exec, exec, s[4:5]
	s_waitcnt lgkmcnt(0)
	; wave barrier
	buffer_load_dword v22, off, s[0:3], 0 offset:420
	buffer_load_dword v23, off, s[0:3], 0 offset:428
	;; [unrolled: 1-line block ×22, first 2 shown]
	ds_read_b128 v[2:5], v1 offset:912
	ds_read_b128 v[6:9], v1 offset:928
	;; [unrolled: 1-line block ×5, first 2 shown]
	v_cmp_lt_u32_e32 vcc, 50, v0
	s_waitcnt vmcnt(21) lgkmcnt(4)
	v_mul_f32_e32 v1, v2, v22
	v_mul_f32_e32 v22, v3, v22
	s_waitcnt vmcnt(20)
	v_mul_f32_e32 v45, v4, v23
	v_mul_f32_e32 v23, v5, v23
	s_waitcnt vmcnt(19) lgkmcnt(3)
	v_mul_f32_e32 v46, v6, v24
	v_mul_f32_e32 v24, v7, v24
	s_waitcnt vmcnt(18)
	v_mul_f32_e32 v47, v8, v26
	v_mul_f32_e32 v26, v9, v26
	s_waitcnt vmcnt(17) lgkmcnt(2)
	v_mul_f32_e32 v48, v10, v27
	v_mul_f32_e32 v27, v11, v27
	s_waitcnt vmcnt(11)
	v_fma_f32 v2, v2, v33, -v22
	v_fmac_f32_e32 v1, v3, v33
	s_waitcnt vmcnt(10)
	v_fma_f32 v3, v4, v34, -v23
	v_add_f32_e32 v2, 0, v2
	v_fmac_f32_e32 v45, v5, v34
	s_waitcnt vmcnt(9)
	v_fma_f32 v4, v6, v35, -v24
	v_add_f32_e32 v1, 0, v1
	v_add_f32_e32 v2, v2, v3
	v_fmac_f32_e32 v46, v7, v35
	s_waitcnt vmcnt(8)
	v_fma_f32 v5, v8, v36, -v26
	v_add_f32_e32 v1, v1, v45
	v_add_f32_e32 v2, v2, v4
	v_mul_f32_e32 v49, v12, v28
	v_mul_f32_e32 v28, v13, v28
	v_fmac_f32_e32 v47, v9, v36
	s_waitcnt vmcnt(7)
	v_fma_f32 v6, v10, v37, -v27
	v_add_f32_e32 v1, v1, v46
	v_add_f32_e32 v2, v2, v5
	s_waitcnt lgkmcnt(1)
	v_mul_f32_e32 v50, v14, v29
	v_mul_f32_e32 v29, v15, v29
	v_fmac_f32_e32 v48, v11, v37
	s_waitcnt vmcnt(6)
	v_fma_f32 v7, v12, v38, -v28
	v_add_f32_e32 v1, v1, v47
	v_add_f32_e32 v2, v2, v6
	v_mul_f32_e32 v51, v16, v30
	v_mul_f32_e32 v30, v17, v30
	v_fmac_f32_e32 v49, v13, v38
	s_waitcnt vmcnt(5)
	v_fma_f32 v8, v14, v39, -v29
	v_add_f32_e32 v1, v1, v48
	v_add_f32_e32 v2, v2, v7
	s_waitcnt lgkmcnt(0)
	v_mul_f32_e32 v52, v18, v31
	v_mul_f32_e32 v31, v19, v31
	v_fmac_f32_e32 v50, v15, v39
	s_waitcnt vmcnt(4)
	v_fma_f32 v9, v16, v40, -v30
	v_add_f32_e32 v1, v1, v49
	v_add_f32_e32 v2, v2, v8
	v_mul_f32_e32 v53, v20, v32
	v_mul_f32_e32 v32, v21, v32
	v_fmac_f32_e32 v51, v17, v40
	s_waitcnt vmcnt(3)
	v_fma_f32 v10, v18, v41, -v31
	v_add_f32_e32 v1, v1, v50
	v_add_f32_e32 v2, v2, v9
	v_fmac_f32_e32 v52, v19, v41
	s_waitcnt vmcnt(2)
	v_fma_f32 v11, v20, v42, -v32
	v_add_f32_e32 v1, v1, v51
	v_add_f32_e32 v2, v2, v10
	v_fmac_f32_e32 v53, v21, v42
	v_add_f32_e32 v1, v1, v52
	v_add_f32_e32 v2, v2, v11
	;; [unrolled: 1-line block ×3, first 2 shown]
	s_waitcnt vmcnt(1)
	v_sub_f32_e32 v2, v43, v2
	s_waitcnt vmcnt(0)
	v_sub_f32_e32 v1, v44, v1
	buffer_store_dword v2, off, s[0:3], 0 offset:408
	buffer_store_dword v1, off, s[0:3], 0 offset:412
	s_and_saveexec_b64 s[4:5], vcc
	s_cbranch_execz .LBB61_285
; %bb.284:
	buffer_load_dword v1, off, s[0:3], 0 offset:400
	buffer_load_dword v2, off, s[0:3], 0 offset:404
	v_mov_b32_e32 v3, 0
	buffer_store_dword v3, off, s[0:3], 0 offset:400
	buffer_store_dword v3, off, s[0:3], 0 offset:404
	s_waitcnt vmcnt(2)
	ds_write_b64 v25, v[1:2]
.LBB61_285:
	s_or_b64 exec, exec, s[4:5]
	s_waitcnt lgkmcnt(0)
	; wave barrier
	buffer_load_dword v24, off, s[0:3], 0 offset:412
	buffer_load_dword v26, off, s[0:3], 0 offset:420
	;; [unrolled: 1-line block ×24, first 2 shown]
	v_mov_b32_e32 v1, 0
	ds_read2_b64 v[2:5], v1 offset0:113 offset1:114
	ds_read2_b64 v[6:9], v1 offset0:115 offset1:116
	;; [unrolled: 1-line block ×5, first 2 shown]
	ds_read_b64 v[22:23], v1 offset:984
	v_cmp_lt_u32_e32 vcc, 49, v0
	s_waitcnt vmcnt(23) lgkmcnt(5)
	v_mul_f32_e32 v49, v2, v24
	v_mul_f32_e32 v24, v3, v24
	s_waitcnt vmcnt(22)
	v_mul_f32_e32 v50, v4, v26
	v_mul_f32_e32 v26, v5, v26
	s_waitcnt vmcnt(21) lgkmcnt(4)
	v_mul_f32_e32 v51, v6, v27
	v_mul_f32_e32 v27, v7, v27
	s_waitcnt vmcnt(20)
	v_mul_f32_e32 v52, v8, v28
	s_waitcnt vmcnt(19) lgkmcnt(3)
	v_mul_f32_e32 v53, v10, v29
	v_mul_f32_e32 v28, v9, v28
	;; [unrolled: 1-line block ×3, first 2 shown]
	s_waitcnt vmcnt(18)
	v_mul_f32_e32 v54, v12, v30
	s_waitcnt vmcnt(12)
	v_fma_f32 v2, v2, v36, -v24
	v_fmac_f32_e32 v49, v3, v36
	s_waitcnt vmcnt(11)
	v_fma_f32 v3, v4, v37, -v26
	v_add_f32_e32 v2, 0, v2
	s_waitcnt vmcnt(10)
	v_fma_f32 v4, v6, v38, -v27
	v_add_f32_e32 v2, v2, v3
	v_fmac_f32_e32 v50, v5, v37
	s_waitcnt vmcnt(8)
	v_fmac_f32_e32 v53, v11, v40
	v_fma_f32 v5, v8, v39, -v28
	v_add_f32_e32 v11, 0, v49
	v_add_f32_e32 v2, v2, v4
	v_mul_f32_e32 v30, v13, v30
	v_fmac_f32_e32 v51, v7, v38
	v_fma_f32 v6, v10, v40, -v29
	v_add_f32_e32 v11, v11, v50
	v_add_f32_e32 v2, v2, v5
	s_waitcnt lgkmcnt(2)
	v_mul_f32_e32 v55, v14, v31
	v_mul_f32_e32 v31, v15, v31
	v_fmac_f32_e32 v52, v9, v39
	s_waitcnt vmcnt(7)
	v_fma_f32 v7, v12, v41, -v30
	v_add_f32_e32 v3, v11, v51
	v_add_f32_e32 v2, v2, v6
	v_mul_f32_e32 v56, v16, v32
	v_mul_f32_e32 v32, v17, v32
	s_waitcnt vmcnt(6)
	v_fma_f32 v8, v14, v42, -v31
	v_add_f32_e32 v3, v3, v52
	v_add_f32_e32 v2, v2, v7
	s_waitcnt lgkmcnt(1)
	v_mul_f32_e32 v57, v18, v33
	v_mul_f32_e32 v33, v19, v33
	v_fmac_f32_e32 v54, v13, v41
	s_waitcnt vmcnt(5)
	v_fma_f32 v9, v16, v43, -v32
	v_add_f32_e32 v3, v3, v53
	v_add_f32_e32 v2, v2, v8
	v_fmac_f32_e32 v55, v15, v42
	s_waitcnt vmcnt(4)
	v_fma_f32 v10, v18, v44, -v33
	v_add_f32_e32 v3, v3, v54
	v_add_f32_e32 v2, v2, v9
	v_mul_f32_e32 v4, v21, v34
	v_fmac_f32_e32 v56, v17, v43
	v_add_f32_e32 v3, v3, v55
	v_add_f32_e32 v2, v2, v10
	s_waitcnt vmcnt(3)
	v_fma_f32 v4, v20, v45, -v4
	v_mul_f32_e32 v58, v20, v34
	v_fmac_f32_e32 v57, v19, v44
	v_add_f32_e32 v3, v3, v56
	v_add_f32_e32 v2, v2, v4
	s_waitcnt lgkmcnt(0)
	v_mul_f32_e32 v4, v23, v35
	v_mul_f32_e32 v59, v22, v35
	v_fmac_f32_e32 v58, v21, v45
	v_add_f32_e32 v3, v3, v57
	s_waitcnt vmcnt(2)
	v_fma_f32 v4, v22, v46, -v4
	v_fmac_f32_e32 v59, v23, v46
	v_add_f32_e32 v3, v3, v58
	v_add_f32_e32 v2, v2, v4
	;; [unrolled: 1-line block ×3, first 2 shown]
	s_waitcnt vmcnt(1)
	v_sub_f32_e32 v2, v47, v2
	s_waitcnt vmcnt(0)
	v_sub_f32_e32 v3, v48, v3
	buffer_store_dword v2, off, s[0:3], 0 offset:400
	buffer_store_dword v3, off, s[0:3], 0 offset:404
	s_and_saveexec_b64 s[4:5], vcc
	s_cbranch_execz .LBB61_287
; %bb.286:
	buffer_load_dword v2, off, s[0:3], 0 offset:392
	buffer_load_dword v3, off, s[0:3], 0 offset:396
	s_waitcnt vmcnt(0)
	ds_write_b64 v25, v[2:3]
	buffer_store_dword v1, off, s[0:3], 0 offset:392
	buffer_store_dword v1, off, s[0:3], 0 offset:396
.LBB61_287:
	s_or_b64 exec, exec, s[4:5]
	s_waitcnt lgkmcnt(0)
	; wave barrier
	buffer_load_dword v22, off, s[0:3], 0 offset:404
	buffer_load_dword v23, off, s[0:3], 0 offset:412
	;; [unrolled: 1-line block ×26, first 2 shown]
	ds_read_b128 v[2:5], v1 offset:896
	ds_read_b128 v[6:9], v1 offset:912
	;; [unrolled: 1-line block ×6, first 2 shown]
	v_cmp_lt_u32_e32 vcc, 48, v0
	s_waitcnt vmcnt(25) lgkmcnt(5)
	v_mul_f32_e32 v1, v2, v22
	v_mul_f32_e32 v22, v3, v22
	s_waitcnt vmcnt(24)
	v_mul_f32_e32 v53, v4, v23
	v_mul_f32_e32 v23, v5, v23
	s_waitcnt vmcnt(23) lgkmcnt(4)
	v_mul_f32_e32 v54, v6, v24
	v_mul_f32_e32 v24, v7, v24
	s_waitcnt vmcnt(22)
	v_mul_f32_e32 v55, v8, v30
	v_mul_f32_e32 v30, v9, v30
	;; [unrolled: 6-line block ×3, first 2 shown]
	s_waitcnt vmcnt(13)
	v_fma_f32 v2, v2, v39, -v22
	v_fmac_f32_e32 v1, v3, v39
	s_waitcnt vmcnt(12)
	v_fma_f32 v3, v4, v40, -v23
	v_add_f32_e32 v2, 0, v2
	s_waitcnt vmcnt(11)
	v_fma_f32 v4, v6, v41, -v24
	v_add_f32_e32 v2, v2, v3
	v_fmac_f32_e32 v53, v5, v40
	s_waitcnt vmcnt(10)
	v_fma_f32 v5, v8, v42, -v30
	v_add_f32_e32 v2, v2, v4
	s_waitcnt vmcnt(9)
	v_fma_f32 v6, v10, v43, -v31
	v_add_f32_e32 v2, v2, v5
	s_waitcnt lgkmcnt(2)
	v_mul_f32_e32 v58, v14, v33
	v_mul_f32_e32 v33, v15, v33
	v_fmac_f32_e32 v54, v7, v41
	s_waitcnt vmcnt(8)
	v_fma_f32 v7, v12, v44, -v32
	v_add_f32_e32 v1, 0, v1
	v_add_f32_e32 v2, v2, v6
	v_mul_f32_e32 v59, v16, v34
	v_mul_f32_e32 v34, v17, v34
	s_waitcnt vmcnt(7)
	v_fma_f32 v8, v14, v45, -v33
	v_add_f32_e32 v1, v1, v53
	v_add_f32_e32 v2, v2, v7
	v_fmac_f32_e32 v55, v9, v42
	s_waitcnt vmcnt(6)
	v_fma_f32 v9, v16, v46, -v34
	v_add_f32_e32 v1, v1, v54
	v_add_f32_e32 v2, v2, v8
	s_waitcnt lgkmcnt(1)
	v_mul_f32_e32 v3, v19, v35
	v_fmac_f32_e32 v56, v11, v43
	v_add_f32_e32 v1, v1, v55
	v_add_f32_e32 v2, v2, v9
	s_waitcnt vmcnt(5)
	v_fma_f32 v3, v18, v47, -v3
	v_fmac_f32_e32 v57, v13, v44
	v_add_f32_e32 v1, v1, v56
	v_add_f32_e32 v2, v2, v3
	v_mul_f32_e32 v3, v21, v36
	v_fmac_f32_e32 v58, v15, v45
	v_add_f32_e32 v1, v1, v57
	s_waitcnt vmcnt(4)
	v_fma_f32 v3, v20, v48, -v3
	v_mul_f32_e32 v60, v18, v35
	v_fmac_f32_e32 v59, v17, v46
	v_add_f32_e32 v1, v1, v58
	v_add_f32_e32 v2, v2, v3
	s_waitcnt lgkmcnt(0)
	v_mul_f32_e32 v3, v27, v37
	v_mul_f32_e32 v61, v20, v36
	v_fmac_f32_e32 v60, v19, v47
	v_add_f32_e32 v1, v1, v59
	s_waitcnt vmcnt(3)
	v_fma_f32 v3, v26, v49, -v3
	v_mul_f32_e32 v62, v26, v37
	v_fmac_f32_e32 v61, v21, v48
	v_add_f32_e32 v1, v1, v60
	v_add_f32_e32 v2, v2, v3
	v_mul_f32_e32 v3, v29, v38
	v_mul_f32_e32 v63, v28, v38
	v_fmac_f32_e32 v62, v27, v49
	v_add_f32_e32 v1, v1, v61
	s_waitcnt vmcnt(2)
	v_fma_f32 v3, v28, v50, -v3
	v_fmac_f32_e32 v63, v29, v50
	v_add_f32_e32 v1, v1, v62
	v_add_f32_e32 v2, v2, v3
	;; [unrolled: 1-line block ×3, first 2 shown]
	s_waitcnt vmcnt(1)
	v_sub_f32_e32 v2, v51, v2
	s_waitcnt vmcnt(0)
	v_sub_f32_e32 v1, v52, v1
	buffer_store_dword v2, off, s[0:3], 0 offset:392
	buffer_store_dword v1, off, s[0:3], 0 offset:396
	s_and_saveexec_b64 s[4:5], vcc
	s_cbranch_execz .LBB61_289
; %bb.288:
	buffer_load_dword v1, off, s[0:3], 0 offset:384
	buffer_load_dword v2, off, s[0:3], 0 offset:388
	v_mov_b32_e32 v3, 0
	buffer_store_dword v3, off, s[0:3], 0 offset:384
	buffer_store_dword v3, off, s[0:3], 0 offset:388
	s_waitcnt vmcnt(2)
	ds_write_b64 v25, v[1:2]
.LBB61_289:
	s_or_b64 exec, exec, s[4:5]
	s_waitcnt lgkmcnt(0)
	; wave barrier
	buffer_load_dword v24, off, s[0:3], 0 offset:396
	buffer_load_dword v30, off, s[0:3], 0 offset:404
	;; [unrolled: 1-line block ×28, first 2 shown]
	v_mov_b32_e32 v1, 0
	ds_read2_b64 v[2:5], v1 offset0:111 offset1:112
	ds_read2_b64 v[6:9], v1 offset0:113 offset1:114
	;; [unrolled: 1-line block ×6, first 2 shown]
	ds_read_b64 v[22:23], v1 offset:984
	v_cmp_lt_u32_e32 vcc, 47, v0
	s_waitcnt vmcnt(27) lgkmcnt(6)
	v_mul_f32_e32 v57, v2, v24
	v_mul_f32_e32 v24, v3, v24
	s_waitcnt vmcnt(26)
	v_mul_f32_e32 v58, v4, v30
	v_mul_f32_e32 v30, v5, v30
	s_waitcnt vmcnt(25) lgkmcnt(5)
	v_mul_f32_e32 v59, v6, v31
	v_mul_f32_e32 v31, v7, v31
	s_waitcnt vmcnt(24)
	v_mul_f32_e32 v60, v8, v32
	v_mul_f32_e32 v32, v9, v32
	;; [unrolled: 6-line block ×3, first 2 shown]
	s_waitcnt vmcnt(21) lgkmcnt(3)
	v_mul_f32_e32 v63, v14, v35
	s_waitcnt vmcnt(14)
	v_fma_f32 v2, v2, v42, -v24
	v_fmac_f32_e32 v57, v3, v42
	s_waitcnt vmcnt(13)
	v_fma_f32 v3, v4, v43, -v30
	v_add_f32_e32 v2, 0, v2
	s_waitcnt vmcnt(12)
	v_fma_f32 v4, v6, v44, -v31
	v_add_f32_e32 v2, v2, v3
	v_fmac_f32_e32 v58, v5, v43
	s_waitcnt vmcnt(11)
	v_fma_f32 v5, v8, v45, -v32
	v_add_f32_e32 v2, v2, v4
	s_waitcnt vmcnt(10)
	v_fma_f32 v6, v10, v46, -v33
	v_add_f32_e32 v2, v2, v5
	v_fmac_f32_e32 v59, v7, v44
	s_waitcnt vmcnt(9)
	v_fma_f32 v7, v12, v47, -v34
	v_add_f32_e32 v2, v2, v6
	v_mul_f32_e32 v4, v15, v35
	v_add_f32_e32 v2, v2, v7
	s_waitcnt vmcnt(8)
	v_fma_f32 v4, v14, v48, -v4
	v_add_f32_e32 v2, v2, v4
	v_mul_f32_e32 v4, v17, v36
	v_add_f32_e32 v8, 0, v57
	s_waitcnt vmcnt(7)
	v_fma_f32 v4, v16, v49, -v4
	v_add_f32_e32 v8, v8, v58
	v_add_f32_e32 v2, v2, v4
	s_waitcnt lgkmcnt(2)
	v_mul_f32_e32 v4, v19, v37
	v_fmac_f32_e32 v60, v9, v45
	v_add_f32_e32 v3, v8, v59
	s_waitcnt vmcnt(6)
	v_fma_f32 v4, v18, v50, -v4
	v_fmac_f32_e32 v61, v11, v46
	v_add_f32_e32 v3, v3, v60
	v_add_f32_e32 v2, v2, v4
	v_mul_f32_e32 v4, v21, v38
	v_fmac_f32_e32 v62, v13, v47
	v_add_f32_e32 v3, v3, v61
	s_waitcnt vmcnt(5)
	v_fma_f32 v4, v20, v51, -v4
	v_mul_f32_e32 v64, v16, v36
	v_fmac_f32_e32 v63, v15, v48
	v_add_f32_e32 v3, v3, v62
	v_add_f32_e32 v2, v2, v4
	s_waitcnt lgkmcnt(1)
	v_mul_f32_e32 v4, v27, v39
	v_mul_f32_e32 v65, v18, v37
	v_fmac_f32_e32 v64, v17, v49
	v_add_f32_e32 v3, v3, v63
	s_waitcnt vmcnt(4)
	v_fma_f32 v4, v26, v52, -v4
	v_mul_f32_e32 v66, v20, v38
	v_fmac_f32_e32 v65, v19, v50
	v_add_f32_e32 v3, v3, v64
	v_add_f32_e32 v2, v2, v4
	v_mul_f32_e32 v4, v29, v40
	v_mul_f32_e32 v67, v26, v39
	v_fmac_f32_e32 v66, v21, v51
	v_add_f32_e32 v3, v3, v65
	s_waitcnt vmcnt(3)
	v_fma_f32 v4, v28, v53, -v4
	v_mul_f32_e32 v68, v28, v40
	v_fmac_f32_e32 v67, v27, v52
	v_add_f32_e32 v3, v3, v66
	v_add_f32_e32 v2, v2, v4
	s_waitcnt lgkmcnt(0)
	v_mul_f32_e32 v4, v23, v41
	v_mul_f32_e32 v69, v22, v41
	v_fmac_f32_e32 v68, v29, v53
	v_add_f32_e32 v3, v3, v67
	s_waitcnt vmcnt(2)
	v_fma_f32 v4, v22, v54, -v4
	v_fmac_f32_e32 v69, v23, v54
	v_add_f32_e32 v3, v3, v68
	v_add_f32_e32 v2, v2, v4
	;; [unrolled: 1-line block ×3, first 2 shown]
	s_waitcnt vmcnt(1)
	v_sub_f32_e32 v2, v55, v2
	s_waitcnt vmcnt(0)
	v_sub_f32_e32 v3, v56, v3
	buffer_store_dword v2, off, s[0:3], 0 offset:384
	buffer_store_dword v3, off, s[0:3], 0 offset:388
	s_and_saveexec_b64 s[4:5], vcc
	s_cbranch_execz .LBB61_291
; %bb.290:
	buffer_load_dword v2, off, s[0:3], 0 offset:376
	buffer_load_dword v3, off, s[0:3], 0 offset:380
	s_waitcnt vmcnt(0)
	ds_write_b64 v25, v[2:3]
	buffer_store_dword v1, off, s[0:3], 0 offset:376
	buffer_store_dword v1, off, s[0:3], 0 offset:380
.LBB61_291:
	s_or_b64 exec, exec, s[4:5]
	s_waitcnt lgkmcnt(0)
	; wave barrier
	buffer_load_dword v22, off, s[0:3], 0 offset:388
	buffer_load_dword v23, off, s[0:3], 0 offset:396
	;; [unrolled: 1-line block ×30, first 2 shown]
	ds_read_b128 v[2:5], v1 offset:880
	ds_read_b128 v[6:9], v1 offset:896
	;; [unrolled: 1-line block ×7, first 2 shown]
	v_cmp_lt_u32_e32 vcc, 46, v0
	s_waitcnt vmcnt(29) lgkmcnt(6)
	v_mul_f32_e32 v1, v2, v22
	v_mul_f32_e32 v22, v3, v22
	s_waitcnt vmcnt(28)
	v_mul_f32_e32 v61, v4, v23
	v_mul_f32_e32 v23, v5, v23
	s_waitcnt vmcnt(27) lgkmcnt(5)
	v_mul_f32_e32 v62, v6, v24
	v_mul_f32_e32 v24, v7, v24
	s_waitcnt vmcnt(26)
	v_mul_f32_e32 v63, v8, v34
	v_mul_f32_e32 v34, v9, v34
	s_waitcnt vmcnt(25) lgkmcnt(4)
	v_mul_f32_e32 v64, v10, v35
	v_mul_f32_e32 v35, v11, v35
	s_waitcnt vmcnt(24)
	v_mul_f32_e32 v65, v12, v36
	s_waitcnt vmcnt(23) lgkmcnt(3)
	v_mul_f32_e32 v66, v14, v37
	s_waitcnt vmcnt(22)
	v_mul_f32_e32 v67, v16, v38
	s_waitcnt vmcnt(21) lgkmcnt(2)
	v_mul_f32_e32 v68, v18, v39
	s_waitcnt vmcnt(15)
	v_fma_f32 v2, v2, v45, -v22
	v_fmac_f32_e32 v1, v3, v45
	s_waitcnt vmcnt(14)
	v_fma_f32 v3, v4, v46, -v23
	v_add_f32_e32 v2, 0, v2
	s_waitcnt vmcnt(13)
	v_fma_f32 v4, v6, v47, -v24
	v_add_f32_e32 v2, v2, v3
	v_fmac_f32_e32 v61, v5, v46
	s_waitcnt vmcnt(12)
	v_fma_f32 v5, v8, v48, -v34
	v_add_f32_e32 v2, v2, v4
	s_waitcnt vmcnt(11)
	v_fma_f32 v6, v10, v49, -v35
	v_add_f32_e32 v2, v2, v5
	v_mul_f32_e32 v3, v13, v36
	v_add_f32_e32 v2, v2, v6
	s_waitcnt vmcnt(10)
	v_fma_f32 v3, v12, v50, -v3
	v_add_f32_e32 v2, v2, v3
	v_mul_f32_e32 v3, v15, v37
	s_waitcnt vmcnt(9)
	v_fma_f32 v3, v14, v51, -v3
	v_add_f32_e32 v2, v2, v3
	v_mul_f32_e32 v3, v17, v38
	s_waitcnt vmcnt(8)
	v_fma_f32 v3, v16, v52, -v3
	v_add_f32_e32 v1, 0, v1
	v_add_f32_e32 v2, v2, v3
	v_mul_f32_e32 v3, v19, v39
	v_fmac_f32_e32 v62, v7, v47
	v_add_f32_e32 v1, v1, v61
	s_waitcnt vmcnt(7)
	v_fma_f32 v3, v18, v53, -v3
	v_fmac_f32_e32 v63, v9, v48
	v_add_f32_e32 v1, v1, v62
	v_add_f32_e32 v2, v2, v3
	v_mul_f32_e32 v3, v21, v40
	v_fmac_f32_e32 v64, v11, v49
	v_add_f32_e32 v1, v1, v63
	s_waitcnt vmcnt(6)
	v_fma_f32 v3, v20, v54, -v3
	v_fmac_f32_e32 v65, v13, v50
	v_add_f32_e32 v1, v1, v64
	v_add_f32_e32 v2, v2, v3
	s_waitcnt lgkmcnt(1)
	v_mul_f32_e32 v3, v27, v41
	v_fmac_f32_e32 v66, v15, v51
	v_add_f32_e32 v1, v1, v65
	s_waitcnt vmcnt(5)
	v_fma_f32 v3, v26, v55, -v3
	v_fmac_f32_e32 v67, v17, v52
	v_add_f32_e32 v1, v1, v66
	v_add_f32_e32 v2, v2, v3
	v_mul_f32_e32 v3, v29, v42
	v_mul_f32_e32 v69, v20, v40
	v_fmac_f32_e32 v68, v19, v53
	v_add_f32_e32 v1, v1, v67
	s_waitcnt vmcnt(4)
	v_fma_f32 v3, v28, v56, -v3
	v_mul_f32_e32 v70, v26, v41
	v_fmac_f32_e32 v69, v21, v54
	v_add_f32_e32 v1, v1, v68
	v_add_f32_e32 v2, v2, v3
	s_waitcnt lgkmcnt(0)
	v_mul_f32_e32 v3, v31, v43
	v_mul_f32_e32 v71, v28, v42
	v_fmac_f32_e32 v70, v27, v55
	v_add_f32_e32 v1, v1, v69
	s_waitcnt vmcnt(3)
	v_fma_f32 v3, v30, v57, -v3
	v_mul_f32_e32 v72, v30, v43
	v_fmac_f32_e32 v71, v29, v56
	v_add_f32_e32 v1, v1, v70
	v_add_f32_e32 v2, v2, v3
	v_mul_f32_e32 v3, v33, v44
	v_mul_f32_e32 v73, v32, v44
	v_fmac_f32_e32 v72, v31, v57
	v_add_f32_e32 v1, v1, v71
	s_waitcnt vmcnt(2)
	v_fma_f32 v3, v32, v58, -v3
	v_fmac_f32_e32 v73, v33, v58
	v_add_f32_e32 v1, v1, v72
	v_add_f32_e32 v2, v2, v3
	;; [unrolled: 1-line block ×3, first 2 shown]
	s_waitcnt vmcnt(1)
	v_sub_f32_e32 v2, v59, v2
	s_waitcnt vmcnt(0)
	v_sub_f32_e32 v1, v60, v1
	buffer_store_dword v2, off, s[0:3], 0 offset:376
	buffer_store_dword v1, off, s[0:3], 0 offset:380
	s_and_saveexec_b64 s[4:5], vcc
	s_cbranch_execz .LBB61_293
; %bb.292:
	buffer_load_dword v1, off, s[0:3], 0 offset:368
	buffer_load_dword v2, off, s[0:3], 0 offset:372
	v_mov_b32_e32 v3, 0
	buffer_store_dword v3, off, s[0:3], 0 offset:368
	buffer_store_dword v3, off, s[0:3], 0 offset:372
	s_waitcnt vmcnt(2)
	ds_write_b64 v25, v[1:2]
.LBB61_293:
	s_or_b64 exec, exec, s[4:5]
	s_waitcnt lgkmcnt(0)
	; wave barrier
	buffer_load_dword v24, off, s[0:3], 0 offset:380
	buffer_load_dword v34, off, s[0:3], 0 offset:388
	;; [unrolled: 1-line block ×32, first 2 shown]
	v_mov_b32_e32 v1, 0
	ds_read2_b64 v[2:5], v1 offset0:109 offset1:110
	ds_read2_b64 v[6:9], v1 offset0:111 offset1:112
	;; [unrolled: 1-line block ×7, first 2 shown]
	ds_read_b64 v[22:23], v1 offset:984
	v_cmp_lt_u32_e32 vcc, 45, v0
	s_waitcnt vmcnt(31) lgkmcnt(7)
	v_mul_f32_e32 v65, v2, v24
	v_mul_f32_e32 v24, v3, v24
	s_waitcnt vmcnt(30)
	v_mul_f32_e32 v66, v4, v34
	v_mul_f32_e32 v34, v5, v34
	s_waitcnt vmcnt(29) lgkmcnt(6)
	v_mul_f32_e32 v67, v6, v35
	v_mul_f32_e32 v35, v7, v35
	s_waitcnt vmcnt(28)
	v_mul_f32_e32 v68, v8, v36
	s_waitcnt vmcnt(27) lgkmcnt(5)
	v_mul_f32_e32 v69, v10, v37
	s_waitcnt vmcnt(26)
	v_mul_f32_e32 v70, v12, v38
	s_waitcnt vmcnt(25) lgkmcnt(4)
	;; [unrolled: 4-line block ×4, first 2 shown]
	v_mul_f32_e32 v75, v26, v43
	s_waitcnt vmcnt(20)
	v_mul_f32_e32 v76, v28, v44
	s_waitcnt vmcnt(16)
	v_fma_f32 v2, v2, v48, -v24
	v_fmac_f32_e32 v65, v3, v48
	s_waitcnt vmcnt(15)
	v_fma_f32 v3, v4, v49, -v34
	v_add_f32_e32 v2, 0, v2
	s_waitcnt vmcnt(14)
	v_fma_f32 v4, v6, v50, -v35
	v_add_f32_e32 v2, v2, v3
	v_add_f32_e32 v2, v2, v4
	v_mul_f32_e32 v4, v9, v36
	s_waitcnt vmcnt(13)
	v_fma_f32 v4, v8, v51, -v4
	v_add_f32_e32 v2, v2, v4
	v_mul_f32_e32 v4, v11, v37
	s_waitcnt vmcnt(12)
	v_fma_f32 v4, v10, v52, -v4
	v_add_f32_e32 v2, v2, v4
	v_mul_f32_e32 v4, v13, v38
	s_waitcnt vmcnt(11)
	v_fma_f32 v4, v12, v53, -v4
	v_add_f32_e32 v2, v2, v4
	v_mul_f32_e32 v4, v15, v39
	s_waitcnt vmcnt(10)
	v_fma_f32 v4, v14, v54, -v4
	v_add_f32_e32 v2, v2, v4
	v_mul_f32_e32 v4, v17, v40
	s_waitcnt vmcnt(9)
	v_fma_f32 v4, v16, v55, -v4
	v_add_f32_e32 v2, v2, v4
	v_mul_f32_e32 v4, v19, v41
	v_fmac_f32_e32 v66, v5, v49
	v_add_f32_e32 v5, 0, v65
	s_waitcnt vmcnt(8)
	v_fma_f32 v4, v18, v56, -v4
	v_fmac_f32_e32 v67, v7, v50
	v_add_f32_e32 v5, v5, v66
	v_add_f32_e32 v2, v2, v4
	v_mul_f32_e32 v4, v21, v42
	v_fmac_f32_e32 v68, v9, v51
	v_add_f32_e32 v3, v5, v67
	s_waitcnt vmcnt(7)
	v_fma_f32 v4, v20, v57, -v4
	v_fmac_f32_e32 v69, v11, v52
	v_add_f32_e32 v3, v3, v68
	v_add_f32_e32 v2, v2, v4
	v_mul_f32_e32 v4, v27, v43
	v_fmac_f32_e32 v70, v13, v53
	v_add_f32_e32 v3, v3, v69
	s_waitcnt vmcnt(6)
	v_fma_f32 v4, v26, v58, -v4
	v_fmac_f32_e32 v71, v15, v54
	v_add_f32_e32 v3, v3, v70
	v_add_f32_e32 v2, v2, v4
	v_mul_f32_e32 v4, v29, v44
	v_fmac_f32_e32 v72, v17, v55
	v_add_f32_e32 v3, v3, v71
	s_waitcnt vmcnt(5)
	v_fma_f32 v4, v28, v59, -v4
	v_fmac_f32_e32 v73, v19, v56
	v_add_f32_e32 v3, v3, v72
	v_add_f32_e32 v2, v2, v4
	s_waitcnt lgkmcnt(1)
	v_mul_f32_e32 v4, v31, v45
	v_fmac_f32_e32 v74, v21, v57
	v_add_f32_e32 v3, v3, v73
	s_waitcnt vmcnt(4)
	v_fma_f32 v4, v30, v60, -v4
	v_fmac_f32_e32 v75, v27, v58
	v_add_f32_e32 v3, v3, v74
	v_add_f32_e32 v2, v2, v4
	v_mul_f32_e32 v4, v33, v46
	v_mul_f32_e32 v77, v30, v45
	v_fmac_f32_e32 v76, v29, v59
	v_add_f32_e32 v3, v3, v75
	s_waitcnt vmcnt(3)
	v_fma_f32 v4, v32, v61, -v4
	v_mul_f32_e32 v78, v32, v46
	v_fmac_f32_e32 v77, v31, v60
	v_add_f32_e32 v3, v3, v76
	v_add_f32_e32 v2, v2, v4
	s_waitcnt lgkmcnt(0)
	v_mul_f32_e32 v4, v23, v47
	v_mul_f32_e32 v79, v22, v47
	v_fmac_f32_e32 v78, v33, v61
	v_add_f32_e32 v3, v3, v77
	s_waitcnt vmcnt(2)
	v_fma_f32 v4, v22, v62, -v4
	v_fmac_f32_e32 v79, v23, v62
	v_add_f32_e32 v3, v3, v78
	v_add_f32_e32 v2, v2, v4
	;; [unrolled: 1-line block ×3, first 2 shown]
	s_waitcnt vmcnt(1)
	v_sub_f32_e32 v2, v63, v2
	s_waitcnt vmcnt(0)
	v_sub_f32_e32 v3, v64, v3
	buffer_store_dword v2, off, s[0:3], 0 offset:368
	buffer_store_dword v3, off, s[0:3], 0 offset:372
	s_and_saveexec_b64 s[4:5], vcc
	s_cbranch_execz .LBB61_295
; %bb.294:
	buffer_load_dword v2, off, s[0:3], 0 offset:360
	buffer_load_dword v3, off, s[0:3], 0 offset:364
	s_waitcnt vmcnt(0)
	ds_write_b64 v25, v[2:3]
	buffer_store_dword v1, off, s[0:3], 0 offset:360
	buffer_store_dword v1, off, s[0:3], 0 offset:364
.LBB61_295:
	s_or_b64 exec, exec, s[4:5]
	s_waitcnt lgkmcnt(0)
	; wave barrier
	buffer_load_dword v22, off, s[0:3], 0 offset:372
	buffer_load_dword v23, off, s[0:3], 0 offset:380
	;; [unrolled: 1-line block ×34, first 2 shown]
	ds_read_b128 v[2:5], v1 offset:864
	ds_read_b128 v[6:9], v1 offset:880
	;; [unrolled: 1-line block ×8, first 2 shown]
	v_cmp_lt_u32_e32 vcc, 44, v0
	s_waitcnt vmcnt(33) lgkmcnt(7)
	v_mul_f32_e32 v1, v2, v22
	v_mul_f32_e32 v22, v3, v22
	s_waitcnt vmcnt(32)
	v_mul_f32_e32 v69, v4, v23
	v_mul_f32_e32 v23, v5, v23
	s_waitcnt vmcnt(31) lgkmcnt(6)
	v_mul_f32_e32 v70, v6, v24
	s_waitcnt vmcnt(30)
	v_mul_f32_e32 v71, v8, v38
	s_waitcnt vmcnt(29) lgkmcnt(5)
	v_mul_f32_e32 v72, v10, v39
	s_waitcnt vmcnt(28)
	;; [unrolled: 4-line block ×6, first 2 shown]
	v_mul_f32_e32 v81, v32, v48
	s_waitcnt vmcnt(17)
	v_fma_f32 v2, v2, v51, -v22
	v_fmac_f32_e32 v1, v3, v51
	s_waitcnt vmcnt(16)
	v_fma_f32 v3, v4, v52, -v23
	v_add_f32_e32 v2, 0, v2
	v_add_f32_e32 v2, v2, v3
	v_mul_f32_e32 v3, v7, v24
	s_waitcnt vmcnt(15)
	v_fma_f32 v3, v6, v53, -v3
	v_add_f32_e32 v2, v2, v3
	v_mul_f32_e32 v3, v9, v38
	s_waitcnt vmcnt(14)
	v_fma_f32 v3, v8, v54, -v3
	;; [unrolled: 4-line block ×7, first 2 shown]
	v_fmac_f32_e32 v69, v5, v52
	v_add_f32_e32 v1, 0, v1
	v_add_f32_e32 v2, v2, v3
	v_mul_f32_e32 v3, v21, v44
	v_fmac_f32_e32 v70, v7, v53
	v_add_f32_e32 v1, v1, v69
	s_waitcnt vmcnt(8)
	v_fma_f32 v3, v20, v60, -v3
	v_fmac_f32_e32 v71, v9, v54
	v_add_f32_e32 v1, v1, v70
	v_add_f32_e32 v2, v2, v3
	v_mul_f32_e32 v3, v27, v45
	v_fmac_f32_e32 v72, v11, v55
	v_add_f32_e32 v1, v1, v71
	s_waitcnt vmcnt(7)
	v_fma_f32 v3, v26, v61, -v3
	;; [unrolled: 8-line block ×5, first 2 shown]
	v_fmac_f32_e32 v79, v29, v62
	v_add_f32_e32 v1, v1, v78
	v_add_f32_e32 v2, v2, v3
	s_waitcnt lgkmcnt(0)
	v_mul_f32_e32 v3, v35, v49
	v_fmac_f32_e32 v80, v31, v63
	v_add_f32_e32 v1, v1, v79
	s_waitcnt vmcnt(3)
	v_fma_f32 v3, v34, v65, -v3
	v_mul_f32_e32 v82, v34, v49
	v_fmac_f32_e32 v81, v33, v64
	v_add_f32_e32 v1, v1, v80
	v_add_f32_e32 v2, v2, v3
	v_mul_f32_e32 v3, v37, v50
	v_mul_f32_e32 v83, v36, v50
	v_fmac_f32_e32 v82, v35, v65
	v_add_f32_e32 v1, v1, v81
	s_waitcnt vmcnt(2)
	v_fma_f32 v3, v36, v66, -v3
	v_fmac_f32_e32 v83, v37, v66
	v_add_f32_e32 v1, v1, v82
	v_add_f32_e32 v2, v2, v3
	;; [unrolled: 1-line block ×3, first 2 shown]
	s_waitcnt vmcnt(1)
	v_sub_f32_e32 v2, v67, v2
	s_waitcnt vmcnt(0)
	v_sub_f32_e32 v1, v68, v1
	buffer_store_dword v2, off, s[0:3], 0 offset:360
	buffer_store_dword v1, off, s[0:3], 0 offset:364
	s_and_saveexec_b64 s[4:5], vcc
	s_cbranch_execz .LBB61_297
; %bb.296:
	buffer_load_dword v1, off, s[0:3], 0 offset:352
	buffer_load_dword v2, off, s[0:3], 0 offset:356
	v_mov_b32_e32 v3, 0
	buffer_store_dword v3, off, s[0:3], 0 offset:352
	buffer_store_dword v3, off, s[0:3], 0 offset:356
	s_waitcnt vmcnt(2)
	ds_write_b64 v25, v[1:2]
.LBB61_297:
	s_or_b64 exec, exec, s[4:5]
	s_waitcnt lgkmcnt(0)
	; wave barrier
	buffer_load_dword v24, off, s[0:3], 0 offset:364
	buffer_load_dword v38, off, s[0:3], 0 offset:372
	;; [unrolled: 1-line block ×36, first 2 shown]
	v_mov_b32_e32 v1, 0
	ds_read2_b64 v[2:5], v1 offset0:107 offset1:108
	ds_read2_b64 v[6:9], v1 offset0:109 offset1:110
	;; [unrolled: 1-line block ×8, first 2 shown]
	ds_read_b64 v[22:23], v1 offset:984
	v_cmp_lt_u32_e32 vcc, 43, v0
	s_waitcnt vmcnt(35) lgkmcnt(8)
	v_mul_f32_e32 v73, v2, v24
	s_waitcnt vmcnt(34)
	v_mul_f32_e32 v74, v4, v38
	s_waitcnt vmcnt(33) lgkmcnt(7)
	v_mul_f32_e32 v75, v6, v39
	s_waitcnt vmcnt(32)
	v_mul_f32_e32 v76, v8, v40
	;; [unrolled: 4-line block ×8, first 2 shown]
	s_waitcnt vmcnt(19) lgkmcnt(0)
	v_mul_f32_e32 v89, v22, v53
	s_waitcnt vmcnt(18)
	v_fmac_f32_e32 v73, v3, v54
	v_mul_f32_e32 v3, v3, v24
	v_fma_f32 v2, v2, v54, -v3
	v_mul_f32_e32 v3, v5, v38
	v_add_f32_e32 v2, 0, v2
	s_waitcnt vmcnt(17)
	v_fma_f32 v3, v4, v55, -v3
	v_add_f32_e32 v2, v2, v3
	v_mul_f32_e32 v3, v7, v39
	s_waitcnt vmcnt(16)
	v_fma_f32 v3, v6, v56, -v3
	v_add_f32_e32 v2, v2, v3
	v_mul_f32_e32 v3, v9, v40
	;; [unrolled: 4-line block ×8, first 2 shown]
	v_fmac_f32_e32 v74, v5, v55
	v_add_f32_e32 v73, 0, v73
	s_waitcnt vmcnt(9)
	v_fma_f32 v3, v20, v63, -v3
	v_fmac_f32_e32 v75, v7, v56
	v_add_f32_e32 v73, v73, v74
	v_add_f32_e32 v2, v2, v3
	v_mul_f32_e32 v3, v27, v47
	v_fmac_f32_e32 v76, v9, v57
	v_add_f32_e32 v73, v73, v75
	s_waitcnt vmcnt(8)
	v_fma_f32 v3, v26, v64, -v3
	v_fmac_f32_e32 v77, v11, v58
	v_add_f32_e32 v73, v73, v76
	v_add_f32_e32 v2, v2, v3
	v_mul_f32_e32 v3, v29, v48
	;; [unrolled: 8-line block ×7, first 2 shown]
	v_fmac_f32_e32 v88, v37, v69
	v_add_f32_e32 v73, v73, v87
	s_waitcnt vmcnt(2)
	v_fma_f32 v3, v22, v70, -v3
	v_fmac_f32_e32 v89, v23, v70
	v_add_f32_e32 v73, v73, v88
	v_add_f32_e32 v2, v2, v3
	;; [unrolled: 1-line block ×3, first 2 shown]
	s_waitcnt vmcnt(1)
	v_sub_f32_e32 v2, v71, v2
	s_waitcnt vmcnt(0)
	v_sub_f32_e32 v3, v72, v73
	buffer_store_dword v2, off, s[0:3], 0 offset:352
	buffer_store_dword v3, off, s[0:3], 0 offset:356
	s_and_saveexec_b64 s[4:5], vcc
	s_cbranch_execz .LBB61_299
; %bb.298:
	buffer_load_dword v2, off, s[0:3], 0 offset:344
	buffer_load_dword v3, off, s[0:3], 0 offset:348
	s_waitcnt vmcnt(0)
	ds_write_b64 v25, v[2:3]
	buffer_store_dword v1, off, s[0:3], 0 offset:344
	buffer_store_dword v1, off, s[0:3], 0 offset:348
.LBB61_299:
	s_or_b64 exec, exec, s[4:5]
	s_waitcnt lgkmcnt(0)
	; wave barrier
	buffer_load_dword v22, off, s[0:3], 0 offset:356
	buffer_load_dword v23, off, s[0:3], 0 offset:364
	;; [unrolled: 1-line block ×38, first 2 shown]
	ds_read_b128 v[2:5], v1 offset:848
	ds_read_b128 v[6:9], v1 offset:864
	;; [unrolled: 1-line block ×9, first 2 shown]
	v_cmp_lt_u32_e32 vcc, 42, v0
	s_waitcnt vmcnt(37) lgkmcnt(8)
	v_mul_f32_e32 v1, v2, v22
	s_waitcnt vmcnt(36)
	v_mul_f32_e32 v77, v4, v23
	s_waitcnt vmcnt(35) lgkmcnt(7)
	v_mul_f32_e32 v78, v6, v24
	s_waitcnt vmcnt(34)
	v_mul_f32_e32 v79, v8, v42
	;; [unrolled: 4-line block ×8, first 2 shown]
	s_waitcnt vmcnt(21) lgkmcnt(0)
	v_mul_f32_e32 v92, v38, v55
	s_waitcnt vmcnt(20)
	v_fmac_f32_e32 v1, v3, v56
	v_mul_f32_e32 v3, v3, v22
	v_fma_f32 v2, v2, v56, -v3
	v_mul_f32_e32 v3, v5, v23
	v_add_f32_e32 v2, 0, v2
	s_waitcnt vmcnt(19)
	v_fma_f32 v3, v4, v57, -v3
	v_add_f32_e32 v2, v2, v3
	v_mul_f32_e32 v3, v7, v24
	s_waitcnt vmcnt(18)
	v_fma_f32 v3, v6, v58, -v3
	v_add_f32_e32 v2, v2, v3
	v_mul_f32_e32 v3, v9, v42
	;; [unrolled: 4-line block ×8, first 2 shown]
	s_waitcnt vmcnt(11)
	v_fma_f32 v3, v20, v65, -v3
	v_fmac_f32_e32 v77, v5, v57
	v_add_f32_e32 v1, 0, v1
	v_add_f32_e32 v2, v2, v3
	v_mul_f32_e32 v3, v27, v49
	v_fmac_f32_e32 v78, v7, v58
	v_add_f32_e32 v1, v1, v77
	s_waitcnt vmcnt(10)
	v_fma_f32 v3, v26, v66, -v3
	v_fmac_f32_e32 v79, v9, v59
	v_add_f32_e32 v1, v1, v78
	v_add_f32_e32 v2, v2, v3
	v_mul_f32_e32 v3, v29, v50
	v_fmac_f32_e32 v80, v11, v60
	v_add_f32_e32 v1, v1, v79
	;; [unrolled: 8-line block ×7, first 2 shown]
	s_waitcnt vmcnt(4)
	v_fma_f32 v3, v38, v72, -v3
	v_fmac_f32_e32 v91, v37, v71
	v_add_f32_e32 v1, v1, v90
	v_add_f32_e32 v2, v2, v3
	s_waitcnt vmcnt(3)
	v_mul_f32_e32 v3, v41, v73
	v_add_f32_e32 v1, v1, v91
	v_fmac_f32_e32 v92, v39, v72
	v_mul_f32_e32 v77, v40, v73
	s_waitcnt vmcnt(2)
	v_fma_f32 v3, v40, v74, -v3
	v_add_f32_e32 v1, v1, v92
	v_fmac_f32_e32 v77, v41, v74
	v_add_f32_e32 v2, v2, v3
	v_add_f32_e32 v1, v1, v77
	s_waitcnt vmcnt(1)
	v_sub_f32_e32 v2, v75, v2
	s_waitcnt vmcnt(0)
	v_sub_f32_e32 v1, v76, v1
	buffer_store_dword v2, off, s[0:3], 0 offset:344
	buffer_store_dword v1, off, s[0:3], 0 offset:348
	s_and_saveexec_b64 s[4:5], vcc
	s_cbranch_execz .LBB61_301
; %bb.300:
	buffer_load_dword v1, off, s[0:3], 0 offset:336
	buffer_load_dword v2, off, s[0:3], 0 offset:340
	v_mov_b32_e32 v3, 0
	buffer_store_dword v3, off, s[0:3], 0 offset:336
	buffer_store_dword v3, off, s[0:3], 0 offset:340
	s_waitcnt vmcnt(2)
	ds_write_b64 v25, v[1:2]
.LBB61_301:
	s_or_b64 exec, exec, s[4:5]
	s_waitcnt lgkmcnt(0)
	; wave barrier
	buffer_load_dword v24, off, s[0:3], 0 offset:348
	buffer_load_dword v42, off, s[0:3], 0 offset:356
	;; [unrolled: 1-line block ×40, first 2 shown]
	v_mov_b32_e32 v1, 0
	ds_read2_b64 v[2:5], v1 offset0:105 offset1:106
	ds_read2_b64 v[6:9], v1 offset0:107 offset1:108
	;; [unrolled: 1-line block ×9, first 2 shown]
	v_cmp_lt_u32_e32 vcc, 41, v0
	s_waitcnt vmcnt(39) lgkmcnt(8)
	v_mul_f32_e32 v22, v2, v24
	s_waitcnt vmcnt(38)
	v_mul_f32_e32 v23, v4, v42
	s_waitcnt vmcnt(37) lgkmcnt(7)
	v_mul_f32_e32 v81, v6, v43
	s_waitcnt vmcnt(36)
	v_mul_f32_e32 v82, v8, v44
	;; [unrolled: 4-line block ×7, first 2 shown]
	s_waitcnt vmcnt(25) lgkmcnt(1)
	v_mul_f32_e32 v93, v34, v55
	s_waitcnt vmcnt(24)
	v_fmac_f32_e32 v22, v3, v56
	v_mul_f32_e32 v3, v3, v24
	v_fma_f32 v2, v2, v56, -v3
	v_mul_f32_e32 v3, v5, v42
	v_add_f32_e32 v2, 0, v2
	s_waitcnt vmcnt(23)
	v_fma_f32 v3, v4, v57, -v3
	v_add_f32_e32 v2, v2, v3
	v_mul_f32_e32 v3, v7, v43
	s_waitcnt vmcnt(22)
	v_fma_f32 v3, v6, v58, -v3
	v_add_f32_e32 v2, v2, v3
	v_mul_f32_e32 v3, v9, v44
	s_waitcnt vmcnt(21)
	v_fma_f32 v3, v8, v59, -v3
	v_add_f32_e32 v2, v2, v3
	v_mul_f32_e32 v3, v11, v45
	s_waitcnt vmcnt(20)
	v_fma_f32 v3, v10, v60, -v3
	v_add_f32_e32 v2, v2, v3
	v_mul_f32_e32 v3, v13, v46
	s_waitcnt vmcnt(19)
	v_fma_f32 v3, v12, v61, -v3
	v_add_f32_e32 v2, v2, v3
	v_mul_f32_e32 v3, v15, v47
	s_waitcnt vmcnt(18)
	v_fma_f32 v3, v14, v62, -v3
	v_add_f32_e32 v2, v2, v3
	v_mul_f32_e32 v3, v17, v48
	s_waitcnt vmcnt(17)
	v_fma_f32 v3, v16, v63, -v3
	v_fmac_f32_e32 v23, v5, v57
	v_add_f32_e32 v22, 0, v22
	v_add_f32_e32 v2, v2, v3
	v_mul_f32_e32 v3, v19, v49
	v_fmac_f32_e32 v81, v7, v58
	v_add_f32_e32 v22, v22, v23
	s_waitcnt vmcnt(16)
	v_fma_f32 v3, v18, v64, -v3
	v_fmac_f32_e32 v82, v9, v59
	v_add_f32_e32 v22, v22, v81
	v_add_f32_e32 v2, v2, v3
	v_mul_f32_e32 v3, v21, v50
	v_fmac_f32_e32 v83, v11, v60
	v_add_f32_e32 v22, v22, v82
	;; [unrolled: 8-line block ×6, first 2 shown]
	s_waitcnt vmcnt(11)
	v_fma_f32 v3, v32, v69, -v3
	v_fmac_f32_e32 v92, v33, v69
	v_add_f32_e32 v22, v22, v91
	v_add_f32_e32 v2, v2, v3
	v_mul_f32_e32 v3, v35, v55
	s_waitcnt vmcnt(10)
	v_fmac_f32_e32 v93, v35, v70
	v_add_f32_e32 v22, v22, v92
	s_waitcnt vmcnt(9)
	v_mul_f32_e32 v23, v36, v71
	v_fma_f32 v3, v34, v70, -v3
	v_add_f32_e32 v22, v22, v93
	s_waitcnt vmcnt(8)
	v_fmac_f32_e32 v23, v37, v72
	v_add_f32_e32 v2, v2, v3
	v_mul_f32_e32 v3, v37, v71
	v_add_f32_e32 v81, v22, v23
	ds_read_b64 v[22:23], v1 offset:984
	v_fma_f32 v3, v36, v72, -v3
	v_add_f32_e32 v2, v2, v3
	s_waitcnt vmcnt(7) lgkmcnt(1)
	v_mul_f32_e32 v3, v39, v73
	v_mul_f32_e32 v82, v38, v73
	s_waitcnt vmcnt(6)
	v_fma_f32 v3, v38, v74, -v3
	v_fmac_f32_e32 v82, v39, v74
	v_add_f32_e32 v2, v2, v3
	s_waitcnt vmcnt(5)
	v_mul_f32_e32 v3, v41, v75
	v_add_f32_e32 v81, v81, v82
	v_mul_f32_e32 v82, v40, v75
	s_waitcnt vmcnt(4)
	v_fma_f32 v3, v40, v76, -v3
	v_fmac_f32_e32 v82, v41, v76
	v_add_f32_e32 v2, v2, v3
	s_waitcnt vmcnt(3) lgkmcnt(0)
	v_mul_f32_e32 v3, v23, v77
	v_add_f32_e32 v81, v81, v82
	v_mul_f32_e32 v82, v22, v77
	s_waitcnt vmcnt(2)
	v_fma_f32 v3, v22, v78, -v3
	v_fmac_f32_e32 v82, v23, v78
	v_add_f32_e32 v2, v2, v3
	v_add_f32_e32 v81, v81, v82
	s_waitcnt vmcnt(1)
	v_sub_f32_e32 v2, v79, v2
	s_waitcnt vmcnt(0)
	v_sub_f32_e32 v3, v80, v81
	buffer_store_dword v2, off, s[0:3], 0 offset:336
	buffer_store_dword v3, off, s[0:3], 0 offset:340
	s_and_saveexec_b64 s[4:5], vcc
	s_cbranch_execz .LBB61_303
; %bb.302:
	buffer_load_dword v2, off, s[0:3], 0 offset:328
	buffer_load_dword v3, off, s[0:3], 0 offset:332
	s_waitcnt vmcnt(0)
	ds_write_b64 v25, v[2:3]
	buffer_store_dword v1, off, s[0:3], 0 offset:328
	buffer_store_dword v1, off, s[0:3], 0 offset:332
.LBB61_303:
	s_or_b64 exec, exec, s[4:5]
	s_waitcnt lgkmcnt(0)
	; wave barrier
	buffer_load_dword v22, off, s[0:3], 0 offset:340
	buffer_load_dword v23, off, s[0:3], 0 offset:348
	;; [unrolled: 1-line block ×42, first 2 shown]
	ds_read_b128 v[2:5], v1 offset:832
	ds_read_b128 v[6:9], v1 offset:848
	;; [unrolled: 1-line block ×8, first 2 shown]
	v_cmp_lt_u32_e32 vcc, 40, v0
	s_waitcnt vmcnt(41) lgkmcnt(7)
	v_mul_f32_e32 v38, v2, v22
	s_waitcnt vmcnt(40)
	v_mul_f32_e32 v39, v4, v23
	s_waitcnt vmcnt(39) lgkmcnt(6)
	v_mul_f32_e32 v40, v6, v24
	s_waitcnt vmcnt(38)
	v_mul_f32_e32 v41, v8, v46
	;; [unrolled: 4-line block ×7, first 2 shown]
	s_waitcnt vmcnt(27) lgkmcnt(0)
	v_mul_f32_e32 v91, v34, v57
	s_waitcnt vmcnt(26)
	v_fmac_f32_e32 v38, v3, v58
	v_mul_f32_e32 v3, v3, v22
	v_fma_f32 v2, v2, v58, -v3
	v_mul_f32_e32 v3, v5, v23
	v_add_f32_e32 v2, 0, v2
	s_waitcnt vmcnt(25)
	v_fma_f32 v3, v4, v59, -v3
	v_add_f32_e32 v2, v2, v3
	v_mul_f32_e32 v3, v7, v24
	s_waitcnt vmcnt(24)
	v_fma_f32 v3, v6, v60, -v3
	v_add_f32_e32 v2, v2, v3
	v_mul_f32_e32 v3, v9, v46
	;; [unrolled: 4-line block ×5, first 2 shown]
	v_fmac_f32_e32 v39, v5, v59
	v_add_f32_e32 v38, 0, v38
	s_waitcnt vmcnt(20)
	v_fma_f32 v3, v14, v64, -v3
	v_fmac_f32_e32 v40, v7, v60
	v_add_f32_e32 v38, v38, v39
	v_add_f32_e32 v2, v2, v3
	v_mul_f32_e32 v3, v17, v50
	v_fmac_f32_e32 v41, v9, v61
	v_add_f32_e32 v38, v38, v40
	s_waitcnt vmcnt(19)
	v_fma_f32 v3, v16, v65, -v3
	v_fmac_f32_e32 v42, v11, v62
	v_add_f32_e32 v38, v38, v41
	v_add_f32_e32 v2, v2, v3
	v_mul_f32_e32 v3, v19, v51
	;; [unrolled: 8-line block ×5, first 2 shown]
	s_waitcnt vmcnt(15)
	v_fmac_f32_e32 v88, v29, v69
	v_add_f32_e32 v38, v38, v87
	v_fma_f32 v3, v28, v69, -v3
	s_waitcnt vmcnt(14)
	v_fmac_f32_e32 v89, v31, v70
	v_add_f32_e32 v38, v38, v88
	v_add_f32_e32 v2, v2, v3
	v_mul_f32_e32 v3, v31, v55
	s_waitcnt vmcnt(13)
	v_fmac_f32_e32 v90, v33, v71
	v_add_f32_e32 v38, v38, v89
	v_fma_f32 v3, v30, v70, -v3
	s_waitcnt vmcnt(12)
	v_fmac_f32_e32 v91, v35, v72
	v_add_f32_e32 v38, v38, v90
	v_add_f32_e32 v2, v2, v3
	v_mul_f32_e32 v3, v33, v56
	v_add_f32_e32 v42, v38, v91
	ds_read_b128 v[38:41], v1 offset:960
	v_fma_f32 v3, v32, v71, -v3
	v_add_f32_e32 v2, v2, v3
	v_mul_f32_e32 v3, v35, v57
	s_waitcnt vmcnt(11)
	v_mul_f32_e32 v43, v36, v73
	v_fma_f32 v3, v34, v72, -v3
	s_waitcnt vmcnt(10)
	v_fmac_f32_e32 v43, v37, v74
	v_add_f32_e32 v2, v2, v3
	v_mul_f32_e32 v3, v37, v73
	v_add_f32_e32 v85, v42, v43
	ds_read_b128 v[42:45], v1 offset:976
	v_fma_f32 v3, v36, v74, -v3
	v_add_f32_e32 v2, v2, v3
	s_waitcnt vmcnt(9) lgkmcnt(1)
	v_mul_f32_e32 v3, v39, v75
	v_mul_f32_e32 v1, v38, v75
	s_waitcnt vmcnt(8)
	v_fma_f32 v3, v38, v76, -v3
	v_fmac_f32_e32 v1, v39, v76
	v_add_f32_e32 v2, v2, v3
	s_waitcnt vmcnt(7)
	v_mul_f32_e32 v3, v41, v77
	v_add_f32_e32 v1, v85, v1
	v_mul_f32_e32 v85, v40, v77
	s_waitcnt vmcnt(6)
	v_fma_f32 v3, v40, v78, -v3
	v_fmac_f32_e32 v85, v41, v78
	v_add_f32_e32 v2, v2, v3
	s_waitcnt vmcnt(5) lgkmcnt(0)
	v_mul_f32_e32 v3, v43, v79
	v_add_f32_e32 v1, v1, v85
	v_mul_f32_e32 v85, v42, v79
	s_waitcnt vmcnt(4)
	v_fma_f32 v3, v42, v80, -v3
	v_fmac_f32_e32 v85, v43, v80
	v_add_f32_e32 v2, v2, v3
	s_waitcnt vmcnt(3)
	v_mul_f32_e32 v3, v45, v81
	v_add_f32_e32 v1, v1, v85
	v_mul_f32_e32 v85, v44, v81
	s_waitcnt vmcnt(2)
	v_fma_f32 v3, v44, v82, -v3
	v_fmac_f32_e32 v85, v45, v82
	v_add_f32_e32 v2, v2, v3
	v_add_f32_e32 v1, v1, v85
	s_waitcnt vmcnt(1)
	v_sub_f32_e32 v2, v83, v2
	s_waitcnt vmcnt(0)
	v_sub_f32_e32 v1, v84, v1
	buffer_store_dword v2, off, s[0:3], 0 offset:328
	buffer_store_dword v1, off, s[0:3], 0 offset:332
	s_and_saveexec_b64 s[4:5], vcc
	s_cbranch_execz .LBB61_305
; %bb.304:
	buffer_load_dword v1, off, s[0:3], 0 offset:320
	buffer_load_dword v2, off, s[0:3], 0 offset:324
	v_mov_b32_e32 v3, 0
	buffer_store_dword v3, off, s[0:3], 0 offset:320
	buffer_store_dword v3, off, s[0:3], 0 offset:324
	s_waitcnt vmcnt(2)
	ds_write_b64 v25, v[1:2]
.LBB61_305:
	s_or_b64 exec, exec, s[4:5]
	s_waitcnt lgkmcnt(0)
	; wave barrier
	buffer_load_dword v24, off, s[0:3], 0 offset:332
	buffer_load_dword v46, off, s[0:3], 0 offset:340
	;; [unrolled: 1-line block ×44, first 2 shown]
	v_mov_b32_e32 v1, 0
	ds_read2_b64 v[2:5], v1 offset0:103 offset1:104
	ds_read2_b64 v[6:9], v1 offset0:105 offset1:106
	;; [unrolled: 1-line block ×8, first 2 shown]
	v_cmp_lt_u32_e32 vcc, 39, v0
	s_waitcnt vmcnt(43) lgkmcnt(7)
	v_mul_f32_e32 v22, v2, v24
	s_waitcnt vmcnt(42)
	v_mul_f32_e32 v23, v4, v46
	s_waitcnt vmcnt(41) lgkmcnt(6)
	v_mul_f32_e32 v38, v6, v47
	s_waitcnt vmcnt(40)
	v_mul_f32_e32 v39, v8, v48
	;; [unrolled: 4-line block ×7, first 2 shown]
	s_waitcnt vmcnt(29)
	v_fmac_f32_e32 v22, v3, v59
	v_mul_f32_e32 v3, v3, v24
	v_fma_f32 v2, v2, v59, -v3
	v_mul_f32_e32 v3, v5, v46
	v_add_f32_e32 v2, 0, v2
	s_waitcnt vmcnt(28)
	v_fma_f32 v3, v4, v60, -v3
	v_add_f32_e32 v2, v2, v3
	v_mul_f32_e32 v3, v7, v47
	s_waitcnt vmcnt(27)
	v_fma_f32 v3, v6, v61, -v3
	v_add_f32_e32 v2, v2, v3
	v_mul_f32_e32 v3, v9, v48
	;; [unrolled: 4-line block ×6, first 2 shown]
	v_fmac_f32_e32 v23, v5, v60
	v_add_f32_e32 v22, 0, v22
	s_waitcnt vmcnt(22)
	v_fma_f32 v3, v16, v66, -v3
	v_fmac_f32_e32 v38, v7, v61
	v_add_f32_e32 v22, v22, v23
	v_add_f32_e32 v2, v2, v3
	v_mul_f32_e32 v3, v19, v53
	v_fmac_f32_e32 v39, v9, v62
	v_add_f32_e32 v22, v22, v38
	s_waitcnt vmcnt(21)
	v_fma_f32 v3, v18, v67, -v3
	v_fmac_f32_e32 v40, v11, v63
	v_add_f32_e32 v22, v22, v39
	v_add_f32_e32 v2, v2, v3
	v_mul_f32_e32 v3, v21, v54
	;; [unrolled: 8-line block ×5, first 2 shown]
	v_fmac_f32_e32 v90, v29, v70
	v_add_f32_e32 v22, v22, v89
	s_waitcnt vmcnt(17)
	v_fma_f32 v3, v30, v71, -v3
	v_fmac_f32_e32 v91, v31, v71
	v_add_f32_e32 v22, v22, v90
	ds_read2_b64 v[38:41], v1 offset0:119 offset1:120
	ds_read2_b64 v[42:45], v1 offset0:121 offset1:122
	v_add_f32_e32 v2, v2, v3
	v_mul_f32_e32 v3, v33, v58
	v_add_f32_e32 v22, v22, v91
	s_waitcnt vmcnt(16)
	v_fmac_f32_e32 v92, v33, v72
	s_waitcnt vmcnt(15) lgkmcnt(2)
	v_mul_f32_e32 v23, v34, v73
	v_fma_f32 v3, v32, v72, -v3
	v_add_f32_e32 v22, v22, v92
	s_waitcnt vmcnt(14)
	v_fmac_f32_e32 v23, v35, v74
	v_add_f32_e32 v2, v2, v3
	v_mul_f32_e32 v3, v35, v73
	v_add_f32_e32 v22, v22, v23
	s_waitcnt vmcnt(13)
	v_mul_f32_e32 v23, v36, v75
	v_fma_f32 v3, v34, v74, -v3
	s_waitcnt vmcnt(12)
	v_fmac_f32_e32 v23, v37, v76
	v_add_f32_e32 v2, v2, v3
	v_mul_f32_e32 v3, v37, v75
	v_add_f32_e32 v22, v22, v23
	s_waitcnt vmcnt(11) lgkmcnt(1)
	v_mul_f32_e32 v23, v38, v77
	v_fma_f32 v3, v36, v76, -v3
	s_waitcnt vmcnt(10)
	v_fmac_f32_e32 v23, v39, v78
	v_add_f32_e32 v2, v2, v3
	v_mul_f32_e32 v3, v39, v77
	v_add_f32_e32 v22, v22, v23
	s_waitcnt vmcnt(9)
	v_mul_f32_e32 v23, v40, v79
	v_fma_f32 v3, v38, v78, -v3
	s_waitcnt vmcnt(8)
	v_fmac_f32_e32 v23, v41, v80
	v_add_f32_e32 v2, v2, v3
	v_mul_f32_e32 v3, v41, v79
	v_add_f32_e32 v89, v22, v23
	ds_read_b64 v[22:23], v1 offset:984
	v_fma_f32 v3, v40, v80, -v3
	v_add_f32_e32 v2, v2, v3
	s_waitcnt vmcnt(7) lgkmcnt(1)
	v_mul_f32_e32 v3, v43, v81
	v_mul_f32_e32 v90, v42, v81
	s_waitcnt vmcnt(6)
	v_fma_f32 v3, v42, v82, -v3
	v_fmac_f32_e32 v90, v43, v82
	v_add_f32_e32 v2, v2, v3
	s_waitcnt vmcnt(5)
	v_mul_f32_e32 v3, v45, v83
	v_add_f32_e32 v89, v89, v90
	v_mul_f32_e32 v90, v44, v83
	s_waitcnt vmcnt(4)
	v_fma_f32 v3, v44, v84, -v3
	v_fmac_f32_e32 v90, v45, v84
	v_add_f32_e32 v2, v2, v3
	s_waitcnt vmcnt(3) lgkmcnt(0)
	v_mul_f32_e32 v3, v23, v85
	v_add_f32_e32 v89, v89, v90
	v_mul_f32_e32 v90, v22, v85
	s_waitcnt vmcnt(2)
	v_fma_f32 v3, v22, v86, -v3
	v_fmac_f32_e32 v90, v23, v86
	v_add_f32_e32 v2, v2, v3
	v_add_f32_e32 v89, v89, v90
	s_waitcnt vmcnt(1)
	v_sub_f32_e32 v2, v87, v2
	s_waitcnt vmcnt(0)
	v_sub_f32_e32 v3, v88, v89
	buffer_store_dword v2, off, s[0:3], 0 offset:320
	buffer_store_dword v3, off, s[0:3], 0 offset:324
	s_and_saveexec_b64 s[4:5], vcc
	s_cbranch_execz .LBB61_307
; %bb.306:
	buffer_load_dword v2, off, s[0:3], 0 offset:312
	buffer_load_dword v3, off, s[0:3], 0 offset:316
	s_waitcnt vmcnt(0)
	ds_write_b64 v25, v[2:3]
	buffer_store_dword v1, off, s[0:3], 0 offset:312
	buffer_store_dword v1, off, s[0:3], 0 offset:316
.LBB61_307:
	s_or_b64 exec, exec, s[4:5]
	s_waitcnt lgkmcnt(0)
	; wave barrier
	buffer_load_dword v22, off, s[0:3], 0 offset:324
	buffer_load_dword v23, off, s[0:3], 0 offset:332
	;; [unrolled: 1-line block ×46, first 2 shown]
	ds_read_b128 v[2:5], v1 offset:816
	ds_read_b128 v[6:9], v1 offset:832
	;; [unrolled: 1-line block ×8, first 2 shown]
	v_cmp_lt_u32_e32 vcc, 38, v0
	s_waitcnt vmcnt(45) lgkmcnt(7)
	v_mul_f32_e32 v38, v2, v22
	s_waitcnt vmcnt(44)
	v_mul_f32_e32 v39, v4, v23
	s_waitcnt vmcnt(43) lgkmcnt(6)
	v_mul_f32_e32 v40, v6, v24
	s_waitcnt vmcnt(42)
	v_mul_f32_e32 v41, v8, v50
	;; [unrolled: 4-line block ×6, first 2 shown]
	s_waitcnt vmcnt(33) lgkmcnt(1)
	v_mul_f32_e32 v93, v30, v59
	s_waitcnt vmcnt(32)
	v_fmac_f32_e32 v38, v3, v60
	v_mul_f32_e32 v3, v3, v22
	v_fma_f32 v2, v2, v60, -v3
	v_mul_f32_e32 v3, v5, v23
	v_add_f32_e32 v2, 0, v2
	s_waitcnt vmcnt(31)
	v_fma_f32 v3, v4, v61, -v3
	v_add_f32_e32 v2, v2, v3
	v_mul_f32_e32 v3, v7, v24
	s_waitcnt vmcnt(30)
	v_fma_f32 v3, v6, v62, -v3
	v_add_f32_e32 v2, v2, v3
	v_mul_f32_e32 v3, v9, v50
	;; [unrolled: 4-line block ×4, first 2 shown]
	v_fmac_f32_e32 v39, v5, v61
	v_add_f32_e32 v38, 0, v38
	s_waitcnt vmcnt(27)
	v_fma_f32 v3, v12, v65, -v3
	v_fmac_f32_e32 v40, v7, v62
	v_add_f32_e32 v38, v38, v39
	v_add_f32_e32 v2, v2, v3
	v_mul_f32_e32 v3, v15, v53
	v_fmac_f32_e32 v41, v9, v63
	v_add_f32_e32 v38, v38, v40
	s_waitcnt vmcnt(26)
	v_fma_f32 v3, v14, v66, -v3
	v_fmac_f32_e32 v42, v11, v64
	v_add_f32_e32 v38, v38, v41
	v_add_f32_e32 v2, v2, v3
	v_mul_f32_e32 v3, v17, v54
	;; [unrolled: 8-line block ×4, first 2 shown]
	s_waitcnt vmcnt(23)
	v_fmac_f32_e32 v47, v21, v69
	v_add_f32_e32 v38, v38, v46
	v_fma_f32 v3, v20, v69, -v3
	s_waitcnt vmcnt(22)
	v_fmac_f32_e32 v48, v27, v70
	v_add_f32_e32 v38, v38, v47
	v_add_f32_e32 v2, v2, v3
	v_mul_f32_e32 v3, v27, v57
	s_waitcnt vmcnt(21)
	v_fmac_f32_e32 v49, v29, v71
	v_add_f32_e32 v38, v38, v48
	v_fma_f32 v3, v26, v70, -v3
	s_waitcnt vmcnt(20)
	v_fmac_f32_e32 v93, v31, v72
	v_add_f32_e32 v38, v38, v49
	s_waitcnt vmcnt(19)
	v_mul_f32_e32 v39, v32, v73
	v_add_f32_e32 v2, v2, v3
	v_mul_f32_e32 v3, v29, v58
	v_add_f32_e32 v38, v38, v93
	s_waitcnt vmcnt(18)
	v_fmac_f32_e32 v39, v33, v74
	v_fma_f32 v3, v28, v71, -v3
	v_add_f32_e32 v38, v38, v39
	s_waitcnt vmcnt(17) lgkmcnt(0)
	v_mul_f32_e32 v39, v34, v75
	v_add_f32_e32 v2, v2, v3
	v_mul_f32_e32 v3, v31, v59
	s_waitcnt vmcnt(16)
	v_fmac_f32_e32 v39, v35, v76
	v_fma_f32 v3, v30, v72, -v3
	v_add_f32_e32 v42, v38, v39
	ds_read_b128 v[38:41], v1 offset:944
	v_add_f32_e32 v2, v2, v3
	v_mul_f32_e32 v3, v33, v73
	v_fma_f32 v3, v32, v74, -v3
	v_add_f32_e32 v2, v2, v3
	v_mul_f32_e32 v3, v35, v75
	s_waitcnt vmcnt(15)
	v_mul_f32_e32 v43, v36, v77
	v_fma_f32 v3, v34, v76, -v3
	s_waitcnt vmcnt(14)
	v_fmac_f32_e32 v43, v37, v78
	v_add_f32_e32 v2, v2, v3
	v_mul_f32_e32 v3, v37, v77
	v_add_f32_e32 v46, v42, v43
	ds_read_b128 v[42:45], v1 offset:960
	s_waitcnt vmcnt(13) lgkmcnt(1)
	v_mul_f32_e32 v47, v38, v79
	v_fma_f32 v3, v36, v78, -v3
	s_waitcnt vmcnt(12)
	v_fmac_f32_e32 v47, v39, v80
	v_add_f32_e32 v2, v2, v3
	v_mul_f32_e32 v3, v39, v79
	v_add_f32_e32 v46, v46, v47
	s_waitcnt vmcnt(11)
	v_mul_f32_e32 v47, v40, v81
	v_fma_f32 v3, v38, v80, -v3
	s_waitcnt vmcnt(10)
	v_fmac_f32_e32 v47, v41, v82
	v_add_f32_e32 v2, v2, v3
	v_mul_f32_e32 v3, v41, v81
	v_add_f32_e32 v93, v46, v47
	ds_read_b128 v[46:49], v1 offset:976
	v_fma_f32 v3, v40, v82, -v3
	v_add_f32_e32 v2, v2, v3
	s_waitcnt vmcnt(9) lgkmcnt(1)
	v_mul_f32_e32 v3, v43, v83
	v_mul_f32_e32 v94, v42, v83
	s_waitcnt vmcnt(8)
	v_fma_f32 v3, v42, v84, -v3
	v_fmac_f32_e32 v94, v43, v84
	v_add_f32_e32 v2, v2, v3
	s_waitcnt vmcnt(7)
	v_mul_f32_e32 v3, v45, v85
	v_add_f32_e32 v1, v93, v94
	v_mul_f32_e32 v93, v44, v85
	s_waitcnt vmcnt(6)
	v_fma_f32 v3, v44, v86, -v3
	v_fmac_f32_e32 v93, v45, v86
	v_add_f32_e32 v2, v2, v3
	s_waitcnt vmcnt(5) lgkmcnt(0)
	v_mul_f32_e32 v3, v47, v87
	v_add_f32_e32 v1, v1, v93
	v_mul_f32_e32 v93, v46, v87
	s_waitcnt vmcnt(4)
	v_fma_f32 v3, v46, v88, -v3
	v_fmac_f32_e32 v93, v47, v88
	v_add_f32_e32 v2, v2, v3
	s_waitcnt vmcnt(3)
	v_mul_f32_e32 v3, v49, v89
	v_add_f32_e32 v1, v1, v93
	v_mul_f32_e32 v93, v48, v89
	s_waitcnt vmcnt(2)
	v_fma_f32 v3, v48, v90, -v3
	v_fmac_f32_e32 v93, v49, v90
	v_add_f32_e32 v2, v2, v3
	v_add_f32_e32 v1, v1, v93
	s_waitcnt vmcnt(1)
	v_sub_f32_e32 v2, v91, v2
	s_waitcnt vmcnt(0)
	v_sub_f32_e32 v1, v92, v1
	buffer_store_dword v2, off, s[0:3], 0 offset:312
	buffer_store_dword v1, off, s[0:3], 0 offset:316
	s_and_saveexec_b64 s[4:5], vcc
	s_cbranch_execz .LBB61_309
; %bb.308:
	buffer_load_dword v1, off, s[0:3], 0 offset:304
	buffer_load_dword v2, off, s[0:3], 0 offset:308
	v_mov_b32_e32 v3, 0
	buffer_store_dword v3, off, s[0:3], 0 offset:304
	buffer_store_dword v3, off, s[0:3], 0 offset:308
	s_waitcnt vmcnt(2)
	ds_write_b64 v25, v[1:2]
.LBB61_309:
	s_or_b64 exec, exec, s[4:5]
	s_waitcnt lgkmcnt(0)
	; wave barrier
	buffer_load_dword v24, off, s[0:3], 0 offset:316
	buffer_load_dword v50, off, s[0:3], 0 offset:324
	;; [unrolled: 1-line block ×48, first 2 shown]
	v_mov_b32_e32 v1, 0
	ds_read2_b64 v[2:5], v1 offset0:101 offset1:102
	ds_read2_b64 v[6:9], v1 offset0:103 offset1:104
	;; [unrolled: 1-line block ×7, first 2 shown]
	v_cmp_lt_u32_e32 vcc, 37, v0
	ds_read2_b64 v[46:49], v1 offset0:121 offset1:122
	s_waitcnt vmcnt(47) lgkmcnt(7)
	v_mul_f32_e32 v22, v2, v24
	s_waitcnt vmcnt(46)
	v_mul_f32_e32 v23, v4, v50
	s_waitcnt vmcnt(45) lgkmcnt(6)
	v_mul_f32_e32 v34, v6, v51
	s_waitcnt vmcnt(44)
	v_mul_f32_e32 v35, v8, v52
	;; [unrolled: 4-line block ×6, first 2 shown]
	s_waitcnt vmcnt(35)
	v_fmac_f32_e32 v22, v3, v61
	v_mul_f32_e32 v3, v3, v24
	v_fma_f32 v2, v2, v61, -v3
	v_mul_f32_e32 v3, v5, v50
	v_add_f32_e32 v2, 0, v2
	s_waitcnt vmcnt(34)
	v_fma_f32 v3, v4, v62, -v3
	v_add_f32_e32 v2, v2, v3
	v_mul_f32_e32 v3, v7, v51
	s_waitcnt vmcnt(33)
	v_fma_f32 v3, v6, v63, -v3
	v_add_f32_e32 v2, v2, v3
	v_mul_f32_e32 v3, v9, v52
	;; [unrolled: 4-line block ×5, first 2 shown]
	v_fmac_f32_e32 v23, v5, v62
	v_add_f32_e32 v22, 0, v22
	s_waitcnt vmcnt(29)
	v_fma_f32 v3, v14, v67, -v3
	v_fmac_f32_e32 v34, v7, v63
	v_add_f32_e32 v22, v22, v23
	v_add_f32_e32 v2, v2, v3
	v_mul_f32_e32 v3, v17, v56
	v_fmac_f32_e32 v35, v9, v64
	v_add_f32_e32 v22, v22, v34
	s_waitcnt vmcnt(28)
	v_fma_f32 v3, v16, v68, -v3
	v_fmac_f32_e32 v36, v11, v65
	v_add_f32_e32 v22, v22, v35
	v_add_f32_e32 v2, v2, v3
	v_mul_f32_e32 v3, v19, v57
	;; [unrolled: 8-line block ×4, first 2 shown]
	v_fmac_f32_e32 v41, v21, v70
	v_add_f32_e32 v22, v22, v40
	s_waitcnt vmcnt(25)
	v_fma_f32 v3, v26, v71, -v3
	v_fmac_f32_e32 v42, v27, v71
	v_add_f32_e32 v22, v22, v41
	ds_read2_b64 v[34:37], v1 offset0:115 offset1:116
	ds_read2_b64 v[38:41], v1 offset0:117 offset1:118
	v_add_f32_e32 v2, v2, v3
	v_mul_f32_e32 v3, v29, v60
	s_waitcnt vmcnt(24)
	v_fmac_f32_e32 v43, v29, v72
	v_add_f32_e32 v22, v22, v42
	s_waitcnt vmcnt(23) lgkmcnt(3)
	v_mul_f32_e32 v23, v30, v73
	v_fma_f32 v3, v28, v72, -v3
	v_add_f32_e32 v22, v22, v43
	s_waitcnt vmcnt(22)
	v_fmac_f32_e32 v23, v31, v74
	v_add_f32_e32 v2, v2, v3
	v_mul_f32_e32 v3, v31, v73
	v_add_f32_e32 v22, v22, v23
	s_waitcnt vmcnt(21)
	v_mul_f32_e32 v23, v32, v75
	v_fma_f32 v3, v30, v74, -v3
	s_waitcnt vmcnt(20)
	v_fmac_f32_e32 v23, v33, v76
	v_add_f32_e32 v2, v2, v3
	v_mul_f32_e32 v3, v33, v75
	v_add_f32_e32 v22, v22, v23
	s_waitcnt vmcnt(19) lgkmcnt(1)
	v_mul_f32_e32 v23, v34, v77
	v_fma_f32 v3, v32, v76, -v3
	s_waitcnt vmcnt(18)
	v_fmac_f32_e32 v23, v35, v78
	v_add_f32_e32 v2, v2, v3
	v_mul_f32_e32 v3, v35, v77
	v_add_f32_e32 v22, v22, v23
	s_waitcnt vmcnt(17)
	v_mul_f32_e32 v23, v36, v79
	v_fma_f32 v3, v34, v78, -v3
	s_waitcnt vmcnt(16)
	v_fmac_f32_e32 v23, v37, v80
	ds_read2_b64 v[42:45], v1 offset0:119 offset1:120
	v_add_f32_e32 v2, v2, v3
	v_mul_f32_e32 v3, v37, v79
	v_add_f32_e32 v22, v22, v23
	s_waitcnt vmcnt(15) lgkmcnt(1)
	v_mul_f32_e32 v23, v38, v81
	v_fma_f32 v3, v36, v80, -v3
	s_waitcnt vmcnt(14)
	v_fmac_f32_e32 v23, v39, v82
	v_add_f32_e32 v2, v2, v3
	v_mul_f32_e32 v3, v39, v81
	v_add_f32_e32 v22, v22, v23
	s_waitcnt vmcnt(13)
	v_mul_f32_e32 v23, v40, v83
	v_fma_f32 v3, v38, v82, -v3
	s_waitcnt vmcnt(12)
	v_fmac_f32_e32 v23, v41, v84
	v_add_f32_e32 v2, v2, v3
	v_mul_f32_e32 v3, v41, v83
	v_add_f32_e32 v22, v22, v23
	s_waitcnt vmcnt(11) lgkmcnt(0)
	v_mul_f32_e32 v23, v42, v85
	v_fma_f32 v3, v40, v84, -v3
	s_waitcnt vmcnt(10)
	v_fmac_f32_e32 v23, v43, v86
	v_add_f32_e32 v2, v2, v3
	v_mul_f32_e32 v3, v43, v85
	v_add_f32_e32 v22, v22, v23
	s_waitcnt vmcnt(9)
	v_mul_f32_e32 v23, v44, v87
	v_fma_f32 v3, v42, v86, -v3
	s_waitcnt vmcnt(8)
	v_fmac_f32_e32 v23, v45, v88
	v_add_f32_e32 v2, v2, v3
	v_mul_f32_e32 v3, v45, v87
	v_add_f32_e32 v97, v22, v23
	ds_read_b64 v[22:23], v1 offset:984
	v_fma_f32 v3, v44, v88, -v3
	v_add_f32_e32 v2, v2, v3
	s_waitcnt vmcnt(6)
	v_mul_f32_e32 v3, v47, v90
	v_mul_f32_e32 v98, v46, v90
	v_fma_f32 v3, v46, v89, -v3
	v_fmac_f32_e32 v98, v47, v89
	v_add_f32_e32 v2, v2, v3
	s_waitcnt vmcnt(3)
	v_mul_f32_e32 v3, v49, v93
	v_add_f32_e32 v97, v97, v98
	v_mul_f32_e32 v98, v48, v93
	s_waitcnt vmcnt(2)
	v_fma_f32 v3, v48, v94, -v3
	v_fmac_f32_e32 v98, v49, v94
	v_add_f32_e32 v2, v2, v3
	s_waitcnt vmcnt(0) lgkmcnt(0)
	v_mul_f32_e32 v3, v23, v96
	v_add_f32_e32 v97, v97, v98
	v_mul_f32_e32 v98, v22, v96
	v_fma_f32 v3, v22, v95, -v3
	v_fmac_f32_e32 v98, v23, v95
	v_add_f32_e32 v2, v2, v3
	v_add_f32_e32 v97, v97, v98
	v_sub_f32_e32 v2, v91, v2
	v_sub_f32_e32 v3, v92, v97
	buffer_store_dword v2, off, s[0:3], 0 offset:304
	buffer_store_dword v3, off, s[0:3], 0 offset:308
	s_and_saveexec_b64 s[4:5], vcc
	s_cbranch_execz .LBB61_311
; %bb.310:
	buffer_load_dword v2, off, s[0:3], 0 offset:296
	buffer_load_dword v3, off, s[0:3], 0 offset:300
	s_waitcnt vmcnt(0)
	ds_write_b64 v25, v[2:3]
	buffer_store_dword v1, off, s[0:3], 0 offset:296
	buffer_store_dword v1, off, s[0:3], 0 offset:300
.LBB61_311:
	s_or_b64 exec, exec, s[4:5]
	s_waitcnt lgkmcnt(0)
	; wave barrier
	buffer_load_dword v22, off, s[0:3], 0 offset:308
	buffer_load_dword v23, off, s[0:3], 0 offset:316
	;; [unrolled: 1-line block ×48, first 2 shown]
	ds_read_b128 v[2:5], v1 offset:800
	ds_read_b128 v[6:9], v1 offset:816
	buffer_load_dword v99, off, s[0:3], 0 offset:488
	buffer_load_dword v100, off, s[0:3], 0 offset:492
	ds_read_b128 v[10:13], v1 offset:832
	ds_read_b128 v[14:17], v1 offset:848
	;; [unrolled: 1-line block ×5, first 2 shown]
	v_cmp_lt_u32_e32 vcc, 36, v0
	s_waitcnt vmcnt(49) lgkmcnt(6)
	v_mul_f32_e32 v34, v2, v22
	s_waitcnt vmcnt(48)
	v_mul_f32_e32 v35, v4, v23
	s_waitcnt vmcnt(47) lgkmcnt(5)
	v_mul_f32_e32 v36, v6, v24
	s_waitcnt vmcnt(46)
	v_mul_f32_e32 v37, v8, v54
	s_waitcnt vmcnt(45) lgkmcnt(4)
	v_mul_f32_e32 v38, v10, v55
	s_waitcnt vmcnt(44)
	v_mul_f32_e32 v39, v12, v56
	s_waitcnt vmcnt(43) lgkmcnt(3)
	v_mul_f32_e32 v40, v14, v57
	s_waitcnt vmcnt(42)
	v_mul_f32_e32 v41, v16, v58
	s_waitcnt vmcnt(41) lgkmcnt(2)
	v_mul_f32_e32 v42, v18, v59
	s_waitcnt vmcnt(40)
	v_mul_f32_e32 v43, v20, v60
	s_waitcnt vmcnt(39) lgkmcnt(1)
	v_mul_f32_e32 v44, v26, v61
	s_waitcnt vmcnt(38)
	v_mul_f32_e32 v45, v28, v62
	s_waitcnt vmcnt(37)
	v_fmac_f32_e32 v34, v3, v63
	v_mul_f32_e32 v3, v3, v22
	v_fma_f32 v2, v2, v63, -v3
	v_mul_f32_e32 v3, v5, v23
	v_add_f32_e32 v2, 0, v2
	s_waitcnt vmcnt(36)
	v_fma_f32 v3, v4, v64, -v3
	v_add_f32_e32 v2, v2, v3
	v_mul_f32_e32 v3, v7, v24
	s_waitcnt vmcnt(35)
	v_fma_f32 v3, v6, v65, -v3
	v_fmac_f32_e32 v35, v5, v64
	v_add_f32_e32 v34, 0, v34
	v_add_f32_e32 v2, v2, v3
	v_mul_f32_e32 v3, v9, v54
	v_fmac_f32_e32 v36, v7, v65
	v_add_f32_e32 v34, v34, v35
	s_waitcnt vmcnt(34)
	v_fma_f32 v3, v8, v66, -v3
	v_fmac_f32_e32 v37, v9, v66
	v_add_f32_e32 v34, v34, v36
	v_add_f32_e32 v2, v2, v3
	v_mul_f32_e32 v3, v11, v55
	s_waitcnt vmcnt(33)
	v_fmac_f32_e32 v38, v11, v67
	v_add_f32_e32 v34, v34, v37
	v_fma_f32 v3, v10, v67, -v3
	s_waitcnt vmcnt(32)
	v_fmac_f32_e32 v39, v13, v68
	v_add_f32_e32 v34, v34, v38
	v_add_f32_e32 v2, v2, v3
	v_mul_f32_e32 v3, v13, v56
	s_waitcnt vmcnt(31)
	v_fmac_f32_e32 v40, v15, v69
	v_add_f32_e32 v34, v34, v39
	v_fma_f32 v3, v12, v68, -v3
	s_waitcnt vmcnt(30)
	;; [unrolled: 9-line block ×3, first 2 shown]
	v_fmac_f32_e32 v43, v21, v72
	v_add_f32_e32 v34, v34, v42
	v_add_f32_e32 v2, v2, v3
	v_mul_f32_e32 v3, v17, v58
	s_waitcnt vmcnt(27)
	v_fmac_f32_e32 v44, v27, v73
	v_add_f32_e32 v34, v34, v43
	v_fma_f32 v3, v16, v70, -v3
	v_add_f32_e32 v34, v34, v44
	s_waitcnt vmcnt(26)
	v_fmac_f32_e32 v45, v29, v74
	v_add_f32_e32 v2, v2, v3
	v_mul_f32_e32 v3, v19, v59
	v_add_f32_e32 v38, v34, v45
	ds_read_b128 v[34:37], v1 offset:912
	v_fma_f32 v3, v18, v71, -v3
	s_waitcnt vmcnt(25) lgkmcnt(1)
	v_mul_f32_e32 v39, v30, v75
	v_add_f32_e32 v2, v2, v3
	v_mul_f32_e32 v3, v21, v60
	s_waitcnt vmcnt(24)
	v_fmac_f32_e32 v39, v31, v76
	v_fma_f32 v3, v20, v72, -v3
	v_add_f32_e32 v38, v38, v39
	s_waitcnt vmcnt(23)
	v_mul_f32_e32 v39, v32, v77
	v_add_f32_e32 v2, v2, v3
	v_mul_f32_e32 v3, v27, v61
	s_waitcnt vmcnt(22)
	v_fmac_f32_e32 v39, v33, v78
	v_fma_f32 v3, v26, v73, -v3
	v_add_f32_e32 v38, v38, v39
	s_waitcnt vmcnt(21) lgkmcnt(0)
	v_mul_f32_e32 v39, v34, v79
	v_add_f32_e32 v2, v2, v3
	v_mul_f32_e32 v3, v29, v62
	s_waitcnt vmcnt(20)
	v_fmac_f32_e32 v39, v35, v80
	v_fma_f32 v3, v28, v74, -v3
	v_add_f32_e32 v42, v38, v39
	ds_read_b128 v[38:41], v1 offset:928
	v_add_f32_e32 v2, v2, v3
	v_mul_f32_e32 v3, v31, v75
	v_fma_f32 v3, v30, v76, -v3
	s_waitcnt vmcnt(19)
	v_mul_f32_e32 v43, v36, v81
	v_add_f32_e32 v2, v2, v3
	v_mul_f32_e32 v3, v33, v77
	s_waitcnt vmcnt(18)
	v_fmac_f32_e32 v43, v37, v82
	v_fma_f32 v3, v32, v78, -v3
	v_add_f32_e32 v46, v42, v43
	ds_read_b128 v[42:45], v1 offset:944
	v_add_f32_e32 v2, v2, v3
	v_mul_f32_e32 v3, v35, v79
	s_waitcnt vmcnt(17) lgkmcnt(1)
	v_mul_f32_e32 v47, v38, v83
	v_fma_f32 v3, v34, v80, -v3
	s_waitcnt vmcnt(16)
	v_fmac_f32_e32 v47, v39, v84
	v_add_f32_e32 v2, v2, v3
	v_mul_f32_e32 v3, v37, v81
	v_add_f32_e32 v46, v46, v47
	s_waitcnt vmcnt(15)
	v_mul_f32_e32 v47, v40, v85
	v_fma_f32 v3, v36, v82, -v3
	s_waitcnt vmcnt(14)
	v_fmac_f32_e32 v47, v41, v86
	v_add_f32_e32 v2, v2, v3
	v_mul_f32_e32 v3, v39, v83
	v_add_f32_e32 v46, v46, v47
	s_waitcnt vmcnt(13) lgkmcnt(0)
	v_mul_f32_e32 v47, v42, v87
	v_fma_f32 v3, v38, v84, -v3
	s_waitcnt vmcnt(12)
	v_fmac_f32_e32 v47, v43, v88
	v_add_f32_e32 v2, v2, v3
	v_mul_f32_e32 v3, v41, v85
	v_add_f32_e32 v50, v46, v47
	ds_read_b128 v[46:49], v1 offset:960
	v_fma_f32 v3, v40, v86, -v3
	v_add_f32_e32 v2, v2, v3
	v_mul_f32_e32 v3, v43, v87
	s_waitcnt vmcnt(11)
	v_mul_f32_e32 v51, v44, v89
	v_fma_f32 v3, v42, v88, -v3
	s_waitcnt vmcnt(10)
	v_fmac_f32_e32 v51, v45, v90
	v_add_f32_e32 v2, v2, v3
	v_mul_f32_e32 v3, v45, v89
	v_add_f32_e32 v101, v50, v51
	ds_read_b128 v[50:53], v1 offset:976
	v_fma_f32 v3, v44, v90, -v3
	v_add_f32_e32 v2, v2, v3
	s_waitcnt vmcnt(7) lgkmcnt(1)
	v_mul_f32_e32 v3, v47, v93
	v_mul_f32_e32 v1, v46, v93
	s_waitcnt vmcnt(6)
	v_fma_f32 v3, v46, v94, -v3
	v_fmac_f32_e32 v1, v47, v94
	v_add_f32_e32 v2, v2, v3
	s_waitcnt vmcnt(4)
	v_mul_f32_e32 v3, v49, v96
	v_add_f32_e32 v1, v101, v1
	v_mul_f32_e32 v101, v48, v96
	v_fma_f32 v3, v48, v95, -v3
	v_fmac_f32_e32 v101, v49, v95
	v_add_f32_e32 v2, v2, v3
	s_waitcnt vmcnt(2) lgkmcnt(0)
	v_mul_f32_e32 v3, v51, v98
	v_add_f32_e32 v1, v1, v101
	v_mul_f32_e32 v101, v50, v98
	v_fma_f32 v3, v50, v97, -v3
	v_fmac_f32_e32 v101, v51, v97
	v_add_f32_e32 v2, v2, v3
	s_waitcnt vmcnt(0)
	v_mul_f32_e32 v3, v53, v100
	v_add_f32_e32 v1, v1, v101
	v_mul_f32_e32 v101, v52, v100
	v_fma_f32 v3, v52, v99, -v3
	v_fmac_f32_e32 v101, v53, v99
	v_add_f32_e32 v2, v2, v3
	v_add_f32_e32 v1, v1, v101
	v_sub_f32_e32 v2, v91, v2
	v_sub_f32_e32 v1, v92, v1
	buffer_store_dword v2, off, s[0:3], 0 offset:296
	buffer_store_dword v1, off, s[0:3], 0 offset:300
	s_and_saveexec_b64 s[4:5], vcc
	s_cbranch_execz .LBB61_313
; %bb.312:
	buffer_load_dword v1, off, s[0:3], 0 offset:288
	buffer_load_dword v2, off, s[0:3], 0 offset:292
	v_mov_b32_e32 v3, 0
	buffer_store_dword v3, off, s[0:3], 0 offset:288
	buffer_store_dword v3, off, s[0:3], 0 offset:292
	s_waitcnt vmcnt(2)
	ds_write_b64 v25, v[1:2]
.LBB61_313:
	s_or_b64 exec, exec, s[4:5]
	s_waitcnt lgkmcnt(0)
	; wave barrier
	buffer_load_dword v24, off, s[0:3], 0 offset:300
	buffer_load_dword v54, off, s[0:3], 0 offset:308
	;; [unrolled: 1-line block ×52, first 2 shown]
	v_mov_b32_e32 v1, 0
	ds_read2_b64 v[2:5], v1 offset0:99 offset1:100
	ds_read2_b64 v[6:9], v1 offset0:101 offset1:102
	;; [unrolled: 1-line block ×8, first 2 shown]
	v_cmp_lt_u32_e32 vcc, 35, v0
	ds_read2_b64 v[42:45], v1 offset0:117 offset1:118
	s_waitcnt vmcnt(51) lgkmcnt(8)
	v_mul_f32_e32 v22, v2, v24
	s_waitcnt vmcnt(50)
	v_mul_f32_e32 v23, v4, v54
	s_waitcnt vmcnt(49) lgkmcnt(7)
	v_mul_f32_e32 v30, v6, v55
	s_waitcnt vmcnt(48)
	v_mul_f32_e32 v31, v8, v56
	;; [unrolled: 4-line block ×5, first 2 shown]
	s_waitcnt vmcnt(41) lgkmcnt(3)
	v_mul_f32_e32 v38, v26, v63
	s_waitcnt vmcnt(40)
	v_fmac_f32_e32 v22, v3, v64
	v_mul_f32_e32 v3, v3, v24
	v_fma_f32 v2, v2, v64, -v3
	v_mul_f32_e32 v3, v5, v54
	v_add_f32_e32 v2, 0, v2
	s_waitcnt vmcnt(39)
	v_fma_f32 v3, v4, v65, -v3
	v_add_f32_e32 v2, v2, v3
	v_mul_f32_e32 v3, v7, v55
	s_waitcnt vmcnt(38)
	v_fma_f32 v3, v6, v66, -v3
	v_add_f32_e32 v2, v2, v3
	v_mul_f32_e32 v3, v9, v56
	;; [unrolled: 4-line block ×4, first 2 shown]
	s_waitcnt vmcnt(35)
	v_fma_f32 v3, v12, v69, -v3
	v_fmac_f32_e32 v23, v5, v65
	v_add_f32_e32 v22, 0, v22
	v_add_f32_e32 v2, v2, v3
	v_mul_f32_e32 v3, v15, v59
	v_fmac_f32_e32 v30, v7, v66
	v_add_f32_e32 v22, v22, v23
	s_waitcnt vmcnt(34)
	v_fma_f32 v3, v14, v70, -v3
	v_fmac_f32_e32 v31, v9, v67
	v_add_f32_e32 v22, v22, v30
	v_add_f32_e32 v2, v2, v3
	v_mul_f32_e32 v3, v17, v60
	v_fmac_f32_e32 v32, v11, v68
	v_add_f32_e32 v22, v22, v31
	;; [unrolled: 8-line block ×3, first 2 shown]
	s_waitcnt vmcnt(32)
	v_fma_f32 v3, v18, v72, -v3
	v_fmac_f32_e32 v35, v17, v71
	v_add_f32_e32 v22, v22, v34
	ds_read2_b64 v[30:33], v1 offset0:111 offset1:112
	v_add_f32_e32 v2, v2, v3
	v_mul_f32_e32 v3, v21, v62
	v_fmac_f32_e32 v36, v19, v72
	v_add_f32_e32 v22, v22, v35
	s_waitcnt vmcnt(31)
	v_fma_f32 v3, v20, v73, -v3
	v_fmac_f32_e32 v37, v21, v73
	v_add_f32_e32 v22, v22, v36
	v_add_f32_e32 v2, v2, v3
	v_mul_f32_e32 v3, v27, v63
	v_add_f32_e32 v22, v22, v37
	s_waitcnt vmcnt(30)
	v_fmac_f32_e32 v38, v27, v74
	s_waitcnt vmcnt(29)
	v_mul_f32_e32 v23, v28, v75
	v_fma_f32 v3, v26, v74, -v3
	v_add_f32_e32 v22, v22, v38
	s_waitcnt vmcnt(28)
	v_fmac_f32_e32 v23, v29, v76
	ds_read2_b64 v[34:37], v1 offset0:113 offset1:114
	v_add_f32_e32 v2, v2, v3
	v_mul_f32_e32 v3, v29, v75
	v_add_f32_e32 v22, v22, v23
	s_waitcnt vmcnt(27) lgkmcnt(1)
	v_mul_f32_e32 v23, v30, v77
	v_fma_f32 v3, v28, v76, -v3
	s_waitcnt vmcnt(26)
	v_fmac_f32_e32 v23, v31, v78
	v_add_f32_e32 v2, v2, v3
	v_mul_f32_e32 v3, v31, v77
	v_add_f32_e32 v22, v22, v23
	s_waitcnt vmcnt(25)
	v_mul_f32_e32 v23, v32, v79
	v_fma_f32 v3, v30, v78, -v3
	s_waitcnt vmcnt(24)
	v_fmac_f32_e32 v23, v33, v80
	ds_read2_b64 v[38:41], v1 offset0:115 offset1:116
	v_add_f32_e32 v2, v2, v3
	v_mul_f32_e32 v3, v33, v79
	v_add_f32_e32 v22, v22, v23
	s_waitcnt vmcnt(23) lgkmcnt(1)
	v_mul_f32_e32 v23, v34, v81
	v_fma_f32 v3, v32, v80, -v3
	s_waitcnt vmcnt(22)
	v_fmac_f32_e32 v23, v35, v82
	v_add_f32_e32 v2, v2, v3
	v_mul_f32_e32 v3, v35, v81
	v_add_f32_e32 v22, v22, v23
	s_waitcnt vmcnt(21)
	v_mul_f32_e32 v23, v36, v83
	v_fma_f32 v3, v34, v82, -v3
	s_waitcnt vmcnt(20)
	v_fmac_f32_e32 v23, v37, v84
	v_add_f32_e32 v2, v2, v3
	v_mul_f32_e32 v3, v37, v83
	v_add_f32_e32 v22, v22, v23
	s_waitcnt vmcnt(19) lgkmcnt(0)
	v_mul_f32_e32 v23, v38, v85
	v_fma_f32 v3, v36, v84, -v3
	s_waitcnt vmcnt(18)
	v_fmac_f32_e32 v23, v39, v86
	v_add_f32_e32 v2, v2, v3
	v_mul_f32_e32 v3, v39, v85
	v_add_f32_e32 v22, v22, v23
	s_waitcnt vmcnt(17)
	v_mul_f32_e32 v23, v40, v87
	v_fma_f32 v3, v38, v86, -v3
	s_waitcnt vmcnt(16)
	v_fmac_f32_e32 v23, v41, v88
	v_add_f32_e32 v2, v2, v3
	v_mul_f32_e32 v3, v41, v87
	v_add_f32_e32 v22, v22, v23
	s_waitcnt vmcnt(14)
	v_mul_f32_e32 v23, v42, v90
	v_fma_f32 v3, v40, v88, -v3
	v_fmac_f32_e32 v23, v43, v89
	v_add_f32_e32 v2, v2, v3
	v_mul_f32_e32 v3, v43, v90
	v_add_f32_e32 v22, v22, v23
	s_waitcnt vmcnt(11)
	v_mul_f32_e32 v23, v44, v93
	v_fma_f32 v3, v42, v89, -v3
	s_waitcnt vmcnt(10)
	v_fmac_f32_e32 v23, v45, v94
	v_add_f32_e32 v2, v2, v3
	v_mul_f32_e32 v3, v45, v93
	v_add_f32_e32 v22, v22, v23
	s_waitcnt vmcnt(8)
	v_mul_f32_e32 v23, v46, v96
	v_fma_f32 v3, v44, v94, -v3
	v_fmac_f32_e32 v23, v47, v95
	v_add_f32_e32 v2, v2, v3
	v_mul_f32_e32 v3, v47, v96
	v_add_f32_e32 v22, v22, v23
	s_waitcnt vmcnt(6)
	v_mul_f32_e32 v23, v48, v98
	v_fma_f32 v3, v46, v95, -v3
	v_fmac_f32_e32 v23, v49, v97
	v_add_f32_e32 v2, v2, v3
	v_mul_f32_e32 v3, v49, v98
	v_add_f32_e32 v105, v22, v23
	ds_read_b64 v[22:23], v1 offset:984
	v_fma_f32 v3, v48, v97, -v3
	v_add_f32_e32 v2, v2, v3
	s_waitcnt vmcnt(4)
	v_mul_f32_e32 v3, v51, v100
	v_mul_f32_e32 v106, v50, v100
	v_fma_f32 v3, v50, v99, -v3
	v_fmac_f32_e32 v106, v51, v99
	v_add_f32_e32 v2, v2, v3
	s_waitcnt vmcnt(2)
	v_mul_f32_e32 v3, v53, v102
	v_add_f32_e32 v105, v105, v106
	v_mul_f32_e32 v106, v52, v102
	v_fma_f32 v3, v52, v101, -v3
	v_fmac_f32_e32 v106, v53, v101
	v_add_f32_e32 v2, v2, v3
	s_waitcnt vmcnt(0) lgkmcnt(0)
	v_mul_f32_e32 v3, v23, v104
	v_add_f32_e32 v105, v105, v106
	v_mul_f32_e32 v106, v22, v104
	v_fma_f32 v3, v22, v103, -v3
	v_fmac_f32_e32 v106, v23, v103
	v_add_f32_e32 v2, v2, v3
	v_add_f32_e32 v105, v105, v106
	v_sub_f32_e32 v2, v91, v2
	v_sub_f32_e32 v3, v92, v105
	buffer_store_dword v2, off, s[0:3], 0 offset:288
	buffer_store_dword v3, off, s[0:3], 0 offset:292
	s_and_saveexec_b64 s[4:5], vcc
	s_cbranch_execz .LBB61_315
; %bb.314:
	buffer_load_dword v2, off, s[0:3], 0 offset:280
	buffer_load_dword v3, off, s[0:3], 0 offset:284
	s_waitcnt vmcnt(0)
	ds_write_b64 v25, v[2:3]
	buffer_store_dword v1, off, s[0:3], 0 offset:280
	buffer_store_dword v1, off, s[0:3], 0 offset:284
.LBB61_315:
	s_or_b64 exec, exec, s[4:5]
	s_waitcnt lgkmcnt(0)
	; wave barrier
	buffer_load_dword v22, off, s[0:3], 0 offset:292
	buffer_load_dword v23, off, s[0:3], 0 offset:300
	;; [unrolled: 1-line block ×42, first 2 shown]
	ds_read_b128 v[2:5], v1 offset:784
	ds_read_b128 v[6:9], v1 offset:800
	;; [unrolled: 1-line block ×4, first 2 shown]
	buffer_load_dword v97, off, s[0:3], 0 offset:452
	buffer_load_dword v98, off, s[0:3], 0 offset:448
	;; [unrolled: 1-line block ×6, first 2 shown]
	ds_read_b128 v[18:21], v1 offset:848
	ds_read_b128 v[26:29], v1 offset:864
	buffer_load_dword v103, off, s[0:3], 0 offset:472
	buffer_load_dword v104, off, s[0:3], 0 offset:476
	;; [unrolled: 1-line block ×6, first 2 shown]
	v_cmp_lt_u32_e32 vcc, 34, v0
	s_waitcnt vmcnt(53) lgkmcnt(5)
	v_mul_f32_e32 v30, v2, v22
	s_waitcnt vmcnt(52)
	v_mul_f32_e32 v31, v4, v23
	s_waitcnt vmcnt(51) lgkmcnt(4)
	v_mul_f32_e32 v32, v6, v24
	s_waitcnt vmcnt(50)
	v_mul_f32_e32 v33, v8, v58
	;; [unrolled: 4-line block ×5, first 2 shown]
	s_waitcnt vmcnt(43)
	v_fmac_f32_e32 v30, v3, v65
	v_mul_f32_e32 v3, v3, v22
	s_waitcnt vmcnt(42)
	v_fmac_f32_e32 v31, v5, v66
	v_add_f32_e32 v30, 0, v30
	v_fma_f32 v2, v2, v65, -v3
	v_mul_f32_e32 v3, v5, v23
	s_waitcnt vmcnt(41)
	v_fmac_f32_e32 v32, v7, v67
	v_add_f32_e32 v30, v30, v31
	v_add_f32_e32 v2, 0, v2
	v_fma_f32 v3, v4, v66, -v3
	s_waitcnt vmcnt(40)
	v_fmac_f32_e32 v33, v9, v68
	v_add_f32_e32 v30, v30, v32
	v_add_f32_e32 v2, v2, v3
	v_mul_f32_e32 v3, v7, v24
	s_waitcnt vmcnt(39)
	v_fmac_f32_e32 v34, v11, v69
	v_add_f32_e32 v30, v30, v33
	v_fma_f32 v3, v6, v67, -v3
	s_waitcnt vmcnt(38)
	v_fmac_f32_e32 v35, v13, v70
	v_add_f32_e32 v30, v30, v34
	v_add_f32_e32 v2, v2, v3
	v_mul_f32_e32 v3, v9, v58
	s_waitcnt vmcnt(37)
	v_fmac_f32_e32 v36, v15, v71
	;; [unrolled: 9-line block ×3, first 2 shown]
	v_add_f32_e32 v30, v30, v37
	v_fma_f32 v3, v10, v69, -v3
	s_waitcnt vmcnt(34)
	v_fmac_f32_e32 v39, v21, v74
	v_add_f32_e32 v30, v30, v38
	s_waitcnt vmcnt(33) lgkmcnt(0)
	v_mul_f32_e32 v31, v26, v75
	v_add_f32_e32 v2, v2, v3
	v_mul_f32_e32 v3, v13, v60
	v_add_f32_e32 v30, v30, v39
	s_waitcnt vmcnt(32)
	v_fmac_f32_e32 v31, v27, v76
	v_fma_f32 v3, v12, v70, -v3
	v_add_f32_e32 v34, v30, v31
	ds_read_b128 v[30:33], v1 offset:880
	v_add_f32_e32 v2, v2, v3
	v_mul_f32_e32 v3, v15, v61
	v_fma_f32 v3, v14, v71, -v3
	s_waitcnt vmcnt(31)
	v_mul_f32_e32 v35, v28, v77
	v_add_f32_e32 v2, v2, v3
	v_mul_f32_e32 v3, v17, v62
	s_waitcnt vmcnt(30)
	v_fmac_f32_e32 v35, v29, v78
	v_fma_f32 v3, v16, v72, -v3
	v_add_f32_e32 v38, v34, v35
	ds_read_b128 v[34:37], v1 offset:896
	v_add_f32_e32 v2, v2, v3
	v_mul_f32_e32 v3, v19, v63
	s_waitcnt vmcnt(29) lgkmcnt(1)
	v_mul_f32_e32 v39, v30, v79
	v_fma_f32 v3, v18, v73, -v3
	s_waitcnt vmcnt(28)
	v_fmac_f32_e32 v39, v31, v80
	v_add_f32_e32 v2, v2, v3
	v_mul_f32_e32 v3, v21, v64
	v_add_f32_e32 v38, v38, v39
	s_waitcnt vmcnt(27)
	v_mul_f32_e32 v39, v32, v81
	v_fma_f32 v3, v20, v74, -v3
	s_waitcnt vmcnt(26)
	v_fmac_f32_e32 v39, v33, v82
	v_add_f32_e32 v2, v2, v3
	v_mul_f32_e32 v3, v27, v75
	v_add_f32_e32 v38, v38, v39
	s_waitcnt vmcnt(25) lgkmcnt(0)
	v_mul_f32_e32 v39, v34, v83
	v_fma_f32 v3, v26, v76, -v3
	s_waitcnt vmcnt(24)
	v_fmac_f32_e32 v39, v35, v84
	v_add_f32_e32 v2, v2, v3
	v_mul_f32_e32 v3, v29, v77
	v_add_f32_e32 v42, v38, v39
	ds_read_b128 v[38:41], v1 offset:912
	v_fma_f32 v3, v28, v78, -v3
	v_add_f32_e32 v2, v2, v3
	v_mul_f32_e32 v3, v31, v79
	s_waitcnt vmcnt(23)
	v_mul_f32_e32 v43, v36, v85
	v_fma_f32 v3, v30, v80, -v3
	s_waitcnt vmcnt(22)
	v_fmac_f32_e32 v43, v37, v86
	v_add_f32_e32 v2, v2, v3
	v_mul_f32_e32 v3, v33, v81
	v_add_f32_e32 v46, v42, v43
	ds_read_b128 v[42:45], v1 offset:928
	v_fma_f32 v3, v32, v82, -v3
	s_waitcnt vmcnt(21) lgkmcnt(1)
	v_mul_f32_e32 v47, v38, v87
	v_add_f32_e32 v2, v2, v3
	v_mul_f32_e32 v3, v35, v83
	s_waitcnt vmcnt(20)
	v_fmac_f32_e32 v47, v39, v88
	v_fma_f32 v3, v34, v84, -v3
	v_add_f32_e32 v46, v46, v47
	s_waitcnt vmcnt(18)
	v_mul_f32_e32 v47, v40, v90
	v_add_f32_e32 v2, v2, v3
	v_mul_f32_e32 v3, v37, v85
	v_fmac_f32_e32 v47, v41, v89
	v_fma_f32 v3, v36, v86, -v3
	v_add_f32_e32 v46, v46, v47
	s_waitcnt vmcnt(15) lgkmcnt(0)
	v_mul_f32_e32 v47, v42, v93
	v_add_f32_e32 v2, v2, v3
	v_mul_f32_e32 v3, v39, v87
	s_waitcnt vmcnt(14)
	v_fmac_f32_e32 v47, v43, v94
	v_fma_f32 v3, v38, v88, -v3
	v_add_f32_e32 v50, v46, v47
	ds_read_b128 v[46:49], v1 offset:944
	v_add_f32_e32 v2, v2, v3
	v_mul_f32_e32 v3, v41, v90
	v_fma_f32 v3, v40, v89, -v3
	v_add_f32_e32 v2, v2, v3
	v_mul_f32_e32 v3, v43, v93
	s_waitcnt vmcnt(12)
	v_mul_f32_e32 v51, v44, v96
	v_fma_f32 v3, v42, v94, -v3
	v_fmac_f32_e32 v51, v45, v95
	v_add_f32_e32 v2, v2, v3
	v_mul_f32_e32 v3, v45, v96
	v_add_f32_e32 v54, v50, v51
	ds_read_b128 v[50:53], v1 offset:960
	s_waitcnt vmcnt(11) lgkmcnt(1)
	v_mul_f32_e32 v55, v46, v97
	v_fma_f32 v3, v44, v95, -v3
	s_waitcnt vmcnt(10)
	v_fmac_f32_e32 v55, v47, v98
	v_add_f32_e32 v2, v2, v3
	v_mul_f32_e32 v3, v47, v97
	v_add_f32_e32 v54, v54, v55
	s_waitcnt vmcnt(8)
	v_mul_f32_e32 v55, v48, v100
	v_fma_f32 v3, v46, v98, -v3
	v_fmac_f32_e32 v55, v49, v99
	v_add_f32_e32 v2, v2, v3
	v_mul_f32_e32 v3, v49, v100
	v_add_f32_e32 v109, v54, v55
	ds_read_b128 v[54:57], v1 offset:976
	v_fma_f32 v3, v48, v99, -v3
	v_add_f32_e32 v2, v2, v3
	s_waitcnt vmcnt(6) lgkmcnt(1)
	v_mul_f32_e32 v3, v51, v102
	v_mul_f32_e32 v110, v50, v102
	v_fma_f32 v3, v50, v101, -v3
	v_fmac_f32_e32 v110, v51, v101
	v_add_f32_e32 v2, v2, v3
	s_waitcnt vmcnt(4)
	v_mul_f32_e32 v3, v53, v104
	v_add_f32_e32 v1, v109, v110
	v_mul_f32_e32 v109, v52, v104
	v_fma_f32 v3, v52, v103, -v3
	v_fmac_f32_e32 v109, v53, v103
	v_add_f32_e32 v2, v2, v3
	s_waitcnt vmcnt(2) lgkmcnt(0)
	v_mul_f32_e32 v3, v55, v106
	v_add_f32_e32 v1, v1, v109
	v_mul_f32_e32 v109, v54, v106
	v_fma_f32 v3, v54, v105, -v3
	v_fmac_f32_e32 v109, v55, v105
	v_add_f32_e32 v2, v2, v3
	s_waitcnt vmcnt(0)
	v_mul_f32_e32 v3, v57, v108
	v_add_f32_e32 v1, v1, v109
	v_mul_f32_e32 v109, v56, v108
	v_fma_f32 v3, v56, v107, -v3
	v_fmac_f32_e32 v109, v57, v107
	v_add_f32_e32 v2, v2, v3
	v_add_f32_e32 v1, v1, v109
	v_sub_f32_e32 v2, v91, v2
	v_sub_f32_e32 v1, v92, v1
	buffer_store_dword v2, off, s[0:3], 0 offset:280
	buffer_store_dword v1, off, s[0:3], 0 offset:284
	s_and_saveexec_b64 s[4:5], vcc
	s_cbranch_execz .LBB61_317
; %bb.316:
	buffer_load_dword v1, off, s[0:3], 0 offset:272
	buffer_load_dword v2, off, s[0:3], 0 offset:276
	v_mov_b32_e32 v3, 0
	buffer_store_dword v3, off, s[0:3], 0 offset:272
	buffer_store_dword v3, off, s[0:3], 0 offset:276
	s_waitcnt vmcnt(2)
	ds_write_b64 v25, v[1:2]
.LBB61_317:
	s_or_b64 exec, exec, s[4:5]
	s_waitcnt lgkmcnt(0)
	; wave barrier
	buffer_load_dword v24, off, s[0:3], 0 offset:284
	buffer_load_dword v58, off, s[0:3], 0 offset:292
	buffer_load_dword v59, off, s[0:3], 0 offset:300
	buffer_load_dword v60, off, s[0:3], 0 offset:308
	buffer_load_dword v61, off, s[0:3], 0 offset:316
	buffer_load_dword v62, off, s[0:3], 0 offset:324
	buffer_load_dword v63, off, s[0:3], 0 offset:332
	buffer_load_dword v64, off, s[0:3], 0 offset:340
	buffer_load_dword v65, off, s[0:3], 0 offset:348
	buffer_load_dword v66, off, s[0:3], 0 offset:280
	buffer_load_dword v67, off, s[0:3], 0 offset:288
	buffer_load_dword v68, off, s[0:3], 0 offset:296
	buffer_load_dword v69, off, s[0:3], 0 offset:304
	buffer_load_dword v70, off, s[0:3], 0 offset:312
	buffer_load_dword v71, off, s[0:3], 0 offset:320
	buffer_load_dword v72, off, s[0:3], 0 offset:328
	buffer_load_dword v73, off, s[0:3], 0 offset:336
	buffer_load_dword v74, off, s[0:3], 0 offset:344
	buffer_load_dword v75, off, s[0:3], 0 offset:356
	buffer_load_dword v76, off, s[0:3], 0 offset:352
	buffer_load_dword v77, off, s[0:3], 0 offset:364
	buffer_load_dword v78, off, s[0:3], 0 offset:360
	buffer_load_dword v79, off, s[0:3], 0 offset:372
	buffer_load_dword v80, off, s[0:3], 0 offset:368
	buffer_load_dword v81, off, s[0:3], 0 offset:380
	buffer_load_dword v82, off, s[0:3], 0 offset:376
	buffer_load_dword v83, off, s[0:3], 0 offset:388
	buffer_load_dword v84, off, s[0:3], 0 offset:384
	buffer_load_dword v85, off, s[0:3], 0 offset:396
	buffer_load_dword v86, off, s[0:3], 0 offset:392
	buffer_load_dword v87, off, s[0:3], 0 offset:400
	buffer_load_dword v88, off, s[0:3], 0 offset:404
	buffer_load_dword v89, off, s[0:3], 0 offset:272
	buffer_load_dword v90, off, s[0:3], 0 offset:276
	buffer_load_dword v91, off, s[0:3], 0 offset:412
	buffer_load_dword v92, off, s[0:3], 0 offset:408
	buffer_load_dword v93, off, s[0:3], 0 offset:416
	buffer_load_dword v94, off, s[0:3], 0 offset:420
	buffer_load_dword v95, off, s[0:3], 0 offset:424
	buffer_load_dword v96, off, s[0:3], 0 offset:428
	buffer_load_dword v97, off, s[0:3], 0 offset:432
	buffer_load_dword v98, off, s[0:3], 0 offset:436
	buffer_load_dword v99, off, s[0:3], 0 offset:440
	buffer_load_dword v100, off, s[0:3], 0 offset:444
	buffer_load_dword v101, off, s[0:3], 0 offset:448
	buffer_load_dword v102, off, s[0:3], 0 offset:452
	buffer_load_dword v103, off, s[0:3], 0 offset:456
	buffer_load_dword v104, off, s[0:3], 0 offset:460
	buffer_load_dword v105, off, s[0:3], 0 offset:464
	buffer_load_dword v106, off, s[0:3], 0 offset:468
	buffer_load_dword v107, off, s[0:3], 0 offset:472
	buffer_load_dword v108, off, s[0:3], 0 offset:476
	buffer_load_dword v109, off, s[0:3], 0 offset:480
	buffer_load_dword v110, off, s[0:3], 0 offset:484
	buffer_load_dword v111, off, s[0:3], 0 offset:488
	buffer_load_dword v112, off, s[0:3], 0 offset:492
	v_mov_b32_e32 v1, 0
	ds_read2_b64 v[2:5], v1 offset0:97 offset1:98
	ds_read2_b64 v[6:9], v1 offset0:99 offset1:100
	ds_read2_b64 v[10:13], v1 offset0:101 offset1:102
	ds_read2_b64 v[14:17], v1 offset0:103 offset1:104
	ds_read2_b64 v[18:21], v1 offset0:105 offset1:106
	ds_read2_b64 v[26:29], v1 offset0:107 offset1:108
	ds_read2_b64 v[38:41], v1 offset0:113 offset1:114
	ds_read2_b64 v[42:45], v1 offset0:115 offset1:116
	ds_read2_b64 v[46:49], v1 offset0:117 offset1:118
	ds_read2_b64 v[50:53], v1 offset0:119 offset1:120
	ds_read2_b64 v[54:57], v1 offset0:121 offset1:122
	v_cmp_lt_u32_e32 vcc, 33, v0
	s_waitcnt vmcnt(55) lgkmcnt(10)
	v_mul_f32_e32 v22, v2, v24
	s_waitcnt vmcnt(54)
	v_mul_f32_e32 v23, v4, v58
	s_waitcnt vmcnt(53) lgkmcnt(9)
	v_mul_f32_e32 v30, v6, v59
	s_waitcnt vmcnt(52)
	v_mul_f32_e32 v31, v8, v60
	;; [unrolled: 4-line block ×4, first 2 shown]
	s_waitcnt vmcnt(47) lgkmcnt(6)
	v_mul_f32_e32 v36, v18, v65
	s_waitcnt vmcnt(46)
	v_fmac_f32_e32 v22, v3, v66
	v_mul_f32_e32 v3, v3, v24
	v_fma_f32 v2, v2, v66, -v3
	v_mul_f32_e32 v3, v5, v58
	v_add_f32_e32 v2, 0, v2
	s_waitcnt vmcnt(45)
	v_fma_f32 v3, v4, v67, -v3
	v_add_f32_e32 v2, v2, v3
	v_mul_f32_e32 v3, v7, v59
	s_waitcnt vmcnt(44)
	v_fma_f32 v3, v6, v68, -v3
	v_add_f32_e32 v2, v2, v3
	v_mul_f32_e32 v3, v9, v60
	;; [unrolled: 4-line block ×3, first 2 shown]
	s_waitcnt vmcnt(42)
	v_fma_f32 v3, v10, v70, -v3
	v_fmac_f32_e32 v23, v5, v67
	v_add_f32_e32 v22, 0, v22
	v_add_f32_e32 v2, v2, v3
	v_mul_f32_e32 v3, v13, v62
	v_fmac_f32_e32 v30, v7, v68
	v_add_f32_e32 v22, v22, v23
	s_waitcnt vmcnt(41)
	v_fma_f32 v3, v12, v71, -v3
	v_fmac_f32_e32 v31, v9, v69
	v_add_f32_e32 v22, v22, v30
	v_add_f32_e32 v2, v2, v3
	v_mul_f32_e32 v3, v15, v63
	v_fmac_f32_e32 v32, v11, v70
	v_add_f32_e32 v22, v22, v31
	s_waitcnt vmcnt(40)
	v_fma_f32 v3, v14, v72, -v3
	v_fmac_f32_e32 v33, v13, v71
	v_add_f32_e32 v22, v22, v32
	v_add_f32_e32 v2, v2, v3
	v_mul_f32_e32 v3, v17, v64
	v_fmac_f32_e32 v34, v15, v72
	v_add_f32_e32 v22, v22, v33
	s_waitcnt vmcnt(39)
	v_fma_f32 v3, v16, v73, -v3
	v_fmac_f32_e32 v35, v17, v73
	v_add_f32_e32 v22, v22, v34
	v_add_f32_e32 v2, v2, v3
	v_mul_f32_e32 v3, v19, v65
	v_add_f32_e32 v22, v22, v35
	s_waitcnt vmcnt(38)
	v_fmac_f32_e32 v36, v19, v74
	s_waitcnt vmcnt(37)
	v_mul_f32_e32 v23, v20, v75
	v_fma_f32 v3, v18, v74, -v3
	v_add_f32_e32 v22, v22, v36
	s_waitcnt vmcnt(36)
	v_fmac_f32_e32 v23, v21, v76
	ds_read2_b64 v[30:33], v1 offset0:109 offset1:110
	ds_read2_b64 v[34:37], v1 offset0:111 offset1:112
	v_add_f32_e32 v2, v2, v3
	v_mul_f32_e32 v3, v21, v75
	v_add_f32_e32 v22, v22, v23
	s_waitcnt vmcnt(35) lgkmcnt(7)
	v_mul_f32_e32 v23, v26, v77
	v_fma_f32 v3, v20, v76, -v3
	s_waitcnt vmcnt(34)
	v_fmac_f32_e32 v23, v27, v78
	v_add_f32_e32 v2, v2, v3
	v_mul_f32_e32 v3, v27, v77
	v_add_f32_e32 v22, v22, v23
	s_waitcnt vmcnt(33)
	v_mul_f32_e32 v23, v28, v79
	v_fma_f32 v3, v26, v78, -v3
	s_waitcnt vmcnt(32)
	v_fmac_f32_e32 v23, v29, v80
	v_add_f32_e32 v2, v2, v3
	v_mul_f32_e32 v3, v29, v79
	v_add_f32_e32 v22, v22, v23
	s_waitcnt vmcnt(31) lgkmcnt(1)
	v_mul_f32_e32 v23, v30, v81
	v_fma_f32 v3, v28, v80, -v3
	s_waitcnt vmcnt(30)
	v_fmac_f32_e32 v23, v31, v82
	v_add_f32_e32 v2, v2, v3
	v_mul_f32_e32 v3, v31, v81
	v_add_f32_e32 v22, v22, v23
	s_waitcnt vmcnt(29)
	v_mul_f32_e32 v23, v32, v83
	v_fma_f32 v3, v30, v82, -v3
	s_waitcnt vmcnt(28)
	v_fmac_f32_e32 v23, v33, v84
	v_add_f32_e32 v2, v2, v3
	v_mul_f32_e32 v3, v33, v83
	v_add_f32_e32 v22, v22, v23
	s_waitcnt vmcnt(27) lgkmcnt(0)
	v_mul_f32_e32 v23, v34, v85
	v_fma_f32 v3, v32, v84, -v3
	s_waitcnt vmcnt(26)
	v_fmac_f32_e32 v23, v35, v86
	v_add_f32_e32 v2, v2, v3
	v_mul_f32_e32 v3, v35, v85
	v_add_f32_e32 v22, v22, v23
	s_waitcnt vmcnt(24)
	v_mul_f32_e32 v23, v36, v88
	v_fma_f32 v3, v34, v86, -v3
	v_fmac_f32_e32 v23, v37, v87
	v_add_f32_e32 v2, v2, v3
	v_mul_f32_e32 v3, v37, v88
	v_add_f32_e32 v22, v22, v23
	s_waitcnt vmcnt(21)
	v_mul_f32_e32 v23, v38, v91
	v_fma_f32 v3, v36, v87, -v3
	s_waitcnt vmcnt(20)
	v_fmac_f32_e32 v23, v39, v92
	v_add_f32_e32 v2, v2, v3
	v_mul_f32_e32 v3, v39, v91
	v_add_f32_e32 v22, v22, v23
	s_waitcnt vmcnt(18)
	v_mul_f32_e32 v23, v40, v94
	v_fma_f32 v3, v38, v92, -v3
	v_fmac_f32_e32 v23, v41, v93
	v_add_f32_e32 v2, v2, v3
	v_mul_f32_e32 v3, v41, v94
	v_add_f32_e32 v22, v22, v23
	s_waitcnt vmcnt(16)
	v_mul_f32_e32 v23, v42, v96
	v_fma_f32 v3, v40, v93, -v3
	;; [unrolled: 7-line block ×7, first 2 shown]
	v_fmac_f32_e32 v23, v53, v105
	v_add_f32_e32 v2, v2, v3
	v_mul_f32_e32 v3, v53, v106
	v_add_f32_e32 v113, v22, v23
	ds_read_b64 v[22:23], v1 offset:984
	v_fma_f32 v3, v52, v105, -v3
	v_add_f32_e32 v2, v2, v3
	s_waitcnt vmcnt(4)
	v_mul_f32_e32 v3, v55, v108
	v_mul_f32_e32 v114, v54, v108
	v_fma_f32 v3, v54, v107, -v3
	v_fmac_f32_e32 v114, v55, v107
	v_add_f32_e32 v2, v2, v3
	s_waitcnt vmcnt(2)
	v_mul_f32_e32 v3, v57, v110
	v_add_f32_e32 v113, v113, v114
	v_mul_f32_e32 v114, v56, v110
	v_fma_f32 v3, v56, v109, -v3
	v_fmac_f32_e32 v114, v57, v109
	v_add_f32_e32 v2, v2, v3
	s_waitcnt vmcnt(0) lgkmcnt(0)
	v_mul_f32_e32 v3, v23, v112
	v_add_f32_e32 v113, v113, v114
	v_mul_f32_e32 v114, v22, v112
	v_fma_f32 v3, v22, v111, -v3
	v_fmac_f32_e32 v114, v23, v111
	v_add_f32_e32 v2, v2, v3
	v_add_f32_e32 v113, v113, v114
	v_sub_f32_e32 v2, v89, v2
	v_sub_f32_e32 v3, v90, v113
	buffer_store_dword v2, off, s[0:3], 0 offset:272
	buffer_store_dword v3, off, s[0:3], 0 offset:276
	s_and_saveexec_b64 s[4:5], vcc
	s_cbranch_execz .LBB61_319
; %bb.318:
	buffer_load_dword v2, off, s[0:3], 0 offset:264
	buffer_load_dword v3, off, s[0:3], 0 offset:268
	s_waitcnt vmcnt(0)
	ds_write_b64 v25, v[2:3]
	buffer_store_dword v1, off, s[0:3], 0 offset:264
	buffer_store_dword v1, off, s[0:3], 0 offset:268
.LBB61_319:
	s_or_b64 exec, exec, s[4:5]
	s_waitcnt lgkmcnt(0)
	; wave barrier
	buffer_load_dword v22, off, s[0:3], 0 offset:276
	buffer_load_dword v23, off, s[0:3], 0 offset:284
	;; [unrolled: 1-line block ×34, first 2 shown]
	ds_read_b128 v[2:5], v1 offset:768
	ds_read_b128 v[6:9], v1 offset:784
	buffer_load_dword v93, off, s[0:3], 0 offset:404
	buffer_load_dword v94, off, s[0:3], 0 offset:400
	;; [unrolled: 1-line block ×6, first 2 shown]
	ds_read_b128 v[10:13], v1 offset:800
	ds_read_b128 v[14:17], v1 offset:816
	;; [unrolled: 1-line block ×4, first 2 shown]
	buffer_load_dword v99, off, s[0:3], 0 offset:428
	buffer_load_dword v100, off, s[0:3], 0 offset:424
	;; [unrolled: 1-line block ×18, first 2 shown]
	v_cmp_lt_u32_e32 vcc, 32, v0
	s_waitcnt vmcnt(57) lgkmcnt(5)
	v_mul_f32_e32 v30, v2, v22
	s_waitcnt vmcnt(56)
	v_mul_f32_e32 v31, v4, v23
	s_waitcnt vmcnt(55) lgkmcnt(4)
	v_mul_f32_e32 v32, v6, v24
	s_waitcnt vmcnt(54)
	v_mul_f32_e32 v33, v8, v62
	;; [unrolled: 4-line block ×4, first 2 shown]
	s_waitcnt vmcnt(49)
	v_fmac_f32_e32 v30, v3, v67
	s_waitcnt vmcnt(48)
	v_fmac_f32_e32 v31, v5, v68
	v_add_f32_e32 v30, 0, v30
	s_waitcnt vmcnt(47)
	v_fmac_f32_e32 v32, v7, v69
	v_add_f32_e32 v30, v30, v31
	;; [unrolled: 3-line block ×4, first 2 shown]
	v_mul_f32_e32 v3, v3, v22
	s_waitcnt vmcnt(44)
	v_fmac_f32_e32 v35, v13, v72
	v_add_f32_e32 v30, v30, v34
	v_fma_f32 v2, v2, v67, -v3
	v_mul_f32_e32 v3, v5, v23
	s_waitcnt vmcnt(43)
	v_fmac_f32_e32 v36, v15, v73
	v_add_f32_e32 v30, v30, v35
	v_add_f32_e32 v2, 0, v2
	v_fma_f32 v3, v4, v68, -v3
	s_waitcnt vmcnt(42)
	v_fmac_f32_e32 v37, v17, v74
	v_add_f32_e32 v30, v30, v36
	s_waitcnt vmcnt(41) lgkmcnt(1)
	v_mul_f32_e32 v31, v18, v75
	v_add_f32_e32 v2, v2, v3
	v_mul_f32_e32 v3, v7, v24
	v_add_f32_e32 v30, v30, v37
	s_waitcnt vmcnt(40)
	v_fmac_f32_e32 v31, v19, v76
	v_fma_f32 v3, v6, v69, -v3
	v_add_f32_e32 v30, v30, v31
	s_waitcnt vmcnt(39)
	v_mul_f32_e32 v31, v20, v77
	v_add_f32_e32 v2, v2, v3
	v_mul_f32_e32 v3, v9, v62
	s_waitcnt vmcnt(38)
	v_fmac_f32_e32 v31, v21, v78
	v_fma_f32 v3, v8, v70, -v3
	v_add_f32_e32 v30, v30, v31
	s_waitcnt vmcnt(37) lgkmcnt(0)
	v_mul_f32_e32 v31, v26, v79
	v_add_f32_e32 v2, v2, v3
	v_mul_f32_e32 v3, v11, v63
	s_waitcnt vmcnt(36)
	v_fmac_f32_e32 v31, v27, v80
	v_fma_f32 v3, v10, v71, -v3
	v_add_f32_e32 v34, v30, v31
	ds_read_b128 v[30:33], v1 offset:864
	v_add_f32_e32 v2, v2, v3
	v_mul_f32_e32 v3, v13, v64
	v_fma_f32 v3, v12, v72, -v3
	s_waitcnt vmcnt(35)
	v_mul_f32_e32 v35, v28, v81
	v_add_f32_e32 v2, v2, v3
	v_mul_f32_e32 v3, v15, v65
	s_waitcnt vmcnt(34)
	v_fmac_f32_e32 v35, v29, v82
	v_fma_f32 v3, v14, v73, -v3
	v_add_f32_e32 v38, v34, v35
	ds_read_b128 v[34:37], v1 offset:880
	v_add_f32_e32 v2, v2, v3
	v_mul_f32_e32 v3, v17, v66
	s_waitcnt vmcnt(33) lgkmcnt(1)
	v_mul_f32_e32 v39, v30, v83
	v_fma_f32 v3, v16, v74, -v3
	s_waitcnt vmcnt(32)
	v_fmac_f32_e32 v39, v31, v84
	v_add_f32_e32 v2, v2, v3
	v_mul_f32_e32 v3, v19, v75
	v_add_f32_e32 v38, v38, v39
	s_waitcnt vmcnt(31)
	v_mul_f32_e32 v39, v32, v85
	v_fma_f32 v3, v18, v76, -v3
	s_waitcnt vmcnt(30)
	v_fmac_f32_e32 v39, v33, v86
	v_add_f32_e32 v2, v2, v3
	v_mul_f32_e32 v3, v21, v77
	v_add_f32_e32 v38, v38, v39
	s_waitcnt vmcnt(29) lgkmcnt(0)
	v_mul_f32_e32 v39, v34, v87
	v_fma_f32 v3, v20, v78, -v3
	s_waitcnt vmcnt(28)
	v_fmac_f32_e32 v39, v35, v88
	v_add_f32_e32 v2, v2, v3
	v_mul_f32_e32 v3, v27, v79
	v_add_f32_e32 v42, v38, v39
	ds_read_b128 v[38:41], v1 offset:896
	v_fma_f32 v3, v26, v80, -v3
	v_add_f32_e32 v2, v2, v3
	v_mul_f32_e32 v3, v29, v81
	s_waitcnt vmcnt(25)
	v_mul_f32_e32 v43, v36, v91
	v_fma_f32 v3, v28, v82, -v3
	s_waitcnt vmcnt(24)
	v_fmac_f32_e32 v43, v37, v92
	v_add_f32_e32 v2, v2, v3
	v_mul_f32_e32 v3, v31, v83
	v_add_f32_e32 v46, v42, v43
	ds_read_b128 v[42:45], v1 offset:912
	v_fma_f32 v3, v30, v84, -v3
	s_waitcnt vmcnt(23) lgkmcnt(1)
	v_mul_f32_e32 v47, v38, v93
	v_add_f32_e32 v2, v2, v3
	v_mul_f32_e32 v3, v33, v85
	s_waitcnt vmcnt(22)
	v_fmac_f32_e32 v47, v39, v94
	v_fma_f32 v3, v32, v86, -v3
	v_add_f32_e32 v46, v46, v47
	s_waitcnt vmcnt(20)
	v_mul_f32_e32 v47, v40, v96
	v_add_f32_e32 v2, v2, v3
	v_mul_f32_e32 v3, v35, v87
	v_fmac_f32_e32 v47, v41, v95
	v_fma_f32 v3, v34, v88, -v3
	v_add_f32_e32 v46, v46, v47
	s_waitcnt vmcnt(18) lgkmcnt(0)
	v_mul_f32_e32 v47, v42, v98
	v_add_f32_e32 v2, v2, v3
	v_mul_f32_e32 v3, v37, v91
	v_fmac_f32_e32 v47, v43, v97
	v_fma_f32 v3, v36, v92, -v3
	v_add_f32_e32 v50, v46, v47
	ds_read_b128 v[46:49], v1 offset:928
	v_add_f32_e32 v2, v2, v3
	v_mul_f32_e32 v3, v39, v93
	v_fma_f32 v3, v38, v94, -v3
	s_waitcnt vmcnt(17)
	v_mul_f32_e32 v51, v44, v99
	v_add_f32_e32 v2, v2, v3
	v_mul_f32_e32 v3, v41, v96
	s_waitcnt vmcnt(16)
	v_fmac_f32_e32 v51, v45, v100
	v_fma_f32 v3, v40, v95, -v3
	v_add_f32_e32 v54, v50, v51
	ds_read_b128 v[50:53], v1 offset:944
	v_add_f32_e32 v2, v2, v3
	v_mul_f32_e32 v3, v43, v98
	s_waitcnt vmcnt(14) lgkmcnt(1)
	v_mul_f32_e32 v55, v46, v102
	v_fma_f32 v3, v42, v97, -v3
	v_fmac_f32_e32 v55, v47, v101
	v_add_f32_e32 v2, v2, v3
	v_mul_f32_e32 v3, v45, v99
	v_add_f32_e32 v54, v54, v55
	s_waitcnt vmcnt(12)
	v_mul_f32_e32 v55, v48, v104
	v_fma_f32 v3, v44, v100, -v3
	v_fmac_f32_e32 v55, v49, v103
	v_add_f32_e32 v2, v2, v3
	v_mul_f32_e32 v3, v47, v102
	v_add_f32_e32 v54, v54, v55
	s_waitcnt vmcnt(10) lgkmcnt(0)
	v_mul_f32_e32 v55, v50, v106
	v_fma_f32 v3, v46, v101, -v3
	v_fmac_f32_e32 v55, v51, v105
	v_add_f32_e32 v2, v2, v3
	v_mul_f32_e32 v3, v49, v104
	v_add_f32_e32 v58, v54, v55
	ds_read_b128 v[54:57], v1 offset:960
	v_fma_f32 v3, v48, v103, -v3
	v_add_f32_e32 v2, v2, v3
	v_mul_f32_e32 v3, v51, v106
	s_waitcnt vmcnt(8)
	v_mul_f32_e32 v59, v52, v108
	v_fma_f32 v3, v50, v105, -v3
	v_fmac_f32_e32 v59, v53, v107
	v_add_f32_e32 v2, v2, v3
	v_mul_f32_e32 v3, v53, v108
	v_add_f32_e32 v117, v58, v59
	ds_read_b128 v[58:61], v1 offset:976
	v_fma_f32 v3, v52, v107, -v3
	v_add_f32_e32 v2, v2, v3
	s_waitcnt vmcnt(6) lgkmcnt(1)
	v_mul_f32_e32 v3, v55, v110
	v_mul_f32_e32 v1, v54, v110
	v_fma_f32 v3, v54, v109, -v3
	v_fmac_f32_e32 v1, v55, v109
	v_add_f32_e32 v2, v2, v3
	s_waitcnt vmcnt(4)
	v_mul_f32_e32 v3, v57, v112
	v_add_f32_e32 v1, v117, v1
	v_mul_f32_e32 v117, v56, v112
	v_fma_f32 v3, v56, v111, -v3
	v_fmac_f32_e32 v117, v57, v111
	v_add_f32_e32 v2, v2, v3
	s_waitcnt vmcnt(2) lgkmcnt(0)
	v_mul_f32_e32 v3, v59, v114
	v_add_f32_e32 v1, v1, v117
	v_mul_f32_e32 v117, v58, v114
	v_fma_f32 v3, v58, v113, -v3
	v_fmac_f32_e32 v117, v59, v113
	v_add_f32_e32 v2, v2, v3
	s_waitcnt vmcnt(0)
	v_mul_f32_e32 v3, v61, v116
	v_add_f32_e32 v1, v1, v117
	v_mul_f32_e32 v117, v60, v116
	v_fma_f32 v3, v60, v115, -v3
	v_fmac_f32_e32 v117, v61, v115
	v_add_f32_e32 v2, v2, v3
	v_add_f32_e32 v1, v1, v117
	v_sub_f32_e32 v2, v89, v2
	v_sub_f32_e32 v1, v90, v1
	buffer_store_dword v2, off, s[0:3], 0 offset:264
	buffer_store_dword v1, off, s[0:3], 0 offset:268
	s_and_saveexec_b64 s[4:5], vcc
	s_cbranch_execz .LBB61_321
; %bb.320:
	buffer_load_dword v1, off, s[0:3], 0 offset:256
	buffer_load_dword v2, off, s[0:3], 0 offset:260
	v_mov_b32_e32 v3, 0
	buffer_store_dword v3, off, s[0:3], 0 offset:256
	buffer_store_dword v3, off, s[0:3], 0 offset:260
	s_waitcnt vmcnt(2)
	ds_write_b64 v25, v[1:2]
.LBB61_321:
	s_or_b64 exec, exec, s[4:5]
	s_waitcnt lgkmcnt(0)
	; wave barrier
	buffer_load_dword v24, off, s[0:3], 0 offset:268
	buffer_load_dword v62, off, s[0:3], 0 offset:276
	;; [unrolled: 1-line block ×60, first 2 shown]
	v_mov_b32_e32 v1, 0
	ds_read2_b64 v[2:5], v1 offset0:95 offset1:96
	ds_read2_b64 v[6:9], v1 offset0:97 offset1:98
	;; [unrolled: 1-line block ×12, first 2 shown]
	v_cmp_lt_u32_e32 vcc, 31, v0
	s_waitcnt vmcnt(59) lgkmcnt(11)
	v_mul_f32_e32 v22, v2, v24
	s_waitcnt vmcnt(58)
	v_mul_f32_e32 v23, v4, v62
	s_waitcnt vmcnt(57) lgkmcnt(10)
	v_mul_f32_e32 v26, v6, v63
	s_waitcnt vmcnt(56)
	v_mul_f32_e32 v27, v8, v64
	;; [unrolled: 4-line block ×3, first 2 shown]
	s_waitcnt vmcnt(53) lgkmcnt(8)
	v_mul_f32_e32 v30, v14, v67
	s_waitcnt vmcnt(52)
	v_fmac_f32_e32 v22, v3, v68
	v_mul_f32_e32 v3, v3, v24
	v_fma_f32 v2, v2, v68, -v3
	v_mul_f32_e32 v3, v5, v62
	v_add_f32_e32 v2, 0, v2
	s_waitcnt vmcnt(51)
	v_fma_f32 v3, v4, v69, -v3
	v_add_f32_e32 v2, v2, v3
	v_mul_f32_e32 v3, v7, v63
	s_waitcnt vmcnt(50)
	v_fma_f32 v3, v6, v70, -v3
	v_add_f32_e32 v2, v2, v3
	v_mul_f32_e32 v3, v9, v64
	s_waitcnt vmcnt(49)
	v_fma_f32 v3, v8, v71, -v3
	v_fmac_f32_e32 v23, v5, v69
	v_add_f32_e32 v22, 0, v22
	v_add_f32_e32 v2, v2, v3
	v_mul_f32_e32 v3, v11, v65
	v_fmac_f32_e32 v26, v7, v70
	v_add_f32_e32 v22, v22, v23
	s_waitcnt vmcnt(48)
	v_fma_f32 v3, v10, v72, -v3
	v_fmac_f32_e32 v27, v9, v71
	v_add_f32_e32 v22, v22, v26
	v_add_f32_e32 v2, v2, v3
	v_mul_f32_e32 v3, v13, v66
	v_fmac_f32_e32 v28, v11, v72
	v_add_f32_e32 v22, v22, v27
	s_waitcnt vmcnt(47)
	v_fma_f32 v3, v12, v73, -v3
	v_fmac_f32_e32 v29, v13, v73
	v_add_f32_e32 v22, v22, v28
	v_add_f32_e32 v2, v2, v3
	v_mul_f32_e32 v3, v15, v67
	s_waitcnt vmcnt(46)
	v_fmac_f32_e32 v30, v15, v74
	v_add_f32_e32 v22, v22, v29
	s_waitcnt vmcnt(45)
	v_mul_f32_e32 v23, v16, v75
	v_fma_f32 v3, v14, v74, -v3
	v_add_f32_e32 v22, v22, v30
	s_waitcnt vmcnt(44)
	v_fmac_f32_e32 v23, v17, v76
	ds_read2_b64 v[26:29], v1 offset0:105 offset1:106
	ds_read2_b64 v[30:33], v1 offset0:107 offset1:108
	v_add_f32_e32 v2, v2, v3
	v_mul_f32_e32 v3, v17, v75
	v_add_f32_e32 v22, v22, v23
	s_waitcnt vmcnt(43) lgkmcnt(9)
	v_mul_f32_e32 v23, v18, v77
	v_fma_f32 v3, v16, v76, -v3
	s_waitcnt vmcnt(42)
	v_fmac_f32_e32 v23, v19, v78
	v_add_f32_e32 v2, v2, v3
	v_mul_f32_e32 v3, v19, v77
	v_add_f32_e32 v22, v22, v23
	s_waitcnt vmcnt(41)
	v_mul_f32_e32 v23, v20, v79
	v_fma_f32 v3, v18, v78, -v3
	s_waitcnt vmcnt(40)
	v_fmac_f32_e32 v23, v21, v80
	v_add_f32_e32 v2, v2, v3
	v_mul_f32_e32 v3, v21, v79
	v_add_f32_e32 v22, v22, v23
	s_waitcnt vmcnt(39) lgkmcnt(1)
	v_mul_f32_e32 v23, v26, v81
	v_fma_f32 v3, v20, v80, -v3
	s_waitcnt vmcnt(38)
	v_fmac_f32_e32 v23, v27, v82
	v_add_f32_e32 v2, v2, v3
	v_mul_f32_e32 v3, v27, v81
	v_add_f32_e32 v22, v22, v23
	s_waitcnt vmcnt(37)
	v_mul_f32_e32 v23, v28, v83
	v_fma_f32 v3, v26, v82, -v3
	s_waitcnt vmcnt(36)
	v_fmac_f32_e32 v23, v29, v84
	v_add_f32_e32 v2, v2, v3
	v_mul_f32_e32 v3, v29, v83
	v_add_f32_e32 v22, v22, v23
	s_waitcnt vmcnt(34) lgkmcnt(0)
	v_mul_f32_e32 v23, v30, v86
	v_fma_f32 v3, v28, v84, -v3
	v_fmac_f32_e32 v23, v31, v85
	v_add_f32_e32 v2, v2, v3
	v_mul_f32_e32 v3, v31, v86
	v_add_f32_e32 v22, v22, v23
	s_waitcnt vmcnt(31)
	v_mul_f32_e32 v23, v32, v89
	v_fma_f32 v3, v30, v85, -v3
	s_waitcnt vmcnt(30)
	v_fmac_f32_e32 v23, v33, v90
	v_add_f32_e32 v2, v2, v3
	v_mul_f32_e32 v3, v33, v89
	v_add_f32_e32 v22, v22, v23
	s_waitcnt vmcnt(28)
	v_mul_f32_e32 v23, v34, v92
	v_fma_f32 v3, v32, v90, -v3
	v_fmac_f32_e32 v23, v35, v91
	v_add_f32_e32 v2, v2, v3
	v_mul_f32_e32 v3, v35, v92
	v_add_f32_e32 v22, v22, v23
	s_waitcnt vmcnt(26)
	v_mul_f32_e32 v23, v36, v94
	v_fma_f32 v3, v34, v91, -v3
	;; [unrolled: 7-line block ×12, first 2 shown]
	v_fmac_f32_e32 v23, v57, v113
	v_add_f32_e32 v2, v2, v3
	v_mul_f32_e32 v3, v57, v114
	v_add_f32_e32 v123, v22, v23
	ds_read_b64 v[22:23], v1 offset:984
	v_fma_f32 v3, v56, v113, -v3
	v_add_f32_e32 v2, v2, v3
	s_waitcnt vmcnt(4)
	v_mul_f32_e32 v3, v59, v116
	v_mul_f32_e32 v124, v58, v116
	v_fma_f32 v3, v58, v115, -v3
	v_fmac_f32_e32 v124, v59, v115
	v_add_f32_e32 v2, v2, v3
	s_waitcnt vmcnt(2)
	v_mul_f32_e32 v3, v61, v118
	v_add_f32_e32 v123, v123, v124
	v_mul_f32_e32 v124, v60, v118
	v_fma_f32 v3, v60, v117, -v3
	v_fmac_f32_e32 v124, v61, v117
	v_add_f32_e32 v2, v2, v3
	s_waitcnt vmcnt(0) lgkmcnt(0)
	v_mul_f32_e32 v3, v23, v122
	v_add_f32_e32 v123, v123, v124
	v_mul_f32_e32 v124, v22, v122
	v_fma_f32 v3, v22, v119, -v3
	v_fmac_f32_e32 v124, v23, v119
	v_add_f32_e32 v2, v2, v3
	v_add_f32_e32 v123, v123, v124
	v_sub_f32_e32 v2, v87, v2
	v_sub_f32_e32 v3, v88, v123
	buffer_store_dword v2, off, s[0:3], 0 offset:256
	buffer_store_dword v3, off, s[0:3], 0 offset:260
	s_and_saveexec_b64 s[4:5], vcc
	s_cbranch_execz .LBB61_323
; %bb.322:
	buffer_load_dword v2, off, s[0:3], 0 offset:248
	buffer_load_dword v3, off, s[0:3], 0 offset:252
	s_waitcnt vmcnt(0)
	ds_write_b64 v25, v[2:3]
	buffer_store_dword v1, off, s[0:3], 0 offset:248
	buffer_store_dword v1, off, s[0:3], 0 offset:252
.LBB61_323:
	s_or_b64 exec, exec, s[4:5]
	s_waitcnt lgkmcnt(0)
	; wave barrier
	buffer_load_dword v22, off, s[0:3], 0 offset:260
	buffer_load_dword v23, off, s[0:3], 0 offset:268
	;; [unrolled: 1-line block ×32, first 2 shown]
	ds_read_b128 v[2:5], v1 offset:752
	ds_read_b128 v[6:9], v1 offset:768
	;; [unrolled: 1-line block ×4, first 2 shown]
	buffer_load_dword v95, off, s[0:3], 0 offset:380
	buffer_load_dword v96, off, s[0:3], 0 offset:376
	;; [unrolled: 1-line block ×30, first 2 shown]
	v_cmp_lt_u32_e32 vcc, 30, v0
	s_waitcnt vmcnt(61) lgkmcnt(3)
	v_mul_f32_e32 v18, v2, v22
	s_waitcnt vmcnt(60)
	v_mul_f32_e32 v19, v4, v23
	s_waitcnt vmcnt(59) lgkmcnt(2)
	v_mul_f32_e32 v20, v6, v24
	s_waitcnt vmcnt(58)
	v_mul_f32_e32 v21, v8, v66
	;; [unrolled: 4-line block ×3, first 2 shown]
	s_waitcnt vmcnt(55) lgkmcnt(0)
	v_mul_f32_e32 v28, v14, v69
	s_waitcnt vmcnt(54)
	v_fmac_f32_e32 v18, v3, v70
	s_waitcnt vmcnt(53)
	v_fmac_f32_e32 v19, v5, v71
	v_add_f32_e32 v18, 0, v18
	s_waitcnt vmcnt(52)
	v_fmac_f32_e32 v20, v7, v72
	v_add_f32_e32 v18, v18, v19
	;; [unrolled: 3-line block ×6, first 2 shown]
	v_add_f32_e32 v26, v18, v28
	ds_read_b128 v[18:21], v1 offset:816
	s_waitcnt vmcnt(47)
	v_mul_f32_e32 v27, v16, v77
	s_waitcnt vmcnt(46)
	v_fmac_f32_e32 v27, v17, v78
	v_mul_f32_e32 v3, v3, v22
	v_add_f32_e32 v30, v26, v27
	ds_read_b128 v[26:29], v1 offset:832
	v_fma_f32 v2, v2, v70, -v3
	v_mul_f32_e32 v3, v5, v23
	s_waitcnt vmcnt(45) lgkmcnt(1)
	v_mul_f32_e32 v31, v18, v79
	v_add_f32_e32 v2, 0, v2
	v_fma_f32 v3, v4, v71, -v3
	s_waitcnt vmcnt(44)
	v_fmac_f32_e32 v31, v19, v80
	v_add_f32_e32 v2, v2, v3
	v_mul_f32_e32 v3, v7, v24
	v_add_f32_e32 v30, v30, v31
	s_waitcnt vmcnt(43)
	v_mul_f32_e32 v31, v20, v81
	v_fma_f32 v3, v6, v72, -v3
	s_waitcnt vmcnt(42)
	v_fmac_f32_e32 v31, v21, v82
	v_add_f32_e32 v2, v2, v3
	v_mul_f32_e32 v3, v9, v66
	v_add_f32_e32 v30, v30, v31
	s_waitcnt vmcnt(41) lgkmcnt(0)
	v_mul_f32_e32 v31, v26, v83
	v_fma_f32 v3, v8, v73, -v3
	s_waitcnt vmcnt(40)
	v_fmac_f32_e32 v31, v27, v84
	v_add_f32_e32 v2, v2, v3
	v_mul_f32_e32 v3, v11, v67
	v_add_f32_e32 v34, v30, v31
	ds_read_b128 v[30:33], v1 offset:848
	v_fma_f32 v3, v10, v74, -v3
	v_add_f32_e32 v2, v2, v3
	v_mul_f32_e32 v3, v13, v68
	s_waitcnt vmcnt(39)
	v_mul_f32_e32 v35, v28, v85
	v_fma_f32 v3, v12, v75, -v3
	s_waitcnt vmcnt(38)
	v_fmac_f32_e32 v35, v29, v86
	v_add_f32_e32 v2, v2, v3
	v_mul_f32_e32 v3, v15, v69
	v_add_f32_e32 v38, v34, v35
	ds_read_b128 v[34:37], v1 offset:864
	v_fma_f32 v3, v14, v76, -v3
	s_waitcnt vmcnt(35) lgkmcnt(1)
	v_mul_f32_e32 v39, v30, v89
	v_add_f32_e32 v2, v2, v3
	v_mul_f32_e32 v3, v17, v77
	s_waitcnt vmcnt(34)
	v_fmac_f32_e32 v39, v31, v90
	v_fma_f32 v3, v16, v78, -v3
	v_add_f32_e32 v38, v38, v39
	s_waitcnt vmcnt(32)
	v_mul_f32_e32 v39, v32, v92
	v_add_f32_e32 v2, v2, v3
	v_mul_f32_e32 v3, v19, v79
	v_fmac_f32_e32 v39, v33, v91
	v_fma_f32 v3, v18, v80, -v3
	v_add_f32_e32 v38, v38, v39
	s_waitcnt vmcnt(30) lgkmcnt(0)
	v_mul_f32_e32 v39, v34, v94
	v_add_f32_e32 v2, v2, v3
	v_mul_f32_e32 v3, v21, v81
	v_fmac_f32_e32 v39, v35, v93
	v_fma_f32 v3, v20, v82, -v3
	v_add_f32_e32 v42, v38, v39
	ds_read_b128 v[38:41], v1 offset:880
	v_add_f32_e32 v2, v2, v3
	v_mul_f32_e32 v3, v27, v83
	v_fma_f32 v3, v26, v84, -v3
	s_waitcnt vmcnt(29)
	v_mul_f32_e32 v43, v36, v95
	v_add_f32_e32 v2, v2, v3
	v_mul_f32_e32 v3, v29, v85
	s_waitcnt vmcnt(28)
	v_fmac_f32_e32 v43, v37, v96
	v_fma_f32 v3, v28, v86, -v3
	v_add_f32_e32 v46, v42, v43
	ds_read_b128 v[42:45], v1 offset:896
	v_add_f32_e32 v2, v2, v3
	v_mul_f32_e32 v3, v31, v89
	s_waitcnt vmcnt(26) lgkmcnt(1)
	v_mul_f32_e32 v47, v38, v98
	v_fma_f32 v3, v30, v90, -v3
	v_fmac_f32_e32 v47, v39, v97
	v_add_f32_e32 v2, v2, v3
	v_mul_f32_e32 v3, v33, v92
	v_add_f32_e32 v46, v46, v47
	s_waitcnt vmcnt(24)
	v_mul_f32_e32 v47, v40, v100
	v_fma_f32 v3, v32, v91, -v3
	v_fmac_f32_e32 v47, v41, v99
	v_add_f32_e32 v2, v2, v3
	v_mul_f32_e32 v3, v35, v94
	v_add_f32_e32 v46, v46, v47
	s_waitcnt vmcnt(22) lgkmcnt(0)
	v_mul_f32_e32 v47, v42, v102
	v_fma_f32 v3, v34, v93, -v3
	v_fmac_f32_e32 v47, v43, v101
	v_add_f32_e32 v2, v2, v3
	v_mul_f32_e32 v3, v37, v95
	v_add_f32_e32 v50, v46, v47
	ds_read_b128 v[46:49], v1 offset:912
	v_fma_f32 v3, v36, v96, -v3
	v_add_f32_e32 v2, v2, v3
	v_mul_f32_e32 v3, v39, v98
	s_waitcnt vmcnt(20)
	v_mul_f32_e32 v51, v44, v104
	v_fma_f32 v3, v38, v97, -v3
	v_fmac_f32_e32 v51, v45, v103
	v_add_f32_e32 v2, v2, v3
	v_mul_f32_e32 v3, v41, v100
	v_add_f32_e32 v54, v50, v51
	ds_read_b128 v[50:53], v1 offset:928
	v_fma_f32 v3, v40, v99, -v3
	s_waitcnt vmcnt(18) lgkmcnt(1)
	v_mul_f32_e32 v55, v46, v106
	v_add_f32_e32 v2, v2, v3
	v_mul_f32_e32 v3, v43, v102
	v_fmac_f32_e32 v55, v47, v105
	v_fma_f32 v3, v42, v101, -v3
	v_add_f32_e32 v54, v54, v55
	s_waitcnt vmcnt(16)
	v_mul_f32_e32 v55, v48, v108
	v_add_f32_e32 v2, v2, v3
	v_mul_f32_e32 v3, v45, v104
	v_fmac_f32_e32 v55, v49, v107
	v_fma_f32 v3, v44, v103, -v3
	v_add_f32_e32 v54, v54, v55
	s_waitcnt vmcnt(14) lgkmcnt(0)
	v_mul_f32_e32 v55, v50, v110
	v_add_f32_e32 v2, v2, v3
	v_mul_f32_e32 v3, v47, v106
	v_fmac_f32_e32 v55, v51, v109
	v_fma_f32 v3, v46, v105, -v3
	v_add_f32_e32 v58, v54, v55
	ds_read_b128 v[54:57], v1 offset:944
	v_add_f32_e32 v2, v2, v3
	v_mul_f32_e32 v3, v49, v108
	v_fma_f32 v3, v48, v107, -v3
	v_add_f32_e32 v2, v2, v3
	v_mul_f32_e32 v3, v51, v110
	s_waitcnt vmcnt(12)
	v_mul_f32_e32 v59, v52, v112
	v_fma_f32 v3, v50, v109, -v3
	v_fmac_f32_e32 v59, v53, v111
	v_add_f32_e32 v2, v2, v3
	v_mul_f32_e32 v3, v53, v112
	v_add_f32_e32 v62, v58, v59
	ds_read_b128 v[58:61], v1 offset:960
	s_waitcnt vmcnt(10) lgkmcnt(1)
	v_mul_f32_e32 v63, v54, v114
	v_fma_f32 v3, v52, v111, -v3
	v_fmac_f32_e32 v63, v55, v113
	v_add_f32_e32 v2, v2, v3
	v_mul_f32_e32 v3, v55, v114
	v_add_f32_e32 v62, v62, v63
	s_waitcnt vmcnt(8)
	v_mul_f32_e32 v63, v56, v116
	v_fma_f32 v3, v54, v113, -v3
	v_fmac_f32_e32 v63, v57, v115
	v_add_f32_e32 v2, v2, v3
	v_mul_f32_e32 v3, v57, v116
	v_add_f32_e32 v127, v62, v63
	ds_read_b128 v[62:65], v1 offset:976
	v_fma_f32 v3, v56, v115, -v3
	v_add_f32_e32 v2, v2, v3
	s_waitcnt vmcnt(6) lgkmcnt(1)
	v_mul_f32_e32 v3, v59, v118
	v_mul_f32_e32 v128, v58, v118
	v_fma_f32 v3, v58, v117, -v3
	v_fmac_f32_e32 v128, v59, v117
	v_add_f32_e32 v2, v2, v3
	s_waitcnt vmcnt(4)
	v_mul_f32_e32 v3, v61, v122
	v_add_f32_e32 v1, v127, v128
	v_mul_f32_e32 v127, v60, v122
	v_fma_f32 v3, v60, v119, -v3
	v_fmac_f32_e32 v127, v61, v119
	v_add_f32_e32 v2, v2, v3
	s_waitcnt vmcnt(2) lgkmcnt(0)
	v_mul_f32_e32 v3, v63, v124
	v_add_f32_e32 v1, v1, v127
	v_mul_f32_e32 v127, v62, v124
	v_fma_f32 v3, v62, v123, -v3
	v_fmac_f32_e32 v127, v63, v123
	v_add_f32_e32 v2, v2, v3
	s_waitcnt vmcnt(0)
	v_mul_f32_e32 v3, v65, v126
	v_add_f32_e32 v1, v1, v127
	v_mul_f32_e32 v127, v64, v126
	v_fma_f32 v3, v64, v125, -v3
	v_fmac_f32_e32 v127, v65, v125
	v_add_f32_e32 v2, v2, v3
	v_add_f32_e32 v1, v1, v127
	v_sub_f32_e32 v2, v87, v2
	v_sub_f32_e32 v1, v88, v1
	buffer_store_dword v2, off, s[0:3], 0 offset:248
	buffer_store_dword v1, off, s[0:3], 0 offset:252
	s_and_saveexec_b64 s[4:5], vcc
	s_cbranch_execz .LBB61_325
; %bb.324:
	buffer_load_dword v1, off, s[0:3], 0 offset:240
	buffer_load_dword v2, off, s[0:3], 0 offset:244
	v_mov_b32_e32 v3, 0
	buffer_store_dword v3, off, s[0:3], 0 offset:240
	buffer_store_dword v3, off, s[0:3], 0 offset:244
	s_waitcnt vmcnt(2)
	ds_write_b64 v25, v[1:2]
.LBB61_325:
	s_or_b64 exec, exec, s[4:5]
	s_waitcnt lgkmcnt(0)
	; wave barrier
	buffer_load_dword v24, off, s[0:3], 0 offset:252
	buffer_load_dword v66, off, s[0:3], 0 offset:260
	;; [unrolled: 1-line block ×24, first 2 shown]
	v_mov_b32_e32 v1, 0
	buffer_load_dword v89, off, s[0:3], 0 offset:340
	buffer_load_dword v90, off, s[0:3], 0 offset:336
	;; [unrolled: 1-line block ×32, first 2 shown]
	ds_read2_b64 v[2:5], v1 offset0:93 offset1:94
	buffer_load_dword v123, off, s[0:3], 0 offset:464
	buffer_load_dword v124, off, s[0:3], 0 offset:468
	;; [unrolled: 1-line block ×4, first 2 shown]
	ds_read2_b64 v[6:9], v1 offset0:95 offset1:96
	ds_read2_b64 v[10:13], v1 offset0:97 offset1:98
	;; [unrolled: 1-line block ×3, first 2 shown]
	v_cmp_lt_u32_e32 vcc, 29, v0
	s_waitcnt vmcnt(59) lgkmcnt(3)
	v_mul_f32_e32 v18, v2, v24
	s_waitcnt vmcnt(58)
	v_mul_f32_e32 v19, v4, v66
	s_waitcnt vmcnt(57) lgkmcnt(2)
	v_mul_f32_e32 v20, v6, v67
	s_waitcnt vmcnt(56)
	v_mul_f32_e32 v21, v8, v68
	;; [unrolled: 4-line block ×4, first 2 shown]
	s_waitcnt vmcnt(51)
	v_fmac_f32_e32 v18, v3, v73
	s_waitcnt vmcnt(50)
	v_fmac_f32_e32 v19, v5, v74
	v_add_f32_e32 v18, 0, v18
	s_waitcnt vmcnt(49)
	v_fmac_f32_e32 v20, v7, v75
	v_add_f32_e32 v18, v18, v19
	;; [unrolled: 3-line block ×6, first 2 shown]
	v_add_f32_e32 v22, v18, v26
	ds_read2_b64 v[18:21], v1 offset0:101 offset1:102
	buffer_load_dword v127, off, s[0:3], 0 offset:484
	buffer_load_dword v128, off, s[0:3], 0 offset:480
	;; [unrolled: 1-line block ×4, first 2 shown]
	v_mul_f32_e32 v3, v3, v24
	v_fma_f32 v2, v2, v73, -v3
	v_mul_f32_e32 v3, v5, v66
	v_add_f32_e32 v2, 0, v2
	v_fma_f32 v3, v4, v74, -v3
	v_add_f32_e32 v2, v2, v3
	v_mul_f32_e32 v3, v7, v67
	v_fma_f32 v3, v6, v75, -v3
	v_add_f32_e32 v2, v2, v3
	v_mul_f32_e32 v3, v9, v68
	;; [unrolled: 3-line block ×5, first 2 shown]
	s_waitcnt vmcnt(48)
	v_fmac_f32_e32 v27, v17, v80
	v_fma_f32 v3, v14, v79, -v3
	v_add_f32_e32 v22, v22, v27
	ds_read2_b64 v[26:29], v1 offset0:103 offset1:104
	ds_read2_b64 v[30:33], v1 offset0:105 offset1:106
	v_add_f32_e32 v2, v2, v3
	v_mul_f32_e32 v3, v17, v72
	s_waitcnt vmcnt(47) lgkmcnt(2)
	v_mul_f32_e32 v23, v18, v81
	v_fma_f32 v3, v16, v80, -v3
	s_waitcnt vmcnt(46)
	v_fmac_f32_e32 v23, v19, v82
	v_add_f32_e32 v2, v2, v3
	v_mul_f32_e32 v3, v19, v81
	v_add_f32_e32 v22, v22, v23
	s_waitcnt vmcnt(45)
	v_mul_f32_e32 v23, v20, v83
	v_fma_f32 v3, v18, v82, -v3
	s_waitcnt vmcnt(44)
	v_fmac_f32_e32 v23, v21, v84
	v_add_f32_e32 v2, v2, v3
	v_mul_f32_e32 v3, v21, v83
	v_add_f32_e32 v22, v22, v23
	s_waitcnt vmcnt(42) lgkmcnt(1)
	v_mul_f32_e32 v23, v26, v86
	v_fma_f32 v3, v20, v84, -v3
	v_fmac_f32_e32 v23, v27, v85
	v_add_f32_e32 v2, v2, v3
	v_mul_f32_e32 v3, v27, v86
	v_add_f32_e32 v22, v22, v23
	s_waitcnt vmcnt(39)
	v_mul_f32_e32 v23, v28, v89
	v_fma_f32 v3, v26, v85, -v3
	s_waitcnt vmcnt(38)
	v_fmac_f32_e32 v23, v29, v90
	ds_read2_b64 v[34:37], v1 offset0:107 offset1:108
	ds_read2_b64 v[38:41], v1 offset0:109 offset1:110
	v_add_f32_e32 v2, v2, v3
	v_mul_f32_e32 v3, v29, v89
	v_add_f32_e32 v22, v22, v23
	s_waitcnt vmcnt(36) lgkmcnt(2)
	v_mul_f32_e32 v23, v30, v92
	v_fma_f32 v3, v28, v90, -v3
	v_fmac_f32_e32 v23, v31, v91
	v_add_f32_e32 v2, v2, v3
	v_mul_f32_e32 v3, v31, v92
	v_add_f32_e32 v22, v22, v23
	s_waitcnt vmcnt(34)
	v_mul_f32_e32 v23, v32, v94
	v_fma_f32 v3, v30, v91, -v3
	v_fmac_f32_e32 v23, v33, v93
	v_add_f32_e32 v2, v2, v3
	v_mul_f32_e32 v3, v33, v94
	v_add_f32_e32 v22, v22, v23
	s_waitcnt vmcnt(32) lgkmcnt(1)
	v_mul_f32_e32 v23, v34, v96
	v_fma_f32 v3, v32, v93, -v3
	v_fmac_f32_e32 v23, v35, v95
	v_add_f32_e32 v2, v2, v3
	v_mul_f32_e32 v3, v35, v96
	v_add_f32_e32 v22, v22, v23
	s_waitcnt vmcnt(30)
	v_mul_f32_e32 v23, v36, v98
	v_fma_f32 v3, v34, v95, -v3
	v_fmac_f32_e32 v23, v37, v97
	ds_read2_b64 v[42:45], v1 offset0:111 offset1:112
	ds_read2_b64 v[46:49], v1 offset0:113 offset1:114
	v_add_f32_e32 v2, v2, v3
	v_mul_f32_e32 v3, v37, v98
	v_add_f32_e32 v22, v22, v23
	s_waitcnt vmcnt(28) lgkmcnt(2)
	v_mul_f32_e32 v23, v38, v100
	v_fma_f32 v3, v36, v97, -v3
	v_fmac_f32_e32 v23, v39, v99
	v_add_f32_e32 v2, v2, v3
	v_mul_f32_e32 v3, v39, v100
	v_add_f32_e32 v22, v22, v23
	s_waitcnt vmcnt(26)
	v_mul_f32_e32 v23, v40, v102
	v_fma_f32 v3, v38, v99, -v3
	v_fmac_f32_e32 v23, v41, v101
	v_add_f32_e32 v2, v2, v3
	v_mul_f32_e32 v3, v41, v102
	v_add_f32_e32 v22, v22, v23
	s_waitcnt vmcnt(24) lgkmcnt(1)
	v_mul_f32_e32 v23, v42, v104
	v_fma_f32 v3, v40, v101, -v3
	v_fmac_f32_e32 v23, v43, v103
	v_add_f32_e32 v2, v2, v3
	v_mul_f32_e32 v3, v43, v104
	v_add_f32_e32 v22, v22, v23
	s_waitcnt vmcnt(22)
	v_mul_f32_e32 v23, v44, v106
	v_fma_f32 v3, v42, v103, -v3
	;; [unrolled: 30-line block ×4, first 2 shown]
	v_fmac_f32_e32 v23, v61, v123
	v_add_f32_e32 v2, v2, v3
	v_mul_f32_e32 v3, v61, v124
	v_add_f32_e32 v131, v22, v23
	ds_read_b64 v[22:23], v1 offset:984
	v_fma_f32 v3, v60, v123, -v3
	v_add_f32_e32 v2, v2, v3
	s_waitcnt vmcnt(4) lgkmcnt(1)
	v_mul_f32_e32 v3, v63, v126
	v_mul_f32_e32 v132, v62, v126
	v_fma_f32 v3, v62, v125, -v3
	v_fmac_f32_e32 v132, v63, v125
	v_add_f32_e32 v2, v2, v3
	s_waitcnt vmcnt(3)
	v_mul_f32_e32 v3, v65, v127
	v_add_f32_e32 v131, v131, v132
	v_mul_f32_e32 v132, v64, v127
	s_waitcnt vmcnt(2)
	v_fma_f32 v3, v64, v128, -v3
	v_fmac_f32_e32 v132, v65, v128
	v_add_f32_e32 v2, v2, v3
	s_waitcnt vmcnt(0) lgkmcnt(0)
	v_mul_f32_e32 v3, v23, v130
	v_add_f32_e32 v131, v131, v132
	v_mul_f32_e32 v132, v22, v130
	v_fma_f32 v3, v22, v129, -v3
	v_fmac_f32_e32 v132, v23, v129
	v_add_f32_e32 v2, v2, v3
	v_add_f32_e32 v131, v131, v132
	v_sub_f32_e32 v2, v87, v2
	v_sub_f32_e32 v3, v88, v131
	buffer_store_dword v2, off, s[0:3], 0 offset:240
	buffer_store_dword v3, off, s[0:3], 0 offset:244
	s_and_saveexec_b64 s[4:5], vcc
	s_cbranch_execz .LBB61_327
; %bb.326:
	buffer_load_dword v2, off, s[0:3], 0 offset:232
	buffer_load_dword v3, off, s[0:3], 0 offset:236
	s_waitcnt vmcnt(0)
	ds_write_b64 v25, v[2:3]
	buffer_store_dword v1, off, s[0:3], 0 offset:232
	buffer_store_dword v1, off, s[0:3], 0 offset:236
.LBB61_327:
	s_or_b64 exec, exec, s[4:5]
	s_waitcnt lgkmcnt(0)
	; wave barrier
	buffer_load_dword v22, off, s[0:3], 0 offset:300
	buffer_load_dword v23, off, s[0:3], 0 offset:244
	;; [unrolled: 1-line block ×32, first 2 shown]
	ds_read_b128 v[2:5], v1 offset:736
	ds_read_b128 v[6:9], v1 offset:752
	;; [unrolled: 1-line block ×4, first 2 shown]
	buffer_load_dword v99, off, s[0:3], 0 offset:360
	buffer_load_dword v100, off, s[0:3], 0 offset:364
	;; [unrolled: 1-line block ×32, first 2 shown]
	v_cmp_lt_u32_e32 vcc, 28, v0
	s_waitcnt vmcnt(62) lgkmcnt(0)
	v_mul_f32_e32 v29, v16, v22
	v_mul_f32_e32 v18, v2, v23
	s_waitcnt vmcnt(61)
	v_mul_f32_e32 v19, v4, v24
	s_waitcnt vmcnt(60)
	;; [unrolled: 2-line block ×3, first 2 shown]
	v_fmac_f32_e32 v20, v7, v71
	s_waitcnt vmcnt(58)
	v_fmac_f32_e32 v19, v5, v72
	s_waitcnt vmcnt(57)
	v_fmac_f32_e32 v18, v3, v73
	v_add_f32_e32 v18, 0, v18
	s_waitcnt vmcnt(56)
	v_mul_f32_e32 v21, v8, v74
	v_add_f32_e32 v18, v18, v19
	s_waitcnt vmcnt(55)
	v_mul_f32_e32 v26, v10, v75
	;; [unrolled: 3-line block ×3, first 2 shown]
	s_waitcnt vmcnt(50)
	v_fmac_f32_e32 v26, v11, v80
	s_waitcnt vmcnt(49)
	v_fmac_f32_e32 v21, v9, v81
	v_add_f32_e32 v18, v18, v21
	v_mul_f32_e32 v28, v14, v77
	v_fmac_f32_e32 v27, v13, v79
	v_add_f32_e32 v18, v18, v26
	v_fmac_f32_e32 v28, v15, v78
	v_add_f32_e32 v18, v18, v27
	s_waitcnt vmcnt(44)
	v_fmac_f32_e32 v29, v17, v86
	v_add_f32_e32 v26, v18, v28
	ds_read_b128 v[18:21], v1 offset:800
	v_add_f32_e32 v30, v26, v29
	ds_read_b128 v[26:29], v1 offset:816
	buffer_load_dword v133, off, s[0:3], 0 offset:488
	buffer_load_dword v134, off, s[0:3], 0 offset:492
	v_mul_f32_e32 v3, v3, v23
	s_waitcnt vmcnt(45) lgkmcnt(1)
	v_mul_f32_e32 v31, v18, v87
	v_fmac_f32_e32 v31, v19, v85
	v_fma_f32 v2, v2, v73, -v3
	v_mul_f32_e32 v3, v5, v24
	v_add_f32_e32 v30, v30, v31
	v_mul_f32_e32 v31, v20, v83
	v_add_f32_e32 v2, 0, v2
	v_fma_f32 v3, v4, v72, -v3
	v_fmac_f32_e32 v31, v21, v82
	v_add_f32_e32 v2, v2, v3
	v_mul_f32_e32 v3, v7, v70
	v_add_f32_e32 v30, v30, v31
	s_waitcnt vmcnt(44) lgkmcnt(0)
	v_mul_f32_e32 v31, v26, v88
	v_fma_f32 v3, v6, v71, -v3
	v_fmac_f32_e32 v31, v27, v84
	v_add_f32_e32 v2, v2, v3
	v_mul_f32_e32 v3, v9, v74
	v_add_f32_e32 v34, v30, v31
	ds_read_b128 v[30:33], v1 offset:832
	v_fma_f32 v3, v8, v81, -v3
	v_add_f32_e32 v2, v2, v3
	v_mul_f32_e32 v3, v11, v75
	s_waitcnt vmcnt(40)
	v_mul_f32_e32 v35, v28, v92
	v_fma_f32 v3, v10, v80, -v3
	v_fmac_f32_e32 v35, v29, v91
	v_add_f32_e32 v2, v2, v3
	v_mul_f32_e32 v3, v13, v76
	v_add_f32_e32 v38, v34, v35
	ds_read_b128 v[34:37], v1 offset:848
	v_fma_f32 v3, v12, v79, -v3
	s_waitcnt vmcnt(39) lgkmcnt(1)
	v_mul_f32_e32 v39, v30, v93
	v_add_f32_e32 v2, v2, v3
	v_mul_f32_e32 v3, v15, v77
	s_waitcnt vmcnt(34)
	v_fmac_f32_e32 v39, v31, v98
	v_fma_f32 v3, v14, v78, -v3
	v_add_f32_e32 v38, v38, v39
	v_mul_f32_e32 v39, v32, v95
	v_add_f32_e32 v2, v2, v3
	v_mul_f32_e32 v3, v17, v22
	v_fmac_f32_e32 v39, v33, v94
	v_fma_f32 v3, v16, v86, -v3
	v_add_f32_e32 v38, v38, v39
	s_waitcnt lgkmcnt(0)
	v_mul_f32_e32 v39, v34, v97
	v_add_f32_e32 v2, v2, v3
	v_mul_f32_e32 v3, v19, v87
	v_fmac_f32_e32 v39, v35, v96
	v_fma_f32 v3, v18, v85, -v3
	v_add_f32_e32 v42, v38, v39
	ds_read_b128 v[38:41], v1 offset:864
	v_add_f32_e32 v2, v2, v3
	v_mul_f32_e32 v3, v21, v83
	v_fma_f32 v3, v20, v82, -v3
	s_waitcnt vmcnt(32)
	v_mul_f32_e32 v43, v36, v100
	v_add_f32_e32 v2, v2, v3
	v_mul_f32_e32 v3, v27, v88
	v_fmac_f32_e32 v43, v37, v99
	v_fma_f32 v3, v26, v84, -v3
	v_add_f32_e32 v46, v42, v43
	ds_read_b128 v[42:45], v1 offset:880
	v_add_f32_e32 v2, v2, v3
	v_mul_f32_e32 v3, v29, v92
	s_waitcnt vmcnt(30) lgkmcnt(1)
	v_mul_f32_e32 v47, v38, v102
	v_fma_f32 v3, v28, v91, -v3
	v_fmac_f32_e32 v47, v39, v101
	v_add_f32_e32 v2, v2, v3
	v_mul_f32_e32 v3, v31, v93
	v_add_f32_e32 v46, v46, v47
	s_waitcnt vmcnt(28)
	v_mul_f32_e32 v47, v40, v104
	v_fma_f32 v3, v30, v98, -v3
	v_fmac_f32_e32 v47, v41, v103
	v_add_f32_e32 v2, v2, v3
	v_mul_f32_e32 v3, v33, v95
	v_add_f32_e32 v46, v46, v47
	s_waitcnt vmcnt(26) lgkmcnt(0)
	v_mul_f32_e32 v47, v42, v106
	v_fma_f32 v3, v32, v94, -v3
	v_fmac_f32_e32 v47, v43, v105
	v_add_f32_e32 v2, v2, v3
	v_mul_f32_e32 v3, v35, v97
	v_add_f32_e32 v50, v46, v47
	ds_read_b128 v[46:49], v1 offset:896
	v_fma_f32 v3, v34, v96, -v3
	v_add_f32_e32 v2, v2, v3
	v_mul_f32_e32 v3, v37, v100
	s_waitcnt vmcnt(24)
	v_mul_f32_e32 v51, v44, v108
	v_fma_f32 v3, v36, v99, -v3
	v_fmac_f32_e32 v51, v45, v107
	v_add_f32_e32 v2, v2, v3
	v_mul_f32_e32 v3, v39, v102
	v_add_f32_e32 v54, v50, v51
	ds_read_b128 v[50:53], v1 offset:912
	v_fma_f32 v3, v38, v101, -v3
	s_waitcnt vmcnt(22) lgkmcnt(1)
	v_mul_f32_e32 v55, v46, v110
	v_add_f32_e32 v2, v2, v3
	v_mul_f32_e32 v3, v41, v104
	v_fmac_f32_e32 v55, v47, v109
	v_fma_f32 v3, v40, v103, -v3
	v_add_f32_e32 v54, v54, v55
	s_waitcnt vmcnt(20)
	v_mul_f32_e32 v55, v48, v112
	v_add_f32_e32 v2, v2, v3
	v_mul_f32_e32 v3, v43, v106
	v_fmac_f32_e32 v55, v49, v111
	v_fma_f32 v3, v42, v105, -v3
	v_add_f32_e32 v54, v54, v55
	s_waitcnt vmcnt(18) lgkmcnt(0)
	v_mul_f32_e32 v55, v50, v114
	v_add_f32_e32 v2, v2, v3
	v_mul_f32_e32 v3, v45, v108
	v_fmac_f32_e32 v55, v51, v113
	v_fma_f32 v3, v44, v107, -v3
	v_add_f32_e32 v58, v54, v55
	ds_read_b128 v[54:57], v1 offset:928
	v_add_f32_e32 v2, v2, v3
	v_mul_f32_e32 v3, v47, v110
	v_fma_f32 v3, v46, v109, -v3
	s_waitcnt vmcnt(16)
	v_mul_f32_e32 v59, v52, v116
	v_add_f32_e32 v2, v2, v3
	v_mul_f32_e32 v3, v49, v112
	v_fmac_f32_e32 v59, v53, v115
	v_fma_f32 v3, v48, v111, -v3
	v_add_f32_e32 v62, v58, v59
	ds_read_b128 v[58:61], v1 offset:944
	v_add_f32_e32 v2, v2, v3
	v_mul_f32_e32 v3, v51, v114
	s_waitcnt vmcnt(14) lgkmcnt(1)
	v_mul_f32_e32 v63, v54, v118
	v_fma_f32 v3, v50, v113, -v3
	v_fmac_f32_e32 v63, v55, v117
	v_add_f32_e32 v2, v2, v3
	v_mul_f32_e32 v3, v53, v116
	v_add_f32_e32 v62, v62, v63
	s_waitcnt vmcnt(12)
	v_mul_f32_e32 v63, v56, v122
	v_fma_f32 v3, v52, v115, -v3
	v_fmac_f32_e32 v63, v57, v119
	v_add_f32_e32 v2, v2, v3
	v_mul_f32_e32 v3, v55, v118
	v_add_f32_e32 v62, v62, v63
	s_waitcnt vmcnt(10) lgkmcnt(0)
	v_mul_f32_e32 v63, v58, v124
	v_fma_f32 v3, v54, v117, -v3
	v_fmac_f32_e32 v63, v59, v123
	v_add_f32_e32 v2, v2, v3
	v_mul_f32_e32 v3, v57, v122
	v_add_f32_e32 v66, v62, v63
	ds_read_b128 v[62:65], v1 offset:960
	v_fma_f32 v3, v56, v119, -v3
	v_add_f32_e32 v2, v2, v3
	v_mul_f32_e32 v3, v59, v124
	s_waitcnt vmcnt(8)
	v_mul_f32_e32 v67, v60, v126
	v_fma_f32 v3, v58, v123, -v3
	v_fmac_f32_e32 v67, v61, v125
	v_add_f32_e32 v2, v2, v3
	v_mul_f32_e32 v3, v61, v126
	v_add_f32_e32 v135, v66, v67
	ds_read_b128 v[66:69], v1 offset:976
	v_fma_f32 v3, v60, v125, -v3
	v_add_f32_e32 v2, v2, v3
	s_waitcnt vmcnt(6) lgkmcnt(1)
	v_mul_f32_e32 v3, v63, v128
	v_mul_f32_e32 v1, v62, v128
	v_fma_f32 v3, v62, v127, -v3
	v_fmac_f32_e32 v1, v63, v127
	v_add_f32_e32 v2, v2, v3
	s_waitcnt vmcnt(5)
	v_mul_f32_e32 v3, v65, v129
	v_add_f32_e32 v1, v135, v1
	v_mul_f32_e32 v135, v64, v129
	s_waitcnt vmcnt(2)
	v_fma_f32 v3, v64, v132, -v3
	v_fmac_f32_e32 v135, v65, v132
	v_add_f32_e32 v2, v2, v3
	s_waitcnt lgkmcnt(0)
	v_mul_f32_e32 v3, v67, v131
	v_add_f32_e32 v1, v1, v135
	v_mul_f32_e32 v135, v66, v131
	v_fma_f32 v3, v66, v130, -v3
	v_fmac_f32_e32 v135, v67, v130
	v_add_f32_e32 v2, v2, v3
	s_waitcnt vmcnt(0)
	v_mul_f32_e32 v3, v69, v134
	v_add_f32_e32 v1, v1, v135
	v_mul_f32_e32 v135, v68, v134
	v_fma_f32 v3, v68, v133, -v3
	v_fmac_f32_e32 v135, v69, v133
	v_add_f32_e32 v2, v2, v3
	v_add_f32_e32 v1, v1, v135
	v_sub_f32_e32 v2, v89, v2
	v_sub_f32_e32 v1, v90, v1
	buffer_store_dword v2, off, s[0:3], 0 offset:232
	buffer_store_dword v1, off, s[0:3], 0 offset:236
	s_and_saveexec_b64 s[4:5], vcc
	s_cbranch_execz .LBB61_329
; %bb.328:
	buffer_load_dword v1, off, s[0:3], 0 offset:224
	buffer_load_dword v2, off, s[0:3], 0 offset:228
	v_mov_b32_e32 v3, 0
	buffer_store_dword v3, off, s[0:3], 0 offset:224
	buffer_store_dword v3, off, s[0:3], 0 offset:228
	s_waitcnt vmcnt(2)
	ds_write_b64 v25, v[1:2]
.LBB61_329:
	s_or_b64 exec, exec, s[4:5]
	s_waitcnt lgkmcnt(0)
	; wave barrier
	buffer_load_dword v24, off, s[0:3], 0 offset:292
	buffer_load_dword v70, off, s[0:3], 0 offset:236
	;; [unrolled: 1-line block ×58, first 2 shown]
	v_mov_b32_e32 v1, 0
	ds_read2_b64 v[2:5], v1 offset0:91 offset1:92
	ds_read2_b64 v[6:9], v1 offset0:93 offset1:94
	;; [unrolled: 1-line block ×5, first 2 shown]
	buffer_load_dword v129, off, s[0:3], 0 offset:456
	buffer_load_dword v130, off, s[0:3], 0 offset:460
	;; [unrolled: 1-line block ×6, first 2 shown]
	v_cmp_lt_u32_e32 vcc, 27, v0
	s_waitcnt vmcnt(62) lgkmcnt(1)
	v_mul_f32_e32 v31, v16, v24
	v_mul_f32_e32 v22, v2, v70
	s_waitcnt vmcnt(61)
	v_mul_f32_e32 v23, v4, v71
	s_waitcnt vmcnt(60)
	;; [unrolled: 2-line block ×3, first 2 shown]
	v_fmac_f32_e32 v26, v7, v73
	s_waitcnt vmcnt(58)
	v_fmac_f32_e32 v23, v5, v74
	s_waitcnt vmcnt(57)
	v_fmac_f32_e32 v22, v3, v75
	v_add_f32_e32 v22, 0, v22
	s_waitcnt vmcnt(56)
	v_mul_f32_e32 v27, v8, v76
	v_add_f32_e32 v22, v22, v23
	s_waitcnt vmcnt(55)
	v_mul_f32_e32 v28, v10, v77
	;; [unrolled: 3-line block ×3, first 2 shown]
	s_waitcnt vmcnt(50)
	v_fmac_f32_e32 v28, v11, v82
	s_waitcnt vmcnt(49)
	v_fmac_f32_e32 v27, v9, v83
	v_add_f32_e32 v22, v22, v27
	v_fmac_f32_e32 v29, v13, v81
	v_add_f32_e32 v22, v22, v28
	v_add_f32_e32 v22, v22, v29
	ds_read2_b64 v[26:29], v1 offset0:101 offset1:102
	buffer_load_dword v135, off, s[0:3], 0 offset:484
	buffer_load_dword v136, off, s[0:3], 0 offset:488
	;; [unrolled: 1-line block ×4, first 2 shown]
	v_mul_f32_e32 v3, v3, v70
	v_fma_f32 v2, v2, v75, -v3
	v_mul_f32_e32 v3, v5, v71
	v_add_f32_e32 v2, 0, v2
	v_fma_f32 v3, v4, v74, -v3
	v_add_f32_e32 v2, v2, v3
	v_mul_f32_e32 v3, v7, v72
	v_fma_f32 v3, v6, v73, -v3
	v_add_f32_e32 v2, v2, v3
	v_mul_f32_e32 v3, v9, v76
	;; [unrolled: 3-line block ×5, first 2 shown]
	v_mul_f32_e32 v30, v14, v79
	v_fma_f32 v3, v14, v80, -v3
	v_fmac_f32_e32 v30, v15, v80
	v_add_f32_e32 v2, v2, v3
	v_mul_f32_e32 v3, v17, v24
	s_waitcnt vmcnt(48)
	v_fmac_f32_e32 v31, v17, v88
	v_add_f32_e32 v22, v22, v30
	s_waitcnt vmcnt(47) lgkmcnt(1)
	v_mul_f32_e32 v23, v18, v89
	v_fma_f32 v3, v16, v88, -v3
	v_add_f32_e32 v22, v22, v31
	v_fmac_f32_e32 v23, v19, v87
	v_add_f32_e32 v2, v2, v3
	v_mul_f32_e32 v3, v19, v89
	v_add_f32_e32 v22, v22, v23
	s_waitcnt vmcnt(46)
	v_mul_f32_e32 v23, v20, v90
	v_fma_f32 v3, v18, v87, -v3
	v_fmac_f32_e32 v23, v21, v86
	ds_read2_b64 v[30:33], v1 offset0:103 offset1:104
	ds_read2_b64 v[34:37], v1 offset0:105 offset1:106
	v_add_f32_e32 v2, v2, v3
	v_mul_f32_e32 v3, v21, v90
	v_add_f32_e32 v22, v22, v23
	s_waitcnt lgkmcnt(2)
	v_mul_f32_e32 v23, v26, v85
	v_fma_f32 v3, v20, v86, -v3
	v_fmac_f32_e32 v23, v27, v84
	v_add_f32_e32 v2, v2, v3
	v_mul_f32_e32 v3, v27, v85
	v_add_f32_e32 v22, v22, v23
	s_waitcnt vmcnt(42)
	v_mul_f32_e32 v23, v28, v94
	v_fma_f32 v3, v26, v84, -v3
	v_fmac_f32_e32 v23, v29, v93
	v_add_f32_e32 v2, v2, v3
	v_mul_f32_e32 v3, v29, v94
	v_add_f32_e32 v22, v22, v23
	s_waitcnt vmcnt(40) lgkmcnt(1)
	v_mul_f32_e32 v23, v30, v96
	v_fma_f32 v3, v28, v93, -v3
	v_fmac_f32_e32 v23, v31, v95
	v_add_f32_e32 v2, v2, v3
	v_mul_f32_e32 v3, v31, v96
	v_add_f32_e32 v22, v22, v23
	s_waitcnt vmcnt(38)
	v_mul_f32_e32 v23, v32, v98
	v_fma_f32 v3, v30, v95, -v3
	v_fmac_f32_e32 v23, v33, v97
	ds_read2_b64 v[38:41], v1 offset0:107 offset1:108
	ds_read2_b64 v[42:45], v1 offset0:109 offset1:110
	v_add_f32_e32 v2, v2, v3
	v_mul_f32_e32 v3, v33, v98
	v_add_f32_e32 v22, v22, v23
	s_waitcnt vmcnt(36) lgkmcnt(2)
	v_mul_f32_e32 v23, v34, v100
	v_fma_f32 v3, v32, v97, -v3
	v_fmac_f32_e32 v23, v35, v99
	v_add_f32_e32 v2, v2, v3
	v_mul_f32_e32 v3, v35, v100
	v_add_f32_e32 v22, v22, v23
	s_waitcnt vmcnt(34)
	v_mul_f32_e32 v23, v36, v102
	v_fma_f32 v3, v34, v99, -v3
	v_fmac_f32_e32 v23, v37, v101
	v_add_f32_e32 v2, v2, v3
	v_mul_f32_e32 v3, v37, v102
	v_add_f32_e32 v22, v22, v23
	s_waitcnt vmcnt(32) lgkmcnt(1)
	v_mul_f32_e32 v23, v38, v104
	v_fma_f32 v3, v36, v101, -v3
	v_fmac_f32_e32 v23, v39, v103
	v_add_f32_e32 v2, v2, v3
	v_mul_f32_e32 v3, v39, v104
	v_add_f32_e32 v22, v22, v23
	s_waitcnt vmcnt(30)
	v_mul_f32_e32 v23, v40, v106
	v_fma_f32 v3, v38, v103, -v3
	v_fmac_f32_e32 v23, v41, v105
	ds_read2_b64 v[46:49], v1 offset0:111 offset1:112
	ds_read2_b64 v[50:53], v1 offset0:113 offset1:114
	v_add_f32_e32 v2, v2, v3
	v_mul_f32_e32 v3, v41, v106
	v_add_f32_e32 v22, v22, v23
	s_waitcnt vmcnt(28) lgkmcnt(2)
	;; [unrolled: 30-line block ×4, first 2 shown]
	v_mul_f32_e32 v23, v58, v126
	v_fma_f32 v3, v56, v123, -v3
	v_fmac_f32_e32 v23, v59, v125
	v_add_f32_e32 v2, v2, v3
	v_mul_f32_e32 v3, v59, v126
	v_add_f32_e32 v22, v22, v23
	s_waitcnt vmcnt(10)
	v_mul_f32_e32 v23, v60, v128
	v_fma_f32 v3, v58, v125, -v3
	v_fmac_f32_e32 v23, v61, v127
	v_add_f32_e32 v2, v2, v3
	v_mul_f32_e32 v3, v61, v128
	v_add_f32_e32 v22, v22, v23
	s_waitcnt vmcnt(8) lgkmcnt(1)
	v_mul_f32_e32 v23, v62, v130
	v_fma_f32 v3, v60, v127, -v3
	v_fmac_f32_e32 v23, v63, v129
	v_add_f32_e32 v2, v2, v3
	v_mul_f32_e32 v3, v63, v130
	v_add_f32_e32 v22, v22, v23
	s_waitcnt vmcnt(7)
	v_mul_f32_e32 v23, v64, v131
	v_fma_f32 v3, v62, v129, -v3
	s_waitcnt vmcnt(4)
	v_fmac_f32_e32 v23, v65, v134
	v_add_f32_e32 v2, v2, v3
	v_mul_f32_e32 v3, v65, v131
	v_add_f32_e32 v139, v22, v23
	ds_read_b64 v[22:23], v1 offset:984
	v_fma_f32 v3, v64, v134, -v3
	v_add_f32_e32 v2, v2, v3
	s_waitcnt lgkmcnt(1)
	v_mul_f32_e32 v3, v67, v133
	v_mul_f32_e32 v140, v66, v133
	v_fma_f32 v3, v66, v132, -v3
	v_fmac_f32_e32 v140, v67, v132
	v_add_f32_e32 v2, v2, v3
	s_waitcnt vmcnt(3)
	v_mul_f32_e32 v3, v69, v135
	v_add_f32_e32 v139, v139, v140
	v_mul_f32_e32 v140, v68, v135
	s_waitcnt vmcnt(0)
	v_fma_f32 v3, v68, v138, -v3
	v_fmac_f32_e32 v140, v69, v138
	v_add_f32_e32 v2, v2, v3
	s_waitcnt lgkmcnt(0)
	v_mul_f32_e32 v3, v23, v137
	v_add_f32_e32 v139, v139, v140
	v_mul_f32_e32 v140, v22, v137
	v_fma_f32 v3, v22, v136, -v3
	v_fmac_f32_e32 v140, v23, v136
	v_add_f32_e32 v2, v2, v3
	v_add_f32_e32 v139, v139, v140
	v_sub_f32_e32 v2, v91, v2
	v_sub_f32_e32 v3, v92, v139
	buffer_store_dword v2, off, s[0:3], 0 offset:224
	buffer_store_dword v3, off, s[0:3], 0 offset:228
	s_and_saveexec_b64 s[4:5], vcc
	s_cbranch_execz .LBB61_331
; %bb.330:
	buffer_load_dword v2, off, s[0:3], 0 offset:216
	buffer_load_dword v3, off, s[0:3], 0 offset:220
	s_waitcnt vmcnt(0)
	ds_write_b64 v25, v[2:3]
	buffer_store_dword v1, off, s[0:3], 0 offset:216
	buffer_store_dword v1, off, s[0:3], 0 offset:220
.LBB61_331:
	s_or_b64 exec, exec, s[4:5]
	s_waitcnt lgkmcnt(0)
	; wave barrier
	buffer_load_dword v22, off, s[0:3], 0 offset:228
	buffer_load_dword v23, off, s[0:3], 0 offset:236
	;; [unrolled: 1-line block ×32, first 2 shown]
	ds_read_b128 v[2:5], v1 offset:720
	ds_read_b128 v[6:9], v1 offset:736
	;; [unrolled: 1-line block ×6, first 2 shown]
	buffer_load_dword v103, off, s[0:3], 0 offset:344
	buffer_load_dword v104, off, s[0:3], 0 offset:348
	;; [unrolled: 1-line block ×38, first 2 shown]
	v_cmp_lt_u32_e32 vcc, 26, v0
	s_waitcnt vmcnt(62) lgkmcnt(5)
	v_mul_f32_e32 v30, v2, v22
	v_mul_f32_e32 v31, v4, v23
	s_waitcnt lgkmcnt(4)
	v_mul_f32_e32 v32, v6, v24
	v_mul_f32_e32 v33, v8, v74
	s_waitcnt lgkmcnt(3)
	;; [unrolled: 3-line block ×3, first 2 shown]
	v_mul_f32_e32 v36, v14, v77
	v_mul_f32_e32 v37, v16, v78
	s_waitcnt vmcnt(61)
	v_fmac_f32_e32 v32, v7, v79
	s_waitcnt vmcnt(60)
	v_fmac_f32_e32 v31, v5, v80
	;; [unrolled: 2-line block ×3, first 2 shown]
	v_add_f32_e32 v30, 0, v30
	v_add_f32_e32 v30, v30, v31
	;; [unrolled: 1-line block ×3, first 2 shown]
	s_waitcnt vmcnt(55)
	v_fmac_f32_e32 v33, v9, v85
	v_fmac_f32_e32 v34, v11, v84
	v_add_f32_e32 v30, v30, v33
	v_fmac_f32_e32 v35, v13, v83
	v_add_f32_e32 v30, v30, v34
	;; [unrolled: 2-line block ×3, first 2 shown]
	s_waitcnt vmcnt(51)
	v_fmac_f32_e32 v37, v17, v89
	v_add_f32_e32 v30, v30, v36
	s_waitcnt vmcnt(50) lgkmcnt(1)
	v_mul_f32_e32 v31, v18, v90
	v_add_f32_e32 v30, v30, v37
	v_fmac_f32_e32 v31, v19, v88
	v_mul_f32_e32 v3, v3, v22
	v_add_f32_e32 v30, v30, v31
	s_waitcnt vmcnt(49)
	v_mul_f32_e32 v31, v20, v91
	v_fma_f32 v2, v2, v81, -v3
	v_mul_f32_e32 v3, v5, v23
	v_fmac_f32_e32 v31, v21, v87
	v_add_f32_e32 v2, 0, v2
	v_fma_f32 v3, v4, v80, -v3
	v_add_f32_e32 v30, v30, v31
	s_waitcnt vmcnt(48) lgkmcnt(0)
	v_mul_f32_e32 v31, v26, v92
	v_add_f32_e32 v2, v2, v3
	v_mul_f32_e32 v3, v7, v24
	v_fmac_f32_e32 v31, v27, v86
	v_fma_f32 v3, v6, v79, -v3
	v_add_f32_e32 v34, v30, v31
	ds_read_b128 v[30:33], v1 offset:816
	v_add_f32_e32 v2, v2, v3
	v_mul_f32_e32 v3, v9, v74
	v_fma_f32 v3, v8, v85, -v3
	s_waitcnt vmcnt(45)
	v_mul_f32_e32 v35, v28, v95
	v_add_f32_e32 v2, v2, v3
	v_mul_f32_e32 v3, v11, v75
	s_waitcnt vmcnt(38)
	v_fmac_f32_e32 v35, v29, v102
	v_fma_f32 v3, v10, v84, -v3
	v_add_f32_e32 v38, v34, v35
	ds_read_b128 v[34:37], v1 offset:832
	v_add_f32_e32 v2, v2, v3
	v_mul_f32_e32 v3, v13, v76
	s_waitcnt lgkmcnt(1)
	v_mul_f32_e32 v39, v30, v97
	v_fma_f32 v3, v12, v83, -v3
	v_fmac_f32_e32 v39, v31, v96
	v_add_f32_e32 v2, v2, v3
	v_mul_f32_e32 v3, v15, v77
	v_add_f32_e32 v38, v38, v39
	v_mul_f32_e32 v39, v32, v99
	v_fma_f32 v3, v14, v82, -v3
	v_fmac_f32_e32 v39, v33, v98
	v_add_f32_e32 v2, v2, v3
	v_mul_f32_e32 v3, v17, v78
	v_add_f32_e32 v38, v38, v39
	s_waitcnt lgkmcnt(0)
	v_mul_f32_e32 v39, v34, v101
	v_fma_f32 v3, v16, v89, -v3
	v_fmac_f32_e32 v39, v35, v100
	v_add_f32_e32 v2, v2, v3
	v_mul_f32_e32 v3, v19, v90
	v_add_f32_e32 v42, v38, v39
	ds_read_b128 v[38:41], v1 offset:848
	v_fma_f32 v3, v18, v88, -v3
	v_add_f32_e32 v2, v2, v3
	v_mul_f32_e32 v3, v21, v91
	s_waitcnt vmcnt(36)
	v_mul_f32_e32 v43, v36, v104
	v_fma_f32 v3, v20, v87, -v3
	v_fmac_f32_e32 v43, v37, v103
	v_add_f32_e32 v2, v2, v3
	v_mul_f32_e32 v3, v27, v92
	v_add_f32_e32 v46, v42, v43
	ds_read_b128 v[42:45], v1 offset:864
	v_fma_f32 v3, v26, v86, -v3
	s_waitcnt vmcnt(34) lgkmcnt(1)
	v_mul_f32_e32 v47, v38, v106
	v_add_f32_e32 v2, v2, v3
	v_mul_f32_e32 v3, v29, v95
	v_fmac_f32_e32 v47, v39, v105
	v_fma_f32 v3, v28, v102, -v3
	v_add_f32_e32 v46, v46, v47
	s_waitcnt vmcnt(32)
	v_mul_f32_e32 v47, v40, v108
	v_add_f32_e32 v2, v2, v3
	v_mul_f32_e32 v3, v31, v97
	v_fmac_f32_e32 v47, v41, v107
	v_fma_f32 v3, v30, v96, -v3
	v_add_f32_e32 v46, v46, v47
	s_waitcnt vmcnt(30) lgkmcnt(0)
	v_mul_f32_e32 v47, v42, v110
	v_add_f32_e32 v2, v2, v3
	v_mul_f32_e32 v3, v33, v99
	v_fmac_f32_e32 v47, v43, v109
	v_fma_f32 v3, v32, v98, -v3
	v_add_f32_e32 v50, v46, v47
	ds_read_b128 v[46:49], v1 offset:880
	v_add_f32_e32 v2, v2, v3
	v_mul_f32_e32 v3, v35, v101
	v_fma_f32 v3, v34, v100, -v3
	s_waitcnt vmcnt(28)
	v_mul_f32_e32 v51, v44, v112
	v_add_f32_e32 v2, v2, v3
	v_mul_f32_e32 v3, v37, v104
	v_fmac_f32_e32 v51, v45, v111
	v_fma_f32 v3, v36, v103, -v3
	v_add_f32_e32 v54, v50, v51
	ds_read_b128 v[50:53], v1 offset:896
	v_add_f32_e32 v2, v2, v3
	v_mul_f32_e32 v3, v39, v106
	s_waitcnt vmcnt(26) lgkmcnt(1)
	v_mul_f32_e32 v55, v46, v114
	v_fma_f32 v3, v38, v105, -v3
	v_fmac_f32_e32 v55, v47, v113
	v_add_f32_e32 v2, v2, v3
	v_mul_f32_e32 v3, v41, v108
	v_add_f32_e32 v54, v54, v55
	s_waitcnt vmcnt(24)
	v_mul_f32_e32 v55, v48, v116
	v_fma_f32 v3, v40, v107, -v3
	v_fmac_f32_e32 v55, v49, v115
	v_add_f32_e32 v2, v2, v3
	v_mul_f32_e32 v3, v43, v110
	v_add_f32_e32 v54, v54, v55
	s_waitcnt vmcnt(22) lgkmcnt(0)
	v_mul_f32_e32 v55, v50, v118
	v_fma_f32 v3, v42, v109, -v3
	v_fmac_f32_e32 v55, v51, v117
	v_add_f32_e32 v2, v2, v3
	v_mul_f32_e32 v3, v45, v112
	v_add_f32_e32 v58, v54, v55
	ds_read_b128 v[54:57], v1 offset:912
	v_fma_f32 v3, v44, v111, -v3
	v_add_f32_e32 v2, v2, v3
	v_mul_f32_e32 v3, v47, v114
	s_waitcnt vmcnt(20)
	v_mul_f32_e32 v59, v52, v122
	v_fma_f32 v3, v46, v113, -v3
	v_fmac_f32_e32 v59, v53, v119
	v_add_f32_e32 v2, v2, v3
	v_mul_f32_e32 v3, v49, v116
	v_add_f32_e32 v62, v58, v59
	ds_read_b128 v[58:61], v1 offset:928
	v_fma_f32 v3, v48, v115, -v3
	s_waitcnt vmcnt(18) lgkmcnt(1)
	v_mul_f32_e32 v63, v54, v124
	v_add_f32_e32 v2, v2, v3
	v_mul_f32_e32 v3, v51, v118
	v_fmac_f32_e32 v63, v55, v123
	v_fma_f32 v3, v50, v117, -v3
	v_add_f32_e32 v62, v62, v63
	s_waitcnt vmcnt(16)
	v_mul_f32_e32 v63, v56, v126
	v_add_f32_e32 v2, v2, v3
	v_mul_f32_e32 v3, v53, v122
	v_fmac_f32_e32 v63, v57, v125
	v_fma_f32 v3, v52, v119, -v3
	v_add_f32_e32 v62, v62, v63
	s_waitcnt vmcnt(14) lgkmcnt(0)
	v_mul_f32_e32 v63, v58, v128
	v_add_f32_e32 v2, v2, v3
	v_mul_f32_e32 v3, v55, v124
	v_fmac_f32_e32 v63, v59, v127
	v_fma_f32 v3, v54, v123, -v3
	v_add_f32_e32 v66, v62, v63
	ds_read_b128 v[62:65], v1 offset:944
	v_add_f32_e32 v2, v2, v3
	v_mul_f32_e32 v3, v57, v126
	v_fma_f32 v3, v56, v125, -v3
	v_add_f32_e32 v2, v2, v3
	v_mul_f32_e32 v3, v59, v128
	s_waitcnt vmcnt(12)
	v_mul_f32_e32 v67, v60, v130
	v_fma_f32 v3, v58, v127, -v3
	v_fmac_f32_e32 v67, v61, v129
	v_add_f32_e32 v2, v2, v3
	v_mul_f32_e32 v3, v61, v130
	v_add_f32_e32 v70, v66, v67
	ds_read_b128 v[66:69], v1 offset:960
	s_waitcnt vmcnt(10) lgkmcnt(1)
	v_mul_f32_e32 v71, v62, v132
	v_fma_f32 v3, v60, v129, -v3
	v_fmac_f32_e32 v71, v63, v131
	v_add_f32_e32 v2, v2, v3
	v_mul_f32_e32 v3, v63, v132
	v_add_f32_e32 v70, v70, v71
	s_waitcnt vmcnt(9)
	v_mul_f32_e32 v71, v64, v133
	v_fma_f32 v3, v62, v131, -v3
	s_waitcnt vmcnt(6)
	v_fmac_f32_e32 v71, v65, v136
	v_add_f32_e32 v2, v2, v3
	v_mul_f32_e32 v3, v65, v133
	v_add_f32_e32 v143, v70, v71
	ds_read_b128 v[70:73], v1 offset:976
	v_fma_f32 v3, v64, v136, -v3
	v_add_f32_e32 v2, v2, v3
	s_waitcnt lgkmcnt(1)
	v_mul_f32_e32 v3, v67, v135
	v_mul_f32_e32 v144, v66, v135
	v_fma_f32 v3, v66, v134, -v3
	v_fmac_f32_e32 v144, v67, v134
	v_add_f32_e32 v2, v2, v3
	s_waitcnt vmcnt(4)
	v_mul_f32_e32 v3, v69, v138
	v_add_f32_e32 v1, v143, v144
	v_mul_f32_e32 v143, v68, v138
	v_fma_f32 v3, v68, v137, -v3
	v_fmac_f32_e32 v143, v69, v137
	v_add_f32_e32 v2, v2, v3
	s_waitcnt vmcnt(3) lgkmcnt(0)
	v_mul_f32_e32 v3, v71, v139
	v_add_f32_e32 v1, v1, v143
	v_mul_f32_e32 v143, v70, v139
	s_waitcnt vmcnt(0)
	v_fma_f32 v3, v70, v142, -v3
	v_fmac_f32_e32 v143, v71, v142
	v_add_f32_e32 v2, v2, v3
	v_mul_f32_e32 v3, v73, v141
	v_add_f32_e32 v1, v1, v143
	v_mul_f32_e32 v143, v72, v141
	v_fma_f32 v3, v72, v140, -v3
	v_fmac_f32_e32 v143, v73, v140
	v_add_f32_e32 v2, v2, v3
	v_add_f32_e32 v1, v1, v143
	v_sub_f32_e32 v2, v93, v2
	v_sub_f32_e32 v1, v94, v1
	buffer_store_dword v2, off, s[0:3], 0 offset:216
	buffer_store_dword v1, off, s[0:3], 0 offset:220
	s_and_saveexec_b64 s[4:5], vcc
	s_cbranch_execz .LBB61_333
; %bb.332:
	buffer_load_dword v1, off, s[0:3], 0 offset:208
	buffer_load_dword v2, off, s[0:3], 0 offset:212
	v_mov_b32_e32 v3, 0
	buffer_store_dword v3, off, s[0:3], 0 offset:208
	buffer_store_dword v3, off, s[0:3], 0 offset:212
	s_waitcnt vmcnt(2)
	ds_write_b64 v25, v[1:2]
.LBB61_333:
	s_or_b64 exec, exec, s[4:5]
	s_waitcnt lgkmcnt(0)
	; wave barrier
	buffer_load_dword v24, off, s[0:3], 0 offset:220
	buffer_load_dword v74, off, s[0:3], 0 offset:228
	;; [unrolled: 1-line block ×56, first 2 shown]
	v_mov_b32_e32 v1, 0
	ds_read2_b64 v[2:5], v1 offset0:89 offset1:90
	ds_read2_b64 v[6:9], v1 offset0:91 offset1:92
	;; [unrolled: 1-line block ×6, first 2 shown]
	buffer_load_dword v131, off, s[0:3], 0 offset:432
	buffer_load_dword v132, off, s[0:3], 0 offset:436
	;; [unrolled: 1-line block ×16, first 2 shown]
	ds_read2_b64 v[38:41], v1 offset0:105 offset1:106
	ds_read2_b64 v[42:45], v1 offset0:107 offset1:108
	;; [unrolled: 1-line block ×9, first 2 shown]
	v_cmp_lt_u32_e32 vcc, 25, v0
	s_waitcnt vmcnt(62) lgkmcnt(14)
	v_mul_f32_e32 v22, v2, v24
	v_mul_f32_e32 v23, v4, v74
	s_waitcnt lgkmcnt(13)
	v_mul_f32_e32 v30, v6, v75
	v_mul_f32_e32 v31, v8, v76
	s_waitcnt lgkmcnt(12)
	;; [unrolled: 3-line block ×4, first 2 shown]
	v_mul_f32_e32 v36, v18, v81
	v_fmac_f32_e32 v30, v7, v82
	s_waitcnt vmcnt(61)
	v_fmac_f32_e32 v23, v5, v83
	s_waitcnt vmcnt(60)
	v_fmac_f32_e32 v22, v3, v84
	v_mul_f32_e32 v3, v3, v24
	v_fma_f32 v2, v2, v84, -v3
	v_mul_f32_e32 v3, v5, v74
	v_add_f32_e32 v2, 0, v2
	v_fma_f32 v3, v4, v83, -v3
	v_add_f32_e32 v2, v2, v3
	v_mul_f32_e32 v3, v7, v75
	v_fma_f32 v3, v6, v82, -v3
	v_add_f32_e32 v2, v2, v3
	v_mul_f32_e32 v3, v9, v76
	s_waitcnt vmcnt(56)
	v_fma_f32 v3, v8, v88, -v3
	v_add_f32_e32 v2, v2, v3
	v_mul_f32_e32 v3, v11, v77
	v_fma_f32 v3, v10, v87, -v3
	v_add_f32_e32 v22, 0, v22
	v_add_f32_e32 v2, v2, v3
	v_mul_f32_e32 v3, v13, v78
	v_add_f32_e32 v22, v22, v23
	v_fma_f32 v3, v12, v86, -v3
	v_fmac_f32_e32 v31, v9, v88
	v_add_f32_e32 v22, v22, v30
	v_add_f32_e32 v2, v2, v3
	v_mul_f32_e32 v3, v15, v79
	v_fmac_f32_e32 v32, v11, v87
	v_add_f32_e32 v22, v22, v31
	v_fma_f32 v3, v14, v85, -v3
	v_fmac_f32_e32 v33, v13, v86
	v_add_f32_e32 v22, v22, v32
	v_add_f32_e32 v2, v2, v3
	v_mul_f32_e32 v3, v17, v80
	v_fmac_f32_e32 v34, v15, v85
	v_add_f32_e32 v22, v22, v33
	s_waitcnt vmcnt(52)
	v_fma_f32 v3, v16, v92, -v3
	v_fmac_f32_e32 v35, v17, v92
	v_add_f32_e32 v22, v22, v34
	v_add_f32_e32 v2, v2, v3
	v_mul_f32_e32 v3, v19, v81
	v_add_f32_e32 v22, v22, v35
	v_fmac_f32_e32 v36, v19, v91
	s_waitcnt vmcnt(51)
	v_mul_f32_e32 v23, v20, v93
	v_fma_f32 v3, v18, v91, -v3
	v_add_f32_e32 v22, v22, v36
	v_fmac_f32_e32 v23, v21, v90
	ds_read2_b64 v[30:33], v1 offset0:101 offset1:102
	ds_read2_b64 v[34:37], v1 offset0:103 offset1:104
	v_add_f32_e32 v2, v2, v3
	v_mul_f32_e32 v3, v21, v93
	v_add_f32_e32 v22, v22, v23
	s_waitcnt vmcnt(50) lgkmcnt(11)
	v_mul_f32_e32 v23, v26, v94
	v_fma_f32 v3, v20, v90, -v3
	v_fmac_f32_e32 v23, v27, v89
	v_add_f32_e32 v2, v2, v3
	v_mul_f32_e32 v3, v27, v94
	v_add_f32_e32 v22, v22, v23
	s_waitcnt vmcnt(46)
	v_mul_f32_e32 v23, v28, v98
	v_fma_f32 v3, v26, v89, -v3
	v_fmac_f32_e32 v23, v29, v97
	v_add_f32_e32 v2, v2, v3
	v_mul_f32_e32 v3, v29, v98
	v_add_f32_e32 v22, v22, v23
	s_waitcnt vmcnt(44) lgkmcnt(1)
	v_mul_f32_e32 v23, v30, v100
	v_fma_f32 v3, v28, v97, -v3
	v_fmac_f32_e32 v23, v31, v99
	v_add_f32_e32 v2, v2, v3
	v_mul_f32_e32 v3, v31, v100
	v_add_f32_e32 v22, v22, v23
	s_waitcnt vmcnt(42)
	v_mul_f32_e32 v23, v32, v102
	v_fma_f32 v3, v30, v99, -v3
	v_fmac_f32_e32 v23, v33, v101
	;; [unrolled: 14-line block ×3, first 2 shown]
	v_add_f32_e32 v2, v2, v3
	v_mul_f32_e32 v3, v37, v106
	v_add_f32_e32 v22, v22, v23
	s_waitcnt vmcnt(36)
	v_mul_f32_e32 v23, v38, v108
	v_fma_f32 v3, v36, v105, -v3
	v_fmac_f32_e32 v23, v39, v107
	v_add_f32_e32 v2, v2, v3
	v_mul_f32_e32 v3, v39, v108
	v_add_f32_e32 v22, v22, v23
	s_waitcnt vmcnt(34)
	v_mul_f32_e32 v23, v40, v110
	v_fma_f32 v3, v38, v107, -v3
	v_fmac_f32_e32 v23, v41, v109
	;; [unrolled: 7-line block ×13, first 2 shown]
	v_add_f32_e32 v2, v2, v3
	v_mul_f32_e32 v3, v63, v134
	v_add_f32_e32 v22, v22, v23
	s_waitcnt vmcnt(11)
	v_mul_f32_e32 v23, v64, v135
	v_fma_f32 v3, v62, v133, -v3
	s_waitcnt vmcnt(8)
	v_fmac_f32_e32 v23, v65, v138
	v_add_f32_e32 v2, v2, v3
	v_mul_f32_e32 v3, v65, v135
	v_add_f32_e32 v22, v22, v23
	v_mul_f32_e32 v23, v66, v137
	v_fma_f32 v3, v64, v138, -v3
	v_fmac_f32_e32 v23, v67, v136
	v_add_f32_e32 v2, v2, v3
	v_mul_f32_e32 v3, v67, v137
	v_add_f32_e32 v22, v22, v23
	s_waitcnt vmcnt(6)
	v_mul_f32_e32 v23, v68, v140
	v_fma_f32 v3, v66, v136, -v3
	v_fmac_f32_e32 v23, v69, v139
	v_add_f32_e32 v2, v2, v3
	v_mul_f32_e32 v3, v69, v140
	v_add_f32_e32 v147, v22, v23
	ds_read_b64 v[22:23], v1 offset:984
	v_fma_f32 v3, v68, v139, -v3
	v_add_f32_e32 v2, v2, v3
	s_waitcnt vmcnt(4)
	v_mul_f32_e32 v3, v71, v142
	v_mul_f32_e32 v148, v70, v142
	v_fma_f32 v3, v70, v141, -v3
	v_fmac_f32_e32 v148, v71, v141
	v_add_f32_e32 v2, v2, v3
	s_waitcnt vmcnt(3)
	v_mul_f32_e32 v3, v73, v143
	v_add_f32_e32 v147, v147, v148
	v_mul_f32_e32 v148, v72, v143
	s_waitcnt vmcnt(0)
	v_fma_f32 v3, v72, v146, -v3
	v_fmac_f32_e32 v148, v73, v146
	v_add_f32_e32 v2, v2, v3
	s_waitcnt lgkmcnt(0)
	v_mul_f32_e32 v3, v23, v145
	v_add_f32_e32 v147, v147, v148
	v_mul_f32_e32 v148, v22, v145
	v_fma_f32 v3, v22, v144, -v3
	v_fmac_f32_e32 v148, v23, v144
	v_add_f32_e32 v2, v2, v3
	v_add_f32_e32 v147, v147, v148
	v_sub_f32_e32 v2, v95, v2
	v_sub_f32_e32 v3, v96, v147
	buffer_store_dword v2, off, s[0:3], 0 offset:208
	buffer_store_dword v3, off, s[0:3], 0 offset:212
	s_and_saveexec_b64 s[4:5], vcc
	s_cbranch_execz .LBB61_335
; %bb.334:
	buffer_load_dword v2, off, s[0:3], 0 offset:200
	buffer_load_dword v3, off, s[0:3], 0 offset:204
	s_waitcnt vmcnt(0)
	ds_write_b64 v25, v[2:3]
	buffer_store_dword v1, off, s[0:3], 0 offset:200
	buffer_store_dword v1, off, s[0:3], 0 offset:204
.LBB61_335:
	s_or_b64 exec, exec, s[4:5]
	s_waitcnt lgkmcnt(0)
	; wave barrier
	buffer_load_dword v22, off, s[0:3], 0 offset:212
	buffer_load_dword v23, off, s[0:3], 0 offset:220
	;; [unrolled: 1-line block ×26, first 2 shown]
	ds_read_b128 v[2:5], v1 offset:704
	ds_read_b128 v[6:9], v1 offset:720
	;; [unrolled: 1-line block ×6, first 2 shown]
	buffer_load_dword v101, off, s[0:3], 0 offset:304
	buffer_load_dword v102, off, s[0:3], 0 offset:308
	;; [unrolled: 1-line block ×46, first 2 shown]
	v_cmp_lt_u32_e32 vcc, 24, v0
	s_waitcnt vmcnt(62) lgkmcnt(5)
	v_mul_f32_e32 v30, v2, v22
	v_mul_f32_e32 v31, v4, v23
	s_waitcnt lgkmcnt(4)
	v_mul_f32_e32 v32, v6, v24
	v_mul_f32_e32 v33, v8, v78
	s_waitcnt lgkmcnt(3)
	v_mul_f32_e32 v34, v10, v79
	v_mul_f32_e32 v35, v12, v80
	s_waitcnt lgkmcnt(2)
	v_mul_f32_e32 v36, v14, v81
	v_mul_f32_e32 v37, v16, v82
	s_waitcnt lgkmcnt(1)
	v_mul_f32_e32 v38, v18, v83
	v_fmac_f32_e32 v32, v7, v84
	s_waitcnt vmcnt(61)
	v_fmac_f32_e32 v31, v5, v85
	s_waitcnt vmcnt(60)
	v_fmac_f32_e32 v30, v3, v86
	v_add_f32_e32 v30, 0, v30
	v_add_f32_e32 v30, v30, v31
	v_add_f32_e32 v30, v30, v32
	s_waitcnt vmcnt(56)
	v_fmac_f32_e32 v33, v9, v90
	v_fmac_f32_e32 v34, v11, v89
	v_add_f32_e32 v30, v30, v33
	v_fmac_f32_e32 v35, v13, v88
	v_add_f32_e32 v30, v30, v34
	;; [unrolled: 2-line block ×3, first 2 shown]
	s_waitcnt vmcnt(52)
	v_fmac_f32_e32 v37, v17, v94
	v_add_f32_e32 v30, v30, v36
	v_fmac_f32_e32 v38, v19, v93
	v_add_f32_e32 v30, v30, v37
	s_waitcnt vmcnt(51)
	v_mul_f32_e32 v31, v20, v95
	v_add_f32_e32 v30, v30, v38
	v_fmac_f32_e32 v31, v21, v92
	v_add_f32_e32 v30, v30, v31
	s_waitcnt vmcnt(50) lgkmcnt(0)
	v_mul_f32_e32 v31, v26, v96
	v_fmac_f32_e32 v31, v27, v91
	s_waitcnt vmcnt(46)
	v_mul_f32_e32 v35, v28, v100
	v_add_f32_e32 v34, v30, v31
	v_fmac_f32_e32 v35, v29, v99
	ds_read_b128 v[30:33], v1 offset:800
	v_add_f32_e32 v38, v34, v35
	ds_read_b128 v[34:37], v1 offset:816
	buffer_load_dword v149, off, s[0:3], 0 offset:488
	buffer_load_dword v150, off, s[0:3], 0 offset:492
	v_mul_f32_e32 v3, v3, v22
	v_fma_f32 v2, v2, v86, -v3
	v_mul_f32_e32 v3, v5, v23
	v_add_f32_e32 v2, 0, v2
	v_fma_f32 v3, v4, v85, -v3
	v_add_f32_e32 v2, v2, v3
	v_mul_f32_e32 v3, v7, v24
	v_fma_f32 v3, v6, v84, -v3
	v_add_f32_e32 v2, v2, v3
	v_mul_f32_e32 v3, v9, v78
	;; [unrolled: 3-line block ×3, first 2 shown]
	s_waitcnt vmcnt(46) lgkmcnt(1)
	v_mul_f32_e32 v39, v30, v102
	v_fma_f32 v3, v10, v89, -v3
	v_fmac_f32_e32 v39, v31, v101
	v_add_f32_e32 v2, v2, v3
	v_mul_f32_e32 v3, v13, v80
	v_add_f32_e32 v38, v38, v39
	s_waitcnt vmcnt(44)
	v_mul_f32_e32 v39, v32, v104
	v_fma_f32 v3, v12, v88, -v3
	v_fmac_f32_e32 v39, v33, v103
	v_add_f32_e32 v2, v2, v3
	v_mul_f32_e32 v3, v15, v81
	v_add_f32_e32 v38, v38, v39
	s_waitcnt vmcnt(42) lgkmcnt(0)
	v_mul_f32_e32 v39, v34, v106
	v_fma_f32 v3, v14, v87, -v3
	v_fmac_f32_e32 v39, v35, v105
	v_add_f32_e32 v2, v2, v3
	v_mul_f32_e32 v3, v17, v82
	v_add_f32_e32 v42, v38, v39
	ds_read_b128 v[38:41], v1 offset:832
	v_fma_f32 v3, v16, v94, -v3
	v_add_f32_e32 v2, v2, v3
	v_mul_f32_e32 v3, v19, v83
	s_waitcnt vmcnt(40)
	v_mul_f32_e32 v43, v36, v108
	v_fma_f32 v3, v18, v93, -v3
	v_fmac_f32_e32 v43, v37, v107
	v_add_f32_e32 v2, v2, v3
	v_mul_f32_e32 v3, v21, v95
	v_add_f32_e32 v46, v42, v43
	ds_read_b128 v[42:45], v1 offset:848
	v_fma_f32 v3, v20, v92, -v3
	s_waitcnt vmcnt(38) lgkmcnt(1)
	v_mul_f32_e32 v47, v38, v110
	v_add_f32_e32 v2, v2, v3
	v_mul_f32_e32 v3, v27, v96
	v_fmac_f32_e32 v47, v39, v109
	v_fma_f32 v3, v26, v91, -v3
	v_add_f32_e32 v46, v46, v47
	s_waitcnt vmcnt(36)
	v_mul_f32_e32 v47, v40, v112
	v_add_f32_e32 v2, v2, v3
	v_mul_f32_e32 v3, v29, v100
	v_fmac_f32_e32 v47, v41, v111
	v_fma_f32 v3, v28, v99, -v3
	v_add_f32_e32 v46, v46, v47
	s_waitcnt vmcnt(34) lgkmcnt(0)
	v_mul_f32_e32 v47, v42, v114
	v_add_f32_e32 v2, v2, v3
	v_mul_f32_e32 v3, v31, v102
	v_fmac_f32_e32 v47, v43, v113
	v_fma_f32 v3, v30, v101, -v3
	v_add_f32_e32 v50, v46, v47
	ds_read_b128 v[46:49], v1 offset:864
	v_add_f32_e32 v2, v2, v3
	v_mul_f32_e32 v3, v33, v104
	v_fma_f32 v3, v32, v103, -v3
	s_waitcnt vmcnt(32)
	v_mul_f32_e32 v51, v44, v116
	v_add_f32_e32 v2, v2, v3
	v_mul_f32_e32 v3, v35, v106
	v_fmac_f32_e32 v51, v45, v115
	v_fma_f32 v3, v34, v105, -v3
	v_add_f32_e32 v54, v50, v51
	ds_read_b128 v[50:53], v1 offset:880
	v_add_f32_e32 v2, v2, v3
	v_mul_f32_e32 v3, v37, v108
	s_waitcnt vmcnt(30) lgkmcnt(1)
	v_mul_f32_e32 v55, v46, v118
	v_fma_f32 v3, v36, v107, -v3
	v_fmac_f32_e32 v55, v47, v117
	v_add_f32_e32 v2, v2, v3
	v_mul_f32_e32 v3, v39, v110
	v_add_f32_e32 v54, v54, v55
	s_waitcnt vmcnt(28)
	v_mul_f32_e32 v55, v48, v122
	v_fma_f32 v3, v38, v109, -v3
	v_fmac_f32_e32 v55, v49, v119
	v_add_f32_e32 v2, v2, v3
	v_mul_f32_e32 v3, v41, v112
	v_add_f32_e32 v54, v54, v55
	s_waitcnt vmcnt(26) lgkmcnt(0)
	v_mul_f32_e32 v55, v50, v124
	v_fma_f32 v3, v40, v111, -v3
	v_fmac_f32_e32 v55, v51, v123
	v_add_f32_e32 v2, v2, v3
	v_mul_f32_e32 v3, v43, v114
	v_add_f32_e32 v58, v54, v55
	ds_read_b128 v[54:57], v1 offset:896
	v_fma_f32 v3, v42, v113, -v3
	v_add_f32_e32 v2, v2, v3
	v_mul_f32_e32 v3, v45, v116
	s_waitcnt vmcnt(24)
	v_mul_f32_e32 v59, v52, v126
	v_fma_f32 v3, v44, v115, -v3
	v_fmac_f32_e32 v59, v53, v125
	v_add_f32_e32 v2, v2, v3
	v_mul_f32_e32 v3, v47, v118
	v_add_f32_e32 v62, v58, v59
	ds_read_b128 v[58:61], v1 offset:912
	v_fma_f32 v3, v46, v117, -v3
	s_waitcnt vmcnt(22) lgkmcnt(1)
	v_mul_f32_e32 v63, v54, v128
	v_add_f32_e32 v2, v2, v3
	v_mul_f32_e32 v3, v49, v122
	v_fmac_f32_e32 v63, v55, v127
	v_fma_f32 v3, v48, v119, -v3
	v_add_f32_e32 v62, v62, v63
	s_waitcnt vmcnt(20)
	v_mul_f32_e32 v63, v56, v130
	v_add_f32_e32 v2, v2, v3
	v_mul_f32_e32 v3, v51, v124
	v_fmac_f32_e32 v63, v57, v129
	v_fma_f32 v3, v50, v123, -v3
	v_add_f32_e32 v62, v62, v63
	s_waitcnt vmcnt(18) lgkmcnt(0)
	v_mul_f32_e32 v63, v58, v132
	v_add_f32_e32 v2, v2, v3
	v_mul_f32_e32 v3, v53, v126
	v_fmac_f32_e32 v63, v59, v131
	v_fma_f32 v3, v52, v125, -v3
	v_add_f32_e32 v66, v62, v63
	ds_read_b128 v[62:65], v1 offset:928
	v_add_f32_e32 v2, v2, v3
	v_mul_f32_e32 v3, v55, v128
	v_fma_f32 v3, v54, v127, -v3
	s_waitcnt vmcnt(16)
	v_mul_f32_e32 v67, v60, v134
	v_add_f32_e32 v2, v2, v3
	v_mul_f32_e32 v3, v57, v130
	v_fmac_f32_e32 v67, v61, v133
	v_fma_f32 v3, v56, v129, -v3
	v_add_f32_e32 v70, v66, v67
	ds_read_b128 v[66:69], v1 offset:944
	v_add_f32_e32 v2, v2, v3
	v_mul_f32_e32 v3, v59, v132
	s_waitcnt vmcnt(14) lgkmcnt(1)
	v_mul_f32_e32 v71, v62, v136
	v_fma_f32 v3, v58, v131, -v3
	v_fmac_f32_e32 v71, v63, v135
	v_add_f32_e32 v2, v2, v3
	v_mul_f32_e32 v3, v61, v134
	v_add_f32_e32 v70, v70, v71
	s_waitcnt vmcnt(13)
	v_mul_f32_e32 v71, v64, v137
	v_fma_f32 v3, v60, v133, -v3
	s_waitcnt vmcnt(10)
	v_fmac_f32_e32 v71, v65, v140
	v_add_f32_e32 v2, v2, v3
	v_mul_f32_e32 v3, v63, v136
	v_add_f32_e32 v70, v70, v71
	s_waitcnt lgkmcnt(0)
	v_mul_f32_e32 v71, v66, v139
	v_fma_f32 v3, v62, v135, -v3
	v_fmac_f32_e32 v71, v67, v138
	v_add_f32_e32 v2, v2, v3
	v_mul_f32_e32 v3, v65, v137
	v_add_f32_e32 v74, v70, v71
	ds_read_b128 v[70:73], v1 offset:960
	v_fma_f32 v3, v64, v140, -v3
	v_add_f32_e32 v2, v2, v3
	v_mul_f32_e32 v3, v67, v139
	s_waitcnt vmcnt(8)
	v_mul_f32_e32 v75, v68, v142
	v_fma_f32 v3, v66, v138, -v3
	v_fmac_f32_e32 v75, v69, v141
	v_add_f32_e32 v2, v2, v3
	v_mul_f32_e32 v3, v69, v142
	v_add_f32_e32 v151, v74, v75
	ds_read_b128 v[74:77], v1 offset:976
	v_fma_f32 v3, v68, v141, -v3
	v_add_f32_e32 v2, v2, v3
	s_waitcnt vmcnt(6) lgkmcnt(1)
	v_mul_f32_e32 v3, v71, v144
	v_mul_f32_e32 v1, v70, v144
	v_fma_f32 v3, v70, v143, -v3
	v_fmac_f32_e32 v1, v71, v143
	v_add_f32_e32 v2, v2, v3
	s_waitcnt vmcnt(5)
	v_mul_f32_e32 v3, v73, v145
	v_add_f32_e32 v1, v151, v1
	v_mul_f32_e32 v151, v72, v145
	s_waitcnt vmcnt(2)
	v_fma_f32 v3, v72, v148, -v3
	v_fmac_f32_e32 v151, v73, v148
	v_add_f32_e32 v2, v2, v3
	s_waitcnt lgkmcnt(0)
	v_mul_f32_e32 v3, v75, v147
	v_add_f32_e32 v1, v1, v151
	v_mul_f32_e32 v151, v74, v147
	v_fma_f32 v3, v74, v146, -v3
	v_fmac_f32_e32 v151, v75, v146
	v_add_f32_e32 v2, v2, v3
	s_waitcnt vmcnt(0)
	v_mul_f32_e32 v3, v77, v150
	v_add_f32_e32 v1, v1, v151
	v_mul_f32_e32 v151, v76, v150
	v_fma_f32 v3, v76, v149, -v3
	v_fmac_f32_e32 v151, v77, v149
	v_add_f32_e32 v2, v2, v3
	v_add_f32_e32 v1, v1, v151
	v_sub_f32_e32 v2, v97, v2
	v_sub_f32_e32 v1, v98, v1
	buffer_store_dword v2, off, s[0:3], 0 offset:200
	buffer_store_dword v1, off, s[0:3], 0 offset:204
	s_and_saveexec_b64 s[4:5], vcc
	s_cbranch_execz .LBB61_337
; %bb.336:
	buffer_load_dword v1, off, s[0:3], 0 offset:192
	buffer_load_dword v2, off, s[0:3], 0 offset:196
	v_mov_b32_e32 v3, 0
	buffer_store_dword v3, off, s[0:3], 0 offset:192
	buffer_store_dword v3, off, s[0:3], 0 offset:196
	s_waitcnt vmcnt(2)
	ds_write_b64 v25, v[1:2]
.LBB61_337:
	s_or_b64 exec, exec, s[4:5]
	s_waitcnt lgkmcnt(0)
	; wave barrier
	buffer_load_dword v24, off, s[0:3], 0 offset:204
	buffer_load_dword v78, off, s[0:3], 0 offset:212
	;; [unrolled: 1-line block ×50, first 2 shown]
	v_mov_b32_e32 v1, 0
	ds_read2_b64 v[2:5], v1 offset0:87 offset1:88
	ds_read2_b64 v[6:9], v1 offset0:89 offset1:90
	;; [unrolled: 1-line block ×6, first 2 shown]
	buffer_load_dword v129, off, s[0:3], 0 offset:392
	buffer_load_dword v130, off, s[0:3], 0 offset:396
	;; [unrolled: 1-line block ×16, first 2 shown]
	v_cmp_lt_u32_e32 vcc, 23, v0
	s_waitcnt vmcnt(62) lgkmcnt(5)
	v_mul_f32_e32 v22, v2, v24
	v_mul_f32_e32 v23, v4, v78
	s_waitcnt lgkmcnt(4)
	v_mul_f32_e32 v30, v6, v79
	v_mul_f32_e32 v31, v8, v80
	s_waitcnt vmcnt(61) lgkmcnt(3)
	v_mul_f32_e32 v32, v10, v81
	s_waitcnt vmcnt(60)
	v_mul_f32_e32 v33, v12, v82
	s_waitcnt vmcnt(59) lgkmcnt(2)
	v_mul_f32_e32 v34, v14, v83
	s_waitcnt vmcnt(58)
	;; [unrolled: 4-line block ×3, first 2 shown]
	v_fmac_f32_e32 v30, v7, v86
	s_waitcnt vmcnt(55)
	v_fmac_f32_e32 v23, v5, v87
	s_waitcnt vmcnt(54)
	v_fmac_f32_e32 v22, v3, v88
	v_add_f32_e32 v22, 0, v22
	v_add_f32_e32 v22, v22, v23
	;; [unrolled: 1-line block ×3, first 2 shown]
	s_waitcnt vmcnt(50)
	v_fmac_f32_e32 v31, v9, v92
	v_fmac_f32_e32 v32, v11, v91
	v_add_f32_e32 v22, v22, v31
	v_fmac_f32_e32 v33, v13, v90
	v_add_f32_e32 v22, v22, v32
	v_add_f32_e32 v22, v22, v33
	ds_read2_b64 v[30:33], v1 offset0:99 offset1:100
	buffer_load_dword v145, off, s[0:3], 0 offset:456
	buffer_load_dword v146, off, s[0:3], 0 offset:460
	;; [unrolled: 1-line block ×6, first 2 shown]
	v_fmac_f32_e32 v34, v15, v89
	s_waitcnt vmcnt(52)
	v_fmac_f32_e32 v35, v17, v96
	v_add_f32_e32 v22, v22, v34
	v_fmac_f32_e32 v36, v19, v95
	v_add_f32_e32 v22, v22, v35
	v_add_f32_e32 v22, v22, v36
	ds_read2_b64 v[34:37], v1 offset0:101 offset1:102
	buffer_load_dword v151, off, s[0:3], 0 offset:484
	buffer_load_dword v152, off, s[0:3], 0 offset:488
	;; [unrolled: 1-line block ×4, first 2 shown]
	v_mul_f32_e32 v3, v3, v24
	v_fma_f32 v2, v2, v88, -v3
	v_mul_f32_e32 v3, v5, v78
	v_add_f32_e32 v2, 0, v2
	v_fma_f32 v3, v4, v87, -v3
	v_add_f32_e32 v2, v2, v3
	v_mul_f32_e32 v3, v7, v79
	v_fma_f32 v3, v6, v86, -v3
	v_add_f32_e32 v2, v2, v3
	v_mul_f32_e32 v3, v9, v80
	;; [unrolled: 3-line block ×7, first 2 shown]
	s_waitcnt vmcnt(55)
	v_mul_f32_e32 v23, v20, v97
	v_fma_f32 v3, v18, v95, -v3
	v_fmac_f32_e32 v23, v21, v94
	v_add_f32_e32 v2, v2, v3
	v_mul_f32_e32 v3, v21, v97
	v_add_f32_e32 v22, v22, v23
	s_waitcnt vmcnt(54) lgkmcnt(2)
	v_mul_f32_e32 v23, v26, v98
	v_fma_f32 v3, v20, v94, -v3
	v_fmac_f32_e32 v23, v27, v93
	v_add_f32_e32 v2, v2, v3
	v_mul_f32_e32 v3, v27, v98
	v_add_f32_e32 v22, v22, v23
	s_waitcnt vmcnt(53)
	v_mul_f32_e32 v23, v28, v99
	v_fma_f32 v3, v26, v93, -v3
	s_waitcnt vmcnt(46)
	v_fmac_f32_e32 v23, v29, v106
	v_add_f32_e32 v2, v2, v3
	v_mul_f32_e32 v3, v29, v99
	v_add_f32_e32 v22, v22, v23
	s_waitcnt lgkmcnt(1)
	v_mul_f32_e32 v23, v30, v101
	v_fma_f32 v3, v28, v106, -v3
	v_fmac_f32_e32 v23, v31, v100
	v_add_f32_e32 v2, v2, v3
	v_mul_f32_e32 v3, v31, v101
	v_add_f32_e32 v22, v22, v23
	v_mul_f32_e32 v23, v32, v103
	v_fma_f32 v3, v30, v100, -v3
	v_fmac_f32_e32 v23, v33, v102
	ds_read2_b64 v[38:41], v1 offset0:103 offset1:104
	ds_read2_b64 v[42:45], v1 offset0:105 offset1:106
	v_add_f32_e32 v2, v2, v3
	v_mul_f32_e32 v3, v33, v103
	v_add_f32_e32 v22, v22, v23
	s_waitcnt lgkmcnt(2)
	v_mul_f32_e32 v23, v34, v105
	v_fma_f32 v3, v32, v102, -v3
	v_fmac_f32_e32 v23, v35, v104
	v_add_f32_e32 v2, v2, v3
	v_mul_f32_e32 v3, v35, v105
	v_add_f32_e32 v22, v22, v23
	s_waitcnt vmcnt(42)
	v_mul_f32_e32 v23, v36, v110
	v_fma_f32 v3, v34, v104, -v3
	v_fmac_f32_e32 v23, v37, v109
	v_add_f32_e32 v2, v2, v3
	v_mul_f32_e32 v3, v37, v110
	v_add_f32_e32 v22, v22, v23
	s_waitcnt vmcnt(40) lgkmcnt(1)
	v_mul_f32_e32 v23, v38, v112
	v_fma_f32 v3, v36, v109, -v3
	v_fmac_f32_e32 v23, v39, v111
	v_add_f32_e32 v2, v2, v3
	v_mul_f32_e32 v3, v39, v112
	v_add_f32_e32 v22, v22, v23
	s_waitcnt vmcnt(38)
	v_mul_f32_e32 v23, v40, v114
	v_fma_f32 v3, v38, v111, -v3
	v_fmac_f32_e32 v23, v41, v113
	ds_read2_b64 v[46:49], v1 offset0:107 offset1:108
	ds_read2_b64 v[50:53], v1 offset0:109 offset1:110
	v_add_f32_e32 v2, v2, v3
	v_mul_f32_e32 v3, v41, v114
	v_add_f32_e32 v22, v22, v23
	s_waitcnt vmcnt(36) lgkmcnt(2)
	v_mul_f32_e32 v23, v42, v116
	v_fma_f32 v3, v40, v113, -v3
	v_fmac_f32_e32 v23, v43, v115
	v_add_f32_e32 v2, v2, v3
	v_mul_f32_e32 v3, v43, v116
	v_add_f32_e32 v22, v22, v23
	s_waitcnt vmcnt(34)
	v_mul_f32_e32 v23, v44, v118
	v_fma_f32 v3, v42, v115, -v3
	v_fmac_f32_e32 v23, v45, v117
	v_add_f32_e32 v2, v2, v3
	v_mul_f32_e32 v3, v45, v118
	v_add_f32_e32 v22, v22, v23
	s_waitcnt vmcnt(32) lgkmcnt(1)
	v_mul_f32_e32 v23, v46, v122
	v_fma_f32 v3, v44, v117, -v3
	v_fmac_f32_e32 v23, v47, v119
	v_add_f32_e32 v2, v2, v3
	v_mul_f32_e32 v3, v47, v122
	v_add_f32_e32 v22, v22, v23
	s_waitcnt vmcnt(30)
	v_mul_f32_e32 v23, v48, v124
	v_fma_f32 v3, v46, v119, -v3
	v_fmac_f32_e32 v23, v49, v123
	ds_read2_b64 v[54:57], v1 offset0:111 offset1:112
	ds_read2_b64 v[58:61], v1 offset0:113 offset1:114
	v_add_f32_e32 v2, v2, v3
	v_mul_f32_e32 v3, v49, v124
	v_add_f32_e32 v22, v22, v23
	s_waitcnt vmcnt(28) lgkmcnt(2)
	v_mul_f32_e32 v23, v50, v126
	v_fma_f32 v3, v48, v123, -v3
	v_fmac_f32_e32 v23, v51, v125
	v_add_f32_e32 v2, v2, v3
	v_mul_f32_e32 v3, v51, v126
	v_add_f32_e32 v22, v22, v23
	s_waitcnt vmcnt(26)
	v_mul_f32_e32 v23, v52, v128
	v_fma_f32 v3, v50, v125, -v3
	v_fmac_f32_e32 v23, v53, v127
	v_add_f32_e32 v2, v2, v3
	v_mul_f32_e32 v3, v53, v128
	v_add_f32_e32 v22, v22, v23
	s_waitcnt vmcnt(24) lgkmcnt(1)
	v_mul_f32_e32 v23, v54, v130
	v_fma_f32 v3, v52, v127, -v3
	v_fmac_f32_e32 v23, v55, v129
	v_add_f32_e32 v2, v2, v3
	v_mul_f32_e32 v3, v55, v130
	v_add_f32_e32 v22, v22, v23
	s_waitcnt vmcnt(23)
	v_mul_f32_e32 v23, v56, v131
	v_fma_f32 v3, v54, v129, -v3
	s_waitcnt vmcnt(20)
	v_fmac_f32_e32 v23, v57, v134
	ds_read2_b64 v[62:65], v1 offset0:115 offset1:116
	ds_read2_b64 v[66:69], v1 offset0:117 offset1:118
	v_add_f32_e32 v2, v2, v3
	v_mul_f32_e32 v3, v57, v131
	v_add_f32_e32 v22, v22, v23
	s_waitcnt lgkmcnt(2)
	v_mul_f32_e32 v23, v58, v133
	v_fma_f32 v3, v56, v134, -v3
	v_fmac_f32_e32 v23, v59, v132
	v_add_f32_e32 v2, v2, v3
	v_mul_f32_e32 v3, v59, v133
	v_add_f32_e32 v22, v22, v23
	s_waitcnt vmcnt(18)
	v_mul_f32_e32 v23, v60, v136
	v_fma_f32 v3, v58, v132, -v3
	v_fmac_f32_e32 v23, v61, v135
	v_add_f32_e32 v2, v2, v3
	v_mul_f32_e32 v3, v61, v136
	v_add_f32_e32 v22, v22, v23
	s_waitcnt vmcnt(16) lgkmcnt(1)
	v_mul_f32_e32 v23, v62, v138
	v_fma_f32 v3, v60, v135, -v3
	v_fmac_f32_e32 v23, v63, v137
	v_add_f32_e32 v2, v2, v3
	v_mul_f32_e32 v3, v63, v138
	v_add_f32_e32 v22, v22, v23
	s_waitcnt vmcnt(15)
	v_mul_f32_e32 v23, v64, v139
	v_fma_f32 v3, v62, v137, -v3
	s_waitcnt vmcnt(12)
	v_fmac_f32_e32 v23, v65, v142
	ds_read2_b64 v[70:73], v1 offset0:119 offset1:120
	ds_read2_b64 v[74:77], v1 offset0:121 offset1:122
	v_add_f32_e32 v2, v2, v3
	v_mul_f32_e32 v3, v65, v139
	v_add_f32_e32 v22, v22, v23
	s_waitcnt lgkmcnt(2)
	v_mul_f32_e32 v23, v66, v141
	v_fma_f32 v3, v64, v142, -v3
	v_fmac_f32_e32 v23, v67, v140
	v_add_f32_e32 v2, v2, v3
	v_mul_f32_e32 v3, v67, v141
	v_add_f32_e32 v22, v22, v23
	s_waitcnt vmcnt(10)
	v_mul_f32_e32 v23, v68, v144
	v_fma_f32 v3, v66, v140, -v3
	v_fmac_f32_e32 v23, v69, v143
	v_add_f32_e32 v2, v2, v3
	v_mul_f32_e32 v3, v69, v144
	v_add_f32_e32 v22, v22, v23
	s_waitcnt vmcnt(8) lgkmcnt(1)
	v_mul_f32_e32 v23, v70, v146
	v_fma_f32 v3, v68, v143, -v3
	v_fmac_f32_e32 v23, v71, v145
	v_add_f32_e32 v2, v2, v3
	v_mul_f32_e32 v3, v71, v146
	v_add_f32_e32 v22, v22, v23
	s_waitcnt vmcnt(7)
	v_mul_f32_e32 v23, v72, v147
	v_fma_f32 v3, v70, v145, -v3
	s_waitcnt vmcnt(4)
	v_fmac_f32_e32 v23, v73, v150
	v_add_f32_e32 v2, v2, v3
	v_mul_f32_e32 v3, v73, v147
	v_add_f32_e32 v155, v22, v23
	ds_read_b64 v[22:23], v1 offset:984
	v_fma_f32 v3, v72, v150, -v3
	v_add_f32_e32 v2, v2, v3
	s_waitcnt lgkmcnt(1)
	v_mul_f32_e32 v3, v75, v149
	v_mul_f32_e32 v156, v74, v149
	v_fma_f32 v3, v74, v148, -v3
	v_fmac_f32_e32 v156, v75, v148
	v_add_f32_e32 v2, v2, v3
	s_waitcnt vmcnt(3)
	v_mul_f32_e32 v3, v77, v151
	v_add_f32_e32 v155, v155, v156
	v_mul_f32_e32 v156, v76, v151
	s_waitcnt vmcnt(0)
	v_fma_f32 v3, v76, v154, -v3
	v_fmac_f32_e32 v156, v77, v154
	v_add_f32_e32 v2, v2, v3
	s_waitcnt lgkmcnt(0)
	v_mul_f32_e32 v3, v23, v153
	v_add_f32_e32 v155, v155, v156
	v_mul_f32_e32 v156, v22, v153
	v_fma_f32 v3, v22, v152, -v3
	v_fmac_f32_e32 v156, v23, v152
	v_add_f32_e32 v2, v2, v3
	v_add_f32_e32 v155, v155, v156
	v_sub_f32_e32 v2, v107, v2
	v_sub_f32_e32 v3, v108, v155
	buffer_store_dword v2, off, s[0:3], 0 offset:192
	buffer_store_dword v3, off, s[0:3], 0 offset:196
	s_and_saveexec_b64 s[4:5], vcc
	s_cbranch_execz .LBB61_339
; %bb.338:
	buffer_load_dword v2, off, s[0:3], 0 offset:184
	buffer_load_dword v3, off, s[0:3], 0 offset:188
	s_waitcnt vmcnt(0)
	ds_write_b64 v25, v[2:3]
	buffer_store_dword v1, off, s[0:3], 0 offset:184
	buffer_store_dword v1, off, s[0:3], 0 offset:188
.LBB61_339:
	s_or_b64 exec, exec, s[4:5]
	s_waitcnt lgkmcnt(0)
	; wave barrier
	buffer_load_dword v22, off, s[0:3], 0 offset:196
	buffer_load_dword v23, off, s[0:3], 0 offset:204
	;; [unrolled: 1-line block ×32, first 2 shown]
	ds_read_b128 v[2:5], v1 offset:688
	ds_read_b128 v[6:9], v1 offset:704
	;; [unrolled: 1-line block ×6, first 2 shown]
	buffer_load_dword v111, off, s[0:3], 0 offset:312
	buffer_load_dword v112, off, s[0:3], 0 offset:316
	;; [unrolled: 1-line block ×32, first 2 shown]
	v_cmp_lt_u32_e32 vcc, 22, v0
	s_waitcnt vmcnt(62) lgkmcnt(5)
	v_mul_f32_e32 v30, v2, v22
	v_mul_f32_e32 v31, v4, v23
	s_waitcnt vmcnt(61) lgkmcnt(4)
	v_mul_f32_e32 v32, v6, v24
	s_waitcnt vmcnt(60)
	v_mul_f32_e32 v33, v8, v82
	s_waitcnt vmcnt(59) lgkmcnt(3)
	v_mul_f32_e32 v34, v10, v83
	s_waitcnt vmcnt(58)
	;; [unrolled: 4-line block ×4, first 2 shown]
	v_mul_f32_e32 v39, v20, v88
	s_waitcnt vmcnt(53)
	v_fmac_f32_e32 v32, v7, v89
	s_waitcnt vmcnt(52)
	v_fmac_f32_e32 v31, v5, v90
	;; [unrolled: 2-line block ×3, first 2 shown]
	v_add_f32_e32 v30, 0, v30
	v_add_f32_e32 v30, v30, v31
	;; [unrolled: 1-line block ×3, first 2 shown]
	s_waitcnt vmcnt(47)
	v_fmac_f32_e32 v33, v9, v95
	v_fmac_f32_e32 v34, v11, v94
	v_add_f32_e32 v30, v30, v33
	v_fmac_f32_e32 v35, v13, v93
	v_add_f32_e32 v30, v30, v34
	;; [unrolled: 2-line block ×3, first 2 shown]
	s_waitcnt vmcnt(43)
	v_fmac_f32_e32 v37, v17, v99
	v_add_f32_e32 v30, v30, v36
	v_fmac_f32_e32 v38, v19, v98
	v_add_f32_e32 v30, v30, v37
	;; [unrolled: 2-line block ×3, first 2 shown]
	s_waitcnt vmcnt(42) lgkmcnt(0)
	v_mul_f32_e32 v31, v26, v100
	v_add_f32_e32 v30, v30, v39
	v_fmac_f32_e32 v31, v27, v96
	v_add_f32_e32 v34, v30, v31
	ds_read_b128 v[30:33], v1 offset:784
	buffer_load_dword v145, off, s[0:3], 0 offset:440
	buffer_load_dword v146, off, s[0:3], 0 offset:444
	s_waitcnt vmcnt(43)
	v_mul_f32_e32 v35, v28, v101
	s_waitcnt vmcnt(37)
	v_fmac_f32_e32 v35, v29, v107
	v_add_f32_e32 v38, v34, v35
	ds_read_b128 v[34:37], v1 offset:800
	buffer_load_dword v147, off, s[0:3], 0 offset:448
	buffer_load_dword v148, off, s[0:3], 0 offset:452
	;; [unrolled: 1-line block ×12, first 2 shown]
	v_mul_f32_e32 v3, v3, v22
	v_fma_f32 v2, v2, v91, -v3
	v_mul_f32_e32 v3, v5, v23
	v_add_f32_e32 v2, 0, v2
	v_fma_f32 v3, v4, v90, -v3
	v_add_f32_e32 v2, v2, v3
	v_mul_f32_e32 v3, v7, v24
	v_fma_f32 v3, v6, v89, -v3
	v_add_f32_e32 v2, v2, v3
	v_mul_f32_e32 v3, v9, v82
	v_fma_f32 v3, v8, v95, -v3
	s_waitcnt vmcnt(48) lgkmcnt(1)
	v_mul_f32_e32 v39, v30, v108
	v_add_f32_e32 v2, v2, v3
	v_mul_f32_e32 v3, v11, v83
	v_fmac_f32_e32 v39, v31, v106
	v_fma_f32 v3, v10, v94, -v3
	v_add_f32_e32 v38, v38, v39
	v_mul_f32_e32 v39, v32, v103
	v_add_f32_e32 v2, v2, v3
	v_mul_f32_e32 v3, v13, v84
	v_fmac_f32_e32 v39, v33, v102
	v_fma_f32 v3, v12, v93, -v3
	v_add_f32_e32 v38, v38, v39
	s_waitcnt lgkmcnt(0)
	v_mul_f32_e32 v39, v34, v105
	v_add_f32_e32 v2, v2, v3
	v_mul_f32_e32 v3, v15, v85
	v_fmac_f32_e32 v39, v35, v104
	v_fma_f32 v3, v14, v92, -v3
	v_add_f32_e32 v42, v38, v39
	ds_read_b128 v[38:41], v1 offset:816
	v_add_f32_e32 v2, v2, v3
	v_mul_f32_e32 v3, v17, v86
	v_fma_f32 v3, v16, v99, -v3
	s_waitcnt vmcnt(44)
	v_mul_f32_e32 v43, v36, v112
	v_add_f32_e32 v2, v2, v3
	v_mul_f32_e32 v3, v19, v87
	v_fmac_f32_e32 v43, v37, v111
	v_fma_f32 v3, v18, v98, -v3
	v_add_f32_e32 v46, v42, v43
	ds_read_b128 v[42:45], v1 offset:832
	v_add_f32_e32 v2, v2, v3
	v_mul_f32_e32 v3, v21, v88
	s_waitcnt vmcnt(42) lgkmcnt(1)
	v_mul_f32_e32 v47, v38, v114
	v_fma_f32 v3, v20, v97, -v3
	v_fmac_f32_e32 v47, v39, v113
	v_add_f32_e32 v2, v2, v3
	v_mul_f32_e32 v3, v27, v100
	v_add_f32_e32 v46, v46, v47
	s_waitcnt vmcnt(40)
	v_mul_f32_e32 v47, v40, v116
	v_fma_f32 v3, v26, v96, -v3
	v_fmac_f32_e32 v47, v41, v115
	v_add_f32_e32 v2, v2, v3
	v_mul_f32_e32 v3, v29, v101
	v_add_f32_e32 v46, v46, v47
	s_waitcnt vmcnt(38) lgkmcnt(0)
	v_mul_f32_e32 v47, v42, v118
	v_fma_f32 v3, v28, v107, -v3
	v_fmac_f32_e32 v47, v43, v117
	v_add_f32_e32 v2, v2, v3
	v_mul_f32_e32 v3, v31, v108
	v_add_f32_e32 v50, v46, v47
	ds_read_b128 v[46:49], v1 offset:848
	v_fma_f32 v3, v30, v106, -v3
	v_add_f32_e32 v2, v2, v3
	v_mul_f32_e32 v3, v33, v103
	s_waitcnt vmcnt(36)
	v_mul_f32_e32 v51, v44, v122
	v_fma_f32 v3, v32, v102, -v3
	v_fmac_f32_e32 v51, v45, v119
	v_add_f32_e32 v2, v2, v3
	v_mul_f32_e32 v3, v35, v105
	v_add_f32_e32 v54, v50, v51
	ds_read_b128 v[50:53], v1 offset:864
	v_fma_f32 v3, v34, v104, -v3
	s_waitcnt vmcnt(34) lgkmcnt(1)
	v_mul_f32_e32 v55, v46, v124
	v_add_f32_e32 v2, v2, v3
	v_mul_f32_e32 v3, v37, v112
	v_fmac_f32_e32 v55, v47, v123
	v_fma_f32 v3, v36, v111, -v3
	v_add_f32_e32 v54, v54, v55
	s_waitcnt vmcnt(32)
	v_mul_f32_e32 v55, v48, v126
	v_add_f32_e32 v2, v2, v3
	v_mul_f32_e32 v3, v39, v114
	v_fmac_f32_e32 v55, v49, v125
	v_fma_f32 v3, v38, v113, -v3
	v_add_f32_e32 v54, v54, v55
	s_waitcnt vmcnt(30) lgkmcnt(0)
	v_mul_f32_e32 v55, v50, v128
	v_add_f32_e32 v2, v2, v3
	v_mul_f32_e32 v3, v41, v116
	v_fmac_f32_e32 v55, v51, v127
	v_fma_f32 v3, v40, v115, -v3
	v_add_f32_e32 v58, v54, v55
	ds_read_b128 v[54:57], v1 offset:880
	v_add_f32_e32 v2, v2, v3
	v_mul_f32_e32 v3, v43, v118
	v_fma_f32 v3, v42, v117, -v3
	s_waitcnt vmcnt(28)
	v_mul_f32_e32 v59, v52, v130
	v_add_f32_e32 v2, v2, v3
	v_mul_f32_e32 v3, v45, v122
	v_fmac_f32_e32 v59, v53, v129
	v_fma_f32 v3, v44, v119, -v3
	v_add_f32_e32 v62, v58, v59
	ds_read_b128 v[58:61], v1 offset:896
	v_add_f32_e32 v2, v2, v3
	v_mul_f32_e32 v3, v47, v124
	s_waitcnt vmcnt(26) lgkmcnt(1)
	v_mul_f32_e32 v63, v54, v132
	v_fma_f32 v3, v46, v123, -v3
	v_fmac_f32_e32 v63, v55, v131
	v_add_f32_e32 v2, v2, v3
	v_mul_f32_e32 v3, v49, v126
	v_add_f32_e32 v62, v62, v63
	s_waitcnt vmcnt(25)
	v_mul_f32_e32 v63, v56, v133
	v_fma_f32 v3, v48, v125, -v3
	s_waitcnt vmcnt(22)
	v_fmac_f32_e32 v63, v57, v136
	v_add_f32_e32 v2, v2, v3
	v_mul_f32_e32 v3, v51, v128
	v_add_f32_e32 v62, v62, v63
	s_waitcnt lgkmcnt(0)
	v_mul_f32_e32 v63, v58, v135
	v_fma_f32 v3, v50, v127, -v3
	v_fmac_f32_e32 v63, v59, v134
	v_add_f32_e32 v2, v2, v3
	v_mul_f32_e32 v3, v53, v130
	v_add_f32_e32 v66, v62, v63
	ds_read_b128 v[62:65], v1 offset:912
	v_fma_f32 v3, v52, v129, -v3
	v_add_f32_e32 v2, v2, v3
	v_mul_f32_e32 v3, v55, v132
	s_waitcnt vmcnt(20)
	v_mul_f32_e32 v67, v60, v138
	v_fma_f32 v3, v54, v131, -v3
	v_fmac_f32_e32 v67, v61, v137
	v_add_f32_e32 v2, v2, v3
	v_mul_f32_e32 v3, v57, v133
	v_add_f32_e32 v70, v66, v67
	ds_read_b128 v[66:69], v1 offset:928
	v_fma_f32 v3, v56, v136, -v3
	s_waitcnt vmcnt(18) lgkmcnt(1)
	v_mul_f32_e32 v71, v62, v140
	v_add_f32_e32 v2, v2, v3
	v_mul_f32_e32 v3, v59, v135
	v_fmac_f32_e32 v71, v63, v139
	v_fma_f32 v3, v58, v134, -v3
	v_add_f32_e32 v70, v70, v71
	s_waitcnt vmcnt(17)
	v_mul_f32_e32 v71, v64, v141
	v_add_f32_e32 v2, v2, v3
	v_mul_f32_e32 v3, v61, v138
	s_waitcnt vmcnt(14)
	v_fmac_f32_e32 v71, v65, v144
	v_fma_f32 v3, v60, v137, -v3
	v_add_f32_e32 v70, v70, v71
	s_waitcnt lgkmcnt(0)
	v_mul_f32_e32 v71, v66, v143
	v_add_f32_e32 v2, v2, v3
	v_mul_f32_e32 v3, v63, v140
	v_fmac_f32_e32 v71, v67, v142
	v_fma_f32 v3, v62, v139, -v3
	v_add_f32_e32 v74, v70, v71
	ds_read_b128 v[70:73], v1 offset:944
	v_add_f32_e32 v2, v2, v3
	v_mul_f32_e32 v3, v65, v141
	v_fma_f32 v3, v64, v144, -v3
	v_add_f32_e32 v2, v2, v3
	v_mul_f32_e32 v3, v67, v143
	s_waitcnt vmcnt(12)
	v_mul_f32_e32 v75, v68, v146
	v_fma_f32 v3, v66, v142, -v3
	v_fmac_f32_e32 v75, v69, v145
	v_add_f32_e32 v2, v2, v3
	v_mul_f32_e32 v3, v69, v146
	v_add_f32_e32 v78, v74, v75
	ds_read_b128 v[74:77], v1 offset:960
	s_waitcnt vmcnt(10) lgkmcnt(1)
	v_mul_f32_e32 v79, v70, v148
	v_fma_f32 v3, v68, v145, -v3
	v_fmac_f32_e32 v79, v71, v147
	v_add_f32_e32 v2, v2, v3
	v_mul_f32_e32 v3, v71, v148
	v_add_f32_e32 v78, v78, v79
	s_waitcnt vmcnt(9)
	v_mul_f32_e32 v79, v72, v149
	v_fma_f32 v3, v70, v147, -v3
	s_waitcnt vmcnt(6)
	v_fmac_f32_e32 v79, v73, v152
	v_add_f32_e32 v2, v2, v3
	v_mul_f32_e32 v3, v73, v149
	v_add_f32_e32 v159, v78, v79
	ds_read_b128 v[78:81], v1 offset:976
	v_fma_f32 v3, v72, v152, -v3
	v_add_f32_e32 v2, v2, v3
	s_waitcnt lgkmcnt(1)
	v_mul_f32_e32 v3, v75, v151
	v_mul_f32_e32 v160, v74, v151
	v_fma_f32 v3, v74, v150, -v3
	v_fmac_f32_e32 v160, v75, v150
	v_add_f32_e32 v2, v2, v3
	s_waitcnt vmcnt(4)
	v_mul_f32_e32 v3, v77, v154
	v_add_f32_e32 v1, v159, v160
	v_mul_f32_e32 v159, v76, v154
	v_fma_f32 v3, v76, v153, -v3
	v_fmac_f32_e32 v159, v77, v153
	v_add_f32_e32 v2, v2, v3
	s_waitcnt vmcnt(3) lgkmcnt(0)
	v_mul_f32_e32 v3, v79, v155
	v_add_f32_e32 v1, v1, v159
	v_mul_f32_e32 v159, v78, v155
	s_waitcnt vmcnt(0)
	v_fma_f32 v3, v78, v158, -v3
	v_fmac_f32_e32 v159, v79, v158
	v_add_f32_e32 v2, v2, v3
	v_mul_f32_e32 v3, v81, v157
	v_add_f32_e32 v1, v1, v159
	v_mul_f32_e32 v159, v80, v157
	v_fma_f32 v3, v80, v156, -v3
	v_fmac_f32_e32 v159, v81, v156
	v_add_f32_e32 v2, v2, v3
	v_add_f32_e32 v1, v1, v159
	v_sub_f32_e32 v2, v109, v2
	v_sub_f32_e32 v1, v110, v1
	buffer_store_dword v2, off, s[0:3], 0 offset:184
	buffer_store_dword v1, off, s[0:3], 0 offset:188
	s_and_saveexec_b64 s[4:5], vcc
	s_cbranch_execz .LBB61_341
; %bb.340:
	buffer_load_dword v1, off, s[0:3], 0 offset:176
	buffer_load_dword v2, off, s[0:3], 0 offset:180
	v_mov_b32_e32 v3, 0
	buffer_store_dword v3, off, s[0:3], 0 offset:176
	buffer_store_dword v3, off, s[0:3], 0 offset:180
	s_waitcnt vmcnt(2)
	ds_write_b64 v25, v[1:2]
.LBB61_341:
	s_or_b64 exec, exec, s[4:5]
	s_waitcnt lgkmcnt(0)
	; wave barrier
	buffer_load_dword v24, off, s[0:3], 0 offset:188
	buffer_load_dword v82, off, s[0:3], 0 offset:196
	;; [unrolled: 1-line block ×50, first 2 shown]
	v_mov_b32_e32 v1, 0
	ds_read2_b64 v[2:5], v1 offset0:85 offset1:86
	ds_read2_b64 v[6:9], v1 offset0:87 offset1:88
	;; [unrolled: 1-line block ×6, first 2 shown]
	buffer_load_dword v133, off, s[0:3], 0 offset:376
	buffer_load_dword v134, off, s[0:3], 0 offset:380
	;; [unrolled: 1-line block ×8, first 2 shown]
	v_cmp_lt_u32_e32 vcc, 21, v0
	s_waitcnt vmcnt(57) lgkmcnt(5)
	v_mul_f32_e32 v22, v2, v24
	s_waitcnt vmcnt(56)
	v_mul_f32_e32 v23, v4, v82
	s_waitcnt vmcnt(55) lgkmcnt(4)
	v_mul_f32_e32 v30, v6, v83
	s_waitcnt vmcnt(54)
	v_mul_f32_e32 v31, v8, v84
	;; [unrolled: 4-line block ×5, first 2 shown]
	s_waitcnt vmcnt(47) lgkmcnt(0)
	v_mul_f32_e32 v38, v26, v91
	s_waitcnt vmcnt(46)
	v_fmac_f32_e32 v30, v7, v92
	s_waitcnt vmcnt(45)
	v_fmac_f32_e32 v23, v5, v93
	;; [unrolled: 2-line block ×3, first 2 shown]
	v_add_f32_e32 v22, 0, v22
	v_add_f32_e32 v22, v22, v23
	;; [unrolled: 1-line block ×3, first 2 shown]
	s_waitcnt vmcnt(40)
	v_fmac_f32_e32 v31, v9, v98
	v_fmac_f32_e32 v32, v11, v97
	v_add_f32_e32 v22, v22, v31
	v_fmac_f32_e32 v33, v13, v96
	v_add_f32_e32 v22, v22, v32
	;; [unrolled: 2-line block ×3, first 2 shown]
	s_waitcnt vmcnt(36)
	v_fmac_f32_e32 v35, v17, v102
	v_add_f32_e32 v22, v22, v34
	ds_read2_b64 v[30:33], v1 offset0:97 offset1:98
	buffer_load_dword v141, off, s[0:3], 0 offset:408
	buffer_load_dword v142, off, s[0:3], 0 offset:412
	;; [unrolled: 1-line block ×6, first 2 shown]
	v_fmac_f32_e32 v36, v19, v101
	v_add_f32_e32 v22, v22, v35
	v_fmac_f32_e32 v37, v21, v100
	v_add_f32_e32 v22, v22, v36
	v_add_f32_e32 v22, v22, v37
	ds_read2_b64 v[34:37], v1 offset0:99 offset1:100
	buffer_load_dword v147, off, s[0:3], 0 offset:432
	buffer_load_dword v148, off, s[0:3], 0 offset:436
	;; [unrolled: 1-line block ×16, first 2 shown]
	v_mul_f32_e32 v3, v3, v24
	v_fma_f32 v2, v2, v94, -v3
	v_mul_f32_e32 v3, v5, v82
	v_add_f32_e32 v2, 0, v2
	v_fma_f32 v3, v4, v93, -v3
	v_add_f32_e32 v2, v2, v3
	v_mul_f32_e32 v3, v7, v83
	v_fma_f32 v3, v6, v92, -v3
	v_add_f32_e32 v2, v2, v3
	v_mul_f32_e32 v3, v9, v84
	v_fma_f32 v3, v8, v98, -v3
	v_add_f32_e32 v2, v2, v3
	v_mul_f32_e32 v3, v11, v85
	v_fma_f32 v3, v10, v97, -v3
	v_add_f32_e32 v2, v2, v3
	v_mul_f32_e32 v3, v13, v86
	v_fma_f32 v3, v12, v96, -v3
	v_add_f32_e32 v2, v2, v3
	v_mul_f32_e32 v3, v15, v87
	v_fma_f32 v3, v14, v95, -v3
	v_add_f32_e32 v2, v2, v3
	v_mul_f32_e32 v3, v17, v88
	v_fma_f32 v3, v16, v102, -v3
	v_add_f32_e32 v2, v2, v3
	v_mul_f32_e32 v3, v19, v89
	v_fma_f32 v3, v18, v101, -v3
	v_add_f32_e32 v2, v2, v3
	v_mul_f32_e32 v3, v21, v90
	v_fma_f32 v3, v20, v100, -v3
	v_add_f32_e32 v2, v2, v3
	v_mul_f32_e32 v3, v27, v91
	v_fmac_f32_e32 v38, v27, v99
	s_waitcnt vmcnt(57)
	v_mul_f32_e32 v23, v28, v103
	v_fma_f32 v3, v26, v99, -v3
	v_add_f32_e32 v22, v22, v38
	s_waitcnt vmcnt(50)
	v_fmac_f32_e32 v23, v29, v110
	v_add_f32_e32 v2, v2, v3
	v_mul_f32_e32 v3, v29, v103
	v_add_f32_e32 v22, v22, v23
	s_waitcnt lgkmcnt(1)
	v_mul_f32_e32 v23, v30, v105
	v_fma_f32 v3, v28, v110, -v3
	v_fmac_f32_e32 v23, v31, v104
	v_add_f32_e32 v2, v2, v3
	v_mul_f32_e32 v3, v31, v105
	v_add_f32_e32 v22, v22, v23
	v_mul_f32_e32 v23, v32, v107
	v_fma_f32 v3, v30, v104, -v3
	v_fmac_f32_e32 v23, v33, v106
	ds_read2_b64 v[38:41], v1 offset0:101 offset1:102
	ds_read2_b64 v[42:45], v1 offset0:103 offset1:104
	v_add_f32_e32 v2, v2, v3
	v_mul_f32_e32 v3, v33, v107
	v_add_f32_e32 v22, v22, v23
	s_waitcnt lgkmcnt(2)
	v_mul_f32_e32 v23, v34, v109
	v_fma_f32 v3, v32, v106, -v3
	v_fmac_f32_e32 v23, v35, v108
	v_add_f32_e32 v2, v2, v3
	v_mul_f32_e32 v3, v35, v109
	v_add_f32_e32 v22, v22, v23
	s_waitcnt vmcnt(46)
	v_mul_f32_e32 v23, v36, v114
	v_fma_f32 v3, v34, v108, -v3
	v_fmac_f32_e32 v23, v37, v113
	v_add_f32_e32 v2, v2, v3
	v_mul_f32_e32 v3, v37, v114
	v_add_f32_e32 v22, v22, v23
	s_waitcnt vmcnt(44) lgkmcnt(1)
	v_mul_f32_e32 v23, v38, v116
	v_fma_f32 v3, v36, v113, -v3
	v_fmac_f32_e32 v23, v39, v115
	v_add_f32_e32 v2, v2, v3
	v_mul_f32_e32 v3, v39, v116
	v_add_f32_e32 v22, v22, v23
	s_waitcnt vmcnt(42)
	v_mul_f32_e32 v23, v40, v118
	v_fma_f32 v3, v38, v115, -v3
	v_fmac_f32_e32 v23, v41, v117
	ds_read2_b64 v[46:49], v1 offset0:105 offset1:106
	ds_read2_b64 v[50:53], v1 offset0:107 offset1:108
	v_add_f32_e32 v2, v2, v3
	v_mul_f32_e32 v3, v41, v118
	v_add_f32_e32 v22, v22, v23
	s_waitcnt vmcnt(40) lgkmcnt(2)
	v_mul_f32_e32 v23, v42, v122
	v_fma_f32 v3, v40, v117, -v3
	v_fmac_f32_e32 v23, v43, v119
	v_add_f32_e32 v2, v2, v3
	v_mul_f32_e32 v3, v43, v122
	v_add_f32_e32 v22, v22, v23
	s_waitcnt vmcnt(38)
	v_mul_f32_e32 v23, v44, v124
	v_fma_f32 v3, v42, v119, -v3
	v_fmac_f32_e32 v23, v45, v123
	v_add_f32_e32 v2, v2, v3
	v_mul_f32_e32 v3, v45, v124
	v_add_f32_e32 v22, v22, v23
	s_waitcnt vmcnt(36) lgkmcnt(1)
	v_mul_f32_e32 v23, v46, v126
	v_fma_f32 v3, v44, v123, -v3
	v_fmac_f32_e32 v23, v47, v125
	v_add_f32_e32 v2, v2, v3
	v_mul_f32_e32 v3, v47, v126
	v_add_f32_e32 v22, v22, v23
	s_waitcnt vmcnt(34)
	v_mul_f32_e32 v23, v48, v128
	v_fma_f32 v3, v46, v125, -v3
	v_fmac_f32_e32 v23, v49, v127
	ds_read2_b64 v[54:57], v1 offset0:109 offset1:110
	ds_read2_b64 v[58:61], v1 offset0:111 offset1:112
	v_add_f32_e32 v2, v2, v3
	v_mul_f32_e32 v3, v49, v128
	v_add_f32_e32 v22, v22, v23
	s_waitcnt vmcnt(32) lgkmcnt(2)
	v_mul_f32_e32 v23, v50, v130
	v_fma_f32 v3, v48, v127, -v3
	v_fmac_f32_e32 v23, v51, v129
	v_add_f32_e32 v2, v2, v3
	v_mul_f32_e32 v3, v51, v130
	v_add_f32_e32 v22, v22, v23
	s_waitcnt vmcnt(30)
	v_mul_f32_e32 v23, v52, v132
	v_fma_f32 v3, v50, v129, -v3
	v_fmac_f32_e32 v23, v53, v131
	v_add_f32_e32 v2, v2, v3
	v_mul_f32_e32 v3, v53, v132
	v_add_f32_e32 v22, v22, v23
	s_waitcnt vmcnt(28) lgkmcnt(1)
	v_mul_f32_e32 v23, v54, v134
	v_fma_f32 v3, v52, v131, -v3
	v_fmac_f32_e32 v23, v55, v133
	v_add_f32_e32 v2, v2, v3
	v_mul_f32_e32 v3, v55, v134
	v_add_f32_e32 v22, v22, v23
	s_waitcnt vmcnt(27)
	v_mul_f32_e32 v23, v56, v135
	v_fma_f32 v3, v54, v133, -v3
	s_waitcnt vmcnt(24)
	v_fmac_f32_e32 v23, v57, v138
	ds_read2_b64 v[62:65], v1 offset0:113 offset1:114
	ds_read2_b64 v[66:69], v1 offset0:115 offset1:116
	v_add_f32_e32 v2, v2, v3
	v_mul_f32_e32 v3, v57, v135
	v_add_f32_e32 v22, v22, v23
	s_waitcnt lgkmcnt(2)
	v_mul_f32_e32 v23, v58, v137
	v_fma_f32 v3, v56, v138, -v3
	v_fmac_f32_e32 v23, v59, v136
	v_add_f32_e32 v2, v2, v3
	v_mul_f32_e32 v3, v59, v137
	v_add_f32_e32 v22, v22, v23
	s_waitcnt vmcnt(22)
	v_mul_f32_e32 v23, v60, v140
	v_fma_f32 v3, v58, v136, -v3
	v_fmac_f32_e32 v23, v61, v139
	v_add_f32_e32 v2, v2, v3
	v_mul_f32_e32 v3, v61, v140
	v_add_f32_e32 v22, v22, v23
	s_waitcnt vmcnt(20) lgkmcnt(1)
	v_mul_f32_e32 v23, v62, v142
	v_fma_f32 v3, v60, v139, -v3
	v_fmac_f32_e32 v23, v63, v141
	v_add_f32_e32 v2, v2, v3
	v_mul_f32_e32 v3, v63, v142
	v_add_f32_e32 v22, v22, v23
	s_waitcnt vmcnt(19)
	v_mul_f32_e32 v23, v64, v143
	v_fma_f32 v3, v62, v141, -v3
	s_waitcnt vmcnt(16)
	v_fmac_f32_e32 v23, v65, v146
	ds_read2_b64 v[70:73], v1 offset0:117 offset1:118
	ds_read2_b64 v[74:77], v1 offset0:119 offset1:120
	v_add_f32_e32 v2, v2, v3
	v_mul_f32_e32 v3, v65, v143
	v_add_f32_e32 v22, v22, v23
	s_waitcnt lgkmcnt(2)
	v_mul_f32_e32 v23, v66, v145
	v_fma_f32 v3, v64, v146, -v3
	v_fmac_f32_e32 v23, v67, v144
	v_add_f32_e32 v2, v2, v3
	v_mul_f32_e32 v3, v67, v145
	v_add_f32_e32 v22, v22, v23
	s_waitcnt vmcnt(14)
	v_mul_f32_e32 v23, v68, v148
	v_fma_f32 v3, v66, v144, -v3
	v_fmac_f32_e32 v23, v69, v147
	v_add_f32_e32 v2, v2, v3
	v_mul_f32_e32 v3, v69, v148
	v_add_f32_e32 v22, v22, v23
	s_waitcnt vmcnt(12) lgkmcnt(1)
	v_mul_f32_e32 v23, v70, v150
	v_fma_f32 v3, v68, v147, -v3
	v_fmac_f32_e32 v23, v71, v149
	v_add_f32_e32 v2, v2, v3
	v_mul_f32_e32 v3, v71, v150
	v_add_f32_e32 v22, v22, v23
	s_waitcnt vmcnt(11)
	v_mul_f32_e32 v23, v72, v151
	v_fma_f32 v3, v70, v149, -v3
	s_waitcnt vmcnt(8)
	v_fmac_f32_e32 v23, v73, v154
	v_add_f32_e32 v2, v2, v3
	v_mul_f32_e32 v3, v73, v151
	v_add_f32_e32 v22, v22, v23
	s_waitcnt lgkmcnt(0)
	v_mul_f32_e32 v23, v74, v153
	ds_read2_b64 v[78:81], v1 offset0:121 offset1:122
	v_fma_f32 v3, v72, v154, -v3
	v_fmac_f32_e32 v23, v75, v152
	v_add_f32_e32 v2, v2, v3
	v_mul_f32_e32 v3, v75, v153
	v_add_f32_e32 v22, v22, v23
	s_waitcnt vmcnt(6)
	v_mul_f32_e32 v23, v76, v156
	v_fma_f32 v3, v74, v152, -v3
	v_fmac_f32_e32 v23, v77, v155
	v_add_f32_e32 v2, v2, v3
	v_mul_f32_e32 v3, v77, v156
	v_add_f32_e32 v163, v22, v23
	ds_read_b64 v[22:23], v1 offset:984
	v_fma_f32 v3, v76, v155, -v3
	v_add_f32_e32 v2, v2, v3
	s_waitcnt vmcnt(4) lgkmcnt(1)
	v_mul_f32_e32 v3, v79, v158
	v_mul_f32_e32 v164, v78, v158
	v_fma_f32 v3, v78, v157, -v3
	v_fmac_f32_e32 v164, v79, v157
	v_add_f32_e32 v2, v2, v3
	s_waitcnt vmcnt(3)
	v_mul_f32_e32 v3, v81, v159
	v_add_f32_e32 v163, v163, v164
	v_mul_f32_e32 v164, v80, v159
	s_waitcnt vmcnt(0)
	v_fma_f32 v3, v80, v162, -v3
	v_fmac_f32_e32 v164, v81, v162
	v_add_f32_e32 v2, v2, v3
	s_waitcnt lgkmcnt(0)
	v_mul_f32_e32 v3, v23, v161
	v_add_f32_e32 v163, v163, v164
	v_mul_f32_e32 v164, v22, v161
	v_fma_f32 v3, v22, v160, -v3
	v_fmac_f32_e32 v164, v23, v160
	v_add_f32_e32 v2, v2, v3
	v_add_f32_e32 v163, v163, v164
	v_sub_f32_e32 v2, v111, v2
	v_sub_f32_e32 v3, v112, v163
	buffer_store_dword v2, off, s[0:3], 0 offset:176
	buffer_store_dword v3, off, s[0:3], 0 offset:180
	s_and_saveexec_b64 s[4:5], vcc
	s_cbranch_execz .LBB61_343
; %bb.342:
	buffer_load_dword v2, off, s[0:3], 0 offset:168
	buffer_load_dword v3, off, s[0:3], 0 offset:172
	s_waitcnt vmcnt(0)
	ds_write_b64 v25, v[2:3]
	buffer_store_dword v1, off, s[0:3], 0 offset:168
	buffer_store_dword v1, off, s[0:3], 0 offset:172
.LBB61_343:
	s_or_b64 exec, exec, s[4:5]
	s_waitcnt lgkmcnt(0)
	; wave barrier
	buffer_load_dword v22, off, s[0:3], 0 offset:180
	buffer_load_dword v23, off, s[0:3], 0 offset:188
	;; [unrolled: 1-line block ×32, first 2 shown]
	ds_read_b128 v[2:5], v1 offset:672
	ds_read_b128 v[6:9], v1 offset:688
	;; [unrolled: 1-line block ×6, first 2 shown]
	buffer_load_dword v115, off, s[0:3], 0 offset:296
	buffer_load_dword v116, off, s[0:3], 0 offset:300
	;; [unrolled: 1-line block ×26, first 2 shown]
	v_cmp_lt_u32_e32 vcc, 20, v0
	s_waitcnt vmcnt(57) lgkmcnt(5)
	v_mul_f32_e32 v30, v2, v22
	s_waitcnt vmcnt(56)
	v_mul_f32_e32 v31, v4, v23
	s_waitcnt vmcnt(55) lgkmcnt(4)
	v_mul_f32_e32 v32, v6, v24
	s_waitcnt vmcnt(54)
	v_mul_f32_e32 v33, v8, v86
	;; [unrolled: 4-line block ×5, first 2 shown]
	s_waitcnt vmcnt(47) lgkmcnt(0)
	v_mul_f32_e32 v40, v26, v93
	s_waitcnt vmcnt(46)
	v_fmac_f32_e32 v32, v7, v94
	s_waitcnt vmcnt(45)
	v_fmac_f32_e32 v31, v5, v95
	;; [unrolled: 2-line block ×3, first 2 shown]
	v_add_f32_e32 v30, 0, v30
	v_add_f32_e32 v30, v30, v31
	;; [unrolled: 1-line block ×3, first 2 shown]
	s_waitcnt vmcnt(40)
	v_fmac_f32_e32 v33, v9, v100
	v_fmac_f32_e32 v34, v11, v99
	v_add_f32_e32 v30, v30, v33
	v_fmac_f32_e32 v35, v13, v98
	v_add_f32_e32 v30, v30, v34
	v_fmac_f32_e32 v36, v15, v97
	v_add_f32_e32 v30, v30, v35
	s_waitcnt vmcnt(36)
	v_fmac_f32_e32 v37, v17, v104
	v_add_f32_e32 v30, v30, v36
	v_fmac_f32_e32 v38, v19, v103
	v_add_f32_e32 v30, v30, v37
	;; [unrolled: 2-line block ×4, first 2 shown]
	v_add_f32_e32 v34, v30, v40
	ds_read_b128 v[30:33], v1 offset:768
	buffer_load_dword v143, off, s[0:3], 0 offset:400
	buffer_load_dword v144, off, s[0:3], 0 offset:404
	;; [unrolled: 1-line block ×6, first 2 shown]
	s_waitcnt vmcnt(41)
	v_mul_f32_e32 v35, v28, v105
	s_waitcnt vmcnt(35)
	v_fmac_f32_e32 v35, v29, v111
	v_add_f32_e32 v38, v34, v35
	ds_read_b128 v[34:37], v1 offset:784
	buffer_load_dword v149, off, s[0:3], 0 offset:424
	buffer_load_dword v150, off, s[0:3], 0 offset:428
	;; [unrolled: 1-line block ×10, first 2 shown]
	s_waitcnt vmcnt(44) lgkmcnt(1)
	v_mul_f32_e32 v39, v30, v112
	v_fmac_f32_e32 v39, v31, v110
	v_add_f32_e32 v38, v38, v39
	v_mul_f32_e32 v39, v32, v107
	v_fmac_f32_e32 v39, v33, v106
	v_add_f32_e32 v38, v38, v39
	s_waitcnt lgkmcnt(0)
	v_mul_f32_e32 v39, v34, v109
	buffer_load_dword v159, off, s[0:3], 0 offset:464
	buffer_load_dword v160, off, s[0:3], 0 offset:468
	;; [unrolled: 1-line block ×6, first 2 shown]
	v_fmac_f32_e32 v39, v35, v108
	s_waitcnt vmcnt(46)
	v_mul_f32_e32 v43, v36, v116
	v_add_f32_e32 v42, v38, v39
	v_fmac_f32_e32 v43, v37, v115
	ds_read_b128 v[38:41], v1 offset:800
	v_add_f32_e32 v46, v42, v43
	ds_read_b128 v[42:45], v1 offset:816
	buffer_load_dword v165, off, s[0:3], 0 offset:488
	buffer_load_dword v166, off, s[0:3], 0 offset:492
	v_mul_f32_e32 v3, v3, v22
	v_fma_f32 v2, v2, v96, -v3
	v_mul_f32_e32 v3, v5, v23
	v_add_f32_e32 v2, 0, v2
	v_fma_f32 v3, v4, v95, -v3
	v_add_f32_e32 v2, v2, v3
	v_mul_f32_e32 v3, v7, v24
	v_fma_f32 v3, v6, v94, -v3
	v_add_f32_e32 v2, v2, v3
	v_mul_f32_e32 v3, v9, v86
	v_fma_f32 v3, v8, v100, -v3
	v_add_f32_e32 v2, v2, v3
	v_mul_f32_e32 v3, v11, v87
	v_fma_f32 v3, v10, v99, -v3
	v_add_f32_e32 v2, v2, v3
	v_mul_f32_e32 v3, v13, v88
	v_fma_f32 v3, v12, v98, -v3
	v_add_f32_e32 v2, v2, v3
	v_mul_f32_e32 v3, v15, v89
	v_fma_f32 v3, v14, v97, -v3
	v_add_f32_e32 v2, v2, v3
	v_mul_f32_e32 v3, v17, v90
	v_fma_f32 v3, v16, v104, -v3
	v_add_f32_e32 v2, v2, v3
	v_mul_f32_e32 v3, v19, v91
	s_waitcnt vmcnt(46) lgkmcnt(1)
	v_mul_f32_e32 v47, v38, v118
	v_fma_f32 v3, v18, v103, -v3
	v_fmac_f32_e32 v47, v39, v117
	v_add_f32_e32 v2, v2, v3
	v_mul_f32_e32 v3, v21, v92
	v_add_f32_e32 v46, v46, v47
	s_waitcnt vmcnt(44)
	v_mul_f32_e32 v47, v40, v122
	v_fma_f32 v3, v20, v102, -v3
	v_fmac_f32_e32 v47, v41, v119
	v_add_f32_e32 v2, v2, v3
	v_mul_f32_e32 v3, v27, v93
	v_add_f32_e32 v46, v46, v47
	s_waitcnt vmcnt(42) lgkmcnt(0)
	v_mul_f32_e32 v47, v42, v124
	v_fma_f32 v3, v26, v101, -v3
	v_fmac_f32_e32 v47, v43, v123
	v_add_f32_e32 v2, v2, v3
	v_mul_f32_e32 v3, v29, v105
	v_add_f32_e32 v50, v46, v47
	ds_read_b128 v[46:49], v1 offset:832
	v_fma_f32 v3, v28, v111, -v3
	v_add_f32_e32 v2, v2, v3
	v_mul_f32_e32 v3, v31, v112
	s_waitcnt vmcnt(40)
	v_mul_f32_e32 v51, v44, v126
	v_fma_f32 v3, v30, v110, -v3
	v_fmac_f32_e32 v51, v45, v125
	v_add_f32_e32 v2, v2, v3
	v_mul_f32_e32 v3, v33, v107
	v_add_f32_e32 v54, v50, v51
	ds_read_b128 v[50:53], v1 offset:848
	v_fma_f32 v3, v32, v106, -v3
	s_waitcnt vmcnt(38) lgkmcnt(1)
	v_mul_f32_e32 v55, v46, v128
	v_add_f32_e32 v2, v2, v3
	v_mul_f32_e32 v3, v35, v109
	v_fmac_f32_e32 v55, v47, v127
	v_fma_f32 v3, v34, v108, -v3
	v_add_f32_e32 v54, v54, v55
	s_waitcnt vmcnt(36)
	v_mul_f32_e32 v55, v48, v130
	v_add_f32_e32 v2, v2, v3
	v_mul_f32_e32 v3, v37, v116
	v_fmac_f32_e32 v55, v49, v129
	v_fma_f32 v3, v36, v115, -v3
	v_add_f32_e32 v54, v54, v55
	s_waitcnt vmcnt(34) lgkmcnt(0)
	v_mul_f32_e32 v55, v50, v132
	v_add_f32_e32 v2, v2, v3
	v_mul_f32_e32 v3, v39, v118
	v_fmac_f32_e32 v55, v51, v131
	v_fma_f32 v3, v38, v117, -v3
	v_add_f32_e32 v58, v54, v55
	ds_read_b128 v[54:57], v1 offset:864
	v_add_f32_e32 v2, v2, v3
	v_mul_f32_e32 v3, v41, v122
	v_fma_f32 v3, v40, v119, -v3
	s_waitcnt vmcnt(32)
	v_mul_f32_e32 v59, v52, v134
	v_add_f32_e32 v2, v2, v3
	v_mul_f32_e32 v3, v43, v124
	v_fmac_f32_e32 v59, v53, v133
	v_fma_f32 v3, v42, v123, -v3
	v_add_f32_e32 v62, v58, v59
	ds_read_b128 v[58:61], v1 offset:880
	v_add_f32_e32 v2, v2, v3
	v_mul_f32_e32 v3, v45, v126
	s_waitcnt vmcnt(30) lgkmcnt(1)
	v_mul_f32_e32 v63, v54, v136
	v_fma_f32 v3, v44, v125, -v3
	v_fmac_f32_e32 v63, v55, v135
	v_add_f32_e32 v2, v2, v3
	v_mul_f32_e32 v3, v47, v128
	v_add_f32_e32 v62, v62, v63
	s_waitcnt vmcnt(29)
	v_mul_f32_e32 v63, v56, v137
	v_fma_f32 v3, v46, v127, -v3
	s_waitcnt vmcnt(26)
	v_fmac_f32_e32 v63, v57, v140
	v_add_f32_e32 v2, v2, v3
	v_mul_f32_e32 v3, v49, v130
	v_add_f32_e32 v62, v62, v63
	s_waitcnt lgkmcnt(0)
	v_mul_f32_e32 v63, v58, v139
	v_fma_f32 v3, v48, v129, -v3
	v_fmac_f32_e32 v63, v59, v138
	v_add_f32_e32 v2, v2, v3
	v_mul_f32_e32 v3, v51, v132
	v_add_f32_e32 v66, v62, v63
	ds_read_b128 v[62:65], v1 offset:896
	v_fma_f32 v3, v50, v131, -v3
	v_add_f32_e32 v2, v2, v3
	v_mul_f32_e32 v3, v53, v134
	s_waitcnt vmcnt(24)
	v_mul_f32_e32 v67, v60, v142
	v_fma_f32 v3, v52, v133, -v3
	v_fmac_f32_e32 v67, v61, v141
	v_add_f32_e32 v2, v2, v3
	v_mul_f32_e32 v3, v55, v136
	v_add_f32_e32 v70, v66, v67
	ds_read_b128 v[66:69], v1 offset:912
	v_fma_f32 v3, v54, v135, -v3
	s_waitcnt vmcnt(22) lgkmcnt(1)
	v_mul_f32_e32 v71, v62, v144
	v_add_f32_e32 v2, v2, v3
	v_mul_f32_e32 v3, v57, v137
	v_fmac_f32_e32 v71, v63, v143
	v_fma_f32 v3, v56, v140, -v3
	v_add_f32_e32 v70, v70, v71
	s_waitcnt vmcnt(21)
	v_mul_f32_e32 v71, v64, v145
	v_add_f32_e32 v2, v2, v3
	v_mul_f32_e32 v3, v59, v139
	s_waitcnt vmcnt(18)
	v_fmac_f32_e32 v71, v65, v148
	v_fma_f32 v3, v58, v138, -v3
	v_add_f32_e32 v70, v70, v71
	s_waitcnt lgkmcnt(0)
	v_mul_f32_e32 v71, v66, v147
	v_add_f32_e32 v2, v2, v3
	v_mul_f32_e32 v3, v61, v142
	v_fmac_f32_e32 v71, v67, v146
	v_fma_f32 v3, v60, v141, -v3
	v_add_f32_e32 v74, v70, v71
	ds_read_b128 v[70:73], v1 offset:928
	v_add_f32_e32 v2, v2, v3
	v_mul_f32_e32 v3, v63, v144
	v_fma_f32 v3, v62, v143, -v3
	s_waitcnt vmcnt(16)
	v_mul_f32_e32 v75, v68, v150
	v_add_f32_e32 v2, v2, v3
	v_mul_f32_e32 v3, v65, v145
	v_fmac_f32_e32 v75, v69, v149
	v_fma_f32 v3, v64, v148, -v3
	v_add_f32_e32 v78, v74, v75
	ds_read_b128 v[74:77], v1 offset:944
	v_add_f32_e32 v2, v2, v3
	v_mul_f32_e32 v3, v67, v147
	s_waitcnt vmcnt(14) lgkmcnt(1)
	v_mul_f32_e32 v79, v70, v152
	v_fma_f32 v3, v66, v146, -v3
	v_fmac_f32_e32 v79, v71, v151
	v_add_f32_e32 v2, v2, v3
	v_mul_f32_e32 v3, v69, v150
	v_add_f32_e32 v78, v78, v79
	s_waitcnt vmcnt(13)
	v_mul_f32_e32 v79, v72, v153
	v_fma_f32 v3, v68, v149, -v3
	s_waitcnt vmcnt(10)
	v_fmac_f32_e32 v79, v73, v156
	v_add_f32_e32 v2, v2, v3
	v_mul_f32_e32 v3, v71, v152
	v_add_f32_e32 v78, v78, v79
	s_waitcnt lgkmcnt(0)
	v_mul_f32_e32 v79, v74, v155
	v_fma_f32 v3, v70, v151, -v3
	v_fmac_f32_e32 v79, v75, v154
	v_add_f32_e32 v2, v2, v3
	v_mul_f32_e32 v3, v73, v153
	v_add_f32_e32 v82, v78, v79
	ds_read_b128 v[78:81], v1 offset:960
	v_fma_f32 v3, v72, v156, -v3
	v_add_f32_e32 v2, v2, v3
	v_mul_f32_e32 v3, v75, v155
	s_waitcnt vmcnt(8)
	v_mul_f32_e32 v83, v76, v158
	v_fma_f32 v3, v74, v154, -v3
	v_fmac_f32_e32 v83, v77, v157
	v_add_f32_e32 v2, v2, v3
	v_mul_f32_e32 v3, v77, v158
	v_add_f32_e32 v167, v82, v83
	ds_read_b128 v[82:85], v1 offset:976
	v_fma_f32 v3, v76, v157, -v3
	v_add_f32_e32 v2, v2, v3
	s_waitcnt vmcnt(6) lgkmcnt(1)
	v_mul_f32_e32 v3, v79, v160
	v_mul_f32_e32 v1, v78, v160
	v_fma_f32 v3, v78, v159, -v3
	v_fmac_f32_e32 v1, v79, v159
	v_add_f32_e32 v2, v2, v3
	s_waitcnt vmcnt(5)
	v_mul_f32_e32 v3, v81, v161
	v_add_f32_e32 v1, v167, v1
	v_mul_f32_e32 v167, v80, v161
	s_waitcnt vmcnt(2)
	v_fma_f32 v3, v80, v164, -v3
	v_fmac_f32_e32 v167, v81, v164
	v_add_f32_e32 v2, v2, v3
	s_waitcnt lgkmcnt(0)
	v_mul_f32_e32 v3, v83, v163
	v_add_f32_e32 v1, v1, v167
	v_mul_f32_e32 v167, v82, v163
	v_fma_f32 v3, v82, v162, -v3
	v_fmac_f32_e32 v167, v83, v162
	v_add_f32_e32 v2, v2, v3
	s_waitcnt vmcnt(0)
	v_mul_f32_e32 v3, v85, v166
	v_add_f32_e32 v1, v1, v167
	v_mul_f32_e32 v167, v84, v166
	v_fma_f32 v3, v84, v165, -v3
	v_fmac_f32_e32 v167, v85, v165
	v_add_f32_e32 v2, v2, v3
	v_add_f32_e32 v1, v1, v167
	v_sub_f32_e32 v2, v113, v2
	v_sub_f32_e32 v1, v114, v1
	buffer_store_dword v2, off, s[0:3], 0 offset:168
	buffer_store_dword v1, off, s[0:3], 0 offset:172
	s_and_saveexec_b64 s[4:5], vcc
	s_cbranch_execz .LBB61_345
; %bb.344:
	buffer_load_dword v1, off, s[0:3], 0 offset:160
	buffer_load_dword v2, off, s[0:3], 0 offset:164
	v_mov_b32_e32 v3, 0
	buffer_store_dword v3, off, s[0:3], 0 offset:160
	buffer_store_dword v3, off, s[0:3], 0 offset:164
	s_waitcnt vmcnt(2)
	ds_write_b64 v25, v[1:2]
.LBB61_345:
	s_or_b64 exec, exec, s[4:5]
	s_waitcnt lgkmcnt(0)
	; wave barrier
	buffer_load_dword v10, off, s[0:3], 0 offset:172
	buffer_load_dword v9, off, s[0:3], 0 offset:180
	;; [unrolled: 1-line block ×32, first 2 shown]
	v_mov_b32_e32 v1, 0
	buffer_load_dword v117, off, s[0:3], 0 offset:288
	buffer_load_dword v118, off, s[0:3], 0 offset:292
	;; [unrolled: 1-line block ×18, first 2 shown]
	ds_read2_b64 v[11:14], v1 offset0:83 offset1:84
	ds_read2_b64 v[15:18], v1 offset0:85 offset1:86
	;; [unrolled: 1-line block ×6, first 2 shown]
	buffer_load_dword v137, off, s[0:3], 0 offset:360
	buffer_load_dword v138, off, s[0:3], 0 offset:364
	;; [unrolled: 1-line block ×6, first 2 shown]
	v_cmp_lt_u32_e32 vcc, 19, v0
	s_waitcnt vmcnt(55) lgkmcnt(5)
	v_mul_f32_e32 v23, v11, v10
	s_waitcnt vmcnt(54)
	v_mul_f32_e32 v24, v13, v9
	s_waitcnt vmcnt(53) lgkmcnt(4)
	v_mul_f32_e32 v38, v15, v8
	s_waitcnt vmcnt(52)
	v_mul_f32_e32 v39, v17, v7
	;; [unrolled: 4-line block ×5, first 2 shown]
	s_waitcnt vmcnt(45) lgkmcnt(0)
	v_mul_f32_e32 v46, v34, v97
	s_waitcnt vmcnt(44)
	v_fmac_f32_e32 v38, v16, v98
	s_waitcnt vmcnt(43)
	v_fmac_f32_e32 v24, v14, v99
	;; [unrolled: 2-line block ×3, first 2 shown]
	v_add_f32_e32 v23, 0, v23
	v_add_f32_e32 v23, v23, v24
	v_add_f32_e32 v23, v23, v38
	s_waitcnt vmcnt(38)
	v_fmac_f32_e32 v39, v18, v104
	v_fmac_f32_e32 v40, v20, v103
	v_add_f32_e32 v23, v23, v39
	v_fmac_f32_e32 v41, v22, v102
	v_add_f32_e32 v23, v23, v40
	v_add_f32_e32 v23, v23, v41
	ds_read2_b64 v[38:41], v1 offset0:95 offset1:96
	buffer_load_dword v143, off, s[0:3], 0 offset:384
	buffer_load_dword v144, off, s[0:3], 0 offset:388
	v_fmac_f32_e32 v42, v27, v101
	s_waitcnt vmcnt(36)
	v_fmac_f32_e32 v43, v29, v108
	v_add_f32_e32 v23, v23, v42
	v_fmac_f32_e32 v44, v31, v107
	v_add_f32_e32 v23, v23, v43
	;; [unrolled: 2-line block ×3, first 2 shown]
	v_add_f32_e32 v23, v23, v45
	ds_read2_b64 v[42:45], v1 offset0:97 offset1:98
	buffer_load_dword v145, off, s[0:3], 0 offset:392
	buffer_load_dword v146, off, s[0:3], 0 offset:396
	;; [unrolled: 1-line block ×16, first 2 shown]
	v_fmac_f32_e32 v46, v35, v105
	v_add_f32_e32 v23, v23, v46
	ds_read2_b64 v[46:49], v1 offset0:99 offset1:100
	buffer_load_dword v161, off, s[0:3], 0 offset:456
	buffer_load_dword v162, off, s[0:3], 0 offset:460
	;; [unrolled: 1-line block ×6, first 2 shown]
	ds_read2_b64 v[50:53], v1 offset0:101 offset1:102
	buffer_load_dword v167, off, s[0:3], 0 offset:484
	buffer_load_dword v168, off, s[0:3], 0 offset:488
	;; [unrolled: 1-line block ×4, first 2 shown]
	v_mul_f32_e32 v10, v12, v10
	v_fma_f32 v10, v11, v100, -v10
	v_mul_f32_e32 v9, v14, v9
	v_add_f32_e32 v10, 0, v10
	v_fma_f32 v9, v13, v99, -v9
	v_mul_f32_e32 v8, v16, v8
	v_add_f32_e32 v9, v10, v9
	;; [unrolled: 3-line block ×6, first 2 shown]
	v_fma_f32 v2, v26, v101, -v2
	v_add_f32_e32 v2, v3, v2
	v_mul_f32_e32 v3, v29, v94
	v_fma_f32 v3, v28, v108, -v3
	v_add_f32_e32 v2, v2, v3
	v_mul_f32_e32 v3, v31, v95
	;; [unrolled: 3-line block ×4, first 2 shown]
	s_waitcnt vmcnt(61)
	v_mul_f32_e32 v24, v36, v109
	v_fma_f32 v3, v34, v105, -v3
	s_waitcnt vmcnt(55)
	v_fmac_f32_e32 v24, v37, v115
	v_add_f32_e32 v2, v2, v3
	v_mul_f32_e32 v3, v37, v109
	v_add_f32_e32 v23, v23, v24
	s_waitcnt vmcnt(54) lgkmcnt(3)
	v_mul_f32_e32 v24, v38, v116
	v_fma_f32 v3, v36, v115, -v3
	v_fmac_f32_e32 v24, v39, v114
	v_add_f32_e32 v2, v2, v3
	v_mul_f32_e32 v3, v39, v116
	v_add_f32_e32 v23, v23, v24
	v_mul_f32_e32 v24, v40, v111
	v_fma_f32 v3, v38, v114, -v3
	v_fmac_f32_e32 v24, v41, v110
	v_add_f32_e32 v2, v2, v3
	v_mul_f32_e32 v3, v41, v111
	v_add_f32_e32 v23, v23, v24
	s_waitcnt lgkmcnt(2)
	v_mul_f32_e32 v24, v42, v113
	v_fma_f32 v3, v40, v110, -v3
	v_fmac_f32_e32 v24, v43, v112
	v_add_f32_e32 v2, v2, v3
	v_mul_f32_e32 v3, v43, v113
	v_add_f32_e32 v23, v23, v24
	s_waitcnt vmcnt(50)
	v_mul_f32_e32 v24, v44, v118
	v_fma_f32 v3, v42, v112, -v3
	v_fmac_f32_e32 v24, v45, v117
	v_add_f32_e32 v2, v2, v3
	v_mul_f32_e32 v3, v45, v118
	v_add_f32_e32 v23, v23, v24
	s_waitcnt vmcnt(48) lgkmcnt(1)
	v_mul_f32_e32 v24, v46, v122
	v_fma_f32 v3, v44, v117, -v3
	v_fmac_f32_e32 v24, v47, v119
	v_add_f32_e32 v2, v2, v3
	v_mul_f32_e32 v3, v47, v122
	v_add_f32_e32 v23, v23, v24
	s_waitcnt vmcnt(46)
	v_mul_f32_e32 v24, v48, v124
	v_fma_f32 v3, v46, v119, -v3
	v_fmac_f32_e32 v24, v49, v123
	ds_read2_b64 v[54:57], v1 offset0:103 offset1:104
	ds_read2_b64 v[58:61], v1 offset0:105 offset1:106
	v_add_f32_e32 v2, v2, v3
	v_mul_f32_e32 v3, v49, v124
	v_add_f32_e32 v23, v23, v24
	s_waitcnt vmcnt(44) lgkmcnt(2)
	v_mul_f32_e32 v24, v50, v126
	v_fma_f32 v3, v48, v123, -v3
	v_fmac_f32_e32 v24, v51, v125
	v_add_f32_e32 v2, v2, v3
	v_mul_f32_e32 v3, v51, v126
	v_add_f32_e32 v23, v23, v24
	s_waitcnt vmcnt(42)
	v_mul_f32_e32 v24, v52, v128
	v_fma_f32 v3, v50, v125, -v3
	v_fmac_f32_e32 v24, v53, v127
	v_add_f32_e32 v2, v2, v3
	v_mul_f32_e32 v3, v53, v128
	v_add_f32_e32 v23, v23, v24
	s_waitcnt vmcnt(40) lgkmcnt(1)
	v_mul_f32_e32 v24, v54, v130
	v_fma_f32 v3, v52, v127, -v3
	v_fmac_f32_e32 v24, v55, v129
	v_add_f32_e32 v2, v2, v3
	v_mul_f32_e32 v3, v55, v130
	v_add_f32_e32 v23, v23, v24
	s_waitcnt vmcnt(38)
	v_mul_f32_e32 v24, v56, v132
	v_fma_f32 v3, v54, v129, -v3
	v_fmac_f32_e32 v24, v57, v131
	ds_read2_b64 v[62:65], v1 offset0:107 offset1:108
	ds_read2_b64 v[66:69], v1 offset0:109 offset1:110
	v_add_f32_e32 v2, v2, v3
	v_mul_f32_e32 v3, v57, v132
	v_add_f32_e32 v23, v23, v24
	s_waitcnt vmcnt(36) lgkmcnt(2)
	v_mul_f32_e32 v24, v58, v134
	v_fma_f32 v3, v56, v131, -v3
	v_fmac_f32_e32 v24, v59, v133
	v_add_f32_e32 v2, v2, v3
	v_mul_f32_e32 v3, v59, v134
	v_add_f32_e32 v23, v23, v24
	s_waitcnt vmcnt(34)
	v_mul_f32_e32 v24, v60, v136
	v_fma_f32 v3, v58, v133, -v3
	v_fmac_f32_e32 v24, v61, v135
	v_add_f32_e32 v2, v2, v3
	v_mul_f32_e32 v3, v61, v136
	v_add_f32_e32 v23, v23, v24
	s_waitcnt vmcnt(32) lgkmcnt(1)
	v_mul_f32_e32 v24, v62, v138
	v_fma_f32 v3, v60, v135, -v3
	v_fmac_f32_e32 v24, v63, v137
	v_add_f32_e32 v2, v2, v3
	v_mul_f32_e32 v3, v63, v138
	v_add_f32_e32 v23, v23, v24
	s_waitcnt vmcnt(31)
	v_mul_f32_e32 v24, v64, v139
	v_fma_f32 v3, v62, v137, -v3
	s_waitcnt vmcnt(28)
	v_fmac_f32_e32 v24, v65, v142
	ds_read2_b64 v[70:73], v1 offset0:111 offset1:112
	ds_read2_b64 v[74:77], v1 offset0:113 offset1:114
	v_add_f32_e32 v2, v2, v3
	v_mul_f32_e32 v3, v65, v139
	v_add_f32_e32 v23, v23, v24
	s_waitcnt lgkmcnt(2)
	v_mul_f32_e32 v24, v66, v141
	v_fma_f32 v3, v64, v142, -v3
	v_fmac_f32_e32 v24, v67, v140
	v_add_f32_e32 v2, v2, v3
	v_mul_f32_e32 v3, v67, v141
	v_add_f32_e32 v23, v23, v24
	s_waitcnt vmcnt(26)
	v_mul_f32_e32 v24, v68, v144
	v_fma_f32 v3, v66, v140, -v3
	v_fmac_f32_e32 v24, v69, v143
	v_add_f32_e32 v2, v2, v3
	v_mul_f32_e32 v3, v69, v144
	v_add_f32_e32 v23, v23, v24
	s_waitcnt vmcnt(24) lgkmcnt(1)
	v_mul_f32_e32 v24, v70, v146
	v_fma_f32 v3, v68, v143, -v3
	v_fmac_f32_e32 v24, v71, v145
	v_add_f32_e32 v2, v2, v3
	v_mul_f32_e32 v3, v71, v146
	v_add_f32_e32 v23, v23, v24
	s_waitcnt vmcnt(23)
	v_mul_f32_e32 v24, v72, v147
	v_fma_f32 v3, v70, v145, -v3
	s_waitcnt vmcnt(20)
	v_fmac_f32_e32 v24, v73, v150
	ds_read2_b64 v[78:81], v1 offset0:115 offset1:116
	ds_read2_b64 v[82:85], v1 offset0:117 offset1:118
	v_add_f32_e32 v2, v2, v3
	v_mul_f32_e32 v3, v73, v147
	v_add_f32_e32 v23, v23, v24
	s_waitcnt lgkmcnt(2)
	;; [unrolled: 31-line block ×3, first 2 shown]
	v_mul_f32_e32 v24, v82, v157
	v_fma_f32 v3, v80, v158, -v3
	v_fmac_f32_e32 v24, v83, v156
	v_add_f32_e32 v2, v2, v3
	v_mul_f32_e32 v3, v83, v157
	v_add_f32_e32 v23, v23, v24
	s_waitcnt vmcnt(10)
	v_mul_f32_e32 v24, v84, v160
	v_fma_f32 v3, v82, v156, -v3
	v_fmac_f32_e32 v24, v85, v159
	v_add_f32_e32 v2, v2, v3
	v_mul_f32_e32 v3, v85, v160
	v_add_f32_e32 v23, v23, v24
	s_waitcnt vmcnt(8) lgkmcnt(1)
	v_mul_f32_e32 v24, v86, v162
	v_fma_f32 v3, v84, v159, -v3
	v_fmac_f32_e32 v24, v87, v161
	v_add_f32_e32 v2, v2, v3
	v_mul_f32_e32 v3, v87, v162
	v_add_f32_e32 v23, v23, v24
	s_waitcnt vmcnt(7)
	v_mul_f32_e32 v24, v88, v163
	v_fma_f32 v3, v86, v161, -v3
	s_waitcnt vmcnt(4)
	v_fmac_f32_e32 v24, v89, v166
	v_add_f32_e32 v2, v2, v3
	v_mul_f32_e32 v3, v89, v163
	v_add_f32_e32 v171, v23, v24
	ds_read_b64 v[23:24], v1 offset:984
	v_fma_f32 v3, v88, v166, -v3
	v_add_f32_e32 v2, v2, v3
	s_waitcnt lgkmcnt(1)
	v_mul_f32_e32 v3, v91, v165
	v_mul_f32_e32 v172, v90, v165
	v_fma_f32 v3, v90, v164, -v3
	v_fmac_f32_e32 v172, v91, v164
	v_add_f32_e32 v2, v2, v3
	s_waitcnt vmcnt(3)
	v_mul_f32_e32 v3, v93, v167
	v_add_f32_e32 v171, v171, v172
	v_mul_f32_e32 v172, v92, v167
	s_waitcnt vmcnt(0)
	v_fma_f32 v3, v92, v170, -v3
	v_fmac_f32_e32 v172, v93, v170
	v_add_f32_e32 v2, v2, v3
	s_waitcnt lgkmcnt(0)
	v_mul_f32_e32 v3, v24, v169
	v_add_f32_e32 v171, v171, v172
	v_mul_f32_e32 v172, v23, v169
	v_fma_f32 v3, v23, v168, -v3
	v_fmac_f32_e32 v172, v24, v168
	v_add_f32_e32 v2, v2, v3
	v_add_f32_e32 v171, v171, v172
	v_sub_f32_e32 v2, v4, v2
	v_sub_f32_e32 v3, v5, v171
	buffer_store_dword v2, off, s[0:3], 0 offset:160
	buffer_store_dword v3, off, s[0:3], 0 offset:164
	s_and_saveexec_b64 s[4:5], vcc
	s_cbranch_execz .LBB61_347
; %bb.346:
	buffer_load_dword v2, off, s[0:3], 0 offset:152
	buffer_load_dword v3, off, s[0:3], 0 offset:156
	s_waitcnt vmcnt(0)
	ds_write_b64 v25, v[2:3]
	buffer_store_dword v1, off, s[0:3], 0 offset:152
	buffer_store_dword v1, off, s[0:3], 0 offset:156
.LBB61_347:
	s_or_b64 exec, exec, s[4:5]
	s_waitcnt lgkmcnt(0)
	; wave barrier
	buffer_load_dword v22, off, s[0:3], 0 offset:164
	buffer_load_dword v23, off, s[0:3], 0 offset:172
	;; [unrolled: 1-line block ×32, first 2 shown]
	ds_read_b128 v[2:5], v1 offset:656
	ds_read_b128 v[6:9], v1 offset:672
	;; [unrolled: 1-line block ×6, first 2 shown]
	buffer_load_dword v119, off, s[0:3], 0 offset:280
	buffer_load_dword v122, off, s[0:3], 0 offset:284
	buffer_load_dword v123, off, s[0:3], 0 offset:288
	buffer_load_dword v124, off, s[0:3], 0 offset:292
	buffer_load_dword v125, off, s[0:3], 0 offset:296
	buffer_load_dword v126, off, s[0:3], 0 offset:300
	buffer_load_dword v127, off, s[0:3], 0 offset:304
	buffer_load_dword v128, off, s[0:3], 0 offset:308
	buffer_load_dword v129, off, s[0:3], 0 offset:312
	buffer_load_dword v130, off, s[0:3], 0 offset:316
	buffer_load_dword v131, off, s[0:3], 0 offset:320
	buffer_load_dword v132, off, s[0:3], 0 offset:324
	buffer_load_dword v133, off, s[0:3], 0 offset:328
	buffer_load_dword v134, off, s[0:3], 0 offset:332
	buffer_load_dword v135, off, s[0:3], 0 offset:336
	buffer_load_dword v136, off, s[0:3], 0 offset:340
	buffer_load_dword v137, off, s[0:3], 0 offset:344
	buffer_load_dword v138, off, s[0:3], 0 offset:348
	v_cmp_lt_u32_e32 vcc, 18, v0
	s_waitcnt vmcnt(49) lgkmcnt(5)
	v_mul_f32_e32 v30, v2, v22
	s_waitcnt vmcnt(48)
	v_mul_f32_e32 v31, v4, v23
	s_waitcnt vmcnt(47) lgkmcnt(4)
	v_mul_f32_e32 v32, v6, v24
	s_waitcnt vmcnt(46)
	v_mul_f32_e32 v33, v8, v90
	;; [unrolled: 4-line block ×6, first 2 shown]
	s_waitcnt vmcnt(37)
	v_fmac_f32_e32 v32, v7, v99
	s_waitcnt vmcnt(36)
	v_fmac_f32_e32 v31, v5, v100
	;; [unrolled: 2-line block ×3, first 2 shown]
	v_add_f32_e32 v30, 0, v30
	v_add_f32_e32 v30, v30, v31
	;; [unrolled: 1-line block ×3, first 2 shown]
	s_waitcnt vmcnt(31)
	v_fmac_f32_e32 v33, v9, v105
	v_fmac_f32_e32 v34, v11, v104
	v_add_f32_e32 v30, v30, v33
	v_fmac_f32_e32 v35, v13, v103
	v_add_f32_e32 v30, v30, v34
	;; [unrolled: 2-line block ×3, first 2 shown]
	s_waitcnt vmcnt(27)
	v_fmac_f32_e32 v37, v17, v109
	v_add_f32_e32 v30, v30, v36
	v_fmac_f32_e32 v38, v19, v108
	v_add_f32_e32 v30, v30, v37
	;; [unrolled: 2-line block ×3, first 2 shown]
	v_add_f32_e32 v34, v30, v39
	ds_read_b128 v[30:33], v1 offset:752
	buffer_load_dword v139, off, s[0:3], 0 offset:352
	buffer_load_dword v140, off, s[0:3], 0 offset:356
	;; [unrolled: 1-line block ×6, first 2 shown]
	v_fmac_f32_e32 v40, v27, v106
	s_waitcnt vmcnt(27)
	v_fmac_f32_e32 v41, v29, v115
	v_add_f32_e32 v34, v34, v40
	v_add_f32_e32 v38, v34, v41
	ds_read_b128 v[34:37], v1 offset:768
	buffer_load_dword v145, off, s[0:3], 0 offset:376
	buffer_load_dword v146, off, s[0:3], 0 offset:380
	;; [unrolled: 1-line block ×10, first 2 shown]
	s_waitcnt vmcnt(36) lgkmcnt(1)
	v_mul_f32_e32 v39, v30, v116
	buffer_load_dword v155, off, s[0:3], 0 offset:416
	buffer_load_dword v156, off, s[0:3], 0 offset:420
	;; [unrolled: 1-line block ×6, first 2 shown]
	v_fmac_f32_e32 v39, v31, v114
	v_add_f32_e32 v38, v38, v39
	v_mul_f32_e32 v39, v32, v111
	v_fmac_f32_e32 v39, v33, v110
	v_add_f32_e32 v38, v38, v39
	s_waitcnt lgkmcnt(0)
	v_mul_f32_e32 v39, v34, v113
	v_fmac_f32_e32 v39, v35, v112
	v_add_f32_e32 v42, v38, v39
	ds_read_b128 v[38:41], v1 offset:784
	buffer_load_dword v161, off, s[0:3], 0 offset:440
	buffer_load_dword v162, off, s[0:3], 0 offset:444
	s_waitcnt vmcnt(40)
	v_mul_f32_e32 v43, v36, v122
	v_fmac_f32_e32 v43, v37, v119
	v_add_f32_e32 v46, v42, v43
	ds_read_b128 v[42:45], v1 offset:800
	buffer_load_dword v163, off, s[0:3], 0 offset:448
	buffer_load_dword v164, off, s[0:3], 0 offset:452
	;; [unrolled: 1-line block ×12, first 2 shown]
	v_mul_f32_e32 v3, v3, v22
	v_fma_f32 v2, v2, v101, -v3
	v_mul_f32_e32 v3, v5, v23
	v_add_f32_e32 v2, 0, v2
	v_fma_f32 v3, v4, v100, -v3
	v_add_f32_e32 v2, v2, v3
	v_mul_f32_e32 v3, v7, v24
	v_fma_f32 v3, v6, v99, -v3
	v_add_f32_e32 v2, v2, v3
	v_mul_f32_e32 v3, v9, v90
	;; [unrolled: 3-line block ×6, first 2 shown]
	v_fma_f32 v3, v16, v109, -v3
	s_waitcnt vmcnt(50) lgkmcnt(1)
	v_mul_f32_e32 v47, v38, v124
	v_add_f32_e32 v2, v2, v3
	v_mul_f32_e32 v3, v19, v95
	v_fmac_f32_e32 v47, v39, v123
	v_fma_f32 v3, v18, v108, -v3
	v_add_f32_e32 v46, v46, v47
	s_waitcnt vmcnt(48)
	v_mul_f32_e32 v47, v40, v126
	v_add_f32_e32 v2, v2, v3
	v_mul_f32_e32 v3, v21, v96
	v_fmac_f32_e32 v47, v41, v125
	v_fma_f32 v3, v20, v107, -v3
	v_add_f32_e32 v46, v46, v47
	s_waitcnt vmcnt(46) lgkmcnt(0)
	v_mul_f32_e32 v47, v42, v128
	v_add_f32_e32 v2, v2, v3
	v_mul_f32_e32 v3, v27, v97
	v_fmac_f32_e32 v47, v43, v127
	v_fma_f32 v3, v26, v106, -v3
	v_add_f32_e32 v50, v46, v47
	ds_read_b128 v[46:49], v1 offset:816
	v_add_f32_e32 v2, v2, v3
	v_mul_f32_e32 v3, v29, v98
	v_fma_f32 v3, v28, v115, -v3
	s_waitcnt vmcnt(44)
	v_mul_f32_e32 v51, v44, v130
	v_add_f32_e32 v2, v2, v3
	v_mul_f32_e32 v3, v31, v116
	v_fmac_f32_e32 v51, v45, v129
	v_fma_f32 v3, v30, v114, -v3
	v_add_f32_e32 v54, v50, v51
	ds_read_b128 v[50:53], v1 offset:832
	v_add_f32_e32 v2, v2, v3
	v_mul_f32_e32 v3, v33, v111
	s_waitcnt vmcnt(42) lgkmcnt(1)
	v_mul_f32_e32 v55, v46, v132
	v_fma_f32 v3, v32, v110, -v3
	v_fmac_f32_e32 v55, v47, v131
	v_add_f32_e32 v2, v2, v3
	v_mul_f32_e32 v3, v35, v113
	v_add_f32_e32 v54, v54, v55
	s_waitcnt vmcnt(40)
	v_mul_f32_e32 v55, v48, v134
	v_fma_f32 v3, v34, v112, -v3
	v_fmac_f32_e32 v55, v49, v133
	v_add_f32_e32 v2, v2, v3
	v_mul_f32_e32 v3, v37, v122
	v_add_f32_e32 v54, v54, v55
	s_waitcnt vmcnt(38) lgkmcnt(0)
	v_mul_f32_e32 v55, v50, v136
	v_fma_f32 v3, v36, v119, -v3
	v_fmac_f32_e32 v55, v51, v135
	v_add_f32_e32 v2, v2, v3
	v_mul_f32_e32 v3, v39, v124
	v_add_f32_e32 v58, v54, v55
	ds_read_b128 v[54:57], v1 offset:848
	v_fma_f32 v3, v38, v123, -v3
	v_add_f32_e32 v2, v2, v3
	v_mul_f32_e32 v3, v41, v126
	s_waitcnt vmcnt(36)
	v_mul_f32_e32 v59, v52, v138
	v_fma_f32 v3, v40, v125, -v3
	v_fmac_f32_e32 v59, v53, v137
	v_add_f32_e32 v2, v2, v3
	v_mul_f32_e32 v3, v43, v128
	v_add_f32_e32 v62, v58, v59
	ds_read_b128 v[58:61], v1 offset:864
	v_fma_f32 v3, v42, v127, -v3
	s_waitcnt vmcnt(34) lgkmcnt(1)
	v_mul_f32_e32 v63, v54, v140
	v_add_f32_e32 v2, v2, v3
	v_mul_f32_e32 v3, v45, v130
	v_fmac_f32_e32 v63, v55, v139
	v_fma_f32 v3, v44, v129, -v3
	v_add_f32_e32 v62, v62, v63
	s_waitcnt vmcnt(33)
	v_mul_f32_e32 v63, v56, v141
	v_add_f32_e32 v2, v2, v3
	v_mul_f32_e32 v3, v47, v132
	s_waitcnt vmcnt(30)
	v_fmac_f32_e32 v63, v57, v144
	v_fma_f32 v3, v46, v131, -v3
	v_add_f32_e32 v62, v62, v63
	s_waitcnt lgkmcnt(0)
	v_mul_f32_e32 v63, v58, v143
	v_add_f32_e32 v2, v2, v3
	v_mul_f32_e32 v3, v49, v134
	v_fmac_f32_e32 v63, v59, v142
	v_fma_f32 v3, v48, v133, -v3
	v_add_f32_e32 v66, v62, v63
	ds_read_b128 v[62:65], v1 offset:880
	v_add_f32_e32 v2, v2, v3
	v_mul_f32_e32 v3, v51, v136
	v_fma_f32 v3, v50, v135, -v3
	s_waitcnt vmcnt(28)
	v_mul_f32_e32 v67, v60, v146
	v_add_f32_e32 v2, v2, v3
	v_mul_f32_e32 v3, v53, v138
	v_fmac_f32_e32 v67, v61, v145
	v_fma_f32 v3, v52, v137, -v3
	v_add_f32_e32 v70, v66, v67
	ds_read_b128 v[66:69], v1 offset:896
	v_add_f32_e32 v2, v2, v3
	v_mul_f32_e32 v3, v55, v140
	s_waitcnt vmcnt(26) lgkmcnt(1)
	v_mul_f32_e32 v71, v62, v148
	v_fma_f32 v3, v54, v139, -v3
	v_fmac_f32_e32 v71, v63, v147
	v_add_f32_e32 v2, v2, v3
	v_mul_f32_e32 v3, v57, v141
	v_add_f32_e32 v70, v70, v71
	s_waitcnt vmcnt(25)
	v_mul_f32_e32 v71, v64, v149
	v_fma_f32 v3, v56, v144, -v3
	s_waitcnt vmcnt(22)
	v_fmac_f32_e32 v71, v65, v152
	v_add_f32_e32 v2, v2, v3
	v_mul_f32_e32 v3, v59, v143
	v_add_f32_e32 v70, v70, v71
	s_waitcnt lgkmcnt(0)
	v_mul_f32_e32 v71, v66, v151
	v_fma_f32 v3, v58, v142, -v3
	v_fmac_f32_e32 v71, v67, v150
	v_add_f32_e32 v2, v2, v3
	v_mul_f32_e32 v3, v61, v146
	v_add_f32_e32 v74, v70, v71
	ds_read_b128 v[70:73], v1 offset:912
	v_fma_f32 v3, v60, v145, -v3
	v_add_f32_e32 v2, v2, v3
	v_mul_f32_e32 v3, v63, v148
	s_waitcnt vmcnt(20)
	v_mul_f32_e32 v75, v68, v154
	v_fma_f32 v3, v62, v147, -v3
	v_fmac_f32_e32 v75, v69, v153
	v_add_f32_e32 v2, v2, v3
	v_mul_f32_e32 v3, v65, v149
	v_add_f32_e32 v78, v74, v75
	ds_read_b128 v[74:77], v1 offset:928
	v_fma_f32 v3, v64, v152, -v3
	s_waitcnt vmcnt(18) lgkmcnt(1)
	v_mul_f32_e32 v79, v70, v156
	v_add_f32_e32 v2, v2, v3
	v_mul_f32_e32 v3, v67, v151
	v_fmac_f32_e32 v79, v71, v155
	v_fma_f32 v3, v66, v150, -v3
	v_add_f32_e32 v78, v78, v79
	s_waitcnt vmcnt(17)
	v_mul_f32_e32 v79, v72, v157
	v_add_f32_e32 v2, v2, v3
	v_mul_f32_e32 v3, v69, v154
	s_waitcnt vmcnt(14)
	v_fmac_f32_e32 v79, v73, v160
	v_fma_f32 v3, v68, v153, -v3
	v_add_f32_e32 v78, v78, v79
	s_waitcnt lgkmcnt(0)
	v_mul_f32_e32 v79, v74, v159
	v_add_f32_e32 v2, v2, v3
	v_mul_f32_e32 v3, v71, v156
	v_fmac_f32_e32 v79, v75, v158
	v_fma_f32 v3, v70, v155, -v3
	v_add_f32_e32 v82, v78, v79
	ds_read_b128 v[78:81], v1 offset:944
	v_add_f32_e32 v2, v2, v3
	v_mul_f32_e32 v3, v73, v157
	v_fma_f32 v3, v72, v160, -v3
	v_add_f32_e32 v2, v2, v3
	v_mul_f32_e32 v3, v75, v159
	s_waitcnt vmcnt(12)
	v_mul_f32_e32 v83, v76, v162
	v_fma_f32 v3, v74, v158, -v3
	v_fmac_f32_e32 v83, v77, v161
	v_add_f32_e32 v2, v2, v3
	v_mul_f32_e32 v3, v77, v162
	v_add_f32_e32 v86, v82, v83
	ds_read_b128 v[82:85], v1 offset:960
	s_waitcnt vmcnt(10) lgkmcnt(1)
	v_mul_f32_e32 v87, v78, v164
	v_fma_f32 v3, v76, v161, -v3
	v_fmac_f32_e32 v87, v79, v163
	v_add_f32_e32 v2, v2, v3
	v_mul_f32_e32 v3, v79, v164
	v_add_f32_e32 v86, v86, v87
	s_waitcnt vmcnt(9)
	v_mul_f32_e32 v87, v80, v165
	v_fma_f32 v3, v78, v163, -v3
	s_waitcnt vmcnt(6)
	v_fmac_f32_e32 v87, v81, v168
	v_add_f32_e32 v2, v2, v3
	v_mul_f32_e32 v3, v81, v165
	v_add_f32_e32 v175, v86, v87
	ds_read_b128 v[86:89], v1 offset:976
	v_fma_f32 v3, v80, v168, -v3
	v_add_f32_e32 v2, v2, v3
	s_waitcnt lgkmcnt(1)
	v_mul_f32_e32 v3, v83, v167
	v_mul_f32_e32 v176, v82, v167
	v_fma_f32 v3, v82, v166, -v3
	v_fmac_f32_e32 v176, v83, v166
	v_add_f32_e32 v2, v2, v3
	s_waitcnt vmcnt(4)
	v_mul_f32_e32 v3, v85, v170
	v_add_f32_e32 v1, v175, v176
	v_mul_f32_e32 v175, v84, v170
	v_fma_f32 v3, v84, v169, -v3
	v_fmac_f32_e32 v175, v85, v169
	v_add_f32_e32 v2, v2, v3
	s_waitcnt vmcnt(3) lgkmcnt(0)
	v_mul_f32_e32 v3, v87, v171
	v_add_f32_e32 v1, v1, v175
	v_mul_f32_e32 v175, v86, v171
	s_waitcnt vmcnt(0)
	v_fma_f32 v3, v86, v174, -v3
	v_fmac_f32_e32 v175, v87, v174
	v_add_f32_e32 v2, v2, v3
	v_mul_f32_e32 v3, v89, v173
	v_add_f32_e32 v1, v1, v175
	v_mul_f32_e32 v175, v88, v173
	v_fma_f32 v3, v88, v172, -v3
	v_fmac_f32_e32 v175, v89, v172
	v_add_f32_e32 v2, v2, v3
	v_add_f32_e32 v1, v1, v175
	v_sub_f32_e32 v2, v117, v2
	v_sub_f32_e32 v1, v118, v1
	buffer_store_dword v2, off, s[0:3], 0 offset:152
	buffer_store_dword v1, off, s[0:3], 0 offset:156
	s_and_saveexec_b64 s[4:5], vcc
	s_cbranch_execz .LBB61_349
; %bb.348:
	buffer_load_dword v1, off, s[0:3], 0 offset:144
	buffer_load_dword v2, off, s[0:3], 0 offset:148
	v_mov_b32_e32 v3, 0
	buffer_store_dword v3, off, s[0:3], 0 offset:144
	buffer_store_dword v3, off, s[0:3], 0 offset:148
	s_waitcnt vmcnt(2)
	ds_write_b64 v25, v[1:2]
.LBB61_349:
	s_or_b64 exec, exec, s[4:5]
	s_waitcnt lgkmcnt(0)
	; wave barrier
	buffer_load_dword v10, off, s[0:3], 0 offset:156
	buffer_load_dword v9, off, s[0:3], 0 offset:164
	;; [unrolled: 1-line block ×48, first 2 shown]
	v_mov_b32_e32 v1, 0
	ds_read2_b64 v[16:19], v1 offset0:81 offset1:82
	ds_read2_b64 v[20:23], v1 offset0:83 offset1:84
	;; [unrolled: 1-line block ×6, first 2 shown]
	buffer_load_dword v139, off, s[0:3], 0 offset:336
	buffer_load_dword v140, off, s[0:3], 0 offset:340
	v_cmp_lt_u32_e32 vcc, 17, v0
	s_waitcnt vmcnt(49) lgkmcnt(5)
	v_mul_f32_e32 v42, v16, v10
	s_waitcnt vmcnt(48)
	v_mul_f32_e32 v43, v18, v9
	s_waitcnt vmcnt(47) lgkmcnt(4)
	v_mul_f32_e32 v44, v20, v8
	s_waitcnt vmcnt(46)
	v_mul_f32_e32 v45, v22, v7
	;; [unrolled: 4-line block ×6, first 2 shown]
	s_waitcnt vmcnt(37)
	v_fmac_f32_e32 v44, v21, v24
	s_waitcnt vmcnt(36)
	v_fmac_f32_e32 v43, v19, v104
	;; [unrolled: 2-line block ×3, first 2 shown]
	v_add_f32_e32 v42, 0, v42
	v_add_f32_e32 v42, v42, v43
	;; [unrolled: 1-line block ×3, first 2 shown]
	s_waitcnt vmcnt(31)
	v_fmac_f32_e32 v45, v23, v109
	v_fmac_f32_e32 v46, v27, v108
	v_add_f32_e32 v42, v42, v45
	v_fmac_f32_e32 v47, v29, v107
	v_add_f32_e32 v42, v42, v46
	;; [unrolled: 2-line block ×3, first 2 shown]
	s_waitcnt vmcnt(27)
	v_fmac_f32_e32 v49, v33, v113
	v_add_f32_e32 v42, v42, v48
	v_fmac_f32_e32 v50, v35, v112
	v_add_f32_e32 v42, v42, v49
	;; [unrolled: 2-line block ×4, first 2 shown]
	v_add_f32_e32 v46, v42, v52
	ds_read2_b64 v[42:45], v1 offset0:93 offset1:94
	buffer_load_dword v141, off, s[0:3], 0 offset:344
	buffer_load_dword v142, off, s[0:3], 0 offset:348
	;; [unrolled: 1-line block ×6, first 2 shown]
	s_waitcnt vmcnt(28)
	v_fmac_f32_e32 v53, v41, v118
	v_add_f32_e32 v50, v46, v53
	ds_read2_b64 v[46:49], v1 offset0:95 offset1:96
	buffer_load_dword v147, off, s[0:3], 0 offset:368
	buffer_load_dword v148, off, s[0:3], 0 offset:372
	;; [unrolled: 1-line block ×8, first 2 shown]
	s_waitcnt vmcnt(35) lgkmcnt(1)
	v_mul_f32_e32 v51, v42, v119
	buffer_load_dword v155, off, s[0:3], 0 offset:400
	buffer_load_dword v156, off, s[0:3], 0 offset:404
	v_fmac_f32_e32 v51, v43, v117
	v_add_f32_e32 v50, v50, v51
	s_waitcnt vmcnt(36)
	v_mul_f32_e32 v51, v44, v122
	v_fmac_f32_e32 v51, v45, v116
	v_add_f32_e32 v50, v50, v51
	s_waitcnt lgkmcnt(0)
	v_mul_f32_e32 v51, v46, v115
	v_fmac_f32_e32 v51, v47, v114
	v_add_f32_e32 v54, v50, v51
	ds_read2_b64 v[50:53], v1 offset0:97 offset1:98
	buffer_load_dword v157, off, s[0:3], 0 offset:408
	buffer_load_dword v158, off, s[0:3], 0 offset:412
	;; [unrolled: 1-line block ×6, first 2 shown]
	s_waitcnt vmcnt(38)
	v_mul_f32_e32 v55, v48, v124
	v_fmac_f32_e32 v55, v49, v123
	v_add_f32_e32 v58, v54, v55
	ds_read2_b64 v[54:57], v1 offset0:99 offset1:100
	buffer_load_dword v163, off, s[0:3], 0 offset:432
	buffer_load_dword v164, off, s[0:3], 0 offset:436
	;; [unrolled: 1-line block ×16, first 2 shown]
	v_mul_f32_e32 v10, v17, v10
	v_fma_f32 v10, v16, v105, -v10
	v_mul_f32_e32 v9, v19, v9
	v_add_f32_e32 v10, 0, v10
	v_fma_f32 v9, v18, v104, -v9
	v_mul_f32_e32 v8, v21, v8
	v_add_f32_e32 v9, v10, v9
	;; [unrolled: 3-line block ×6, first 2 shown]
	v_fma_f32 v4, v30, v106, -v4
	s_waitcnt vmcnt(52) lgkmcnt(1)
	v_mul_f32_e32 v59, v50, v126
	v_add_f32_e32 v4, v5, v4
	v_mul_f32_e32 v5, v33, v11
	v_fmac_f32_e32 v59, v51, v125
	v_fma_f32 v5, v32, v113, -v5
	v_add_f32_e32 v58, v58, v59
	s_waitcnt vmcnt(50)
	v_mul_f32_e32 v59, v52, v128
	v_add_f32_e32 v4, v4, v5
	v_mul_f32_e32 v5, v35, v12
	v_fmac_f32_e32 v59, v53, v127
	v_fma_f32 v5, v34, v112, -v5
	v_add_f32_e32 v58, v58, v59
	s_waitcnt vmcnt(48) lgkmcnt(0)
	v_mul_f32_e32 v59, v54, v130
	v_add_f32_e32 v4, v4, v5
	v_mul_f32_e32 v5, v37, v13
	v_fmac_f32_e32 v59, v55, v129
	v_fma_f32 v5, v36, v111, -v5
	v_add_f32_e32 v62, v58, v59
	ds_read2_b64 v[58:61], v1 offset0:101 offset1:102
	v_add_f32_e32 v4, v4, v5
	v_mul_f32_e32 v5, v39, v14
	v_fma_f32 v5, v38, v110, -v5
	s_waitcnt vmcnt(46)
	v_mul_f32_e32 v63, v56, v132
	v_add_f32_e32 v4, v4, v5
	v_mul_f32_e32 v5, v41, v15
	v_fmac_f32_e32 v63, v57, v131
	v_fma_f32 v5, v40, v118, -v5
	v_add_f32_e32 v66, v62, v63
	ds_read2_b64 v[62:65], v1 offset0:103 offset1:104
	v_add_f32_e32 v4, v4, v5
	v_mul_f32_e32 v5, v43, v119
	s_waitcnt vmcnt(44) lgkmcnt(1)
	v_mul_f32_e32 v67, v58, v134
	v_fma_f32 v5, v42, v117, -v5
	v_fmac_f32_e32 v67, v59, v133
	v_add_f32_e32 v4, v4, v5
	v_mul_f32_e32 v5, v45, v122
	v_add_f32_e32 v66, v66, v67
	s_waitcnt vmcnt(42)
	v_mul_f32_e32 v67, v60, v136
	v_fma_f32 v5, v44, v116, -v5
	v_fmac_f32_e32 v67, v61, v135
	v_add_f32_e32 v4, v4, v5
	v_mul_f32_e32 v5, v47, v115
	v_add_f32_e32 v66, v66, v67
	s_waitcnt vmcnt(40) lgkmcnt(0)
	v_mul_f32_e32 v67, v62, v138
	v_fma_f32 v5, v46, v114, -v5
	v_fmac_f32_e32 v67, v63, v137
	v_add_f32_e32 v4, v4, v5
	v_mul_f32_e32 v5, v49, v124
	v_add_f32_e32 v70, v66, v67
	ds_read2_b64 v[66:69], v1 offset0:105 offset1:106
	v_fma_f32 v5, v48, v123, -v5
	v_add_f32_e32 v4, v4, v5
	v_mul_f32_e32 v5, v51, v126
	s_waitcnt vmcnt(38)
	v_mul_f32_e32 v71, v64, v140
	v_fma_f32 v5, v50, v125, -v5
	v_fmac_f32_e32 v71, v65, v139
	v_add_f32_e32 v4, v4, v5
	v_mul_f32_e32 v5, v53, v128
	v_add_f32_e32 v74, v70, v71
	ds_read2_b64 v[70:73], v1 offset0:107 offset1:108
	v_fma_f32 v5, v52, v127, -v5
	s_waitcnt vmcnt(36) lgkmcnt(1)
	v_mul_f32_e32 v75, v66, v142
	v_add_f32_e32 v4, v4, v5
	v_mul_f32_e32 v5, v55, v130
	v_fmac_f32_e32 v75, v67, v141
	v_fma_f32 v5, v54, v129, -v5
	v_add_f32_e32 v74, v74, v75
	s_waitcnt vmcnt(35)
	v_mul_f32_e32 v75, v68, v143
	v_add_f32_e32 v4, v4, v5
	v_mul_f32_e32 v5, v57, v132
	s_waitcnt vmcnt(32)
	v_fmac_f32_e32 v75, v69, v146
	v_fma_f32 v5, v56, v131, -v5
	v_add_f32_e32 v74, v74, v75
	s_waitcnt lgkmcnt(0)
	v_mul_f32_e32 v75, v70, v145
	v_add_f32_e32 v4, v4, v5
	v_mul_f32_e32 v5, v59, v134
	v_fmac_f32_e32 v75, v71, v144
	v_fma_f32 v5, v58, v133, -v5
	v_add_f32_e32 v78, v74, v75
	ds_read2_b64 v[74:77], v1 offset0:109 offset1:110
	v_add_f32_e32 v4, v4, v5
	v_mul_f32_e32 v5, v61, v136
	v_fma_f32 v5, v60, v135, -v5
	s_waitcnt vmcnt(30)
	v_mul_f32_e32 v79, v72, v148
	v_add_f32_e32 v4, v4, v5
	v_mul_f32_e32 v5, v63, v138
	v_fmac_f32_e32 v79, v73, v147
	v_fma_f32 v5, v62, v137, -v5
	v_add_f32_e32 v82, v78, v79
	ds_read2_b64 v[78:81], v1 offset0:111 offset1:112
	v_add_f32_e32 v4, v4, v5
	v_mul_f32_e32 v5, v65, v140
	s_waitcnt vmcnt(28) lgkmcnt(1)
	v_mul_f32_e32 v83, v74, v150
	v_fma_f32 v5, v64, v139, -v5
	v_fmac_f32_e32 v83, v75, v149
	v_add_f32_e32 v4, v4, v5
	v_mul_f32_e32 v5, v67, v142
	v_add_f32_e32 v82, v82, v83
	s_waitcnt vmcnt(27)
	v_mul_f32_e32 v83, v76, v151
	v_fma_f32 v5, v66, v141, -v5
	s_waitcnt vmcnt(24)
	v_fmac_f32_e32 v83, v77, v154
	v_add_f32_e32 v4, v4, v5
	v_mul_f32_e32 v5, v69, v143
	v_add_f32_e32 v82, v82, v83
	s_waitcnt lgkmcnt(0)
	v_mul_f32_e32 v83, v78, v153
	v_fma_f32 v5, v68, v146, -v5
	v_fmac_f32_e32 v83, v79, v152
	v_add_f32_e32 v4, v4, v5
	v_mul_f32_e32 v5, v71, v145
	v_add_f32_e32 v86, v82, v83
	ds_read2_b64 v[82:85], v1 offset0:113 offset1:114
	v_fma_f32 v5, v70, v144, -v5
	v_add_f32_e32 v4, v4, v5
	v_mul_f32_e32 v5, v73, v148
	s_waitcnt vmcnt(22)
	v_mul_f32_e32 v87, v80, v156
	v_fma_f32 v5, v72, v147, -v5
	v_fmac_f32_e32 v87, v81, v155
	v_add_f32_e32 v4, v4, v5
	v_mul_f32_e32 v5, v75, v150
	v_add_f32_e32 v90, v86, v87
	ds_read2_b64 v[86:89], v1 offset0:115 offset1:116
	v_fma_f32 v5, v74, v149, -v5
	s_waitcnt vmcnt(20) lgkmcnt(1)
	v_mul_f32_e32 v91, v82, v158
	v_add_f32_e32 v4, v4, v5
	v_mul_f32_e32 v5, v77, v151
	v_fmac_f32_e32 v91, v83, v157
	v_fma_f32 v5, v76, v154, -v5
	v_add_f32_e32 v90, v90, v91
	s_waitcnt vmcnt(19)
	v_mul_f32_e32 v91, v84, v159
	v_add_f32_e32 v4, v4, v5
	v_mul_f32_e32 v5, v79, v153
	s_waitcnt vmcnt(16)
	v_fmac_f32_e32 v91, v85, v162
	v_fma_f32 v5, v78, v152, -v5
	v_add_f32_e32 v90, v90, v91
	s_waitcnt lgkmcnt(0)
	v_mul_f32_e32 v91, v86, v161
	v_add_f32_e32 v4, v4, v5
	v_mul_f32_e32 v5, v81, v156
	v_fmac_f32_e32 v91, v87, v160
	v_fma_f32 v5, v80, v155, -v5
	v_add_f32_e32 v94, v90, v91
	ds_read2_b64 v[90:93], v1 offset0:117 offset1:118
	v_add_f32_e32 v4, v4, v5
	v_mul_f32_e32 v5, v83, v158
	v_fma_f32 v5, v82, v157, -v5
	s_waitcnt vmcnt(14)
	v_mul_f32_e32 v95, v88, v164
	v_add_f32_e32 v4, v4, v5
	v_mul_f32_e32 v5, v85, v159
	v_fmac_f32_e32 v95, v89, v163
	v_fma_f32 v5, v84, v162, -v5
	v_add_f32_e32 v98, v94, v95
	ds_read2_b64 v[94:97], v1 offset0:119 offset1:120
	v_add_f32_e32 v4, v4, v5
	v_mul_f32_e32 v5, v87, v161
	s_waitcnt vmcnt(12) lgkmcnt(1)
	v_mul_f32_e32 v99, v90, v166
	v_fma_f32 v5, v86, v160, -v5
	v_fmac_f32_e32 v99, v91, v165
	v_add_f32_e32 v4, v4, v5
	v_mul_f32_e32 v5, v89, v164
	v_add_f32_e32 v98, v98, v99
	s_waitcnt vmcnt(11)
	v_mul_f32_e32 v99, v92, v167
	v_fma_f32 v5, v88, v163, -v5
	s_waitcnt vmcnt(8)
	v_fmac_f32_e32 v99, v93, v170
	v_add_f32_e32 v4, v4, v5
	v_mul_f32_e32 v5, v91, v166
	v_add_f32_e32 v98, v98, v99
	s_waitcnt lgkmcnt(0)
	v_mul_f32_e32 v99, v94, v169
	v_fma_f32 v5, v90, v165, -v5
	v_fmac_f32_e32 v99, v95, v168
	v_add_f32_e32 v4, v4, v5
	v_mul_f32_e32 v5, v93, v167
	v_add_f32_e32 v102, v98, v99
	ds_read2_b64 v[98:101], v1 offset0:121 offset1:122
	v_fma_f32 v5, v92, v170, -v5
	v_add_f32_e32 v4, v4, v5
	v_mul_f32_e32 v5, v95, v169
	s_waitcnt vmcnt(6)
	v_mul_f32_e32 v103, v96, v172
	v_fma_f32 v5, v94, v168, -v5
	v_fmac_f32_e32 v103, v97, v171
	v_add_f32_e32 v4, v4, v5
	v_mul_f32_e32 v5, v97, v172
	v_add_f32_e32 v179, v102, v103
	ds_read_b64 v[102:103], v1 offset:984
	v_fma_f32 v5, v96, v171, -v5
	v_add_f32_e32 v4, v4, v5
	s_waitcnt vmcnt(4) lgkmcnt(1)
	v_mul_f32_e32 v5, v99, v174
	v_mul_f32_e32 v180, v98, v174
	v_fma_f32 v5, v98, v173, -v5
	v_fmac_f32_e32 v180, v99, v173
	v_add_f32_e32 v4, v4, v5
	s_waitcnt vmcnt(3)
	v_mul_f32_e32 v5, v101, v175
	v_add_f32_e32 v179, v179, v180
	v_mul_f32_e32 v180, v100, v175
	s_waitcnt vmcnt(0)
	v_fma_f32 v5, v100, v178, -v5
	v_fmac_f32_e32 v180, v101, v178
	v_add_f32_e32 v4, v4, v5
	s_waitcnt lgkmcnt(0)
	v_mul_f32_e32 v5, v103, v177
	v_add_f32_e32 v179, v179, v180
	v_mul_f32_e32 v180, v102, v177
	v_fma_f32 v5, v102, v176, -v5
	v_fmac_f32_e32 v180, v103, v176
	v_add_f32_e32 v4, v4, v5
	v_add_f32_e32 v179, v179, v180
	v_sub_f32_e32 v2, v2, v4
	v_sub_f32_e32 v3, v3, v179
	buffer_store_dword v2, off, s[0:3], 0 offset:144
	buffer_store_dword v3, off, s[0:3], 0 offset:148
	s_and_saveexec_b64 s[4:5], vcc
	s_cbranch_execz .LBB61_351
; %bb.350:
	buffer_load_dword v2, off, s[0:3], 0 offset:136
	buffer_load_dword v3, off, s[0:3], 0 offset:140
	s_waitcnt vmcnt(0)
	ds_write_b64 v25, v[2:3]
	buffer_store_dword v1, off, s[0:3], 0 offset:136
	buffer_store_dword v1, off, s[0:3], 0 offset:140
.LBB61_351:
	s_or_b64 exec, exec, s[4:5]
	s_waitcnt lgkmcnt(0)
	; wave barrier
	buffer_load_dword v10, off, s[0:3], 0 offset:148
	buffer_load_dword v9, off, s[0:3], 0 offset:156
	;; [unrolled: 1-line block ×32, first 2 shown]
	ds_read_b128 v[16:19], v1 offset:640
	ds_read_b128 v[20:23], v1 offset:656
	ds_read_b128 v[26:29], v1 offset:672
	ds_read_b128 v[30:33], v1 offset:688
	buffer_load_dword v125, off, s[0:3], 0 offset:264
	buffer_load_dword v126, off, s[0:3], 0 offset:268
	ds_read_b128 v[34:37], v1 offset:704
	ds_read_b128 v[38:41], v1 offset:720
	;; [unrolled: 1-line block ×3, first 2 shown]
	buffer_load_dword v127, off, s[0:3], 0 offset:272
	buffer_load_dword v128, off, s[0:3], 0 offset:276
	buffer_load_dword v129, off, s[0:3], 0 offset:280
	buffer_load_dword v130, off, s[0:3], 0 offset:284
	buffer_load_dword v131, off, s[0:3], 0 offset:288
	buffer_load_dword v132, off, s[0:3], 0 offset:292
	buffer_load_dword v133, off, s[0:3], 0 offset:296
	buffer_load_dword v134, off, s[0:3], 0 offset:300
	buffer_load_dword v135, off, s[0:3], 0 offset:304
	buffer_load_dword v136, off, s[0:3], 0 offset:308
	buffer_load_dword v137, off, s[0:3], 0 offset:312
	buffer_load_dword v138, off, s[0:3], 0 offset:316
	buffer_load_dword v139, off, s[0:3], 0 offset:320
	buffer_load_dword v140, off, s[0:3], 0 offset:324
	buffer_load_dword v141, off, s[0:3], 0 offset:328
	buffer_load_dword v142, off, s[0:3], 0 offset:332
	v_cmp_lt_u32_e32 vcc, 16, v0
	s_waitcnt vmcnt(49) lgkmcnt(6)
	v_mul_f32_e32 v46, v16, v10
	s_waitcnt vmcnt(48)
	v_mul_f32_e32 v47, v18, v9
	s_waitcnt vmcnt(47) lgkmcnt(5)
	v_mul_f32_e32 v48, v20, v8
	s_waitcnt vmcnt(46)
	v_mul_f32_e32 v49, v22, v7
	;; [unrolled: 4-line block ×6, first 2 shown]
	s_waitcnt vmcnt(37)
	v_fmac_f32_e32 v48, v21, v24
	s_waitcnt vmcnt(36)
	v_fmac_f32_e32 v47, v19, v106
	s_waitcnt vmcnt(35)
	v_fmac_f32_e32 v46, v17, v107
	v_add_f32_e32 v46, 0, v46
	v_add_f32_e32 v46, v46, v47
	;; [unrolled: 1-line block ×3, first 2 shown]
	s_waitcnt vmcnt(31)
	v_fmac_f32_e32 v49, v23, v111
	v_fmac_f32_e32 v50, v27, v110
	v_add_f32_e32 v46, v46, v49
	v_fmac_f32_e32 v51, v29, v109
	v_add_f32_e32 v46, v46, v50
	;; [unrolled: 2-line block ×3, first 2 shown]
	s_waitcnt vmcnt(27)
	v_fmac_f32_e32 v53, v33, v115
	v_add_f32_e32 v46, v46, v52
	v_fmac_f32_e32 v54, v35, v114
	v_add_f32_e32 v46, v46, v53
	;; [unrolled: 2-line block ×4, first 2 shown]
	s_waitcnt vmcnt(23)
	v_fmac_f32_e32 v57, v41, v119
	v_add_f32_e32 v46, v46, v56
	v_add_f32_e32 v50, v46, v57
	ds_read_b128 v[46:49], v1 offset:752
	buffer_load_dword v143, off, s[0:3], 0 offset:336
	buffer_load_dword v144, off, s[0:3], 0 offset:340
	;; [unrolled: 1-line block ×14, first 2 shown]
	s_waitcnt vmcnt(36) lgkmcnt(1)
	v_mul_f32_e32 v51, v42, v122
	buffer_load_dword v157, off, s[0:3], 0 offset:392
	buffer_load_dword v158, off, s[0:3], 0 offset:396
	v_fmac_f32_e32 v51, v43, v118
	v_add_f32_e32 v50, v50, v51
	s_waitcnt vmcnt(37)
	v_mul_f32_e32 v51, v44, v123
	v_fmac_f32_e32 v51, v45, v117
	v_add_f32_e32 v50, v50, v51
	s_waitcnt vmcnt(36) lgkmcnt(0)
	v_mul_f32_e32 v51, v46, v124
	v_fmac_f32_e32 v51, v47, v116
	v_add_f32_e32 v54, v50, v51
	ds_read_b128 v[50:53], v1 offset:768
	buffer_load_dword v159, off, s[0:3], 0 offset:400
	buffer_load_dword v160, off, s[0:3], 0 offset:404
	;; [unrolled: 1-line block ×6, first 2 shown]
	s_waitcnt vmcnt(38)
	v_mul_f32_e32 v55, v48, v126
	v_fmac_f32_e32 v55, v49, v125
	v_add_f32_e32 v58, v54, v55
	ds_read_b128 v[54:57], v1 offset:784
	buffer_load_dword v165, off, s[0:3], 0 offset:424
	buffer_load_dword v166, off, s[0:3], 0 offset:428
	;; [unrolled: 1-line block ×10, first 2 shown]
	s_waitcnt vmcnt(46) lgkmcnt(1)
	v_mul_f32_e32 v59, v50, v128
	v_fmac_f32_e32 v59, v51, v127
	v_add_f32_e32 v58, v58, v59
	s_waitcnt vmcnt(44)
	v_mul_f32_e32 v59, v52, v130
	v_fmac_f32_e32 v59, v53, v129
	v_add_f32_e32 v58, v58, v59
	s_waitcnt vmcnt(42) lgkmcnt(0)
	v_mul_f32_e32 v59, v54, v132
	buffer_load_dword v175, off, s[0:3], 0 offset:464
	buffer_load_dword v176, off, s[0:3], 0 offset:468
	;; [unrolled: 1-line block ×6, first 2 shown]
	v_fmac_f32_e32 v59, v55, v131
	s_waitcnt vmcnt(46)
	v_mul_f32_e32 v63, v56, v134
	v_add_f32_e32 v62, v58, v59
	v_fmac_f32_e32 v63, v57, v133
	ds_read_b128 v[58:61], v1 offset:800
	v_add_f32_e32 v66, v62, v63
	ds_read_b128 v[62:65], v1 offset:816
	buffer_load_dword v181, off, s[0:3], 0 offset:488
	buffer_load_dword v182, off, s[0:3], 0 offset:492
	v_mul_f32_e32 v10, v17, v10
	v_fma_f32 v10, v16, v107, -v10
	v_mul_f32_e32 v9, v19, v9
	v_add_f32_e32 v10, 0, v10
	v_fma_f32 v9, v18, v106, -v9
	v_mul_f32_e32 v8, v21, v8
	v_add_f32_e32 v9, v10, v9
	;; [unrolled: 3-line block ×6, first 2 shown]
	v_fma_f32 v4, v30, v108, -v4
	v_add_f32_e32 v4, v5, v4
	v_mul_f32_e32 v5, v33, v11
	v_fma_f32 v5, v32, v115, -v5
	v_add_f32_e32 v4, v4, v5
	v_mul_f32_e32 v5, v35, v12
	;; [unrolled: 3-line block ×6, first 2 shown]
	s_waitcnt vmcnt(46) lgkmcnt(1)
	v_mul_f32_e32 v67, v58, v136
	v_fma_f32 v5, v42, v118, -v5
	v_fmac_f32_e32 v67, v59, v135
	v_add_f32_e32 v4, v4, v5
	v_mul_f32_e32 v5, v45, v123
	v_add_f32_e32 v66, v66, v67
	s_waitcnt vmcnt(44)
	v_mul_f32_e32 v67, v60, v138
	v_fma_f32 v5, v44, v117, -v5
	v_fmac_f32_e32 v67, v61, v137
	v_add_f32_e32 v4, v4, v5
	v_mul_f32_e32 v5, v47, v124
	v_add_f32_e32 v66, v66, v67
	s_waitcnt vmcnt(42) lgkmcnt(0)
	v_mul_f32_e32 v67, v62, v140
	v_fma_f32 v5, v46, v116, -v5
	v_fmac_f32_e32 v67, v63, v139
	v_add_f32_e32 v4, v4, v5
	v_mul_f32_e32 v5, v49, v126
	v_add_f32_e32 v70, v66, v67
	ds_read_b128 v[66:69], v1 offset:832
	v_fma_f32 v5, v48, v125, -v5
	v_add_f32_e32 v4, v4, v5
	v_mul_f32_e32 v5, v51, v128
	s_waitcnt vmcnt(40)
	v_mul_f32_e32 v71, v64, v142
	v_fma_f32 v5, v50, v127, -v5
	v_fmac_f32_e32 v71, v65, v141
	v_add_f32_e32 v4, v4, v5
	v_mul_f32_e32 v5, v53, v130
	v_add_f32_e32 v74, v70, v71
	ds_read_b128 v[70:73], v1 offset:848
	v_fma_f32 v5, v52, v129, -v5
	s_waitcnt vmcnt(38) lgkmcnt(1)
	v_mul_f32_e32 v75, v66, v144
	v_add_f32_e32 v4, v4, v5
	v_mul_f32_e32 v5, v55, v132
	v_fmac_f32_e32 v75, v67, v143
	v_fma_f32 v5, v54, v131, -v5
	v_add_f32_e32 v74, v74, v75
	s_waitcnt vmcnt(37)
	v_mul_f32_e32 v75, v68, v145
	v_add_f32_e32 v4, v4, v5
	v_mul_f32_e32 v5, v57, v134
	s_waitcnt vmcnt(34)
	v_fmac_f32_e32 v75, v69, v148
	v_fma_f32 v5, v56, v133, -v5
	v_add_f32_e32 v74, v74, v75
	s_waitcnt lgkmcnt(0)
	v_mul_f32_e32 v75, v70, v147
	v_add_f32_e32 v4, v4, v5
	v_mul_f32_e32 v5, v59, v136
	v_fmac_f32_e32 v75, v71, v146
	v_fma_f32 v5, v58, v135, -v5
	v_add_f32_e32 v78, v74, v75
	ds_read_b128 v[74:77], v1 offset:864
	v_add_f32_e32 v4, v4, v5
	v_mul_f32_e32 v5, v61, v138
	v_fma_f32 v5, v60, v137, -v5
	s_waitcnt vmcnt(32)
	v_mul_f32_e32 v79, v72, v150
	v_add_f32_e32 v4, v4, v5
	v_mul_f32_e32 v5, v63, v140
	v_fmac_f32_e32 v79, v73, v149
	v_fma_f32 v5, v62, v139, -v5
	v_add_f32_e32 v82, v78, v79
	ds_read_b128 v[78:81], v1 offset:880
	v_add_f32_e32 v4, v4, v5
	v_mul_f32_e32 v5, v65, v142
	s_waitcnt vmcnt(30) lgkmcnt(1)
	v_mul_f32_e32 v83, v74, v152
	v_fma_f32 v5, v64, v141, -v5
	v_fmac_f32_e32 v83, v75, v151
	v_add_f32_e32 v4, v4, v5
	v_mul_f32_e32 v5, v67, v144
	v_add_f32_e32 v82, v82, v83
	s_waitcnt vmcnt(29)
	v_mul_f32_e32 v83, v76, v153
	v_fma_f32 v5, v66, v143, -v5
	s_waitcnt vmcnt(26)
	v_fmac_f32_e32 v83, v77, v156
	v_add_f32_e32 v4, v4, v5
	v_mul_f32_e32 v5, v69, v145
	v_add_f32_e32 v82, v82, v83
	s_waitcnt lgkmcnt(0)
	v_mul_f32_e32 v83, v78, v155
	v_fma_f32 v5, v68, v148, -v5
	v_fmac_f32_e32 v83, v79, v154
	v_add_f32_e32 v4, v4, v5
	v_mul_f32_e32 v5, v71, v147
	v_add_f32_e32 v86, v82, v83
	ds_read_b128 v[82:85], v1 offset:896
	v_fma_f32 v5, v70, v146, -v5
	v_add_f32_e32 v4, v4, v5
	v_mul_f32_e32 v5, v73, v150
	s_waitcnt vmcnt(24)
	v_mul_f32_e32 v87, v80, v158
	v_fma_f32 v5, v72, v149, -v5
	v_fmac_f32_e32 v87, v81, v157
	v_add_f32_e32 v4, v4, v5
	v_mul_f32_e32 v5, v75, v152
	v_add_f32_e32 v90, v86, v87
	ds_read_b128 v[86:89], v1 offset:912
	v_fma_f32 v5, v74, v151, -v5
	s_waitcnt vmcnt(22) lgkmcnt(1)
	v_mul_f32_e32 v91, v82, v160
	v_add_f32_e32 v4, v4, v5
	v_mul_f32_e32 v5, v77, v153
	v_fmac_f32_e32 v91, v83, v159
	v_fma_f32 v5, v76, v156, -v5
	v_add_f32_e32 v90, v90, v91
	s_waitcnt vmcnt(21)
	v_mul_f32_e32 v91, v84, v161
	v_add_f32_e32 v4, v4, v5
	v_mul_f32_e32 v5, v79, v155
	s_waitcnt vmcnt(18)
	v_fmac_f32_e32 v91, v85, v164
	v_fma_f32 v5, v78, v154, -v5
	v_add_f32_e32 v90, v90, v91
	s_waitcnt lgkmcnt(0)
	v_mul_f32_e32 v91, v86, v163
	v_add_f32_e32 v4, v4, v5
	v_mul_f32_e32 v5, v81, v158
	v_fmac_f32_e32 v91, v87, v162
	v_fma_f32 v5, v80, v157, -v5
	v_add_f32_e32 v94, v90, v91
	ds_read_b128 v[90:93], v1 offset:928
	v_add_f32_e32 v4, v4, v5
	v_mul_f32_e32 v5, v83, v160
	v_fma_f32 v5, v82, v159, -v5
	s_waitcnt vmcnt(16)
	v_mul_f32_e32 v95, v88, v166
	v_add_f32_e32 v4, v4, v5
	v_mul_f32_e32 v5, v85, v161
	v_fmac_f32_e32 v95, v89, v165
	v_fma_f32 v5, v84, v164, -v5
	v_add_f32_e32 v98, v94, v95
	ds_read_b128 v[94:97], v1 offset:944
	v_add_f32_e32 v4, v4, v5
	v_mul_f32_e32 v5, v87, v163
	s_waitcnt vmcnt(14) lgkmcnt(1)
	v_mul_f32_e32 v99, v90, v168
	v_fma_f32 v5, v86, v162, -v5
	v_fmac_f32_e32 v99, v91, v167
	v_add_f32_e32 v4, v4, v5
	v_mul_f32_e32 v5, v89, v166
	v_add_f32_e32 v98, v98, v99
	s_waitcnt vmcnt(13)
	v_mul_f32_e32 v99, v92, v169
	v_fma_f32 v5, v88, v165, -v5
	s_waitcnt vmcnt(10)
	v_fmac_f32_e32 v99, v93, v172
	v_add_f32_e32 v4, v4, v5
	v_mul_f32_e32 v5, v91, v168
	v_add_f32_e32 v98, v98, v99
	s_waitcnt lgkmcnt(0)
	v_mul_f32_e32 v99, v94, v171
	v_fma_f32 v5, v90, v167, -v5
	v_fmac_f32_e32 v99, v95, v170
	v_add_f32_e32 v4, v4, v5
	v_mul_f32_e32 v5, v93, v169
	v_add_f32_e32 v102, v98, v99
	ds_read_b128 v[98:101], v1 offset:960
	v_fma_f32 v5, v92, v172, -v5
	v_add_f32_e32 v4, v4, v5
	v_mul_f32_e32 v5, v95, v171
	s_waitcnt vmcnt(8)
	v_mul_f32_e32 v103, v96, v174
	v_fma_f32 v5, v94, v170, -v5
	v_fmac_f32_e32 v103, v97, v173
	v_add_f32_e32 v4, v4, v5
	v_mul_f32_e32 v5, v97, v174
	v_add_f32_e32 v183, v102, v103
	ds_read_b128 v[102:105], v1 offset:976
	v_fma_f32 v5, v96, v173, -v5
	v_add_f32_e32 v4, v4, v5
	s_waitcnt vmcnt(6) lgkmcnt(1)
	v_mul_f32_e32 v5, v99, v176
	v_mul_f32_e32 v1, v98, v176
	v_fma_f32 v5, v98, v175, -v5
	v_fmac_f32_e32 v1, v99, v175
	v_add_f32_e32 v4, v4, v5
	s_waitcnt vmcnt(5)
	v_mul_f32_e32 v5, v101, v177
	v_add_f32_e32 v1, v183, v1
	v_mul_f32_e32 v183, v100, v177
	s_waitcnt vmcnt(2)
	v_fma_f32 v5, v100, v180, -v5
	v_fmac_f32_e32 v183, v101, v180
	v_add_f32_e32 v4, v4, v5
	s_waitcnt lgkmcnt(0)
	v_mul_f32_e32 v5, v103, v179
	v_add_f32_e32 v1, v1, v183
	v_mul_f32_e32 v183, v102, v179
	v_fma_f32 v5, v102, v178, -v5
	v_fmac_f32_e32 v183, v103, v178
	v_add_f32_e32 v4, v4, v5
	s_waitcnt vmcnt(0)
	v_mul_f32_e32 v5, v105, v182
	v_add_f32_e32 v1, v1, v183
	v_mul_f32_e32 v183, v104, v182
	v_fma_f32 v5, v104, v181, -v5
	v_fmac_f32_e32 v183, v105, v181
	v_add_f32_e32 v4, v4, v5
	v_add_f32_e32 v1, v1, v183
	v_sub_f32_e32 v2, v2, v4
	v_sub_f32_e32 v1, v3, v1
	buffer_store_dword v2, off, s[0:3], 0 offset:136
	buffer_store_dword v1, off, s[0:3], 0 offset:140
	s_and_saveexec_b64 s[4:5], vcc
	s_cbranch_execz .LBB61_353
; %bb.352:
	buffer_load_dword v1, off, s[0:3], 0 offset:128
	buffer_load_dword v2, off, s[0:3], 0 offset:132
	v_mov_b32_e32 v3, 0
	buffer_store_dword v3, off, s[0:3], 0 offset:128
	buffer_store_dword v3, off, s[0:3], 0 offset:132
	s_waitcnt vmcnt(2)
	ds_write_b64 v25, v[1:2]
.LBB61_353:
	s_or_b64 exec, exec, s[4:5]
	s_waitcnt lgkmcnt(0)
	; wave barrier
	buffer_load_dword v24, off, s[0:3], 0 offset:140
	buffer_load_dword v96, off, s[0:3], 0 offset:148
	;; [unrolled: 1-line block ×48, first 2 shown]
	v_mov_b32_e32 v1, 0
	ds_read2_b64 v[4:7], v1 offset0:79 offset1:80
	ds_read2_b64 v[8:11], v1 offset0:81 offset1:82
	;; [unrolled: 1-line block ×7, first 2 shown]
	v_cmp_lt_u32_e32 vcc, 15, v0
	s_waitcnt vmcnt(47) lgkmcnt(6)
	v_mul_f32_e32 v34, v4, v24
	s_waitcnt vmcnt(46)
	v_mul_f32_e32 v35, v6, v96
	s_waitcnt vmcnt(45) lgkmcnt(5)
	v_mul_f32_e32 v36, v8, v97
	s_waitcnt vmcnt(44)
	v_mul_f32_e32 v37, v10, v98
	;; [unrolled: 4-line block ×6, first 2 shown]
	s_waitcnt vmcnt(35)
	v_fmac_f32_e32 v36, v9, v107
	s_waitcnt vmcnt(34)
	v_fmac_f32_e32 v35, v7, v108
	;; [unrolled: 2-line block ×3, first 2 shown]
	v_add_f32_e32 v34, 0, v34
	v_add_f32_e32 v34, v34, v35
	v_add_f32_e32 v34, v34, v36
	s_waitcnt vmcnt(29)
	v_fmac_f32_e32 v37, v11, v113
	v_fmac_f32_e32 v38, v13, v112
	v_add_f32_e32 v34, v34, v37
	v_fmac_f32_e32 v39, v15, v111
	v_add_f32_e32 v34, v34, v38
	;; [unrolled: 2-line block ×3, first 2 shown]
	s_waitcnt vmcnt(25)
	v_fmac_f32_e32 v41, v19, v117
	v_add_f32_e32 v34, v34, v40
	v_fmac_f32_e32 v42, v21, v116
	v_add_f32_e32 v34, v34, v41
	;; [unrolled: 2-line block ×4, first 2 shown]
	s_waitcnt vmcnt(21)
	v_fmac_f32_e32 v45, v29, v123
	v_add_f32_e32 v34, v34, v44
	v_add_f32_e32 v38, v34, v45
	ds_read2_b64 v[34:37], v1 offset0:93 offset1:94
	buffer_load_dword v143, off, s[0:3], 0 offset:320
	buffer_load_dword v144, off, s[0:3], 0 offset:324
	;; [unrolled: 1-line block ×10, first 2 shown]
	s_waitcnt vmcnt(30) lgkmcnt(1)
	v_mul_f32_e32 v39, v30, v124
	v_fmac_f32_e32 v39, v31, v122
	buffer_load_dword v153, off, s[0:3], 0 offset:360
	buffer_load_dword v154, off, s[0:3], 0 offset:364
	;; [unrolled: 1-line block ×6, first 2 shown]
	v_add_f32_e32 v38, v38, v39
	s_waitcnt vmcnt(35)
	v_mul_f32_e32 v39, v32, v125
	v_fmac_f32_e32 v39, v33, v119
	v_add_f32_e32 v38, v38, v39
	s_waitcnt vmcnt(34) lgkmcnt(0)
	v_mul_f32_e32 v39, v34, v126
	v_fmac_f32_e32 v39, v35, v118
	v_add_f32_e32 v42, v38, v39
	ds_read2_b64 v[38:41], v1 offset0:95 offset1:96
	buffer_load_dword v159, off, s[0:3], 0 offset:384
	buffer_load_dword v160, off, s[0:3], 0 offset:388
	s_waitcnt vmcnt(32)
	v_mul_f32_e32 v43, v36, v128
	v_fmac_f32_e32 v43, v37, v127
	v_add_f32_e32 v46, v42, v43
	ds_read2_b64 v[42:45], v1 offset0:97 offset1:98
	buffer_load_dword v161, off, s[0:3], 0 offset:392
	buffer_load_dword v162, off, s[0:3], 0 offset:396
	;; [unrolled: 1-line block ×14, first 2 shown]
	s_waitcnt vmcnt(44) lgkmcnt(1)
	v_mul_f32_e32 v47, v38, v130
	v_fmac_f32_e32 v47, v39, v129
	buffer_load_dword v175, off, s[0:3], 0 offset:448
	buffer_load_dword v176, off, s[0:3], 0 offset:452
	v_add_f32_e32 v46, v46, v47
	s_waitcnt vmcnt(44)
	v_mul_f32_e32 v47, v40, v132
	v_fmac_f32_e32 v47, v41, v131
	v_add_f32_e32 v46, v46, v47
	s_waitcnt vmcnt(42) lgkmcnt(0)
	v_mul_f32_e32 v47, v42, v134
	v_fmac_f32_e32 v47, v43, v133
	v_mul_f32_e32 v5, v5, v24
	v_add_f32_e32 v50, v46, v47
	ds_read2_b64 v[46:49], v1 offset0:99 offset1:100
	buffer_load_dword v177, off, s[0:3], 0 offset:456
	buffer_load_dword v178, off, s[0:3], 0 offset:460
	buffer_load_dword v179, off, s[0:3], 0 offset:468
	buffer_load_dword v180, off, s[0:3], 0 offset:472
	buffer_load_dword v181, off, s[0:3], 0 offset:476
	buffer_load_dword v182, off, s[0:3], 0 offset:464
	v_fma_f32 v4, v4, v109, -v5
	v_mul_f32_e32 v5, v7, v96
	v_add_f32_e32 v4, 0, v4
	v_fma_f32 v5, v6, v108, -v5
	v_add_f32_e32 v4, v4, v5
	v_mul_f32_e32 v5, v9, v97
	s_waitcnt vmcnt(46)
	v_mul_f32_e32 v51, v44, v136
	v_fma_f32 v5, v8, v107, -v5
	v_fmac_f32_e32 v51, v45, v135
	v_add_f32_e32 v4, v4, v5
	v_mul_f32_e32 v5, v11, v98
	v_add_f32_e32 v54, v50, v51
	ds_read2_b64 v[50:53], v1 offset0:101 offset1:102
	buffer_load_dword v183, off, s[0:3], 0 offset:484
	buffer_load_dword v184, off, s[0:3], 0 offset:488
	;; [unrolled: 1-line block ×4, first 2 shown]
	v_fma_f32 v5, v10, v113, -v5
	v_add_f32_e32 v4, v4, v5
	v_mul_f32_e32 v5, v13, v99
	v_fma_f32 v5, v12, v112, -v5
	v_add_f32_e32 v4, v4, v5
	v_mul_f32_e32 v5, v15, v100
	;; [unrolled: 3-line block ×8, first 2 shown]
	v_fma_f32 v5, v28, v123, -v5
	s_waitcnt vmcnt(48) lgkmcnt(1)
	v_mul_f32_e32 v55, v46, v138
	v_add_f32_e32 v4, v4, v5
	v_mul_f32_e32 v5, v31, v124
	v_fmac_f32_e32 v55, v47, v137
	v_fma_f32 v5, v30, v122, -v5
	v_add_f32_e32 v54, v54, v55
	s_waitcnt vmcnt(46)
	v_mul_f32_e32 v55, v48, v140
	v_add_f32_e32 v4, v4, v5
	v_mul_f32_e32 v5, v33, v125
	v_fmac_f32_e32 v55, v49, v139
	v_fma_f32 v5, v32, v119, -v5
	v_add_f32_e32 v54, v54, v55
	s_waitcnt vmcnt(44) lgkmcnt(0)
	v_mul_f32_e32 v55, v50, v142
	v_add_f32_e32 v4, v4, v5
	v_mul_f32_e32 v5, v35, v126
	v_fmac_f32_e32 v55, v51, v141
	v_fma_f32 v5, v34, v118, -v5
	v_add_f32_e32 v58, v54, v55
	ds_read2_b64 v[54:57], v1 offset0:103 offset1:104
	v_add_f32_e32 v4, v4, v5
	v_mul_f32_e32 v5, v37, v128
	v_fma_f32 v5, v36, v127, -v5
	s_waitcnt vmcnt(42)
	v_mul_f32_e32 v59, v52, v144
	v_add_f32_e32 v4, v4, v5
	v_mul_f32_e32 v5, v39, v130
	v_fmac_f32_e32 v59, v53, v143
	v_fma_f32 v5, v38, v129, -v5
	v_add_f32_e32 v62, v58, v59
	ds_read2_b64 v[58:61], v1 offset0:105 offset1:106
	v_add_f32_e32 v4, v4, v5
	v_mul_f32_e32 v5, v41, v132
	s_waitcnt vmcnt(40) lgkmcnt(1)
	v_mul_f32_e32 v63, v54, v146
	v_fma_f32 v5, v40, v131, -v5
	v_fmac_f32_e32 v63, v55, v145
	v_add_f32_e32 v4, v4, v5
	v_mul_f32_e32 v5, v43, v134
	v_add_f32_e32 v62, v62, v63
	s_waitcnt vmcnt(39)
	v_mul_f32_e32 v63, v56, v147
	v_fma_f32 v5, v42, v133, -v5
	s_waitcnt vmcnt(36)
	v_fmac_f32_e32 v63, v57, v150
	v_add_f32_e32 v4, v4, v5
	v_mul_f32_e32 v5, v45, v136
	v_add_f32_e32 v62, v62, v63
	s_waitcnt lgkmcnt(0)
	v_mul_f32_e32 v63, v58, v149
	v_fma_f32 v5, v44, v135, -v5
	v_fmac_f32_e32 v63, v59, v148
	v_add_f32_e32 v4, v4, v5
	v_mul_f32_e32 v5, v47, v138
	v_add_f32_e32 v66, v62, v63
	ds_read2_b64 v[62:65], v1 offset0:107 offset1:108
	v_fma_f32 v5, v46, v137, -v5
	v_add_f32_e32 v4, v4, v5
	v_mul_f32_e32 v5, v49, v140
	s_waitcnt vmcnt(34)
	v_mul_f32_e32 v67, v60, v152
	v_fma_f32 v5, v48, v139, -v5
	v_fmac_f32_e32 v67, v61, v151
	v_add_f32_e32 v4, v4, v5
	v_mul_f32_e32 v5, v51, v142
	v_add_f32_e32 v70, v66, v67
	ds_read2_b64 v[66:69], v1 offset0:109 offset1:110
	v_fma_f32 v5, v50, v141, -v5
	s_waitcnt vmcnt(32) lgkmcnt(1)
	v_mul_f32_e32 v71, v62, v154
	v_add_f32_e32 v4, v4, v5
	v_mul_f32_e32 v5, v53, v144
	v_fmac_f32_e32 v71, v63, v153
	v_fma_f32 v5, v52, v143, -v5
	v_add_f32_e32 v70, v70, v71
	s_waitcnt vmcnt(31)
	v_mul_f32_e32 v71, v64, v155
	v_add_f32_e32 v4, v4, v5
	v_mul_f32_e32 v5, v55, v146
	s_waitcnt vmcnt(28)
	v_fmac_f32_e32 v71, v65, v158
	v_fma_f32 v5, v54, v145, -v5
	v_add_f32_e32 v70, v70, v71
	s_waitcnt lgkmcnt(0)
	v_mul_f32_e32 v71, v66, v157
	v_add_f32_e32 v4, v4, v5
	v_mul_f32_e32 v5, v57, v147
	v_fmac_f32_e32 v71, v67, v156
	v_fma_f32 v5, v56, v150, -v5
	v_add_f32_e32 v74, v70, v71
	ds_read2_b64 v[70:73], v1 offset0:111 offset1:112
	v_add_f32_e32 v4, v4, v5
	v_mul_f32_e32 v5, v59, v149
	v_fma_f32 v5, v58, v148, -v5
	s_waitcnt vmcnt(26)
	v_mul_f32_e32 v75, v68, v160
	v_add_f32_e32 v4, v4, v5
	v_mul_f32_e32 v5, v61, v152
	v_fmac_f32_e32 v75, v69, v159
	v_fma_f32 v5, v60, v151, -v5
	v_add_f32_e32 v78, v74, v75
	ds_read2_b64 v[74:77], v1 offset0:113 offset1:114
	v_add_f32_e32 v4, v4, v5
	v_mul_f32_e32 v5, v63, v154
	s_waitcnt vmcnt(24) lgkmcnt(1)
	v_mul_f32_e32 v79, v70, v162
	v_fma_f32 v5, v62, v153, -v5
	v_fmac_f32_e32 v79, v71, v161
	v_add_f32_e32 v4, v4, v5
	v_mul_f32_e32 v5, v65, v155
	v_add_f32_e32 v78, v78, v79
	s_waitcnt vmcnt(23)
	v_mul_f32_e32 v79, v72, v163
	v_fma_f32 v5, v64, v158, -v5
	s_waitcnt vmcnt(20)
	v_fmac_f32_e32 v79, v73, v166
	v_add_f32_e32 v4, v4, v5
	v_mul_f32_e32 v5, v67, v157
	v_add_f32_e32 v78, v78, v79
	s_waitcnt lgkmcnt(0)
	v_mul_f32_e32 v79, v74, v165
	v_fma_f32 v5, v66, v156, -v5
	v_fmac_f32_e32 v79, v75, v164
	v_add_f32_e32 v4, v4, v5
	v_mul_f32_e32 v5, v69, v160
	v_add_f32_e32 v82, v78, v79
	ds_read2_b64 v[78:81], v1 offset0:115 offset1:116
	v_fma_f32 v5, v68, v159, -v5
	v_add_f32_e32 v4, v4, v5
	v_mul_f32_e32 v5, v71, v162
	s_waitcnt vmcnt(18)
	v_mul_f32_e32 v83, v76, v168
	v_fma_f32 v5, v70, v161, -v5
	v_fmac_f32_e32 v83, v77, v167
	v_add_f32_e32 v4, v4, v5
	v_mul_f32_e32 v5, v73, v163
	v_add_f32_e32 v86, v82, v83
	ds_read2_b64 v[82:85], v1 offset0:117 offset1:118
	v_fma_f32 v5, v72, v166, -v5
	s_waitcnt vmcnt(16) lgkmcnt(1)
	v_mul_f32_e32 v87, v78, v170
	v_add_f32_e32 v4, v4, v5
	v_mul_f32_e32 v5, v75, v165
	v_fmac_f32_e32 v87, v79, v169
	v_fma_f32 v5, v74, v164, -v5
	v_add_f32_e32 v86, v86, v87
	s_waitcnt vmcnt(15)
	v_mul_f32_e32 v87, v80, v171
	v_add_f32_e32 v4, v4, v5
	v_mul_f32_e32 v5, v77, v168
	s_waitcnt vmcnt(12)
	v_fmac_f32_e32 v87, v81, v174
	v_fma_f32 v5, v76, v167, -v5
	v_add_f32_e32 v86, v86, v87
	s_waitcnt lgkmcnt(0)
	v_mul_f32_e32 v87, v82, v173
	v_add_f32_e32 v4, v4, v5
	v_mul_f32_e32 v5, v79, v170
	v_fmac_f32_e32 v87, v83, v172
	v_fma_f32 v5, v78, v169, -v5
	v_add_f32_e32 v90, v86, v87
	ds_read2_b64 v[86:89], v1 offset0:119 offset1:120
	v_add_f32_e32 v4, v4, v5
	v_mul_f32_e32 v5, v81, v171
	v_fma_f32 v5, v80, v174, -v5
	v_add_f32_e32 v4, v4, v5
	v_mul_f32_e32 v5, v83, v173
	s_waitcnt vmcnt(10)
	v_mul_f32_e32 v91, v84, v176
	v_fma_f32 v5, v82, v172, -v5
	v_fmac_f32_e32 v91, v85, v175
	v_add_f32_e32 v4, v4, v5
	v_mul_f32_e32 v5, v85, v176
	v_add_f32_e32 v94, v90, v91
	ds_read2_b64 v[90:93], v1 offset0:121 offset1:122
	s_waitcnt vmcnt(8) lgkmcnt(1)
	v_mul_f32_e32 v95, v86, v178
	v_fma_f32 v5, v84, v175, -v5
	v_fmac_f32_e32 v95, v87, v177
	v_add_f32_e32 v4, v4, v5
	v_mul_f32_e32 v5, v87, v178
	v_add_f32_e32 v94, v94, v95
	s_waitcnt vmcnt(7)
	v_mul_f32_e32 v95, v88, v179
	v_fma_f32 v5, v86, v177, -v5
	s_waitcnt vmcnt(4)
	v_fmac_f32_e32 v95, v89, v182
	v_add_f32_e32 v4, v4, v5
	v_mul_f32_e32 v5, v89, v179
	v_add_f32_e32 v187, v94, v95
	ds_read_b64 v[94:95], v1 offset:984
	v_fma_f32 v5, v88, v182, -v5
	v_add_f32_e32 v4, v4, v5
	s_waitcnt lgkmcnt(1)
	v_mul_f32_e32 v5, v91, v181
	v_mul_f32_e32 v188, v90, v181
	v_fma_f32 v5, v90, v180, -v5
	v_fmac_f32_e32 v188, v91, v180
	v_add_f32_e32 v4, v4, v5
	s_waitcnt vmcnt(3)
	v_mul_f32_e32 v5, v93, v183
	v_add_f32_e32 v187, v187, v188
	v_mul_f32_e32 v188, v92, v183
	s_waitcnt vmcnt(0)
	v_fma_f32 v5, v92, v186, -v5
	v_fmac_f32_e32 v188, v93, v186
	v_add_f32_e32 v4, v4, v5
	s_waitcnt lgkmcnt(0)
	v_mul_f32_e32 v5, v95, v185
	v_add_f32_e32 v187, v187, v188
	v_mul_f32_e32 v188, v94, v185
	v_fma_f32 v5, v94, v184, -v5
	v_fmac_f32_e32 v188, v95, v184
	v_add_f32_e32 v4, v4, v5
	v_add_f32_e32 v187, v187, v188
	v_sub_f32_e32 v2, v2, v4
	v_sub_f32_e32 v3, v3, v187
	buffer_store_dword v2, off, s[0:3], 0 offset:128
	buffer_store_dword v3, off, s[0:3], 0 offset:132
	s_and_saveexec_b64 s[4:5], vcc
	s_cbranch_execz .LBB61_355
; %bb.354:
	buffer_load_dword v2, off, s[0:3], 0 offset:120
	buffer_load_dword v3, off, s[0:3], 0 offset:124
	s_waitcnt vmcnt(0)
	ds_write_b64 v25, v[2:3]
	buffer_store_dword v1, off, s[0:3], 0 offset:120
	buffer_store_dword v1, off, s[0:3], 0 offset:124
.LBB61_355:
	s_or_b64 exec, exec, s[4:5]
	s_waitcnt lgkmcnt(0)
	; wave barrier
	buffer_load_dword v10, off, s[0:3], 0 offset:132
	buffer_load_dword v9, off, s[0:3], 0 offset:140
	;; [unrolled: 1-line block ×33, first 2 shown]
	ds_read_b128 v[11:14], v1 offset:624
	ds_read_b128 v[15:18], v1 offset:640
	;; [unrolled: 1-line block ×6, first 2 shown]
	buffer_load_dword v130, off, s[0:3], 0 offset:248
	buffer_load_dword v131, off, s[0:3], 0 offset:260
	;; [unrolled: 1-line block ×7, first 2 shown]
	ds_read_b128 v[38:41], v1 offset:720
	ds_read_b128 v[42:45], v1 offset:736
	buffer_load_dword v137, off, s[0:3], 0 offset:280
	buffer_load_dword v138, off, s[0:3], 0 offset:284
	;; [unrolled: 1-line block ×18, first 2 shown]
	v_cmp_lt_u32_e32 vcc, 14, v0
	s_waitcnt vmcnt(57) lgkmcnt(7)
	v_mul_f32_e32 v46, v11, v10
	s_waitcnt vmcnt(56)
	v_mul_f32_e32 v47, v13, v9
	s_waitcnt vmcnt(55) lgkmcnt(6)
	v_mul_f32_e32 v48, v15, v8
	s_waitcnt vmcnt(54)
	v_mul_f32_e32 v49, v17, v7
	;; [unrolled: 4-line block ×6, first 2 shown]
	s_waitcnt vmcnt(45)
	v_fmac_f32_e32 v48, v16, v109
	s_waitcnt vmcnt(44)
	v_fmac_f32_e32 v47, v14, v110
	;; [unrolled: 2-line block ×3, first 2 shown]
	v_add_f32_e32 v46, 0, v46
	v_add_f32_e32 v46, v46, v47
	;; [unrolled: 1-line block ×3, first 2 shown]
	s_waitcnt vmcnt(39)
	v_fmac_f32_e32 v49, v18, v115
	v_fmac_f32_e32 v50, v20, v114
	v_add_f32_e32 v46, v46, v49
	v_fmac_f32_e32 v51, v22, v113
	v_add_f32_e32 v46, v46, v50
	;; [unrolled: 2-line block ×3, first 2 shown]
	s_waitcnt vmcnt(35)
	v_fmac_f32_e32 v53, v29, v119
	v_add_f32_e32 v46, v46, v52
	v_fmac_f32_e32 v54, v31, v118
	v_add_f32_e32 v46, v46, v53
	;; [unrolled: 2-line block ×4, first 2 shown]
	s_waitcnt vmcnt(31)
	v_fmac_f32_e32 v57, v37, v125
	v_add_f32_e32 v46, v46, v56
	s_waitcnt vmcnt(30) lgkmcnt(1)
	v_mul_f32_e32 v47, v38, v126
	v_add_f32_e32 v46, v46, v57
	v_fmac_f32_e32 v47, v39, v124
	v_add_f32_e32 v46, v46, v47
	s_waitcnt vmcnt(29)
	v_mul_f32_e32 v47, v40, v127
	v_fmac_f32_e32 v47, v41, v123
	v_add_f32_e32 v46, v46, v47
	s_waitcnt vmcnt(28) lgkmcnt(0)
	v_mul_f32_e32 v47, v42, v128
	v_fmac_f32_e32 v47, v43, v122
	v_add_f32_e32 v50, v46, v47
	ds_read_b128 v[46:49], v1 offset:752
	buffer_load_dword v155, off, s[0:3], 0 offset:352
	buffer_load_dword v156, off, s[0:3], 0 offset:356
	;; [unrolled: 1-line block ×6, first 2 shown]
	s_waitcnt vmcnt(33)
	v_mul_f32_e32 v51, v44, v129
	s_waitcnt vmcnt(30)
	v_fmac_f32_e32 v51, v45, v130
	v_add_f32_e32 v54, v50, v51
	ds_read_b128 v[50:53], v1 offset:768
	buffer_load_dword v161, off, s[0:3], 0 offset:376
	buffer_load_dword v162, off, s[0:3], 0 offset:380
	buffer_load_dword v163, off, s[0:3], 0 offset:384
	buffer_load_dword v164, off, s[0:3], 0 offset:388
	buffer_load_dword v165, off, s[0:3], 0 offset:396
	buffer_load_dword v166, off, s[0:3], 0 offset:400
	buffer_load_dword v167, off, s[0:3], 0 offset:404
	buffer_load_dword v168, off, s[0:3], 0 offset:392
	buffer_load_dword v169, off, s[0:3], 0 offset:408
	buffer_load_dword v170, off, s[0:3], 0 offset:412
	s_waitcnt vmcnt(39) lgkmcnt(1)
	v_mul_f32_e32 v55, v46, v131
	buffer_load_dword v171, off, s[0:3], 0 offset:416
	buffer_load_dword v172, off, s[0:3], 0 offset:420
	;; [unrolled: 1-line block ×6, first 2 shown]
	s_waitcnt vmcnt(40)
	v_fmac_f32_e32 v55, v47, v136
	v_add_f32_e32 v54, v54, v55
	v_mul_f32_e32 v55, v48, v133
	v_fmac_f32_e32 v55, v49, v132
	v_add_f32_e32 v54, v54, v55
	s_waitcnt lgkmcnt(0)
	v_mul_f32_e32 v55, v50, v135
	v_fmac_f32_e32 v55, v51, v134
	v_add_f32_e32 v58, v54, v55
	ds_read_b128 v[54:57], v1 offset:784
	buffer_load_dword v177, off, s[0:3], 0 offset:440
	buffer_load_dword v178, off, s[0:3], 0 offset:444
	s_waitcnt vmcnt(40)
	v_mul_f32_e32 v59, v52, v138
	v_fmac_f32_e32 v59, v53, v137
	v_add_f32_e32 v62, v58, v59
	ds_read_b128 v[58:61], v1 offset:800
	buffer_load_dword v179, off, s[0:3], 0 offset:448
	buffer_load_dword v180, off, s[0:3], 0 offset:452
	buffer_load_dword v181, off, s[0:3], 0 offset:460
	buffer_load_dword v182, off, s[0:3], 0 offset:464
	buffer_load_dword v183, off, s[0:3], 0 offset:468
	buffer_load_dword v184, off, s[0:3], 0 offset:456
	v_mul_f32_e32 v10, v12, v10
	v_fma_f32 v10, v11, v111, -v10
	v_mul_f32_e32 v9, v14, v9
	v_add_f32_e32 v10, 0, v10
	v_fma_f32 v9, v13, v110, -v9
	v_mul_f32_e32 v8, v16, v8
	buffer_load_dword v185, off, s[0:3], 0 offset:472
	buffer_load_dword v186, off, s[0:3], 0 offset:476
	;; [unrolled: 1-line block ×6, first 2 shown]
	v_add_f32_e32 v9, v10, v9
	v_fma_f32 v8, v15, v109, -v8
	v_mul_f32_e32 v7, v18, v7
	v_add_f32_e32 v8, v9, v8
	v_fma_f32 v7, v17, v115, -v7
	v_mul_f32_e32 v6, v20, v6
	;; [unrolled: 3-line block ×4, first 2 shown]
	v_add_f32_e32 v5, v6, v5
	v_fma_f32 v4, v26, v112, -v4
	v_add_f32_e32 v4, v5, v4
	v_mul_f32_e32 v5, v29, v23
	v_fma_f32 v5, v28, v119, -v5
	v_add_f32_e32 v4, v4, v5
	v_mul_f32_e32 v5, v31, v24
	;; [unrolled: 3-line block ×5, first 2 shown]
	v_fma_f32 v5, v36, v125, -v5
	s_waitcnt vmcnt(50) lgkmcnt(1)
	v_mul_f32_e32 v63, v54, v140
	v_add_f32_e32 v4, v4, v5
	v_mul_f32_e32 v5, v39, v126
	v_fmac_f32_e32 v63, v55, v139
	v_fma_f32 v5, v38, v124, -v5
	v_add_f32_e32 v62, v62, v63
	s_waitcnt vmcnt(48)
	v_mul_f32_e32 v63, v56, v142
	v_add_f32_e32 v4, v4, v5
	v_mul_f32_e32 v5, v41, v127
	v_fmac_f32_e32 v63, v57, v141
	v_fma_f32 v5, v40, v123, -v5
	v_add_f32_e32 v62, v62, v63
	s_waitcnt vmcnt(46) lgkmcnt(0)
	v_mul_f32_e32 v63, v58, v144
	v_add_f32_e32 v4, v4, v5
	v_mul_f32_e32 v5, v43, v128
	v_fmac_f32_e32 v63, v59, v143
	v_fma_f32 v5, v42, v122, -v5
	v_add_f32_e32 v66, v62, v63
	ds_read_b128 v[62:65], v1 offset:816
	v_add_f32_e32 v4, v4, v5
	v_mul_f32_e32 v5, v45, v129
	v_fma_f32 v5, v44, v130, -v5
	s_waitcnt vmcnt(44)
	v_mul_f32_e32 v67, v60, v146
	v_add_f32_e32 v4, v4, v5
	v_mul_f32_e32 v5, v47, v131
	v_fmac_f32_e32 v67, v61, v145
	v_fma_f32 v5, v46, v136, -v5
	v_add_f32_e32 v70, v66, v67
	ds_read_b128 v[66:69], v1 offset:832
	v_add_f32_e32 v4, v4, v5
	v_mul_f32_e32 v5, v49, v133
	s_waitcnt vmcnt(42) lgkmcnt(1)
	v_mul_f32_e32 v71, v62, v148
	v_fma_f32 v5, v48, v132, -v5
	v_fmac_f32_e32 v71, v63, v147
	v_add_f32_e32 v4, v4, v5
	v_mul_f32_e32 v5, v51, v135
	v_add_f32_e32 v70, v70, v71
	s_waitcnt vmcnt(41)
	v_mul_f32_e32 v71, v64, v149
	v_fma_f32 v5, v50, v134, -v5
	s_waitcnt vmcnt(38)
	v_fmac_f32_e32 v71, v65, v152
	v_add_f32_e32 v4, v4, v5
	v_mul_f32_e32 v5, v53, v138
	v_add_f32_e32 v70, v70, v71
	s_waitcnt lgkmcnt(0)
	v_mul_f32_e32 v71, v66, v151
	v_fma_f32 v5, v52, v137, -v5
	v_fmac_f32_e32 v71, v67, v150
	v_add_f32_e32 v4, v4, v5
	v_mul_f32_e32 v5, v55, v140
	v_add_f32_e32 v74, v70, v71
	ds_read_b128 v[70:73], v1 offset:848
	v_fma_f32 v5, v54, v139, -v5
	v_add_f32_e32 v4, v4, v5
	v_mul_f32_e32 v5, v57, v142
	s_waitcnt vmcnt(36)
	v_mul_f32_e32 v75, v68, v154
	v_fma_f32 v5, v56, v141, -v5
	v_fmac_f32_e32 v75, v69, v153
	v_add_f32_e32 v4, v4, v5
	v_mul_f32_e32 v5, v59, v144
	v_add_f32_e32 v78, v74, v75
	ds_read_b128 v[74:77], v1 offset:864
	v_fma_f32 v5, v58, v143, -v5
	s_waitcnt vmcnt(34) lgkmcnt(1)
	v_mul_f32_e32 v79, v70, v156
	v_add_f32_e32 v4, v4, v5
	v_mul_f32_e32 v5, v61, v146
	v_fmac_f32_e32 v79, v71, v155
	v_fma_f32 v5, v60, v145, -v5
	v_add_f32_e32 v78, v78, v79
	s_waitcnt vmcnt(33)
	v_mul_f32_e32 v79, v72, v157
	v_add_f32_e32 v4, v4, v5
	v_mul_f32_e32 v5, v63, v148
	s_waitcnt vmcnt(30)
	v_fmac_f32_e32 v79, v73, v160
	v_fma_f32 v5, v62, v147, -v5
	v_add_f32_e32 v78, v78, v79
	s_waitcnt lgkmcnt(0)
	v_mul_f32_e32 v79, v74, v159
	v_add_f32_e32 v4, v4, v5
	v_mul_f32_e32 v5, v65, v149
	v_fmac_f32_e32 v79, v75, v158
	v_fma_f32 v5, v64, v152, -v5
	v_add_f32_e32 v82, v78, v79
	ds_read_b128 v[78:81], v1 offset:880
	v_add_f32_e32 v4, v4, v5
	v_mul_f32_e32 v5, v67, v151
	v_fma_f32 v5, v66, v150, -v5
	s_waitcnt vmcnt(28)
	v_mul_f32_e32 v83, v76, v162
	v_add_f32_e32 v4, v4, v5
	v_mul_f32_e32 v5, v69, v154
	v_fmac_f32_e32 v83, v77, v161
	v_fma_f32 v5, v68, v153, -v5
	v_add_f32_e32 v86, v82, v83
	ds_read_b128 v[82:85], v1 offset:896
	v_add_f32_e32 v4, v4, v5
	v_mul_f32_e32 v5, v71, v156
	s_waitcnt vmcnt(26) lgkmcnt(1)
	v_mul_f32_e32 v87, v78, v164
	v_fma_f32 v5, v70, v155, -v5
	v_fmac_f32_e32 v87, v79, v163
	v_add_f32_e32 v4, v4, v5
	v_mul_f32_e32 v5, v73, v157
	v_add_f32_e32 v86, v86, v87
	s_waitcnt vmcnt(25)
	v_mul_f32_e32 v87, v80, v165
	v_fma_f32 v5, v72, v160, -v5
	s_waitcnt vmcnt(22)
	v_fmac_f32_e32 v87, v81, v168
	v_add_f32_e32 v4, v4, v5
	v_mul_f32_e32 v5, v75, v159
	v_add_f32_e32 v86, v86, v87
	s_waitcnt lgkmcnt(0)
	v_mul_f32_e32 v87, v82, v167
	v_fma_f32 v5, v74, v158, -v5
	v_fmac_f32_e32 v87, v83, v166
	v_add_f32_e32 v4, v4, v5
	v_mul_f32_e32 v5, v77, v162
	v_add_f32_e32 v90, v86, v87
	ds_read_b128 v[86:89], v1 offset:912
	v_fma_f32 v5, v76, v161, -v5
	v_add_f32_e32 v4, v4, v5
	v_mul_f32_e32 v5, v79, v164
	s_waitcnt vmcnt(20)
	v_mul_f32_e32 v91, v84, v170
	v_fma_f32 v5, v78, v163, -v5
	v_fmac_f32_e32 v91, v85, v169
	v_add_f32_e32 v4, v4, v5
	v_mul_f32_e32 v5, v81, v165
	v_add_f32_e32 v94, v90, v91
	ds_read_b128 v[90:93], v1 offset:928
	v_fma_f32 v5, v80, v168, -v5
	s_waitcnt vmcnt(18) lgkmcnt(1)
	v_mul_f32_e32 v95, v86, v172
	v_add_f32_e32 v4, v4, v5
	v_mul_f32_e32 v5, v83, v167
	v_fmac_f32_e32 v95, v87, v171
	v_fma_f32 v5, v82, v166, -v5
	v_add_f32_e32 v94, v94, v95
	s_waitcnt vmcnt(17)
	v_mul_f32_e32 v95, v88, v173
	v_add_f32_e32 v4, v4, v5
	v_mul_f32_e32 v5, v85, v170
	s_waitcnt vmcnt(14)
	v_fmac_f32_e32 v95, v89, v176
	v_fma_f32 v5, v84, v169, -v5
	v_add_f32_e32 v94, v94, v95
	s_waitcnt lgkmcnt(0)
	v_mul_f32_e32 v95, v90, v175
	v_add_f32_e32 v4, v4, v5
	v_mul_f32_e32 v5, v87, v172
	v_fmac_f32_e32 v95, v91, v174
	v_fma_f32 v5, v86, v171, -v5
	v_add_f32_e32 v98, v94, v95
	ds_read_b128 v[94:97], v1 offset:944
	v_add_f32_e32 v4, v4, v5
	v_mul_f32_e32 v5, v89, v173
	v_fma_f32 v5, v88, v176, -v5
	v_add_f32_e32 v4, v4, v5
	v_mul_f32_e32 v5, v91, v175
	s_waitcnt vmcnt(12)
	v_mul_f32_e32 v99, v92, v178
	v_fma_f32 v5, v90, v174, -v5
	v_fmac_f32_e32 v99, v93, v177
	v_add_f32_e32 v4, v4, v5
	v_mul_f32_e32 v5, v93, v178
	v_add_f32_e32 v102, v98, v99
	ds_read_b128 v[98:101], v1 offset:960
	s_waitcnt vmcnt(10) lgkmcnt(1)
	v_mul_f32_e32 v103, v94, v180
	v_fma_f32 v5, v92, v177, -v5
	v_fmac_f32_e32 v103, v95, v179
	v_add_f32_e32 v4, v4, v5
	v_mul_f32_e32 v5, v95, v180
	v_add_f32_e32 v102, v102, v103
	s_waitcnt vmcnt(9)
	v_mul_f32_e32 v103, v96, v181
	v_fma_f32 v5, v94, v179, -v5
	s_waitcnt vmcnt(6)
	v_fmac_f32_e32 v103, v97, v184
	v_add_f32_e32 v4, v4, v5
	v_mul_f32_e32 v5, v97, v181
	v_add_f32_e32 v191, v102, v103
	ds_read_b128 v[102:105], v1 offset:976
	v_fma_f32 v5, v96, v184, -v5
	v_add_f32_e32 v4, v4, v5
	s_waitcnt lgkmcnt(1)
	v_mul_f32_e32 v5, v99, v183
	v_mul_f32_e32 v192, v98, v183
	v_fma_f32 v5, v98, v182, -v5
	v_fmac_f32_e32 v192, v99, v182
	v_add_f32_e32 v4, v4, v5
	s_waitcnt vmcnt(4)
	v_mul_f32_e32 v5, v101, v186
	v_add_f32_e32 v1, v191, v192
	v_mul_f32_e32 v191, v100, v186
	v_fma_f32 v5, v100, v185, -v5
	v_fmac_f32_e32 v191, v101, v185
	v_add_f32_e32 v4, v4, v5
	s_waitcnt vmcnt(3) lgkmcnt(0)
	v_mul_f32_e32 v5, v103, v187
	v_add_f32_e32 v1, v1, v191
	v_mul_f32_e32 v191, v102, v187
	s_waitcnt vmcnt(0)
	v_fma_f32 v5, v102, v190, -v5
	v_fmac_f32_e32 v191, v103, v190
	v_add_f32_e32 v4, v4, v5
	v_mul_f32_e32 v5, v105, v189
	v_add_f32_e32 v1, v1, v191
	v_mul_f32_e32 v191, v104, v189
	v_fma_f32 v5, v104, v188, -v5
	v_fmac_f32_e32 v191, v105, v188
	v_add_f32_e32 v4, v4, v5
	v_add_f32_e32 v1, v1, v191
	v_sub_f32_e32 v2, v2, v4
	v_sub_f32_e32 v1, v3, v1
	buffer_store_dword v2, off, s[0:3], 0 offset:120
	buffer_store_dword v1, off, s[0:3], 0 offset:124
	s_and_saveexec_b64 s[4:5], vcc
	s_cbranch_execz .LBB61_357
; %bb.356:
	buffer_load_dword v1, off, s[0:3], 0 offset:112
	buffer_load_dword v2, off, s[0:3], 0 offset:116
	v_mov_b32_e32 v3, 0
	buffer_store_dword v3, off, s[0:3], 0 offset:112
	buffer_store_dword v3, off, s[0:3], 0 offset:116
	s_waitcnt vmcnt(2)
	ds_write_b64 v25, v[1:2]
.LBB61_357:
	s_or_b64 exec, exec, s[4:5]
	s_waitcnt lgkmcnt(0)
	; wave barrier
	buffer_load_dword v8, off, s[0:3], 0 offset:124
	buffer_load_dword v7, off, s[0:3], 0 offset:132
	buffer_load_dword v6, off, s[0:3], 0 offset:140
	buffer_load_dword v5, off, s[0:3], 0 offset:148
	buffer_load_dword v4, off, s[0:3], 0 offset:156
	buffer_load_dword v3, off, s[0:3], 0 offset:164
	buffer_load_dword v2, off, s[0:3], 0 offset:172
	buffer_load_dword v106, off, s[0:3], 0 offset:180
	buffer_load_dword v107, off, s[0:3], 0 offset:188
	buffer_load_dword v108, off, s[0:3], 0 offset:196
	buffer_load_dword v109, off, s[0:3], 0 offset:204
	buffer_load_dword v110, off, s[0:3], 0 offset:212
	buffer_load_dword v111, off, s[0:3], 0 offset:136
	buffer_load_dword v112, off, s[0:3], 0 offset:128
	buffer_load_dword v113, off, s[0:3], 0 offset:120
	buffer_load_dword v114, off, s[0:3], 0 offset:168
	buffer_load_dword v115, off, s[0:3], 0 offset:160
	buffer_load_dword v116, off, s[0:3], 0 offset:152
	buffer_load_dword v117, off, s[0:3], 0 offset:144
	buffer_load_dword v118, off, s[0:3], 0 offset:200
	buffer_load_dword v119, off, s[0:3], 0 offset:192
	buffer_load_dword v122, off, s[0:3], 0 offset:184
	buffer_load_dword v123, off, s[0:3], 0 offset:176
	buffer_load_dword v124, off, s[0:3], 0 offset:232
	buffer_load_dword v125, off, s[0:3], 0 offset:224
	buffer_load_dword v126, off, s[0:3], 0 offset:216
	buffer_load_dword v127, off, s[0:3], 0 offset:208
	buffer_load_dword v128, off, s[0:3], 0 offset:220
	buffer_load_dword v129, off, s[0:3], 0 offset:228
	buffer_load_dword v130, off, s[0:3], 0 offset:236
	buffer_load_dword v131, off, s[0:3], 0 offset:244
	buffer_load_dword v132, off, s[0:3], 0 offset:248
	buffer_load_dword v133, off, s[0:3], 0 offset:252
	buffer_load_dword v134, off, s[0:3], 0 offset:256
	buffer_load_dword v135, off, s[0:3], 0 offset:260
	buffer_load_dword v136, off, s[0:3], 0 offset:264
	buffer_load_dword v137, off, s[0:3], 0 offset:268
	buffer_load_dword v138, off, s[0:3], 0 offset:240
	buffer_load_dword v9, off, s[0:3], 0 offset:112
	buffer_load_dword v10, off, s[0:3], 0 offset:116
	v_mov_b32_e32 v1, 0
	buffer_load_dword v139, off, s[0:3], 0 offset:272
	buffer_load_dword v140, off, s[0:3], 0 offset:276
	;; [unrolled: 1-line block ×8, first 2 shown]
	ds_read2_b64 v[11:14], v1 offset0:77 offset1:78
	ds_read2_b64 v[15:18], v1 offset0:79 offset1:80
	;; [unrolled: 1-line block ×7, first 2 shown]
	v_cmp_lt_u32_e32 vcc, 13, v0
	s_waitcnt vmcnt(47) lgkmcnt(6)
	v_mul_f32_e32 v23, v11, v8
	s_waitcnt vmcnt(46)
	v_mul_f32_e32 v24, v13, v7
	s_waitcnt vmcnt(45) lgkmcnt(5)
	v_mul_f32_e32 v42, v15, v6
	s_waitcnt vmcnt(44)
	v_mul_f32_e32 v43, v17, v5
	;; [unrolled: 4-line block ×6, first 2 shown]
	s_waitcnt vmcnt(35)
	v_fmac_f32_e32 v42, v16, v111
	s_waitcnt vmcnt(34)
	v_fmac_f32_e32 v24, v14, v112
	;; [unrolled: 2-line block ×3, first 2 shown]
	v_add_f32_e32 v23, 0, v23
	v_add_f32_e32 v23, v23, v24
	;; [unrolled: 1-line block ×3, first 2 shown]
	s_waitcnt vmcnt(29)
	v_fmac_f32_e32 v43, v18, v117
	v_fmac_f32_e32 v44, v20, v116
	v_add_f32_e32 v23, v23, v43
	v_fmac_f32_e32 v45, v22, v115
	v_add_f32_e32 v23, v23, v44
	v_add_f32_e32 v23, v23, v45
	ds_read2_b64 v[42:45], v1 offset0:91 offset1:92
	buffer_load_dword v147, off, s[0:3], 0 offset:304
	buffer_load_dword v148, off, s[0:3], 0 offset:308
	;; [unrolled: 1-line block ×10, first 2 shown]
	v_fmac_f32_e32 v46, v27, v114
	s_waitcnt vmcnt(35)
	v_fmac_f32_e32 v47, v29, v123
	v_add_f32_e32 v23, v23, v46
	v_fmac_f32_e32 v48, v31, v122
	v_add_f32_e32 v23, v23, v47
	;; [unrolled: 2-line block ×3, first 2 shown]
	v_add_f32_e32 v23, v23, v49
	ds_read2_b64 v[46:49], v1 offset0:93 offset1:94
	buffer_load_dword v157, off, s[0:3], 0 offset:344
	buffer_load_dword v158, off, s[0:3], 0 offset:348
	;; [unrolled: 1-line block ×6, first 2 shown]
	v_fmac_f32_e32 v50, v35, v118
	s_waitcnt vmcnt(37)
	v_fmac_f32_e32 v51, v37, v127
	v_add_f32_e32 v23, v23, v50
	v_add_f32_e32 v23, v23, v51
	ds_read2_b64 v[50:53], v1 offset0:95 offset1:96
	buffer_load_dword v163, off, s[0:3], 0 offset:368
	buffer_load_dword v164, off, s[0:3], 0 offset:372
	;; [unrolled: 1-line block ×10, first 2 shown]
	ds_read2_b64 v[54:57], v1 offset0:97 offset1:98
	buffer_load_dword v173, off, s[0:3], 0 offset:408
	buffer_load_dword v174, off, s[0:3], 0 offset:412
	;; [unrolled: 1-line block ×6, first 2 shown]
	ds_read2_b64 v[58:61], v1 offset0:99 offset1:100
	buffer_load_dword v179, off, s[0:3], 0 offset:432
	buffer_load_dword v180, off, s[0:3], 0 offset:436
	buffer_load_dword v181, off, s[0:3], 0 offset:440
	buffer_load_dword v182, off, s[0:3], 0 offset:444
	buffer_load_dword v183, off, s[0:3], 0 offset:452
	buffer_load_dword v184, off, s[0:3], 0 offset:456
	buffer_load_dword v185, off, s[0:3], 0 offset:460
	buffer_load_dword v186, off, s[0:3], 0 offset:448
	buffer_load_dword v187, off, s[0:3], 0 offset:464
	buffer_load_dword v188, off, s[0:3], 0 offset:468
	v_mul_f32_e32 v8, v12, v8
	v_fma_f32 v8, v11, v113, -v8
	v_mul_f32_e32 v7, v14, v7
	v_add_f32_e32 v8, 0, v8
	v_fma_f32 v7, v13, v112, -v7
	v_mul_f32_e32 v6, v16, v6
	v_add_f32_e32 v7, v8, v7
	v_fma_f32 v6, v15, v111, -v6
	v_mul_f32_e32 v5, v18, v5
	v_add_f32_e32 v6, v7, v6
	v_fma_f32 v5, v17, v117, -v5
	v_mul_f32_e32 v4, v20, v4
	buffer_load_dword v189, off, s[0:3], 0 offset:472
	buffer_load_dword v190, off, s[0:3], 0 offset:476
	;; [unrolled: 1-line block ×6, first 2 shown]
	v_add_f32_e32 v5, v6, v5
	v_fma_f32 v4, v19, v116, -v4
	v_mul_f32_e32 v3, v22, v3
	v_add_f32_e32 v4, v5, v4
	v_fma_f32 v3, v21, v115, -v3
	v_mul_f32_e32 v2, v27, v2
	v_add_f32_e32 v3, v4, v3
	v_fma_f32 v2, v26, v114, -v2
	v_add_f32_e32 v2, v3, v2
	v_mul_f32_e32 v3, v29, v106
	v_fma_f32 v3, v28, v123, -v3
	v_add_f32_e32 v2, v2, v3
	v_mul_f32_e32 v3, v31, v107
	;; [unrolled: 3-line block ×5, first 2 shown]
	s_waitcnt vmcnt(62) lgkmcnt(5)
	v_mul_f32_e32 v24, v38, v128
	v_fma_f32 v3, v36, v127, -v3
	v_fmac_f32_e32 v24, v39, v126
	v_add_f32_e32 v2, v2, v3
	v_mul_f32_e32 v3, v39, v128
	v_add_f32_e32 v23, v23, v24
	v_mul_f32_e32 v24, v40, v129
	v_fma_f32 v3, v38, v126, -v3
	v_fmac_f32_e32 v24, v41, v125
	v_add_f32_e32 v2, v2, v3
	v_mul_f32_e32 v3, v41, v129
	v_add_f32_e32 v23, v23, v24
	s_waitcnt lgkmcnt(4)
	v_mul_f32_e32 v24, v42, v130
	v_fma_f32 v3, v40, v125, -v3
	v_fmac_f32_e32 v24, v43, v124
	v_add_f32_e32 v2, v2, v3
	v_mul_f32_e32 v3, v43, v130
	v_add_f32_e32 v23, v23, v24
	v_mul_f32_e32 v24, v44, v131
	v_fma_f32 v3, v42, v124, -v3
	s_waitcnt vmcnt(58)
	v_fmac_f32_e32 v24, v45, v138
	v_add_f32_e32 v2, v2, v3
	v_mul_f32_e32 v3, v45, v131
	v_add_f32_e32 v23, v23, v24
	s_waitcnt lgkmcnt(3)
	v_mul_f32_e32 v24, v46, v133
	v_fma_f32 v3, v44, v138, -v3
	v_fmac_f32_e32 v24, v47, v132
	v_add_f32_e32 v2, v2, v3
	v_mul_f32_e32 v3, v47, v133
	v_add_f32_e32 v23, v23, v24
	v_mul_f32_e32 v24, v48, v135
	v_fma_f32 v3, v46, v132, -v3
	v_fmac_f32_e32 v24, v49, v134
	v_add_f32_e32 v2, v2, v3
	v_mul_f32_e32 v3, v49, v135
	v_add_f32_e32 v23, v23, v24
	s_waitcnt lgkmcnt(2)
	v_mul_f32_e32 v24, v50, v137
	v_fma_f32 v3, v48, v134, -v3
	v_fmac_f32_e32 v24, v51, v136
	v_add_f32_e32 v2, v2, v3
	v_mul_f32_e32 v3, v51, v137
	v_add_f32_e32 v23, v23, v24
	s_waitcnt vmcnt(54)
	v_mul_f32_e32 v24, v52, v140
	v_fma_f32 v3, v50, v136, -v3
	v_fmac_f32_e32 v24, v53, v139
	v_add_f32_e32 v2, v2, v3
	v_mul_f32_e32 v3, v53, v140
	v_add_f32_e32 v23, v23, v24
	s_waitcnt vmcnt(52) lgkmcnt(1)
	v_mul_f32_e32 v24, v54, v142
	v_fma_f32 v3, v52, v139, -v3
	v_fmac_f32_e32 v24, v55, v141
	v_add_f32_e32 v2, v2, v3
	v_mul_f32_e32 v3, v55, v142
	v_add_f32_e32 v23, v23, v24
	s_waitcnt vmcnt(50)
	v_mul_f32_e32 v24, v56, v144
	v_fma_f32 v3, v54, v141, -v3
	v_fmac_f32_e32 v24, v57, v143
	ds_read2_b64 v[62:65], v1 offset0:101 offset1:102
	ds_read2_b64 v[66:69], v1 offset0:103 offset1:104
	v_add_f32_e32 v2, v2, v3
	v_mul_f32_e32 v3, v57, v144
	v_add_f32_e32 v23, v23, v24
	s_waitcnt vmcnt(48) lgkmcnt(2)
	v_mul_f32_e32 v24, v58, v146
	v_fma_f32 v3, v56, v143, -v3
	v_fmac_f32_e32 v24, v59, v145
	v_add_f32_e32 v2, v2, v3
	v_mul_f32_e32 v3, v59, v146
	v_add_f32_e32 v23, v23, v24
	s_waitcnt vmcnt(46)
	v_mul_f32_e32 v24, v60, v148
	v_fma_f32 v3, v58, v145, -v3
	v_fmac_f32_e32 v24, v61, v147
	v_add_f32_e32 v2, v2, v3
	v_mul_f32_e32 v3, v61, v148
	v_add_f32_e32 v23, v23, v24
	s_waitcnt vmcnt(44) lgkmcnt(1)
	v_mul_f32_e32 v24, v62, v150
	v_fma_f32 v3, v60, v147, -v3
	v_fmac_f32_e32 v24, v63, v149
	v_add_f32_e32 v2, v2, v3
	v_mul_f32_e32 v3, v63, v150
	v_add_f32_e32 v23, v23, v24
	s_waitcnt vmcnt(43)
	v_mul_f32_e32 v24, v64, v151
	v_fma_f32 v3, v62, v149, -v3
	s_waitcnt vmcnt(40)
	v_fmac_f32_e32 v24, v65, v154
	ds_read2_b64 v[70:73], v1 offset0:105 offset1:106
	ds_read2_b64 v[74:77], v1 offset0:107 offset1:108
	v_add_f32_e32 v2, v2, v3
	v_mul_f32_e32 v3, v65, v151
	v_add_f32_e32 v23, v23, v24
	s_waitcnt lgkmcnt(2)
	v_mul_f32_e32 v24, v66, v153
	v_fma_f32 v3, v64, v154, -v3
	v_fmac_f32_e32 v24, v67, v152
	v_add_f32_e32 v2, v2, v3
	v_mul_f32_e32 v3, v67, v153
	v_add_f32_e32 v23, v23, v24
	s_waitcnt vmcnt(38)
	v_mul_f32_e32 v24, v68, v156
	v_fma_f32 v3, v66, v152, -v3
	v_fmac_f32_e32 v24, v69, v155
	v_add_f32_e32 v2, v2, v3
	v_mul_f32_e32 v3, v69, v156
	v_add_f32_e32 v23, v23, v24
	s_waitcnt vmcnt(36) lgkmcnt(1)
	v_mul_f32_e32 v24, v70, v158
	v_fma_f32 v3, v68, v155, -v3
	v_fmac_f32_e32 v24, v71, v157
	v_add_f32_e32 v2, v2, v3
	v_mul_f32_e32 v3, v71, v158
	v_add_f32_e32 v23, v23, v24
	s_waitcnt vmcnt(35)
	v_mul_f32_e32 v24, v72, v159
	v_fma_f32 v3, v70, v157, -v3
	s_waitcnt vmcnt(32)
	v_fmac_f32_e32 v24, v73, v162
	ds_read2_b64 v[78:81], v1 offset0:109 offset1:110
	ds_read2_b64 v[82:85], v1 offset0:111 offset1:112
	v_add_f32_e32 v2, v2, v3
	v_mul_f32_e32 v3, v73, v159
	v_add_f32_e32 v23, v23, v24
	s_waitcnt lgkmcnt(2)
	;; [unrolled: 31-line block ×4, first 2 shown]
	v_mul_f32_e32 v24, v90, v177
	v_fma_f32 v3, v88, v178, -v3
	v_fmac_f32_e32 v24, v91, v176
	v_add_f32_e32 v2, v2, v3
	v_mul_f32_e32 v3, v91, v177
	v_add_f32_e32 v23, v23, v24
	s_waitcnt vmcnt(14)
	v_mul_f32_e32 v24, v92, v180
	v_fma_f32 v3, v90, v176, -v3
	v_fmac_f32_e32 v24, v93, v179
	v_add_f32_e32 v2, v2, v3
	v_mul_f32_e32 v3, v93, v180
	v_add_f32_e32 v23, v23, v24
	s_waitcnt vmcnt(12) lgkmcnt(1)
	v_mul_f32_e32 v24, v94, v182
	v_fma_f32 v3, v92, v179, -v3
	v_fmac_f32_e32 v24, v95, v181
	v_add_f32_e32 v2, v2, v3
	v_mul_f32_e32 v3, v95, v182
	v_add_f32_e32 v23, v23, v24
	s_waitcnt vmcnt(11)
	v_mul_f32_e32 v24, v96, v183
	v_fma_f32 v3, v94, v181, -v3
	s_waitcnt vmcnt(8)
	v_fmac_f32_e32 v24, v97, v186
	v_add_f32_e32 v2, v2, v3
	v_mul_f32_e32 v3, v97, v183
	v_add_f32_e32 v23, v23, v24
	s_waitcnt lgkmcnt(0)
	v_mul_f32_e32 v24, v98, v185
	ds_read2_b64 v[102:105], v1 offset0:121 offset1:122
	v_fma_f32 v3, v96, v186, -v3
	v_fmac_f32_e32 v24, v99, v184
	v_add_f32_e32 v2, v2, v3
	v_mul_f32_e32 v3, v99, v185
	v_add_f32_e32 v23, v23, v24
	s_waitcnt vmcnt(6)
	v_mul_f32_e32 v24, v100, v188
	v_fma_f32 v3, v98, v184, -v3
	v_fmac_f32_e32 v24, v101, v187
	v_add_f32_e32 v2, v2, v3
	v_mul_f32_e32 v3, v101, v188
	v_add_f32_e32 v195, v23, v24
	ds_read_b64 v[23:24], v1 offset:984
	v_fma_f32 v3, v100, v187, -v3
	v_add_f32_e32 v2, v2, v3
	s_waitcnt vmcnt(4) lgkmcnt(1)
	v_mul_f32_e32 v3, v103, v190
	v_mul_f32_e32 v196, v102, v190
	v_fma_f32 v3, v102, v189, -v3
	v_fmac_f32_e32 v196, v103, v189
	v_add_f32_e32 v2, v2, v3
	s_waitcnt vmcnt(3)
	v_mul_f32_e32 v3, v105, v191
	v_add_f32_e32 v195, v195, v196
	v_mul_f32_e32 v196, v104, v191
	s_waitcnt vmcnt(0)
	v_fma_f32 v3, v104, v194, -v3
	v_fmac_f32_e32 v196, v105, v194
	v_add_f32_e32 v2, v2, v3
	s_waitcnt lgkmcnt(0)
	v_mul_f32_e32 v3, v24, v193
	v_add_f32_e32 v195, v195, v196
	v_mul_f32_e32 v196, v23, v193
	v_fma_f32 v3, v23, v192, -v3
	v_fmac_f32_e32 v196, v24, v192
	v_add_f32_e32 v2, v2, v3
	v_add_f32_e32 v195, v195, v196
	v_sub_f32_e32 v2, v9, v2
	v_sub_f32_e32 v3, v10, v195
	buffer_store_dword v2, off, s[0:3], 0 offset:112
	buffer_store_dword v3, off, s[0:3], 0 offset:116
	s_and_saveexec_b64 s[4:5], vcc
	s_cbranch_execz .LBB61_359
; %bb.358:
	buffer_load_dword v2, off, s[0:3], 0 offset:104
	buffer_load_dword v3, off, s[0:3], 0 offset:108
	s_waitcnt vmcnt(0)
	ds_write_b64 v25, v[2:3]
	buffer_store_dword v1, off, s[0:3], 0 offset:104
	buffer_store_dword v1, off, s[0:3], 0 offset:108
.LBB61_359:
	s_or_b64 exec, exec, s[4:5]
	s_waitcnt lgkmcnt(0)
	; wave barrier
	buffer_load_dword v8, off, s[0:3], 0 offset:116
	buffer_load_dword v7, off, s[0:3], 0 offset:124
	;; [unrolled: 1-line block ×40, first 2 shown]
	ds_read_b128 v[40:43], v1 offset:608
	ds_read_b128 v[44:47], v1 offset:624
	;; [unrolled: 1-line block ×7, first 2 shown]
	buffer_load_dword v141, off, s[0:3], 0 offset:264
	buffer_load_dword v142, off, s[0:3], 0 offset:268
	;; [unrolled: 1-line block ×10, first 2 shown]
	v_cmp_lt_u32_e32 vcc, 12, v0
	s_waitcnt vmcnt(49) lgkmcnt(6)
	v_mul_f32_e32 v68, v40, v8
	s_waitcnt vmcnt(48)
	v_mul_f32_e32 v69, v42, v7
	s_waitcnt vmcnt(47) lgkmcnt(5)
	v_mul_f32_e32 v70, v44, v6
	s_waitcnt vmcnt(46)
	v_mul_f32_e32 v71, v46, v5
	;; [unrolled: 4-line block ×6, first 2 shown]
	s_waitcnt vmcnt(37)
	v_fmac_f32_e32 v70, v45, v21
	s_waitcnt vmcnt(36)
	v_fmac_f32_e32 v69, v43, v24
	;; [unrolled: 2-line block ×3, first 2 shown]
	v_add_f32_e32 v68, 0, v68
	v_add_f32_e32 v68, v68, v69
	;; [unrolled: 1-line block ×3, first 2 shown]
	s_waitcnt vmcnt(31)
	v_fmac_f32_e32 v71, v47, v27
	v_fmac_f32_e32 v72, v49, v23
	v_add_f32_e32 v68, v68, v71
	v_fmac_f32_e32 v73, v51, v20
	v_add_f32_e32 v68, v68, v72
	;; [unrolled: 2-line block ×3, first 2 shown]
	s_waitcnt vmcnt(27)
	v_fmac_f32_e32 v75, v55, v22
	v_add_f32_e32 v68, v68, v74
	v_fmac_f32_e32 v76, v57, v19
	v_add_f32_e32 v68, v68, v75
	;; [unrolled: 2-line block ×4, first 2 shown]
	s_waitcnt vmcnt(23)
	v_fmac_f32_e32 v79, v63, v35
	v_add_f32_e32 v68, v68, v78
	v_add_f32_e32 v72, v68, v79
	ds_read_b128 v[68:71], v1 offset:720
	s_waitcnt vmcnt(22) lgkmcnt(1)
	v_mul_f32_e32 v73, v64, v34
	v_fmac_f32_e32 v73, v65, v31
	buffer_load_dword v151, off, s[0:3], 0 offset:304
	buffer_load_dword v152, off, s[0:3], 0 offset:308
	;; [unrolled: 1-line block ×6, first 2 shown]
	v_add_f32_e32 v72, v72, v73
	s_waitcnt vmcnt(27)
	v_mul_f32_e32 v73, v66, v32
	v_fmac_f32_e32 v73, v67, v29
	v_add_f32_e32 v72, v72, v73
	s_waitcnt vmcnt(26) lgkmcnt(0)
	v_mul_f32_e32 v73, v68, v30
	v_fmac_f32_e32 v73, v69, v26
	v_add_f32_e32 v76, v72, v73
	ds_read_b128 v[72:75], v1 offset:736
	buffer_load_dword v157, off, s[0:3], 0 offset:328
	buffer_load_dword v158, off, s[0:3], 0 offset:332
	s_waitcnt vmcnt(27)
	v_mul_f32_e32 v77, v70, v33
	s_waitcnt vmcnt(20)
	v_fmac_f32_e32 v77, v71, v140
	v_add_f32_e32 v80, v76, v77
	ds_read_b128 v[76:79], v1 offset:752
	buffer_load_dword v159, off, s[0:3], 0 offset:336
	buffer_load_dword v160, off, s[0:3], 0 offset:340
	;; [unrolled: 1-line block ×14, first 2 shown]
	s_waitcnt lgkmcnt(1)
	v_mul_f32_e32 v81, v72, v37
	buffer_load_dword v173, off, s[0:3], 0 offset:392
	buffer_load_dword v174, off, s[0:3], 0 offset:396
	v_fmac_f32_e32 v81, v73, v36
	v_add_f32_e32 v80, v80, v81
	v_mul_f32_e32 v81, v74, v39
	v_fmac_f32_e32 v81, v75, v38
	v_add_f32_e32 v80, v80, v81
	s_waitcnt lgkmcnt(0)
	v_mul_f32_e32 v81, v76, v139
	v_fmac_f32_e32 v81, v77, v138
	v_add_f32_e32 v84, v80, v81
	ds_read_b128 v[80:83], v1 offset:768
	buffer_load_dword v175, off, s[0:3], 0 offset:400
	buffer_load_dword v176, off, s[0:3], 0 offset:404
	;; [unrolled: 1-line block ×6, first 2 shown]
	s_waitcnt vmcnt(38)
	v_mul_f32_e32 v85, v78, v142
	v_fmac_f32_e32 v85, v79, v141
	v_add_f32_e32 v88, v84, v85
	ds_read_b128 v[84:87], v1 offset:784
	buffer_load_dword v181, off, s[0:3], 0 offset:424
	buffer_load_dword v182, off, s[0:3], 0 offset:428
	;; [unrolled: 1-line block ×10, first 2 shown]
	v_mul_f32_e32 v8, v41, v8
	s_waitcnt vmcnt(46) lgkmcnt(1)
	v_mul_f32_e32 v89, v80, v144
	v_fma_f32 v8, v40, v28, -v8
	v_mul_f32_e32 v7, v43, v7
	v_fmac_f32_e32 v89, v81, v143
	v_add_f32_e32 v8, 0, v8
	v_fma_f32 v7, v42, v24, -v7
	v_mul_f32_e32 v6, v45, v6
	v_add_f32_e32 v88, v88, v89
	s_waitcnt vmcnt(44)
	v_mul_f32_e32 v89, v82, v146
	v_add_f32_e32 v7, v8, v7
	v_fma_f32 v6, v44, v21, -v6
	v_mul_f32_e32 v5, v47, v5
	v_fmac_f32_e32 v89, v83, v145
	v_add_f32_e32 v6, v7, v6
	v_fma_f32 v5, v46, v27, -v5
	v_mul_f32_e32 v4, v49, v4
	v_add_f32_e32 v88, v88, v89
	s_waitcnt vmcnt(42) lgkmcnt(0)
	v_mul_f32_e32 v89, v84, v148
	buffer_load_dword v191, off, s[0:3], 0 offset:464
	buffer_load_dword v192, off, s[0:3], 0 offset:468
	;; [unrolled: 1-line block ×6, first 2 shown]
	v_add_f32_e32 v5, v6, v5
	v_fma_f32 v4, v48, v23, -v4
	v_mul_f32_e32 v3, v51, v3
	v_fmac_f32_e32 v89, v85, v147
	s_waitcnt vmcnt(46)
	v_mul_f32_e32 v93, v86, v150
	v_add_f32_e32 v4, v5, v4
	v_fma_f32 v3, v50, v20, -v3
	v_mul_f32_e32 v2, v53, v2
	v_add_f32_e32 v92, v88, v89
	v_fmac_f32_e32 v93, v87, v149
	v_add_f32_e32 v3, v4, v3
	v_fma_f32 v2, v52, v18, -v2
	ds_read_b128 v[88:91], v1 offset:800
	v_add_f32_e32 v96, v92, v93
	ds_read_b128 v[92:95], v1 offset:816
	buffer_load_dword v197, off, s[0:3], 0 offset:488
	buffer_load_dword v198, off, s[0:3], 0 offset:492
	v_add_f32_e32 v2, v3, v2
	v_mul_f32_e32 v3, v55, v11
	v_fma_f32 v3, v54, v22, -v3
	v_add_f32_e32 v2, v2, v3
	v_mul_f32_e32 v3, v57, v12
	v_fma_f32 v3, v56, v19, -v3
	v_add_f32_e32 v2, v2, v3
	v_mul_f32_e32 v3, v59, v13
	v_fma_f32 v3, v58, v17, -v3
	v_add_f32_e32 v2, v2, v3
	v_mul_f32_e32 v3, v61, v14
	v_fma_f32 v3, v60, v16, -v3
	v_add_f32_e32 v2, v2, v3
	v_mul_f32_e32 v3, v63, v15
	v_fma_f32 v3, v62, v35, -v3
	v_add_f32_e32 v2, v2, v3
	v_mul_f32_e32 v3, v65, v34
	v_fma_f32 v3, v64, v31, -v3
	v_add_f32_e32 v2, v2, v3
	v_mul_f32_e32 v3, v67, v32
	v_fma_f32 v3, v66, v29, -v3
	v_add_f32_e32 v2, v2, v3
	v_mul_f32_e32 v3, v69, v30
	v_fma_f32 v3, v68, v26, -v3
	v_add_f32_e32 v2, v2, v3
	v_mul_f32_e32 v3, v71, v33
	v_fma_f32 v3, v70, v140, -v3
	v_add_f32_e32 v2, v2, v3
	v_mul_f32_e32 v3, v73, v37
	s_waitcnt vmcnt(46) lgkmcnt(1)
	v_mul_f32_e32 v97, v88, v152
	v_fma_f32 v3, v72, v36, -v3
	v_fmac_f32_e32 v97, v89, v151
	v_add_f32_e32 v2, v2, v3
	v_mul_f32_e32 v3, v75, v39
	v_add_f32_e32 v96, v96, v97
	s_waitcnt vmcnt(45)
	v_mul_f32_e32 v97, v90, v153
	v_fma_f32 v3, v74, v38, -v3
	s_waitcnt vmcnt(42)
	v_fmac_f32_e32 v97, v91, v156
	v_add_f32_e32 v2, v2, v3
	v_mul_f32_e32 v3, v77, v139
	v_add_f32_e32 v96, v96, v97
	s_waitcnt lgkmcnt(0)
	v_mul_f32_e32 v97, v92, v155
	v_fma_f32 v3, v76, v138, -v3
	v_fmac_f32_e32 v97, v93, v154
	v_add_f32_e32 v2, v2, v3
	v_mul_f32_e32 v3, v79, v142
	v_add_f32_e32 v100, v96, v97
	ds_read_b128 v[96:99], v1 offset:832
	v_fma_f32 v3, v78, v141, -v3
	v_add_f32_e32 v2, v2, v3
	v_mul_f32_e32 v3, v81, v144
	s_waitcnt vmcnt(40)
	v_mul_f32_e32 v101, v94, v158
	v_fma_f32 v3, v80, v143, -v3
	v_fmac_f32_e32 v101, v95, v157
	v_add_f32_e32 v2, v2, v3
	v_mul_f32_e32 v3, v83, v146
	v_add_f32_e32 v104, v100, v101
	ds_read_b128 v[100:103], v1 offset:848
	v_fma_f32 v3, v82, v145, -v3
	s_waitcnt vmcnt(38) lgkmcnt(1)
	v_mul_f32_e32 v105, v96, v160
	v_add_f32_e32 v2, v2, v3
	v_mul_f32_e32 v3, v85, v148
	v_fmac_f32_e32 v105, v97, v159
	v_fma_f32 v3, v84, v147, -v3
	v_add_f32_e32 v104, v104, v105
	s_waitcnt vmcnt(37)
	v_mul_f32_e32 v105, v98, v161
	v_add_f32_e32 v2, v2, v3
	v_mul_f32_e32 v3, v87, v150
	s_waitcnt vmcnt(34)
	v_fmac_f32_e32 v105, v99, v164
	v_fma_f32 v3, v86, v149, -v3
	v_add_f32_e32 v104, v104, v105
	s_waitcnt lgkmcnt(0)
	v_mul_f32_e32 v105, v100, v163
	v_add_f32_e32 v2, v2, v3
	v_mul_f32_e32 v3, v89, v152
	v_fmac_f32_e32 v105, v101, v162
	v_fma_f32 v3, v88, v151, -v3
	v_add_f32_e32 v108, v104, v105
	ds_read_b128 v[104:107], v1 offset:864
	v_add_f32_e32 v2, v2, v3
	v_mul_f32_e32 v3, v91, v153
	v_fma_f32 v3, v90, v156, -v3
	s_waitcnt vmcnt(32)
	v_mul_f32_e32 v109, v102, v166
	v_add_f32_e32 v2, v2, v3
	v_mul_f32_e32 v3, v93, v155
	v_fmac_f32_e32 v109, v103, v165
	v_fma_f32 v3, v92, v154, -v3
	v_add_f32_e32 v112, v108, v109
	ds_read_b128 v[108:111], v1 offset:880
	v_add_f32_e32 v2, v2, v3
	v_mul_f32_e32 v3, v95, v158
	s_waitcnt vmcnt(30) lgkmcnt(1)
	v_mul_f32_e32 v113, v104, v168
	v_fma_f32 v3, v94, v157, -v3
	v_fmac_f32_e32 v113, v105, v167
	v_add_f32_e32 v2, v2, v3
	v_mul_f32_e32 v3, v97, v160
	v_add_f32_e32 v112, v112, v113
	s_waitcnt vmcnt(29)
	v_mul_f32_e32 v113, v106, v169
	v_fma_f32 v3, v96, v159, -v3
	s_waitcnt vmcnt(26)
	v_fmac_f32_e32 v113, v107, v172
	v_add_f32_e32 v2, v2, v3
	v_mul_f32_e32 v3, v99, v161
	v_add_f32_e32 v112, v112, v113
	s_waitcnt lgkmcnt(0)
	v_mul_f32_e32 v113, v108, v171
	v_fma_f32 v3, v98, v164, -v3
	v_fmac_f32_e32 v113, v109, v170
	v_add_f32_e32 v2, v2, v3
	v_mul_f32_e32 v3, v101, v163
	v_add_f32_e32 v116, v112, v113
	ds_read_b128 v[112:115], v1 offset:896
	v_fma_f32 v3, v100, v162, -v3
	v_add_f32_e32 v2, v2, v3
	v_mul_f32_e32 v3, v103, v166
	s_waitcnt vmcnt(24)
	v_mul_f32_e32 v117, v110, v174
	v_fma_f32 v3, v102, v165, -v3
	v_fmac_f32_e32 v117, v111, v173
	v_add_f32_e32 v2, v2, v3
	v_mul_f32_e32 v3, v105, v168
	v_add_f32_e32 v122, v116, v117
	ds_read_b128 v[116:119], v1 offset:912
	v_fma_f32 v3, v104, v167, -v3
	s_waitcnt vmcnt(22) lgkmcnt(1)
	v_mul_f32_e32 v123, v112, v176
	v_add_f32_e32 v2, v2, v3
	v_mul_f32_e32 v3, v107, v169
	v_fmac_f32_e32 v123, v113, v175
	v_fma_f32 v3, v106, v172, -v3
	v_add_f32_e32 v122, v122, v123
	s_waitcnt vmcnt(21)
	v_mul_f32_e32 v123, v114, v177
	v_add_f32_e32 v2, v2, v3
	v_mul_f32_e32 v3, v109, v171
	s_waitcnt vmcnt(18)
	v_fmac_f32_e32 v123, v115, v180
	v_fma_f32 v3, v108, v170, -v3
	v_add_f32_e32 v122, v122, v123
	s_waitcnt lgkmcnt(0)
	v_mul_f32_e32 v123, v116, v179
	v_add_f32_e32 v2, v2, v3
	v_mul_f32_e32 v3, v111, v174
	v_fmac_f32_e32 v123, v117, v178
	v_fma_f32 v3, v110, v173, -v3
	v_add_f32_e32 v126, v122, v123
	ds_read_b128 v[122:125], v1 offset:928
	v_add_f32_e32 v2, v2, v3
	v_mul_f32_e32 v3, v113, v176
	v_fma_f32 v3, v112, v175, -v3
	s_waitcnt vmcnt(16)
	v_mul_f32_e32 v127, v118, v182
	v_add_f32_e32 v2, v2, v3
	v_mul_f32_e32 v3, v115, v177
	v_fmac_f32_e32 v127, v119, v181
	v_fma_f32 v3, v114, v180, -v3
	v_add_f32_e32 v130, v126, v127
	ds_read_b128 v[126:129], v1 offset:944
	v_add_f32_e32 v2, v2, v3
	v_mul_f32_e32 v3, v117, v179
	s_waitcnt vmcnt(14) lgkmcnt(1)
	v_mul_f32_e32 v131, v122, v184
	v_fma_f32 v3, v116, v178, -v3
	v_fmac_f32_e32 v131, v123, v183
	v_add_f32_e32 v2, v2, v3
	v_mul_f32_e32 v3, v119, v182
	v_add_f32_e32 v130, v130, v131
	s_waitcnt vmcnt(13)
	v_mul_f32_e32 v131, v124, v185
	v_fma_f32 v3, v118, v181, -v3
	s_waitcnt vmcnt(10)
	v_fmac_f32_e32 v131, v125, v188
	v_add_f32_e32 v2, v2, v3
	v_mul_f32_e32 v3, v123, v184
	v_add_f32_e32 v130, v130, v131
	s_waitcnt lgkmcnt(0)
	v_mul_f32_e32 v131, v126, v187
	v_fma_f32 v3, v122, v183, -v3
	v_fmac_f32_e32 v131, v127, v186
	v_add_f32_e32 v2, v2, v3
	v_mul_f32_e32 v3, v125, v185
	v_add_f32_e32 v134, v130, v131
	ds_read_b128 v[130:133], v1 offset:960
	v_fma_f32 v3, v124, v188, -v3
	v_add_f32_e32 v2, v2, v3
	v_mul_f32_e32 v3, v127, v187
	s_waitcnt vmcnt(8)
	v_mul_f32_e32 v135, v128, v190
	v_fma_f32 v3, v126, v186, -v3
	v_fmac_f32_e32 v135, v129, v189
	v_add_f32_e32 v2, v2, v3
	v_mul_f32_e32 v3, v129, v190
	v_add_f32_e32 v199, v134, v135
	ds_read_b128 v[134:137], v1 offset:976
	v_fma_f32 v3, v128, v189, -v3
	v_add_f32_e32 v2, v2, v3
	s_waitcnt vmcnt(6) lgkmcnt(1)
	v_mul_f32_e32 v3, v131, v192
	v_mul_f32_e32 v1, v130, v192
	v_fma_f32 v3, v130, v191, -v3
	v_fmac_f32_e32 v1, v131, v191
	v_add_f32_e32 v2, v2, v3
	s_waitcnt vmcnt(5)
	v_mul_f32_e32 v3, v133, v193
	v_add_f32_e32 v1, v199, v1
	v_mul_f32_e32 v199, v132, v193
	s_waitcnt vmcnt(2)
	v_fma_f32 v3, v132, v196, -v3
	v_fmac_f32_e32 v199, v133, v196
	v_add_f32_e32 v2, v2, v3
	s_waitcnt lgkmcnt(0)
	v_mul_f32_e32 v3, v135, v195
	v_add_f32_e32 v1, v1, v199
	v_mul_f32_e32 v199, v134, v195
	v_fma_f32 v3, v134, v194, -v3
	v_fmac_f32_e32 v199, v135, v194
	v_add_f32_e32 v2, v2, v3
	s_waitcnt vmcnt(0)
	v_mul_f32_e32 v3, v137, v198
	v_add_f32_e32 v1, v1, v199
	v_mul_f32_e32 v199, v136, v198
	v_fma_f32 v3, v136, v197, -v3
	v_fmac_f32_e32 v199, v137, v197
	v_add_f32_e32 v2, v2, v3
	v_add_f32_e32 v1, v1, v199
	v_sub_f32_e32 v2, v9, v2
	v_sub_f32_e32 v1, v10, v1
	buffer_store_dword v2, off, s[0:3], 0 offset:104
	buffer_store_dword v1, off, s[0:3], 0 offset:108
	s_and_saveexec_b64 s[4:5], vcc
	s_cbranch_execz .LBB61_361
; %bb.360:
	buffer_load_dword v1, off, s[0:3], 0 offset:96
	buffer_load_dword v2, off, s[0:3], 0 offset:100
	v_mov_b32_e32 v3, 0
	buffer_store_dword v3, off, s[0:3], 0 offset:96
	buffer_store_dword v3, off, s[0:3], 0 offset:100
	s_waitcnt vmcnt(2)
	ds_write_b64 v25, v[1:2]
.LBB61_361:
	s_or_b64 exec, exec, s[4:5]
	s_waitcnt lgkmcnt(0)
	; wave barrier
	buffer_load_dword v8, off, s[0:3], 0 offset:108
	buffer_load_dword v7, off, s[0:3], 0 offset:116
	;; [unrolled: 1-line block ×40, first 2 shown]
	v_mov_b32_e32 v1, 0
	buffer_load_dword v143, off, s[0:3], 0 offset:256
	buffer_load_dword v144, off, s[0:3], 0 offset:260
	;; [unrolled: 1-line block ×10, first 2 shown]
	ds_read2_b64 v[15:18], v1 offset0:75 offset1:76
	ds_read2_b64 v[19:22], v1 offset0:77 offset1:78
	;; [unrolled: 1-line block ×7, first 2 shown]
	v_cmp_lt_u32_e32 vcc, 11, v0
	s_waitcnt vmcnt(49) lgkmcnt(6)
	v_mul_f32_e32 v23, v15, v8
	s_waitcnt vmcnt(48)
	v_mul_f32_e32 v24, v17, v7
	s_waitcnt vmcnt(47) lgkmcnt(5)
	v_mul_f32_e32 v46, v19, v6
	s_waitcnt vmcnt(46)
	v_mul_f32_e32 v47, v21, v5
	;; [unrolled: 4-line block ×5, first 2 shown]
	s_waitcnt vmcnt(39) lgkmcnt(1)
	v_mul_f32_e32 v54, v38, v14
	s_waitcnt vmcnt(38)
	v_fmac_f32_e32 v46, v20, v114
	s_waitcnt vmcnt(37)
	v_fmac_f32_e32 v24, v18, v115
	;; [unrolled: 2-line block ×3, first 2 shown]
	v_add_f32_e32 v23, 0, v23
	v_add_f32_e32 v23, v23, v24
	;; [unrolled: 1-line block ×3, first 2 shown]
	s_waitcnt vmcnt(32)
	v_fmac_f32_e32 v47, v22, v122
	v_fmac_f32_e32 v48, v27, v119
	v_add_f32_e32 v23, v23, v47
	v_fmac_f32_e32 v49, v29, v118
	v_add_f32_e32 v23, v23, v48
	;; [unrolled: 2-line block ×3, first 2 shown]
	s_waitcnt vmcnt(28)
	v_fmac_f32_e32 v51, v33, v126
	v_add_f32_e32 v23, v23, v50
	ds_read2_b64 v[46:49], v1 offset0:89 offset1:90
	buffer_load_dword v153, off, s[0:3], 0 offset:296
	buffer_load_dword v154, off, s[0:3], 0 offset:300
	v_fmac_f32_e32 v52, v35, v125
	v_add_f32_e32 v23, v23, v51
	v_fmac_f32_e32 v53, v37, v124
	v_add_f32_e32 v23, v23, v52
	v_add_f32_e32 v23, v23, v53
	ds_read2_b64 v[50:53], v1 offset0:91 offset1:92
	buffer_load_dword v155, off, s[0:3], 0 offset:308
	buffer_load_dword v156, off, s[0:3], 0 offset:312
	;; [unrolled: 1-line block ×4, first 2 shown]
	v_fmac_f32_e32 v54, v39, v123
	v_add_f32_e32 v23, v23, v54
	ds_read2_b64 v[54:57], v1 offset0:93 offset1:94
	buffer_load_dword v159, off, s[0:3], 0 offset:320
	buffer_load_dword v160, off, s[0:3], 0 offset:324
	;; [unrolled: 1-line block ×16, first 2 shown]
	ds_read2_b64 v[58:61], v1 offset0:95 offset1:96
	buffer_load_dword v175, off, s[0:3], 0 offset:384
	buffer_load_dword v176, off, s[0:3], 0 offset:388
	ds_read2_b64 v[62:65], v1 offset0:97 offset1:98
	buffer_load_dword v177, off, s[0:3], 0 offset:392
	buffer_load_dword v178, off, s[0:3], 0 offset:396
	;; [unrolled: 1-line block ×16, first 2 shown]
	v_mul_f32_e32 v8, v16, v8
	v_fma_f32 v8, v15, v116, -v8
	v_mul_f32_e32 v7, v18, v7
	v_add_f32_e32 v8, 0, v8
	v_fma_f32 v7, v17, v115, -v7
	v_mul_f32_e32 v6, v20, v6
	v_add_f32_e32 v7, v8, v7
	v_fma_f32 v6, v19, v114, -v6
	v_mul_f32_e32 v5, v22, v5
	ds_read2_b64 v[66:69], v1 offset0:99 offset1:100
	buffer_load_dword v193, off, s[0:3], 0 offset:456
	buffer_load_dword v194, off, s[0:3], 0 offset:460
	;; [unrolled: 1-line block ×6, first 2 shown]
	v_add_f32_e32 v6, v7, v6
	v_fma_f32 v5, v21, v122, -v5
	v_mul_f32_e32 v4, v27, v4
	v_add_f32_e32 v5, v6, v5
	v_fma_f32 v4, v26, v119, -v4
	v_mul_f32_e32 v3, v29, v3
	;; [unrolled: 3-line block ×3, first 2 shown]
	v_add_f32_e32 v3, v4, v3
	v_fma_f32 v2, v30, v117, -v2
	v_add_f32_e32 v2, v3, v2
	v_mul_f32_e32 v3, v33, v11
	ds_read2_b64 v[70:73], v1 offset0:101 offset1:102
	buffer_load_dword v199, off, s[0:3], 0 offset:484
	buffer_load_dword v200, off, s[0:3], 0 offset:488
	;; [unrolled: 1-line block ×4, first 2 shown]
	v_fma_f32 v3, v32, v126, -v3
	v_add_f32_e32 v2, v2, v3
	v_mul_f32_e32 v3, v35, v12
	v_fma_f32 v3, v34, v125, -v3
	v_add_f32_e32 v2, v2, v3
	v_mul_f32_e32 v3, v37, v13
	;; [unrolled: 3-line block ×3, first 2 shown]
	s_waitcnt vmcnt(62)
	v_mul_f32_e32 v24, v40, v127
	v_fma_f32 v3, v38, v123, -v3
	v_fmac_f32_e32 v24, v41, v131
	v_add_f32_e32 v2, v2, v3
	v_mul_f32_e32 v3, v41, v127
	v_add_f32_e32 v23, v23, v24
	s_waitcnt lgkmcnt(7)
	v_mul_f32_e32 v24, v42, v132
	v_fma_f32 v3, v40, v131, -v3
	v_fmac_f32_e32 v24, v43, v130
	v_add_f32_e32 v2, v2, v3
	v_mul_f32_e32 v3, v43, v132
	v_add_f32_e32 v23, v23, v24
	v_mul_f32_e32 v24, v44, v133
	v_fma_f32 v3, v42, v130, -v3
	v_fmac_f32_e32 v24, v45, v129
	v_add_f32_e32 v2, v2, v3
	v_mul_f32_e32 v3, v45, v133
	v_add_f32_e32 v23, v23, v24
	s_waitcnt lgkmcnt(6)
	v_mul_f32_e32 v24, v46, v134
	v_fma_f32 v3, v44, v129, -v3
	v_fmac_f32_e32 v24, v47, v128
	v_add_f32_e32 v2, v2, v3
	v_mul_f32_e32 v3, v47, v134
	v_add_f32_e32 v23, v23, v24
	;; [unrolled: 13-line block ×4, first 2 shown]
	s_waitcnt vmcnt(58)
	v_mul_f32_e32 v24, v56, v144
	v_fma_f32 v3, v54, v138, -v3
	v_fmac_f32_e32 v24, v57, v143
	v_add_f32_e32 v2, v2, v3
	v_mul_f32_e32 v3, v57, v144
	v_add_f32_e32 v23, v23, v24
	s_waitcnt vmcnt(56) lgkmcnt(3)
	v_mul_f32_e32 v24, v58, v146
	v_fma_f32 v3, v56, v143, -v3
	v_fmac_f32_e32 v24, v59, v145
	v_add_f32_e32 v2, v2, v3
	v_mul_f32_e32 v3, v59, v146
	v_add_f32_e32 v23, v23, v24
	s_waitcnt vmcnt(54)
	v_mul_f32_e32 v24, v60, v148
	v_fma_f32 v3, v58, v145, -v3
	v_fmac_f32_e32 v24, v61, v147
	v_add_f32_e32 v2, v2, v3
	v_mul_f32_e32 v3, v61, v148
	v_add_f32_e32 v23, v23, v24
	s_waitcnt vmcnt(52) lgkmcnt(2)
	v_mul_f32_e32 v24, v62, v150
	v_fma_f32 v3, v60, v147, -v3
	v_fmac_f32_e32 v24, v63, v149
	v_add_f32_e32 v2, v2, v3
	v_mul_f32_e32 v3, v63, v150
	v_add_f32_e32 v23, v23, v24
	;; [unrolled: 14-line block ×3, first 2 shown]
	s_waitcnt vmcnt(47)
	v_mul_f32_e32 v24, v68, v155
	v_fma_f32 v3, v66, v153, -v3
	s_waitcnt vmcnt(44)
	v_fmac_f32_e32 v24, v69, v158
	ds_read2_b64 v[74:77], v1 offset0:103 offset1:104
	ds_read2_b64 v[78:81], v1 offset0:105 offset1:106
	v_add_f32_e32 v2, v2, v3
	v_mul_f32_e32 v3, v69, v155
	v_add_f32_e32 v23, v23, v24
	s_waitcnt lgkmcnt(2)
	v_mul_f32_e32 v24, v70, v157
	v_fma_f32 v3, v68, v158, -v3
	v_fmac_f32_e32 v24, v71, v156
	v_add_f32_e32 v2, v2, v3
	v_mul_f32_e32 v3, v71, v157
	v_add_f32_e32 v23, v23, v24
	s_waitcnt vmcnt(42)
	v_mul_f32_e32 v24, v72, v160
	v_fma_f32 v3, v70, v156, -v3
	v_fmac_f32_e32 v24, v73, v159
	v_add_f32_e32 v2, v2, v3
	v_mul_f32_e32 v3, v73, v160
	v_add_f32_e32 v23, v23, v24
	s_waitcnt vmcnt(40) lgkmcnt(1)
	v_mul_f32_e32 v24, v74, v162
	v_fma_f32 v3, v72, v159, -v3
	v_fmac_f32_e32 v24, v75, v161
	v_add_f32_e32 v2, v2, v3
	v_mul_f32_e32 v3, v75, v162
	v_add_f32_e32 v23, v23, v24
	s_waitcnt vmcnt(39)
	v_mul_f32_e32 v24, v76, v163
	v_fma_f32 v3, v74, v161, -v3
	s_waitcnt vmcnt(36)
	v_fmac_f32_e32 v24, v77, v166
	ds_read2_b64 v[82:85], v1 offset0:107 offset1:108
	ds_read2_b64 v[86:89], v1 offset0:109 offset1:110
	v_add_f32_e32 v2, v2, v3
	v_mul_f32_e32 v3, v77, v163
	v_add_f32_e32 v23, v23, v24
	s_waitcnt lgkmcnt(2)
	v_mul_f32_e32 v24, v78, v165
	v_fma_f32 v3, v76, v166, -v3
	v_fmac_f32_e32 v24, v79, v164
	v_add_f32_e32 v2, v2, v3
	v_mul_f32_e32 v3, v79, v165
	v_add_f32_e32 v23, v23, v24
	s_waitcnt vmcnt(34)
	v_mul_f32_e32 v24, v80, v168
	v_fma_f32 v3, v78, v164, -v3
	v_fmac_f32_e32 v24, v81, v167
	v_add_f32_e32 v2, v2, v3
	v_mul_f32_e32 v3, v81, v168
	v_add_f32_e32 v23, v23, v24
	s_waitcnt vmcnt(32) lgkmcnt(1)
	v_mul_f32_e32 v24, v82, v170
	v_fma_f32 v3, v80, v167, -v3
	v_fmac_f32_e32 v24, v83, v169
	v_add_f32_e32 v2, v2, v3
	v_mul_f32_e32 v3, v83, v170
	v_add_f32_e32 v23, v23, v24
	;; [unrolled: 31-line block ×5, first 2 shown]
	s_waitcnt vmcnt(7)
	v_mul_f32_e32 v24, v108, v195
	v_fma_f32 v3, v106, v193, -v3
	s_waitcnt vmcnt(4)
	v_fmac_f32_e32 v24, v109, v198
	v_add_f32_e32 v2, v2, v3
	v_mul_f32_e32 v3, v109, v195
	v_add_f32_e32 v203, v23, v24
	ds_read_b64 v[23:24], v1 offset:984
	v_fma_f32 v3, v108, v198, -v3
	v_add_f32_e32 v2, v2, v3
	s_waitcnt lgkmcnt(1)
	v_mul_f32_e32 v3, v111, v197
	v_mul_f32_e32 v204, v110, v197
	v_fma_f32 v3, v110, v196, -v3
	v_fmac_f32_e32 v204, v111, v196
	v_add_f32_e32 v2, v2, v3
	s_waitcnt vmcnt(3)
	v_mul_f32_e32 v3, v113, v199
	v_add_f32_e32 v203, v203, v204
	v_mul_f32_e32 v204, v112, v199
	s_waitcnt vmcnt(0)
	v_fma_f32 v3, v112, v202, -v3
	v_fmac_f32_e32 v204, v113, v202
	v_add_f32_e32 v2, v2, v3
	s_waitcnt lgkmcnt(0)
	v_mul_f32_e32 v3, v24, v201
	v_add_f32_e32 v203, v203, v204
	v_mul_f32_e32 v204, v23, v201
	v_fma_f32 v3, v23, v200, -v3
	v_fmac_f32_e32 v204, v24, v200
	v_add_f32_e32 v2, v2, v3
	v_add_f32_e32 v203, v203, v204
	v_sub_f32_e32 v2, v9, v2
	v_sub_f32_e32 v3, v10, v203
	buffer_store_dword v2, off, s[0:3], 0 offset:96
	buffer_store_dword v3, off, s[0:3], 0 offset:100
	s_and_saveexec_b64 s[4:5], vcc
	s_cbranch_execz .LBB61_363
; %bb.362:
	buffer_load_dword v2, off, s[0:3], 0 offset:88
	buffer_load_dword v3, off, s[0:3], 0 offset:92
	s_waitcnt vmcnt(0)
	ds_write_b64 v25, v[2:3]
	buffer_store_dword v1, off, s[0:3], 0 offset:88
	buffer_store_dword v1, off, s[0:3], 0 offset:92
.LBB61_363:
	s_or_b64 exec, exec, s[4:5]
	s_waitcnt lgkmcnt(0)
	; wave barrier
	buffer_load_dword v8, off, s[0:3], 0 offset:100
	buffer_load_dword v7, off, s[0:3], 0 offset:108
	;; [unrolled: 1-line block ×40, first 2 shown]
	ds_read_b128 v[16:19], v1 offset:592
	ds_read_b128 v[20:23], v1 offset:608
	;; [unrolled: 1-line block ×7, first 2 shown]
	buffer_load_dword v145, off, s[0:3], 0 offset:248
	buffer_load_dword v146, off, s[0:3], 0 offset:252
	buffer_load_dword v147, off, s[0:3], 0 offset:256
	buffer_load_dword v148, off, s[0:3], 0 offset:260
	buffer_load_dword v149, off, s[0:3], 0 offset:264
	buffer_load_dword v150, off, s[0:3], 0 offset:268
	buffer_load_dword v151, off, s[0:3], 0 offset:272
	buffer_load_dword v152, off, s[0:3], 0 offset:276
	buffer_load_dword v153, off, s[0:3], 0 offset:280
	buffer_load_dword v154, off, s[0:3], 0 offset:284
	buffer_load_dword v155, off, s[0:3], 0 offset:292
	v_cmp_lt_u32_e32 vcc, 10, v0
	s_waitcnt vmcnt(50) lgkmcnt(6)
	v_mul_f32_e32 v46, v16, v8
	s_waitcnt vmcnt(49)
	v_mul_f32_e32 v47, v18, v7
	s_waitcnt vmcnt(48) lgkmcnt(5)
	v_mul_f32_e32 v48, v20, v6
	s_waitcnt vmcnt(47)
	v_mul_f32_e32 v49, v22, v5
	;; [unrolled: 4-line block ×6, first 2 shown]
	s_waitcnt vmcnt(38)
	v_fmac_f32_e32 v48, v21, v24
	s_waitcnt vmcnt(37)
	v_fmac_f32_e32 v47, v19, v118
	;; [unrolled: 2-line block ×3, first 2 shown]
	v_add_f32_e32 v46, 0, v46
	v_add_f32_e32 v46, v46, v47
	v_add_f32_e32 v46, v46, v48
	s_waitcnt vmcnt(32)
	v_fmac_f32_e32 v49, v23, v125
	v_fmac_f32_e32 v50, v27, v124
	v_add_f32_e32 v46, v46, v49
	v_fmac_f32_e32 v51, v29, v123
	v_add_f32_e32 v46, v46, v50
	;; [unrolled: 2-line block ×3, first 2 shown]
	s_waitcnt vmcnt(28)
	v_fmac_f32_e32 v53, v33, v129
	v_add_f32_e32 v46, v46, v52
	v_fmac_f32_e32 v54, v35, v128
	v_add_f32_e32 v46, v46, v53
	v_fmac_f32_e32 v55, v37, v127
	v_add_f32_e32 v46, v46, v54
	v_fmac_f32_e32 v56, v39, v126
	v_add_f32_e32 v46, v46, v55
	v_add_f32_e32 v46, v46, v56
	s_waitcnt vmcnt(24)
	v_fmac_f32_e32 v57, v41, v133
	v_add_f32_e32 v50, v46, v57
	ds_read_b128 v[46:49], v1 offset:704
	s_waitcnt vmcnt(23) lgkmcnt(1)
	v_mul_f32_e32 v51, v42, v134
	v_fmac_f32_e32 v51, v43, v132
	v_add_f32_e32 v50, v50, v51
	s_waitcnt vmcnt(22)
	v_mul_f32_e32 v51, v44, v135
	v_fmac_f32_e32 v51, v45, v131
	v_add_f32_e32 v50, v50, v51
	s_waitcnt vmcnt(21) lgkmcnt(0)
	v_mul_f32_e32 v51, v46, v136
	buffer_load_dword v156, off, s[0:3], 0 offset:288
	buffer_load_dword v157, off, s[0:3], 0 offset:296
	;; [unrolled: 1-line block ×3, first 2 shown]
	v_fmac_f32_e32 v51, v47, v130
	v_add_f32_e32 v54, v50, v51
	ds_read_b128 v[50:53], v1 offset:720
	buffer_load_dword v159, off, s[0:3], 0 offset:304
	buffer_load_dword v160, off, s[0:3], 0 offset:308
	s_waitcnt vmcnt(25)
	v_mul_f32_e32 v55, v48, v137
	s_waitcnt vmcnt(19)
	v_fmac_f32_e32 v55, v49, v143
	v_add_f32_e32 v58, v54, v55
	ds_read_b128 v[54:57], v1 offset:736
	buffer_load_dword v161, off, s[0:3], 0 offset:312
	buffer_load_dword v162, off, s[0:3], 0 offset:316
	;; [unrolled: 1-line block ×8, first 2 shown]
	s_waitcnt vmcnt(26) lgkmcnt(1)
	v_mul_f32_e32 v59, v50, v144
	buffer_load_dword v169, off, s[0:3], 0 offset:344
	buffer_load_dword v170, off, s[0:3], 0 offset:348
	v_fmac_f32_e32 v59, v51, v142
	v_add_f32_e32 v58, v58, v59
	v_mul_f32_e32 v59, v52, v139
	v_fmac_f32_e32 v59, v53, v138
	v_add_f32_e32 v58, v58, v59
	s_waitcnt lgkmcnt(0)
	v_mul_f32_e32 v59, v54, v141
	v_fmac_f32_e32 v59, v55, v140
	v_add_f32_e32 v62, v58, v59
	ds_read_b128 v[58:61], v1 offset:752
	buffer_load_dword v171, off, s[0:3], 0 offset:352
	buffer_load_dword v172, off, s[0:3], 0 offset:356
	;; [unrolled: 1-line block ×6, first 2 shown]
	s_waitcnt vmcnt(30)
	v_mul_f32_e32 v63, v56, v146
	v_fmac_f32_e32 v63, v57, v145
	v_add_f32_e32 v66, v62, v63
	ds_read_b128 v[62:65], v1 offset:768
	buffer_load_dword v177, off, s[0:3], 0 offset:376
	buffer_load_dword v178, off, s[0:3], 0 offset:380
	;; [unrolled: 1-line block ×10, first 2 shown]
	s_waitcnt vmcnt(38) lgkmcnt(1)
	v_mul_f32_e32 v67, v58, v148
	buffer_load_dword v187, off, s[0:3], 0 offset:416
	buffer_load_dword v188, off, s[0:3], 0 offset:420
	;; [unrolled: 1-line block ×6, first 2 shown]
	v_fmac_f32_e32 v67, v59, v147
	v_add_f32_e32 v66, v66, v67
	s_waitcnt vmcnt(42)
	v_mul_f32_e32 v67, v60, v150
	v_fmac_f32_e32 v67, v61, v149
	v_add_f32_e32 v66, v66, v67
	s_waitcnt vmcnt(40) lgkmcnt(0)
	v_mul_f32_e32 v67, v62, v152
	v_fmac_f32_e32 v67, v63, v151
	v_add_f32_e32 v70, v66, v67
	ds_read_b128 v[66:69], v1 offset:784
	buffer_load_dword v193, off, s[0:3], 0 offset:440
	buffer_load_dword v194, off, s[0:3], 0 offset:444
	v_mul_f32_e32 v8, v17, v8
	v_fma_f32 v8, v16, v119, -v8
	v_mul_f32_e32 v7, v19, v7
	s_waitcnt vmcnt(40)
	v_mul_f32_e32 v71, v64, v154
	v_add_f32_e32 v8, 0, v8
	v_fma_f32 v7, v18, v118, -v7
	v_mul_f32_e32 v6, v21, v6
	v_fmac_f32_e32 v71, v65, v153
	v_add_f32_e32 v7, v8, v7
	v_fma_f32 v6, v20, v24, -v6
	v_mul_f32_e32 v5, v23, v5
	v_add_f32_e32 v74, v70, v71
	ds_read_b128 v[70:73], v1 offset:800
	buffer_load_dword v195, off, s[0:3], 0 offset:448
	buffer_load_dword v196, off, s[0:3], 0 offset:452
	;; [unrolled: 1-line block ×6, first 2 shown]
	v_add_f32_e32 v6, v7, v6
	v_fma_f32 v5, v22, v125, -v5
	v_mul_f32_e32 v4, v27, v4
	v_add_f32_e32 v5, v6, v5
	v_fma_f32 v4, v26, v124, -v4
	v_mul_f32_e32 v3, v29, v3
	v_add_f32_e32 v4, v5, v4
	v_fma_f32 v3, v28, v123, -v3
	v_mul_f32_e32 v2, v31, v2
	v_add_f32_e32 v3, v4, v3
	v_fma_f32 v2, v30, v122, -v2
	v_add_f32_e32 v2, v3, v2
	v_mul_f32_e32 v3, v33, v11
	v_fma_f32 v3, v32, v129, -v3
	v_add_f32_e32 v2, v2, v3
	v_mul_f32_e32 v3, v35, v12
	buffer_load_dword v201, off, s[0:3], 0 offset:472
	buffer_load_dword v202, off, s[0:3], 0 offset:476
	;; [unrolled: 1-line block ×6, first 2 shown]
	v_fma_f32 v3, v34, v128, -v3
	v_add_f32_e32 v2, v2, v3
	v_mul_f32_e32 v3, v37, v13
	v_fma_f32 v3, v36, v127, -v3
	v_add_f32_e32 v2, v2, v3
	v_mul_f32_e32 v3, v39, v14
	;; [unrolled: 3-line block ×7, first 2 shown]
	v_fma_f32 v3, v48, v143, -v3
	s_waitcnt vmcnt(51) lgkmcnt(1)
	v_mul_f32_e32 v75, v66, v155
	v_add_f32_e32 v2, v2, v3
	v_mul_f32_e32 v3, v51, v144
	s_waitcnt vmcnt(50)
	v_fmac_f32_e32 v75, v67, v156
	v_fma_f32 v3, v50, v142, -v3
	v_add_f32_e32 v74, v74, v75
	s_waitcnt vmcnt(48)
	v_mul_f32_e32 v75, v68, v158
	v_add_f32_e32 v2, v2, v3
	v_mul_f32_e32 v3, v53, v139
	v_fmac_f32_e32 v75, v69, v157
	v_fma_f32 v3, v52, v138, -v3
	v_add_f32_e32 v74, v74, v75
	s_waitcnt vmcnt(46) lgkmcnt(0)
	v_mul_f32_e32 v75, v70, v160
	v_add_f32_e32 v2, v2, v3
	v_mul_f32_e32 v3, v55, v141
	v_fmac_f32_e32 v75, v71, v159
	v_fma_f32 v3, v54, v140, -v3
	v_add_f32_e32 v78, v74, v75
	ds_read_b128 v[74:77], v1 offset:816
	v_add_f32_e32 v2, v2, v3
	v_mul_f32_e32 v3, v57, v146
	v_fma_f32 v3, v56, v145, -v3
	s_waitcnt vmcnt(44)
	v_mul_f32_e32 v79, v72, v162
	v_add_f32_e32 v2, v2, v3
	v_mul_f32_e32 v3, v59, v148
	v_fmac_f32_e32 v79, v73, v161
	v_fma_f32 v3, v58, v147, -v3
	v_add_f32_e32 v82, v78, v79
	ds_read_b128 v[78:81], v1 offset:832
	v_add_f32_e32 v2, v2, v3
	v_mul_f32_e32 v3, v61, v150
	s_waitcnt vmcnt(42) lgkmcnt(1)
	v_mul_f32_e32 v83, v74, v164
	v_fma_f32 v3, v60, v149, -v3
	v_fmac_f32_e32 v83, v75, v163
	v_add_f32_e32 v2, v2, v3
	v_mul_f32_e32 v3, v63, v152
	v_add_f32_e32 v82, v82, v83
	s_waitcnt vmcnt(41)
	v_mul_f32_e32 v83, v76, v165
	v_fma_f32 v3, v62, v151, -v3
	s_waitcnt vmcnt(38)
	v_fmac_f32_e32 v83, v77, v168
	v_add_f32_e32 v2, v2, v3
	v_mul_f32_e32 v3, v65, v154
	v_add_f32_e32 v82, v82, v83
	s_waitcnt lgkmcnt(0)
	v_mul_f32_e32 v83, v78, v167
	v_fma_f32 v3, v64, v153, -v3
	v_fmac_f32_e32 v83, v79, v166
	v_add_f32_e32 v2, v2, v3
	v_mul_f32_e32 v3, v67, v155
	v_add_f32_e32 v86, v82, v83
	ds_read_b128 v[82:85], v1 offset:848
	v_fma_f32 v3, v66, v156, -v3
	v_add_f32_e32 v2, v2, v3
	v_mul_f32_e32 v3, v69, v158
	s_waitcnt vmcnt(36)
	v_mul_f32_e32 v87, v80, v170
	v_fma_f32 v3, v68, v157, -v3
	v_fmac_f32_e32 v87, v81, v169
	v_add_f32_e32 v2, v2, v3
	v_mul_f32_e32 v3, v71, v160
	v_add_f32_e32 v90, v86, v87
	ds_read_b128 v[86:89], v1 offset:864
	v_fma_f32 v3, v70, v159, -v3
	s_waitcnt vmcnt(34) lgkmcnt(1)
	v_mul_f32_e32 v91, v82, v172
	v_add_f32_e32 v2, v2, v3
	v_mul_f32_e32 v3, v73, v162
	v_fmac_f32_e32 v91, v83, v171
	v_fma_f32 v3, v72, v161, -v3
	v_add_f32_e32 v90, v90, v91
	s_waitcnt vmcnt(33)
	v_mul_f32_e32 v91, v84, v173
	v_add_f32_e32 v2, v2, v3
	v_mul_f32_e32 v3, v75, v164
	s_waitcnt vmcnt(30)
	v_fmac_f32_e32 v91, v85, v176
	v_fma_f32 v3, v74, v163, -v3
	v_add_f32_e32 v90, v90, v91
	s_waitcnt lgkmcnt(0)
	v_mul_f32_e32 v91, v86, v175
	v_add_f32_e32 v2, v2, v3
	v_mul_f32_e32 v3, v77, v165
	v_fmac_f32_e32 v91, v87, v174
	v_fma_f32 v3, v76, v168, -v3
	v_add_f32_e32 v94, v90, v91
	ds_read_b128 v[90:93], v1 offset:880
	v_add_f32_e32 v2, v2, v3
	v_mul_f32_e32 v3, v79, v167
	v_fma_f32 v3, v78, v166, -v3
	s_waitcnt vmcnt(28)
	v_mul_f32_e32 v95, v88, v178
	v_add_f32_e32 v2, v2, v3
	v_mul_f32_e32 v3, v81, v170
	v_fmac_f32_e32 v95, v89, v177
	v_fma_f32 v3, v80, v169, -v3
	v_add_f32_e32 v98, v94, v95
	ds_read_b128 v[94:97], v1 offset:896
	v_add_f32_e32 v2, v2, v3
	v_mul_f32_e32 v3, v83, v172
	s_waitcnt vmcnt(26) lgkmcnt(1)
	v_mul_f32_e32 v99, v90, v180
	v_fma_f32 v3, v82, v171, -v3
	v_fmac_f32_e32 v99, v91, v179
	v_add_f32_e32 v2, v2, v3
	v_mul_f32_e32 v3, v85, v173
	v_add_f32_e32 v98, v98, v99
	s_waitcnt vmcnt(25)
	v_mul_f32_e32 v99, v92, v181
	v_fma_f32 v3, v84, v176, -v3
	s_waitcnt vmcnt(22)
	v_fmac_f32_e32 v99, v93, v184
	v_add_f32_e32 v2, v2, v3
	v_mul_f32_e32 v3, v87, v175
	v_add_f32_e32 v98, v98, v99
	s_waitcnt lgkmcnt(0)
	v_mul_f32_e32 v99, v94, v183
	v_fma_f32 v3, v86, v174, -v3
	v_fmac_f32_e32 v99, v95, v182
	v_add_f32_e32 v2, v2, v3
	v_mul_f32_e32 v3, v89, v178
	v_add_f32_e32 v102, v98, v99
	ds_read_b128 v[98:101], v1 offset:912
	v_fma_f32 v3, v88, v177, -v3
	v_add_f32_e32 v2, v2, v3
	v_mul_f32_e32 v3, v91, v180
	s_waitcnt vmcnt(20)
	v_mul_f32_e32 v103, v96, v186
	v_fma_f32 v3, v90, v179, -v3
	v_fmac_f32_e32 v103, v97, v185
	v_add_f32_e32 v2, v2, v3
	v_mul_f32_e32 v3, v93, v181
	v_add_f32_e32 v106, v102, v103
	ds_read_b128 v[102:105], v1 offset:928
	v_fma_f32 v3, v92, v184, -v3
	s_waitcnt vmcnt(18) lgkmcnt(1)
	v_mul_f32_e32 v107, v98, v188
	v_add_f32_e32 v2, v2, v3
	v_mul_f32_e32 v3, v95, v183
	v_fmac_f32_e32 v107, v99, v187
	v_fma_f32 v3, v94, v182, -v3
	v_add_f32_e32 v106, v106, v107
	s_waitcnt vmcnt(17)
	v_mul_f32_e32 v107, v100, v189
	v_add_f32_e32 v2, v2, v3
	v_mul_f32_e32 v3, v97, v186
	s_waitcnt vmcnt(14)
	v_fmac_f32_e32 v107, v101, v192
	v_fma_f32 v3, v96, v185, -v3
	v_add_f32_e32 v106, v106, v107
	s_waitcnt lgkmcnt(0)
	v_mul_f32_e32 v107, v102, v191
	v_add_f32_e32 v2, v2, v3
	v_mul_f32_e32 v3, v99, v188
	v_fmac_f32_e32 v107, v103, v190
	v_fma_f32 v3, v98, v187, -v3
	v_add_f32_e32 v110, v106, v107
	ds_read_b128 v[106:109], v1 offset:944
	v_add_f32_e32 v2, v2, v3
	v_mul_f32_e32 v3, v101, v189
	v_fma_f32 v3, v100, v192, -v3
	v_add_f32_e32 v2, v2, v3
	v_mul_f32_e32 v3, v103, v191
	s_waitcnt vmcnt(12)
	v_mul_f32_e32 v111, v104, v194
	v_fma_f32 v3, v102, v190, -v3
	v_fmac_f32_e32 v111, v105, v193
	v_add_f32_e32 v2, v2, v3
	v_mul_f32_e32 v3, v105, v194
	v_add_f32_e32 v114, v110, v111
	ds_read_b128 v[110:113], v1 offset:960
	s_waitcnt vmcnt(10) lgkmcnt(1)
	v_mul_f32_e32 v115, v106, v196
	v_fma_f32 v3, v104, v193, -v3
	v_fmac_f32_e32 v115, v107, v195
	v_add_f32_e32 v2, v2, v3
	v_mul_f32_e32 v3, v107, v196
	v_add_f32_e32 v114, v114, v115
	s_waitcnt vmcnt(9)
	v_mul_f32_e32 v115, v108, v197
	v_fma_f32 v3, v106, v195, -v3
	s_waitcnt vmcnt(6)
	v_fmac_f32_e32 v115, v109, v200
	v_add_f32_e32 v2, v2, v3
	v_mul_f32_e32 v3, v109, v197
	v_add_f32_e32 v207, v114, v115
	ds_read_b128 v[114:117], v1 offset:976
	v_fma_f32 v3, v108, v200, -v3
	v_add_f32_e32 v2, v2, v3
	s_waitcnt lgkmcnt(1)
	v_mul_f32_e32 v3, v111, v199
	v_mul_f32_e32 v208, v110, v199
	v_fma_f32 v3, v110, v198, -v3
	v_fmac_f32_e32 v208, v111, v198
	v_add_f32_e32 v2, v2, v3
	s_waitcnt vmcnt(4)
	v_mul_f32_e32 v3, v113, v202
	v_add_f32_e32 v1, v207, v208
	v_mul_f32_e32 v207, v112, v202
	v_fma_f32 v3, v112, v201, -v3
	v_fmac_f32_e32 v207, v113, v201
	v_add_f32_e32 v2, v2, v3
	s_waitcnt vmcnt(3) lgkmcnt(0)
	v_mul_f32_e32 v3, v115, v203
	v_add_f32_e32 v1, v1, v207
	v_mul_f32_e32 v207, v114, v203
	s_waitcnt vmcnt(0)
	v_fma_f32 v3, v114, v206, -v3
	v_fmac_f32_e32 v207, v115, v206
	v_add_f32_e32 v2, v2, v3
	v_mul_f32_e32 v3, v117, v205
	v_add_f32_e32 v1, v1, v207
	v_mul_f32_e32 v207, v116, v205
	v_fma_f32 v3, v116, v204, -v3
	v_fmac_f32_e32 v207, v117, v204
	v_add_f32_e32 v2, v2, v3
	v_add_f32_e32 v1, v1, v207
	v_sub_f32_e32 v2, v9, v2
	v_sub_f32_e32 v1, v10, v1
	buffer_store_dword v2, off, s[0:3], 0 offset:88
	buffer_store_dword v1, off, s[0:3], 0 offset:92
	s_and_saveexec_b64 s[4:5], vcc
	s_cbranch_execz .LBB61_365
; %bb.364:
	buffer_load_dword v1, off, s[0:3], 0 offset:80
	buffer_load_dword v2, off, s[0:3], 0 offset:84
	v_mov_b32_e32 v3, 0
	buffer_store_dword v3, off, s[0:3], 0 offset:80
	buffer_store_dword v3, off, s[0:3], 0 offset:84
	s_waitcnt vmcnt(2)
	ds_write_b64 v25, v[1:2]
.LBB61_365:
	s_or_b64 exec, exec, s[4:5]
	s_waitcnt lgkmcnt(0)
	; wave barrier
	buffer_load_dword v10, off, s[0:3], 0 offset:92
	buffer_load_dword v9, off, s[0:3], 0 offset:100
	buffer_load_dword v6, off, s[0:3], 0 offset:108
	buffer_load_dword v5, off, s[0:3], 0 offset:116
	buffer_load_dword v4, off, s[0:3], 0 offset:124
	buffer_load_dword v3, off, s[0:3], 0 offset:132
	buffer_load_dword v2, off, s[0:3], 0 offset:140
	buffer_load_dword v11, off, s[0:3], 0 offset:148
	buffer_load_dword v12, off, s[0:3], 0 offset:156
	buffer_load_dword v13, off, s[0:3], 0 offset:164
	buffer_load_dword v14, off, s[0:3], 0 offset:172
	buffer_load_dword v15, off, s[0:3], 0 offset:180
	buffer_load_dword v122, off, s[0:3], 0 offset:104
	buffer_load_dword v123, off, s[0:3], 0 offset:96
	buffer_load_dword v124, off, s[0:3], 0 offset:88
	buffer_load_dword v125, off, s[0:3], 0 offset:136
	buffer_load_dword v126, off, s[0:3], 0 offset:128
	buffer_load_dword v127, off, s[0:3], 0 offset:120
	buffer_load_dword v128, off, s[0:3], 0 offset:112
	buffer_load_dword v16, off, s[0:3], 0 offset:168
	buffer_load_dword v129, off, s[0:3], 0 offset:160
	buffer_load_dword v130, off, s[0:3], 0 offset:152
	buffer_load_dword v131, off, s[0:3], 0 offset:144
	buffer_load_dword v132, off, s[0:3], 0 offset:200
	buffer_load_dword v133, off, s[0:3], 0 offset:192
	buffer_load_dword v134, off, s[0:3], 0 offset:184
	buffer_load_dword v135, off, s[0:3], 0 offset:176
	buffer_load_dword v136, off, s[0:3], 0 offset:188
	buffer_load_dword v137, off, s[0:3], 0 offset:196
	buffer_load_dword v138, off, s[0:3], 0 offset:204
	buffer_load_dword v139, off, s[0:3], 0 offset:212
	buffer_load_dword v140, off, s[0:3], 0 offset:216
	buffer_load_dword v141, off, s[0:3], 0 offset:220
	buffer_load_dword v142, off, s[0:3], 0 offset:224
	buffer_load_dword v143, off, s[0:3], 0 offset:228
	buffer_load_dword v144, off, s[0:3], 0 offset:232
	buffer_load_dword v145, off, s[0:3], 0 offset:236
	buffer_load_dword v146, off, s[0:3], 0 offset:208
	buffer_load_dword v7, off, s[0:3], 0 offset:80
	buffer_load_dword v8, off, s[0:3], 0 offset:84
	buffer_load_dword v147, off, s[0:3], 0 offset:240
	buffer_load_dword v148, off, s[0:3], 0 offset:244
	buffer_load_dword v149, off, s[0:3], 0 offset:248
	buffer_load_dword v150, off, s[0:3], 0 offset:252
	buffer_load_dword v151, off, s[0:3], 0 offset:256
	buffer_load_dword v152, off, s[0:3], 0 offset:260
	buffer_load_dword v153, off, s[0:3], 0 offset:264
	buffer_load_dword v154, off, s[0:3], 0 offset:268
	buffer_load_dword v155, off, s[0:3], 0 offset:272
	buffer_load_dword v156, off, s[0:3], 0 offset:276
	v_mov_b32_e32 v1, 0
	ds_read2_b64 v[17:20], v1 offset0:73 offset1:74
	ds_read2_b64 v[21:24], v1 offset0:75 offset1:76
	;; [unrolled: 1-line block ×6, first 2 shown]
	v_cmp_lt_u32_e32 vcc, 9, v0
	s_waitcnt vmcnt(49) lgkmcnt(5)
	v_mul_f32_e32 v42, v17, v10
	s_waitcnt vmcnt(48)
	v_mul_f32_e32 v43, v19, v9
	s_waitcnt vmcnt(47) lgkmcnt(4)
	v_mul_f32_e32 v44, v21, v6
	s_waitcnt vmcnt(46)
	v_mul_f32_e32 v45, v23, v5
	;; [unrolled: 4-line block ×6, first 2 shown]
	s_waitcnt vmcnt(37)
	v_fmac_f32_e32 v44, v22, v122
	s_waitcnt vmcnt(36)
	v_fmac_f32_e32 v43, v20, v123
	;; [unrolled: 2-line block ×3, first 2 shown]
	v_add_f32_e32 v42, 0, v42
	v_add_f32_e32 v42, v42, v43
	;; [unrolled: 1-line block ×3, first 2 shown]
	s_waitcnt vmcnt(31)
	v_fmac_f32_e32 v45, v24, v128
	v_fmac_f32_e32 v46, v27, v127
	v_add_f32_e32 v42, v42, v45
	v_fmac_f32_e32 v47, v29, v126
	v_add_f32_e32 v42, v42, v46
	;; [unrolled: 2-line block ×3, first 2 shown]
	s_waitcnt vmcnt(27)
	v_fmac_f32_e32 v49, v33, v131
	v_add_f32_e32 v42, v42, v48
	v_fmac_f32_e32 v50, v35, v130
	v_add_f32_e32 v42, v42, v49
	;; [unrolled: 2-line block ×4, first 2 shown]
	v_add_f32_e32 v46, v42, v52
	ds_read2_b64 v[42:45], v1 offset0:85 offset1:86
	s_waitcnt vmcnt(23)
	v_fmac_f32_e32 v53, v41, v135
	v_add_f32_e32 v50, v46, v53
	buffer_load_dword v157, off, s[0:3], 0 offset:280
	buffer_load_dword v158, off, s[0:3], 0 offset:284
	ds_read2_b64 v[46:49], v1 offset0:87 offset1:88
	s_waitcnt vmcnt(24) lgkmcnt(1)
	v_mul_f32_e32 v51, v42, v136
	v_fmac_f32_e32 v51, v43, v134
	v_add_f32_e32 v50, v50, v51
	s_waitcnt vmcnt(23)
	v_mul_f32_e32 v51, v44, v137
	v_fmac_f32_e32 v51, v45, v133
	buffer_load_dword v159, off, s[0:3], 0 offset:292
	buffer_load_dword v160, off, s[0:3], 0 offset:288
	;; [unrolled: 1-line block ×4, first 2 shown]
	v_add_f32_e32 v50, v50, v51
	s_waitcnt vmcnt(26) lgkmcnt(0)
	v_mul_f32_e32 v51, v46, v138
	v_fmac_f32_e32 v51, v47, v132
	s_waitcnt vmcnt(25)
	v_mul_f32_e32 v55, v48, v139
	v_add_f32_e32 v54, v50, v51
	s_waitcnt vmcnt(18)
	v_fmac_f32_e32 v55, v49, v146
	ds_read2_b64 v[50:53], v1 offset0:89 offset1:90
	v_add_f32_e32 v58, v54, v55
	ds_read2_b64 v[54:57], v1 offset0:91 offset1:92
	buffer_load_dword v163, off, s[0:3], 0 offset:304
	buffer_load_dword v164, off, s[0:3], 0 offset:308
	;; [unrolled: 1-line block ×8, first 2 shown]
	s_waitcnt lgkmcnt(1)
	v_mul_f32_e32 v59, v50, v141
	buffer_load_dword v171, off, s[0:3], 0 offset:336
	buffer_load_dword v172, off, s[0:3], 0 offset:340
	v_fmac_f32_e32 v59, v51, v140
	v_add_f32_e32 v58, v58, v59
	v_mul_f32_e32 v59, v52, v143
	v_fmac_f32_e32 v59, v53, v142
	v_add_f32_e32 v58, v58, v59
	s_waitcnt lgkmcnt(0)
	v_mul_f32_e32 v59, v54, v145
	v_fmac_f32_e32 v59, v55, v144
	v_add_f32_e32 v62, v58, v59
	ds_read2_b64 v[58:61], v1 offset0:93 offset1:94
	buffer_load_dword v173, off, s[0:3], 0 offset:344
	buffer_load_dword v174, off, s[0:3], 0 offset:348
	;; [unrolled: 1-line block ×6, first 2 shown]
	s_waitcnt vmcnt(30)
	v_mul_f32_e32 v63, v56, v148
	v_fmac_f32_e32 v63, v57, v147
	v_add_f32_e32 v66, v62, v63
	ds_read2_b64 v[62:65], v1 offset0:95 offset1:96
	buffer_load_dword v179, off, s[0:3], 0 offset:368
	buffer_load_dword v180, off, s[0:3], 0 offset:372
	buffer_load_dword v181, off, s[0:3], 0 offset:376
	buffer_load_dword v182, off, s[0:3], 0 offset:380
	buffer_load_dword v183, off, s[0:3], 0 offset:388
	buffer_load_dword v184, off, s[0:3], 0 offset:392
	buffer_load_dword v185, off, s[0:3], 0 offset:396
	buffer_load_dword v186, off, s[0:3], 0 offset:384
	s_waitcnt vmcnt(36) lgkmcnt(1)
	v_mul_f32_e32 v67, v58, v150
	buffer_load_dword v187, off, s[0:3], 0 offset:400
	buffer_load_dword v188, off, s[0:3], 0 offset:404
	v_fmac_f32_e32 v67, v59, v149
	v_add_f32_e32 v66, v66, v67
	s_waitcnt vmcnt(36)
	v_mul_f32_e32 v67, v60, v152
	v_fmac_f32_e32 v67, v61, v151
	v_add_f32_e32 v66, v66, v67
	s_waitcnt vmcnt(34) lgkmcnt(0)
	v_mul_f32_e32 v67, v62, v154
	v_fmac_f32_e32 v67, v63, v153
	v_add_f32_e32 v70, v66, v67
	ds_read2_b64 v[66:69], v1 offset0:97 offset1:98
	buffer_load_dword v189, off, s[0:3], 0 offset:408
	buffer_load_dword v190, off, s[0:3], 0 offset:412
	;; [unrolled: 1-line block ×6, first 2 shown]
	s_waitcnt vmcnt(38)
	v_mul_f32_e32 v71, v64, v156
	v_fmac_f32_e32 v71, v65, v155
	v_add_f32_e32 v74, v70, v71
	ds_read2_b64 v[70:73], v1 offset0:99 offset1:100
	buffer_load_dword v195, off, s[0:3], 0 offset:432
	buffer_load_dword v196, off, s[0:3], 0 offset:436
	v_mul_f32_e32 v10, v18, v10
	v_fma_f32 v10, v17, v124, -v10
	v_mul_f32_e32 v9, v20, v9
	buffer_load_dword v197, off, s[0:3], 0 offset:440
	buffer_load_dword v198, off, s[0:3], 0 offset:444
	;; [unrolled: 1-line block ×6, first 2 shown]
	v_add_f32_e32 v10, 0, v10
	v_fma_f32 v9, v19, v123, -v9
	v_mul_f32_e32 v6, v22, v6
	v_add_f32_e32 v9, v10, v9
	v_fma_f32 v6, v21, v122, -v6
	v_mul_f32_e32 v5, v24, v5
	;; [unrolled: 3-line block ×5, first 2 shown]
	buffer_load_dword v203, off, s[0:3], 0 offset:464
	buffer_load_dword v204, off, s[0:3], 0 offset:468
	v_add_f32_e32 v3, v4, v3
	v_fma_f32 v2, v30, v125, -v2
	v_add_f32_e32 v2, v3, v2
	v_mul_f32_e32 v3, v33, v11
	v_fma_f32 v3, v32, v131, -v3
	v_add_f32_e32 v2, v2, v3
	v_mul_f32_e32 v3, v35, v12
	;; [unrolled: 3-line block ×3, first 2 shown]
	buffer_load_dword v205, off, s[0:3], 0 offset:472
	buffer_load_dword v206, off, s[0:3], 0 offset:476
	;; [unrolled: 1-line block ×6, first 2 shown]
	v_fma_f32 v3, v36, v129, -v3
	v_add_f32_e32 v2, v2, v3
	v_mul_f32_e32 v3, v39, v14
	v_fma_f32 v3, v38, v16, -v3
	v_add_f32_e32 v2, v2, v3
	v_mul_f32_e32 v3, v41, v15
	;; [unrolled: 3-line block ×5, first 2 shown]
	v_fma_f32 v3, v46, v132, -v3
	s_waitcnt vmcnt(52) lgkmcnt(1)
	v_mul_f32_e32 v75, v66, v158
	v_add_f32_e32 v2, v2, v3
	v_mul_f32_e32 v3, v49, v139
	v_fmac_f32_e32 v75, v67, v157
	v_fma_f32 v3, v48, v146, -v3
	v_add_f32_e32 v74, v74, v75
	s_waitcnt vmcnt(51)
	v_mul_f32_e32 v75, v68, v159
	v_add_f32_e32 v2, v2, v3
	v_mul_f32_e32 v3, v51, v141
	s_waitcnt vmcnt(50)
	v_fmac_f32_e32 v75, v69, v160
	v_fma_f32 v3, v50, v140, -v3
	v_add_f32_e32 v74, v74, v75
	s_waitcnt vmcnt(48) lgkmcnt(0)
	v_mul_f32_e32 v75, v70, v162
	v_add_f32_e32 v2, v2, v3
	v_mul_f32_e32 v3, v53, v143
	v_fmac_f32_e32 v75, v71, v161
	v_fma_f32 v3, v52, v142, -v3
	v_add_f32_e32 v78, v74, v75
	ds_read2_b64 v[74:77], v1 offset0:101 offset1:102
	v_add_f32_e32 v2, v2, v3
	v_mul_f32_e32 v3, v55, v145
	v_fma_f32 v3, v54, v144, -v3
	s_waitcnt vmcnt(46)
	v_mul_f32_e32 v79, v72, v164
	v_add_f32_e32 v2, v2, v3
	v_mul_f32_e32 v3, v57, v148
	v_fmac_f32_e32 v79, v73, v163
	v_fma_f32 v3, v56, v147, -v3
	v_add_f32_e32 v82, v78, v79
	ds_read2_b64 v[78:81], v1 offset0:103 offset1:104
	v_add_f32_e32 v2, v2, v3
	v_mul_f32_e32 v3, v59, v150
	s_waitcnt vmcnt(44) lgkmcnt(1)
	v_mul_f32_e32 v83, v74, v166
	v_fma_f32 v3, v58, v149, -v3
	v_fmac_f32_e32 v83, v75, v165
	v_add_f32_e32 v2, v2, v3
	v_mul_f32_e32 v3, v61, v152
	v_add_f32_e32 v82, v82, v83
	s_waitcnt vmcnt(43)
	v_mul_f32_e32 v83, v76, v167
	v_fma_f32 v3, v60, v151, -v3
	s_waitcnt vmcnt(40)
	v_fmac_f32_e32 v83, v77, v170
	v_add_f32_e32 v2, v2, v3
	v_mul_f32_e32 v3, v63, v154
	v_add_f32_e32 v82, v82, v83
	s_waitcnt lgkmcnt(0)
	v_mul_f32_e32 v83, v78, v169
	v_fma_f32 v3, v62, v153, -v3
	v_fmac_f32_e32 v83, v79, v168
	v_add_f32_e32 v2, v2, v3
	v_mul_f32_e32 v3, v65, v156
	v_add_f32_e32 v86, v82, v83
	ds_read2_b64 v[82:85], v1 offset0:105 offset1:106
	v_fma_f32 v3, v64, v155, -v3
	v_add_f32_e32 v2, v2, v3
	v_mul_f32_e32 v3, v67, v158
	s_waitcnt vmcnt(38)
	v_mul_f32_e32 v87, v80, v172
	v_fma_f32 v3, v66, v157, -v3
	v_fmac_f32_e32 v87, v81, v171
	v_add_f32_e32 v2, v2, v3
	v_mul_f32_e32 v3, v69, v159
	v_add_f32_e32 v90, v86, v87
	ds_read2_b64 v[86:89], v1 offset0:107 offset1:108
	v_fma_f32 v3, v68, v160, -v3
	s_waitcnt vmcnt(36) lgkmcnt(1)
	v_mul_f32_e32 v91, v82, v174
	v_add_f32_e32 v2, v2, v3
	v_mul_f32_e32 v3, v71, v162
	v_fmac_f32_e32 v91, v83, v173
	v_fma_f32 v3, v70, v161, -v3
	v_add_f32_e32 v90, v90, v91
	s_waitcnt vmcnt(35)
	v_mul_f32_e32 v91, v84, v175
	v_add_f32_e32 v2, v2, v3
	v_mul_f32_e32 v3, v73, v164
	s_waitcnt vmcnt(32)
	v_fmac_f32_e32 v91, v85, v178
	v_fma_f32 v3, v72, v163, -v3
	v_add_f32_e32 v90, v90, v91
	s_waitcnt lgkmcnt(0)
	v_mul_f32_e32 v91, v86, v177
	v_add_f32_e32 v2, v2, v3
	v_mul_f32_e32 v3, v75, v166
	v_fmac_f32_e32 v91, v87, v176
	v_fma_f32 v3, v74, v165, -v3
	v_add_f32_e32 v94, v90, v91
	ds_read2_b64 v[90:93], v1 offset0:109 offset1:110
	v_add_f32_e32 v2, v2, v3
	v_mul_f32_e32 v3, v77, v167
	v_fma_f32 v3, v76, v170, -v3
	s_waitcnt vmcnt(30)
	v_mul_f32_e32 v95, v88, v180
	v_add_f32_e32 v2, v2, v3
	v_mul_f32_e32 v3, v79, v169
	v_fmac_f32_e32 v95, v89, v179
	v_fma_f32 v3, v78, v168, -v3
	v_add_f32_e32 v98, v94, v95
	ds_read2_b64 v[94:97], v1 offset0:111 offset1:112
	v_add_f32_e32 v2, v2, v3
	v_mul_f32_e32 v3, v81, v172
	s_waitcnt vmcnt(28) lgkmcnt(1)
	v_mul_f32_e32 v99, v90, v182
	v_fma_f32 v3, v80, v171, -v3
	v_fmac_f32_e32 v99, v91, v181
	v_add_f32_e32 v2, v2, v3
	v_mul_f32_e32 v3, v83, v174
	v_add_f32_e32 v98, v98, v99
	s_waitcnt vmcnt(27)
	v_mul_f32_e32 v99, v92, v183
	v_fma_f32 v3, v82, v173, -v3
	s_waitcnt vmcnt(24)
	v_fmac_f32_e32 v99, v93, v186
	v_add_f32_e32 v2, v2, v3
	v_mul_f32_e32 v3, v85, v175
	v_add_f32_e32 v98, v98, v99
	s_waitcnt lgkmcnt(0)
	v_mul_f32_e32 v99, v94, v185
	v_fma_f32 v3, v84, v178, -v3
	v_fmac_f32_e32 v99, v95, v184
	v_add_f32_e32 v2, v2, v3
	v_mul_f32_e32 v3, v87, v177
	v_add_f32_e32 v102, v98, v99
	ds_read2_b64 v[98:101], v1 offset0:113 offset1:114
	v_fma_f32 v3, v86, v176, -v3
	v_add_f32_e32 v2, v2, v3
	v_mul_f32_e32 v3, v89, v180
	s_waitcnt vmcnt(22)
	v_mul_f32_e32 v103, v96, v188
	v_fma_f32 v3, v88, v179, -v3
	v_fmac_f32_e32 v103, v97, v187
	v_add_f32_e32 v2, v2, v3
	v_mul_f32_e32 v3, v91, v182
	v_add_f32_e32 v106, v102, v103
	ds_read2_b64 v[102:105], v1 offset0:115 offset1:116
	v_fma_f32 v3, v90, v181, -v3
	s_waitcnt vmcnt(20) lgkmcnt(1)
	v_mul_f32_e32 v107, v98, v190
	v_add_f32_e32 v2, v2, v3
	v_mul_f32_e32 v3, v93, v183
	v_fmac_f32_e32 v107, v99, v189
	v_fma_f32 v3, v92, v186, -v3
	v_add_f32_e32 v106, v106, v107
	s_waitcnt vmcnt(19)
	v_mul_f32_e32 v107, v100, v191
	v_add_f32_e32 v2, v2, v3
	v_mul_f32_e32 v3, v95, v185
	s_waitcnt vmcnt(16)
	v_fmac_f32_e32 v107, v101, v194
	v_fma_f32 v3, v94, v184, -v3
	v_add_f32_e32 v106, v106, v107
	s_waitcnt lgkmcnt(0)
	v_mul_f32_e32 v107, v102, v193
	v_add_f32_e32 v2, v2, v3
	v_mul_f32_e32 v3, v97, v188
	v_fmac_f32_e32 v107, v103, v192
	v_fma_f32 v3, v96, v187, -v3
	v_add_f32_e32 v110, v106, v107
	ds_read2_b64 v[106:109], v1 offset0:117 offset1:118
	v_add_f32_e32 v2, v2, v3
	v_mul_f32_e32 v3, v99, v190
	v_fma_f32 v3, v98, v189, -v3
	s_waitcnt vmcnt(14)
	v_mul_f32_e32 v111, v104, v196
	v_add_f32_e32 v2, v2, v3
	v_mul_f32_e32 v3, v101, v191
	v_fmac_f32_e32 v111, v105, v195
	v_fma_f32 v3, v100, v194, -v3
	v_add_f32_e32 v114, v110, v111
	ds_read2_b64 v[110:113], v1 offset0:119 offset1:120
	v_add_f32_e32 v2, v2, v3
	v_mul_f32_e32 v3, v103, v193
	s_waitcnt vmcnt(12) lgkmcnt(1)
	v_mul_f32_e32 v115, v106, v198
	v_fma_f32 v3, v102, v192, -v3
	v_fmac_f32_e32 v115, v107, v197
	v_add_f32_e32 v2, v2, v3
	v_mul_f32_e32 v3, v105, v196
	v_add_f32_e32 v114, v114, v115
	s_waitcnt vmcnt(11)
	v_mul_f32_e32 v115, v108, v199
	v_fma_f32 v3, v104, v195, -v3
	s_waitcnt vmcnt(8)
	v_fmac_f32_e32 v115, v109, v202
	v_add_f32_e32 v2, v2, v3
	v_mul_f32_e32 v3, v107, v198
	v_add_f32_e32 v114, v114, v115
	s_waitcnt lgkmcnt(0)
	v_mul_f32_e32 v115, v110, v201
	v_fma_f32 v3, v106, v197, -v3
	v_fmac_f32_e32 v115, v111, v200
	v_add_f32_e32 v2, v2, v3
	v_mul_f32_e32 v3, v109, v199
	v_add_f32_e32 v118, v114, v115
	ds_read2_b64 v[114:117], v1 offset0:121 offset1:122
	v_fma_f32 v3, v108, v202, -v3
	v_add_f32_e32 v2, v2, v3
	v_mul_f32_e32 v3, v111, v201
	s_waitcnt vmcnt(6)
	v_mul_f32_e32 v119, v112, v204
	v_fma_f32 v3, v110, v200, -v3
	v_fmac_f32_e32 v119, v113, v203
	v_add_f32_e32 v2, v2, v3
	v_mul_f32_e32 v3, v113, v204
	v_add_f32_e32 v211, v118, v119
	ds_read_b64 v[118:119], v1 offset:984
	v_fma_f32 v3, v112, v203, -v3
	v_add_f32_e32 v2, v2, v3
	s_waitcnt vmcnt(4) lgkmcnt(1)
	v_mul_f32_e32 v3, v115, v206
	v_mul_f32_e32 v212, v114, v206
	v_fma_f32 v3, v114, v205, -v3
	v_fmac_f32_e32 v212, v115, v205
	v_add_f32_e32 v2, v2, v3
	s_waitcnt vmcnt(3)
	v_mul_f32_e32 v3, v117, v207
	v_add_f32_e32 v211, v211, v212
	v_mul_f32_e32 v212, v116, v207
	s_waitcnt vmcnt(0)
	v_fma_f32 v3, v116, v210, -v3
	v_fmac_f32_e32 v212, v117, v210
	v_add_f32_e32 v2, v2, v3
	s_waitcnt lgkmcnt(0)
	v_mul_f32_e32 v3, v119, v209
	v_add_f32_e32 v211, v211, v212
	v_mul_f32_e32 v212, v118, v209
	v_fma_f32 v3, v118, v208, -v3
	v_fmac_f32_e32 v212, v119, v208
	v_add_f32_e32 v2, v2, v3
	v_add_f32_e32 v211, v211, v212
	v_sub_f32_e32 v2, v7, v2
	v_sub_f32_e32 v3, v8, v211
	buffer_store_dword v2, off, s[0:3], 0 offset:80
	buffer_store_dword v3, off, s[0:3], 0 offset:84
	s_and_saveexec_b64 s[4:5], vcc
	s_cbranch_execz .LBB61_367
; %bb.366:
	buffer_load_dword v2, off, s[0:3], 0 offset:72
	buffer_load_dword v3, off, s[0:3], 0 offset:76
	s_waitcnt vmcnt(0)
	ds_write_b64 v25, v[2:3]
	buffer_store_dword v1, off, s[0:3], 0 offset:72
	buffer_store_dword v1, off, s[0:3], 0 offset:76
.LBB61_367:
	s_or_b64 exec, exec, s[4:5]
	s_waitcnt lgkmcnt(0)
	; wave barrier
	buffer_load_dword v10, off, s[0:3], 0 offset:84
	buffer_load_dword v7, off, s[0:3], 0 offset:92
	;; [unrolled: 1-line block ×40, first 2 shown]
	ds_read_b128 v[26:29], v1 offset:576
	ds_read_b128 v[30:33], v1 offset:592
	;; [unrolled: 1-line block ×6, first 2 shown]
	buffer_load_dword v149, off, s[0:3], 0 offset:232
	buffer_load_dword v150, off, s[0:3], 0 offset:236
	;; [unrolled: 1-line block ×12, first 2 shown]
	v_cmp_lt_u32_e32 vcc, 8, v0
	s_waitcnt vmcnt(51) lgkmcnt(5)
	v_mul_f32_e32 v50, v26, v10
	s_waitcnt vmcnt(50)
	v_mul_f32_e32 v51, v28, v7
	s_waitcnt vmcnt(49) lgkmcnt(4)
	v_mul_f32_e32 v52, v30, v6
	s_waitcnt vmcnt(48)
	v_mul_f32_e32 v53, v32, v5
	;; [unrolled: 4-line block ×5, first 2 shown]
	s_waitcnt vmcnt(41) lgkmcnt(0)
	v_mul_f32_e32 v60, v46, v14
	s_waitcnt vmcnt(40)
	v_fmac_f32_e32 v52, v31, v21
	s_waitcnt vmcnt(39)
	v_fmac_f32_e32 v51, v29, v24
	;; [unrolled: 2-line block ×3, first 2 shown]
	v_add_f32_e32 v50, 0, v50
	v_add_f32_e32 v50, v50, v51
	;; [unrolled: 1-line block ×3, first 2 shown]
	s_waitcnt vmcnt(34)
	v_fmac_f32_e32 v53, v33, v119
	v_fmac_f32_e32 v54, v35, v23
	v_add_f32_e32 v50, v50, v53
	v_fmac_f32_e32 v55, v37, v20
	v_add_f32_e32 v50, v50, v54
	;; [unrolled: 2-line block ×3, first 2 shown]
	s_waitcnt vmcnt(30)
	v_fmac_f32_e32 v57, v41, v22
	v_add_f32_e32 v50, v50, v56
	v_fmac_f32_e32 v58, v43, v19
	v_add_f32_e32 v50, v50, v57
	;; [unrolled: 2-line block ×4, first 2 shown]
	v_add_f32_e32 v54, v50, v60
	ds_read_b128 v[50:53], v1 offset:672
	s_waitcnt vmcnt(29)
	v_mul_f32_e32 v55, v48, v18
	s_waitcnt vmcnt(25)
	v_fmac_f32_e32 v55, v49, v137
	v_add_f32_e32 v58, v54, v55
	ds_read_b128 v[54:57], v1 offset:688
	s_waitcnt vmcnt(24) lgkmcnt(1)
	v_mul_f32_e32 v59, v50, v138
	v_fmac_f32_e32 v59, v51, v136
	v_add_f32_e32 v58, v58, v59
	s_waitcnt vmcnt(23)
	v_mul_f32_e32 v59, v52, v139
	buffer_load_dword v161, off, s[0:3], 0 offset:280
	buffer_load_dword v162, off, s[0:3], 0 offset:284
	v_fmac_f32_e32 v59, v53, v135
	v_add_f32_e32 v58, v58, v59
	s_waitcnt vmcnt(24) lgkmcnt(0)
	v_mul_f32_e32 v59, v54, v140
	buffer_load_dword v163, off, s[0:3], 0 offset:288
	buffer_load_dword v164, off, s[0:3], 0 offset:292
	v_fmac_f32_e32 v59, v55, v134
	v_add_f32_e32 v62, v58, v59
	ds_read_b128 v[58:61], v1 offset:704
	buffer_load_dword v165, off, s[0:3], 0 offset:296
	buffer_load_dword v166, off, s[0:3], 0 offset:300
	s_waitcnt vmcnt(27)
	v_mul_f32_e32 v63, v56, v141
	s_waitcnt vmcnt(21)
	v_fmac_f32_e32 v63, v57, v147
	v_add_f32_e32 v66, v62, v63
	ds_read_b128 v[62:65], v1 offset:720
	s_waitcnt vmcnt(20) lgkmcnt(1)
	v_mul_f32_e32 v67, v58, v148
	v_fmac_f32_e32 v67, v59, v146
	buffer_load_dword v167, off, s[0:3], 0 offset:304
	buffer_load_dword v168, off, s[0:3], 0 offset:308
	;; [unrolled: 1-line block ×6, first 2 shown]
	v_add_f32_e32 v66, v66, v67
	v_mul_f32_e32 v67, v60, v143
	v_fmac_f32_e32 v67, v61, v142
	v_add_f32_e32 v66, v66, v67
	s_waitcnt lgkmcnt(0)
	v_mul_f32_e32 v67, v62, v145
	v_fmac_f32_e32 v67, v63, v144
	v_add_f32_e32 v70, v66, v67
	ds_read_b128 v[66:69], v1 offset:736
	buffer_load_dword v173, off, s[0:3], 0 offset:328
	buffer_load_dword v174, off, s[0:3], 0 offset:332
	s_waitcnt vmcnt(24)
	v_mul_f32_e32 v71, v64, v150
	v_fmac_f32_e32 v71, v65, v149
	v_add_f32_e32 v74, v70, v71
	ds_read_b128 v[70:73], v1 offset:752
	buffer_load_dword v175, off, s[0:3], 0 offset:336
	buffer_load_dword v176, off, s[0:3], 0 offset:340
	;; [unrolled: 1-line block ×14, first 2 shown]
	s_waitcnt vmcnt(36) lgkmcnt(1)
	v_mul_f32_e32 v75, v66, v152
	buffer_load_dword v189, off, s[0:3], 0 offset:392
	buffer_load_dword v190, off, s[0:3], 0 offset:396
	v_fmac_f32_e32 v75, v67, v151
	v_add_f32_e32 v74, v74, v75
	s_waitcnt vmcnt(36)
	v_mul_f32_e32 v75, v68, v154
	v_fmac_f32_e32 v75, v69, v153
	v_add_f32_e32 v74, v74, v75
	s_waitcnt vmcnt(34) lgkmcnt(0)
	v_mul_f32_e32 v75, v70, v156
	v_fmac_f32_e32 v75, v71, v155
	v_add_f32_e32 v78, v74, v75
	ds_read_b128 v[74:77], v1 offset:768
	buffer_load_dword v191, off, s[0:3], 0 offset:400
	buffer_load_dword v192, off, s[0:3], 0 offset:404
	;; [unrolled: 1-line block ×6, first 2 shown]
	s_waitcnt vmcnt(38)
	v_mul_f32_e32 v79, v72, v158
	v_fmac_f32_e32 v79, v73, v157
	v_add_f32_e32 v82, v78, v79
	ds_read_b128 v[78:81], v1 offset:784
	buffer_load_dword v197, off, s[0:3], 0 offset:424
	buffer_load_dword v198, off, s[0:3], 0 offset:428
	v_mul_f32_e32 v10, v27, v10
	v_fma_f32 v10, v26, v118, -v10
	v_mul_f32_e32 v7, v29, v7
	buffer_load_dword v199, off, s[0:3], 0 offset:432
	buffer_load_dword v200, off, s[0:3], 0 offset:436
	;; [unrolled: 1-line block ×6, first 2 shown]
	v_add_f32_e32 v10, 0, v10
	v_fma_f32 v7, v28, v24, -v7
	v_mul_f32_e32 v6, v31, v6
	v_add_f32_e32 v7, v10, v7
	v_fma_f32 v6, v30, v21, -v6
	v_mul_f32_e32 v5, v33, v5
	;; [unrolled: 3-line block ×5, first 2 shown]
	buffer_load_dword v205, off, s[0:3], 0 offset:456
	buffer_load_dword v206, off, s[0:3], 0 offset:460
	v_add_f32_e32 v3, v4, v3
	v_fma_f32 v2, v38, v17, -v2
	v_add_f32_e32 v2, v3, v2
	v_mul_f32_e32 v3, v41, v11
	s_waitcnt vmcnt(46) lgkmcnt(1)
	v_mul_f32_e32 v83, v74, v160
	v_fma_f32 v3, v40, v22, -v3
	v_fmac_f32_e32 v83, v75, v159
	v_add_f32_e32 v2, v2, v3
	v_mul_f32_e32 v3, v43, v12
	v_add_f32_e32 v82, v82, v83
	v_fma_f32 v3, v42, v19, -v3
	s_waitcnt vmcnt(44)
	v_mul_f32_e32 v83, v76, v162
	v_fmac_f32_e32 v83, v77, v161
	v_add_f32_e32 v2, v2, v3
	v_mul_f32_e32 v3, v45, v13
	v_add_f32_e32 v82, v82, v83
	s_waitcnt vmcnt(42) lgkmcnt(0)
	v_mul_f32_e32 v83, v78, v164
	buffer_load_dword v207, off, s[0:3], 0 offset:464
	buffer_load_dword v208, off, s[0:3], 0 offset:468
	;; [unrolled: 1-line block ×6, first 2 shown]
	v_fma_f32 v3, v44, v16, -v3
	v_fmac_f32_e32 v83, v79, v163
	s_waitcnt vmcnt(46)
	v_mul_f32_e32 v87, v80, v166
	v_add_f32_e32 v2, v2, v3
	v_mul_f32_e32 v3, v47, v14
	v_add_f32_e32 v86, v82, v83
	v_fmac_f32_e32 v87, v81, v165
	v_fma_f32 v3, v46, v15, -v3
	ds_read_b128 v[82:85], v1 offset:800
	v_add_f32_e32 v90, v86, v87
	ds_read_b128 v[86:89], v1 offset:816
	buffer_load_dword v213, off, s[0:3], 0 offset:488
	buffer_load_dword v214, off, s[0:3], 0 offset:492
	v_add_f32_e32 v2, v2, v3
	v_mul_f32_e32 v3, v49, v18
	v_fma_f32 v3, v48, v137, -v3
	v_add_f32_e32 v2, v2, v3
	v_mul_f32_e32 v3, v51, v138
	v_fma_f32 v3, v50, v136, -v3
	;; [unrolled: 3-line block ×9, first 2 shown]
	v_add_f32_e32 v2, v2, v3
	v_mul_f32_e32 v3, v67, v152
	s_waitcnt vmcnt(46) lgkmcnt(1)
	v_mul_f32_e32 v91, v82, v168
	v_fma_f32 v3, v66, v151, -v3
	v_fmac_f32_e32 v91, v83, v167
	v_add_f32_e32 v2, v2, v3
	v_mul_f32_e32 v3, v69, v154
	v_add_f32_e32 v90, v90, v91
	s_waitcnt vmcnt(45)
	v_mul_f32_e32 v91, v84, v169
	v_fma_f32 v3, v68, v153, -v3
	s_waitcnt vmcnt(42)
	v_fmac_f32_e32 v91, v85, v172
	v_add_f32_e32 v2, v2, v3
	v_mul_f32_e32 v3, v71, v156
	v_add_f32_e32 v90, v90, v91
	s_waitcnt lgkmcnt(0)
	v_mul_f32_e32 v91, v86, v171
	v_fma_f32 v3, v70, v155, -v3
	v_fmac_f32_e32 v91, v87, v170
	v_add_f32_e32 v2, v2, v3
	v_mul_f32_e32 v3, v73, v158
	v_add_f32_e32 v94, v90, v91
	ds_read_b128 v[90:93], v1 offset:832
	v_fma_f32 v3, v72, v157, -v3
	v_add_f32_e32 v2, v2, v3
	v_mul_f32_e32 v3, v75, v160
	s_waitcnt vmcnt(40)
	v_mul_f32_e32 v95, v88, v174
	v_fma_f32 v3, v74, v159, -v3
	v_fmac_f32_e32 v95, v89, v173
	v_add_f32_e32 v2, v2, v3
	v_mul_f32_e32 v3, v77, v162
	v_add_f32_e32 v98, v94, v95
	ds_read_b128 v[94:97], v1 offset:848
	v_fma_f32 v3, v76, v161, -v3
	s_waitcnt vmcnt(38) lgkmcnt(1)
	v_mul_f32_e32 v99, v90, v176
	v_add_f32_e32 v2, v2, v3
	v_mul_f32_e32 v3, v79, v164
	v_fmac_f32_e32 v99, v91, v175
	v_fma_f32 v3, v78, v163, -v3
	v_add_f32_e32 v98, v98, v99
	s_waitcnt vmcnt(37)
	v_mul_f32_e32 v99, v92, v177
	v_add_f32_e32 v2, v2, v3
	v_mul_f32_e32 v3, v81, v166
	s_waitcnt vmcnt(34)
	v_fmac_f32_e32 v99, v93, v180
	v_fma_f32 v3, v80, v165, -v3
	v_add_f32_e32 v98, v98, v99
	s_waitcnt lgkmcnt(0)
	v_mul_f32_e32 v99, v94, v179
	v_add_f32_e32 v2, v2, v3
	v_mul_f32_e32 v3, v83, v168
	v_fmac_f32_e32 v99, v95, v178
	v_fma_f32 v3, v82, v167, -v3
	v_add_f32_e32 v102, v98, v99
	ds_read_b128 v[98:101], v1 offset:864
	v_add_f32_e32 v2, v2, v3
	v_mul_f32_e32 v3, v85, v169
	v_fma_f32 v3, v84, v172, -v3
	s_waitcnt vmcnt(32)
	v_mul_f32_e32 v103, v96, v182
	v_add_f32_e32 v2, v2, v3
	v_mul_f32_e32 v3, v87, v171
	v_fmac_f32_e32 v103, v97, v181
	v_fma_f32 v3, v86, v170, -v3
	v_add_f32_e32 v106, v102, v103
	ds_read_b128 v[102:105], v1 offset:880
	v_add_f32_e32 v2, v2, v3
	v_mul_f32_e32 v3, v89, v174
	s_waitcnt vmcnt(30) lgkmcnt(1)
	v_mul_f32_e32 v107, v98, v184
	v_fma_f32 v3, v88, v173, -v3
	v_fmac_f32_e32 v107, v99, v183
	v_add_f32_e32 v2, v2, v3
	v_mul_f32_e32 v3, v91, v176
	v_add_f32_e32 v106, v106, v107
	s_waitcnt vmcnt(29)
	v_mul_f32_e32 v107, v100, v185
	v_fma_f32 v3, v90, v175, -v3
	s_waitcnt vmcnt(26)
	v_fmac_f32_e32 v107, v101, v188
	v_add_f32_e32 v2, v2, v3
	v_mul_f32_e32 v3, v93, v177
	v_add_f32_e32 v106, v106, v107
	s_waitcnt lgkmcnt(0)
	v_mul_f32_e32 v107, v102, v187
	v_fma_f32 v3, v92, v180, -v3
	v_fmac_f32_e32 v107, v103, v186
	v_add_f32_e32 v2, v2, v3
	v_mul_f32_e32 v3, v95, v179
	v_add_f32_e32 v110, v106, v107
	ds_read_b128 v[106:109], v1 offset:896
	v_fma_f32 v3, v94, v178, -v3
	v_add_f32_e32 v2, v2, v3
	v_mul_f32_e32 v3, v97, v182
	s_waitcnt vmcnt(24)
	v_mul_f32_e32 v111, v104, v190
	v_fma_f32 v3, v96, v181, -v3
	v_fmac_f32_e32 v111, v105, v189
	v_add_f32_e32 v2, v2, v3
	v_mul_f32_e32 v3, v99, v184
	v_add_f32_e32 v114, v110, v111
	ds_read_b128 v[110:113], v1 offset:912
	v_fma_f32 v3, v98, v183, -v3
	s_waitcnt vmcnt(22) lgkmcnt(1)
	v_mul_f32_e32 v115, v106, v192
	v_add_f32_e32 v2, v2, v3
	v_mul_f32_e32 v3, v101, v185
	v_fmac_f32_e32 v115, v107, v191
	v_fma_f32 v3, v100, v188, -v3
	v_add_f32_e32 v114, v114, v115
	s_waitcnt vmcnt(21)
	v_mul_f32_e32 v115, v108, v193
	v_add_f32_e32 v2, v2, v3
	v_mul_f32_e32 v3, v103, v187
	s_waitcnt vmcnt(18)
	v_fmac_f32_e32 v115, v109, v196
	v_fma_f32 v3, v102, v186, -v3
	v_add_f32_e32 v114, v114, v115
	s_waitcnt lgkmcnt(0)
	v_mul_f32_e32 v115, v110, v195
	v_add_f32_e32 v2, v2, v3
	v_mul_f32_e32 v3, v105, v190
	v_fmac_f32_e32 v115, v111, v194
	v_fma_f32 v3, v104, v189, -v3
	v_add_f32_e32 v122, v114, v115
	ds_read_b128 v[114:117], v1 offset:928
	v_add_f32_e32 v2, v2, v3
	v_mul_f32_e32 v3, v107, v192
	v_fma_f32 v3, v106, v191, -v3
	s_waitcnt vmcnt(16)
	v_mul_f32_e32 v123, v112, v198
	v_add_f32_e32 v2, v2, v3
	v_mul_f32_e32 v3, v109, v193
	v_fmac_f32_e32 v123, v113, v197
	v_fma_f32 v3, v108, v196, -v3
	v_add_f32_e32 v126, v122, v123
	ds_read_b128 v[122:125], v1 offset:944
	v_add_f32_e32 v2, v2, v3
	v_mul_f32_e32 v3, v111, v195
	s_waitcnt vmcnt(14) lgkmcnt(1)
	v_mul_f32_e32 v127, v114, v200
	v_fma_f32 v3, v110, v194, -v3
	v_fmac_f32_e32 v127, v115, v199
	v_add_f32_e32 v2, v2, v3
	v_mul_f32_e32 v3, v113, v198
	v_add_f32_e32 v126, v126, v127
	s_waitcnt vmcnt(13)
	v_mul_f32_e32 v127, v116, v201
	v_fma_f32 v3, v112, v197, -v3
	s_waitcnt vmcnt(10)
	v_fmac_f32_e32 v127, v117, v204
	v_add_f32_e32 v2, v2, v3
	v_mul_f32_e32 v3, v115, v200
	v_add_f32_e32 v126, v126, v127
	s_waitcnt lgkmcnt(0)
	v_mul_f32_e32 v127, v122, v203
	v_fma_f32 v3, v114, v199, -v3
	v_fmac_f32_e32 v127, v123, v202
	v_add_f32_e32 v2, v2, v3
	v_mul_f32_e32 v3, v117, v201
	v_add_f32_e32 v130, v126, v127
	ds_read_b128 v[126:129], v1 offset:960
	v_fma_f32 v3, v116, v204, -v3
	v_add_f32_e32 v2, v2, v3
	v_mul_f32_e32 v3, v123, v203
	s_waitcnt vmcnt(8)
	v_mul_f32_e32 v131, v124, v206
	v_fma_f32 v3, v122, v202, -v3
	v_fmac_f32_e32 v131, v125, v205
	v_add_f32_e32 v2, v2, v3
	v_mul_f32_e32 v3, v125, v206
	v_add_f32_e32 v215, v130, v131
	ds_read_b128 v[130:133], v1 offset:976
	v_fma_f32 v3, v124, v205, -v3
	v_add_f32_e32 v2, v2, v3
	s_waitcnt vmcnt(6) lgkmcnt(1)
	v_mul_f32_e32 v3, v127, v208
	v_mul_f32_e32 v1, v126, v208
	v_fma_f32 v3, v126, v207, -v3
	v_fmac_f32_e32 v1, v127, v207
	v_add_f32_e32 v2, v2, v3
	s_waitcnt vmcnt(5)
	v_mul_f32_e32 v3, v129, v209
	v_add_f32_e32 v1, v215, v1
	v_mul_f32_e32 v215, v128, v209
	s_waitcnt vmcnt(2)
	v_fma_f32 v3, v128, v212, -v3
	v_fmac_f32_e32 v215, v129, v212
	v_add_f32_e32 v2, v2, v3
	s_waitcnt lgkmcnt(0)
	v_mul_f32_e32 v3, v131, v211
	v_add_f32_e32 v1, v1, v215
	v_mul_f32_e32 v215, v130, v211
	v_fma_f32 v3, v130, v210, -v3
	v_fmac_f32_e32 v215, v131, v210
	v_add_f32_e32 v2, v2, v3
	s_waitcnt vmcnt(0)
	v_mul_f32_e32 v3, v133, v214
	v_add_f32_e32 v1, v1, v215
	v_mul_f32_e32 v215, v132, v214
	v_fma_f32 v3, v132, v213, -v3
	v_fmac_f32_e32 v215, v133, v213
	v_add_f32_e32 v2, v2, v3
	v_add_f32_e32 v1, v1, v215
	v_sub_f32_e32 v2, v8, v2
	v_sub_f32_e32 v1, v9, v1
	buffer_store_dword v2, off, s[0:3], 0 offset:72
	buffer_store_dword v1, off, s[0:3], 0 offset:76
	s_and_saveexec_b64 s[4:5], vcc
	s_cbranch_execz .LBB61_369
; %bb.368:
	buffer_load_dword v1, off, s[0:3], 0 offset:64
	buffer_load_dword v2, off, s[0:3], 0 offset:68
	v_mov_b32_e32 v3, 0
	buffer_store_dword v3, off, s[0:3], 0 offset:64
	buffer_store_dword v3, off, s[0:3], 0 offset:68
	s_waitcnt vmcnt(2)
	ds_write_b64 v25, v[1:2]
.LBB61_369:
	s_or_b64 exec, exec, s[4:5]
	s_waitcnt lgkmcnt(0)
	; wave barrier
	buffer_load_dword v10, off, s[0:3], 0 offset:76
	buffer_load_dword v9, off, s[0:3], 0 offset:84
	buffer_load_dword v8, off, s[0:3], 0 offset:92
	buffer_load_dword v7, off, s[0:3], 0 offset:100
	buffer_load_dword v6, off, s[0:3], 0 offset:108
	buffer_load_dword v5, off, s[0:3], 0 offset:116
	buffer_load_dword v4, off, s[0:3], 0 offset:124
	buffer_load_dword v11, off, s[0:3], 0 offset:132
	buffer_load_dword v12, off, s[0:3], 0 offset:140
	buffer_load_dword v13, off, s[0:3], 0 offset:148
	buffer_load_dword v14, off, s[0:3], 0 offset:156
	buffer_load_dword v21, off, s[0:3], 0 offset:88
	buffer_load_dword v24, off, s[0:3], 0 offset:80
	buffer_load_dword v27, off, s[0:3], 0 offset:72
	buffer_load_dword v17, off, s[0:3], 0 offset:120
	buffer_load_dword v20, off, s[0:3], 0 offset:112
	buffer_load_dword v23, off, s[0:3], 0 offset:104
	buffer_load_dword v26, off, s[0:3], 0 offset:96
	buffer_load_dword v15, off, s[0:3], 0 offset:152
	buffer_load_dword v16, off, s[0:3], 0 offset:144
	buffer_load_dword v19, off, s[0:3], 0 offset:136
	buffer_load_dword v22, off, s[0:3], 0 offset:128
	buffer_load_dword v18, off, s[0:3], 0 offset:164
	buffer_load_dword v28, off, s[0:3], 0 offset:184
	buffer_load_dword v29, off, s[0:3], 0 offset:176
	buffer_load_dword v31, off, s[0:3], 0 offset:168
	buffer_load_dword v34, off, s[0:3], 0 offset:160
	buffer_load_dword v33, off, s[0:3], 0 offset:172
	buffer_load_dword v32, off, s[0:3], 0 offset:180
	buffer_load_dword v30, off, s[0:3], 0 offset:188
	buffer_load_dword v35, off, s[0:3], 0 offset:196
	buffer_load_dword v36, off, s[0:3], 0 offset:200
	buffer_load_dword v37, off, s[0:3], 0 offset:204
	buffer_load_dword v38, off, s[0:3], 0 offset:208
	buffer_load_dword v119, off, s[0:3], 0 offset:212
	buffer_load_dword v148, off, s[0:3], 0 offset:216
	buffer_load_dword v149, off, s[0:3], 0 offset:220
	buffer_load_dword v150, off, s[0:3], 0 offset:192
	buffer_load_dword v2, off, s[0:3], 0 offset:64
	buffer_load_dword v3, off, s[0:3], 0 offset:68
	buffer_load_dword v151, off, s[0:3], 0 offset:224
	buffer_load_dword v152, off, s[0:3], 0 offset:228
	buffer_load_dword v153, off, s[0:3], 0 offset:232
	buffer_load_dword v154, off, s[0:3], 0 offset:236
	buffer_load_dword v155, off, s[0:3], 0 offset:240
	buffer_load_dword v156, off, s[0:3], 0 offset:244
	buffer_load_dword v157, off, s[0:3], 0 offset:248
	buffer_load_dword v158, off, s[0:3], 0 offset:252
	buffer_load_dword v159, off, s[0:3], 0 offset:256
	buffer_load_dword v160, off, s[0:3], 0 offset:260
	buffer_load_dword v161, off, s[0:3], 0 offset:268
	v_mov_b32_e32 v1, 0
	ds_read2_b64 v[39:42], v1 offset0:71 offset1:72
	ds_read2_b64 v[43:46], v1 offset0:73 offset1:74
	;; [unrolled: 1-line block ×6, first 2 shown]
	v_cmp_lt_u32_e32 vcc, 7, v0
	s_waitcnt vmcnt(50) lgkmcnt(5)
	v_mul_f32_e32 v63, v39, v10
	s_waitcnt vmcnt(49)
	v_mul_f32_e32 v64, v41, v9
	s_waitcnt vmcnt(48) lgkmcnt(4)
	v_mul_f32_e32 v65, v43, v8
	s_waitcnt vmcnt(47)
	v_mul_f32_e32 v66, v45, v7
	;; [unrolled: 4-line block ×5, first 2 shown]
	s_waitcnt vmcnt(40) lgkmcnt(0)
	v_mul_f32_e32 v73, v59, v14
	s_waitcnt vmcnt(39)
	v_fmac_f32_e32 v65, v44, v21
	s_waitcnt vmcnt(38)
	v_fmac_f32_e32 v64, v42, v24
	s_waitcnt vmcnt(37)
	v_fmac_f32_e32 v63, v40, v27
	v_add_f32_e32 v63, 0, v63
	v_add_f32_e32 v63, v63, v64
	;; [unrolled: 1-line block ×3, first 2 shown]
	s_waitcnt vmcnt(33)
	v_fmac_f32_e32 v66, v46, v26
	v_fmac_f32_e32 v67, v48, v23
	v_add_f32_e32 v63, v63, v66
	v_fmac_f32_e32 v68, v50, v20
	v_add_f32_e32 v63, v63, v67
	;; [unrolled: 2-line block ×3, first 2 shown]
	s_waitcnt vmcnt(29)
	v_fmac_f32_e32 v70, v54, v22
	v_add_f32_e32 v63, v63, v69
	v_fmac_f32_e32 v71, v56, v19
	v_add_f32_e32 v63, v63, v70
	;; [unrolled: 2-line block ×4, first 2 shown]
	s_waitcnt vmcnt(28)
	v_mul_f32_e32 v64, v61, v18
	v_add_f32_e32 v63, v63, v73
	s_waitcnt vmcnt(24)
	v_fmac_f32_e32 v64, v62, v34
	v_add_f32_e32 v71, v63, v64
	ds_read2_b64 v[63:66], v1 offset0:83 offset1:84
	ds_read2_b64 v[67:70], v1 offset0:85 offset1:86
	buffer_load_dword v162, off, s[0:3], 0 offset:264
	buffer_load_dword v163, off, s[0:3], 0 offset:272
	buffer_load_dword v164, off, s[0:3], 0 offset:276
	buffer_load_dword v165, off, s[0:3], 0 offset:280
	buffer_load_dword v166, off, s[0:3], 0 offset:284
	v_mul_f32_e32 v10, v40, v10
	s_waitcnt vmcnt(28) lgkmcnt(1)
	v_mul_f32_e32 v72, v63, v33
	v_fmac_f32_e32 v72, v64, v31
	v_add_f32_e32 v71, v71, v72
	s_waitcnt vmcnt(27)
	v_mul_f32_e32 v72, v65, v32
	v_fmac_f32_e32 v72, v66, v29
	v_add_f32_e32 v71, v71, v72
	s_waitcnt vmcnt(26) lgkmcnt(0)
	v_mul_f32_e32 v72, v67, v30
	v_fmac_f32_e32 v72, v68, v28
	v_add_f32_e32 v75, v71, v72
	ds_read2_b64 v[71:74], v1 offset0:87 offset1:88
	buffer_load_dword v167, off, s[0:3], 0 offset:288
	buffer_load_dword v168, off, s[0:3], 0 offset:292
	s_waitcnt vmcnt(27)
	v_mul_f32_e32 v76, v69, v35
	s_waitcnt vmcnt(20)
	v_fmac_f32_e32 v76, v70, v150
	v_add_f32_e32 v79, v75, v76
	ds_read2_b64 v[75:78], v1 offset0:89 offset1:90
	s_waitcnt lgkmcnt(1)
	v_mul_f32_e32 v80, v71, v37
	v_fmac_f32_e32 v80, v72, v36
	v_add_f32_e32 v79, v79, v80
	v_mul_f32_e32 v80, v73, v119
	buffer_load_dword v169, off, s[0:3], 0 offset:296
	buffer_load_dword v170, off, s[0:3], 0 offset:300
	v_fmac_f32_e32 v80, v74, v38
	v_add_f32_e32 v79, v79, v80
	s_waitcnt lgkmcnt(0)
	v_mul_f32_e32 v80, v75, v149
	v_fmac_f32_e32 v80, v76, v148
	v_add_f32_e32 v83, v79, v80
	ds_read2_b64 v[79:82], v1 offset0:91 offset1:92
	buffer_load_dword v171, off, s[0:3], 0 offset:308
	buffer_load_dword v172, off, s[0:3], 0 offset:312
	;; [unrolled: 1-line block ×4, first 2 shown]
	s_waitcnt vmcnt(22)
	v_mul_f32_e32 v84, v77, v152
	v_fmac_f32_e32 v84, v78, v151
	v_add_f32_e32 v87, v83, v84
	ds_read2_b64 v[83:86], v1 offset0:93 offset1:94
	buffer_load_dword v175, off, s[0:3], 0 offset:320
	buffer_load_dword v176, off, s[0:3], 0 offset:324
	;; [unrolled: 1-line block ×10, first 2 shown]
	s_waitcnt vmcnt(30) lgkmcnt(1)
	v_mul_f32_e32 v88, v79, v154
	v_fmac_f32_e32 v88, v80, v153
	buffer_load_dword v185, off, s[0:3], 0 offset:360
	buffer_load_dword v186, off, s[0:3], 0 offset:364
	;; [unrolled: 1-line block ×6, first 2 shown]
	v_add_f32_e32 v87, v87, v88
	s_waitcnt vmcnt(34)
	v_mul_f32_e32 v88, v81, v156
	v_fmac_f32_e32 v88, v82, v155
	v_add_f32_e32 v87, v87, v88
	s_waitcnt vmcnt(32) lgkmcnt(0)
	v_mul_f32_e32 v88, v83, v158
	v_fmac_f32_e32 v88, v84, v157
	v_add_f32_e32 v91, v87, v88
	ds_read2_b64 v[87:90], v1 offset0:95 offset1:96
	buffer_load_dword v191, off, s[0:3], 0 offset:384
	buffer_load_dword v192, off, s[0:3], 0 offset:388
	s_waitcnt vmcnt(32)
	v_mul_f32_e32 v92, v85, v160
	v_fmac_f32_e32 v92, v86, v159
	v_add_f32_e32 v95, v91, v92
	ds_read2_b64 v[91:94], v1 offset0:97 offset1:98
	buffer_load_dword v193, off, s[0:3], 0 offset:392
	buffer_load_dword v194, off, s[0:3], 0 offset:396
	;; [unrolled: 1-line block ×14, first 2 shown]
	v_fma_f32 v10, v39, v27, -v10
	v_mul_f32_e32 v9, v42, v9
	v_add_f32_e32 v10, 0, v10
	v_fma_f32 v9, v41, v24, -v9
	v_mul_f32_e32 v8, v44, v8
	v_add_f32_e32 v9, v10, v9
	v_fma_f32 v8, v43, v21, -v8
	v_mul_f32_e32 v7, v46, v7
	v_add_f32_e32 v8, v9, v8
	v_fma_f32 v7, v45, v26, -v7
	v_mul_f32_e32 v6, v48, v6
	v_add_f32_e32 v7, v8, v7
	v_fma_f32 v6, v47, v23, -v6
	v_mul_f32_e32 v5, v50, v5
	s_waitcnt vmcnt(45) lgkmcnt(1)
	v_mul_f32_e32 v96, v87, v161
	v_add_f32_e32 v6, v7, v6
	v_fma_f32 v5, v49, v20, -v5
	v_mul_f32_e32 v4, v52, v4
	buffer_load_dword v207, off, s[0:3], 0 offset:448
	buffer_load_dword v208, off, s[0:3], 0 offset:452
	v_add_f32_e32 v5, v6, v5
	v_fma_f32 v4, v51, v17, -v4
	v_add_f32_e32 v4, v5, v4
	s_waitcnt vmcnt(46)
	v_fmac_f32_e32 v96, v88, v162
	v_add_f32_e32 v95, v95, v96
	s_waitcnt vmcnt(44)
	v_mul_f32_e32 v96, v89, v164
	v_mul_f32_e32 v5, v54, v11
	v_fmac_f32_e32 v96, v90, v163
	v_fma_f32 v5, v53, v22, -v5
	v_add_f32_e32 v95, v95, v96
	s_waitcnt vmcnt(42) lgkmcnt(0)
	v_mul_f32_e32 v96, v91, v166
	v_add_f32_e32 v4, v4, v5
	v_mul_f32_e32 v5, v56, v12
	v_fmac_f32_e32 v96, v92, v165
	v_fma_f32 v5, v55, v19, -v5
	v_add_f32_e32 v99, v95, v96
	ds_read2_b64 v[95:98], v1 offset0:99 offset1:100
	buffer_load_dword v209, off, s[0:3], 0 offset:456
	buffer_load_dword v210, off, s[0:3], 0 offset:460
	;; [unrolled: 1-line block ×6, first 2 shown]
	v_add_f32_e32 v4, v4, v5
	v_mul_f32_e32 v5, v58, v13
	v_fma_f32 v5, v57, v16, -v5
	v_add_f32_e32 v4, v4, v5
	v_mul_f32_e32 v5, v60, v14
	s_waitcnt vmcnt(46)
	v_mul_f32_e32 v100, v93, v168
	v_fma_f32 v5, v59, v15, -v5
	v_fmac_f32_e32 v100, v94, v167
	v_add_f32_e32 v4, v4, v5
	v_mul_f32_e32 v5, v62, v18
	v_add_f32_e32 v103, v99, v100
	ds_read2_b64 v[99:102], v1 offset0:101 offset1:102
	buffer_load_dword v215, off, s[0:3], 0 offset:484
	buffer_load_dword v216, off, s[0:3], 0 offset:488
	;; [unrolled: 1-line block ×4, first 2 shown]
	v_fma_f32 v5, v61, v34, -v5
	v_add_f32_e32 v4, v4, v5
	v_mul_f32_e32 v5, v64, v33
	v_fma_f32 v5, v63, v31, -v5
	v_add_f32_e32 v4, v4, v5
	v_mul_f32_e32 v5, v66, v32
	v_fma_f32 v5, v65, v29, -v5
	v_add_f32_e32 v4, v4, v5
	v_mul_f32_e32 v5, v68, v30
	v_fma_f32 v5, v67, v28, -v5
	v_add_f32_e32 v4, v4, v5
	v_mul_f32_e32 v5, v70, v35
	v_fma_f32 v5, v69, v150, -v5
	v_add_f32_e32 v4, v4, v5
	v_mul_f32_e32 v5, v72, v37
	v_fma_f32 v5, v71, v36, -v5
	v_add_f32_e32 v4, v4, v5
	v_mul_f32_e32 v5, v74, v119
	v_fma_f32 v5, v73, v38, -v5
	v_add_f32_e32 v4, v4, v5
	v_mul_f32_e32 v5, v76, v149
	v_fma_f32 v5, v75, v148, -v5
	v_add_f32_e32 v4, v4, v5
	v_mul_f32_e32 v5, v78, v152
	v_fma_f32 v5, v77, v151, -v5
	s_waitcnt vmcnt(48) lgkmcnt(1)
	v_mul_f32_e32 v104, v95, v170
	v_add_f32_e32 v4, v4, v5
	v_mul_f32_e32 v5, v80, v154
	v_fmac_f32_e32 v104, v96, v169
	v_fma_f32 v5, v79, v153, -v5
	v_add_f32_e32 v103, v103, v104
	s_waitcnt vmcnt(47)
	v_mul_f32_e32 v104, v97, v171
	v_add_f32_e32 v4, v4, v5
	v_mul_f32_e32 v5, v82, v156
	s_waitcnt vmcnt(44)
	v_fmac_f32_e32 v104, v98, v174
	v_fma_f32 v5, v81, v155, -v5
	v_add_f32_e32 v103, v103, v104
	s_waitcnt lgkmcnt(0)
	v_mul_f32_e32 v104, v99, v173
	v_add_f32_e32 v4, v4, v5
	v_mul_f32_e32 v5, v84, v158
	v_fmac_f32_e32 v104, v100, v172
	v_fma_f32 v5, v83, v157, -v5
	v_add_f32_e32 v107, v103, v104
	ds_read2_b64 v[103:106], v1 offset0:103 offset1:104
	v_add_f32_e32 v4, v4, v5
	v_mul_f32_e32 v5, v86, v160
	v_fma_f32 v5, v85, v159, -v5
	s_waitcnt vmcnt(42)
	v_mul_f32_e32 v108, v101, v176
	v_add_f32_e32 v4, v4, v5
	v_mul_f32_e32 v5, v88, v161
	v_fmac_f32_e32 v108, v102, v175
	v_fma_f32 v5, v87, v162, -v5
	v_add_f32_e32 v111, v107, v108
	ds_read2_b64 v[107:110], v1 offset0:105 offset1:106
	v_add_f32_e32 v4, v4, v5
	v_mul_f32_e32 v5, v90, v164
	s_waitcnt vmcnt(40) lgkmcnt(1)
	v_mul_f32_e32 v112, v103, v178
	v_fma_f32 v5, v89, v163, -v5
	v_fmac_f32_e32 v112, v104, v177
	v_add_f32_e32 v4, v4, v5
	v_mul_f32_e32 v5, v92, v166
	v_add_f32_e32 v111, v111, v112
	s_waitcnt vmcnt(39)
	v_mul_f32_e32 v112, v105, v179
	v_fma_f32 v5, v91, v165, -v5
	s_waitcnt vmcnt(36)
	v_fmac_f32_e32 v112, v106, v182
	v_add_f32_e32 v4, v4, v5
	v_mul_f32_e32 v5, v94, v168
	v_add_f32_e32 v111, v111, v112
	s_waitcnt lgkmcnt(0)
	v_mul_f32_e32 v112, v107, v181
	v_fma_f32 v5, v93, v167, -v5
	v_fmac_f32_e32 v112, v108, v180
	v_add_f32_e32 v4, v4, v5
	v_mul_f32_e32 v5, v96, v170
	v_add_f32_e32 v115, v111, v112
	ds_read2_b64 v[111:114], v1 offset0:107 offset1:108
	v_fma_f32 v5, v95, v169, -v5
	v_add_f32_e32 v4, v4, v5
	v_mul_f32_e32 v5, v98, v171
	s_waitcnt vmcnt(34)
	v_mul_f32_e32 v116, v109, v184
	v_fma_f32 v5, v97, v174, -v5
	v_fmac_f32_e32 v116, v110, v183
	v_add_f32_e32 v4, v4, v5
	v_mul_f32_e32 v5, v100, v173
	v_add_f32_e32 v122, v115, v116
	ds_read2_b64 v[115:118], v1 offset0:109 offset1:110
	v_fma_f32 v5, v99, v172, -v5
	s_waitcnt vmcnt(32) lgkmcnt(1)
	v_mul_f32_e32 v123, v111, v186
	v_add_f32_e32 v4, v4, v5
	v_mul_f32_e32 v5, v102, v176
	v_fmac_f32_e32 v123, v112, v185
	v_fma_f32 v5, v101, v175, -v5
	v_add_f32_e32 v122, v122, v123
	s_waitcnt vmcnt(31)
	v_mul_f32_e32 v123, v113, v187
	v_add_f32_e32 v4, v4, v5
	v_mul_f32_e32 v5, v104, v178
	s_waitcnt vmcnt(28)
	v_fmac_f32_e32 v123, v114, v190
	v_fma_f32 v5, v103, v177, -v5
	v_add_f32_e32 v122, v122, v123
	s_waitcnt lgkmcnt(0)
	v_mul_f32_e32 v123, v115, v189
	v_add_f32_e32 v4, v4, v5
	v_mul_f32_e32 v5, v106, v179
	v_fmac_f32_e32 v123, v116, v188
	v_fma_f32 v5, v105, v182, -v5
	v_add_f32_e32 v126, v122, v123
	ds_read2_b64 v[122:125], v1 offset0:111 offset1:112
	v_add_f32_e32 v4, v4, v5
	v_mul_f32_e32 v5, v108, v181
	v_fma_f32 v5, v107, v180, -v5
	s_waitcnt vmcnt(26)
	v_mul_f32_e32 v127, v117, v192
	v_add_f32_e32 v4, v4, v5
	v_mul_f32_e32 v5, v110, v184
	v_fmac_f32_e32 v127, v118, v191
	v_fma_f32 v5, v109, v183, -v5
	v_add_f32_e32 v130, v126, v127
	ds_read2_b64 v[126:129], v1 offset0:113 offset1:114
	v_add_f32_e32 v4, v4, v5
	v_mul_f32_e32 v5, v112, v186
	s_waitcnt vmcnt(24) lgkmcnt(1)
	v_mul_f32_e32 v131, v122, v194
	v_fma_f32 v5, v111, v185, -v5
	v_fmac_f32_e32 v131, v123, v193
	v_add_f32_e32 v4, v4, v5
	v_mul_f32_e32 v5, v114, v187
	v_add_f32_e32 v130, v130, v131
	s_waitcnt vmcnt(23)
	v_mul_f32_e32 v131, v124, v195
	v_fma_f32 v5, v113, v190, -v5
	s_waitcnt vmcnt(20)
	v_fmac_f32_e32 v131, v125, v198
	v_add_f32_e32 v4, v4, v5
	v_mul_f32_e32 v5, v116, v189
	v_add_f32_e32 v130, v130, v131
	s_waitcnt lgkmcnt(0)
	v_mul_f32_e32 v131, v126, v197
	v_fma_f32 v5, v115, v188, -v5
	v_fmac_f32_e32 v131, v127, v196
	v_add_f32_e32 v4, v4, v5
	v_mul_f32_e32 v5, v118, v192
	v_add_f32_e32 v134, v130, v131
	ds_read2_b64 v[130:133], v1 offset0:115 offset1:116
	v_fma_f32 v5, v117, v191, -v5
	v_add_f32_e32 v4, v4, v5
	v_mul_f32_e32 v5, v123, v194
	s_waitcnt vmcnt(18)
	v_mul_f32_e32 v135, v128, v200
	v_fma_f32 v5, v122, v193, -v5
	v_fmac_f32_e32 v135, v129, v199
	v_add_f32_e32 v4, v4, v5
	v_mul_f32_e32 v5, v125, v195
	v_add_f32_e32 v138, v134, v135
	ds_read2_b64 v[134:137], v1 offset0:117 offset1:118
	v_fma_f32 v5, v124, v198, -v5
	s_waitcnt vmcnt(16) lgkmcnt(1)
	v_mul_f32_e32 v139, v130, v202
	v_add_f32_e32 v4, v4, v5
	v_mul_f32_e32 v5, v127, v197
	v_fmac_f32_e32 v139, v131, v201
	v_fma_f32 v5, v126, v196, -v5
	v_add_f32_e32 v138, v138, v139
	s_waitcnt vmcnt(15)
	v_mul_f32_e32 v139, v132, v203
	v_add_f32_e32 v4, v4, v5
	v_mul_f32_e32 v5, v129, v200
	s_waitcnt vmcnt(12)
	v_fmac_f32_e32 v139, v133, v206
	v_fma_f32 v5, v128, v199, -v5
	v_add_f32_e32 v138, v138, v139
	s_waitcnt lgkmcnt(0)
	v_mul_f32_e32 v139, v134, v205
	v_add_f32_e32 v4, v4, v5
	v_mul_f32_e32 v5, v131, v202
	v_fmac_f32_e32 v139, v135, v204
	v_fma_f32 v5, v130, v201, -v5
	v_add_f32_e32 v142, v138, v139
	ds_read2_b64 v[138:141], v1 offset0:119 offset1:120
	v_add_f32_e32 v4, v4, v5
	v_mul_f32_e32 v5, v133, v203
	v_fma_f32 v5, v132, v206, -v5
	v_add_f32_e32 v4, v4, v5
	v_mul_f32_e32 v5, v135, v205
	s_waitcnt vmcnt(10)
	v_mul_f32_e32 v143, v136, v208
	v_fma_f32 v5, v134, v204, -v5
	v_fmac_f32_e32 v143, v137, v207
	v_add_f32_e32 v4, v4, v5
	v_mul_f32_e32 v5, v137, v208
	v_add_f32_e32 v146, v142, v143
	ds_read2_b64 v[142:145], v1 offset0:121 offset1:122
	s_waitcnt vmcnt(8) lgkmcnt(1)
	v_mul_f32_e32 v147, v138, v210
	v_fma_f32 v5, v136, v207, -v5
	v_fmac_f32_e32 v147, v139, v209
	v_add_f32_e32 v4, v4, v5
	v_mul_f32_e32 v5, v139, v210
	v_add_f32_e32 v146, v146, v147
	s_waitcnt vmcnt(7)
	v_mul_f32_e32 v147, v140, v211
	v_fma_f32 v5, v138, v209, -v5
	s_waitcnt vmcnt(4)
	v_fmac_f32_e32 v147, v141, v214
	v_add_f32_e32 v4, v4, v5
	v_mul_f32_e32 v5, v141, v211
	v_add_f32_e32 v219, v146, v147
	ds_read_b64 v[146:147], v1 offset:984
	v_fma_f32 v5, v140, v214, -v5
	v_add_f32_e32 v4, v4, v5
	s_waitcnt lgkmcnt(1)
	v_mul_f32_e32 v5, v143, v213
	v_mul_f32_e32 v220, v142, v213
	v_fma_f32 v5, v142, v212, -v5
	v_fmac_f32_e32 v220, v143, v212
	v_add_f32_e32 v4, v4, v5
	s_waitcnt vmcnt(3)
	v_mul_f32_e32 v5, v145, v215
	v_add_f32_e32 v219, v219, v220
	v_mul_f32_e32 v220, v144, v215
	s_waitcnt vmcnt(0)
	v_fma_f32 v5, v144, v218, -v5
	v_fmac_f32_e32 v220, v145, v218
	v_add_f32_e32 v4, v4, v5
	s_waitcnt lgkmcnt(0)
	v_mul_f32_e32 v5, v147, v217
	v_add_f32_e32 v219, v219, v220
	v_mul_f32_e32 v220, v146, v217
	v_fma_f32 v5, v146, v216, -v5
	v_fmac_f32_e32 v220, v147, v216
	v_add_f32_e32 v4, v4, v5
	v_add_f32_e32 v219, v219, v220
	v_sub_f32_e32 v2, v2, v4
	v_sub_f32_e32 v3, v3, v219
	buffer_store_dword v2, off, s[0:3], 0 offset:64
	buffer_store_dword v3, off, s[0:3], 0 offset:68
	s_and_saveexec_b64 s[4:5], vcc
	s_cbranch_execz .LBB61_371
; %bb.370:
	buffer_load_dword v2, off, s[0:3], 0 offset:56
	buffer_load_dword v3, off, s[0:3], 0 offset:60
	s_waitcnt vmcnt(0)
	ds_write_b64 v25, v[2:3]
	buffer_store_dword v1, off, s[0:3], 0 offset:56
	buffer_store_dword v1, off, s[0:3], 0 offset:60
.LBB61_371:
	s_or_b64 exec, exec, s[4:5]
	s_waitcnt lgkmcnt(0)
	; wave barrier
	buffer_load_dword v10, off, s[0:3], 0 offset:68
	buffer_load_dword v9, off, s[0:3], 0 offset:76
	;; [unrolled: 1-line block ×40, first 2 shown]
	ds_read_b128 v[36:39], v1 offset:560
	ds_read_b128 v[40:43], v1 offset:576
	;; [unrolled: 1-line block ×6, first 2 shown]
	buffer_load_dword v153, off, s[0:3], 0 offset:216
	buffer_load_dword v154, off, s[0:3], 0 offset:220
	;; [unrolled: 1-line block ×12, first 2 shown]
	v_cmp_lt_u32_e32 vcc, 6, v0
	s_waitcnt vmcnt(51) lgkmcnt(5)
	v_mul_f32_e32 v60, v36, v10
	s_waitcnt vmcnt(50)
	v_mul_f32_e32 v61, v38, v9
	s_waitcnt vmcnt(49) lgkmcnt(4)
	v_mul_f32_e32 v62, v40, v8
	s_waitcnt vmcnt(48)
	v_mul_f32_e32 v63, v42, v7
	;; [unrolled: 4-line block ×5, first 2 shown]
	s_waitcnt vmcnt(41) lgkmcnt(0)
	v_mul_f32_e32 v70, v56, v14
	s_waitcnt vmcnt(40)
	v_fmac_f32_e32 v62, v41, v21
	s_waitcnt vmcnt(39)
	v_fmac_f32_e32 v61, v39, v24
	;; [unrolled: 2-line block ×3, first 2 shown]
	v_add_f32_e32 v60, 0, v60
	v_add_f32_e32 v60, v60, v61
	;; [unrolled: 1-line block ×3, first 2 shown]
	s_waitcnt vmcnt(34)
	v_fmac_f32_e32 v63, v43, v26
	v_fmac_f32_e32 v64, v45, v23
	v_add_f32_e32 v60, v60, v63
	v_fmac_f32_e32 v65, v47, v20
	v_add_f32_e32 v60, v60, v64
	;; [unrolled: 2-line block ×3, first 2 shown]
	s_waitcnt vmcnt(30)
	v_fmac_f32_e32 v67, v51, v22
	v_add_f32_e32 v60, v60, v66
	v_fmac_f32_e32 v68, v53, v19
	v_add_f32_e32 v60, v60, v67
	;; [unrolled: 2-line block ×4, first 2 shown]
	s_waitcnt vmcnt(29)
	v_mul_f32_e32 v65, v58, v18
	v_add_f32_e32 v64, v60, v70
	s_waitcnt vmcnt(25)
	v_fmac_f32_e32 v65, v59, v34
	ds_read_b128 v[60:63], v1 offset:656
	v_add_f32_e32 v68, v64, v65
	ds_read_b128 v[64:67], v1 offset:672
	buffer_load_dword v165, off, s[0:3], 0 offset:268
	buffer_load_dword v166, off, s[0:3], 0 offset:264
	;; [unrolled: 1-line block ×6, first 2 shown]
	s_waitcnt vmcnt(30) lgkmcnt(1)
	v_mul_f32_e32 v69, v60, v33
	v_fmac_f32_e32 v69, v61, v31
	v_add_f32_e32 v68, v68, v69
	s_waitcnt vmcnt(29)
	v_mul_f32_e32 v69, v62, v32
	v_fmac_f32_e32 v69, v63, v29
	v_add_f32_e32 v68, v68, v69
	s_waitcnt vmcnt(28) lgkmcnt(0)
	v_mul_f32_e32 v69, v64, v30
	v_fmac_f32_e32 v69, v65, v28
	v_add_f32_e32 v72, v68, v69
	ds_read_b128 v[68:71], v1 offset:688
	s_waitcnt vmcnt(27)
	v_mul_f32_e32 v73, v66, v35
	s_waitcnt vmcnt(21)
	v_fmac_f32_e32 v73, v67, v151
	v_add_f32_e32 v76, v72, v73
	ds_read_b128 v[72:75], v1 offset:704
	s_waitcnt vmcnt(20) lgkmcnt(1)
	v_mul_f32_e32 v77, v68, v152
	v_fmac_f32_e32 v77, v69, v150
	buffer_load_dword v171, off, s[0:3], 0 offset:292
	v_add_f32_e32 v76, v76, v77
	v_mul_f32_e32 v77, v70, v147
	v_fmac_f32_e32 v77, v71, v146
	v_add_f32_e32 v76, v76, v77
	s_waitcnt lgkmcnt(0)
	v_mul_f32_e32 v77, v72, v149
	buffer_load_dword v172, off, s[0:3], 0 offset:288
	buffer_load_dword v173, off, s[0:3], 0 offset:296
	;; [unrolled: 1-line block ×3, first 2 shown]
	v_fmac_f32_e32 v77, v73, v148
	v_add_f32_e32 v80, v76, v77
	ds_read_b128 v[76:79], v1 offset:720
	buffer_load_dword v175, off, s[0:3], 0 offset:304
	buffer_load_dword v176, off, s[0:3], 0 offset:308
	s_waitcnt vmcnt(22)
	v_mul_f32_e32 v81, v74, v154
	v_fmac_f32_e32 v81, v75, v153
	v_add_f32_e32 v84, v80, v81
	ds_read_b128 v[80:83], v1 offset:736
	buffer_load_dword v177, off, s[0:3], 0 offset:312
	buffer_load_dword v178, off, s[0:3], 0 offset:316
	;; [unrolled: 1-line block ×8, first 2 shown]
	s_waitcnt vmcnt(28) lgkmcnt(1)
	v_mul_f32_e32 v85, v76, v156
	buffer_load_dword v185, off, s[0:3], 0 offset:344
	buffer_load_dword v186, off, s[0:3], 0 offset:348
	v_fmac_f32_e32 v85, v77, v155
	v_add_f32_e32 v84, v84, v85
	s_waitcnt vmcnt(28)
	v_mul_f32_e32 v85, v78, v158
	v_fmac_f32_e32 v85, v79, v157
	v_add_f32_e32 v84, v84, v85
	s_waitcnt vmcnt(26) lgkmcnt(0)
	v_mul_f32_e32 v85, v80, v160
	v_fmac_f32_e32 v85, v81, v159
	v_add_f32_e32 v88, v84, v85
	ds_read_b128 v[84:87], v1 offset:752
	buffer_load_dword v187, off, s[0:3], 0 offset:352
	buffer_load_dword v188, off, s[0:3], 0 offset:356
	;; [unrolled: 1-line block ×6, first 2 shown]
	s_waitcnt vmcnt(30)
	v_mul_f32_e32 v89, v82, v162
	v_fmac_f32_e32 v89, v83, v161
	v_add_f32_e32 v92, v88, v89
	ds_read_b128 v[88:91], v1 offset:768
	buffer_load_dword v193, off, s[0:3], 0 offset:376
	buffer_load_dword v194, off, s[0:3], 0 offset:380
	;; [unrolled: 1-line block ×10, first 2 shown]
	v_mul_f32_e32 v10, v37, v10
	s_waitcnt vmcnt(38) lgkmcnt(1)
	v_mul_f32_e32 v93, v84, v164
	buffer_load_dword v203, off, s[0:3], 0 offset:416
	buffer_load_dword v204, off, s[0:3], 0 offset:420
	;; [unrolled: 1-line block ×6, first 2 shown]
	v_fma_f32 v10, v36, v27, -v10
	v_mul_f32_e32 v9, v39, v9
	v_fmac_f32_e32 v93, v85, v163
	v_add_f32_e32 v10, 0, v10
	v_fma_f32 v9, v38, v24, -v9
	v_mul_f32_e32 v8, v41, v8
	v_add_f32_e32 v92, v92, v93
	v_add_f32_e32 v9, v10, v9
	v_fma_f32 v8, v40, v21, -v8
	v_mul_f32_e32 v7, v43, v7
	v_add_f32_e32 v8, v9, v8
	v_fma_f32 v7, v42, v26, -v7
	v_mul_f32_e32 v6, v45, v6
	;; [unrolled: 3-line block ×4, first 2 shown]
	v_add_f32_e32 v3, v6, v3
	s_waitcnt vmcnt(43)
	v_mul_f32_e32 v93, v86, v165
	s_waitcnt vmcnt(42)
	v_fmac_f32_e32 v93, v87, v166
	v_add_f32_e32 v92, v92, v93
	s_waitcnt vmcnt(40) lgkmcnt(0)
	v_mul_f32_e32 v93, v88, v168
	v_fmac_f32_e32 v93, v89, v167
	v_add_f32_e32 v96, v92, v93
	ds_read_b128 v[92:95], v1 offset:784
	buffer_load_dword v209, off, s[0:3], 0 offset:440
	buffer_load_dword v210, off, s[0:3], 0 offset:444
	v_fma_f32 v2, v48, v17, -v2
	v_add_f32_e32 v2, v3, v2
	v_mul_f32_e32 v3, v51, v11
	v_fma_f32 v3, v50, v22, -v3
	s_waitcnt vmcnt(40)
	v_mul_f32_e32 v97, v90, v170
	v_add_f32_e32 v2, v2, v3
	v_mul_f32_e32 v3, v53, v12
	v_fmac_f32_e32 v97, v91, v169
	v_fma_f32 v3, v52, v19, -v3
	v_add_f32_e32 v100, v96, v97
	ds_read_b128 v[96:99], v1 offset:800
	buffer_load_dword v211, off, s[0:3], 0 offset:448
	buffer_load_dword v212, off, s[0:3], 0 offset:452
	;; [unrolled: 1-line block ×6, first 2 shown]
	v_add_f32_e32 v2, v2, v3
	v_mul_f32_e32 v3, v55, v13
	v_fma_f32 v3, v54, v16, -v3
	v_add_f32_e32 v2, v2, v3
	v_mul_f32_e32 v3, v57, v14
	v_fma_f32 v3, v56, v15, -v3
	;; [unrolled: 3-line block ×3, first 2 shown]
	v_add_f32_e32 v2, v2, v3
	v_mul_f32_e32 v3, v61, v33
	buffer_load_dword v217, off, s[0:3], 0 offset:472
	buffer_load_dword v218, off, s[0:3], 0 offset:476
	;; [unrolled: 1-line block ×6, first 2 shown]
	v_fma_f32 v3, v60, v31, -v3
	v_add_f32_e32 v2, v2, v3
	v_mul_f32_e32 v3, v63, v32
	v_fma_f32 v3, v62, v29, -v3
	v_add_f32_e32 v2, v2, v3
	v_mul_f32_e32 v3, v65, v30
	;; [unrolled: 3-line block ×7, first 2 shown]
	v_fma_f32 v3, v74, v153, -v3
	s_waitcnt vmcnt(51) lgkmcnt(1)
	v_mul_f32_e32 v101, v92, v171
	v_add_f32_e32 v2, v2, v3
	v_mul_f32_e32 v3, v77, v156
	s_waitcnt vmcnt(50)
	v_fmac_f32_e32 v101, v93, v172
	v_fma_f32 v3, v76, v155, -v3
	v_add_f32_e32 v100, v100, v101
	s_waitcnt vmcnt(48)
	v_mul_f32_e32 v101, v94, v174
	v_add_f32_e32 v2, v2, v3
	v_mul_f32_e32 v3, v79, v158
	v_fmac_f32_e32 v101, v95, v173
	v_fma_f32 v3, v78, v157, -v3
	v_add_f32_e32 v100, v100, v101
	s_waitcnt vmcnt(46) lgkmcnt(0)
	v_mul_f32_e32 v101, v96, v176
	v_add_f32_e32 v2, v2, v3
	v_mul_f32_e32 v3, v81, v160
	v_fmac_f32_e32 v101, v97, v175
	v_fma_f32 v3, v80, v159, -v3
	v_add_f32_e32 v104, v100, v101
	ds_read_b128 v[100:103], v1 offset:816
	v_add_f32_e32 v2, v2, v3
	v_mul_f32_e32 v3, v83, v162
	v_fma_f32 v3, v82, v161, -v3
	s_waitcnt vmcnt(44)
	v_mul_f32_e32 v105, v98, v178
	v_add_f32_e32 v2, v2, v3
	v_mul_f32_e32 v3, v85, v164
	v_fmac_f32_e32 v105, v99, v177
	v_fma_f32 v3, v84, v163, -v3
	v_add_f32_e32 v108, v104, v105
	ds_read_b128 v[104:107], v1 offset:832
	v_add_f32_e32 v2, v2, v3
	v_mul_f32_e32 v3, v87, v165
	s_waitcnt vmcnt(42) lgkmcnt(1)
	v_mul_f32_e32 v109, v100, v180
	v_fma_f32 v3, v86, v166, -v3
	v_fmac_f32_e32 v109, v101, v179
	v_add_f32_e32 v2, v2, v3
	v_mul_f32_e32 v3, v89, v168
	v_add_f32_e32 v108, v108, v109
	s_waitcnt vmcnt(41)
	v_mul_f32_e32 v109, v102, v181
	v_fma_f32 v3, v88, v167, -v3
	s_waitcnt vmcnt(38)
	v_fmac_f32_e32 v109, v103, v184
	v_add_f32_e32 v2, v2, v3
	v_mul_f32_e32 v3, v91, v170
	v_add_f32_e32 v108, v108, v109
	s_waitcnt lgkmcnt(0)
	v_mul_f32_e32 v109, v104, v183
	v_fma_f32 v3, v90, v169, -v3
	v_fmac_f32_e32 v109, v105, v182
	v_add_f32_e32 v2, v2, v3
	v_mul_f32_e32 v3, v93, v171
	v_add_f32_e32 v112, v108, v109
	ds_read_b128 v[108:111], v1 offset:848
	v_fma_f32 v3, v92, v172, -v3
	v_add_f32_e32 v2, v2, v3
	v_mul_f32_e32 v3, v95, v174
	s_waitcnt vmcnt(36)
	v_mul_f32_e32 v113, v106, v186
	v_fma_f32 v3, v94, v173, -v3
	v_fmac_f32_e32 v113, v107, v185
	v_add_f32_e32 v2, v2, v3
	v_mul_f32_e32 v3, v97, v176
	v_add_f32_e32 v116, v112, v113
	ds_read_b128 v[112:115], v1 offset:864
	v_fma_f32 v3, v96, v175, -v3
	s_waitcnt vmcnt(34) lgkmcnt(1)
	v_mul_f32_e32 v117, v108, v188
	v_add_f32_e32 v2, v2, v3
	v_mul_f32_e32 v3, v99, v178
	v_fmac_f32_e32 v117, v109, v187
	v_fma_f32 v3, v98, v177, -v3
	v_add_f32_e32 v116, v116, v117
	s_waitcnt vmcnt(33)
	v_mul_f32_e32 v117, v110, v189
	v_add_f32_e32 v2, v2, v3
	v_mul_f32_e32 v3, v101, v180
	s_waitcnt vmcnt(30)
	v_fmac_f32_e32 v117, v111, v192
	v_fma_f32 v3, v100, v179, -v3
	v_add_f32_e32 v116, v116, v117
	s_waitcnt lgkmcnt(0)
	v_mul_f32_e32 v117, v112, v191
	v_add_f32_e32 v2, v2, v3
	v_mul_f32_e32 v3, v103, v181
	v_fmac_f32_e32 v117, v113, v190
	v_fma_f32 v3, v102, v184, -v3
	v_add_f32_e32 v122, v116, v117
	ds_read_b128 v[116:119], v1 offset:880
	v_add_f32_e32 v2, v2, v3
	v_mul_f32_e32 v3, v105, v183
	v_fma_f32 v3, v104, v182, -v3
	s_waitcnt vmcnt(28)
	v_mul_f32_e32 v123, v114, v194
	v_add_f32_e32 v2, v2, v3
	v_mul_f32_e32 v3, v107, v186
	v_fmac_f32_e32 v123, v115, v193
	v_fma_f32 v3, v106, v185, -v3
	v_add_f32_e32 v126, v122, v123
	ds_read_b128 v[122:125], v1 offset:896
	v_add_f32_e32 v2, v2, v3
	v_mul_f32_e32 v3, v109, v188
	s_waitcnt vmcnt(26) lgkmcnt(1)
	v_mul_f32_e32 v127, v116, v196
	v_fma_f32 v3, v108, v187, -v3
	v_fmac_f32_e32 v127, v117, v195
	v_add_f32_e32 v2, v2, v3
	v_mul_f32_e32 v3, v111, v189
	v_add_f32_e32 v126, v126, v127
	s_waitcnt vmcnt(25)
	v_mul_f32_e32 v127, v118, v197
	v_fma_f32 v3, v110, v192, -v3
	s_waitcnt vmcnt(22)
	v_fmac_f32_e32 v127, v119, v200
	v_add_f32_e32 v2, v2, v3
	v_mul_f32_e32 v3, v113, v191
	v_add_f32_e32 v126, v126, v127
	s_waitcnt lgkmcnt(0)
	v_mul_f32_e32 v127, v122, v199
	v_fma_f32 v3, v112, v190, -v3
	v_fmac_f32_e32 v127, v123, v198
	v_add_f32_e32 v2, v2, v3
	v_mul_f32_e32 v3, v115, v194
	v_add_f32_e32 v130, v126, v127
	ds_read_b128 v[126:129], v1 offset:912
	v_fma_f32 v3, v114, v193, -v3
	v_add_f32_e32 v2, v2, v3
	v_mul_f32_e32 v3, v117, v196
	s_waitcnt vmcnt(20)
	v_mul_f32_e32 v131, v124, v202
	v_fma_f32 v3, v116, v195, -v3
	v_fmac_f32_e32 v131, v125, v201
	v_add_f32_e32 v2, v2, v3
	v_mul_f32_e32 v3, v119, v197
	v_add_f32_e32 v134, v130, v131
	ds_read_b128 v[130:133], v1 offset:928
	v_fma_f32 v3, v118, v200, -v3
	s_waitcnt vmcnt(18) lgkmcnt(1)
	v_mul_f32_e32 v135, v126, v204
	v_add_f32_e32 v2, v2, v3
	v_mul_f32_e32 v3, v123, v199
	v_fmac_f32_e32 v135, v127, v203
	v_fma_f32 v3, v122, v198, -v3
	v_add_f32_e32 v134, v134, v135
	s_waitcnt vmcnt(17)
	v_mul_f32_e32 v135, v128, v205
	v_add_f32_e32 v2, v2, v3
	v_mul_f32_e32 v3, v125, v202
	s_waitcnt vmcnt(14)
	v_fmac_f32_e32 v135, v129, v208
	v_fma_f32 v3, v124, v201, -v3
	v_add_f32_e32 v134, v134, v135
	s_waitcnt lgkmcnt(0)
	v_mul_f32_e32 v135, v130, v207
	v_add_f32_e32 v2, v2, v3
	v_mul_f32_e32 v3, v127, v204
	v_fmac_f32_e32 v135, v131, v206
	v_fma_f32 v3, v126, v203, -v3
	v_add_f32_e32 v138, v134, v135
	ds_read_b128 v[134:137], v1 offset:944
	v_add_f32_e32 v2, v2, v3
	v_mul_f32_e32 v3, v129, v205
	v_fma_f32 v3, v128, v208, -v3
	v_add_f32_e32 v2, v2, v3
	v_mul_f32_e32 v3, v131, v207
	s_waitcnt vmcnt(12)
	v_mul_f32_e32 v139, v132, v210
	v_fma_f32 v3, v130, v206, -v3
	v_fmac_f32_e32 v139, v133, v209
	v_add_f32_e32 v2, v2, v3
	v_mul_f32_e32 v3, v133, v210
	v_add_f32_e32 v142, v138, v139
	ds_read_b128 v[138:141], v1 offset:960
	s_waitcnt vmcnt(10) lgkmcnt(1)
	v_mul_f32_e32 v143, v134, v212
	v_fma_f32 v3, v132, v209, -v3
	v_fmac_f32_e32 v143, v135, v211
	v_add_f32_e32 v2, v2, v3
	v_mul_f32_e32 v3, v135, v212
	v_add_f32_e32 v142, v142, v143
	s_waitcnt vmcnt(9)
	v_mul_f32_e32 v143, v136, v213
	v_fma_f32 v3, v134, v211, -v3
	s_waitcnt vmcnt(6)
	v_fmac_f32_e32 v143, v137, v216
	v_add_f32_e32 v2, v2, v3
	v_mul_f32_e32 v3, v137, v213
	v_add_f32_e32 v223, v142, v143
	ds_read_b128 v[142:145], v1 offset:976
	v_fma_f32 v3, v136, v216, -v3
	v_add_f32_e32 v2, v2, v3
	s_waitcnt lgkmcnt(1)
	v_mul_f32_e32 v3, v139, v215
	v_mul_f32_e32 v224, v138, v215
	v_fma_f32 v3, v138, v214, -v3
	v_fmac_f32_e32 v224, v139, v214
	v_add_f32_e32 v2, v2, v3
	s_waitcnt vmcnt(4)
	v_mul_f32_e32 v3, v141, v218
	v_add_f32_e32 v1, v223, v224
	v_mul_f32_e32 v223, v140, v218
	v_fma_f32 v3, v140, v217, -v3
	v_fmac_f32_e32 v223, v141, v217
	v_add_f32_e32 v2, v2, v3
	s_waitcnt vmcnt(3) lgkmcnt(0)
	v_mul_f32_e32 v3, v143, v219
	v_add_f32_e32 v1, v1, v223
	v_mul_f32_e32 v223, v142, v219
	s_waitcnt vmcnt(0)
	v_fma_f32 v3, v142, v222, -v3
	v_fmac_f32_e32 v223, v143, v222
	v_add_f32_e32 v2, v2, v3
	v_mul_f32_e32 v3, v145, v221
	v_add_f32_e32 v1, v1, v223
	v_mul_f32_e32 v223, v144, v221
	v_fma_f32 v3, v144, v220, -v3
	v_fmac_f32_e32 v223, v145, v220
	v_add_f32_e32 v2, v2, v3
	v_add_f32_e32 v1, v1, v223
	v_sub_f32_e32 v2, v4, v2
	v_sub_f32_e32 v1, v5, v1
	buffer_store_dword v2, off, s[0:3], 0 offset:56
	buffer_store_dword v1, off, s[0:3], 0 offset:60
	s_and_saveexec_b64 s[4:5], vcc
	s_cbranch_execz .LBB61_373
; %bb.372:
	buffer_load_dword v1, off, s[0:3], 0 offset:48
	buffer_load_dword v2, off, s[0:3], 0 offset:52
	v_mov_b32_e32 v3, 0
	buffer_store_dword v3, off, s[0:3], 0 offset:48
	buffer_store_dword v3, off, s[0:3], 0 offset:52
	s_waitcnt vmcnt(2)
	ds_write_b64 v25, v[1:2]
.LBB61_373:
	s_or_b64 exec, exec, s[4:5]
	s_waitcnt lgkmcnt(0)
	; wave barrier
	buffer_load_dword v10, off, s[0:3], 0 offset:60
	buffer_load_dword v9, off, s[0:3], 0 offset:68
	;; [unrolled: 1-line block ×52, first 2 shown]
	v_mov_b32_e32 v1, 0
	ds_read2_b64 v[42:45], v1 offset0:69 offset1:70
	ds_read2_b64 v[46:49], v1 offset0:71 offset1:72
	;; [unrolled: 1-line block ×6, first 2 shown]
	buffer_load_dword v167, off, s[0:3], 0 offset:256
	buffer_load_dword v168, off, s[0:3], 0 offset:260
	v_cmp_lt_u32_e32 vcc, 5, v0
	s_waitcnt vmcnt(53) lgkmcnt(5)
	v_mul_f32_e32 v66, v42, v10
	s_waitcnt vmcnt(52)
	v_mul_f32_e32 v67, v44, v9
	s_waitcnt vmcnt(51) lgkmcnt(4)
	v_mul_f32_e32 v68, v46, v8
	s_waitcnt vmcnt(50)
	v_mul_f32_e32 v69, v48, v7
	;; [unrolled: 4-line block ×5, first 2 shown]
	s_waitcnt vmcnt(43) lgkmcnt(0)
	v_mul_f32_e32 v76, v62, v14
	s_waitcnt vmcnt(42)
	v_fmac_f32_e32 v68, v47, v21
	s_waitcnt vmcnt(41)
	v_fmac_f32_e32 v67, v45, v24
	;; [unrolled: 2-line block ×3, first 2 shown]
	v_add_f32_e32 v66, 0, v66
	v_add_f32_e32 v66, v66, v67
	;; [unrolled: 1-line block ×3, first 2 shown]
	s_waitcnt vmcnt(36)
	v_fmac_f32_e32 v69, v49, v26
	v_fmac_f32_e32 v70, v51, v23
	v_add_f32_e32 v66, v66, v69
	v_fmac_f32_e32 v71, v53, v20
	v_add_f32_e32 v66, v66, v70
	;; [unrolled: 2-line block ×3, first 2 shown]
	s_waitcnt vmcnt(32)
	v_fmac_f32_e32 v73, v57, v22
	v_add_f32_e32 v66, v66, v72
	v_fmac_f32_e32 v74, v59, v19
	v_add_f32_e32 v66, v66, v73
	;; [unrolled: 2-line block ×3, first 2 shown]
	v_add_f32_e32 v66, v66, v75
	v_fmac_f32_e32 v76, v63, v15
	v_add_f32_e32 v70, v66, v76
	ds_read2_b64 v[66:69], v1 offset0:81 offset1:82
	buffer_load_dword v169, off, s[0:3], 0 offset:264
	buffer_load_dword v170, off, s[0:3], 0 offset:268
	s_waitcnt vmcnt(33)
	v_mul_f32_e32 v71, v64, v18
	s_waitcnt vmcnt(28)
	v_fmac_f32_e32 v71, v65, v35
	v_add_f32_e32 v74, v70, v71
	ds_read2_b64 v[70:73], v1 offset0:83 offset1:84
	buffer_load_dword v171, off, s[0:3], 0 offset:272
	buffer_load_dword v172, off, s[0:3], 0 offset:276
	s_waitcnt vmcnt(29) lgkmcnt(1)
	v_mul_f32_e32 v75, v66, v33
	v_fmac_f32_e32 v75, v67, v31
	v_add_f32_e32 v74, v74, v75
	s_waitcnt vmcnt(28)
	v_mul_f32_e32 v75, v68, v32
	v_fmac_f32_e32 v75, v69, v30
	v_add_f32_e32 v74, v74, v75
	s_waitcnt lgkmcnt(0)
	v_mul_f32_e32 v75, v70, v29
	v_fmac_f32_e32 v75, v71, v28
	v_add_f32_e32 v78, v74, v75
	ds_read2_b64 v[74:77], v1 offset0:85 offset1:86
	s_waitcnt vmcnt(27)
	v_mul_f32_e32 v79, v72, v34
	s_waitcnt vmcnt(20)
	v_fmac_f32_e32 v79, v73, v154
	v_add_f32_e32 v82, v78, v79
	buffer_load_dword v173, off, s[0:3], 0 offset:280
	buffer_load_dword v174, off, s[0:3], 0 offset:284
	ds_read2_b64 v[78:81], v1 offset0:87 offset1:88
	s_waitcnt lgkmcnt(1)
	v_mul_f32_e32 v83, v74, v37
	v_fmac_f32_e32 v83, v75, v36
	v_add_f32_e32 v82, v82, v83
	v_mul_f32_e32 v83, v76, v39
	v_fmac_f32_e32 v83, v77, v38
	buffer_load_dword v175, off, s[0:3], 0 offset:292
	buffer_load_dword v176, off, s[0:3], 0 offset:288
	;; [unrolled: 1-line block ×4, first 2 shown]
	v_add_f32_e32 v82, v82, v83
	s_waitcnt lgkmcnt(0)
	v_mul_f32_e32 v83, v78, v41
	v_fmac_f32_e32 v83, v79, v40
	s_waitcnt vmcnt(22)
	v_mul_f32_e32 v87, v80, v156
	v_add_f32_e32 v86, v82, v83
	v_fmac_f32_e32 v87, v81, v155
	ds_read2_b64 v[82:85], v1 offset0:89 offset1:90
	v_add_f32_e32 v90, v86, v87
	ds_read2_b64 v[86:89], v1 offset0:91 offset1:92
	buffer_load_dword v179, off, s[0:3], 0 offset:304
	buffer_load_dword v180, off, s[0:3], 0 offset:308
	;; [unrolled: 1-line block ×8, first 2 shown]
	s_waitcnt vmcnt(28) lgkmcnt(1)
	v_mul_f32_e32 v91, v82, v158
	v_fmac_f32_e32 v91, v83, v157
	buffer_load_dword v187, off, s[0:3], 0 offset:336
	buffer_load_dword v188, off, s[0:3], 0 offset:340
	v_add_f32_e32 v90, v90, v91
	s_waitcnt vmcnt(28)
	v_mul_f32_e32 v91, v84, v160
	v_fmac_f32_e32 v91, v85, v159
	v_add_f32_e32 v90, v90, v91
	s_waitcnt vmcnt(26) lgkmcnt(0)
	v_mul_f32_e32 v91, v86, v162
	v_fmac_f32_e32 v91, v87, v161
	v_add_f32_e32 v94, v90, v91
	ds_read2_b64 v[90:93], v1 offset0:93 offset1:94
	buffer_load_dword v189, off, s[0:3], 0 offset:344
	buffer_load_dword v190, off, s[0:3], 0 offset:348
	;; [unrolled: 1-line block ×6, first 2 shown]
	s_waitcnt vmcnt(30)
	v_mul_f32_e32 v95, v88, v164
	v_fmac_f32_e32 v95, v89, v163
	v_add_f32_e32 v98, v94, v95
	ds_read2_b64 v[94:97], v1 offset0:95 offset1:96
	buffer_load_dword v195, off, s[0:3], 0 offset:368
	buffer_load_dword v196, off, s[0:3], 0 offset:372
	;; [unrolled: 1-line block ×8, first 2 shown]
	s_waitcnt vmcnt(36) lgkmcnt(1)
	v_mul_f32_e32 v99, v90, v166
	v_fmac_f32_e32 v99, v91, v165
	buffer_load_dword v203, off, s[0:3], 0 offset:400
	buffer_load_dword v204, off, s[0:3], 0 offset:404
	v_add_f32_e32 v98, v98, v99
	s_waitcnt vmcnt(36)
	v_mul_f32_e32 v99, v92, v168
	v_mul_f32_e32 v10, v43, v10
	v_fmac_f32_e32 v99, v93, v167
	v_fma_f32 v10, v42, v27, -v10
	v_mul_f32_e32 v9, v45, v9
	v_add_f32_e32 v98, v98, v99
	v_add_f32_e32 v10, 0, v10
	v_fma_f32 v9, v44, v24, -v9
	v_mul_f32_e32 v8, v47, v8
	v_add_f32_e32 v9, v10, v9
	v_fma_f32 v8, v46, v21, -v8
	v_mul_f32_e32 v7, v49, v7
	;; [unrolled: 3-line block ×4, first 2 shown]
	v_add_f32_e32 v6, v7, v6
	v_fma_f32 v5, v52, v20, -v5
	s_waitcnt vmcnt(34) lgkmcnt(0)
	v_mul_f32_e32 v99, v94, v170
	v_fmac_f32_e32 v99, v95, v169
	v_add_f32_e32 v102, v98, v99
	ds_read2_b64 v[98:101], v1 offset0:97 offset1:98
	buffer_load_dword v205, off, s[0:3], 0 offset:408
	buffer_load_dword v206, off, s[0:3], 0 offset:412
	;; [unrolled: 1-line block ×6, first 2 shown]
	s_waitcnt vmcnt(38)
	v_mul_f32_e32 v103, v96, v172
	v_fmac_f32_e32 v103, v97, v171
	v_mul_f32_e32 v4, v55, v4
	v_add_f32_e32 v106, v102, v103
	ds_read2_b64 v[102:105], v1 offset0:99 offset1:100
	buffer_load_dword v211, off, s[0:3], 0 offset:432
	buffer_load_dword v212, off, s[0:3], 0 offset:436
	v_add_f32_e32 v5, v6, v5
	v_fma_f32 v4, v54, v17, -v4
	v_add_f32_e32 v4, v5, v4
	v_mul_f32_e32 v5, v57, v11
	v_fma_f32 v5, v56, v22, -v5
	v_add_f32_e32 v4, v4, v5
	v_mul_f32_e32 v5, v59, v12
	v_fma_f32 v5, v58, v19, -v5
	buffer_load_dword v213, off, s[0:3], 0 offset:440
	buffer_load_dword v214, off, s[0:3], 0 offset:444
	;; [unrolled: 1-line block ×6, first 2 shown]
	v_add_f32_e32 v4, v4, v5
	v_mul_f32_e32 v5, v61, v13
	v_fma_f32 v5, v60, v16, -v5
	v_add_f32_e32 v4, v4, v5
	v_mul_f32_e32 v5, v63, v14
	buffer_load_dword v219, off, s[0:3], 0 offset:464
	buffer_load_dword v220, off, s[0:3], 0 offset:468
	v_fma_f32 v5, v62, v15, -v5
	v_add_f32_e32 v4, v4, v5
	v_mul_f32_e32 v5, v65, v18
	v_fma_f32 v5, v64, v35, -v5
	v_add_f32_e32 v4, v4, v5
	v_mul_f32_e32 v5, v67, v33
	;; [unrolled: 3-line block ×3, first 2 shown]
	buffer_load_dword v221, off, s[0:3], 0 offset:472
	buffer_load_dword v222, off, s[0:3], 0 offset:476
	;; [unrolled: 1-line block ×6, first 2 shown]
	v_fma_f32 v5, v68, v30, -v5
	v_add_f32_e32 v4, v4, v5
	v_mul_f32_e32 v5, v71, v29
	v_fma_f32 v5, v70, v28, -v5
	v_add_f32_e32 v4, v4, v5
	v_mul_f32_e32 v5, v73, v34
	;; [unrolled: 3-line block ×11, first 2 shown]
	s_waitcnt vmcnt(52) lgkmcnt(1)
	v_mul_f32_e32 v107, v98, v174
	v_fma_f32 v5, v90, v165, -v5
	v_fmac_f32_e32 v107, v99, v173
	v_add_f32_e32 v4, v4, v5
	v_mul_f32_e32 v5, v93, v168
	v_add_f32_e32 v106, v106, v107
	s_waitcnt vmcnt(51)
	v_mul_f32_e32 v107, v100, v175
	v_fma_f32 v5, v92, v167, -v5
	s_waitcnt vmcnt(50)
	v_fmac_f32_e32 v107, v101, v176
	v_add_f32_e32 v4, v4, v5
	v_mul_f32_e32 v5, v95, v170
	v_add_f32_e32 v106, v106, v107
	s_waitcnt vmcnt(48) lgkmcnt(0)
	v_mul_f32_e32 v107, v102, v178
	v_fma_f32 v5, v94, v169, -v5
	v_fmac_f32_e32 v107, v103, v177
	v_add_f32_e32 v4, v4, v5
	v_mul_f32_e32 v5, v97, v172
	v_add_f32_e32 v110, v106, v107
	ds_read2_b64 v[106:109], v1 offset0:101 offset1:102
	v_fma_f32 v5, v96, v171, -v5
	v_add_f32_e32 v4, v4, v5
	v_mul_f32_e32 v5, v99, v174
	s_waitcnt vmcnt(46)
	v_mul_f32_e32 v111, v104, v180
	v_fma_f32 v5, v98, v173, -v5
	v_fmac_f32_e32 v111, v105, v179
	v_add_f32_e32 v4, v4, v5
	v_mul_f32_e32 v5, v101, v175
	v_add_f32_e32 v114, v110, v111
	ds_read2_b64 v[110:113], v1 offset0:103 offset1:104
	v_fma_f32 v5, v100, v176, -v5
	s_waitcnt vmcnt(44) lgkmcnt(1)
	v_mul_f32_e32 v115, v106, v182
	v_add_f32_e32 v4, v4, v5
	v_mul_f32_e32 v5, v103, v178
	v_fmac_f32_e32 v115, v107, v181
	v_fma_f32 v5, v102, v177, -v5
	v_add_f32_e32 v114, v114, v115
	s_waitcnt vmcnt(43)
	v_mul_f32_e32 v115, v108, v183
	v_add_f32_e32 v4, v4, v5
	v_mul_f32_e32 v5, v105, v180
	s_waitcnt vmcnt(40)
	v_fmac_f32_e32 v115, v109, v186
	v_fma_f32 v5, v104, v179, -v5
	v_add_f32_e32 v114, v114, v115
	s_waitcnt lgkmcnt(0)
	v_mul_f32_e32 v115, v110, v185
	v_add_f32_e32 v4, v4, v5
	v_mul_f32_e32 v5, v107, v182
	v_fmac_f32_e32 v115, v111, v184
	v_fma_f32 v5, v106, v181, -v5
	v_add_f32_e32 v118, v114, v115
	ds_read2_b64 v[114:117], v1 offset0:105 offset1:106
	ds_read2_b64 v[122:125], v1 offset0:107 offset1:108
	v_add_f32_e32 v4, v4, v5
	v_mul_f32_e32 v5, v109, v183
	v_fma_f32 v5, v108, v186, -v5
	v_add_f32_e32 v4, v4, v5
	v_mul_f32_e32 v5, v111, v185
	s_waitcnt vmcnt(38)
	v_mul_f32_e32 v119, v112, v188
	v_fma_f32 v5, v110, v184, -v5
	v_fmac_f32_e32 v119, v113, v187
	v_add_f32_e32 v4, v4, v5
	v_mul_f32_e32 v5, v113, v188
	v_add_f32_e32 v118, v118, v119
	s_waitcnt vmcnt(36) lgkmcnt(1)
	v_mul_f32_e32 v119, v114, v190
	v_fma_f32 v5, v112, v187, -v5
	v_fmac_f32_e32 v119, v115, v189
	v_add_f32_e32 v4, v4, v5
	v_mul_f32_e32 v5, v115, v190
	v_add_f32_e32 v118, v118, v119
	s_waitcnt vmcnt(35)
	v_mul_f32_e32 v119, v116, v191
	v_fma_f32 v5, v114, v189, -v5
	s_waitcnt vmcnt(32)
	v_fmac_f32_e32 v119, v117, v194
	ds_read2_b64 v[126:129], v1 offset0:109 offset1:110
	ds_read2_b64 v[130:133], v1 offset0:111 offset1:112
	v_add_f32_e32 v4, v4, v5
	v_mul_f32_e32 v5, v117, v191
	v_add_f32_e32 v118, v118, v119
	s_waitcnt lgkmcnt(2)
	v_mul_f32_e32 v119, v122, v193
	v_fma_f32 v5, v116, v194, -v5
	v_fmac_f32_e32 v119, v123, v192
	v_add_f32_e32 v4, v4, v5
	v_mul_f32_e32 v5, v123, v193
	v_add_f32_e32 v118, v118, v119
	s_waitcnt vmcnt(30)
	v_mul_f32_e32 v119, v124, v196
	v_fma_f32 v5, v122, v192, -v5
	v_fmac_f32_e32 v119, v125, v195
	v_add_f32_e32 v4, v4, v5
	v_mul_f32_e32 v5, v125, v196
	v_add_f32_e32 v118, v118, v119
	s_waitcnt vmcnt(28) lgkmcnt(1)
	v_mul_f32_e32 v119, v126, v198
	v_fma_f32 v5, v124, v195, -v5
	v_fmac_f32_e32 v119, v127, v197
	v_add_f32_e32 v4, v4, v5
	v_mul_f32_e32 v5, v127, v198
	v_add_f32_e32 v118, v118, v119
	s_waitcnt vmcnt(27)
	v_mul_f32_e32 v119, v128, v199
	v_fma_f32 v5, v126, v197, -v5
	s_waitcnt vmcnt(24)
	v_fmac_f32_e32 v119, v129, v202
	ds_read2_b64 v[134:137], v1 offset0:113 offset1:114
	ds_read2_b64 v[138:141], v1 offset0:115 offset1:116
	v_add_f32_e32 v4, v4, v5
	v_mul_f32_e32 v5, v129, v199
	v_add_f32_e32 v118, v118, v119
	s_waitcnt lgkmcnt(2)
	v_mul_f32_e32 v119, v130, v201
	v_fma_f32 v5, v128, v202, -v5
	v_fmac_f32_e32 v119, v131, v200
	v_add_f32_e32 v4, v4, v5
	v_mul_f32_e32 v5, v131, v201
	v_add_f32_e32 v118, v118, v119
	;; [unrolled: 31-line block ×3, first 2 shown]
	s_waitcnt vmcnt(14)
	v_mul_f32_e32 v119, v140, v212
	v_fma_f32 v5, v138, v208, -v5
	v_fmac_f32_e32 v119, v141, v211
	v_add_f32_e32 v4, v4, v5
	v_mul_f32_e32 v5, v141, v212
	v_add_f32_e32 v118, v118, v119
	s_waitcnt vmcnt(12) lgkmcnt(1)
	v_mul_f32_e32 v119, v142, v214
	v_fma_f32 v5, v140, v211, -v5
	v_fmac_f32_e32 v119, v143, v213
	v_add_f32_e32 v4, v4, v5
	v_mul_f32_e32 v5, v143, v214
	v_add_f32_e32 v118, v118, v119
	s_waitcnt vmcnt(11)
	v_mul_f32_e32 v119, v144, v215
	v_fma_f32 v5, v142, v213, -v5
	s_waitcnt vmcnt(8)
	v_fmac_f32_e32 v119, v145, v218
	v_add_f32_e32 v4, v4, v5
	v_mul_f32_e32 v5, v145, v215
	v_add_f32_e32 v118, v118, v119
	s_waitcnt lgkmcnt(0)
	v_mul_f32_e32 v119, v146, v217
	ds_read2_b64 v[150:153], v1 offset0:121 offset1:122
	v_fma_f32 v5, v144, v218, -v5
	v_fmac_f32_e32 v119, v147, v216
	v_add_f32_e32 v4, v4, v5
	v_mul_f32_e32 v5, v147, v217
	v_add_f32_e32 v118, v118, v119
	s_waitcnt vmcnt(6)
	v_mul_f32_e32 v119, v148, v220
	v_fma_f32 v5, v146, v216, -v5
	v_fmac_f32_e32 v119, v149, v219
	v_add_f32_e32 v4, v4, v5
	v_mul_f32_e32 v5, v149, v220
	v_add_f32_e32 v227, v118, v119
	ds_read_b64 v[118:119], v1 offset:984
	v_fma_f32 v5, v148, v219, -v5
	v_add_f32_e32 v4, v4, v5
	s_waitcnt vmcnt(4) lgkmcnt(1)
	v_mul_f32_e32 v5, v151, v222
	v_mul_f32_e32 v228, v150, v222
	v_fma_f32 v5, v150, v221, -v5
	v_fmac_f32_e32 v228, v151, v221
	v_add_f32_e32 v4, v4, v5
	s_waitcnt vmcnt(3)
	v_mul_f32_e32 v5, v153, v223
	v_add_f32_e32 v227, v227, v228
	v_mul_f32_e32 v228, v152, v223
	s_waitcnt vmcnt(0)
	v_fma_f32 v5, v152, v226, -v5
	v_fmac_f32_e32 v228, v153, v226
	v_add_f32_e32 v4, v4, v5
	s_waitcnt lgkmcnt(0)
	v_mul_f32_e32 v5, v119, v225
	v_add_f32_e32 v227, v227, v228
	v_mul_f32_e32 v228, v118, v225
	v_fma_f32 v5, v118, v224, -v5
	v_fmac_f32_e32 v228, v119, v224
	v_add_f32_e32 v4, v4, v5
	v_add_f32_e32 v227, v227, v228
	v_sub_f32_e32 v2, v2, v4
	v_sub_f32_e32 v3, v3, v227
	buffer_store_dword v2, off, s[0:3], 0 offset:48
	buffer_store_dword v3, off, s[0:3], 0 offset:52
	s_and_saveexec_b64 s[4:5], vcc
	s_cbranch_execz .LBB61_375
; %bb.374:
	buffer_load_dword v2, off, s[0:3], 0 offset:40
	buffer_load_dword v3, off, s[0:3], 0 offset:44
	s_waitcnt vmcnt(0)
	ds_write_b64 v25, v[2:3]
	buffer_store_dword v1, off, s[0:3], 0 offset:40
	buffer_store_dword v1, off, s[0:3], 0 offset:44
.LBB61_375:
	s_or_b64 exec, exec, s[4:5]
	s_waitcnt lgkmcnt(0)
	; wave barrier
	buffer_load_dword v10, off, s[0:3], 0 offset:52
	buffer_load_dword v9, off, s[0:3], 0 offset:60
	;; [unrolled: 1-line block ×40, first 2 shown]
	ds_read_b128 v[42:45], v1 offset:544
	ds_read_b128 v[46:49], v1 offset:560
	;; [unrolled: 1-line block ×6, first 2 shown]
	buffer_load_dword v119, off, s[0:3], 0 offset:200
	buffer_load_dword v158, off, s[0:3], 0 offset:204
	;; [unrolled: 1-line block ×16, first 2 shown]
	v_cmp_lt_u32_e32 vcc, 4, v0
	s_waitcnt vmcnt(55) lgkmcnt(5)
	v_mul_f32_e32 v66, v42, v10
	s_waitcnt vmcnt(54)
	v_mul_f32_e32 v67, v44, v9
	s_waitcnt vmcnt(53) lgkmcnt(4)
	v_mul_f32_e32 v68, v46, v8
	s_waitcnt vmcnt(52)
	v_mul_f32_e32 v69, v48, v7
	s_waitcnt vmcnt(51) lgkmcnt(3)
	v_mul_f32_e32 v70, v50, v6
	s_waitcnt vmcnt(50)
	v_mul_f32_e32 v71, v52, v5
	s_waitcnt vmcnt(49) lgkmcnt(2)
	v_mul_f32_e32 v72, v54, v4
	s_waitcnt vmcnt(48)
	v_mul_f32_e32 v73, v56, v11
	s_waitcnt vmcnt(47) lgkmcnt(1)
	v_mul_f32_e32 v74, v58, v12
	s_waitcnt vmcnt(46)
	v_mul_f32_e32 v75, v60, v13
	s_waitcnt vmcnt(45)
	v_fmac_f32_e32 v68, v47, v17
	s_waitcnt vmcnt(44)
	v_fmac_f32_e32 v67, v45, v21
	;; [unrolled: 2-line block ×3, first 2 shown]
	v_add_f32_e32 v66, 0, v66
	v_add_f32_e32 v66, v66, v67
	;; [unrolled: 1-line block ×3, first 2 shown]
	s_waitcnt vmcnt(39)
	v_fmac_f32_e32 v69, v49, v24
	v_fmac_f32_e32 v70, v51, v20
	v_add_f32_e32 v66, v66, v69
	v_fmac_f32_e32 v71, v53, v16
	v_add_f32_e32 v66, v66, v70
	;; [unrolled: 2-line block ×3, first 2 shown]
	s_waitcnt vmcnt(35)
	v_fmac_f32_e32 v73, v57, v27
	v_add_f32_e32 v66, v66, v72
	v_fmac_f32_e32 v74, v59, v22
	v_add_f32_e32 v66, v66, v73
	;; [unrolled: 2-line block ×3, first 2 shown]
	s_waitcnt vmcnt(34) lgkmcnt(0)
	v_mul_f32_e32 v67, v62, v19
	v_add_f32_e32 v66, v66, v75
	v_fmac_f32_e32 v67, v63, v15
	v_add_f32_e32 v70, v66, v67
	ds_read_b128 v[66:69], v1 offset:640
	s_waitcnt vmcnt(33)
	v_mul_f32_e32 v71, v64, v23
	s_waitcnt vmcnt(29)
	v_fmac_f32_e32 v71, v65, v34
	v_add_f32_e32 v74, v70, v71
	ds_read_b128 v[70:73], v1 offset:656
	buffer_load_dword v173, off, s[0:3], 0 offset:264
	buffer_load_dword v174, off, s[0:3], 0 offset:268
	s_waitcnt vmcnt(30) lgkmcnt(1)
	v_mul_f32_e32 v75, v66, v33
	v_fmac_f32_e32 v75, v67, v31
	v_add_f32_e32 v74, v74, v75
	s_waitcnt vmcnt(29)
	v_mul_f32_e32 v75, v68, v32
	v_fmac_f32_e32 v75, v69, v29
	v_add_f32_e32 v74, v74, v75
	s_waitcnt vmcnt(28) lgkmcnt(0)
	v_mul_f32_e32 v75, v70, v30
	v_fmac_f32_e32 v75, v71, v28
	v_add_f32_e32 v78, v74, v75
	buffer_load_dword v175, off, s[0:3], 0 offset:272
	buffer_load_dword v176, off, s[0:3], 0 offset:276
	ds_read_b128 v[74:77], v1 offset:672
	s_waitcnt vmcnt(29)
	v_mul_f32_e32 v79, v72, v35
	s_waitcnt vmcnt(22)
	v_fmac_f32_e32 v79, v73, v118
	v_add_f32_e32 v82, v78, v79
	ds_read_b128 v[78:81], v1 offset:688
	s_waitcnt lgkmcnt(1)
	v_mul_f32_e32 v83, v74, v37
	v_fmac_f32_e32 v83, v75, v36
	v_add_f32_e32 v82, v82, v83
	v_mul_f32_e32 v83, v76, v39
	buffer_load_dword v177, off, s[0:3], 0 offset:280
	buffer_load_dword v178, off, s[0:3], 0 offset:284
	v_fmac_f32_e32 v83, v77, v38
	v_add_f32_e32 v82, v82, v83
	s_waitcnt lgkmcnt(0)
	v_mul_f32_e32 v83, v78, v41
	buffer_load_dword v179, off, s[0:3], 0 offset:288
	buffer_load_dword v180, off, s[0:3], 0 offset:292
	v_fmac_f32_e32 v83, v79, v40
	v_add_f32_e32 v86, v82, v83
	ds_read_b128 v[82:85], v1 offset:704
	buffer_load_dword v181, off, s[0:3], 0 offset:296
	buffer_load_dword v182, off, s[0:3], 0 offset:300
	s_waitcnt vmcnt(24)
	v_mul_f32_e32 v87, v80, v158
	v_fmac_f32_e32 v87, v81, v119
	v_add_f32_e32 v90, v86, v87
	ds_read_b128 v[86:89], v1 offset:720
	s_waitcnt vmcnt(22) lgkmcnt(1)
	v_mul_f32_e32 v91, v82, v160
	v_fmac_f32_e32 v91, v83, v159
	buffer_load_dword v183, off, s[0:3], 0 offset:304
	buffer_load_dword v184, off, s[0:3], 0 offset:308
	;; [unrolled: 1-line block ×6, first 2 shown]
	v_add_f32_e32 v90, v90, v91
	s_waitcnt vmcnt(26)
	v_mul_f32_e32 v91, v84, v162
	v_fmac_f32_e32 v91, v85, v161
	v_add_f32_e32 v90, v90, v91
	s_waitcnt vmcnt(24) lgkmcnt(0)
	v_mul_f32_e32 v91, v86, v164
	v_fmac_f32_e32 v91, v87, v163
	v_add_f32_e32 v94, v90, v91
	ds_read_b128 v[90:93], v1 offset:736
	buffer_load_dword v189, off, s[0:3], 0 offset:328
	buffer_load_dword v190, off, s[0:3], 0 offset:332
	s_waitcnt vmcnt(24)
	v_mul_f32_e32 v95, v88, v166
	v_fmac_f32_e32 v95, v89, v165
	v_add_f32_e32 v98, v94, v95
	ds_read_b128 v[94:97], v1 offset:752
	buffer_load_dword v191, off, s[0:3], 0 offset:336
	buffer_load_dword v192, off, s[0:3], 0 offset:340
	;; [unrolled: 1-line block ×14, first 2 shown]
	s_waitcnt vmcnt(36) lgkmcnt(1)
	v_mul_f32_e32 v99, v90, v168
	buffer_load_dword v205, off, s[0:3], 0 offset:392
	buffer_load_dword v206, off, s[0:3], 0 offset:396
	v_fmac_f32_e32 v99, v91, v167
	v_add_f32_e32 v98, v98, v99
	s_waitcnt vmcnt(36)
	v_mul_f32_e32 v99, v92, v170
	v_fmac_f32_e32 v99, v93, v169
	v_add_f32_e32 v98, v98, v99
	s_waitcnt vmcnt(34) lgkmcnt(0)
	v_mul_f32_e32 v99, v94, v172
	v_fmac_f32_e32 v99, v95, v171
	v_add_f32_e32 v102, v98, v99
	ds_read_b128 v[98:101], v1 offset:768
	buffer_load_dword v207, off, s[0:3], 0 offset:400
	buffer_load_dword v208, off, s[0:3], 0 offset:404
	;; [unrolled: 1-line block ×6, first 2 shown]
	v_mul_f32_e32 v10, v43, v10
	v_fma_f32 v10, v42, v26, -v10
	v_mul_f32_e32 v9, v45, v9
	v_add_f32_e32 v10, 0, v10
	v_fma_f32 v9, v44, v21, -v9
	v_mul_f32_e32 v8, v47, v8
	v_add_f32_e32 v9, v10, v9
	;; [unrolled: 3-line block ×5, first 2 shown]
	s_waitcnt vmcnt(38)
	v_mul_f32_e32 v103, v96, v174
	v_fmac_f32_e32 v103, v97, v173
	v_add_f32_e32 v106, v102, v103
	ds_read_b128 v[102:105], v1 offset:784
	buffer_load_dword v213, off, s[0:3], 0 offset:424
	buffer_load_dword v214, off, s[0:3], 0 offset:428
	v_fma_f32 v5, v52, v16, -v5
	v_mul_f32_e32 v4, v55, v4
	v_add_f32_e32 v5, v6, v5
	v_fma_f32 v4, v54, v14, -v4
	v_add_f32_e32 v4, v5, v4
	v_mul_f32_e32 v5, v57, v11
	v_fma_f32 v5, v56, v27, -v5
	buffer_load_dword v215, off, s[0:3], 0 offset:432
	buffer_load_dword v216, off, s[0:3], 0 offset:436
	;; [unrolled: 1-line block ×6, first 2 shown]
	v_add_f32_e32 v4, v4, v5
	v_mul_f32_e32 v5, v59, v12
	v_fma_f32 v5, v58, v22, -v5
	v_add_f32_e32 v4, v4, v5
	v_mul_f32_e32 v5, v61, v13
	v_fma_f32 v5, v60, v18, -v5
	v_add_f32_e32 v4, v4, v5
	v_mul_f32_e32 v5, v63, v19
	buffer_load_dword v221, off, s[0:3], 0 offset:456
	buffer_load_dword v222, off, s[0:3], 0 offset:460
	v_fma_f32 v5, v62, v15, -v5
	v_add_f32_e32 v4, v4, v5
	v_mul_f32_e32 v5, v65, v23
	s_waitcnt vmcnt(46) lgkmcnt(1)
	v_mul_f32_e32 v107, v98, v176
	v_fma_f32 v5, v64, v34, -v5
	v_fmac_f32_e32 v107, v99, v175
	v_add_f32_e32 v4, v4, v5
	v_mul_f32_e32 v5, v67, v33
	v_add_f32_e32 v106, v106, v107
	s_waitcnt vmcnt(44)
	v_mul_f32_e32 v107, v100, v178
	v_fma_f32 v5, v66, v31, -v5
	v_fmac_f32_e32 v107, v101, v177
	v_add_f32_e32 v4, v4, v5
	v_mul_f32_e32 v5, v69, v32
	v_add_f32_e32 v106, v106, v107
	s_waitcnt vmcnt(42) lgkmcnt(0)
	v_mul_f32_e32 v107, v102, v180
	buffer_load_dword v223, off, s[0:3], 0 offset:464
	buffer_load_dword v224, off, s[0:3], 0 offset:468
	;; [unrolled: 1-line block ×6, first 2 shown]
	v_fma_f32 v5, v68, v29, -v5
	v_fmac_f32_e32 v107, v103, v179
	s_waitcnt vmcnt(46)
	v_mul_f32_e32 v111, v104, v182
	v_add_f32_e32 v4, v4, v5
	v_mul_f32_e32 v5, v71, v30
	v_add_f32_e32 v110, v106, v107
	v_fmac_f32_e32 v111, v105, v181
	v_fma_f32 v5, v70, v28, -v5
	ds_read_b128 v[106:109], v1 offset:800
	v_add_f32_e32 v114, v110, v111
	ds_read_b128 v[110:113], v1 offset:816
	buffer_load_dword v229, off, s[0:3], 0 offset:488
	buffer_load_dword v230, off, s[0:3], 0 offset:492
	v_add_f32_e32 v4, v4, v5
	v_mul_f32_e32 v5, v73, v35
	v_fma_f32 v5, v72, v118, -v5
	v_add_f32_e32 v4, v4, v5
	v_mul_f32_e32 v5, v75, v37
	v_fma_f32 v5, v74, v36, -v5
	;; [unrolled: 3-line block ×9, first 2 shown]
	v_add_f32_e32 v4, v4, v5
	v_mul_f32_e32 v5, v91, v168
	s_waitcnt vmcnt(46) lgkmcnt(1)
	v_mul_f32_e32 v115, v106, v184
	v_fma_f32 v5, v90, v167, -v5
	v_fmac_f32_e32 v115, v107, v183
	v_add_f32_e32 v4, v4, v5
	v_mul_f32_e32 v5, v93, v170
	v_add_f32_e32 v114, v114, v115
	s_waitcnt vmcnt(45)
	v_mul_f32_e32 v115, v108, v185
	v_fma_f32 v5, v92, v169, -v5
	s_waitcnt vmcnt(42)
	v_fmac_f32_e32 v115, v109, v188
	v_add_f32_e32 v4, v4, v5
	v_mul_f32_e32 v5, v95, v172
	v_add_f32_e32 v114, v114, v115
	s_waitcnt lgkmcnt(0)
	v_mul_f32_e32 v115, v110, v187
	v_fma_f32 v5, v94, v171, -v5
	v_fmac_f32_e32 v115, v111, v186
	v_add_f32_e32 v4, v4, v5
	v_mul_f32_e32 v5, v97, v174
	v_add_f32_e32 v122, v114, v115
	ds_read_b128 v[114:117], v1 offset:832
	v_fma_f32 v5, v96, v173, -v5
	v_add_f32_e32 v4, v4, v5
	v_mul_f32_e32 v5, v99, v176
	s_waitcnt vmcnt(40)
	v_mul_f32_e32 v123, v112, v190
	v_fma_f32 v5, v98, v175, -v5
	v_fmac_f32_e32 v123, v113, v189
	v_add_f32_e32 v4, v4, v5
	v_mul_f32_e32 v5, v101, v178
	v_add_f32_e32 v126, v122, v123
	ds_read_b128 v[122:125], v1 offset:848
	v_fma_f32 v5, v100, v177, -v5
	s_waitcnt vmcnt(38) lgkmcnt(1)
	v_mul_f32_e32 v127, v114, v192
	v_add_f32_e32 v4, v4, v5
	v_mul_f32_e32 v5, v103, v180
	v_fmac_f32_e32 v127, v115, v191
	v_fma_f32 v5, v102, v179, -v5
	v_add_f32_e32 v126, v126, v127
	s_waitcnt vmcnt(37)
	v_mul_f32_e32 v127, v116, v193
	v_add_f32_e32 v4, v4, v5
	v_mul_f32_e32 v5, v105, v182
	s_waitcnt vmcnt(34)
	v_fmac_f32_e32 v127, v117, v196
	v_fma_f32 v5, v104, v181, -v5
	v_add_f32_e32 v126, v126, v127
	s_waitcnt lgkmcnt(0)
	v_mul_f32_e32 v127, v122, v195
	v_add_f32_e32 v4, v4, v5
	v_mul_f32_e32 v5, v107, v184
	v_fmac_f32_e32 v127, v123, v194
	v_fma_f32 v5, v106, v183, -v5
	v_add_f32_e32 v130, v126, v127
	ds_read_b128 v[126:129], v1 offset:864
	v_add_f32_e32 v4, v4, v5
	v_mul_f32_e32 v5, v109, v185
	v_fma_f32 v5, v108, v188, -v5
	s_waitcnt vmcnt(32)
	v_mul_f32_e32 v131, v124, v198
	v_add_f32_e32 v4, v4, v5
	v_mul_f32_e32 v5, v111, v187
	v_fmac_f32_e32 v131, v125, v197
	v_fma_f32 v5, v110, v186, -v5
	v_add_f32_e32 v134, v130, v131
	ds_read_b128 v[130:133], v1 offset:880
	v_add_f32_e32 v4, v4, v5
	v_mul_f32_e32 v5, v113, v190
	s_waitcnt vmcnt(30) lgkmcnt(1)
	v_mul_f32_e32 v135, v126, v200
	v_fma_f32 v5, v112, v189, -v5
	v_fmac_f32_e32 v135, v127, v199
	v_add_f32_e32 v4, v4, v5
	v_mul_f32_e32 v5, v115, v192
	v_add_f32_e32 v134, v134, v135
	s_waitcnt vmcnt(29)
	v_mul_f32_e32 v135, v128, v201
	v_fma_f32 v5, v114, v191, -v5
	s_waitcnt vmcnt(26)
	v_fmac_f32_e32 v135, v129, v204
	v_add_f32_e32 v4, v4, v5
	v_mul_f32_e32 v5, v117, v193
	v_add_f32_e32 v134, v134, v135
	s_waitcnt lgkmcnt(0)
	v_mul_f32_e32 v135, v130, v203
	v_fma_f32 v5, v116, v196, -v5
	v_fmac_f32_e32 v135, v131, v202
	v_add_f32_e32 v4, v4, v5
	v_mul_f32_e32 v5, v123, v195
	v_add_f32_e32 v138, v134, v135
	ds_read_b128 v[134:137], v1 offset:896
	v_fma_f32 v5, v122, v194, -v5
	v_add_f32_e32 v4, v4, v5
	v_mul_f32_e32 v5, v125, v198
	s_waitcnt vmcnt(24)
	v_mul_f32_e32 v139, v132, v206
	v_fma_f32 v5, v124, v197, -v5
	v_fmac_f32_e32 v139, v133, v205
	v_add_f32_e32 v4, v4, v5
	v_mul_f32_e32 v5, v127, v200
	v_add_f32_e32 v142, v138, v139
	ds_read_b128 v[138:141], v1 offset:912
	v_fma_f32 v5, v126, v199, -v5
	s_waitcnt vmcnt(22) lgkmcnt(1)
	v_mul_f32_e32 v143, v134, v208
	v_add_f32_e32 v4, v4, v5
	v_mul_f32_e32 v5, v129, v201
	v_fmac_f32_e32 v143, v135, v207
	v_fma_f32 v5, v128, v204, -v5
	v_add_f32_e32 v142, v142, v143
	s_waitcnt vmcnt(21)
	v_mul_f32_e32 v143, v136, v209
	v_add_f32_e32 v4, v4, v5
	v_mul_f32_e32 v5, v131, v203
	s_waitcnt vmcnt(18)
	v_fmac_f32_e32 v143, v137, v212
	v_fma_f32 v5, v130, v202, -v5
	v_add_f32_e32 v142, v142, v143
	s_waitcnt lgkmcnt(0)
	v_mul_f32_e32 v143, v138, v211
	v_add_f32_e32 v4, v4, v5
	v_mul_f32_e32 v5, v133, v206
	v_fmac_f32_e32 v143, v139, v210
	v_fma_f32 v5, v132, v205, -v5
	v_add_f32_e32 v146, v142, v143
	ds_read_b128 v[142:145], v1 offset:928
	v_add_f32_e32 v4, v4, v5
	v_mul_f32_e32 v5, v135, v208
	v_fma_f32 v5, v134, v207, -v5
	s_waitcnt vmcnt(16)
	v_mul_f32_e32 v147, v140, v214
	v_add_f32_e32 v4, v4, v5
	v_mul_f32_e32 v5, v137, v209
	v_fmac_f32_e32 v147, v141, v213
	v_fma_f32 v5, v136, v212, -v5
	v_add_f32_e32 v150, v146, v147
	ds_read_b128 v[146:149], v1 offset:944
	v_add_f32_e32 v4, v4, v5
	v_mul_f32_e32 v5, v139, v211
	s_waitcnt vmcnt(14) lgkmcnt(1)
	v_mul_f32_e32 v151, v142, v216
	v_fma_f32 v5, v138, v210, -v5
	v_fmac_f32_e32 v151, v143, v215
	v_add_f32_e32 v4, v4, v5
	v_mul_f32_e32 v5, v141, v214
	v_add_f32_e32 v150, v150, v151
	s_waitcnt vmcnt(13)
	v_mul_f32_e32 v151, v144, v217
	v_fma_f32 v5, v140, v213, -v5
	s_waitcnt vmcnt(10)
	v_fmac_f32_e32 v151, v145, v220
	v_add_f32_e32 v4, v4, v5
	v_mul_f32_e32 v5, v143, v216
	v_add_f32_e32 v150, v150, v151
	s_waitcnt lgkmcnt(0)
	v_mul_f32_e32 v151, v146, v219
	v_fma_f32 v5, v142, v215, -v5
	v_fmac_f32_e32 v151, v147, v218
	v_add_f32_e32 v4, v4, v5
	v_mul_f32_e32 v5, v145, v217
	v_add_f32_e32 v154, v150, v151
	ds_read_b128 v[150:153], v1 offset:960
	v_fma_f32 v5, v144, v220, -v5
	v_add_f32_e32 v4, v4, v5
	v_mul_f32_e32 v5, v147, v219
	s_waitcnt vmcnt(8)
	v_mul_f32_e32 v155, v148, v222
	v_fma_f32 v5, v146, v218, -v5
	v_fmac_f32_e32 v155, v149, v221
	v_add_f32_e32 v4, v4, v5
	v_mul_f32_e32 v5, v149, v222
	v_add_f32_e32 v231, v154, v155
	ds_read_b128 v[154:157], v1 offset:976
	v_fma_f32 v5, v148, v221, -v5
	v_add_f32_e32 v4, v4, v5
	s_waitcnt vmcnt(6) lgkmcnt(1)
	v_mul_f32_e32 v5, v151, v224
	v_mul_f32_e32 v1, v150, v224
	v_fma_f32 v5, v150, v223, -v5
	v_fmac_f32_e32 v1, v151, v223
	v_add_f32_e32 v4, v4, v5
	s_waitcnt vmcnt(5)
	v_mul_f32_e32 v5, v153, v225
	v_add_f32_e32 v1, v231, v1
	v_mul_f32_e32 v231, v152, v225
	s_waitcnt vmcnt(2)
	v_fma_f32 v5, v152, v228, -v5
	v_fmac_f32_e32 v231, v153, v228
	v_add_f32_e32 v4, v4, v5
	s_waitcnt lgkmcnt(0)
	v_mul_f32_e32 v5, v155, v227
	v_add_f32_e32 v1, v1, v231
	v_mul_f32_e32 v231, v154, v227
	v_fma_f32 v5, v154, v226, -v5
	v_fmac_f32_e32 v231, v155, v226
	v_add_f32_e32 v4, v4, v5
	s_waitcnt vmcnt(0)
	v_mul_f32_e32 v5, v157, v230
	v_add_f32_e32 v1, v1, v231
	v_mul_f32_e32 v231, v156, v230
	v_fma_f32 v5, v156, v229, -v5
	v_fmac_f32_e32 v231, v157, v229
	v_add_f32_e32 v4, v4, v5
	v_add_f32_e32 v1, v1, v231
	v_sub_f32_e32 v2, v2, v4
	v_sub_f32_e32 v1, v3, v1
	buffer_store_dword v2, off, s[0:3], 0 offset:40
	buffer_store_dword v1, off, s[0:3], 0 offset:44
	s_and_saveexec_b64 s[4:5], vcc
	s_cbranch_execz .LBB61_377
; %bb.376:
	buffer_load_dword v1, off, s[0:3], 0 offset:32
	buffer_load_dword v2, off, s[0:3], 0 offset:36
	v_mov_b32_e32 v3, 0
	buffer_store_dword v3, off, s[0:3], 0 offset:32
	buffer_store_dword v3, off, s[0:3], 0 offset:36
	s_waitcnt vmcnt(2)
	ds_write_b64 v25, v[1:2]
.LBB61_377:
	s_or_b64 exec, exec, s[4:5]
	s_waitcnt lgkmcnt(0)
	; wave barrier
	buffer_load_dword v9, off, s[0:3], 0 offset:44
	buffer_load_dword v8, off, s[0:3], 0 offset:52
	;; [unrolled: 1-line block ×52, first 2 shown]
	v_mov_b32_e32 v26, 0
	ds_read2_b64 v[55:58], v26 offset0:67 offset1:68
	ds_read2_b64 v[59:62], v26 offset0:69 offset1:70
	;; [unrolled: 1-line block ×6, first 2 shown]
	buffer_load_dword v119, off, s[0:3], 0 offset:244
	buffer_load_dword v172, off, s[0:3], 0 offset:240
	;; [unrolled: 1-line block ×4, first 2 shown]
	v_cmp_lt_u32_e32 vcc, 3, v0
	s_waitcnt vmcnt(55) lgkmcnt(5)
	v_mul_f32_e32 v79, v55, v9
	s_waitcnt vmcnt(54)
	v_mul_f32_e32 v80, v57, v8
	s_waitcnt vmcnt(53) lgkmcnt(4)
	v_mul_f32_e32 v81, v59, v7
	s_waitcnt vmcnt(52)
	v_mul_f32_e32 v82, v61, v6
	;; [unrolled: 4-line block ×3, first 2 shown]
	s_waitcnt vmcnt(49) lgkmcnt(2)
	v_mul_f32_e32 v85, v67, v3
	s_waitcnt vmcnt(48)
	v_fmac_f32_e32 v81, v60, v14
	s_waitcnt vmcnt(47)
	v_fmac_f32_e32 v80, v58, v16
	;; [unrolled: 2-line block ×3, first 2 shown]
	v_add_f32_e32 v79, 0, v79
	v_add_f32_e32 v79, v79, v80
	;; [unrolled: 1-line block ×3, first 2 shown]
	s_waitcnt vmcnt(45)
	v_mul_f32_e32 v86, v69, v12
	s_waitcnt vmcnt(41)
	v_fmac_f32_e32 v85, v68, v20
	s_waitcnt vmcnt(40)
	v_fmac_f32_e32 v84, v66, v22
	;; [unrolled: 2-line block ×4, first 2 shown]
	v_add_f32_e32 v79, v79, v82
	v_add_f32_e32 v79, v79, v83
	;; [unrolled: 1-line block ×3, first 2 shown]
	s_waitcnt lgkmcnt(1)
	v_mul_f32_e32 v87, v71, v11
	s_waitcnt vmcnt(34)
	v_fmac_f32_e32 v86, v70, v23
	v_add_f32_e32 v79, v79, v85
	v_mul_f32_e32 v88, v73, v10
	v_fmac_f32_e32 v87, v72, v21
	v_add_f32_e32 v79, v79, v86
	s_waitcnt lgkmcnt(0)
	v_mul_f32_e32 v89, v75, v13
	v_fmac_f32_e32 v88, v74, v17
	v_add_f32_e32 v79, v79, v87
	v_add_f32_e32 v79, v79, v88
	v_fmac_f32_e32 v89, v76, v15
	v_add_f32_e32 v83, v79, v89
	ds_read2_b64 v[79:82], v26 offset0:79 offset1:80
	buffer_load_dword v175, off, s[0:3], 0 offset:256
	buffer_load_dword v176, off, s[0:3], 0 offset:260
	s_waitcnt vmcnt(35)
	v_mul_f32_e32 v84, v77, v18
	s_waitcnt vmcnt(31)
	v_fmac_f32_e32 v84, v78, v34
	v_add_f32_e32 v87, v83, v84
	ds_read2_b64 v[83:86], v26 offset0:81 offset1:82
	s_waitcnt vmcnt(30) lgkmcnt(1)
	v_mul_f32_e32 v88, v79, v33
	v_fmac_f32_e32 v88, v80, v31
	v_add_f32_e32 v87, v87, v88
	s_waitcnt vmcnt(29)
	v_mul_f32_e32 v88, v81, v32
	v_fmac_f32_e32 v88, v82, v29
	v_add_f32_e32 v87, v87, v88
	s_waitcnt vmcnt(28) lgkmcnt(0)
	v_mul_f32_e32 v88, v83, v30
	v_fmac_f32_e32 v88, v84, v28
	v_add_f32_e32 v87, v87, v88
	s_waitcnt vmcnt(25)
	v_mul_f32_e32 v88, v85, v36
	s_waitcnt vmcnt(24)
	v_fmac_f32_e32 v88, v86, v35
	buffer_load_dword v177, off, s[0:3], 0 offset:268
	v_add_f32_e32 v95, v87, v88
	ds_read2_b64 v[87:90], v26 offset0:83 offset1:84
	ds_read2_b64 v[91:94], v26 offset0:85 offset1:86
	buffer_load_dword v178, off, s[0:3], 0 offset:264
	buffer_load_dword v179, off, s[0:3], 0 offset:272
	;; [unrolled: 1-line block ×5, first 2 shown]
	v_mul_f32_e32 v9, v56, v9
	s_waitcnt vmcnt(28) lgkmcnt(1)
	v_mul_f32_e32 v96, v87, v38
	v_fmac_f32_e32 v96, v88, v37
	v_add_f32_e32 v95, v95, v96
	s_waitcnt vmcnt(26)
	v_mul_f32_e32 v96, v89, v40
	v_fmac_f32_e32 v96, v90, v39
	v_add_f32_e32 v95, v95, v96
	s_waitcnt vmcnt(24) lgkmcnt(0)
	v_mul_f32_e32 v96, v91, v42
	v_fmac_f32_e32 v96, v92, v41
	v_add_f32_e32 v99, v95, v96
	ds_read2_b64 v[95:98], v26 offset0:87 offset1:88
	buffer_load_dword v183, off, s[0:3], 0 offset:288
	buffer_load_dword v184, off, s[0:3], 0 offset:292
	s_waitcnt vmcnt(24)
	v_mul_f32_e32 v100, v93, v44
	v_fmac_f32_e32 v100, v94, v43
	v_add_f32_e32 v103, v99, v100
	ds_read2_b64 v[99:102], v26 offset0:89 offset1:90
	s_waitcnt vmcnt(22) lgkmcnt(1)
	v_mul_f32_e32 v104, v95, v46
	v_fmac_f32_e32 v104, v96, v45
	v_add_f32_e32 v103, v103, v104
	s_waitcnt vmcnt(20)
	v_mul_f32_e32 v104, v97, v48
	buffer_load_dword v185, off, s[0:3], 0 offset:296
	buffer_load_dword v186, off, s[0:3], 0 offset:300
	v_fmac_f32_e32 v104, v98, v47
	v_add_f32_e32 v103, v103, v104
	s_waitcnt vmcnt(20) lgkmcnt(0)
	v_mul_f32_e32 v104, v99, v50
	v_fmac_f32_e32 v104, v100, v49
	v_add_f32_e32 v107, v103, v104
	ds_read2_b64 v[103:106], v26 offset0:91 offset1:92
	buffer_load_dword v187, off, s[0:3], 0 offset:308
	buffer_load_dword v188, off, s[0:3], 0 offset:312
	;; [unrolled: 1-line block ×4, first 2 shown]
	s_waitcnt vmcnt(22)
	v_mul_f32_e32 v108, v101, v52
	v_fmac_f32_e32 v108, v102, v51
	v_add_f32_e32 v111, v107, v108
	ds_read2_b64 v[107:110], v26 offset0:93 offset1:94
	buffer_load_dword v191, off, s[0:3], 0 offset:320
	buffer_load_dword v192, off, s[0:3], 0 offset:324
	;; [unrolled: 1-line block ×10, first 2 shown]
	s_waitcnt vmcnt(30) lgkmcnt(1)
	v_mul_f32_e32 v112, v103, v54
	v_fmac_f32_e32 v112, v104, v53
	buffer_load_dword v201, off, s[0:3], 0 offset:360
	buffer_load_dword v202, off, s[0:3], 0 offset:364
	;; [unrolled: 1-line block ×6, first 2 shown]
	v_add_f32_e32 v111, v111, v112
	s_waitcnt vmcnt(35)
	v_mul_f32_e32 v112, v105, v119
	s_waitcnt vmcnt(34)
	v_fmac_f32_e32 v112, v106, v172
	v_add_f32_e32 v111, v111, v112
	s_waitcnt vmcnt(32) lgkmcnt(0)
	v_mul_f32_e32 v112, v107, v174
	v_fmac_f32_e32 v112, v108, v173
	v_add_f32_e32 v115, v111, v112
	ds_read2_b64 v[111:114], v26 offset0:95 offset1:96
	buffer_load_dword v207, off, s[0:3], 0 offset:384
	buffer_load_dword v208, off, s[0:3], 0 offset:388
	v_fma_f32 v9, v55, v19, -v9
	v_mul_f32_e32 v8, v58, v8
	v_add_f32_e32 v9, 0, v9
	v_fma_f32 v8, v57, v16, -v8
	v_mul_f32_e32 v7, v60, v7
	v_add_f32_e32 v8, v9, v8
	v_fma_f32 v7, v59, v14, -v7
	v_mul_f32_e32 v6, v62, v6
	v_add_f32_e32 v7, v8, v7
	v_fma_f32 v6, v61, v27, -v6
	v_mul_f32_e32 v5, v64, v5
	v_add_f32_e32 v6, v7, v6
	s_waitcnt vmcnt(32)
	v_mul_f32_e32 v116, v109, v176
	v_fmac_f32_e32 v116, v110, v175
	v_add_f32_e32 v122, v115, v116
	ds_read2_b64 v[115:118], v26 offset0:97 offset1:98
	buffer_load_dword v209, off, s[0:3], 0 offset:392
	buffer_load_dword v210, off, s[0:3], 0 offset:396
	;; [unrolled: 1-line block ×8, first 2 shown]
	v_fma_f32 v5, v63, v24, -v5
	v_mul_f32_e32 v4, v66, v4
	v_add_f32_e32 v5, v6, v5
	v_fma_f32 v4, v65, v22, -v4
	v_mul_f32_e32 v3, v68, v3
	v_add_f32_e32 v4, v5, v4
	v_fma_f32 v3, v67, v20, -v3
	v_add_f32_e32 v3, v4, v3
	v_mul_f32_e32 v4, v70, v12
	buffer_load_dword v217, off, s[0:3], 0 offset:424
	buffer_load_dword v218, off, s[0:3], 0 offset:428
	;; [unrolled: 1-line block ×6, first 2 shown]
	v_fma_f32 v4, v69, v23, -v4
	v_add_f32_e32 v3, v3, v4
	v_mul_f32_e32 v4, v72, v11
	v_fma_f32 v4, v71, v21, -v4
	v_add_f32_e32 v3, v3, v4
	v_mul_f32_e32 v4, v74, v10
	v_fma_f32 v4, v73, v17, -v4
	s_waitcnt vmcnt(45) lgkmcnt(1)
	v_mul_f32_e32 v123, v111, v177
	v_add_f32_e32 v3, v3, v4
	v_mul_f32_e32 v4, v76, v13
	s_waitcnt vmcnt(44)
	v_fmac_f32_e32 v123, v112, v178
	buffer_load_dword v223, off, s[0:3], 0 offset:448
	buffer_load_dword v224, off, s[0:3], 0 offset:452
	v_fma_f32 v4, v75, v15, -v4
	v_add_f32_e32 v122, v122, v123
	s_waitcnt vmcnt(44)
	v_mul_f32_e32 v123, v113, v180
	v_add_f32_e32 v3, v3, v4
	v_mul_f32_e32 v4, v78, v18
	v_fmac_f32_e32 v123, v114, v179
	v_fma_f32 v4, v77, v34, -v4
	v_add_f32_e32 v122, v122, v123
	s_waitcnt vmcnt(42) lgkmcnt(0)
	v_mul_f32_e32 v123, v115, v182
	v_add_f32_e32 v3, v3, v4
	v_mul_f32_e32 v4, v80, v33
	v_fmac_f32_e32 v123, v116, v181
	v_fma_f32 v4, v79, v31, -v4
	v_add_f32_e32 v126, v122, v123
	ds_read2_b64 v[122:125], v26 offset0:99 offset1:100
	buffer_load_dword v225, off, s[0:3], 0 offset:456
	buffer_load_dword v226, off, s[0:3], 0 offset:460
	;; [unrolled: 1-line block ×6, first 2 shown]
	v_add_f32_e32 v3, v3, v4
	v_mul_f32_e32 v4, v82, v32
	v_fma_f32 v4, v81, v29, -v4
	v_add_f32_e32 v3, v3, v4
	v_mul_f32_e32 v4, v84, v30
	s_waitcnt vmcnt(46)
	v_mul_f32_e32 v127, v117, v184
	v_fma_f32 v4, v83, v28, -v4
	v_fmac_f32_e32 v127, v118, v183
	v_add_f32_e32 v3, v3, v4
	v_mul_f32_e32 v4, v86, v36
	v_add_f32_e32 v130, v126, v127
	ds_read2_b64 v[126:129], v26 offset0:101 offset1:102
	buffer_load_dword v231, off, s[0:3], 0 offset:484
	buffer_load_dword v232, off, s[0:3], 0 offset:488
	buffer_load_dword v233, off, s[0:3], 0 offset:492
	buffer_load_dword v244, off, s[0:3], 0 offset:480
	v_fma_f32 v4, v85, v35, -v4
	v_add_f32_e32 v3, v3, v4
	v_mul_f32_e32 v4, v88, v38
	v_fma_f32 v4, v87, v37, -v4
	v_add_f32_e32 v3, v3, v4
	v_mul_f32_e32 v4, v90, v40
	;; [unrolled: 3-line block ×8, first 2 shown]
	v_fma_f32 v4, v101, v51, -v4
	s_waitcnt vmcnt(48) lgkmcnt(1)
	v_mul_f32_e32 v131, v122, v186
	v_add_f32_e32 v3, v3, v4
	v_mul_f32_e32 v4, v104, v54
	v_fmac_f32_e32 v131, v123, v185
	v_fma_f32 v4, v103, v53, -v4
	v_add_f32_e32 v130, v130, v131
	s_waitcnt vmcnt(47)
	v_mul_f32_e32 v131, v124, v187
	v_add_f32_e32 v3, v3, v4
	v_mul_f32_e32 v4, v106, v119
	s_waitcnt vmcnt(44)
	v_fmac_f32_e32 v131, v125, v190
	v_fma_f32 v4, v105, v172, -v4
	v_add_f32_e32 v130, v130, v131
	s_waitcnt lgkmcnt(0)
	v_mul_f32_e32 v131, v126, v189
	v_add_f32_e32 v3, v3, v4
	v_mul_f32_e32 v4, v108, v174
	v_fmac_f32_e32 v131, v127, v188
	v_fma_f32 v4, v107, v173, -v4
	v_add_f32_e32 v134, v130, v131
	ds_read2_b64 v[130:133], v26 offset0:103 offset1:104
	v_add_f32_e32 v3, v3, v4
	v_mul_f32_e32 v4, v110, v176
	v_fma_f32 v4, v109, v175, -v4
	s_waitcnt vmcnt(42)
	v_mul_f32_e32 v135, v128, v192
	v_add_f32_e32 v3, v3, v4
	v_mul_f32_e32 v4, v112, v177
	v_fmac_f32_e32 v135, v129, v191
	v_fma_f32 v4, v111, v178, -v4
	v_add_f32_e32 v138, v134, v135
	ds_read2_b64 v[134:137], v26 offset0:105 offset1:106
	v_add_f32_e32 v3, v3, v4
	v_mul_f32_e32 v4, v114, v180
	s_waitcnt vmcnt(40) lgkmcnt(1)
	v_mul_f32_e32 v139, v130, v194
	v_fma_f32 v4, v113, v179, -v4
	v_fmac_f32_e32 v139, v131, v193
	v_add_f32_e32 v3, v3, v4
	v_mul_f32_e32 v4, v116, v182
	v_add_f32_e32 v138, v138, v139
	s_waitcnt vmcnt(39)
	v_mul_f32_e32 v139, v132, v195
	v_fma_f32 v4, v115, v181, -v4
	s_waitcnt vmcnt(36)
	v_fmac_f32_e32 v139, v133, v198
	v_add_f32_e32 v3, v3, v4
	v_mul_f32_e32 v4, v118, v184
	v_add_f32_e32 v138, v138, v139
	s_waitcnt lgkmcnt(0)
	v_mul_f32_e32 v139, v134, v197
	v_fma_f32 v4, v117, v183, -v4
	v_fmac_f32_e32 v139, v135, v196
	v_add_f32_e32 v3, v3, v4
	v_mul_f32_e32 v4, v123, v186
	v_add_f32_e32 v142, v138, v139
	ds_read2_b64 v[138:141], v26 offset0:107 offset1:108
	v_fma_f32 v4, v122, v185, -v4
	v_add_f32_e32 v3, v3, v4
	v_mul_f32_e32 v4, v125, v187
	s_waitcnt vmcnt(34)
	v_mul_f32_e32 v143, v136, v200
	v_fma_f32 v4, v124, v190, -v4
	v_fmac_f32_e32 v143, v137, v199
	v_add_f32_e32 v3, v3, v4
	v_mul_f32_e32 v4, v127, v189
	v_add_f32_e32 v146, v142, v143
	ds_read2_b64 v[142:145], v26 offset0:109 offset1:110
	v_fma_f32 v4, v126, v188, -v4
	s_waitcnt vmcnt(32) lgkmcnt(1)
	v_mul_f32_e32 v147, v138, v202
	v_add_f32_e32 v3, v3, v4
	v_mul_f32_e32 v4, v129, v192
	v_fmac_f32_e32 v147, v139, v201
	v_fma_f32 v4, v128, v191, -v4
	v_add_f32_e32 v146, v146, v147
	s_waitcnt vmcnt(31)
	v_mul_f32_e32 v147, v140, v203
	v_add_f32_e32 v3, v3, v4
	v_mul_f32_e32 v4, v131, v194
	s_waitcnt vmcnt(28)
	v_fmac_f32_e32 v147, v141, v206
	v_fma_f32 v4, v130, v193, -v4
	v_add_f32_e32 v146, v146, v147
	s_waitcnt lgkmcnt(0)
	v_mul_f32_e32 v147, v142, v205
	v_add_f32_e32 v3, v3, v4
	v_mul_f32_e32 v4, v133, v195
	v_fmac_f32_e32 v147, v143, v204
	v_fma_f32 v4, v132, v198, -v4
	v_add_f32_e32 v150, v146, v147
	ds_read2_b64 v[146:149], v26 offset0:111 offset1:112
	v_add_f32_e32 v3, v3, v4
	v_mul_f32_e32 v4, v135, v197
	v_fma_f32 v4, v134, v196, -v4
	s_waitcnt vmcnt(26)
	v_mul_f32_e32 v151, v144, v208
	v_add_f32_e32 v3, v3, v4
	v_mul_f32_e32 v4, v137, v200
	v_fmac_f32_e32 v151, v145, v207
	v_fma_f32 v4, v136, v199, -v4
	v_add_f32_e32 v154, v150, v151
	ds_read2_b64 v[150:153], v26 offset0:113 offset1:114
	v_add_f32_e32 v3, v3, v4
	v_mul_f32_e32 v4, v139, v202
	s_waitcnt vmcnt(24) lgkmcnt(1)
	v_mul_f32_e32 v155, v146, v210
	v_fma_f32 v4, v138, v201, -v4
	v_fmac_f32_e32 v155, v147, v209
	v_add_f32_e32 v3, v3, v4
	v_mul_f32_e32 v4, v141, v203
	v_add_f32_e32 v154, v154, v155
	s_waitcnt vmcnt(23)
	v_mul_f32_e32 v155, v148, v211
	v_fma_f32 v4, v140, v206, -v4
	s_waitcnt vmcnt(20)
	v_fmac_f32_e32 v155, v149, v214
	v_add_f32_e32 v3, v3, v4
	v_mul_f32_e32 v4, v143, v205
	v_add_f32_e32 v154, v154, v155
	s_waitcnt lgkmcnt(0)
	v_mul_f32_e32 v155, v150, v213
	v_fma_f32 v4, v142, v204, -v4
	v_fmac_f32_e32 v155, v151, v212
	v_add_f32_e32 v3, v3, v4
	v_mul_f32_e32 v4, v145, v208
	v_add_f32_e32 v158, v154, v155
	ds_read2_b64 v[154:157], v26 offset0:115 offset1:116
	v_fma_f32 v4, v144, v207, -v4
	v_add_f32_e32 v3, v3, v4
	v_mul_f32_e32 v4, v147, v210
	s_waitcnt vmcnt(18)
	v_mul_f32_e32 v159, v152, v216
	v_fma_f32 v4, v146, v209, -v4
	v_fmac_f32_e32 v159, v153, v215
	v_add_f32_e32 v3, v3, v4
	v_mul_f32_e32 v4, v149, v211
	v_add_f32_e32 v162, v158, v159
	ds_read2_b64 v[158:161], v26 offset0:117 offset1:118
	v_fma_f32 v4, v148, v214, -v4
	s_waitcnt vmcnt(16) lgkmcnt(1)
	v_mul_f32_e32 v163, v154, v218
	v_add_f32_e32 v3, v3, v4
	v_mul_f32_e32 v4, v151, v213
	v_fmac_f32_e32 v163, v155, v217
	v_fma_f32 v4, v150, v212, -v4
	v_add_f32_e32 v162, v162, v163
	s_waitcnt vmcnt(15)
	v_mul_f32_e32 v163, v156, v219
	v_add_f32_e32 v3, v3, v4
	v_mul_f32_e32 v4, v153, v216
	s_waitcnt vmcnt(12)
	v_fmac_f32_e32 v163, v157, v222
	v_fma_f32 v4, v152, v215, -v4
	v_add_f32_e32 v162, v162, v163
	s_waitcnt lgkmcnt(0)
	v_mul_f32_e32 v163, v158, v221
	v_add_f32_e32 v3, v3, v4
	v_mul_f32_e32 v4, v155, v218
	v_fmac_f32_e32 v163, v159, v220
	v_fma_f32 v4, v154, v217, -v4
	v_add_f32_e32 v166, v162, v163
	ds_read2_b64 v[162:165], v26 offset0:119 offset1:120
	v_add_f32_e32 v3, v3, v4
	v_mul_f32_e32 v4, v157, v219
	v_fma_f32 v4, v156, v222, -v4
	v_add_f32_e32 v3, v3, v4
	v_mul_f32_e32 v4, v159, v221
	s_waitcnt vmcnt(10)
	v_mul_f32_e32 v167, v160, v224
	v_fma_f32 v4, v158, v220, -v4
	v_fmac_f32_e32 v167, v161, v223
	v_add_f32_e32 v3, v3, v4
	v_mul_f32_e32 v4, v161, v224
	v_add_f32_e32 v170, v166, v167
	ds_read2_b64 v[166:169], v26 offset0:121 offset1:122
	s_waitcnt vmcnt(8) lgkmcnt(1)
	v_mul_f32_e32 v171, v162, v226
	v_fma_f32 v4, v160, v223, -v4
	v_fmac_f32_e32 v171, v163, v225
	v_add_f32_e32 v3, v3, v4
	v_mul_f32_e32 v4, v163, v226
	v_add_f32_e32 v170, v170, v171
	s_waitcnt vmcnt(7)
	v_mul_f32_e32 v171, v164, v227
	v_fma_f32 v4, v162, v225, -v4
	s_waitcnt vmcnt(4)
	v_fmac_f32_e32 v171, v165, v230
	v_add_f32_e32 v3, v3, v4
	v_mul_f32_e32 v4, v165, v227
	v_add_f32_e32 v245, v170, v171
	ds_read_b64 v[170:171], v26 offset:984
	v_fma_f32 v4, v164, v230, -v4
	v_add_f32_e32 v3, v3, v4
	s_waitcnt lgkmcnt(1)
	v_mul_f32_e32 v4, v167, v229
	v_mul_f32_e32 v246, v166, v229
	v_fma_f32 v4, v166, v228, -v4
	v_fmac_f32_e32 v246, v167, v228
	v_add_f32_e32 v3, v3, v4
	s_waitcnt vmcnt(3)
	v_mul_f32_e32 v4, v169, v231
	v_add_f32_e32 v245, v245, v246
	v_mul_f32_e32 v246, v168, v231
	s_waitcnt vmcnt(0)
	v_fma_f32 v4, v168, v244, -v4
	v_fmac_f32_e32 v246, v169, v244
	v_add_f32_e32 v3, v3, v4
	s_waitcnt lgkmcnt(0)
	v_mul_f32_e32 v4, v171, v233
	v_add_f32_e32 v245, v245, v246
	v_mul_f32_e32 v246, v170, v233
	v_fma_f32 v4, v170, v232, -v4
	v_fmac_f32_e32 v246, v171, v232
	v_add_f32_e32 v3, v3, v4
	v_add_f32_e32 v245, v245, v246
	v_sub_f32_e32 v1, v1, v3
	v_sub_f32_e32 v2, v2, v245
	buffer_store_dword v1, off, s[0:3], 0 offset:32
	buffer_store_dword v2, off, s[0:3], 0 offset:36
	s_and_saveexec_b64 s[4:5], vcc
	s_cbranch_execz .LBB61_379
; %bb.378:
	buffer_load_dword v1, off, s[0:3], 0 offset:24
	buffer_load_dword v2, off, s[0:3], 0 offset:28
	s_waitcnt vmcnt(0)
	ds_write_b64 v25, v[1:2]
	buffer_store_dword v26, off, s[0:3], 0 offset:24
	buffer_store_dword v26, off, s[0:3], 0 offset:28
.LBB61_379:
	s_or_b64 exec, exec, s[4:5]
	s_waitcnt lgkmcnt(0)
	; wave barrier
	buffer_load_dword v35, off, s[0:3], 0 offset:36
	buffer_load_dword v34, off, s[0:3], 0 offset:44
	;; [unrolled: 1-line block ×34, first 2 shown]
	ds_read_b128 v[17:20], v26 offset:528
	ds_read_b128 v[9:12], v26 offset:544
	;; [unrolled: 1-line block ×4, first 2 shown]
	buffer_load_dword v61, off, s[0:3], 0 offset:164
	buffer_load_dword v62, off, s[0:3], 0 offset:168
	;; [unrolled: 1-line block ×6, first 2 shown]
	ds_read_b128 v[21:24], v26 offset:592
	ds_read_b128 v[13:16], v26 offset:608
	buffer_load_dword v66, off, s[0:3], 0 offset:184
	buffer_load_dword v68, off, s[0:3], 0 offset:188
	;; [unrolled: 1-line block ×16, first 2 shown]
	v_cmp_lt_u32_e32 vcc, 2, v0
	s_waitcnt vmcnt(55) lgkmcnt(5)
	v_mul_f32_e32 v80, v17, v35
	s_waitcnt vmcnt(54)
	v_mul_f32_e32 v81, v19, v34
	s_waitcnt vmcnt(53) lgkmcnt(4)
	v_mul_f32_e32 v82, v9, v33
	s_waitcnt vmcnt(52)
	v_mul_f32_e32 v83, v11, v32
	;; [unrolled: 4-line block ×4, first 2 shown]
	s_waitcnt vmcnt(47) lgkmcnt(1)
	v_mul_f32_e32 v88, v21, v37
	s_waitcnt vmcnt(46)
	v_fmac_f32_e32 v82, v10, v40
	s_waitcnt vmcnt(45)
	v_fmac_f32_e32 v81, v20, v43
	;; [unrolled: 2-line block ×3, first 2 shown]
	v_add_f32_e32 v80, 0, v80
	v_add_f32_e32 v80, v80, v81
	;; [unrolled: 1-line block ×3, first 2 shown]
	s_waitcnt vmcnt(40)
	v_fmac_f32_e32 v83, v12, v44
	v_fmac_f32_e32 v84, v6, v41
	v_add_f32_e32 v80, v80, v83
	v_fmac_f32_e32 v85, v8, v39
	v_add_f32_e32 v80, v80, v84
	;; [unrolled: 2-line block ×3, first 2 shown]
	s_waitcnt vmcnt(36)
	v_fmac_f32_e32 v87, v4, v51
	v_add_f32_e32 v80, v80, v86
	v_fmac_f32_e32 v88, v22, v48
	v_add_f32_e32 v80, v80, v87
	s_waitcnt vmcnt(35)
	v_mul_f32_e32 v81, v23, v49
	v_add_f32_e32 v80, v80, v88
	v_fmac_f32_e32 v81, v24, v45
	v_add_f32_e32 v80, v80, v81
	s_waitcnt vmcnt(34) lgkmcnt(0)
	v_mul_f32_e32 v81, v13, v47
	v_fmac_f32_e32 v81, v14, v42
	v_add_f32_e32 v84, v80, v81
	ds_read_b128 v[80:83], v26 offset:624
	buffer_load_dword v177, off, s[0:3], 0 offset:248
	buffer_load_dword v178, off, s[0:3], 0 offset:252
	s_waitcnt vmcnt(35)
	v_mul_f32_e32 v85, v15, v50
	s_waitcnt vmcnt(31)
	v_fmac_f32_e32 v85, v16, v58
	v_add_f32_e32 v88, v84, v85
	ds_read_b128 v[84:87], v26 offset:640
	s_waitcnt vmcnt(30) lgkmcnt(1)
	v_mul_f32_e32 v89, v80, v57
	v_fmac_f32_e32 v89, v81, v55
	v_add_f32_e32 v88, v88, v89
	s_waitcnt vmcnt(29)
	v_mul_f32_e32 v89, v82, v56
	v_fmac_f32_e32 v89, v83, v53
	buffer_load_dword v179, off, s[0:3], 0 offset:256
	buffer_load_dword v180, off, s[0:3], 0 offset:260
	v_add_f32_e32 v88, v88, v89
	s_waitcnt vmcnt(30) lgkmcnt(0)
	v_mul_f32_e32 v89, v84, v54
	v_fmac_f32_e32 v89, v85, v52
	s_waitcnt vmcnt(26)
	v_mul_f32_e32 v93, v86, v60
	v_add_f32_e32 v92, v88, v89
	v_fmac_f32_e32 v93, v87, v59
	ds_read_b128 v[88:91], v26 offset:656
	v_add_f32_e32 v96, v92, v93
	ds_read_b128 v[92:95], v26 offset:672
	buffer_load_dword v181, off, s[0:3], 0 offset:268
	buffer_load_dword v182, off, s[0:3], 0 offset:264
	;; [unrolled: 1-line block ×6, first 2 shown]
	s_waitcnt vmcnt(31) lgkmcnt(1)
	v_mul_f32_e32 v97, v88, v61
	s_waitcnt vmcnt(26)
	v_fmac_f32_e32 v97, v89, v67
	v_add_f32_e32 v96, v96, v97
	v_mul_f32_e32 v97, v90, v63
	v_fmac_f32_e32 v97, v91, v62
	v_add_f32_e32 v96, v96, v97
	s_waitcnt lgkmcnt(0)
	v_mul_f32_e32 v97, v92, v65
	v_fmac_f32_e32 v97, v93, v64
	v_add_f32_e32 v100, v96, v97
	ds_read_b128 v[96:99], v26 offset:688
	s_waitcnt vmcnt(24)
	v_mul_f32_e32 v101, v94, v68
	v_fmac_f32_e32 v101, v95, v66
	v_add_f32_e32 v104, v100, v101
	ds_read_b128 v[100:103], v26 offset:704
	s_waitcnt vmcnt(22) lgkmcnt(1)
	v_mul_f32_e32 v105, v96, v70
	v_fmac_f32_e32 v105, v97, v69
	buffer_load_dword v187, off, s[0:3], 0 offset:292
	v_add_f32_e32 v104, v104, v105
	s_waitcnt vmcnt(21)
	v_mul_f32_e32 v105, v98, v72
	v_fmac_f32_e32 v105, v99, v71
	v_add_f32_e32 v104, v104, v105
	s_waitcnt vmcnt(19) lgkmcnt(0)
	v_mul_f32_e32 v105, v100, v74
	buffer_load_dword v188, off, s[0:3], 0 offset:288
	buffer_load_dword v189, off, s[0:3], 0 offset:296
	;; [unrolled: 1-line block ×3, first 2 shown]
	v_fmac_f32_e32 v105, v101, v73
	v_add_f32_e32 v108, v104, v105
	ds_read_b128 v[104:107], v26 offset:720
	buffer_load_dword v191, off, s[0:3], 0 offset:304
	buffer_load_dword v192, off, s[0:3], 0 offset:308
	s_waitcnt vmcnt(22)
	v_mul_f32_e32 v109, v102, v76
	v_fmac_f32_e32 v109, v103, v75
	v_add_f32_e32 v112, v108, v109
	ds_read_b128 v[108:111], v26 offset:736
	buffer_load_dword v193, off, s[0:3], 0 offset:312
	buffer_load_dword v194, off, s[0:3], 0 offset:316
	;; [unrolled: 1-line block ×8, first 2 shown]
	s_waitcnt vmcnt(28) lgkmcnt(1)
	v_mul_f32_e32 v113, v104, v78
	buffer_load_dword v201, off, s[0:3], 0 offset:344
	buffer_load_dword v202, off, s[0:3], 0 offset:348
	v_fmac_f32_e32 v113, v105, v77
	v_add_f32_e32 v112, v112, v113
	s_waitcnt vmcnt(28)
	v_mul_f32_e32 v113, v106, v174
	v_fmac_f32_e32 v113, v107, v79
	v_add_f32_e32 v112, v112, v113
	s_waitcnt vmcnt(26) lgkmcnt(0)
	v_mul_f32_e32 v113, v108, v176
	v_fmac_f32_e32 v113, v109, v175
	v_add_f32_e32 v116, v112, v113
	ds_read_b128 v[112:115], v26 offset:752
	buffer_load_dword v203, off, s[0:3], 0 offset:352
	buffer_load_dword v204, off, s[0:3], 0 offset:356
	;; [unrolled: 1-line block ×6, first 2 shown]
	v_mul_f32_e32 v18, v18, v35
	v_fma_f32 v17, v17, v46, -v18
	v_mul_f32_e32 v18, v20, v34
	v_add_f32_e32 v17, 0, v17
	v_fma_f32 v18, v19, v43, -v18
	v_mul_f32_e32 v10, v10, v33
	v_add_f32_e32 v17, v17, v18
	;; [unrolled: 3-line block ×4, first 2 shown]
	s_waitcnt vmcnt(30)
	v_mul_f32_e32 v117, v110, v178
	v_fmac_f32_e32 v117, v111, v177
	v_add_f32_e32 v122, v116, v117
	ds_read_b128 v[116:119], v26 offset:768
	buffer_load_dword v209, off, s[0:3], 0 offset:376
	buffer_load_dword v210, off, s[0:3], 0 offset:380
	;; [unrolled: 1-line block ×10, first 2 shown]
	v_fma_f32 v5, v5, v41, -v6
	v_mul_f32_e32 v6, v8, v30
	v_add_f32_e32 v5, v9, v5
	v_fma_f32 v6, v7, v39, -v6
	v_mul_f32_e32 v2, v2, v29
	v_add_f32_e32 v5, v5, v6
	v_fma_f32 v1, v1, v38, -v2
	v_mul_f32_e32 v2, v4, v36
	s_waitcnt vmcnt(38) lgkmcnt(1)
	v_mul_f32_e32 v123, v112, v180
	buffer_load_dword v219, off, s[0:3], 0 offset:416
	buffer_load_dword v220, off, s[0:3], 0 offset:420
	;; [unrolled: 1-line block ×6, first 2 shown]
	v_add_f32_e32 v1, v5, v1
	v_fma_f32 v2, v3, v51, -v2
	v_fmac_f32_e32 v123, v113, v179
	v_add_f32_e32 v1, v1, v2
	v_mul_f32_e32 v2, v22, v37
	v_add_f32_e32 v122, v122, v123
	s_waitcnt vmcnt(43)
	v_mul_f32_e32 v123, v114, v181
	v_fma_f32 v2, v21, v48, -v2
	s_waitcnt vmcnt(42)
	v_fmac_f32_e32 v123, v115, v182
	v_add_f32_e32 v1, v1, v2
	v_mul_f32_e32 v2, v24, v49
	v_add_f32_e32 v122, v122, v123
	s_waitcnt vmcnt(40) lgkmcnt(0)
	v_mul_f32_e32 v123, v116, v184
	v_fma_f32 v2, v23, v45, -v2
	v_fmac_f32_e32 v123, v117, v183
	v_add_f32_e32 v1, v1, v2
	v_mul_f32_e32 v2, v14, v47
	v_add_f32_e32 v126, v122, v123
	ds_read_b128 v[122:125], v26 offset:784
	buffer_load_dword v225, off, s[0:3], 0 offset:440
	buffer_load_dword v226, off, s[0:3], 0 offset:444
	v_fma_f32 v2, v13, v42, -v2
	v_add_f32_e32 v1, v1, v2
	v_mul_f32_e32 v2, v16, v50
	v_fma_f32 v2, v15, v58, -v2
	s_waitcnt vmcnt(40)
	v_mul_f32_e32 v127, v118, v186
	v_add_f32_e32 v1, v1, v2
	v_mul_f32_e32 v2, v81, v57
	v_fmac_f32_e32 v127, v119, v185
	v_fma_f32 v2, v80, v55, -v2
	v_add_f32_e32 v130, v126, v127
	ds_read_b128 v[126:129], v26 offset:800
	buffer_load_dword v227, off, s[0:3], 0 offset:448
	buffer_load_dword v228, off, s[0:3], 0 offset:452
	buffer_load_dword v229, off, s[0:3], 0 offset:460
	buffer_load_dword v230, off, s[0:3], 0 offset:464
	buffer_load_dword v231, off, s[0:3], 0 offset:468
	buffer_load_dword v232, off, s[0:3], 0 offset:456
	v_add_f32_e32 v1, v1, v2
	v_mul_f32_e32 v2, v83, v56
	v_fma_f32 v2, v82, v53, -v2
	v_add_f32_e32 v1, v1, v2
	v_mul_f32_e32 v2, v85, v54
	v_fma_f32 v2, v84, v52, -v2
	v_add_f32_e32 v1, v1, v2
	v_mul_f32_e32 v2, v87, v60
	v_fma_f32 v2, v86, v59, -v2
	v_add_f32_e32 v1, v1, v2
	v_mul_f32_e32 v2, v89, v61
	buffer_load_dword v233, off, s[0:3], 0 offset:472
	buffer_load_dword v244, off, s[0:3], 0 offset:476
	buffer_load_dword v245, off, s[0:3], 0 offset:484
	buffer_load_dword v246, off, s[0:3], 0 offset:488
	buffer_load_dword v247, off, s[0:3], 0 offset:492
	buffer_load_dword v248, off, s[0:3], 0 offset:480
	v_fma_f32 v2, v88, v67, -v2
	v_add_f32_e32 v1, v1, v2
	v_mul_f32_e32 v2, v91, v63
	v_fma_f32 v2, v90, v62, -v2
	v_add_f32_e32 v1, v1, v2
	v_mul_f32_e32 v2, v93, v65
	v_fma_f32 v2, v92, v64, -v2
	v_add_f32_e32 v1, v1, v2
	v_mul_f32_e32 v2, v95, v68
	v_fma_f32 v2, v94, v66, -v2
	v_add_f32_e32 v1, v1, v2
	v_mul_f32_e32 v2, v97, v70
	v_fma_f32 v2, v96, v69, -v2
	v_add_f32_e32 v1, v1, v2
	v_mul_f32_e32 v2, v99, v72
	v_fma_f32 v2, v98, v71, -v2
	v_add_f32_e32 v1, v1, v2
	v_mul_f32_e32 v2, v101, v74
	v_fma_f32 v2, v100, v73, -v2
	v_add_f32_e32 v1, v1, v2
	v_mul_f32_e32 v2, v103, v76
	v_fma_f32 v2, v102, v75, -v2
	s_waitcnt vmcnt(51) lgkmcnt(1)
	v_mul_f32_e32 v131, v122, v187
	v_add_f32_e32 v1, v1, v2
	v_mul_f32_e32 v2, v105, v78
	s_waitcnt vmcnt(50)
	v_fmac_f32_e32 v131, v123, v188
	v_fma_f32 v2, v104, v77, -v2
	v_add_f32_e32 v130, v130, v131
	s_waitcnt vmcnt(48)
	v_mul_f32_e32 v131, v124, v190
	v_add_f32_e32 v1, v1, v2
	v_mul_f32_e32 v2, v107, v174
	v_fmac_f32_e32 v131, v125, v189
	v_fma_f32 v2, v106, v79, -v2
	v_add_f32_e32 v130, v130, v131
	s_waitcnt vmcnt(46) lgkmcnt(0)
	v_mul_f32_e32 v131, v126, v192
	v_add_f32_e32 v1, v1, v2
	v_mul_f32_e32 v2, v109, v176
	v_fmac_f32_e32 v131, v127, v191
	v_fma_f32 v2, v108, v175, -v2
	v_add_f32_e32 v134, v130, v131
	ds_read_b128 v[130:133], v26 offset:816
	v_add_f32_e32 v1, v1, v2
	v_mul_f32_e32 v2, v111, v178
	v_fma_f32 v2, v110, v177, -v2
	s_waitcnt vmcnt(44)
	v_mul_f32_e32 v135, v128, v194
	v_add_f32_e32 v1, v1, v2
	v_mul_f32_e32 v2, v113, v180
	v_fmac_f32_e32 v135, v129, v193
	v_fma_f32 v2, v112, v179, -v2
	v_add_f32_e32 v138, v134, v135
	ds_read_b128 v[134:137], v26 offset:832
	v_add_f32_e32 v1, v1, v2
	v_mul_f32_e32 v2, v115, v181
	s_waitcnt vmcnt(42) lgkmcnt(1)
	v_mul_f32_e32 v139, v130, v196
	v_fma_f32 v2, v114, v182, -v2
	v_fmac_f32_e32 v139, v131, v195
	v_add_f32_e32 v1, v1, v2
	v_mul_f32_e32 v2, v117, v184
	v_add_f32_e32 v138, v138, v139
	s_waitcnt vmcnt(41)
	v_mul_f32_e32 v139, v132, v197
	v_fma_f32 v2, v116, v183, -v2
	s_waitcnt vmcnt(38)
	v_fmac_f32_e32 v139, v133, v200
	v_add_f32_e32 v1, v1, v2
	v_mul_f32_e32 v2, v119, v186
	v_add_f32_e32 v138, v138, v139
	s_waitcnt lgkmcnt(0)
	v_mul_f32_e32 v139, v134, v199
	v_fma_f32 v2, v118, v185, -v2
	v_fmac_f32_e32 v139, v135, v198
	v_add_f32_e32 v1, v1, v2
	v_mul_f32_e32 v2, v123, v187
	v_add_f32_e32 v142, v138, v139
	ds_read_b128 v[138:141], v26 offset:848
	v_fma_f32 v2, v122, v188, -v2
	v_add_f32_e32 v1, v1, v2
	v_mul_f32_e32 v2, v125, v190
	s_waitcnt vmcnt(36)
	v_mul_f32_e32 v143, v136, v202
	v_fma_f32 v2, v124, v189, -v2
	v_fmac_f32_e32 v143, v137, v201
	v_add_f32_e32 v1, v1, v2
	v_mul_f32_e32 v2, v127, v192
	v_add_f32_e32 v146, v142, v143
	ds_read_b128 v[142:145], v26 offset:864
	v_fma_f32 v2, v126, v191, -v2
	s_waitcnt vmcnt(34) lgkmcnt(1)
	v_mul_f32_e32 v147, v138, v204
	v_add_f32_e32 v1, v1, v2
	v_mul_f32_e32 v2, v129, v194
	v_fmac_f32_e32 v147, v139, v203
	v_fma_f32 v2, v128, v193, -v2
	v_add_f32_e32 v146, v146, v147
	s_waitcnt vmcnt(33)
	v_mul_f32_e32 v147, v140, v205
	v_add_f32_e32 v1, v1, v2
	v_mul_f32_e32 v2, v131, v196
	s_waitcnt vmcnt(30)
	v_fmac_f32_e32 v147, v141, v208
	v_fma_f32 v2, v130, v195, -v2
	v_add_f32_e32 v146, v146, v147
	s_waitcnt lgkmcnt(0)
	v_mul_f32_e32 v147, v142, v207
	v_add_f32_e32 v1, v1, v2
	v_mul_f32_e32 v2, v133, v197
	v_fmac_f32_e32 v147, v143, v206
	v_fma_f32 v2, v132, v200, -v2
	v_add_f32_e32 v150, v146, v147
	ds_read_b128 v[146:149], v26 offset:880
	v_add_f32_e32 v1, v1, v2
	v_mul_f32_e32 v2, v135, v199
	v_fma_f32 v2, v134, v198, -v2
	s_waitcnt vmcnt(28)
	v_mul_f32_e32 v151, v144, v210
	v_add_f32_e32 v1, v1, v2
	v_mul_f32_e32 v2, v137, v202
	v_fmac_f32_e32 v151, v145, v209
	v_fma_f32 v2, v136, v201, -v2
	v_add_f32_e32 v154, v150, v151
	ds_read_b128 v[150:153], v26 offset:896
	v_add_f32_e32 v1, v1, v2
	v_mul_f32_e32 v2, v139, v204
	s_waitcnt vmcnt(26) lgkmcnt(1)
	v_mul_f32_e32 v155, v146, v212
	v_fma_f32 v2, v138, v203, -v2
	v_fmac_f32_e32 v155, v147, v211
	v_add_f32_e32 v1, v1, v2
	v_mul_f32_e32 v2, v141, v205
	v_add_f32_e32 v154, v154, v155
	s_waitcnt vmcnt(25)
	v_mul_f32_e32 v155, v148, v213
	v_fma_f32 v2, v140, v208, -v2
	s_waitcnt vmcnt(22)
	v_fmac_f32_e32 v155, v149, v216
	v_add_f32_e32 v1, v1, v2
	v_mul_f32_e32 v2, v143, v207
	v_add_f32_e32 v154, v154, v155
	s_waitcnt lgkmcnt(0)
	v_mul_f32_e32 v155, v150, v215
	v_fma_f32 v2, v142, v206, -v2
	v_fmac_f32_e32 v155, v151, v214
	v_add_f32_e32 v1, v1, v2
	v_mul_f32_e32 v2, v145, v210
	v_add_f32_e32 v158, v154, v155
	ds_read_b128 v[154:157], v26 offset:912
	v_fma_f32 v2, v144, v209, -v2
	v_add_f32_e32 v1, v1, v2
	v_mul_f32_e32 v2, v147, v212
	s_waitcnt vmcnt(20)
	v_mul_f32_e32 v159, v152, v218
	v_fma_f32 v2, v146, v211, -v2
	v_fmac_f32_e32 v159, v153, v217
	v_add_f32_e32 v1, v1, v2
	v_mul_f32_e32 v2, v149, v213
	v_add_f32_e32 v162, v158, v159
	ds_read_b128 v[158:161], v26 offset:928
	v_fma_f32 v2, v148, v216, -v2
	s_waitcnt vmcnt(18) lgkmcnt(1)
	v_mul_f32_e32 v163, v154, v220
	v_add_f32_e32 v1, v1, v2
	v_mul_f32_e32 v2, v151, v215
	v_fmac_f32_e32 v163, v155, v219
	v_fma_f32 v2, v150, v214, -v2
	v_add_f32_e32 v162, v162, v163
	s_waitcnt vmcnt(17)
	v_mul_f32_e32 v163, v156, v221
	v_add_f32_e32 v1, v1, v2
	v_mul_f32_e32 v2, v153, v218
	s_waitcnt vmcnt(14)
	v_fmac_f32_e32 v163, v157, v224
	v_fma_f32 v2, v152, v217, -v2
	v_add_f32_e32 v162, v162, v163
	s_waitcnt lgkmcnt(0)
	v_mul_f32_e32 v163, v158, v223
	v_add_f32_e32 v1, v1, v2
	v_mul_f32_e32 v2, v155, v220
	v_fmac_f32_e32 v163, v159, v222
	v_fma_f32 v2, v154, v219, -v2
	v_add_f32_e32 v166, v162, v163
	ds_read_b128 v[162:165], v26 offset:944
	v_add_f32_e32 v1, v1, v2
	v_mul_f32_e32 v2, v157, v221
	v_fma_f32 v2, v156, v224, -v2
	v_add_f32_e32 v1, v1, v2
	v_mul_f32_e32 v2, v159, v223
	s_waitcnt vmcnt(12)
	v_mul_f32_e32 v167, v160, v226
	v_fma_f32 v2, v158, v222, -v2
	v_fmac_f32_e32 v167, v161, v225
	v_add_f32_e32 v1, v1, v2
	v_mul_f32_e32 v2, v161, v226
	v_add_f32_e32 v170, v166, v167
	ds_read_b128 v[166:169], v26 offset:960
	s_waitcnt vmcnt(10) lgkmcnt(1)
	v_mul_f32_e32 v171, v162, v228
	v_fma_f32 v2, v160, v225, -v2
	v_fmac_f32_e32 v171, v163, v227
	v_add_f32_e32 v1, v1, v2
	v_mul_f32_e32 v2, v163, v228
	v_add_f32_e32 v170, v170, v171
	s_waitcnt vmcnt(9)
	v_mul_f32_e32 v171, v164, v229
	v_fma_f32 v2, v162, v227, -v2
	s_waitcnt vmcnt(6)
	v_fmac_f32_e32 v171, v165, v232
	v_add_f32_e32 v1, v1, v2
	v_mul_f32_e32 v2, v165, v229
	v_add_f32_e32 v249, v170, v171
	ds_read_b128 v[170:173], v26 offset:976
	v_fma_f32 v2, v164, v232, -v2
	v_add_f32_e32 v1, v1, v2
	s_waitcnt lgkmcnt(1)
	v_mul_f32_e32 v2, v167, v231
	v_mul_f32_e32 v250, v166, v231
	v_fma_f32 v2, v166, v230, -v2
	v_fmac_f32_e32 v250, v167, v230
	v_add_f32_e32 v1, v1, v2
	s_waitcnt vmcnt(4)
	v_mul_f32_e32 v2, v169, v244
	v_add_f32_e32 v26, v249, v250
	v_mul_f32_e32 v249, v168, v244
	v_fma_f32 v2, v168, v233, -v2
	v_fmac_f32_e32 v249, v169, v233
	v_add_f32_e32 v1, v1, v2
	s_waitcnt vmcnt(3) lgkmcnt(0)
	v_mul_f32_e32 v2, v171, v245
	v_add_f32_e32 v26, v26, v249
	v_mul_f32_e32 v249, v170, v245
	s_waitcnt vmcnt(0)
	v_fma_f32 v2, v170, v248, -v2
	v_fmac_f32_e32 v249, v171, v248
	v_add_f32_e32 v1, v1, v2
	v_mul_f32_e32 v2, v173, v247
	v_add_f32_e32 v26, v26, v249
	v_mul_f32_e32 v249, v172, v247
	v_fma_f32 v2, v172, v246, -v2
	v_fmac_f32_e32 v249, v173, v246
	v_add_f32_e32 v1, v1, v2
	v_add_f32_e32 v26, v26, v249
	v_sub_f32_e32 v1, v27, v1
	v_sub_f32_e32 v2, v28, v26
	buffer_store_dword v1, off, s[0:3], 0 offset:24
	buffer_store_dword v2, off, s[0:3], 0 offset:28
	s_and_saveexec_b64 s[4:5], vcc
	s_cbranch_execz .LBB61_381
; %bb.380:
	buffer_load_dword v1, off, s[0:3], 0 offset:16
	buffer_load_dword v2, off, s[0:3], 0 offset:20
	v_mov_b32_e32 v3, 0
	buffer_store_dword v3, off, s[0:3], 0 offset:16
	buffer_store_dword v3, off, s[0:3], 0 offset:20
	s_waitcnt vmcnt(2)
	ds_write_b64 v25, v[1:2]
.LBB61_381:
	s_or_b64 exec, exec, s[4:5]
	s_waitcnt lgkmcnt(0)
	; wave barrier
	buffer_load_dword v9, off, s[0:3], 0 offset:28
	buffer_load_dword v8, off, s[0:3], 0 offset:36
	;; [unrolled: 1-line block ×56, first 2 shown]
	v_mov_b32_e32 v26, 0
	ds_read2_b64 v[59:62], v26 offset0:65 offset1:66
	ds_read2_b64 v[63:66], v26 offset0:67 offset1:68
	;; [unrolled: 1-line block ×6, first 2 shown]
	buffer_load_dword v119, off, s[0:3], 0 offset:240
	buffer_load_dword v180, off, s[0:3], 0 offset:244
	v_cmp_lt_u32_e32 vcc, 1, v0
	s_waitcnt vmcnt(57) lgkmcnt(5)
	v_mul_f32_e32 v83, v59, v9
	s_waitcnt vmcnt(56)
	v_mul_f32_e32 v84, v61, v8
	s_waitcnt vmcnt(55) lgkmcnt(4)
	v_mul_f32_e32 v85, v63, v7
	s_waitcnt vmcnt(54)
	v_mul_f32_e32 v86, v65, v6
	;; [unrolled: 4-line block ×4, first 2 shown]
	s_waitcnt vmcnt(49) lgkmcnt(1)
	v_mul_f32_e32 v91, v75, v11
	s_waitcnt vmcnt(48)
	v_fmac_f32_e32 v85, v64, v14
	s_waitcnt vmcnt(47)
	v_fmac_f32_e32 v84, v62, v17
	;; [unrolled: 2-line block ×3, first 2 shown]
	v_add_f32_e32 v83, 0, v83
	v_add_f32_e32 v83, v83, v84
	;; [unrolled: 1-line block ×3, first 2 shown]
	s_waitcnt vmcnt(42)
	v_fmac_f32_e32 v86, v66, v18
	v_fmac_f32_e32 v87, v68, v15
	v_add_f32_e32 v83, v83, v86
	v_fmac_f32_e32 v88, v70, v13
	v_add_f32_e32 v83, v83, v87
	;; [unrolled: 2-line block ×3, first 2 shown]
	s_waitcnt vmcnt(38)
	v_fmac_f32_e32 v90, v74, v27
	v_add_f32_e32 v83, v83, v89
	v_add_f32_e32 v83, v83, v90
	v_fmac_f32_e32 v91, v76, v22
	s_waitcnt vmcnt(37)
	v_mul_f32_e32 v84, v77, v23
	v_add_f32_e32 v83, v83, v91
	v_fmac_f32_e32 v84, v78, v19
	v_add_f32_e32 v83, v83, v84
	s_waitcnt vmcnt(36) lgkmcnt(0)
	v_mul_f32_e32 v84, v79, v21
	v_fmac_f32_e32 v84, v80, v16
	v_add_f32_e32 v87, v83, v84
	ds_read2_b64 v[83:86], v26 offset0:77 offset1:78
	s_waitcnt vmcnt(35)
	v_mul_f32_e32 v88, v81, v24
	s_waitcnt vmcnt(30)
	v_fmac_f32_e32 v88, v82, v35
	v_add_f32_e32 v91, v87, v88
	ds_read2_b64 v[87:90], v26 offset0:79 offset1:80
	s_waitcnt vmcnt(29) lgkmcnt(1)
	v_mul_f32_e32 v92, v83, v34
	v_fmac_f32_e32 v92, v84, v31
	buffer_load_dword v181, off, s[0:3], 0 offset:248
	buffer_load_dword v182, off, s[0:3], 0 offset:252
	v_add_f32_e32 v91, v91, v92
	s_waitcnt vmcnt(30)
	v_mul_f32_e32 v92, v85, v32
	v_fmac_f32_e32 v92, v86, v30
	v_add_f32_e32 v91, v91, v92
	s_waitcnt lgkmcnt(0)
	v_mul_f32_e32 v92, v87, v29
	buffer_load_dword v183, off, s[0:3], 0 offset:256
	buffer_load_dword v184, off, s[0:3], 0 offset:260
	v_fmac_f32_e32 v92, v88, v28
	v_add_f32_e32 v95, v91, v92
	ds_read2_b64 v[91:94], v26 offset0:81 offset1:82
	buffer_load_dword v185, off, s[0:3], 0 offset:264
	buffer_load_dword v186, off, s[0:3], 0 offset:268
	s_waitcnt vmcnt(30)
	v_mul_f32_e32 v96, v89, v36
	v_fmac_f32_e32 v96, v90, v33
	v_add_f32_e32 v99, v95, v96
	ds_read2_b64 v[95:98], v26 offset0:83 offset1:84
	buffer_load_dword v187, off, s[0:3], 0 offset:272
	buffer_load_dword v188, off, s[0:3], 0 offset:276
	s_waitcnt vmcnt(30) lgkmcnt(1)
	v_mul_f32_e32 v100, v91, v38
	v_fmac_f32_e32 v100, v92, v37
	v_add_f32_e32 v99, v99, v100
	s_waitcnt vmcnt(28)
	v_mul_f32_e32 v100, v93, v40
	v_fmac_f32_e32 v100, v94, v39
	v_add_f32_e32 v99, v99, v100
	s_waitcnt vmcnt(26) lgkmcnt(0)
	v_mul_f32_e32 v100, v95, v42
	v_fmac_f32_e32 v100, v96, v41
	v_add_f32_e32 v103, v99, v100
	ds_read2_b64 v[99:102], v26 offset0:85 offset1:86
	s_waitcnt vmcnt(24)
	v_mul_f32_e32 v104, v97, v44
	v_fmac_f32_e32 v104, v98, v43
	v_add_f32_e32 v107, v103, v104
	buffer_load_dword v189, off, s[0:3], 0 offset:280
	buffer_load_dword v190, off, s[0:3], 0 offset:284
	ds_read2_b64 v[103:106], v26 offset0:87 offset1:88
	s_waitcnt vmcnt(24) lgkmcnt(1)
	v_mul_f32_e32 v108, v99, v46
	v_fmac_f32_e32 v108, v100, v45
	v_add_f32_e32 v107, v107, v108
	s_waitcnt vmcnt(22)
	v_mul_f32_e32 v108, v101, v48
	v_fmac_f32_e32 v108, v102, v47
	buffer_load_dword v191, off, s[0:3], 0 offset:292
	buffer_load_dword v192, off, s[0:3], 0 offset:288
	;; [unrolled: 1-line block ×4, first 2 shown]
	v_add_f32_e32 v107, v107, v108
	s_waitcnt vmcnt(24) lgkmcnt(0)
	v_mul_f32_e32 v108, v103, v50
	v_fmac_f32_e32 v108, v104, v49
	s_waitcnt vmcnt(22)
	v_mul_f32_e32 v112, v105, v52
	v_add_f32_e32 v111, v107, v108
	v_fmac_f32_e32 v112, v106, v51
	ds_read2_b64 v[107:110], v26 offset0:89 offset1:90
	v_add_f32_e32 v115, v111, v112
	ds_read2_b64 v[111:114], v26 offset0:91 offset1:92
	buffer_load_dword v195, off, s[0:3], 0 offset:304
	buffer_load_dword v196, off, s[0:3], 0 offset:308
	;; [unrolled: 1-line block ×8, first 2 shown]
	s_waitcnt vmcnt(28) lgkmcnt(1)
	v_mul_f32_e32 v116, v107, v54
	buffer_load_dword v203, off, s[0:3], 0 offset:336
	buffer_load_dword v204, off, s[0:3], 0 offset:340
	v_fmac_f32_e32 v116, v108, v53
	v_add_f32_e32 v115, v115, v116
	s_waitcnt vmcnt(28)
	v_mul_f32_e32 v116, v109, v56
	v_fmac_f32_e32 v116, v110, v55
	v_add_f32_e32 v115, v115, v116
	s_waitcnt vmcnt(26) lgkmcnt(0)
	v_mul_f32_e32 v116, v111, v58
	v_fmac_f32_e32 v116, v112, v57
	v_add_f32_e32 v122, v115, v116
	ds_read2_b64 v[115:118], v26 offset0:93 offset1:94
	buffer_load_dword v205, off, s[0:3], 0 offset:344
	buffer_load_dword v206, off, s[0:3], 0 offset:348
	;; [unrolled: 1-line block ×6, first 2 shown]
	s_waitcnt vmcnt(30)
	v_mul_f32_e32 v123, v113, v180
	v_fmac_f32_e32 v123, v114, v119
	v_add_f32_e32 v126, v122, v123
	ds_read2_b64 v[122:125], v26 offset0:95 offset1:96
	buffer_load_dword v211, off, s[0:3], 0 offset:368
	buffer_load_dword v212, off, s[0:3], 0 offset:372
	buffer_load_dword v213, off, s[0:3], 0 offset:376
	buffer_load_dword v214, off, s[0:3], 0 offset:380
	buffer_load_dword v215, off, s[0:3], 0 offset:388
	buffer_load_dword v216, off, s[0:3], 0 offset:392
	buffer_load_dword v217, off, s[0:3], 0 offset:396
	buffer_load_dword v218, off, s[0:3], 0 offset:384
	v_mul_f32_e32 v9, v60, v9
	buffer_load_dword v219, off, s[0:3], 0 offset:400
	buffer_load_dword v220, off, s[0:3], 0 offset:404
	v_fma_f32 v9, v59, v20, -v9
	v_mul_f32_e32 v8, v62, v8
	v_add_f32_e32 v9, 0, v9
	v_fma_f32 v8, v61, v17, -v8
	v_mul_f32_e32 v7, v64, v7
	v_add_f32_e32 v8, v9, v8
	;; [unrolled: 3-line block ×4, first 2 shown]
	s_waitcnt vmcnt(38) lgkmcnt(1)
	v_mul_f32_e32 v127, v115, v182
	v_fmac_f32_e32 v127, v116, v181
	v_add_f32_e32 v126, v126, v127
	v_fma_f32 v5, v67, v15, -v5
	v_mul_f32_e32 v4, v70, v4
	v_add_f32_e32 v5, v6, v5
	s_waitcnt vmcnt(36)
	v_mul_f32_e32 v127, v117, v184
	v_fmac_f32_e32 v127, v118, v183
	v_add_f32_e32 v126, v126, v127
	v_fma_f32 v4, v69, v13, -v4
	s_waitcnt vmcnt(34) lgkmcnt(0)
	v_mul_f32_e32 v127, v122, v186
	v_fmac_f32_e32 v127, v123, v185
	v_mul_f32_e32 v3, v72, v3
	v_add_f32_e32 v130, v126, v127
	ds_read2_b64 v[126:129], v26 offset0:97 offset1:98
	buffer_load_dword v221, off, s[0:3], 0 offset:408
	buffer_load_dword v222, off, s[0:3], 0 offset:412
	;; [unrolled: 1-line block ×6, first 2 shown]
	v_add_f32_e32 v4, v5, v4
	v_fma_f32 v3, v71, v12, -v3
	v_add_f32_e32 v3, v4, v3
	v_mul_f32_e32 v4, v74, v10
	v_fma_f32 v4, v73, v27, -v4
	s_waitcnt vmcnt(38)
	v_mul_f32_e32 v131, v124, v188
	v_add_f32_e32 v3, v3, v4
	v_mul_f32_e32 v4, v76, v11
	v_fmac_f32_e32 v131, v125, v187
	v_fma_f32 v4, v75, v22, -v4
	v_add_f32_e32 v134, v130, v131
	ds_read2_b64 v[130:133], v26 offset0:99 offset1:100
	buffer_load_dword v227, off, s[0:3], 0 offset:432
	buffer_load_dword v228, off, s[0:3], 0 offset:436
	v_add_f32_e32 v3, v3, v4
	v_mul_f32_e32 v4, v78, v23
	v_fma_f32 v4, v77, v19, -v4
	v_add_f32_e32 v3, v3, v4
	v_mul_f32_e32 v4, v80, v21
	v_fma_f32 v4, v79, v16, -v4
	;; [unrolled: 3-line block ×3, first 2 shown]
	buffer_load_dword v229, off, s[0:3], 0 offset:440
	buffer_load_dword v230, off, s[0:3], 0 offset:444
	;; [unrolled: 1-line block ×6, first 2 shown]
	v_add_f32_e32 v3, v3, v4
	v_mul_f32_e32 v4, v84, v34
	v_fma_f32 v4, v83, v31, -v4
	v_add_f32_e32 v3, v3, v4
	v_mul_f32_e32 v4, v86, v32
	v_fma_f32 v4, v85, v30, -v4
	v_add_f32_e32 v3, v3, v4
	v_mul_f32_e32 v4, v88, v29
	buffer_load_dword v245, off, s[0:3], 0 offset:464
	buffer_load_dword v246, off, s[0:3], 0 offset:468
	v_fma_f32 v4, v87, v28, -v4
	v_add_f32_e32 v3, v3, v4
	v_mul_f32_e32 v4, v90, v36
	v_fma_f32 v4, v89, v33, -v4
	v_add_f32_e32 v3, v3, v4
	v_mul_f32_e32 v4, v92, v38
	;; [unrolled: 3-line block ×3, first 2 shown]
	buffer_load_dword v247, off, s[0:3], 0 offset:472
	buffer_load_dword v248, off, s[0:3], 0 offset:476
	;; [unrolled: 1-line block ×6, first 2 shown]
	v_fma_f32 v4, v93, v39, -v4
	v_add_f32_e32 v3, v3, v4
	v_mul_f32_e32 v4, v96, v42
	v_fma_f32 v4, v95, v41, -v4
	v_add_f32_e32 v3, v3, v4
	v_mul_f32_e32 v4, v98, v44
	;; [unrolled: 3-line block ×5, first 2 shown]
	v_fma_f32 v4, v103, v49, -v4
	s_waitcnt vmcnt(52) lgkmcnt(1)
	v_mul_f32_e32 v135, v126, v190
	v_add_f32_e32 v3, v3, v4
	v_mul_f32_e32 v4, v106, v52
	v_fmac_f32_e32 v135, v127, v189
	v_fma_f32 v4, v105, v51, -v4
	v_add_f32_e32 v134, v134, v135
	s_waitcnt vmcnt(51)
	v_mul_f32_e32 v135, v128, v191
	v_add_f32_e32 v3, v3, v4
	v_mul_f32_e32 v4, v108, v54
	s_waitcnt vmcnt(50)
	v_fmac_f32_e32 v135, v129, v192
	v_fma_f32 v4, v107, v53, -v4
	v_add_f32_e32 v134, v134, v135
	s_waitcnt vmcnt(48) lgkmcnt(0)
	v_mul_f32_e32 v135, v130, v194
	v_add_f32_e32 v3, v3, v4
	v_mul_f32_e32 v4, v110, v56
	v_fmac_f32_e32 v135, v131, v193
	v_fma_f32 v4, v109, v55, -v4
	v_add_f32_e32 v138, v134, v135
	ds_read2_b64 v[134:137], v26 offset0:101 offset1:102
	v_add_f32_e32 v3, v3, v4
	v_mul_f32_e32 v4, v112, v58
	v_fma_f32 v4, v111, v57, -v4
	s_waitcnt vmcnt(46)
	v_mul_f32_e32 v139, v132, v196
	v_add_f32_e32 v3, v3, v4
	v_mul_f32_e32 v4, v114, v180
	v_fmac_f32_e32 v139, v133, v195
	v_fma_f32 v4, v113, v119, -v4
	v_add_f32_e32 v142, v138, v139
	ds_read2_b64 v[138:141], v26 offset0:103 offset1:104
	v_add_f32_e32 v3, v3, v4
	v_mul_f32_e32 v4, v116, v182
	s_waitcnt vmcnt(44) lgkmcnt(1)
	v_mul_f32_e32 v143, v134, v198
	v_fma_f32 v4, v115, v181, -v4
	v_fmac_f32_e32 v143, v135, v197
	v_add_f32_e32 v3, v3, v4
	v_mul_f32_e32 v4, v118, v184
	v_add_f32_e32 v142, v142, v143
	s_waitcnt vmcnt(43)
	v_mul_f32_e32 v143, v136, v199
	v_fma_f32 v4, v117, v183, -v4
	s_waitcnt vmcnt(40)
	v_fmac_f32_e32 v143, v137, v202
	v_add_f32_e32 v3, v3, v4
	v_mul_f32_e32 v4, v123, v186
	v_add_f32_e32 v142, v142, v143
	s_waitcnt lgkmcnt(0)
	v_mul_f32_e32 v143, v138, v201
	v_fma_f32 v4, v122, v185, -v4
	v_fmac_f32_e32 v143, v139, v200
	v_add_f32_e32 v3, v3, v4
	v_mul_f32_e32 v4, v125, v188
	v_add_f32_e32 v146, v142, v143
	ds_read2_b64 v[142:145], v26 offset0:105 offset1:106
	v_fma_f32 v4, v124, v187, -v4
	v_add_f32_e32 v3, v3, v4
	v_mul_f32_e32 v4, v127, v190
	s_waitcnt vmcnt(38)
	v_mul_f32_e32 v147, v140, v204
	v_fma_f32 v4, v126, v189, -v4
	v_fmac_f32_e32 v147, v141, v203
	v_add_f32_e32 v3, v3, v4
	v_mul_f32_e32 v4, v129, v191
	v_add_f32_e32 v150, v146, v147
	ds_read2_b64 v[146:149], v26 offset0:107 offset1:108
	v_fma_f32 v4, v128, v192, -v4
	s_waitcnt vmcnt(36) lgkmcnt(1)
	v_mul_f32_e32 v151, v142, v206
	v_add_f32_e32 v3, v3, v4
	v_mul_f32_e32 v4, v131, v194
	v_fmac_f32_e32 v151, v143, v205
	v_fma_f32 v4, v130, v193, -v4
	v_add_f32_e32 v150, v150, v151
	s_waitcnt vmcnt(35)
	v_mul_f32_e32 v151, v144, v207
	v_add_f32_e32 v3, v3, v4
	v_mul_f32_e32 v4, v133, v196
	s_waitcnt vmcnt(32)
	v_fmac_f32_e32 v151, v145, v210
	v_fma_f32 v4, v132, v195, -v4
	v_add_f32_e32 v150, v150, v151
	s_waitcnt lgkmcnt(0)
	v_mul_f32_e32 v151, v146, v209
	v_add_f32_e32 v3, v3, v4
	v_mul_f32_e32 v4, v135, v198
	v_fmac_f32_e32 v151, v147, v208
	v_fma_f32 v4, v134, v197, -v4
	v_add_f32_e32 v154, v150, v151
	ds_read2_b64 v[150:153], v26 offset0:109 offset1:110
	v_add_f32_e32 v3, v3, v4
	v_mul_f32_e32 v4, v137, v199
	v_fma_f32 v4, v136, v202, -v4
	s_waitcnt vmcnt(30)
	v_mul_f32_e32 v155, v148, v212
	v_add_f32_e32 v3, v3, v4
	v_mul_f32_e32 v4, v139, v201
	v_fmac_f32_e32 v155, v149, v211
	v_fma_f32 v4, v138, v200, -v4
	v_add_f32_e32 v158, v154, v155
	ds_read2_b64 v[154:157], v26 offset0:111 offset1:112
	v_add_f32_e32 v3, v3, v4
	v_mul_f32_e32 v4, v141, v204
	s_waitcnt vmcnt(28) lgkmcnt(1)
	v_mul_f32_e32 v159, v150, v214
	v_fma_f32 v4, v140, v203, -v4
	v_fmac_f32_e32 v159, v151, v213
	v_add_f32_e32 v3, v3, v4
	v_mul_f32_e32 v4, v143, v206
	v_add_f32_e32 v158, v158, v159
	s_waitcnt vmcnt(27)
	v_mul_f32_e32 v159, v152, v215
	v_fma_f32 v4, v142, v205, -v4
	s_waitcnt vmcnt(24)
	v_fmac_f32_e32 v159, v153, v218
	v_add_f32_e32 v3, v3, v4
	v_mul_f32_e32 v4, v145, v207
	v_add_f32_e32 v158, v158, v159
	s_waitcnt lgkmcnt(0)
	v_mul_f32_e32 v159, v154, v217
	v_fma_f32 v4, v144, v210, -v4
	v_fmac_f32_e32 v159, v155, v216
	v_add_f32_e32 v3, v3, v4
	v_mul_f32_e32 v4, v147, v209
	v_add_f32_e32 v162, v158, v159
	ds_read2_b64 v[158:161], v26 offset0:113 offset1:114
	v_fma_f32 v4, v146, v208, -v4
	v_add_f32_e32 v3, v3, v4
	v_mul_f32_e32 v4, v149, v212
	s_waitcnt vmcnt(22)
	v_mul_f32_e32 v163, v156, v220
	v_fma_f32 v4, v148, v211, -v4
	v_fmac_f32_e32 v163, v157, v219
	v_add_f32_e32 v3, v3, v4
	v_mul_f32_e32 v4, v151, v214
	v_add_f32_e32 v166, v162, v163
	ds_read2_b64 v[162:165], v26 offset0:115 offset1:116
	v_fma_f32 v4, v150, v213, -v4
	s_waitcnt vmcnt(20) lgkmcnt(1)
	v_mul_f32_e32 v167, v158, v222
	v_add_f32_e32 v3, v3, v4
	v_mul_f32_e32 v4, v153, v215
	v_fmac_f32_e32 v167, v159, v221
	v_fma_f32 v4, v152, v218, -v4
	v_add_f32_e32 v166, v166, v167
	s_waitcnt vmcnt(19)
	v_mul_f32_e32 v167, v160, v223
	v_add_f32_e32 v3, v3, v4
	v_mul_f32_e32 v4, v155, v217
	s_waitcnt vmcnt(16)
	v_fmac_f32_e32 v167, v161, v226
	v_fma_f32 v4, v154, v216, -v4
	v_add_f32_e32 v166, v166, v167
	s_waitcnt lgkmcnt(0)
	v_mul_f32_e32 v167, v162, v225
	v_add_f32_e32 v3, v3, v4
	v_mul_f32_e32 v4, v157, v220
	v_fmac_f32_e32 v167, v163, v224
	v_fma_f32 v4, v156, v219, -v4
	v_add_f32_e32 v170, v166, v167
	ds_read2_b64 v[166:169], v26 offset0:117 offset1:118
	v_add_f32_e32 v3, v3, v4
	v_mul_f32_e32 v4, v159, v222
	v_fma_f32 v4, v158, v221, -v4
	s_waitcnt vmcnt(14)
	v_mul_f32_e32 v171, v164, v228
	v_add_f32_e32 v3, v3, v4
	v_mul_f32_e32 v4, v161, v223
	v_fmac_f32_e32 v171, v165, v227
	v_fma_f32 v4, v160, v226, -v4
	v_add_f32_e32 v174, v170, v171
	ds_read2_b64 v[170:173], v26 offset0:119 offset1:120
	v_add_f32_e32 v3, v3, v4
	v_mul_f32_e32 v4, v163, v225
	s_waitcnt vmcnt(12) lgkmcnt(1)
	v_mul_f32_e32 v175, v166, v230
	v_fma_f32 v4, v162, v224, -v4
	v_fmac_f32_e32 v175, v167, v229
	v_add_f32_e32 v3, v3, v4
	v_mul_f32_e32 v4, v165, v228
	v_add_f32_e32 v174, v174, v175
	s_waitcnt vmcnt(11)
	v_mul_f32_e32 v175, v168, v231
	v_fma_f32 v4, v164, v227, -v4
	s_waitcnt vmcnt(8)
	v_fmac_f32_e32 v175, v169, v244
	v_add_f32_e32 v3, v3, v4
	v_mul_f32_e32 v4, v167, v230
	v_add_f32_e32 v174, v174, v175
	s_waitcnt lgkmcnt(0)
	v_mul_f32_e32 v175, v170, v233
	v_fma_f32 v4, v166, v229, -v4
	v_fmac_f32_e32 v175, v171, v232
	v_add_f32_e32 v3, v3, v4
	v_mul_f32_e32 v4, v169, v231
	v_add_f32_e32 v178, v174, v175
	ds_read2_b64 v[174:177], v26 offset0:121 offset1:122
	v_fma_f32 v4, v168, v244, -v4
	v_add_f32_e32 v3, v3, v4
	v_mul_f32_e32 v4, v171, v233
	s_waitcnt vmcnt(6)
	v_mul_f32_e32 v179, v172, v246
	v_fma_f32 v4, v170, v232, -v4
	v_fmac_f32_e32 v179, v173, v245
	v_add_f32_e32 v3, v3, v4
	v_mul_f32_e32 v4, v173, v246
	v_add_f32_e32 v253, v178, v179
	ds_read_b64 v[178:179], v26 offset:984
	v_fma_f32 v4, v172, v245, -v4
	v_add_f32_e32 v3, v3, v4
	s_waitcnt vmcnt(4) lgkmcnt(1)
	v_mul_f32_e32 v4, v175, v248
	v_mul_f32_e32 v254, v174, v248
	v_fma_f32 v4, v174, v247, -v4
	v_fmac_f32_e32 v254, v175, v247
	v_add_f32_e32 v3, v3, v4
	s_waitcnt vmcnt(3)
	v_mul_f32_e32 v4, v177, v249
	v_add_f32_e32 v253, v253, v254
	v_mul_f32_e32 v254, v176, v249
	s_waitcnt vmcnt(0)
	v_fma_f32 v4, v176, v252, -v4
	v_fmac_f32_e32 v254, v177, v252
	v_add_f32_e32 v3, v3, v4
	s_waitcnt lgkmcnt(0)
	v_mul_f32_e32 v4, v179, v251
	v_add_f32_e32 v253, v253, v254
	v_mul_f32_e32 v254, v178, v251
	v_fma_f32 v4, v178, v250, -v4
	v_fmac_f32_e32 v254, v179, v250
	v_add_f32_e32 v3, v3, v4
	v_add_f32_e32 v253, v253, v254
	v_sub_f32_e32 v1, v1, v3
	v_sub_f32_e32 v2, v2, v253
	buffer_store_dword v1, off, s[0:3], 0 offset:16
	buffer_store_dword v2, off, s[0:3], 0 offset:20
	s_and_saveexec_b64 s[4:5], vcc
	s_cbranch_execz .LBB61_383
; %bb.382:
	buffer_load_dword v1, off, s[0:3], 0 offset:8
	buffer_load_dword v2, off, s[0:3], 0 offset:12
	s_waitcnt vmcnt(0)
	ds_write_b64 v25, v[1:2]
	buffer_store_dword v26, off, s[0:3], 0 offset:8
	buffer_store_dword v26, off, s[0:3], 0 offset:12
.LBB61_383:
	s_or_b64 exec, exec, s[4:5]
	s_waitcnt lgkmcnt(0)
	; wave barrier
	buffer_load_dword v35, off, s[0:3], 0 offset:20
	buffer_load_dword v34, off, s[0:3], 0 offset:28
	;; [unrolled: 1-line block ×40, first 2 shown]
	ds_read_b128 v[21:24], v26 offset:512
	ds_read_b128 v[17:20], v26 offset:528
	;; [unrolled: 1-line block ×6, first 2 shown]
	buffer_load_dword v66, off, s[0:3], 0 offset:168
	buffer_load_dword v68, off, s[0:3], 0 offset:172
	;; [unrolled: 1-line block ×19, first 2 shown]
	v_cmp_ne_u32_e32 vcc, 0, v0
	s_waitcnt vmcnt(58) lgkmcnt(5)
	v_mul_f32_e32 v83, v21, v35
	s_waitcnt vmcnt(57)
	v_mul_f32_e32 v84, v23, v34
	s_waitcnt vmcnt(56) lgkmcnt(4)
	v_mul_f32_e32 v85, v17, v33
	s_waitcnt vmcnt(55)
	v_mul_f32_e32 v86, v19, v32
	;; [unrolled: 4-line block ×4, first 2 shown]
	s_waitcnt vmcnt(50) lgkmcnt(1)
	v_mul_f32_e32 v91, v5, v37
	s_waitcnt vmcnt(49)
	v_fmac_f32_e32 v85, v18, v40
	s_waitcnt vmcnt(48)
	v_fmac_f32_e32 v84, v24, v43
	;; [unrolled: 2-line block ×3, first 2 shown]
	v_add_f32_e32 v83, 0, v83
	v_add_f32_e32 v83, v83, v84
	;; [unrolled: 1-line block ×3, first 2 shown]
	s_waitcnt vmcnt(43)
	v_fmac_f32_e32 v86, v20, v44
	v_fmac_f32_e32 v87, v14, v41
	v_add_f32_e32 v83, v83, v86
	v_fmac_f32_e32 v88, v16, v39
	v_add_f32_e32 v83, v83, v87
	v_fmac_f32_e32 v89, v10, v38
	v_add_f32_e32 v83, v83, v88
	s_waitcnt vmcnt(39)
	v_fmac_f32_e32 v90, v12, v51
	v_add_f32_e32 v83, v83, v89
	v_fmac_f32_e32 v91, v6, v48
	v_add_f32_e32 v83, v83, v90
	s_waitcnt vmcnt(38)
	v_mul_f32_e32 v84, v7, v49
	v_add_f32_e32 v83, v83, v91
	v_fmac_f32_e32 v84, v8, v45
	v_add_f32_e32 v83, v83, v84
	s_waitcnt vmcnt(37) lgkmcnt(0)
	v_mul_f32_e32 v84, v1, v47
	v_fmac_f32_e32 v84, v2, v42
	v_add_f32_e32 v87, v83, v84
	ds_read_b128 v[83:86], v26 offset:608
	s_waitcnt vmcnt(36)
	v_mul_f32_e32 v88, v3, v50
	s_waitcnt vmcnt(30)
	v_fmac_f32_e32 v88, v4, v58
	v_add_f32_e32 v91, v87, v88
	ds_read_b128 v[87:90], v26 offset:624
	s_waitcnt vmcnt(29) lgkmcnt(1)
	v_mul_f32_e32 v92, v83, v57
	v_fmac_f32_e32 v92, v84, v56
	buffer_load_dword v184, off, s[0:3], 0 offset:240
	buffer_load_dword v185, off, s[0:3], 0 offset:248
	;; [unrolled: 1-line block ×3, first 2 shown]
	v_add_f32_e32 v91, v91, v92
	v_mul_f32_e32 v92, v85, v53
	v_fmac_f32_e32 v92, v86, v52
	buffer_load_dword v187, off, s[0:3], 0 offset:256
	buffer_load_dword v188, off, s[0:3], 0 offset:260
	v_add_f32_e32 v91, v91, v92
	s_waitcnt lgkmcnt(0)
	v_mul_f32_e32 v92, v87, v55
	v_fmac_f32_e32 v92, v88, v54
	v_add_f32_e32 v95, v91, v92
	ds_read_b128 v[91:94], v26 offset:640
	s_waitcnt vmcnt(31)
	v_mul_f32_e32 v96, v89, v59
	s_waitcnt vmcnt(24)
	v_fmac_f32_e32 v96, v90, v67
	v_add_f32_e32 v99, v95, v96
	ds_read_b128 v[95:98], v26 offset:656
	buffer_load_dword v189, off, s[0:3], 0 offset:264
	buffer_load_dword v190, off, s[0:3], 0 offset:268
	s_waitcnt lgkmcnt(1)
	v_mul_f32_e32 v100, v91, v61
	v_fmac_f32_e32 v100, v92, v60
	v_add_f32_e32 v99, v99, v100
	v_mul_f32_e32 v100, v93, v63
	v_fmac_f32_e32 v100, v94, v62
	v_add_f32_e32 v99, v99, v100
	s_waitcnt lgkmcnt(0)
	v_mul_f32_e32 v100, v95, v65
	v_fmac_f32_e32 v100, v96, v64
	v_add_f32_e32 v103, v99, v100
	buffer_load_dword v191, off, s[0:3], 0 offset:272
	buffer_load_dword v192, off, s[0:3], 0 offset:276
	ds_read_b128 v[99:102], v26 offset:672
	s_waitcnt vmcnt(26)
	v_mul_f32_e32 v104, v97, v68
	v_fmac_f32_e32 v104, v98, v66
	v_add_f32_e32 v107, v103, v104
	ds_read_b128 v[103:106], v26 offset:688
	s_waitcnt vmcnt(24) lgkmcnt(1)
	v_mul_f32_e32 v108, v99, v70
	v_fmac_f32_e32 v108, v100, v69
	v_add_f32_e32 v107, v107, v108
	s_waitcnt vmcnt(22)
	v_mul_f32_e32 v108, v101, v72
	buffer_load_dword v193, off, s[0:3], 0 offset:280
	buffer_load_dword v194, off, s[0:3], 0 offset:284
	v_fmac_f32_e32 v108, v102, v71
	v_add_f32_e32 v107, v107, v108
	s_waitcnt vmcnt(22) lgkmcnt(0)
	v_mul_f32_e32 v108, v103, v74
	buffer_load_dword v195, off, s[0:3], 0 offset:288
	buffer_load_dword v196, off, s[0:3], 0 offset:292
	v_fmac_f32_e32 v108, v104, v73
	v_add_f32_e32 v111, v107, v108
	ds_read_b128 v[107:110], v26 offset:704
	buffer_load_dword v197, off, s[0:3], 0 offset:296
	buffer_load_dword v198, off, s[0:3], 0 offset:300
	s_waitcnt vmcnt(24)
	v_mul_f32_e32 v112, v105, v76
	v_fmac_f32_e32 v112, v106, v75
	v_add_f32_e32 v115, v111, v112
	ds_read_b128 v[111:114], v26 offset:720
	s_waitcnt vmcnt(22) lgkmcnt(1)
	v_mul_f32_e32 v116, v107, v78
	v_fmac_f32_e32 v116, v108, v77
	buffer_load_dword v199, off, s[0:3], 0 offset:304
	buffer_load_dword v200, off, s[0:3], 0 offset:308
	;; [unrolled: 1-line block ×6, first 2 shown]
	v_add_f32_e32 v115, v115, v116
	s_waitcnt vmcnt(26)
	v_mul_f32_e32 v116, v109, v80
	v_fmac_f32_e32 v116, v110, v79
	v_add_f32_e32 v115, v115, v116
	s_waitcnt vmcnt(24) lgkmcnt(0)
	v_mul_f32_e32 v116, v111, v82
	v_fmac_f32_e32 v116, v112, v81
	v_add_f32_e32 v122, v115, v116
	ds_read_b128 v[115:118], v26 offset:736
	buffer_load_dword v205, off, s[0:3], 0 offset:328
	buffer_load_dword v206, off, s[0:3], 0 offset:332
	s_waitcnt vmcnt(24)
	v_mul_f32_e32 v123, v113, v182
	v_fmac_f32_e32 v123, v114, v119
	v_add_f32_e32 v126, v122, v123
	ds_read_b128 v[122:125], v26 offset:752
	buffer_load_dword v207, off, s[0:3], 0 offset:336
	buffer_load_dword v208, off, s[0:3], 0 offset:340
	;; [unrolled: 1-line block ×14, first 2 shown]
	s_waitcnt vmcnt(37) lgkmcnt(1)
	v_mul_f32_e32 v127, v115, v183
	buffer_load_dword v221, off, s[0:3], 0 offset:392
	buffer_load_dword v222, off, s[0:3], 0 offset:396
	v_mul_f32_e32 v22, v22, v35
	v_fma_f32 v21, v21, v46, -v22
	v_mul_f32_e32 v22, v24, v34
	v_add_f32_e32 v21, 0, v21
	v_fma_f32 v22, v23, v43, -v22
	v_mul_f32_e32 v18, v18, v33
	v_add_f32_e32 v21, v21, v22
	v_fma_f32 v17, v17, v40, -v18
	v_mul_f32_e32 v18, v20, v32
	v_add_f32_e32 v17, v21, v17
	s_waitcnt vmcnt(38)
	v_fmac_f32_e32 v127, v116, v184
	v_add_f32_e32 v126, v126, v127
	s_waitcnt vmcnt(36)
	v_mul_f32_e32 v127, v117, v186
	v_fmac_f32_e32 v127, v118, v185
	v_add_f32_e32 v126, v126, v127
	v_fma_f32 v18, v19, v44, -v18
	s_waitcnt vmcnt(34) lgkmcnt(0)
	v_mul_f32_e32 v127, v122, v188
	v_fmac_f32_e32 v127, v123, v187
	v_add_f32_e32 v130, v126, v127
	ds_read_b128 v[126:129], v26 offset:768
	buffer_load_dword v223, off, s[0:3], 0 offset:400
	buffer_load_dword v224, off, s[0:3], 0 offset:404
	;; [unrolled: 1-line block ×6, first 2 shown]
	v_mul_f32_e32 v14, v14, v31
	v_add_f32_e32 v17, v17, v18
	v_fma_f32 v13, v13, v41, -v14
	v_mul_f32_e32 v14, v16, v30
	v_add_f32_e32 v13, v17, v13
	s_waitcnt vmcnt(38)
	v_mul_f32_e32 v131, v124, v190
	v_fmac_f32_e32 v131, v125, v189
	v_fma_f32 v14, v15, v39, -v14
	v_mul_f32_e32 v10, v10, v29
	v_add_f32_e32 v134, v130, v131
	ds_read_b128 v[130:133], v26 offset:784
	buffer_load_dword v229, off, s[0:3], 0 offset:424
	buffer_load_dword v230, off, s[0:3], 0 offset:428
	v_add_f32_e32 v13, v13, v14
	v_fma_f32 v9, v9, v38, -v10
	v_mul_f32_e32 v10, v12, v36
	v_add_f32_e32 v9, v13, v9
	v_fma_f32 v10, v11, v51, -v10
	v_mul_f32_e32 v6, v6, v37
	;; [unrolled: 3-line block ×5, first 2 shown]
	v_add_f32_e32 v1, v5, v1
	v_fma_f32 v2, v3, v58, -v2
	buffer_load_dword v231, off, s[0:3], 0 offset:432
	buffer_load_dword v232, off, s[0:3], 0 offset:436
	;; [unrolled: 1-line block ×6, first 2 shown]
	v_add_f32_e32 v1, v1, v2
	v_mul_f32_e32 v2, v84, v57
	v_fma_f32 v2, v83, v56, -v2
	v_add_f32_e32 v1, v1, v2
	v_mul_f32_e32 v2, v86, v53
	v_fma_f32 v2, v85, v52, -v2
	v_add_f32_e32 v1, v1, v2
	v_mul_f32_e32 v2, v88, v55
	buffer_load_dword v247, off, s[0:3], 0 offset:456
	buffer_load_dword v248, off, s[0:3], 0 offset:460
	v_fma_f32 v2, v87, v54, -v2
	v_add_f32_e32 v1, v1, v2
	v_mul_f32_e32 v2, v90, v59
	s_waitcnt vmcnt(46) lgkmcnt(1)
	v_mul_f32_e32 v135, v126, v192
	v_fma_f32 v2, v89, v67, -v2
	v_fmac_f32_e32 v135, v127, v191
	v_add_f32_e32 v1, v1, v2
	v_mul_f32_e32 v2, v92, v61
	v_add_f32_e32 v134, v134, v135
	s_waitcnt vmcnt(44)
	v_mul_f32_e32 v135, v128, v194
	v_fma_f32 v2, v91, v60, -v2
	v_fmac_f32_e32 v135, v129, v193
	v_add_f32_e32 v1, v1, v2
	v_mul_f32_e32 v2, v94, v63
	v_add_f32_e32 v134, v134, v135
	s_waitcnt vmcnt(42) lgkmcnt(0)
	v_mul_f32_e32 v135, v130, v196
	buffer_load_dword v249, off, s[0:3], 0 offset:464
	buffer_load_dword v250, off, s[0:3], 0 offset:468
	;; [unrolled: 1-line block ×6, first 2 shown]
	v_fma_f32 v2, v93, v62, -v2
	v_fmac_f32_e32 v135, v131, v195
	s_waitcnt vmcnt(46)
	v_mul_f32_e32 v139, v132, v198
	v_add_f32_e32 v1, v1, v2
	v_mul_f32_e32 v2, v96, v65
	v_add_f32_e32 v138, v134, v135
	v_fmac_f32_e32 v139, v133, v197
	v_fma_f32 v2, v95, v64, -v2
	ds_read_b128 v[134:137], v26 offset:800
	v_add_f32_e32 v142, v138, v139
	ds_read_b128 v[138:141], v26 offset:816
	buffer_load_dword v255, off, s[0:3], 0 offset:488
	buffer_load_dword v234, off, s[0:3], 0 offset:492
	v_add_f32_e32 v1, v1, v2
	v_mul_f32_e32 v2, v98, v68
	v_fma_f32 v2, v97, v66, -v2
	v_add_f32_e32 v1, v1, v2
	v_mul_f32_e32 v2, v100, v70
	v_fma_f32 v2, v99, v69, -v2
	;; [unrolled: 3-line block ×9, first 2 shown]
	v_add_f32_e32 v1, v1, v2
	v_mul_f32_e32 v2, v116, v183
	s_waitcnt vmcnt(46) lgkmcnt(1)
	v_mul_f32_e32 v143, v134, v200
	v_fma_f32 v2, v115, v184, -v2
	v_fmac_f32_e32 v143, v135, v199
	v_add_f32_e32 v1, v1, v2
	v_mul_f32_e32 v2, v118, v186
	v_add_f32_e32 v142, v142, v143
	s_waitcnt vmcnt(45)
	v_mul_f32_e32 v143, v136, v201
	v_fma_f32 v2, v117, v185, -v2
	s_waitcnt vmcnt(42)
	v_fmac_f32_e32 v143, v137, v204
	v_add_f32_e32 v1, v1, v2
	v_mul_f32_e32 v2, v123, v188
	v_add_f32_e32 v142, v142, v143
	s_waitcnt lgkmcnt(0)
	v_mul_f32_e32 v143, v138, v203
	v_fma_f32 v2, v122, v187, -v2
	v_fmac_f32_e32 v143, v139, v202
	v_add_f32_e32 v1, v1, v2
	v_mul_f32_e32 v2, v125, v190
	v_add_f32_e32 v146, v142, v143
	ds_read_b128 v[142:145], v26 offset:832
	v_fma_f32 v2, v124, v189, -v2
	v_add_f32_e32 v1, v1, v2
	v_mul_f32_e32 v2, v127, v192
	s_waitcnt vmcnt(40)
	v_mul_f32_e32 v147, v140, v206
	v_fma_f32 v2, v126, v191, -v2
	v_fmac_f32_e32 v147, v141, v205
	v_add_f32_e32 v1, v1, v2
	v_mul_f32_e32 v2, v129, v194
	v_add_f32_e32 v150, v146, v147
	ds_read_b128 v[146:149], v26 offset:848
	v_fma_f32 v2, v128, v193, -v2
	s_waitcnt vmcnt(38) lgkmcnt(1)
	v_mul_f32_e32 v151, v142, v208
	v_add_f32_e32 v1, v1, v2
	v_mul_f32_e32 v2, v131, v196
	v_fmac_f32_e32 v151, v143, v207
	v_fma_f32 v2, v130, v195, -v2
	v_add_f32_e32 v150, v150, v151
	s_waitcnt vmcnt(37)
	v_mul_f32_e32 v151, v144, v209
	v_add_f32_e32 v1, v1, v2
	v_mul_f32_e32 v2, v133, v198
	s_waitcnt vmcnt(34)
	v_fmac_f32_e32 v151, v145, v212
	v_fma_f32 v2, v132, v197, -v2
	v_add_f32_e32 v150, v150, v151
	s_waitcnt lgkmcnt(0)
	v_mul_f32_e32 v151, v146, v211
	v_add_f32_e32 v1, v1, v2
	v_mul_f32_e32 v2, v135, v200
	v_fmac_f32_e32 v151, v147, v210
	v_fma_f32 v2, v134, v199, -v2
	v_add_f32_e32 v154, v150, v151
	ds_read_b128 v[150:153], v26 offset:864
	v_add_f32_e32 v1, v1, v2
	v_mul_f32_e32 v2, v137, v201
	v_fma_f32 v2, v136, v204, -v2
	s_waitcnt vmcnt(32)
	v_mul_f32_e32 v155, v148, v214
	v_add_f32_e32 v1, v1, v2
	v_mul_f32_e32 v2, v139, v203
	v_fmac_f32_e32 v155, v149, v213
	v_fma_f32 v2, v138, v202, -v2
	v_add_f32_e32 v158, v154, v155
	ds_read_b128 v[154:157], v26 offset:880
	v_add_f32_e32 v1, v1, v2
	v_mul_f32_e32 v2, v141, v206
	s_waitcnt vmcnt(30) lgkmcnt(1)
	v_mul_f32_e32 v159, v150, v216
	v_fma_f32 v2, v140, v205, -v2
	v_fmac_f32_e32 v159, v151, v215
	v_add_f32_e32 v1, v1, v2
	v_mul_f32_e32 v2, v143, v208
	v_add_f32_e32 v158, v158, v159
	s_waitcnt vmcnt(29)
	v_mul_f32_e32 v159, v152, v217
	v_fma_f32 v2, v142, v207, -v2
	s_waitcnt vmcnt(26)
	v_fmac_f32_e32 v159, v153, v220
	v_add_f32_e32 v1, v1, v2
	v_mul_f32_e32 v2, v145, v209
	v_add_f32_e32 v158, v158, v159
	s_waitcnt lgkmcnt(0)
	v_mul_f32_e32 v159, v154, v219
	v_fma_f32 v2, v144, v212, -v2
	v_fmac_f32_e32 v159, v155, v218
	v_add_f32_e32 v1, v1, v2
	v_mul_f32_e32 v2, v147, v211
	v_add_f32_e32 v162, v158, v159
	ds_read_b128 v[158:161], v26 offset:896
	v_fma_f32 v2, v146, v210, -v2
	v_add_f32_e32 v1, v1, v2
	v_mul_f32_e32 v2, v149, v214
	s_waitcnt vmcnt(24)
	v_mul_f32_e32 v163, v156, v222
	v_fma_f32 v2, v148, v213, -v2
	v_fmac_f32_e32 v163, v157, v221
	v_add_f32_e32 v1, v1, v2
	v_mul_f32_e32 v2, v151, v216
	v_add_f32_e32 v166, v162, v163
	ds_read_b128 v[162:165], v26 offset:912
	v_fma_f32 v2, v150, v215, -v2
	s_waitcnt vmcnt(22) lgkmcnt(1)
	v_mul_f32_e32 v167, v158, v224
	v_add_f32_e32 v1, v1, v2
	v_mul_f32_e32 v2, v153, v217
	v_fmac_f32_e32 v167, v159, v223
	v_fma_f32 v2, v152, v220, -v2
	v_add_f32_e32 v166, v166, v167
	s_waitcnt vmcnt(21)
	v_mul_f32_e32 v167, v160, v225
	v_add_f32_e32 v1, v1, v2
	v_mul_f32_e32 v2, v155, v219
	s_waitcnt vmcnt(18)
	v_fmac_f32_e32 v167, v161, v228
	v_fma_f32 v2, v154, v218, -v2
	v_add_f32_e32 v166, v166, v167
	s_waitcnt lgkmcnt(0)
	v_mul_f32_e32 v167, v162, v227
	v_add_f32_e32 v1, v1, v2
	v_mul_f32_e32 v2, v157, v222
	v_fmac_f32_e32 v167, v163, v226
	v_fma_f32 v2, v156, v221, -v2
	v_add_f32_e32 v170, v166, v167
	ds_read_b128 v[166:169], v26 offset:928
	v_add_f32_e32 v1, v1, v2
	v_mul_f32_e32 v2, v159, v224
	v_fma_f32 v2, v158, v223, -v2
	s_waitcnt vmcnt(16)
	v_mul_f32_e32 v171, v164, v230
	v_add_f32_e32 v1, v1, v2
	v_mul_f32_e32 v2, v161, v225
	v_fmac_f32_e32 v171, v165, v229
	v_fma_f32 v2, v160, v228, -v2
	v_add_f32_e32 v174, v170, v171
	ds_read_b128 v[170:173], v26 offset:944
	v_add_f32_e32 v1, v1, v2
	v_mul_f32_e32 v2, v163, v227
	s_waitcnt vmcnt(14) lgkmcnt(1)
	v_mul_f32_e32 v175, v166, v232
	v_fma_f32 v2, v162, v226, -v2
	v_fmac_f32_e32 v175, v167, v231
	v_add_f32_e32 v1, v1, v2
	v_mul_f32_e32 v2, v165, v230
	v_add_f32_e32 v174, v174, v175
	s_waitcnt vmcnt(13)
	v_mul_f32_e32 v175, v168, v233
	v_fma_f32 v2, v164, v229, -v2
	s_waitcnt vmcnt(10)
	v_fmac_f32_e32 v175, v169, v246
	v_add_f32_e32 v1, v1, v2
	v_mul_f32_e32 v2, v167, v232
	v_add_f32_e32 v174, v174, v175
	s_waitcnt lgkmcnt(0)
	v_mul_f32_e32 v175, v170, v245
	v_fma_f32 v2, v166, v231, -v2
	v_fmac_f32_e32 v175, v171, v244
	v_add_f32_e32 v1, v1, v2
	v_mul_f32_e32 v2, v169, v233
	v_add_f32_e32 v178, v174, v175
	ds_read_b128 v[174:177], v26 offset:960
	v_fma_f32 v2, v168, v246, -v2
	v_add_f32_e32 v1, v1, v2
	v_mul_f32_e32 v2, v171, v245
	s_waitcnt vmcnt(8)
	v_mul_f32_e32 v179, v172, v248
	v_fma_f32 v2, v170, v244, -v2
	v_fmac_f32_e32 v179, v173, v247
	v_add_f32_e32 v1, v1, v2
	v_mul_f32_e32 v2, v173, v248
	v_add_f32_e32 v235, v178, v179
	ds_read_b128 v[178:181], v26 offset:976
	v_fma_f32 v2, v172, v247, -v2
	v_add_f32_e32 v1, v1, v2
	s_waitcnt vmcnt(6) lgkmcnt(1)
	v_mul_f32_e32 v2, v175, v250
	v_mul_f32_e32 v26, v174, v250
	v_fma_f32 v2, v174, v249, -v2
	v_fmac_f32_e32 v26, v175, v249
	v_add_f32_e32 v1, v1, v2
	s_waitcnt vmcnt(5)
	v_mul_f32_e32 v2, v177, v251
	v_add_f32_e32 v26, v235, v26
	v_mul_f32_e32 v235, v176, v251
	s_waitcnt vmcnt(2)
	v_fma_f32 v2, v176, v254, -v2
	v_fmac_f32_e32 v235, v177, v254
	v_add_f32_e32 v1, v1, v2
	s_waitcnt lgkmcnt(0)
	v_mul_f32_e32 v2, v179, v253
	v_add_f32_e32 v26, v26, v235
	v_mul_f32_e32 v235, v178, v253
	v_fma_f32 v2, v178, v252, -v2
	v_fmac_f32_e32 v235, v179, v252
	v_add_f32_e32 v1, v1, v2
	s_waitcnt vmcnt(0)
	v_mul_f32_e32 v2, v181, v234
	v_add_f32_e32 v26, v26, v235
	v_mul_f32_e32 v235, v180, v234
	v_fma_f32 v2, v180, v255, -v2
	v_fmac_f32_e32 v235, v181, v255
	v_add_f32_e32 v1, v1, v2
	v_add_f32_e32 v26, v26, v235
	v_sub_f32_e32 v1, v27, v1
	v_sub_f32_e32 v2, v28, v26
	buffer_store_dword v1, off, s[0:3], 0 offset:8
	buffer_store_dword v2, off, s[0:3], 0 offset:12
	s_and_saveexec_b64 s[4:5], vcc
	s_cbranch_execz .LBB61_385
; %bb.384:
	buffer_load_dword v0, off, s[0:3], 0
	buffer_load_dword v1, off, s[0:3], 0 offset:4
	v_mov_b32_e32 v2, 0
	buffer_store_dword v2, off, s[0:3], 0
	buffer_store_dword v2, off, s[0:3], 0 offset:4
	s_waitcnt vmcnt(2)
	ds_write_b64 v25, v[0:1]
.LBB61_385:
	s_or_b64 exec, exec, s[4:5]
	s_waitcnt lgkmcnt(0)
	; wave barrier
	buffer_load_dword v233, off, s[0:3], 0 offset:12
	buffer_load_dword v251, off, s[0:3], 0 offset:20
	;; [unrolled: 1-line block ×26, first 2 shown]
	buffer_load_dword v245, off, s[0:3], 0
	buffer_load_dword v136, off, s[0:3], 0 offset:112
	buffer_load_dword v137, off, s[0:3], 0 offset:116
	;; [unrolled: 1-line block ×28, first 2 shown]
	v_mov_b32_e32 v244, 0
	ds_read2_b64 v[28:31], v244 offset0:63 offset1:64
	ds_read2_b64 v[16:19], v244 offset0:65 offset1:66
	;; [unrolled: 1-line block ×6, first 2 shown]
	buffer_load_dword v164, off, s[0:3], 0 offset:224
	buffer_load_dword v165, off, s[0:3], 0 offset:228
	s_and_b64 vcc, exec, s[22:23]
	s_waitcnt vmcnt(56) lgkmcnt(5)
	v_mul_f32_e32 v20, v28, v233
	s_waitcnt vmcnt(55)
	v_mul_f32_e32 v21, v30, v251
	s_waitcnt vmcnt(54) lgkmcnt(4)
	v_mul_f32_e32 v22, v16, v250
	s_waitcnt vmcnt(53)
	v_mul_f32_e32 v23, v18, v249
	;; [unrolled: 4-line block ×4, first 2 shown]
	s_waitcnt vmcnt(48) lgkmcnt(1)
	v_mul_f32_e32 v32, v4, v253
	s_waitcnt vmcnt(47)
	v_fmac_f32_e32 v20, v29, v234
	s_waitcnt vmcnt(46)
	v_fmac_f32_e32 v21, v31, v131
	v_add_f32_e32 v20, 0, v20
	s_waitcnt vmcnt(45)
	v_fmac_f32_e32 v22, v17, v129
	v_add_f32_e32 v20, v20, v21
	;; [unrolled: 3-line block ×8, first 2 shown]
	s_waitcnt vmcnt(38)
	v_mul_f32_e32 v21, v6, v122
	v_add_f32_e32 v20, v20, v32
	s_waitcnt vmcnt(37)
	v_fmac_f32_e32 v21, v7, v255
	v_add_f32_e32 v20, v20, v21
	s_waitcnt vmcnt(36) lgkmcnt(0)
	v_mul_f32_e32 v21, v0, v254
	ds_read2_b64 v[24:27], v244 offset0:75 offset1:76
	s_waitcnt vmcnt(35)
	v_fmac_f32_e32 v21, v1, v130
	v_add_f32_e32 v20, v20, v21
	s_waitcnt vmcnt(34)
	v_mul_f32_e32 v21, v2, v135
	buffer_load_dword v166, off, s[0:3], 0 offset:232
	buffer_load_dword v167, off, s[0:3], 0 offset:236
	s_waitcnt vmcnt(35)
	v_fmac_f32_e32 v21, v3, v134
	v_add_f32_e32 v32, v20, v21
	ds_read2_b64 v[20:23], v244 offset0:77 offset1:78
	s_waitcnt vmcnt(34) lgkmcnt(1)
	v_mul_f32_e32 v33, v24, v133
	buffer_load_dword v168, off, s[0:3], 0 offset:240
	buffer_load_dword v169, off, s[0:3], 0 offset:244
	s_waitcnt vmcnt(35)
	v_fmac_f32_e32 v33, v25, v132
	v_add_f32_e32 v32, v32, v33
	s_waitcnt vmcnt(32)
	v_mul_f32_e32 v33, v26, v137
	buffer_load_dword v170, off, s[0:3], 0 offset:248
	buffer_load_dword v171, off, s[0:3], 0 offset:252
	v_fmac_f32_e32 v33, v27, v136
	v_add_f32_e32 v32, v32, v33
	s_waitcnt vmcnt(32) lgkmcnt(0)
	v_mul_f32_e32 v33, v20, v139
	ds_read2_b64 v[36:39], v244 offset0:79 offset1:80
	buffer_load_dword v172, off, s[0:3], 0 offset:256
	buffer_load_dword v173, off, s[0:3], 0 offset:260
	v_fmac_f32_e32 v33, v21, v138
	v_add_f32_e32 v32, v32, v33
	s_waitcnt vmcnt(32)
	v_mul_f32_e32 v33, v22, v141
	v_fmac_f32_e32 v33, v23, v140
	v_add_f32_e32 v40, v32, v33
	ds_read2_b64 v[32:35], v244 offset0:81 offset1:82
	s_waitcnt vmcnt(30) lgkmcnt(1)
	v_mul_f32_e32 v41, v36, v143
	v_fmac_f32_e32 v41, v37, v142
	v_add_f32_e32 v40, v40, v41
	s_waitcnt vmcnt(28)
	v_mul_f32_e32 v41, v38, v145
	v_fmac_f32_e32 v41, v39, v144
	v_add_f32_e32 v40, v40, v41
	s_waitcnt vmcnt(26) lgkmcnt(0)
	v_mul_f32_e32 v41, v32, v147
	buffer_load_dword v174, off, s[0:3], 0 offset:264
	buffer_load_dword v175, off, s[0:3], 0 offset:268
	ds_read2_b64 v[44:47], v244 offset0:83 offset1:84
	v_fmac_f32_e32 v41, v33, v146
	v_add_f32_e32 v40, v40, v41
	s_waitcnt vmcnt(26)
	v_mul_f32_e32 v41, v34, v149
	v_fmac_f32_e32 v41, v35, v148
	v_add_f32_e32 v48, v40, v41
	ds_read2_b64 v[40:43], v244 offset0:85 offset1:86
	s_waitcnt vmcnt(24) lgkmcnt(1)
	v_mul_f32_e32 v49, v44, v151
	v_fmac_f32_e32 v49, v45, v150
	buffer_load_dword v176, off, s[0:3], 0 offset:272
	buffer_load_dword v177, off, s[0:3], 0 offset:276
	v_add_f32_e32 v48, v48, v49
	s_waitcnt vmcnt(24)
	v_mul_f32_e32 v49, v46, v153
	v_fmac_f32_e32 v49, v47, v152
	buffer_load_dword v178, off, s[0:3], 0 offset:280
	buffer_load_dword v179, off, s[0:3], 0 offset:284
	v_add_f32_e32 v48, v48, v49
	s_waitcnt vmcnt(24) lgkmcnt(0)
	v_mul_f32_e32 v49, v40, v155
	v_fmac_f32_e32 v49, v41, v154
	v_add_f32_e32 v52, v48, v49
	ds_read2_b64 v[48:51], v244 offset0:87 offset1:88
	buffer_load_dword v180, off, s[0:3], 0 offset:288
	buffer_load_dword v181, off, s[0:3], 0 offset:292
	s_waitcnt vmcnt(24)
	v_mul_f32_e32 v53, v42, v157
	v_fmac_f32_e32 v53, v43, v156
	v_add_f32_e32 v56, v52, v53
	ds_read2_b64 v[52:55], v244 offset0:89 offset1:90
	s_waitcnt vmcnt(22) lgkmcnt(1)
	v_mul_f32_e32 v57, v48, v159
	v_fmac_f32_e32 v57, v49, v158
	v_add_f32_e32 v56, v56, v57
	buffer_load_dword v182, off, s[0:3], 0 offset:296
	buffer_load_dword v183, off, s[0:3], 0 offset:300
	s_waitcnt vmcnt(23)
	v_mul_f32_e32 v57, v50, v161
	s_waitcnt vmcnt(22)
	v_fmac_f32_e32 v57, v51, v160
	v_add_f32_e32 v56, v56, v57
	s_waitcnt vmcnt(20) lgkmcnt(0)
	v_mul_f32_e32 v57, v52, v163
	buffer_load_dword v184, off, s[0:3], 0 offset:308
	v_fmac_f32_e32 v57, v53, v162
	v_add_f32_e32 v56, v56, v57
	s_waitcnt vmcnt(19)
	v_mul_f32_e32 v57, v54, v165
	ds_read2_b64 v[60:63], v244 offset0:91 offset1:92
	buffer_load_dword v187, off, s[0:3], 0 offset:304
	buffer_load_dword v185, off, s[0:3], 0 offset:312
	;; [unrolled: 1-line block ×3, first 2 shown]
	v_fmac_f32_e32 v57, v55, v164
	v_add_f32_e32 v64, v56, v57
	ds_read2_b64 v[56:59], v244 offset0:93 offset1:94
	buffer_load_dword v186, off, s[0:3], 0 offset:320
	buffer_load_dword v191, off, s[0:3], 0 offset:324
	;; [unrolled: 1-line block ×16, first 2 shown]
	ds_read2_b64 v[68:71], v244 offset0:95 offset1:96
	buffer_load_dword v200, off, s[0:3], 0 offset:384
	buffer_load_dword v207, off, s[0:3], 0 offset:388
	v_mul_f32_e32 v29, v29, v233
	v_fma_f32 v28, v28, v234, -v29
	s_waitcnt vmcnt(38) lgkmcnt(2)
	v_mul_f32_e32 v65, v60, v167
	v_fmac_f32_e32 v65, v61, v166
	v_add_f32_e32 v64, v64, v65
	v_mul_f32_e32 v29, v31, v251
	v_fma_f32 v31, v30, v131, -v29
	s_waitcnt vmcnt(36)
	v_mul_f32_e32 v65, v62, v169
	v_fmac_f32_e32 v65, v63, v168
	v_add_f32_e32 v64, v64, v65
	v_add_f32_e32 v28, 0, v28
	s_waitcnt vmcnt(34) lgkmcnt(1)
	v_mul_f32_e32 v65, v56, v171
	v_fmac_f32_e32 v65, v57, v170
	v_add_f32_e32 v64, v64, v65
	v_mul_f32_e32 v17, v17, v250
	v_add_f32_e32 v28, v28, v31
	s_waitcnt vmcnt(32)
	v_mul_f32_e32 v65, v58, v173
	v_fmac_f32_e32 v65, v59, v172
	v_add_f32_e32 v72, v64, v65
	ds_read2_b64 v[64:67], v244 offset0:97 offset1:98
	buffer_load_dword v205, off, s[0:3], 0 offset:392
	buffer_load_dword v209, off, s[0:3], 0 offset:396
	;; [unrolled: 1-line block ×6, first 2 shown]
	v_fma_f32 v16, v16, v129, -v17
	v_mul_f32_e32 v17, v19, v249
	v_add_f32_e32 v16, v28, v16
	v_fma_f32 v17, v18, v128, -v17
	v_mul_f32_e32 v13, v13, v248
	buffer_load_dword v208, off, s[0:3], 0 offset:416
	buffer_load_dword v215, off, s[0:3], 0 offset:420
	v_add_f32_e32 v16, v16, v17
	v_fma_f32 v12, v12, v126, -v13
	v_mul_f32_e32 v13, v15, v247
	v_add_f32_e32 v12, v16, v12
	v_fma_f32 v13, v14, v124, -v13
	v_mul_f32_e32 v9, v9, v246
	buffer_load_dword v213, off, s[0:3], 0 offset:424
	buffer_load_dword v217, off, s[0:3], 0 offset:428
	v_add_f32_e32 v12, v12, v13
	v_fma_f32 v8, v8, v127, -v9
	v_mul_f32_e32 v9, v11, v252
	v_add_f32_e32 v8, v12, v8
	v_fma_f32 v9, v10, v125, -v9
	v_mul_f32_e32 v5, v5, v253
	v_add_f32_e32 v8, v8, v9
	v_fma_f32 v4, v4, v123, -v5
	v_mul_f32_e32 v5, v7, v122
	v_add_f32_e32 v4, v8, v4
	v_fma_f32 v5, v6, v255, -v5
	v_mul_f32_e32 v1, v1, v254
	s_waitcnt vmcnt(40) lgkmcnt(1)
	v_mul_f32_e32 v73, v68, v175
	v_add_f32_e32 v4, v4, v5
	v_fma_f32 v0, v0, v130, -v1
	v_mul_f32_e32 v1, v3, v135
	v_fmac_f32_e32 v73, v69, v174
	buffer_load_dword v219, off, s[0:3], 0 offset:436
	buffer_load_dword v218, off, s[0:3], 0 offset:432
	;; [unrolled: 1-line block ×4, first 2 shown]
	v_add_f32_e32 v0, v4, v0
	v_fma_f32 v1, v2, v134, -v1
	v_add_f32_e32 v72, v72, v73
	s_waitcnt vmcnt(42)
	v_mul_f32_e32 v73, v70, v177
	v_add_f32_e32 v0, v0, v1
	v_mul_f32_e32 v1, v25, v133
	v_fmac_f32_e32 v73, v71, v176
	buffer_load_dword v216, off, s[0:3], 0 offset:448
	buffer_load_dword v222, off, s[0:3], 0 offset:452
	v_fma_f32 v1, v24, v132, -v1
	v_add_f32_e32 v72, v72, v73
	s_waitcnt vmcnt(42) lgkmcnt(0)
	v_mul_f32_e32 v73, v64, v179
	v_add_f32_e32 v0, v0, v1
	v_mul_f32_e32 v1, v27, v137
	v_fmac_f32_e32 v73, v65, v178
	v_fma_f32 v1, v26, v136, -v1
	v_add_f32_e32 v72, v72, v73
	s_waitcnt vmcnt(40)
	v_mul_f32_e32 v73, v66, v181
	ds_read2_b64 v[76:79], v244 offset0:99 offset1:100
	buffer_load_dword v224, off, s[0:3], 0 offset:460
	buffer_load_dword v223, off, s[0:3], 0 offset:456
	v_add_f32_e32 v0, v0, v1
	v_mul_f32_e32 v1, v21, v139
	v_fmac_f32_e32 v73, v67, v180
	v_fma_f32 v1, v20, v138, -v1
	v_add_f32_e32 v80, v72, v73
	ds_read2_b64 v[72:75], v244 offset0:101 offset1:102
	buffer_load_dword v226, off, s[0:3], 0 offset:468
	buffer_load_dword v225, off, s[0:3], 0 offset:464
	v_add_f32_e32 v0, v0, v1
	v_mul_f32_e32 v1, v23, v141
	v_fma_f32 v1, v22, v140, -v1
	v_add_f32_e32 v0, v0, v1
	v_mul_f32_e32 v1, v37, v143
	v_fma_f32 v1, v36, v142, -v1
	;; [unrolled: 3-line block ×3, first 2 shown]
	buffer_load_dword v221, off, s[0:3], 0 offset:472
	buffer_load_dword v228, off, s[0:3], 0 offset:476
	v_add_f32_e32 v0, v0, v1
	v_mul_f32_e32 v1, v33, v147
	v_fma_f32 v1, v32, v146, -v1
	v_add_f32_e32 v0, v0, v1
	v_mul_f32_e32 v1, v35, v149
	v_fma_f32 v1, v34, v148, -v1
	buffer_load_dword v230, off, s[0:3], 0 offset:484
	buffer_load_dword v229, off, s[0:3], 0 offset:480
	;; [unrolled: 1-line block ×4, first 2 shown]
	v_add_f32_e32 v0, v0, v1
	v_mul_f32_e32 v1, v45, v151
	v_fma_f32 v1, v44, v150, -v1
	v_add_f32_e32 v0, v0, v1
	v_mul_f32_e32 v1, v47, v153
	v_fma_f32 v1, v46, v152, -v1
	buffer_load_dword v233, off, s[0:3], 0 offset:4
	v_add_f32_e32 v0, v0, v1
	v_mul_f32_e32 v1, v41, v155
	v_fma_f32 v1, v40, v154, -v1
	v_add_f32_e32 v0, v0, v1
	v_mul_f32_e32 v1, v43, v157
	v_fma_f32 v1, v42, v156, -v1
	;; [unrolled: 3-line block ×9, first 2 shown]
	v_add_f32_e32 v0, v0, v1
	v_mul_f32_e32 v1, v59, v173
	s_waitcnt vmcnt(49) lgkmcnt(1)
	v_mul_f32_e32 v81, v76, v183
	v_fma_f32 v1, v58, v172, -v1
	v_fmac_f32_e32 v81, v77, v182
	v_add_f32_e32 v0, v0, v1
	v_mul_f32_e32 v1, v69, v175
	v_add_f32_e32 v80, v80, v81
	s_waitcnt vmcnt(48)
	v_mul_f32_e32 v81, v78, v184
	v_fma_f32 v1, v68, v174, -v1
	s_waitcnt vmcnt(47)
	v_fmac_f32_e32 v81, v79, v187
	v_add_f32_e32 v0, v0, v1
	v_mul_f32_e32 v1, v71, v177
	v_add_f32_e32 v80, v80, v81
	s_waitcnt vmcnt(45) lgkmcnt(0)
	v_mul_f32_e32 v81, v72, v188
	ds_read2_b64 v[84:87], v244 offset0:103 offset1:104
	v_fma_f32 v1, v70, v176, -v1
	v_fmac_f32_e32 v81, v73, v185
	v_add_f32_e32 v0, v0, v1
	v_mul_f32_e32 v1, v65, v179
	v_add_f32_e32 v80, v80, v81
	s_waitcnt vmcnt(43)
	v_mul_f32_e32 v81, v74, v191
	v_fma_f32 v1, v64, v178, -v1
	v_fmac_f32_e32 v81, v75, v186
	v_add_f32_e32 v0, v0, v1
	v_mul_f32_e32 v1, v67, v181
	v_add_f32_e32 v88, v80, v81
	ds_read2_b64 v[80:83], v244 offset0:105 offset1:106
	v_fma_f32 v1, v66, v180, -v1
	s_waitcnt vmcnt(41) lgkmcnt(1)
	v_mul_f32_e32 v89, v84, v193
	v_add_f32_e32 v0, v0, v1
	v_mul_f32_e32 v1, v77, v183
	v_fmac_f32_e32 v89, v85, v189
	v_fma_f32 v1, v76, v182, -v1
	v_add_f32_e32 v88, v88, v89
	s_waitcnt vmcnt(40)
	v_mul_f32_e32 v89, v86, v195
	v_add_f32_e32 v0, v0, v1
	v_mul_f32_e32 v1, v79, v184
	s_waitcnt vmcnt(39)
	v_fmac_f32_e32 v89, v87, v194
	v_fma_f32 v1, v78, v187, -v1
	v_add_f32_e32 v88, v88, v89
	s_waitcnt vmcnt(37) lgkmcnt(0)
	v_mul_f32_e32 v89, v80, v196
	ds_read2_b64 v[92:95], v244 offset0:107 offset1:108
	v_add_f32_e32 v0, v0, v1
	v_mul_f32_e32 v1, v73, v188
	v_fmac_f32_e32 v89, v81, v190
	v_fma_f32 v1, v72, v185, -v1
	v_add_f32_e32 v88, v88, v89
	s_waitcnt vmcnt(35)
	v_mul_f32_e32 v89, v82, v199
	v_add_f32_e32 v0, v0, v1
	v_mul_f32_e32 v1, v75, v191
	v_fmac_f32_e32 v89, v83, v192
	v_fma_f32 v1, v74, v186, -v1
	v_add_f32_e32 v96, v88, v89
	ds_read2_b64 v[88:91], v244 offset0:109 offset1:110
	v_add_f32_e32 v0, v0, v1
	v_mul_f32_e32 v1, v85, v193
	s_waitcnt vmcnt(33) lgkmcnt(1)
	v_mul_f32_e32 v97, v92, v201
	v_fma_f32 v1, v84, v189, -v1
	v_fmac_f32_e32 v97, v93, v197
	v_add_f32_e32 v0, v0, v1
	v_mul_f32_e32 v1, v87, v195
	v_add_f32_e32 v96, v96, v97
	s_waitcnt vmcnt(32)
	v_mul_f32_e32 v97, v94, v203
	v_fma_f32 v1, v86, v194, -v1
	s_waitcnt vmcnt(31)
	v_fmac_f32_e32 v97, v95, v202
	v_add_f32_e32 v0, v0, v1
	v_mul_f32_e32 v1, v81, v196
	v_add_f32_e32 v96, v96, v97
	s_waitcnt vmcnt(29) lgkmcnt(0)
	v_mul_f32_e32 v97, v88, v204
	ds_read2_b64 v[100:103], v244 offset0:111 offset1:112
	v_fma_f32 v1, v80, v190, -v1
	v_fmac_f32_e32 v97, v89, v198
	v_add_f32_e32 v0, v0, v1
	v_mul_f32_e32 v1, v83, v199
	v_add_f32_e32 v96, v96, v97
	s_waitcnt vmcnt(27)
	v_mul_f32_e32 v97, v90, v207
	v_fma_f32 v1, v82, v192, -v1
	v_fmac_f32_e32 v97, v91, v200
	v_add_f32_e32 v0, v0, v1
	v_mul_f32_e32 v1, v93, v201
	v_add_f32_e32 v104, v96, v97
	ds_read2_b64 v[96:99], v244 offset0:113 offset1:114
	v_fma_f32 v1, v92, v197, -v1
	s_waitcnt vmcnt(25) lgkmcnt(1)
	v_mul_f32_e32 v105, v100, v209
	v_add_f32_e32 v0, v0, v1
	v_mul_f32_e32 v1, v95, v203
	v_fmac_f32_e32 v105, v101, v205
	v_fma_f32 v1, v94, v202, -v1
	v_add_f32_e32 v104, v104, v105
	s_waitcnt vmcnt(24)
	v_mul_f32_e32 v105, v102, v211
	v_add_f32_e32 v0, v0, v1
	v_mul_f32_e32 v1, v89, v204
	s_waitcnt vmcnt(23)
	v_fmac_f32_e32 v105, v103, v210
	ds_read2_b64 v[108:111], v244 offset0:115 offset1:116
	v_fma_f32 v1, v88, v198, -v1
	v_add_f32_e32 v104, v104, v105
	s_waitcnt vmcnt(21) lgkmcnt(1)
	v_mul_f32_e32 v105, v96, v212
	v_add_f32_e32 v0, v0, v1
	v_mul_f32_e32 v1, v91, v207
	v_fmac_f32_e32 v105, v97, v206
	v_fma_f32 v1, v90, v200, -v1
	v_add_f32_e32 v104, v104, v105
	s_waitcnt vmcnt(19)
	v_mul_f32_e32 v105, v98, v215
	v_add_f32_e32 v0, v0, v1
	v_mul_f32_e32 v1, v101, v209
	v_fmac_f32_e32 v105, v99, v208
	v_fma_f32 v1, v100, v205, -v1
	v_add_f32_e32 v112, v104, v105
	ds_read2_b64 v[104:107], v244 offset0:117 offset1:118
	s_waitcnt vmcnt(17) lgkmcnt(1)
	v_mul_f32_e32 v113, v108, v217
	v_add_f32_e32 v0, v0, v1
	v_mul_f32_e32 v1, v103, v211
	v_fmac_f32_e32 v113, v109, v213
	v_fma_f32 v1, v102, v210, -v1
	v_add_f32_e32 v112, v112, v113
	s_waitcnt vmcnt(16)
	v_mul_f32_e32 v113, v110, v219
	v_add_f32_e32 v0, v0, v1
	v_mul_f32_e32 v1, v97, v212
	s_waitcnt vmcnt(15)
	v_fmac_f32_e32 v113, v111, v218
	v_fma_f32 v1, v96, v206, -v1
	v_add_f32_e32 v116, v112, v113
	ds_read2_b64 v[112:115], v244 offset0:119 offset1:120
	ds_read_b64 v[29:30], v244 offset:984
	v_add_f32_e32 v0, v0, v1
	v_mul_f32_e32 v1, v99, v215
	s_waitcnt vmcnt(13) lgkmcnt(2)
	v_mul_f32_e32 v117, v104, v220
	v_fma_f32 v1, v98, v208, -v1
	v_fmac_f32_e32 v117, v105, v214
	v_add_f32_e32 v0, v0, v1
	v_mul_f32_e32 v1, v109, v217
	v_add_f32_e32 v116, v116, v117
	s_waitcnt vmcnt(11)
	v_mul_f32_e32 v117, v106, v222
	v_fma_f32 v1, v108, v213, -v1
	v_fmac_f32_e32 v117, v107, v216
	v_add_f32_e32 v0, v0, v1
	v_mul_f32_e32 v1, v111, v219
	v_add_f32_e32 v116, v116, v117
	s_waitcnt vmcnt(10) lgkmcnt(1)
	v_mul_f32_e32 v117, v112, v224
	v_fma_f32 v1, v110, v218, -v1
	s_waitcnt vmcnt(9)
	v_fmac_f32_e32 v117, v113, v223
	v_add_f32_e32 v0, v0, v1
	v_mul_f32_e32 v1, v105, v220
	v_add_f32_e32 v116, v116, v117
	s_waitcnt vmcnt(8)
	v_mul_f32_e32 v117, v114, v226
	v_fma_f32 v1, v104, v214, -v1
	s_waitcnt vmcnt(7)
	v_fmac_f32_e32 v117, v115, v225
	v_add_f32_e32 v0, v0, v1
	v_mul_f32_e32 v1, v107, v222
	v_add_f32_e32 v232, v116, v117
	ds_read2_b64 v[116:119], v244 offset0:121 offset1:122
	v_fma_f32 v1, v106, v216, -v1
	v_add_f32_e32 v0, v0, v1
	v_mul_f32_e32 v1, v113, v224
	v_fma_f32 v1, v112, v223, -v1
	v_add_f32_e32 v0, v0, v1
	v_mul_f32_e32 v1, v115, v226
	v_fma_f32 v1, v114, v225, -v1
	v_add_f32_e32 v0, v0, v1
	s_waitcnt vmcnt(5) lgkmcnt(0)
	v_mul_f32_e32 v1, v117, v228
	v_mul_f32_e32 v131, v116, v228
	v_fma_f32 v1, v116, v221, -v1
	v_fmac_f32_e32 v131, v117, v221
	v_add_f32_e32 v0, v0, v1
	s_waitcnt vmcnt(4)
	v_mul_f32_e32 v1, v119, v230
	v_add_f32_e32 v131, v232, v131
	v_mul_f32_e32 v232, v118, v230
	s_waitcnt vmcnt(3)
	v_fma_f32 v1, v118, v229, -v1
	v_fmac_f32_e32 v232, v119, v229
	v_add_f32_e32 v0, v0, v1
	s_waitcnt vmcnt(1)
	v_mul_f32_e32 v1, v30, v231
	v_add_f32_e32 v131, v131, v232
	v_mul_f32_e32 v232, v29, v231
	v_fma_f32 v1, v29, v227, -v1
	v_fmac_f32_e32 v232, v30, v227
	v_add_f32_e32 v0, v0, v1
	v_add_f32_e32 v131, v131, v232
	v_sub_f32_e32 v0, v245, v0
	s_waitcnt vmcnt(0)
	v_sub_f32_e32 v1, v233, v131
	buffer_store_dword v0, off, s[0:3], 0
	buffer_store_dword v1, off, s[0:3], 0 offset:4
	s_cbranch_vccz .LBB61_508
; %bb.386:
	global_load_dword v0, v244, s[20:21] offset:240
	s_waitcnt vmcnt(0)
	v_add_u32_e32 v0, -1, v0
	v_cmp_ne_u32_e32 vcc, 60, v0
	s_cbranch_vccz .LBB61_388
; %bb.387:
	v_lshlrev_b32_e32 v0, 3, v0
	buffer_load_dword v1, v0, s[0:3], 0 offen
	buffer_load_dword v2, v0, s[0:3], 0 offen offset:4
	buffer_load_dword v3, off, s[0:3], 0 offset:484
	buffer_load_dword v4, off, s[0:3], 0 offset:480
	s_waitcnt vmcnt(3)
	buffer_store_dword v1, off, s[0:3], 0 offset:480
	s_waitcnt vmcnt(3)
	buffer_store_dword v2, off, s[0:3], 0 offset:484
	s_waitcnt vmcnt(3)
	buffer_store_dword v3, v0, s[0:3], 0 offen offset:4
	s_waitcnt vmcnt(3)
	buffer_store_dword v4, v0, s[0:3], 0 offen
.LBB61_388:
	v_mov_b32_e32 v0, 0
	global_load_dword v1, v0, s[20:21] offset:236
	s_waitcnt vmcnt(0)
	v_add_u32_e32 v1, -1, v1
	v_cmp_eq_u32_e32 vcc, 59, v1
	s_cbranch_vccnz .LBB61_390
; %bb.389:
	v_lshlrev_b32_e32 v1, 3, v1
	buffer_load_dword v2, v1, s[0:3], 0 offen
	buffer_load_dword v3, v1, s[0:3], 0 offen offset:4
	buffer_load_dword v4, off, s[0:3], 0 offset:472
	buffer_load_dword v5, off, s[0:3], 0 offset:476
	s_waitcnt vmcnt(3)
	buffer_store_dword v2, off, s[0:3], 0 offset:472
	s_waitcnt vmcnt(3)
	buffer_store_dword v3, off, s[0:3], 0 offset:476
	s_waitcnt vmcnt(3)
	buffer_store_dword v4, v1, s[0:3], 0 offen
	s_waitcnt vmcnt(3)
	buffer_store_dword v5, v1, s[0:3], 0 offen offset:4
.LBB61_390:
	global_load_dword v0, v0, s[20:21] offset:232
	s_waitcnt vmcnt(0)
	v_add_u32_e32 v0, -1, v0
	v_cmp_eq_u32_e32 vcc, 58, v0
	s_cbranch_vccnz .LBB61_392
; %bb.391:
	v_lshlrev_b32_e32 v0, 3, v0
	buffer_load_dword v1, v0, s[0:3], 0 offen
	buffer_load_dword v2, v0, s[0:3], 0 offen offset:4
	buffer_load_dword v3, off, s[0:3], 0 offset:468
	buffer_load_dword v4, off, s[0:3], 0 offset:464
	s_waitcnt vmcnt(3)
	buffer_store_dword v1, off, s[0:3], 0 offset:464
	s_waitcnt vmcnt(3)
	buffer_store_dword v2, off, s[0:3], 0 offset:468
	s_waitcnt vmcnt(3)
	buffer_store_dword v3, v0, s[0:3], 0 offen offset:4
	s_waitcnt vmcnt(3)
	buffer_store_dword v4, v0, s[0:3], 0 offen
.LBB61_392:
	v_mov_b32_e32 v0, 0
	global_load_dword v1, v0, s[20:21] offset:228
	s_waitcnt vmcnt(0)
	v_add_u32_e32 v1, -1, v1
	v_cmp_eq_u32_e32 vcc, 57, v1
	s_cbranch_vccnz .LBB61_394
; %bb.393:
	v_lshlrev_b32_e32 v1, 3, v1
	buffer_load_dword v2, v1, s[0:3], 0 offen
	buffer_load_dword v3, v1, s[0:3], 0 offen offset:4
	buffer_load_dword v4, off, s[0:3], 0 offset:456
	buffer_load_dword v5, off, s[0:3], 0 offset:460
	s_waitcnt vmcnt(3)
	buffer_store_dword v2, off, s[0:3], 0 offset:456
	s_waitcnt vmcnt(3)
	buffer_store_dword v3, off, s[0:3], 0 offset:460
	s_waitcnt vmcnt(3)
	buffer_store_dword v4, v1, s[0:3], 0 offen
	s_waitcnt vmcnt(3)
	buffer_store_dword v5, v1, s[0:3], 0 offen offset:4
.LBB61_394:
	global_load_dword v0, v0, s[20:21] offset:224
	s_waitcnt vmcnt(0)
	v_add_u32_e32 v0, -1, v0
	v_cmp_eq_u32_e32 vcc, 56, v0
	s_cbranch_vccnz .LBB61_396
; %bb.395:
	v_lshlrev_b32_e32 v0, 3, v0
	buffer_load_dword v1, v0, s[0:3], 0 offen
	buffer_load_dword v2, v0, s[0:3], 0 offen offset:4
	buffer_load_dword v3, off, s[0:3], 0 offset:452
	buffer_load_dword v4, off, s[0:3], 0 offset:448
	s_waitcnt vmcnt(3)
	buffer_store_dword v1, off, s[0:3], 0 offset:448
	s_waitcnt vmcnt(3)
	buffer_store_dword v2, off, s[0:3], 0 offset:452
	s_waitcnt vmcnt(3)
	buffer_store_dword v3, v0, s[0:3], 0 offen offset:4
	s_waitcnt vmcnt(3)
	buffer_store_dword v4, v0, s[0:3], 0 offen
.LBB61_396:
	;; [unrolled: 41-line block ×29, first 2 shown]
	v_mov_b32_e32 v0, 0
	global_load_dword v1, v0, s[20:21] offset:4
	s_waitcnt vmcnt(0)
	v_add_u32_e32 v1, -1, v1
	v_cmp_eq_u32_e32 vcc, 1, v1
	s_cbranch_vccnz .LBB61_506
; %bb.505:
	v_lshlrev_b32_e32 v1, 3, v1
	buffer_load_dword v2, v1, s[0:3], 0 offen
	buffer_load_dword v3, v1, s[0:3], 0 offen offset:4
	buffer_load_dword v4, off, s[0:3], 0 offset:8
	buffer_load_dword v5, off, s[0:3], 0 offset:12
	s_waitcnt vmcnt(3)
	buffer_store_dword v2, off, s[0:3], 0 offset:8
	s_waitcnt vmcnt(3)
	buffer_store_dword v3, off, s[0:3], 0 offset:12
	s_waitcnt vmcnt(3)
	buffer_store_dword v4, v1, s[0:3], 0 offen
	s_waitcnt vmcnt(3)
	buffer_store_dword v5, v1, s[0:3], 0 offen offset:4
.LBB61_506:
	global_load_dword v0, v0, s[20:21]
	s_waitcnt vmcnt(0)
	v_add_u32_e32 v0, -1, v0
	v_cmp_eq_u32_e32 vcc, 0, v0
	s_cbranch_vccnz .LBB61_508
; %bb.507:
	v_lshlrev_b32_e32 v0, 3, v0
	buffer_load_dword v1, v0, s[0:3], 0 offen
	buffer_load_dword v2, v0, s[0:3], 0 offen offset:4
	buffer_load_dword v3, off, s[0:3], 0 offset:4
	buffer_load_dword v4, off, s[0:3], 0
	s_waitcnt vmcnt(3)
	buffer_store_dword v1, off, s[0:3], 0
	s_waitcnt vmcnt(3)
	buffer_store_dword v2, off, s[0:3], 0 offset:4
	s_waitcnt vmcnt(3)
	buffer_store_dword v3, v0, s[0:3], 0 offen offset:4
	s_waitcnt vmcnt(3)
	buffer_store_dword v4, v0, s[0:3], 0 offen
.LBB61_508:
	buffer_load_dword v0, off, s[0:3], 0
	s_nop 0
	buffer_load_dword v1, off, s[0:3], 0 offset:4
	buffer_load_dword v2, off, s[0:3], 0 offset:8
	;; [unrolled: 1-line block ×123, first 2 shown]
	s_waitcnt vmcnt(62)
	global_store_dwordx2 v[120:121], v[0:1], off
	buffer_load_dword v0, off, s[0:3], 0 offset:496 ; 4-byte Folded Reload
	s_nop 0
	buffer_load_dword v1, off, s[0:3], 0 offset:500 ; 4-byte Folded Reload
	s_waitcnt vmcnt(0)
	global_store_dwordx2 v[0:1], v[2:3], off
	buffer_load_dword v0, off, s[0:3], 0 offset:504 ; 4-byte Folded Reload
	s_nop 0
	buffer_load_dword v1, off, s[0:3], 0 offset:508 ; 4-byte Folded Reload
	;; [unrolled: 5-line block ×57, first 2 shown]
	s_waitcnt vmcnt(0)
	global_store_dwordx2 v[0:1], v[114:115], off
	global_store_dwordx2 v[236:237], v[116:117], off
	;; [unrolled: 1-line block ×5, first 2 shown]
	s_endpgm
	.section	.rodata,"a",@progbits
	.p2align	6, 0x0
	.amdhsa_kernel _ZN9rocsolver6v33100L18getri_kernel_smallILi62E19rocblas_complex_numIfEPS3_EEvT1_iilPiilS6_bb
		.amdhsa_group_segment_fixed_size 996
		.amdhsa_private_segment_fixed_size 960
		.amdhsa_kernarg_size 60
		.amdhsa_user_sgpr_count 6
		.amdhsa_user_sgpr_private_segment_buffer 1
		.amdhsa_user_sgpr_dispatch_ptr 0
		.amdhsa_user_sgpr_queue_ptr 0
		.amdhsa_user_sgpr_kernarg_segment_ptr 1
		.amdhsa_user_sgpr_dispatch_id 0
		.amdhsa_user_sgpr_flat_scratch_init 0
		.amdhsa_user_sgpr_private_segment_size 0
		.amdhsa_uses_dynamic_stack 0
		.amdhsa_system_sgpr_private_segment_wavefront_offset 1
		.amdhsa_system_sgpr_workgroup_id_x 1
		.amdhsa_system_sgpr_workgroup_id_y 0
		.amdhsa_system_sgpr_workgroup_id_z 0
		.amdhsa_system_sgpr_workgroup_info 0
		.amdhsa_system_vgpr_workitem_id 0
		.amdhsa_next_free_vgpr 256
		.amdhsa_next_free_sgpr 24
		.amdhsa_reserve_vcc 1
		.amdhsa_reserve_flat_scratch 0
		.amdhsa_float_round_mode_32 0
		.amdhsa_float_round_mode_16_64 0
		.amdhsa_float_denorm_mode_32 3
		.amdhsa_float_denorm_mode_16_64 3
		.amdhsa_dx10_clamp 1
		.amdhsa_ieee_mode 1
		.amdhsa_fp16_overflow 0
		.amdhsa_exception_fp_ieee_invalid_op 0
		.amdhsa_exception_fp_denorm_src 0
		.amdhsa_exception_fp_ieee_div_zero 0
		.amdhsa_exception_fp_ieee_overflow 0
		.amdhsa_exception_fp_ieee_underflow 0
		.amdhsa_exception_fp_ieee_inexact 0
		.amdhsa_exception_int_div_zero 0
	.end_amdhsa_kernel
	.section	.text._ZN9rocsolver6v33100L18getri_kernel_smallILi62E19rocblas_complex_numIfEPS3_EEvT1_iilPiilS6_bb,"axG",@progbits,_ZN9rocsolver6v33100L18getri_kernel_smallILi62E19rocblas_complex_numIfEPS3_EEvT1_iilPiilS6_bb,comdat
.Lfunc_end61:
	.size	_ZN9rocsolver6v33100L18getri_kernel_smallILi62E19rocblas_complex_numIfEPS3_EEvT1_iilPiilS6_bb, .Lfunc_end61-_ZN9rocsolver6v33100L18getri_kernel_smallILi62E19rocblas_complex_numIfEPS3_EEvT1_iilPiilS6_bb
                                        ; -- End function
	.set _ZN9rocsolver6v33100L18getri_kernel_smallILi62E19rocblas_complex_numIfEPS3_EEvT1_iilPiilS6_bb.num_vgpr, 256
	.set _ZN9rocsolver6v33100L18getri_kernel_smallILi62E19rocblas_complex_numIfEPS3_EEvT1_iilPiilS6_bb.num_agpr, 0
	.set _ZN9rocsolver6v33100L18getri_kernel_smallILi62E19rocblas_complex_numIfEPS3_EEvT1_iilPiilS6_bb.numbered_sgpr, 24
	.set _ZN9rocsolver6v33100L18getri_kernel_smallILi62E19rocblas_complex_numIfEPS3_EEvT1_iilPiilS6_bb.num_named_barrier, 0
	.set _ZN9rocsolver6v33100L18getri_kernel_smallILi62E19rocblas_complex_numIfEPS3_EEvT1_iilPiilS6_bb.private_seg_size, 960
	.set _ZN9rocsolver6v33100L18getri_kernel_smallILi62E19rocblas_complex_numIfEPS3_EEvT1_iilPiilS6_bb.uses_vcc, 1
	.set _ZN9rocsolver6v33100L18getri_kernel_smallILi62E19rocblas_complex_numIfEPS3_EEvT1_iilPiilS6_bb.uses_flat_scratch, 0
	.set _ZN9rocsolver6v33100L18getri_kernel_smallILi62E19rocblas_complex_numIfEPS3_EEvT1_iilPiilS6_bb.has_dyn_sized_stack, 0
	.set _ZN9rocsolver6v33100L18getri_kernel_smallILi62E19rocblas_complex_numIfEPS3_EEvT1_iilPiilS6_bb.has_recursion, 0
	.set _ZN9rocsolver6v33100L18getri_kernel_smallILi62E19rocblas_complex_numIfEPS3_EEvT1_iilPiilS6_bb.has_indirect_call, 0
	.section	.AMDGPU.csdata,"",@progbits
; Kernel info:
; codeLenInByte = 136420
; TotalNumSgprs: 28
; NumVgprs: 256
; ScratchSize: 960
; MemoryBound: 0
; FloatMode: 240
; IeeeMode: 1
; LDSByteSize: 996 bytes/workgroup (compile time only)
; SGPRBlocks: 3
; VGPRBlocks: 63
; NumSGPRsForWavesPerEU: 28
; NumVGPRsForWavesPerEU: 256
; Occupancy: 1
; WaveLimiterHint : 1
; COMPUTE_PGM_RSRC2:SCRATCH_EN: 1
; COMPUTE_PGM_RSRC2:USER_SGPR: 6
; COMPUTE_PGM_RSRC2:TRAP_HANDLER: 0
; COMPUTE_PGM_RSRC2:TGID_X_EN: 1
; COMPUTE_PGM_RSRC2:TGID_Y_EN: 0
; COMPUTE_PGM_RSRC2:TGID_Z_EN: 0
; COMPUTE_PGM_RSRC2:TIDIG_COMP_CNT: 0
	.section	.text._ZN9rocsolver6v33100L18getri_kernel_smallILi63E19rocblas_complex_numIfEPS3_EEvT1_iilPiilS6_bb,"axG",@progbits,_ZN9rocsolver6v33100L18getri_kernel_smallILi63E19rocblas_complex_numIfEPS3_EEvT1_iilPiilS6_bb,comdat
	.globl	_ZN9rocsolver6v33100L18getri_kernel_smallILi63E19rocblas_complex_numIfEPS3_EEvT1_iilPiilS6_bb ; -- Begin function _ZN9rocsolver6v33100L18getri_kernel_smallILi63E19rocblas_complex_numIfEPS3_EEvT1_iilPiilS6_bb
	.p2align	8
	.type	_ZN9rocsolver6v33100L18getri_kernel_smallILi63E19rocblas_complex_numIfEPS3_EEvT1_iilPiilS6_bb,@function
_ZN9rocsolver6v33100L18getri_kernel_smallILi63E19rocblas_complex_numIfEPS3_EEvT1_iilPiilS6_bb: ; @_ZN9rocsolver6v33100L18getri_kernel_smallILi63E19rocblas_complex_numIfEPS3_EEvT1_iilPiilS6_bb
; %bb.0:
	s_add_u32 s0, s0, s7
	s_addc_u32 s1, s1, 0
	v_cmp_gt_u32_e32 vcc, 63, v0
	s_and_saveexec_b64 s[8:9], vcc
	s_cbranch_execz .LBB62_266
; %bb.1:
	s_load_dword s12, s[4:5], 0x38
	s_load_dwordx4 s[16:19], s[4:5], 0x10
	s_load_dwordx4 s[8:11], s[4:5], 0x28
                                        ; implicit-def: $sgpr20_sgpr21
	s_waitcnt lgkmcnt(0)
	s_bitcmp1_b32 s12, 8
	s_cselect_b64 s[22:23], -1, 0
	s_ashr_i32 s7, s6, 31
	s_bfe_u32 s12, s12, 0x10008
	s_cmp_eq_u32 s12, 0
	s_cbranch_scc1 .LBB62_3
; %bb.2:
	s_load_dword s12, s[4:5], 0x20
	s_mul_i32 s13, s8, s7
	s_mul_hi_u32 s14, s8, s6
	s_mul_i32 s9, s9, s6
	s_add_i32 s14, s14, s13
	s_add_i32 s9, s14, s9
	s_mul_i32 s8, s8, s6
	s_waitcnt lgkmcnt(0)
	s_ashr_i32 s13, s12, 31
	s_lshl_b64 s[8:9], s[8:9], 2
	s_add_u32 s14, s18, s8
	s_addc_u32 s15, s19, s9
	s_lshl_b64 s[8:9], s[12:13], 2
	s_add_u32 s20, s14, s8
	s_addc_u32 s21, s15, s9
.LBB62_3:
	s_load_dwordx4 s[12:15], s[4:5], 0x0
	s_load_dword s8, s[4:5], 0x38
	s_mul_i32 s9, s16, s7
	s_mul_hi_u32 s18, s16, s6
	s_add_i32 s9, s18, s9
	s_waitcnt lgkmcnt(0)
	s_ashr_i32 s5, s14, 31
	s_mov_b32 s4, s14
	s_mul_i32 s14, s17, s6
	s_add_i32 s17, s9, s14
	s_mul_i32 s16, s16, s6
	s_lshl_b64 s[16:17], s[16:17], 3
	s_add_u32 s9, s12, s16
	s_addc_u32 s12, s13, s17
	s_lshl_b64 s[4:5], s[4:5], 3
	s_add_u32 s4, s9, s4
	s_addc_u32 s5, s12, s5
	s_add_i32 s9, s15, s15
	v_add_u32_e32 v1, s9, v0
	v_ashrrev_i32_e32 v2, 31, v1
	v_lshlrev_b64 v[2:3], 3, v[1:2]
	v_add_u32_e32 v1, s15, v1
	v_mov_b32_e32 v4, s5
	v_add_co_u32_e32 v11, vcc, s4, v2
	v_ashrrev_i32_e32 v2, 31, v1
	v_addc_co_u32_e32 v12, vcc, v4, v3, vcc
	v_lshlrev_b64 v[2:3], 3, v[1:2]
	v_add_u32_e32 v1, s15, v1
	v_add_co_u32_e32 v13, vcc, s4, v2
	v_ashrrev_i32_e32 v2, 31, v1
	v_addc_co_u32_e32 v14, vcc, v4, v3, vcc
	v_lshlrev_b64 v[2:3], 3, v[1:2]
	v_add_u32_e32 v1, s15, v1
	;; [unrolled: 5-line block ×52, first 2 shown]
	v_add_co_u32_e32 v119, vcc, s4, v2
	v_addc_co_u32_e32 v120, vcc, v4, v3, vcc
	v_ashrrev_i32_e32 v2, 31, v1
	v_lshlrev_b32_e32 v3, 3, v0
	v_lshlrev_b64 v[4:5], 3, v[1:2]
	v_mov_b32_e32 v2, s5
	v_add_co_u32_e32 v232, vcc, s4, v3
	s_ashr_i32 s13, s15, 31
	s_mov_b32 s12, s15
	v_addc_co_u32_e32 v233, vcc, 0, v2, vcc
	s_lshl_b64 s[12:13], s[12:13], 3
	v_mov_b32_e32 v2, s13
	v_add_co_u32_e32 v8, vcc, s12, v232
	v_addc_co_u32_e32 v9, vcc, v233, v2, vcc
	global_load_dwordx2 v[6:7], v3, s[4:5]
	s_nop 0
	buffer_store_dword v8, off, s[0:3], 0 offset:952 ; 4-byte Folded Spill
	s_nop 0
	buffer_store_dword v9, off, s[0:3], 0 offset:956 ; 4-byte Folded Spill
	v_mov_b32_e32 v10, s5
	v_add_co_u32_e32 v121, vcc, s4, v4
	v_addc_co_u32_e32 v122, vcc, v10, v5, vcc
	v_add_u32_e32 v1, s15, v1
	v_ashrrev_i32_e32 v2, 31, v1
	v_mov_b32_e32 v16, s5
	v_mov_b32_e32 v22, s5
	s_bitcmp0_b32 s8, 0
	s_mov_b64 s[8:9], -1
	global_load_dwordx2 v[8:9], v[8:9], off
	s_nop 0
	buffer_store_dword v11, off, s[0:3], 0 offset:504 ; 4-byte Folded Spill
	s_nop 0
	buffer_store_dword v12, off, s[0:3], 0 offset:508 ; 4-byte Folded Spill
	global_load_dwordx2 v[4:5], v[11:12], off
	s_nop 0
	buffer_store_dword v13, off, s[0:3], 0 offset:512 ; 4-byte Folded Spill
	s_nop 0
	buffer_store_dword v14, off, s[0:3], 0 offset:516 ; 4-byte Folded Spill
	global_load_dwordx2 v[10:11], v[13:14], off
	s_nop 0
	buffer_store_dword v17, off, s[0:3], 0 offset:520 ; 4-byte Folded Spill
	s_nop 0
	buffer_store_dword v18, off, s[0:3], 0 offset:524 ; 4-byte Folded Spill
	v_lshlrev_b64 v[12:13], 3, v[1:2]
	v_add_u32_e32 v1, s15, v1
	v_add_co_u32_e32 v123, vcc, s4, v12
	v_addc_co_u32_e32 v124, vcc, v16, v13, vcc
	v_ashrrev_i32_e32 v2, 31, v1
	global_load_dwordx2 v[14:15], v[17:18], off
	s_nop 0
	buffer_store_dword v19, off, s[0:3], 0 offset:528 ; 4-byte Folded Spill
	s_nop 0
	buffer_store_dword v20, off, s[0:3], 0 offset:532 ; 4-byte Folded Spill
	v_lshlrev_b64 v[16:17], 3, v[1:2]
	v_add_u32_e32 v1, s15, v1
	v_add_co_u32_e32 v125, vcc, s4, v16
	v_addc_co_u32_e32 v126, vcc, v22, v17, vcc
	v_ashrrev_i32_e32 v2, 31, v1
	global_load_dwordx2 v[12:13], v[19:20], off
	s_nop 0
	buffer_store_dword v23, off, s[0:3], 0 offset:536 ; 4-byte Folded Spill
	s_nop 0
	buffer_store_dword v24, off, s[0:3], 0 offset:540 ; 4-byte Folded Spill
	global_load_dwordx2 v[18:19], v[23:24], off
	s_nop 0
	buffer_store_dword v25, off, s[0:3], 0 offset:544 ; 4-byte Folded Spill
	s_nop 0
	buffer_store_dword v26, off, s[0:3], 0 offset:548 ; 4-byte Folded Spill
	v_lshlrev_b64 v[22:23], 3, v[1:2]
	v_add_u32_e32 v1, s15, v1
	v_add_co_u32_e32 v127, vcc, s4, v22
	v_ashrrev_i32_e32 v2, 31, v1
	global_load_dwordx2 v[20:21], v[25:26], off
	s_nop 0
	buffer_store_dword v27, off, s[0:3], 0 offset:552 ; 4-byte Folded Spill
	s_nop 0
	buffer_store_dword v28, off, s[0:3], 0 offset:556 ; 4-byte Folded Spill
	v_mov_b32_e32 v26, s5
	v_addc_co_u32_e32 v128, vcc, v26, v23, vcc
	global_load_dwordx2 v[16:17], v[27:28], off
	s_nop 0
	buffer_store_dword v29, off, s[0:3], 0 offset:560 ; 4-byte Folded Spill
	s_nop 0
	buffer_store_dword v30, off, s[0:3], 0 offset:564 ; 4-byte Folded Spill
	global_load_dwordx2 v[24:25], v[29:30], off
	s_nop 0
	buffer_store_dword v31, off, s[0:3], 0 offset:568 ; 4-byte Folded Spill
	s_nop 0
	buffer_store_dword v32, off, s[0:3], 0 offset:572 ; 4-byte Folded Spill
	v_lshlrev_b64 v[28:29], 3, v[1:2]
	v_add_u32_e32 v1, s15, v1
	v_add_co_u32_e32 v238, vcc, s4, v28
	v_ashrrev_i32_e32 v2, 31, v1
	global_load_dwordx2 v[22:23], v[31:32], off
	s_nop 0
	buffer_store_dword v33, off, s[0:3], 0 offset:576 ; 4-byte Folded Spill
	s_nop 0
	buffer_store_dword v34, off, s[0:3], 0 offset:580 ; 4-byte Folded Spill
	v_mov_b32_e32 v32, s5
	v_addc_co_u32_e32 v239, vcc, v32, v29, vcc
	global_load_dwordx2 v[26:27], v[33:34], off
	s_nop 0
	buffer_store_dword v35, off, s[0:3], 0 offset:584 ; 4-byte Folded Spill
	s_nop 0
	buffer_store_dword v36, off, s[0:3], 0 offset:588 ; 4-byte Folded Spill
	v_lshlrev_b64 v[32:33], 3, v[1:2]
	v_add_u32_e32 v1, s15, v1
	v_add_co_u32_e32 v240, vcc, s4, v32
	v_ashrrev_i32_e32 v2, 31, v1
	global_load_dwordx2 v[30:31], v[35:36], off
	s_nop 0
	buffer_store_dword v37, off, s[0:3], 0 offset:592 ; 4-byte Folded Spill
	s_nop 0
	buffer_store_dword v38, off, s[0:3], 0 offset:596 ; 4-byte Folded Spill
	global_load_dwordx2 v[28:29], v[37:38], off
	s_nop 0
	buffer_store_dword v39, off, s[0:3], 0 offset:600 ; 4-byte Folded Spill
	s_nop 0
	buffer_store_dword v40, off, s[0:3], 0 offset:604 ; 4-byte Folded Spill
	v_mov_b32_e32 v38, s5
	v_addc_co_u32_e32 v241, vcc, v38, v33, vcc
	global_load_dwordx2 v[34:35], v[39:40], off
	s_nop 0
	buffer_store_dword v41, off, s[0:3], 0 offset:608 ; 4-byte Folded Spill
	s_nop 0
	buffer_store_dword v42, off, s[0:3], 0 offset:612 ; 4-byte Folded Spill
	v_lshlrev_b64 v[38:39], 3, v[1:2]
	v_add_u32_e32 v1, s15, v1
	v_add_co_u32_e32 v242, vcc, s4, v38
	v_ashrrev_i32_e32 v2, 31, v1
	v_lshlrev_b64 v[1:2], 3, v[1:2]
	global_load_dwordx2 v[36:37], v[41:42], off
	s_nop 0
	buffer_store_dword v43, off, s[0:3], 0 offset:616 ; 4-byte Folded Spill
	s_nop 0
	buffer_store_dword v44, off, s[0:3], 0 offset:620 ; 4-byte Folded Spill
	v_mov_b32_e32 v42, s5
	v_addc_co_u32_e32 v243, vcc, v42, v39, vcc
	v_add_co_u32_e32 v244, vcc, s4, v1
	global_load_dwordx2 v[32:33], v[43:44], off
	s_nop 0
	buffer_store_dword v45, off, s[0:3], 0 offset:624 ; 4-byte Folded Spill
	s_nop 0
	buffer_store_dword v46, off, s[0:3], 0 offset:628 ; 4-byte Folded Spill
	global_load_dwordx2 v[40:41], v[45:46], off
	s_nop 0
	buffer_store_dword v47, off, s[0:3], 0 offset:632 ; 4-byte Folded Spill
	s_nop 0
	buffer_store_dword v48, off, s[0:3], 0 offset:636 ; 4-byte Folded Spill
	v_mov_b32_e32 v46, s5
	v_addc_co_u32_e32 v245, vcc, v46, v2, vcc
	global_load_dwordx2 v[38:39], v[47:48], off
	s_nop 0
	buffer_store_dword v49, off, s[0:3], 0 offset:640 ; 4-byte Folded Spill
	s_nop 0
	buffer_store_dword v50, off, s[0:3], 0 offset:644 ; 4-byte Folded Spill
	global_load_dwordx2 v[42:43], v[49:50], off
	s_nop 0
	buffer_store_dword v51, off, s[0:3], 0 offset:648 ; 4-byte Folded Spill
	s_nop 0
	buffer_store_dword v52, off, s[0:3], 0 offset:652 ; 4-byte Folded Spill
	global_load_dwordx2 v[44:45], v[51:52], off
	s_waitcnt vmcnt(60)
	buffer_store_dword v7, off, s[0:3], 0 offset:4
	buffer_store_dword v53, off, s[0:3], 0 offset:656 ; 4-byte Folded Spill
	s_nop 0
	buffer_store_dword v54, off, s[0:3], 0 offset:660 ; 4-byte Folded Spill
	global_load_dwordx2 v[1:2], v[53:54], off
	s_nop 0
	buffer_store_dword v6, off, s[0:3], 0
	s_waitcnt vmcnt(62)
	buffer_store_dword v9, off, s[0:3], 0 offset:12
	buffer_store_dword v8, off, s[0:3], 0 offset:8
	buffer_store_dword v55, off, s[0:3], 0 offset:664 ; 4-byte Folded Spill
	s_nop 0
	buffer_store_dword v56, off, s[0:3], 0 offset:668 ; 4-byte Folded Spill
	global_load_dwordx2 v[6:7], v[55:56], off
	s_waitcnt vmcnt(62)
	buffer_store_dword v5, off, s[0:3], 0 offset:20
	buffer_store_dword v4, off, s[0:3], 0 offset:16
	buffer_store_dword v57, off, s[0:3], 0 offset:672 ; 4-byte Folded Spill
	s_nop 0
	buffer_store_dword v58, off, s[0:3], 0 offset:676 ; 4-byte Folded Spill
	global_load_dwordx2 v[4:5], v[57:58], off
	s_waitcnt vmcnt(62)
	buffer_store_dword v11, off, s[0:3], 0 offset:28
	buffer_store_dword v59, off, s[0:3], 0 offset:680 ; 4-byte Folded Spill
	s_nop 0
	buffer_store_dword v60, off, s[0:3], 0 offset:684 ; 4-byte Folded Spill
	global_load_dwordx2 v[8:9], v[59:60], off
	s_nop 0
	buffer_store_dword v10, off, s[0:3], 0 offset:24
	buffer_store_dword v61, off, s[0:3], 0 offset:688 ; 4-byte Folded Spill
	s_nop 0
	buffer_store_dword v62, off, s[0:3], 0 offset:692 ; 4-byte Folded Spill
	global_load_dwordx2 v[10:11], v[61:62], off
	s_nop 0
	buffer_store_dword v15, off, s[0:3], 0 offset:36
	buffer_store_dword v63, off, s[0:3], 0 offset:696 ; 4-byte Folded Spill
	s_nop 0
	buffer_store_dword v64, off, s[0:3], 0 offset:700 ; 4-byte Folded Spill
	global_load_dwordx2 v[46:47], v[63:64], off
	s_nop 0
	buffer_store_dword v14, off, s[0:3], 0 offset:32
	buffer_store_dword v65, off, s[0:3], 0 offset:704 ; 4-byte Folded Spill
	s_nop 0
	buffer_store_dword v66, off, s[0:3], 0 offset:708 ; 4-byte Folded Spill
	global_load_dwordx2 v[14:15], v[65:66], off
	s_waitcnt vmcnt(62)
	buffer_store_dword v13, off, s[0:3], 0 offset:44
	buffer_store_dword v67, off, s[0:3], 0 offset:712 ; 4-byte Folded Spill
	s_nop 0
	buffer_store_dword v68, off, s[0:3], 0 offset:716 ; 4-byte Folded Spill
	global_load_dwordx2 v[48:49], v[67:68], off
	s_nop 0
	buffer_store_dword v12, off, s[0:3], 0 offset:40
	buffer_store_dword v69, off, s[0:3], 0 offset:720 ; 4-byte Folded Spill
	s_nop 0
	buffer_store_dword v70, off, s[0:3], 0 offset:724 ; 4-byte Folded Spill
	global_load_dwordx2 v[12:13], v[69:70], off
	s_nop 0
	;; [unrolled: 6-line block ×9, first 2 shown]
	buffer_store_dword v25, off, s[0:3], 0 offset:76
	buffer_store_dword v85, off, s[0:3], 0 offset:784 ; 4-byte Folded Spill
	s_nop 0
	buffer_store_dword v86, off, s[0:3], 0 offset:788 ; 4-byte Folded Spill
	global_load_dwordx2 v[24:25], v[85:86], off
	s_waitcnt vmcnt(62)
	buffer_store_dword v22, off, s[0:3], 0 offset:80
	buffer_store_dword v87, off, s[0:3], 0 offset:792 ; 4-byte Folded Spill
	s_nop 0
	buffer_store_dword v88, off, s[0:3], 0 offset:796 ; 4-byte Folded Spill
	global_load_dwordx2 v[58:59], v[87:88], off
	s_nop 0
	buffer_store_dword v23, off, s[0:3], 0 offset:84
	buffer_store_dword v89, off, s[0:3], 0 offset:800 ; 4-byte Folded Spill
	s_nop 0
	buffer_store_dword v90, off, s[0:3], 0 offset:804 ; 4-byte Folded Spill
	global_load_dwordx2 v[22:23], v[89:90], off
	s_nop 0
	;; [unrolled: 6-line block ×20, first 2 shown]
	buffer_store_dword v45, off, s[0:3], 0 offset:164
	buffer_store_dword v127, off, s[0:3], 0 offset:960 ; 4-byte Folded Spill
	s_nop 0
	buffer_store_dword v128, off, s[0:3], 0 offset:964 ; 4-byte Folded Spill
	buffer_store_dword v44, off, s[0:3], 0 offset:160
	global_load_dwordx2 v[44:45], v[238:239], off
	s_nop 0
	global_load_dwordx2 v[80:81], v[240:241], off
	global_load_dwordx2 v[82:83], v[244:245], off
	;; [unrolled: 1-line block ×3, first 2 shown]
	s_nop 0
	buffer_store_dword v1, off, s[0:3], 0 offset:168
	buffer_store_dword v2, off, s[0:3], 0 offset:172
	global_load_dwordx2 v[1:2], v[242:243], off
	s_waitcnt vmcnt(62)
	buffer_store_dword v6, off, s[0:3], 0 offset:176
	buffer_store_dword v7, off, s[0:3], 0 offset:180
	;; [unrolled: 1-line block ×46, first 2 shown]
	s_waitcnt vmcnt(62)
	buffer_store_dword v28, off, s[0:3], 0 offset:360
	buffer_store_dword v29, off, s[0:3], 0 offset:364
	buffer_store_dword v66, off, s[0:3], 0 offset:368
	buffer_store_dword v67, off, s[0:3], 0 offset:372
	buffer_store_dword v34, off, s[0:3], 0 offset:376
	buffer_store_dword v35, off, s[0:3], 0 offset:380
	buffer_store_dword v68, off, s[0:3], 0 offset:384
	buffer_store_dword v69, off, s[0:3], 0 offset:388
	buffer_store_dword v37, off, s[0:3], 0 offset:396
	buffer_store_dword v36, off, s[0:3], 0 offset:392
	buffer_store_dword v71, off, s[0:3], 0 offset:404
	buffer_store_dword v70, off, s[0:3], 0 offset:400
	buffer_store_dword v32, off, s[0:3], 0 offset:408
	buffer_store_dword v33, off, s[0:3], 0 offset:412
	buffer_store_dword v72, off, s[0:3], 0 offset:416
	buffer_store_dword v73, off, s[0:3], 0 offset:420
	buffer_store_dword v40, off, s[0:3], 0 offset:424
	buffer_store_dword v41, off, s[0:3], 0 offset:428
	buffer_store_dword v74, off, s[0:3], 0 offset:432
	buffer_store_dword v75, off, s[0:3], 0 offset:436
	buffer_store_dword v39, off, s[0:3], 0 offset:444
	buffer_store_dword v38, off, s[0:3], 0 offset:440
	s_waitcnt vmcnt(62)
	buffer_store_dword v77, off, s[0:3], 0 offset:452
	buffer_store_dword v76, off, s[0:3], 0 offset:448
	;; [unrolled: 1-line block ×14, first 2 shown]
	s_cbranch_scc1 .LBB62_264
; %bb.4:
	v_cmp_eq_u32_e64 s[4:5], 0, v0
	s_and_saveexec_b64 s[8:9], s[4:5]
; %bb.5:
	v_mov_b32_e32 v1, 0
	ds_write_b32 v1, v1 offset:504
; %bb.6:
	s_or_b64 exec, exec, s[8:9]
	v_mov_b32_e32 v1, 0
	v_lshl_add_u32 v5, v0, 3, v1
	s_waitcnt lgkmcnt(0)
	; wave barrier
	buffer_load_dword v1, v5, s[0:3], 0 offen
	buffer_load_dword v2, v5, s[0:3], 0 offen offset:4
	s_waitcnt vmcnt(1)
	v_cmp_eq_f32_e32 vcc, 0, v1
	s_waitcnt vmcnt(0)
	v_cmp_eq_f32_e64 s[8:9], 0, v2
	s_and_b64 s[8:9], vcc, s[8:9]
	s_and_saveexec_b64 s[12:13], s[8:9]
	s_cbranch_execz .LBB62_10
; %bb.7:
	v_mov_b32_e32 v1, 0
	ds_read_b32 v4, v1 offset:504
	v_add_u32_e32 v2, 1, v0
	s_waitcnt lgkmcnt(0)
	v_readfirstlane_b32 s8, v4
	s_cmp_eq_u32 s8, 0
	s_cselect_b64 s[14:15], -1, 0
	v_cmp_gt_i32_e32 vcc, s8, v2
	s_or_b64 s[14:15], s[14:15], vcc
	s_and_b64 exec, exec, s[14:15]
	s_cbranch_execz .LBB62_10
; %bb.8:
	s_mov_b64 s[14:15], 0
	v_mov_b32_e32 v4, s8
.LBB62_9:                               ; =>This Inner Loop Header: Depth=1
	ds_cmpst_rtn_b32 v4, v1, v4, v2 offset:504
	s_waitcnt lgkmcnt(0)
	v_cmp_ne_u32_e32 vcc, 0, v4
	v_cmp_le_i32_e64 s[8:9], v4, v2
	s_and_b64 s[8:9], vcc, s[8:9]
	s_and_b64 s[8:9], exec, s[8:9]
	s_or_b64 s[14:15], s[8:9], s[14:15]
	s_andn2_b64 exec, exec, s[14:15]
	s_cbranch_execnz .LBB62_9
.LBB62_10:
	s_or_b64 exec, exec, s[12:13]
	v_mov_b32_e32 v2, 0
	; wave barrier
	ds_read_b32 v1, v2 offset:504
	s_and_saveexec_b64 s[8:9], s[4:5]
	s_cbranch_execz .LBB62_12
; %bb.11:
	s_lshl_b64 s[12:13], s[6:7], 2
	s_add_u32 s12, s10, s12
	s_addc_u32 s13, s11, s13
	s_waitcnt lgkmcnt(0)
	global_store_dword v2, v1, s[12:13]
.LBB62_12:
	s_or_b64 exec, exec, s[8:9]
	s_waitcnt lgkmcnt(0)
	v_cmp_ne_u32_e32 vcc, 0, v1
	s_mov_b64 s[8:9], 0
	s_cbranch_vccnz .LBB62_264
; %bb.13:
	buffer_load_dword v2, v5, s[0:3], 0 offen
	buffer_load_dword v4, v5, s[0:3], 0 offen offset:4
                                        ; implicit-def: $vgpr7
                                        ; implicit-def: $vgpr6
                                        ; implicit-def: $vgpr1
	s_waitcnt vmcnt(0)
	v_cmp_ngt_f32_e64 s[8:9], |v2|, |v4|
	s_and_saveexec_b64 s[12:13], s[8:9]
	s_xor_b64 s[8:9], exec, s[12:13]
	s_cbranch_execz .LBB62_15
; %bb.14:
	v_div_scale_f32 v1, s[12:13], v4, v4, v2
	v_div_scale_f32 v6, vcc, v2, v4, v2
	v_rcp_f32_e32 v7, v1
	v_fma_f32 v8, -v1, v7, 1.0
	v_fmac_f32_e32 v7, v8, v7
	v_mul_f32_e32 v8, v6, v7
	v_fma_f32 v9, -v1, v8, v6
	v_fmac_f32_e32 v8, v9, v7
	v_fma_f32 v1, -v1, v8, v6
	v_div_fmas_f32 v1, v1, v7, v8
	v_div_fixup_f32 v1, v1, v4, v2
	v_fmac_f32_e32 v4, v2, v1
	v_div_scale_f32 v2, s[12:13], v4, v4, 1.0
	v_div_scale_f32 v6, vcc, 1.0, v4, 1.0
	v_rcp_f32_e32 v7, v2
	v_fma_f32 v8, -v2, v7, 1.0
	v_fmac_f32_e32 v7, v8, v7
	v_mul_f32_e32 v8, v6, v7
	v_fma_f32 v9, -v2, v8, v6
	v_fmac_f32_e32 v8, v9, v7
	v_fma_f32 v2, -v2, v8, v6
	v_div_fmas_f32 v2, v2, v7, v8
	v_div_fixup_f32 v2, v2, v4, 1.0
	v_mul_f32_e32 v7, v1, v2
	v_xor_b32_e32 v6, 0x80000000, v2
	v_xor_b32_e32 v1, 0x80000000, v7
                                        ; implicit-def: $vgpr2
                                        ; implicit-def: $vgpr4
.LBB62_15:
	s_andn2_saveexec_b64 s[8:9], s[8:9]
	s_cbranch_execz .LBB62_17
; %bb.16:
	v_div_scale_f32 v1, s[12:13], v2, v2, v4
	v_div_scale_f32 v6, vcc, v4, v2, v4
	v_rcp_f32_e32 v7, v1
	v_fma_f32 v8, -v1, v7, 1.0
	v_fmac_f32_e32 v7, v8, v7
	v_mul_f32_e32 v8, v6, v7
	v_fma_f32 v9, -v1, v8, v6
	v_fmac_f32_e32 v8, v9, v7
	v_fma_f32 v1, -v1, v8, v6
	v_div_fmas_f32 v1, v1, v7, v8
	v_div_fixup_f32 v6, v1, v2, v4
	v_fmac_f32_e32 v2, v4, v6
	v_div_scale_f32 v1, s[12:13], v2, v2, 1.0
	v_div_scale_f32 v4, vcc, 1.0, v2, 1.0
	v_rcp_f32_e32 v7, v1
	v_fma_f32 v8, -v1, v7, 1.0
	v_fmac_f32_e32 v7, v8, v7
	v_mul_f32_e32 v8, v4, v7
	v_fma_f32 v9, -v1, v8, v4
	v_fmac_f32_e32 v8, v9, v7
	v_fma_f32 v1, -v1, v8, v4
	v_div_fmas_f32 v1, v1, v7, v8
	v_div_fixup_f32 v7, v1, v2, 1.0
	v_xor_b32_e32 v1, 0x80000000, v7
	v_mul_f32_e64 v6, v6, -v7
.LBB62_17:
	s_or_b64 exec, exec, s[8:9]
	buffer_store_dword v7, v5, s[0:3], 0 offen
	buffer_store_dword v6, v5, s[0:3], 0 offen offset:4
	buffer_load_dword v8, off, s[0:3], 0 offset:12
	s_nop 0
	buffer_load_dword v7, off, s[0:3], 0 offset:8
	v_xor_b32_e32 v2, 0x80000000, v6
	v_or_b32_e32 v4, 0x200, v3
	s_waitcnt vmcnt(0)
	ds_write2st64_b64 v3, v[1:2], v[7:8] offset1:1
	s_waitcnt lgkmcnt(0)
	; wave barrier
	s_and_saveexec_b64 s[8:9], s[4:5]
	s_cbranch_execz .LBB62_19
; %bb.18:
	buffer_load_dword v8, v5, s[0:3], 0 offen offset:4
	buffer_load_dword v9, v5, s[0:3], 0 offen
	ds_read_b64 v[1:2], v4
	v_mov_b32_e32 v6, 0
	ds_read_b64 v[6:7], v6 offset:8
	s_waitcnt vmcnt(1) lgkmcnt(1)
	v_mul_f32_e32 v10, v2, v8
	v_mul_f32_e32 v8, v1, v8
	s_waitcnt vmcnt(0)
	v_fmac_f32_e32 v8, v2, v9
	v_fma_f32 v1, v1, v9, -v10
	v_add_f32_e32 v2, 0, v8
	v_add_f32_e32 v1, 0, v1
	s_waitcnt lgkmcnt(0)
	v_mul_f32_e32 v8, v2, v7
	v_mul_f32_e32 v7, v1, v7
	v_fma_f32 v1, v1, v6, -v8
	v_fmac_f32_e32 v7, v2, v6
	buffer_store_dword v1, off, s[0:3], 0 offset:8
	buffer_store_dword v7, off, s[0:3], 0 offset:12
.LBB62_19:
	s_or_b64 exec, exec, s[8:9]
	; wave barrier
	buffer_load_dword v1, off, s[0:3], 0 offset:16
	buffer_load_dword v2, off, s[0:3], 0 offset:20
	v_cmp_gt_u32_e32 vcc, 2, v0
	s_waitcnt vmcnt(0)
	ds_write_b64 v4, v[1:2]
	s_waitcnt lgkmcnt(0)
	; wave barrier
	s_and_saveexec_b64 s[8:9], vcc
	s_cbranch_execz .LBB62_23
; %bb.20:
	buffer_load_dword v6, v5, s[0:3], 0 offen offset:4
	s_nop 0
	buffer_load_dword v5, v5, s[0:3], 0 offen
	ds_read_b64 v[1:2], v4
	s_waitcnt vmcnt(1) lgkmcnt(0)
	v_mul_f32_e32 v7, v2, v6
	v_mul_f32_e32 v6, v1, v6
	s_waitcnt vmcnt(0)
	v_fma_f32 v1, v1, v5, -v7
	v_fmac_f32_e32 v6, v2, v5
	v_add_f32_e32 v2, 0, v1
	v_add_f32_e32 v1, 0, v6
	s_and_saveexec_b64 s[12:13], s[4:5]
	s_cbranch_execz .LBB62_22
; %bb.21:
	buffer_load_dword v7, off, s[0:3], 0 offset:12
	buffer_load_dword v8, off, s[0:3], 0 offset:8
	v_mov_b32_e32 v5, 0
	ds_read_b64 v[5:6], v5 offset:520
	s_waitcnt vmcnt(1) lgkmcnt(0)
	v_mul_f32_e32 v9, v5, v7
	v_mul_f32_e32 v7, v6, v7
	s_waitcnt vmcnt(0)
	v_fmac_f32_e32 v9, v6, v8
	v_fma_f32 v5, v5, v8, -v7
	v_add_f32_e32 v1, v1, v9
	v_add_f32_e32 v2, v2, v5
.LBB62_22:
	s_or_b64 exec, exec, s[12:13]
	v_mov_b32_e32 v5, 0
	ds_read_b64 v[5:6], v5 offset:16
	s_waitcnt lgkmcnt(0)
	v_mul_f32_e32 v7, v1, v6
	v_mul_f32_e32 v6, v2, v6
	v_fma_f32 v2, v2, v5, -v7
	v_fmac_f32_e32 v6, v1, v5
	buffer_store_dword v2, off, s[0:3], 0 offset:16
	buffer_store_dword v6, off, s[0:3], 0 offset:20
.LBB62_23:
	s_or_b64 exec, exec, s[8:9]
	; wave barrier
	buffer_load_dword v1, off, s[0:3], 0 offset:24
	buffer_load_dword v2, off, s[0:3], 0 offset:28
	v_cmp_gt_u32_e32 vcc, 3, v0
	s_waitcnt vmcnt(0)
	ds_write_b64 v4, v[1:2]
	v_add_u32_e32 v1, -1, v0
	s_waitcnt lgkmcnt(0)
	; wave barrier
	s_and_saveexec_b64 s[4:5], vcc
	s_cbranch_execz .LBB62_27
; %bb.24:
	v_add_u32_e32 v5, -1, v0
	v_or_b32_e32 v6, 0x200, v3
	v_mov_b32_e32 v7, v3
	v_mov_b32_e32 v2, 0
	s_mov_b64 s[8:9], 0
	v_mov_b32_e32 v8, 0
.LBB62_25:                              ; =>This Inner Loop Header: Depth=1
	buffer_load_dword v11, v7, s[0:3], 0 offen offset:4
	buffer_load_dword v12, v7, s[0:3], 0 offen
	ds_read_b64 v[9:10], v6
	v_add_u32_e32 v5, 1, v5
	v_cmp_lt_u32_e32 vcc, 1, v5
	v_add_u32_e32 v6, 8, v6
	v_add_u32_e32 v7, 8, v7
	s_or_b64 s[8:9], vcc, s[8:9]
	s_waitcnt vmcnt(1) lgkmcnt(0)
	v_mul_f32_e32 v13, v10, v11
	v_mul_f32_e32 v11, v9, v11
	s_waitcnt vmcnt(0)
	v_fma_f32 v9, v9, v12, -v13
	v_fmac_f32_e32 v11, v10, v12
	v_add_f32_e32 v8, v8, v9
	v_add_f32_e32 v2, v2, v11
	s_andn2_b64 exec, exec, s[8:9]
	s_cbranch_execnz .LBB62_25
; %bb.26:
	s_or_b64 exec, exec, s[8:9]
	v_mov_b32_e32 v5, 0
	ds_read_b64 v[5:6], v5 offset:24
	s_waitcnt lgkmcnt(0)
	v_mul_f32_e32 v7, v2, v6
	v_mul_f32_e32 v6, v8, v6
	v_fma_f32 v7, v8, v5, -v7
	v_fmac_f32_e32 v6, v2, v5
	buffer_store_dword v7, off, s[0:3], 0 offset:24
	buffer_store_dword v6, off, s[0:3], 0 offset:28
.LBB62_27:
	s_or_b64 exec, exec, s[4:5]
	; wave barrier
	buffer_load_dword v5, off, s[0:3], 0 offset:32
	buffer_load_dword v6, off, s[0:3], 0 offset:36
	v_cmp_gt_u32_e32 vcc, 4, v0
	s_waitcnt vmcnt(0)
	ds_write_b64 v4, v[5:6]
	s_waitcnt lgkmcnt(0)
	; wave barrier
	s_and_saveexec_b64 s[4:5], vcc
	s_cbranch_execz .LBB62_31
; %bb.28:
	v_add_u32_e32 v5, -1, v0
	v_or_b32_e32 v6, 0x200, v3
	v_mov_b32_e32 v7, v3
	v_mov_b32_e32 v2, 0
	s_mov_b64 s[8:9], 0
	v_mov_b32_e32 v8, 0
.LBB62_29:                              ; =>This Inner Loop Header: Depth=1
	buffer_load_dword v11, v7, s[0:3], 0 offen offset:4
	buffer_load_dword v12, v7, s[0:3], 0 offen
	ds_read_b64 v[9:10], v6
	v_add_u32_e32 v5, 1, v5
	v_cmp_lt_u32_e32 vcc, 2, v5
	v_add_u32_e32 v6, 8, v6
	v_add_u32_e32 v7, 8, v7
	s_or_b64 s[8:9], vcc, s[8:9]
	s_waitcnt vmcnt(1) lgkmcnt(0)
	v_mul_f32_e32 v13, v10, v11
	v_mul_f32_e32 v11, v9, v11
	s_waitcnt vmcnt(0)
	v_fma_f32 v9, v9, v12, -v13
	v_fmac_f32_e32 v11, v10, v12
	v_add_f32_e32 v8, v8, v9
	v_add_f32_e32 v2, v2, v11
	s_andn2_b64 exec, exec, s[8:9]
	s_cbranch_execnz .LBB62_29
; %bb.30:
	s_or_b64 exec, exec, s[8:9]
	v_mov_b32_e32 v5, 0
	ds_read_b64 v[5:6], v5 offset:32
	s_waitcnt lgkmcnt(0)
	v_mul_f32_e32 v7, v2, v6
	v_mul_f32_e32 v6, v8, v6
	v_fma_f32 v7, v8, v5, -v7
	v_fmac_f32_e32 v6, v2, v5
	buffer_store_dword v7, off, s[0:3], 0 offset:32
	buffer_store_dword v6, off, s[0:3], 0 offset:36
.LBB62_31:
	s_or_b64 exec, exec, s[4:5]
	; wave barrier
	buffer_load_dword v5, off, s[0:3], 0 offset:40
	buffer_load_dword v6, off, s[0:3], 0 offset:44
	v_cmp_gt_u32_e32 vcc, 5, v0
	s_waitcnt vmcnt(0)
	ds_write_b64 v4, v[5:6]
	;; [unrolled: 49-line block ×19, first 2 shown]
	s_waitcnt lgkmcnt(0)
	; wave barrier
	s_and_saveexec_b64 s[4:5], vcc
	s_cbranch_execz .LBB62_103
; %bb.100:
	v_add_u32_e32 v5, -1, v0
	v_or_b32_e32 v6, 0x200, v3
	v_mov_b32_e32 v7, v3
	v_mov_b32_e32 v2, 0
	s_mov_b64 s[8:9], 0
	v_mov_b32_e32 v8, 0
.LBB62_101:                             ; =>This Inner Loop Header: Depth=1
	buffer_load_dword v11, v7, s[0:3], 0 offen offset:4
	buffer_load_dword v12, v7, s[0:3], 0 offen
	ds_read_b64 v[9:10], v6
	v_add_u32_e32 v5, 1, v5
	v_cmp_lt_u32_e32 vcc, 20, v5
	v_add_u32_e32 v6, 8, v6
	v_add_u32_e32 v7, 8, v7
	s_or_b64 s[8:9], vcc, s[8:9]
	s_waitcnt vmcnt(1) lgkmcnt(0)
	v_mul_f32_e32 v13, v10, v11
	v_mul_f32_e32 v11, v9, v11
	s_waitcnt vmcnt(0)
	v_fma_f32 v9, v9, v12, -v13
	v_fmac_f32_e32 v11, v10, v12
	v_add_f32_e32 v8, v8, v9
	v_add_f32_e32 v2, v2, v11
	s_andn2_b64 exec, exec, s[8:9]
	s_cbranch_execnz .LBB62_101
; %bb.102:
	s_or_b64 exec, exec, s[8:9]
	v_mov_b32_e32 v5, 0
	ds_read_b64 v[5:6], v5 offset:176
	s_waitcnt lgkmcnt(0)
	v_mul_f32_e32 v7, v2, v6
	v_mul_f32_e32 v6, v8, v6
	v_fma_f32 v7, v8, v5, -v7
	v_fmac_f32_e32 v6, v2, v5
	buffer_store_dword v7, off, s[0:3], 0 offset:176
	buffer_store_dword v6, off, s[0:3], 0 offset:180
.LBB62_103:
	s_or_b64 exec, exec, s[4:5]
	; wave barrier
	buffer_load_dword v5, off, s[0:3], 0 offset:184
	buffer_load_dword v6, off, s[0:3], 0 offset:188
	v_cmp_gt_u32_e32 vcc, 23, v0
	s_waitcnt vmcnt(0)
	ds_write_b64 v4, v[5:6]
	s_waitcnt lgkmcnt(0)
	; wave barrier
	s_and_saveexec_b64 s[4:5], vcc
	s_cbranch_execz .LBB62_107
; %bb.104:
	v_add_u32_e32 v5, -1, v0
	v_or_b32_e32 v6, 0x200, v3
	v_mov_b32_e32 v7, v3
	v_mov_b32_e32 v2, 0
	s_mov_b64 s[8:9], 0
	v_mov_b32_e32 v8, 0
.LBB62_105:                             ; =>This Inner Loop Header: Depth=1
	buffer_load_dword v11, v7, s[0:3], 0 offen offset:4
	buffer_load_dword v12, v7, s[0:3], 0 offen
	ds_read_b64 v[9:10], v6
	v_add_u32_e32 v5, 1, v5
	v_cmp_lt_u32_e32 vcc, 21, v5
	v_add_u32_e32 v6, 8, v6
	v_add_u32_e32 v7, 8, v7
	s_or_b64 s[8:9], vcc, s[8:9]
	s_waitcnt vmcnt(1) lgkmcnt(0)
	v_mul_f32_e32 v13, v10, v11
	v_mul_f32_e32 v11, v9, v11
	s_waitcnt vmcnt(0)
	v_fma_f32 v9, v9, v12, -v13
	v_fmac_f32_e32 v11, v10, v12
	v_add_f32_e32 v8, v8, v9
	v_add_f32_e32 v2, v2, v11
	s_andn2_b64 exec, exec, s[8:9]
	s_cbranch_execnz .LBB62_105
; %bb.106:
	s_or_b64 exec, exec, s[8:9]
	v_mov_b32_e32 v5, 0
	ds_read_b64 v[5:6], v5 offset:184
	s_waitcnt lgkmcnt(0)
	v_mul_f32_e32 v7, v2, v6
	v_mul_f32_e32 v6, v8, v6
	v_fma_f32 v7, v8, v5, -v7
	v_fmac_f32_e32 v6, v2, v5
	buffer_store_dword v7, off, s[0:3], 0 offset:184
	buffer_store_dword v6, off, s[0:3], 0 offset:188
.LBB62_107:
	s_or_b64 exec, exec, s[4:5]
	; wave barrier
	buffer_load_dword v5, off, s[0:3], 0 offset:192
	buffer_load_dword v6, off, s[0:3], 0 offset:196
	v_cmp_gt_u32_e32 vcc, 24, v0
	s_waitcnt vmcnt(0)
	ds_write_b64 v4, v[5:6]
	;; [unrolled: 49-line block ×39, first 2 shown]
	s_waitcnt lgkmcnt(0)
	; wave barrier
	s_and_saveexec_b64 s[4:5], vcc
	s_cbranch_execz .LBB62_259
; %bb.256:
	v_add_u32_e32 v5, -1, v0
	v_or_b32_e32 v6, 0x200, v3
	v_mov_b32_e32 v7, v3
	v_mov_b32_e32 v2, 0
	s_mov_b64 s[8:9], 0
	v_mov_b32_e32 v8, 0
.LBB62_257:                             ; =>This Inner Loop Header: Depth=1
	buffer_load_dword v11, v7, s[0:3], 0 offen offset:4
	buffer_load_dword v12, v7, s[0:3], 0 offen
	ds_read_b64 v[9:10], v6
	v_add_u32_e32 v5, 1, v5
	v_cmp_lt_u32_e32 vcc, 59, v5
	v_add_u32_e32 v6, 8, v6
	v_add_u32_e32 v7, 8, v7
	s_or_b64 s[8:9], vcc, s[8:9]
	s_waitcnt vmcnt(1) lgkmcnt(0)
	v_mul_f32_e32 v13, v10, v11
	v_mul_f32_e32 v11, v9, v11
	s_waitcnt vmcnt(0)
	v_fma_f32 v9, v9, v12, -v13
	v_fmac_f32_e32 v11, v10, v12
	v_add_f32_e32 v8, v8, v9
	v_add_f32_e32 v2, v2, v11
	s_andn2_b64 exec, exec, s[8:9]
	s_cbranch_execnz .LBB62_257
; %bb.258:
	s_or_b64 exec, exec, s[8:9]
	v_mov_b32_e32 v5, 0
	ds_read_b64 v[5:6], v5 offset:488
	s_waitcnt lgkmcnt(0)
	v_mul_f32_e32 v7, v2, v6
	v_mul_f32_e32 v6, v8, v6
	v_fma_f32 v7, v8, v5, -v7
	v_fmac_f32_e32 v6, v2, v5
	buffer_store_dword v7, off, s[0:3], 0 offset:488
	buffer_store_dword v6, off, s[0:3], 0 offset:492
.LBB62_259:
	s_or_b64 exec, exec, s[4:5]
	; wave barrier
	buffer_load_dword v5, off, s[0:3], 0 offset:496
	buffer_load_dword v6, off, s[0:3], 0 offset:500
	v_cmp_ne_u32_e32 vcc, 62, v0
	s_waitcnt vmcnt(0)
	ds_write_b64 v4, v[5:6]
	s_waitcnt lgkmcnt(0)
	; wave barrier
	s_and_saveexec_b64 s[4:5], vcc
	s_cbranch_execz .LBB62_263
; %bb.260:
	v_or_b32_e32 v4, 0x200, v3
	v_mov_b32_e32 v2, 0
	s_mov_b64 s[8:9], 0
	v_mov_b32_e32 v5, 0
.LBB62_261:                             ; =>This Inner Loop Header: Depth=1
	buffer_load_dword v8, v3, s[0:3], 0 offen offset:4
	buffer_load_dword v9, v3, s[0:3], 0 offen
	ds_read_b64 v[6:7], v4
	v_add_u32_e32 v1, 1, v1
	v_cmp_lt_u32_e32 vcc, 60, v1
	v_add_u32_e32 v4, 8, v4
	v_add_u32_e32 v3, 8, v3
	s_or_b64 s[8:9], vcc, s[8:9]
	s_waitcnt vmcnt(1) lgkmcnt(0)
	v_mul_f32_e32 v10, v7, v8
	v_mul_f32_e32 v8, v6, v8
	s_waitcnt vmcnt(0)
	v_fma_f32 v6, v6, v9, -v10
	v_fmac_f32_e32 v8, v7, v9
	v_add_f32_e32 v5, v5, v6
	v_add_f32_e32 v2, v2, v8
	s_andn2_b64 exec, exec, s[8:9]
	s_cbranch_execnz .LBB62_261
; %bb.262:
	s_or_b64 exec, exec, s[8:9]
	v_mov_b32_e32 v1, 0
	ds_read_b64 v[3:4], v1 offset:496
	s_waitcnt lgkmcnt(0)
	v_mul_f32_e32 v1, v2, v4
	v_mul_f32_e32 v4, v5, v4
	v_fma_f32 v1, v5, v3, -v1
	v_fmac_f32_e32 v4, v2, v3
	buffer_store_dword v1, off, s[0:3], 0 offset:496
	buffer_store_dword v4, off, s[0:3], 0 offset:500
.LBB62_263:
	s_or_b64 exec, exec, s[4:5]
	s_mov_b64 s[8:9], -1
	; wave barrier
.LBB62_264:
	s_and_b64 vcc, exec, s[8:9]
	s_cbranch_vccz .LBB62_266
; %bb.265:
	s_lshl_b64 s[4:5], s[6:7], 2
	s_add_u32 s4, s10, s4
	s_addc_u32 s5, s11, s5
	v_mov_b32_e32 v1, 0
	global_load_dword v1, v1, s[4:5]
	s_waitcnt vmcnt(0)
	v_cmp_ne_u32_e32 vcc, 0, v1
	s_cbranch_vccz .LBB62_267
.LBB62_266:
	s_endpgm
.LBB62_267:
	v_mov_b32_e32 v1, 0x200
	v_lshl_or_b32 v25, v0, 3, v1
	v_cmp_eq_u32_e32 vcc, 62, v0
	s_and_saveexec_b64 s[4:5], vcc
	s_cbranch_execz .LBB62_269
; %bb.268:
	buffer_load_dword v1, off, s[0:3], 0 offset:488
	buffer_load_dword v2, off, s[0:3], 0 offset:492
	v_mov_b32_e32 v3, 0
	buffer_store_dword v3, off, s[0:3], 0 offset:488
	buffer_store_dword v3, off, s[0:3], 0 offset:492
	s_waitcnt vmcnt(2)
	ds_write_b64 v25, v[1:2]
.LBB62_269:
	s_or_b64 exec, exec, s[4:5]
	s_waitcnt lgkmcnt(0)
	; wave barrier
	buffer_load_dword v4, off, s[0:3], 0 offset:500
	buffer_load_dword v5, off, s[0:3], 0 offset:496
	;; [unrolled: 1-line block ×4, first 2 shown]
	v_mov_b32_e32 v1, 0
	ds_read_b64 v[2:3], v1 offset:1008
	v_cmp_lt_u32_e32 vcc, 60, v0
	s_waitcnt vmcnt(3) lgkmcnt(0)
	v_mul_f32_e32 v8, v2, v4
	v_mul_f32_e32 v4, v3, v4
	s_waitcnt vmcnt(2)
	v_fma_f32 v2, v2, v5, -v4
	v_fmac_f32_e32 v8, v3, v5
	v_add_f32_e32 v2, 0, v2
	v_add_f32_e32 v3, 0, v8
	s_waitcnt vmcnt(1)
	v_sub_f32_e32 v2, v6, v2
	s_waitcnt vmcnt(0)
	v_sub_f32_e32 v3, v7, v3
	buffer_store_dword v2, off, s[0:3], 0 offset:488
	buffer_store_dword v3, off, s[0:3], 0 offset:492
	s_and_saveexec_b64 s[4:5], vcc
	s_cbranch_execz .LBB62_271
; %bb.270:
	buffer_load_dword v2, off, s[0:3], 0 offset:480
	buffer_load_dword v3, off, s[0:3], 0 offset:484
	s_waitcnt vmcnt(0)
	ds_write_b64 v25, v[2:3]
	buffer_store_dword v1, off, s[0:3], 0 offset:480
	buffer_store_dword v1, off, s[0:3], 0 offset:484
.LBB62_271:
	s_or_b64 exec, exec, s[4:5]
	s_waitcnt lgkmcnt(0)
	; wave barrier
	buffer_load_dword v5, off, s[0:3], 0 offset:492
	buffer_load_dword v6, off, s[0:3], 0 offset:500
	;; [unrolled: 1-line block ×6, first 2 shown]
	ds_read2_b64 v[1:4], v1 offset0:125 offset1:126
	v_cmp_lt_u32_e32 vcc, 59, v0
	s_waitcnt vmcnt(5) lgkmcnt(0)
	v_mul_f32_e32 v11, v1, v5
	v_mul_f32_e32 v5, v2, v5
	s_waitcnt vmcnt(4)
	v_mul_f32_e32 v12, v3, v6
	v_mul_f32_e32 v6, v4, v6
	s_waitcnt vmcnt(3)
	v_fma_f32 v1, v1, v7, -v5
	v_fmac_f32_e32 v11, v2, v7
	s_waitcnt vmcnt(2)
	v_fma_f32 v2, v3, v8, -v6
	v_add_f32_e32 v1, 0, v1
	v_fmac_f32_e32 v12, v4, v8
	v_add_f32_e32 v3, 0, v11
	v_add_f32_e32 v1, v1, v2
	;; [unrolled: 1-line block ×3, first 2 shown]
	s_waitcnt vmcnt(1)
	v_sub_f32_e32 v1, v9, v1
	s_waitcnt vmcnt(0)
	v_sub_f32_e32 v2, v10, v3
	buffer_store_dword v1, off, s[0:3], 0 offset:480
	buffer_store_dword v2, off, s[0:3], 0 offset:484
	s_and_saveexec_b64 s[4:5], vcc
	s_cbranch_execz .LBB62_273
; %bb.272:
	buffer_load_dword v1, off, s[0:3], 0 offset:472
	buffer_load_dword v2, off, s[0:3], 0 offset:476
	v_mov_b32_e32 v3, 0
	buffer_store_dword v3, off, s[0:3], 0 offset:472
	buffer_store_dword v3, off, s[0:3], 0 offset:476
	s_waitcnt vmcnt(2)
	ds_write_b64 v25, v[1:2]
.LBB62_273:
	s_or_b64 exec, exec, s[4:5]
	s_waitcnt lgkmcnt(0)
	; wave barrier
	buffer_load_dword v8, off, s[0:3], 0 offset:484
	buffer_load_dword v9, off, s[0:3], 0 offset:492
	;; [unrolled: 1-line block ×8, first 2 shown]
	v_mov_b32_e32 v1, 0
	ds_read_b128 v[2:5], v1 offset:992
	ds_read_b64 v[6:7], v1 offset:1008
	v_cmp_lt_u32_e32 vcc, 58, v0
	s_waitcnt vmcnt(7) lgkmcnt(1)
	v_mul_f32_e32 v16, v2, v8
	v_mul_f32_e32 v8, v3, v8
	s_waitcnt vmcnt(6)
	v_mul_f32_e32 v17, v4, v9
	v_mul_f32_e32 v9, v5, v9
	s_waitcnt vmcnt(4)
	v_fma_f32 v2, v2, v11, -v8
	s_waitcnt lgkmcnt(0)
	v_mul_f32_e32 v18, v6, v10
	v_mul_f32_e32 v10, v7, v10
	v_fmac_f32_e32 v16, v3, v11
	s_waitcnt vmcnt(3)
	v_fma_f32 v3, v4, v12, -v9
	v_add_f32_e32 v2, 0, v2
	v_fmac_f32_e32 v17, v5, v12
	s_waitcnt vmcnt(2)
	v_fma_f32 v4, v6, v13, -v10
	v_add_f32_e32 v5, 0, v16
	v_add_f32_e32 v2, v2, v3
	v_fmac_f32_e32 v18, v7, v13
	v_add_f32_e32 v5, v5, v17
	v_add_f32_e32 v2, v2, v4
	;; [unrolled: 1-line block ×3, first 2 shown]
	s_waitcnt vmcnt(1)
	v_sub_f32_e32 v2, v14, v2
	s_waitcnt vmcnt(0)
	v_sub_f32_e32 v3, v15, v3
	buffer_store_dword v2, off, s[0:3], 0 offset:472
	buffer_store_dword v3, off, s[0:3], 0 offset:476
	s_and_saveexec_b64 s[4:5], vcc
	s_cbranch_execz .LBB62_275
; %bb.274:
	buffer_load_dword v2, off, s[0:3], 0 offset:464
	buffer_load_dword v3, off, s[0:3], 0 offset:468
	s_waitcnt vmcnt(0)
	ds_write_b64 v25, v[2:3]
	buffer_store_dword v1, off, s[0:3], 0 offset:464
	buffer_store_dword v1, off, s[0:3], 0 offset:468
.LBB62_275:
	s_or_b64 exec, exec, s[4:5]
	s_waitcnt lgkmcnt(0)
	; wave barrier
	buffer_load_dword v10, off, s[0:3], 0 offset:476
	buffer_load_dword v11, off, s[0:3], 0 offset:484
	;; [unrolled: 1-line block ×10, first 2 shown]
	ds_read2_b64 v[2:5], v1 offset0:123 offset1:124
	ds_read2_b64 v[6:9], v1 offset0:125 offset1:126
	v_cmp_lt_u32_e32 vcc, 57, v0
	s_waitcnt vmcnt(9) lgkmcnt(1)
	v_mul_f32_e32 v1, v2, v10
	v_mul_f32_e32 v10, v3, v10
	s_waitcnt vmcnt(8)
	v_mul_f32_e32 v20, v4, v11
	v_mul_f32_e32 v11, v5, v11
	s_waitcnt vmcnt(5)
	v_fma_f32 v2, v2, v14, -v10
	s_waitcnt lgkmcnt(0)
	v_mul_f32_e32 v21, v6, v12
	v_mul_f32_e32 v12, v7, v12
	v_fmac_f32_e32 v1, v3, v14
	s_waitcnt vmcnt(4)
	v_fma_f32 v3, v4, v15, -v11
	v_add_f32_e32 v2, 0, v2
	v_mul_f32_e32 v22, v8, v13
	v_mul_f32_e32 v13, v9, v13
	v_fmac_f32_e32 v20, v5, v15
	s_waitcnt vmcnt(3)
	v_fma_f32 v4, v6, v16, -v12
	v_add_f32_e32 v1, 0, v1
	v_add_f32_e32 v2, v2, v3
	v_fmac_f32_e32 v21, v7, v16
	s_waitcnt vmcnt(2)
	v_fma_f32 v5, v8, v17, -v13
	v_add_f32_e32 v1, v1, v20
	v_add_f32_e32 v2, v2, v4
	v_fmac_f32_e32 v22, v9, v17
	v_add_f32_e32 v1, v1, v21
	v_add_f32_e32 v2, v2, v5
	;; [unrolled: 1-line block ×3, first 2 shown]
	s_waitcnt vmcnt(1)
	v_sub_f32_e32 v2, v18, v2
	s_waitcnt vmcnt(0)
	v_sub_f32_e32 v1, v19, v1
	buffer_store_dword v2, off, s[0:3], 0 offset:464
	buffer_store_dword v1, off, s[0:3], 0 offset:468
	s_and_saveexec_b64 s[4:5], vcc
	s_cbranch_execz .LBB62_277
; %bb.276:
	buffer_load_dword v1, off, s[0:3], 0 offset:456
	buffer_load_dword v2, off, s[0:3], 0 offset:460
	v_mov_b32_e32 v3, 0
	buffer_store_dword v3, off, s[0:3], 0 offset:456
	buffer_store_dword v3, off, s[0:3], 0 offset:460
	s_waitcnt vmcnt(2)
	ds_write_b64 v25, v[1:2]
.LBB62_277:
	s_or_b64 exec, exec, s[4:5]
	s_waitcnt lgkmcnt(0)
	; wave barrier
	buffer_load_dword v12, off, s[0:3], 0 offset:468
	buffer_load_dword v13, off, s[0:3], 0 offset:476
	;; [unrolled: 1-line block ×12, first 2 shown]
	v_mov_b32_e32 v1, 0
	ds_read_b128 v[2:5], v1 offset:976
	ds_read_b128 v[6:9], v1 offset:992
	ds_read_b64 v[10:11], v1 offset:1008
	v_cmp_lt_u32_e32 vcc, 56, v0
	s_waitcnt vmcnt(11) lgkmcnt(2)
	v_mul_f32_e32 v24, v2, v12
	v_mul_f32_e32 v12, v3, v12
	s_waitcnt vmcnt(10)
	v_mul_f32_e32 v26, v4, v13
	v_mul_f32_e32 v13, v5, v13
	s_waitcnt vmcnt(9) lgkmcnt(1)
	v_mul_f32_e32 v27, v6, v14
	s_waitcnt vmcnt(6)
	v_fma_f32 v2, v2, v17, -v12
	v_mul_f32_e32 v14, v7, v14
	v_fmac_f32_e32 v24, v3, v17
	s_waitcnt vmcnt(5)
	v_fma_f32 v3, v4, v18, -v13
	v_add_f32_e32 v2, 0, v2
	v_mul_f32_e32 v28, v8, v15
	v_mul_f32_e32 v15, v9, v15
	v_fmac_f32_e32 v26, v5, v18
	s_waitcnt vmcnt(4)
	v_fmac_f32_e32 v27, v7, v19
	v_fma_f32 v4, v6, v19, -v14
	v_add_f32_e32 v7, 0, v24
	v_add_f32_e32 v2, v2, v3
	s_waitcnt lgkmcnt(0)
	v_mul_f32_e32 v29, v10, v16
	v_mul_f32_e32 v16, v11, v16
	s_waitcnt vmcnt(3)
	v_fma_f32 v5, v8, v20, -v15
	v_add_f32_e32 v7, v7, v26
	v_add_f32_e32 v2, v2, v4
	v_fmac_f32_e32 v28, v9, v20
	s_waitcnt vmcnt(2)
	v_fma_f32 v6, v10, v21, -v16
	v_add_f32_e32 v3, v7, v27
	v_add_f32_e32 v2, v2, v5
	v_fmac_f32_e32 v29, v11, v21
	v_add_f32_e32 v3, v3, v28
	v_add_f32_e32 v2, v2, v6
	;; [unrolled: 1-line block ×3, first 2 shown]
	s_waitcnt vmcnt(1)
	v_sub_f32_e32 v2, v22, v2
	s_waitcnt vmcnt(0)
	v_sub_f32_e32 v3, v23, v3
	buffer_store_dword v2, off, s[0:3], 0 offset:456
	buffer_store_dword v3, off, s[0:3], 0 offset:460
	s_and_saveexec_b64 s[4:5], vcc
	s_cbranch_execz .LBB62_279
; %bb.278:
	buffer_load_dword v2, off, s[0:3], 0 offset:448
	buffer_load_dword v3, off, s[0:3], 0 offset:452
	s_waitcnt vmcnt(0)
	ds_write_b64 v25, v[2:3]
	buffer_store_dword v1, off, s[0:3], 0 offset:448
	buffer_store_dword v1, off, s[0:3], 0 offset:452
.LBB62_279:
	s_or_b64 exec, exec, s[4:5]
	s_waitcnt lgkmcnt(0)
	; wave barrier
	buffer_load_dword v14, off, s[0:3], 0 offset:460
	buffer_load_dword v15, off, s[0:3], 0 offset:468
	;; [unrolled: 1-line block ×14, first 2 shown]
	ds_read2_b64 v[2:5], v1 offset0:121 offset1:122
	ds_read2_b64 v[6:9], v1 offset0:123 offset1:124
	;; [unrolled: 1-line block ×3, first 2 shown]
	v_cmp_lt_u32_e32 vcc, 55, v0
	s_waitcnt vmcnt(13) lgkmcnt(2)
	v_mul_f32_e32 v1, v2, v14
	v_mul_f32_e32 v14, v3, v14
	s_waitcnt vmcnt(12)
	v_mul_f32_e32 v29, v4, v15
	v_mul_f32_e32 v15, v5, v15
	s_waitcnt vmcnt(11) lgkmcnt(1)
	v_mul_f32_e32 v30, v6, v16
	v_mul_f32_e32 v16, v7, v16
	s_waitcnt vmcnt(7)
	v_fma_f32 v2, v2, v20, -v14
	v_fmac_f32_e32 v1, v3, v20
	s_waitcnt vmcnt(6)
	v_fma_f32 v3, v4, v21, -v15
	v_add_f32_e32 v2, 0, v2
	v_mul_f32_e32 v31, v8, v17
	v_mul_f32_e32 v17, v9, v17
	v_fmac_f32_e32 v29, v5, v21
	s_waitcnt vmcnt(5)
	v_fma_f32 v4, v6, v22, -v16
	v_add_f32_e32 v1, 0, v1
	v_add_f32_e32 v2, v2, v3
	s_waitcnt lgkmcnt(0)
	v_mul_f32_e32 v32, v10, v18
	v_mul_f32_e32 v18, v11, v18
	v_fmac_f32_e32 v30, v7, v22
	s_waitcnt vmcnt(4)
	v_fma_f32 v5, v8, v23, -v17
	v_add_f32_e32 v1, v1, v29
	v_add_f32_e32 v2, v2, v4
	v_mul_f32_e32 v33, v12, v19
	v_mul_f32_e32 v19, v13, v19
	v_fmac_f32_e32 v31, v9, v23
	s_waitcnt vmcnt(3)
	v_fma_f32 v6, v10, v24, -v18
	v_add_f32_e32 v1, v1, v30
	v_add_f32_e32 v2, v2, v5
	v_fmac_f32_e32 v32, v11, v24
	s_waitcnt vmcnt(2)
	v_fma_f32 v7, v12, v26, -v19
	v_add_f32_e32 v1, v1, v31
	v_add_f32_e32 v2, v2, v6
	v_fmac_f32_e32 v33, v13, v26
	v_add_f32_e32 v1, v1, v32
	v_add_f32_e32 v2, v2, v7
	;; [unrolled: 1-line block ×3, first 2 shown]
	s_waitcnt vmcnt(1)
	v_sub_f32_e32 v2, v27, v2
	s_waitcnt vmcnt(0)
	v_sub_f32_e32 v1, v28, v1
	buffer_store_dword v2, off, s[0:3], 0 offset:448
	buffer_store_dword v1, off, s[0:3], 0 offset:452
	s_and_saveexec_b64 s[4:5], vcc
	s_cbranch_execz .LBB62_281
; %bb.280:
	buffer_load_dword v1, off, s[0:3], 0 offset:440
	buffer_load_dword v2, off, s[0:3], 0 offset:444
	v_mov_b32_e32 v3, 0
	buffer_store_dword v3, off, s[0:3], 0 offset:440
	buffer_store_dword v3, off, s[0:3], 0 offset:444
	s_waitcnt vmcnt(2)
	ds_write_b64 v25, v[1:2]
.LBB62_281:
	s_or_b64 exec, exec, s[4:5]
	s_waitcnt lgkmcnt(0)
	; wave barrier
	buffer_load_dword v16, off, s[0:3], 0 offset:452
	buffer_load_dword v17, off, s[0:3], 0 offset:460
	;; [unrolled: 1-line block ×16, first 2 shown]
	v_mov_b32_e32 v1, 0
	ds_read_b128 v[2:5], v1 offset:960
	ds_read_b128 v[6:9], v1 offset:976
	ds_read_b128 v[10:13], v1 offset:992
	ds_read_b64 v[14:15], v1 offset:1008
	v_cmp_lt_u32_e32 vcc, 54, v0
	s_waitcnt vmcnt(15) lgkmcnt(3)
	v_mul_f32_e32 v33, v2, v16
	v_mul_f32_e32 v16, v3, v16
	s_waitcnt vmcnt(14)
	v_mul_f32_e32 v34, v4, v17
	v_mul_f32_e32 v17, v5, v17
	s_waitcnt vmcnt(13) lgkmcnt(2)
	v_mul_f32_e32 v35, v6, v18
	s_waitcnt vmcnt(12)
	v_mul_f32_e32 v36, v8, v19
	v_mul_f32_e32 v18, v7, v18
	s_waitcnt vmcnt(8)
	v_fma_f32 v2, v2, v23, -v16
	v_fmac_f32_e32 v33, v3, v23
	s_waitcnt vmcnt(7)
	v_fma_f32 v3, v4, v24, -v17
	v_add_f32_e32 v2, 0, v2
	v_mul_f32_e32 v19, v9, v19
	v_fmac_f32_e32 v34, v5, v24
	s_waitcnt vmcnt(5)
	v_fmac_f32_e32 v36, v9, v27
	v_fma_f32 v4, v6, v26, -v18
	v_add_f32_e32 v9, 0, v33
	v_add_f32_e32 v2, v2, v3
	s_waitcnt lgkmcnt(1)
	v_mul_f32_e32 v37, v10, v20
	v_mul_f32_e32 v20, v11, v20
	v_fmac_f32_e32 v35, v7, v26
	v_fma_f32 v5, v8, v27, -v19
	v_add_f32_e32 v9, v9, v34
	v_add_f32_e32 v2, v2, v4
	v_mul_f32_e32 v38, v12, v21
	v_mul_f32_e32 v21, v13, v21
	s_waitcnt vmcnt(4)
	v_fma_f32 v6, v10, v28, -v20
	v_add_f32_e32 v3, v9, v35
	v_add_f32_e32 v2, v2, v5
	s_waitcnt lgkmcnt(0)
	v_mul_f32_e32 v39, v14, v22
	v_mul_f32_e32 v22, v15, v22
	v_fmac_f32_e32 v37, v11, v28
	s_waitcnt vmcnt(3)
	v_fma_f32 v7, v12, v29, -v21
	v_add_f32_e32 v3, v3, v36
	v_add_f32_e32 v2, v2, v6
	v_fmac_f32_e32 v38, v13, v29
	s_waitcnt vmcnt(2)
	v_fma_f32 v8, v14, v30, -v22
	v_add_f32_e32 v3, v3, v37
	v_add_f32_e32 v2, v2, v7
	v_fmac_f32_e32 v39, v15, v30
	v_add_f32_e32 v3, v3, v38
	v_add_f32_e32 v2, v2, v8
	;; [unrolled: 1-line block ×3, first 2 shown]
	s_waitcnt vmcnt(1)
	v_sub_f32_e32 v2, v31, v2
	s_waitcnt vmcnt(0)
	v_sub_f32_e32 v3, v32, v3
	buffer_store_dword v2, off, s[0:3], 0 offset:440
	buffer_store_dword v3, off, s[0:3], 0 offset:444
	s_and_saveexec_b64 s[4:5], vcc
	s_cbranch_execz .LBB62_283
; %bb.282:
	buffer_load_dword v2, off, s[0:3], 0 offset:432
	buffer_load_dword v3, off, s[0:3], 0 offset:436
	s_waitcnt vmcnt(0)
	ds_write_b64 v25, v[2:3]
	buffer_store_dword v1, off, s[0:3], 0 offset:432
	buffer_store_dword v1, off, s[0:3], 0 offset:436
.LBB62_283:
	s_or_b64 exec, exec, s[4:5]
	s_waitcnt lgkmcnt(0)
	; wave barrier
	buffer_load_dword v18, off, s[0:3], 0 offset:444
	buffer_load_dword v19, off, s[0:3], 0 offset:452
	;; [unrolled: 1-line block ×18, first 2 shown]
	ds_read2_b64 v[2:5], v1 offset0:119 offset1:120
	ds_read2_b64 v[6:9], v1 offset0:121 offset1:122
	;; [unrolled: 1-line block ×4, first 2 shown]
	v_cmp_lt_u32_e32 vcc, 53, v0
	s_waitcnt vmcnt(17) lgkmcnt(3)
	v_mul_f32_e32 v1, v2, v18
	v_mul_f32_e32 v18, v3, v18
	s_waitcnt vmcnt(16)
	v_mul_f32_e32 v37, v4, v19
	v_mul_f32_e32 v19, v5, v19
	s_waitcnt vmcnt(15) lgkmcnt(2)
	v_mul_f32_e32 v38, v6, v20
	v_mul_f32_e32 v20, v7, v20
	s_waitcnt vmcnt(14)
	v_mul_f32_e32 v39, v8, v21
	v_mul_f32_e32 v21, v9, v21
	s_waitcnt vmcnt(9)
	v_fma_f32 v2, v2, v27, -v18
	v_fmac_f32_e32 v1, v3, v27
	s_waitcnt vmcnt(8)
	v_fma_f32 v3, v4, v28, -v19
	v_add_f32_e32 v2, 0, v2
	v_fmac_f32_e32 v37, v5, v28
	s_waitcnt vmcnt(7)
	v_fma_f32 v4, v6, v29, -v20
	v_add_f32_e32 v1, 0, v1
	v_add_f32_e32 v2, v2, v3
	s_waitcnt lgkmcnt(1)
	v_mul_f32_e32 v40, v10, v22
	v_mul_f32_e32 v22, v11, v22
	v_fmac_f32_e32 v38, v7, v29
	s_waitcnt vmcnt(6)
	v_fma_f32 v5, v8, v30, -v21
	v_add_f32_e32 v1, v1, v37
	v_add_f32_e32 v2, v2, v4
	v_mul_f32_e32 v41, v12, v23
	v_mul_f32_e32 v23, v13, v23
	v_fmac_f32_e32 v39, v9, v30
	s_waitcnt vmcnt(5)
	v_fma_f32 v6, v10, v31, -v22
	v_add_f32_e32 v1, v1, v38
	v_add_f32_e32 v2, v2, v5
	s_waitcnt lgkmcnt(0)
	v_mul_f32_e32 v42, v14, v24
	v_mul_f32_e32 v24, v15, v24
	v_fmac_f32_e32 v40, v11, v31
	s_waitcnt vmcnt(4)
	v_fma_f32 v7, v12, v32, -v23
	v_add_f32_e32 v1, v1, v39
	v_add_f32_e32 v2, v2, v6
	v_mul_f32_e32 v43, v16, v26
	v_mul_f32_e32 v26, v17, v26
	v_fmac_f32_e32 v41, v13, v32
	s_waitcnt vmcnt(3)
	v_fma_f32 v8, v14, v33, -v24
	v_add_f32_e32 v1, v1, v40
	v_add_f32_e32 v2, v2, v7
	v_fmac_f32_e32 v42, v15, v33
	s_waitcnt vmcnt(2)
	v_fma_f32 v9, v16, v34, -v26
	v_add_f32_e32 v1, v1, v41
	v_add_f32_e32 v2, v2, v8
	v_fmac_f32_e32 v43, v17, v34
	v_add_f32_e32 v1, v1, v42
	v_add_f32_e32 v2, v2, v9
	;; [unrolled: 1-line block ×3, first 2 shown]
	s_waitcnt vmcnt(1)
	v_sub_f32_e32 v2, v35, v2
	s_waitcnt vmcnt(0)
	v_sub_f32_e32 v1, v36, v1
	buffer_store_dword v2, off, s[0:3], 0 offset:432
	buffer_store_dword v1, off, s[0:3], 0 offset:436
	s_and_saveexec_b64 s[4:5], vcc
	s_cbranch_execz .LBB62_285
; %bb.284:
	buffer_load_dword v1, off, s[0:3], 0 offset:424
	buffer_load_dword v2, off, s[0:3], 0 offset:428
	v_mov_b32_e32 v3, 0
	buffer_store_dword v3, off, s[0:3], 0 offset:424
	buffer_store_dword v3, off, s[0:3], 0 offset:428
	s_waitcnt vmcnt(2)
	ds_write_b64 v25, v[1:2]
.LBB62_285:
	s_or_b64 exec, exec, s[4:5]
	s_waitcnt lgkmcnt(0)
	; wave barrier
	buffer_load_dword v20, off, s[0:3], 0 offset:436
	buffer_load_dword v21, off, s[0:3], 0 offset:444
	buffer_load_dword v22, off, s[0:3], 0 offset:452
	buffer_load_dword v23, off, s[0:3], 0 offset:460
	buffer_load_dword v24, off, s[0:3], 0 offset:468
	buffer_load_dword v26, off, s[0:3], 0 offset:476
	buffer_load_dword v27, off, s[0:3], 0 offset:484
	buffer_load_dword v28, off, s[0:3], 0 offset:492
	buffer_load_dword v29, off, s[0:3], 0 offset:500
	buffer_load_dword v30, off, s[0:3], 0 offset:432
	buffer_load_dword v31, off, s[0:3], 0 offset:440
	buffer_load_dword v32, off, s[0:3], 0 offset:448
	buffer_load_dword v33, off, s[0:3], 0 offset:456
	buffer_load_dword v34, off, s[0:3], 0 offset:464
	buffer_load_dword v35, off, s[0:3], 0 offset:472
	buffer_load_dword v36, off, s[0:3], 0 offset:480
	buffer_load_dword v37, off, s[0:3], 0 offset:488
	buffer_load_dword v38, off, s[0:3], 0 offset:496
	buffer_load_dword v39, off, s[0:3], 0 offset:424
	buffer_load_dword v40, off, s[0:3], 0 offset:428
	v_mov_b32_e32 v1, 0
	ds_read_b128 v[2:5], v1 offset:944
	ds_read_b128 v[6:9], v1 offset:960
	ds_read_b128 v[10:13], v1 offset:976
	ds_read_b128 v[14:17], v1 offset:992
	ds_read_b64 v[18:19], v1 offset:1008
	v_cmp_lt_u32_e32 vcc, 52, v0
	s_waitcnt vmcnt(19) lgkmcnt(4)
	v_mul_f32_e32 v41, v2, v20
	v_mul_f32_e32 v20, v3, v20
	s_waitcnt vmcnt(18)
	v_mul_f32_e32 v42, v4, v21
	v_mul_f32_e32 v21, v5, v21
	s_waitcnt vmcnt(17) lgkmcnt(3)
	v_mul_f32_e32 v43, v6, v22
	s_waitcnt vmcnt(15) lgkmcnt(2)
	v_mul_f32_e32 v45, v10, v24
	v_mul_f32_e32 v22, v7, v22
	;; [unrolled: 1-line block ×4, first 2 shown]
	s_waitcnt vmcnt(10)
	v_fma_f32 v2, v2, v30, -v20
	v_fmac_f32_e32 v41, v3, v30
	s_waitcnt vmcnt(9)
	v_fma_f32 v3, v4, v31, -v21
	v_add_f32_e32 v2, 0, v2
	v_mul_f32_e32 v24, v11, v24
	v_fmac_f32_e32 v42, v5, v31
	s_waitcnt vmcnt(6)
	v_fmac_f32_e32 v45, v11, v34
	v_fma_f32 v4, v6, v32, -v22
	v_add_f32_e32 v11, 0, v41
	v_add_f32_e32 v2, v2, v3
	v_fmac_f32_e32 v43, v7, v32
	v_fma_f32 v5, v8, v33, -v23
	v_add_f32_e32 v11, v11, v42
	v_add_f32_e32 v2, v2, v4
	v_mul_f32_e32 v46, v12, v26
	v_mul_f32_e32 v26, v13, v26
	v_fmac_f32_e32 v44, v9, v33
	v_fma_f32 v6, v10, v34, -v24
	v_add_f32_e32 v3, v11, v43
	v_add_f32_e32 v2, v2, v5
	s_waitcnt lgkmcnt(1)
	v_mul_f32_e32 v47, v14, v27
	v_mul_f32_e32 v27, v15, v27
	s_waitcnt vmcnt(5)
	v_fma_f32 v7, v12, v35, -v26
	v_add_f32_e32 v3, v3, v44
	v_add_f32_e32 v2, v2, v6
	v_mul_f32_e32 v48, v16, v28
	v_mul_f32_e32 v28, v17, v28
	v_fmac_f32_e32 v46, v13, v35
	s_waitcnt vmcnt(4)
	v_fma_f32 v8, v14, v36, -v27
	v_add_f32_e32 v3, v3, v45
	v_add_f32_e32 v2, v2, v7
	s_waitcnt lgkmcnt(0)
	v_mul_f32_e32 v49, v18, v29
	v_mul_f32_e32 v29, v19, v29
	v_fmac_f32_e32 v47, v15, v36
	s_waitcnt vmcnt(3)
	v_fma_f32 v9, v16, v37, -v28
	v_add_f32_e32 v3, v3, v46
	v_add_f32_e32 v2, v2, v8
	v_fmac_f32_e32 v48, v17, v37
	s_waitcnt vmcnt(2)
	v_fma_f32 v10, v18, v38, -v29
	v_add_f32_e32 v3, v3, v47
	v_add_f32_e32 v2, v2, v9
	v_fmac_f32_e32 v49, v19, v38
	v_add_f32_e32 v3, v3, v48
	v_add_f32_e32 v2, v2, v10
	;; [unrolled: 1-line block ×3, first 2 shown]
	s_waitcnt vmcnt(1)
	v_sub_f32_e32 v2, v39, v2
	s_waitcnt vmcnt(0)
	v_sub_f32_e32 v3, v40, v3
	buffer_store_dword v2, off, s[0:3], 0 offset:424
	buffer_store_dword v3, off, s[0:3], 0 offset:428
	s_and_saveexec_b64 s[4:5], vcc
	s_cbranch_execz .LBB62_287
; %bb.286:
	buffer_load_dword v2, off, s[0:3], 0 offset:416
	buffer_load_dword v3, off, s[0:3], 0 offset:420
	s_waitcnt vmcnt(0)
	ds_write_b64 v25, v[2:3]
	buffer_store_dword v1, off, s[0:3], 0 offset:416
	buffer_store_dword v1, off, s[0:3], 0 offset:420
.LBB62_287:
	s_or_b64 exec, exec, s[4:5]
	s_waitcnt lgkmcnt(0)
	; wave barrier
	buffer_load_dword v22, off, s[0:3], 0 offset:428
	buffer_load_dword v23, off, s[0:3], 0 offset:436
	buffer_load_dword v24, off, s[0:3], 0 offset:444
	buffer_load_dword v26, off, s[0:3], 0 offset:452
	buffer_load_dword v27, off, s[0:3], 0 offset:460
	buffer_load_dword v28, off, s[0:3], 0 offset:468
	buffer_load_dword v29, off, s[0:3], 0 offset:476
	buffer_load_dword v30, off, s[0:3], 0 offset:484
	buffer_load_dword v31, off, s[0:3], 0 offset:492
	buffer_load_dword v32, off, s[0:3], 0 offset:500
	buffer_load_dword v33, off, s[0:3], 0 offset:424
	buffer_load_dword v34, off, s[0:3], 0 offset:432
	buffer_load_dword v35, off, s[0:3], 0 offset:440
	buffer_load_dword v36, off, s[0:3], 0 offset:448
	buffer_load_dword v37, off, s[0:3], 0 offset:456
	buffer_load_dword v38, off, s[0:3], 0 offset:464
	buffer_load_dword v39, off, s[0:3], 0 offset:472
	buffer_load_dword v40, off, s[0:3], 0 offset:480
	buffer_load_dword v41, off, s[0:3], 0 offset:488
	buffer_load_dword v42, off, s[0:3], 0 offset:496
	buffer_load_dword v43, off, s[0:3], 0 offset:416
	buffer_load_dword v44, off, s[0:3], 0 offset:420
	ds_read2_b64 v[2:5], v1 offset0:117 offset1:118
	ds_read2_b64 v[6:9], v1 offset0:119 offset1:120
	;; [unrolled: 1-line block ×5, first 2 shown]
	v_cmp_lt_u32_e32 vcc, 51, v0
	s_waitcnt vmcnt(21) lgkmcnt(4)
	v_mul_f32_e32 v1, v2, v22
	v_mul_f32_e32 v22, v3, v22
	s_waitcnt vmcnt(20)
	v_mul_f32_e32 v45, v4, v23
	v_mul_f32_e32 v23, v5, v23
	s_waitcnt vmcnt(19) lgkmcnt(3)
	v_mul_f32_e32 v46, v6, v24
	v_mul_f32_e32 v24, v7, v24
	s_waitcnt vmcnt(18)
	v_mul_f32_e32 v47, v8, v26
	v_mul_f32_e32 v26, v9, v26
	s_waitcnt vmcnt(17) lgkmcnt(2)
	v_mul_f32_e32 v48, v10, v27
	v_mul_f32_e32 v27, v11, v27
	s_waitcnt vmcnt(11)
	v_fma_f32 v2, v2, v33, -v22
	v_fmac_f32_e32 v1, v3, v33
	s_waitcnt vmcnt(10)
	v_fma_f32 v3, v4, v34, -v23
	v_add_f32_e32 v2, 0, v2
	v_fmac_f32_e32 v45, v5, v34
	s_waitcnt vmcnt(9)
	v_fma_f32 v4, v6, v35, -v24
	v_add_f32_e32 v1, 0, v1
	v_add_f32_e32 v2, v2, v3
	v_fmac_f32_e32 v46, v7, v35
	s_waitcnt vmcnt(8)
	v_fma_f32 v5, v8, v36, -v26
	v_add_f32_e32 v1, v1, v45
	v_add_f32_e32 v2, v2, v4
	v_mul_f32_e32 v49, v12, v28
	v_mul_f32_e32 v28, v13, v28
	v_fmac_f32_e32 v47, v9, v36
	s_waitcnt vmcnt(7)
	v_fma_f32 v6, v10, v37, -v27
	v_add_f32_e32 v1, v1, v46
	v_add_f32_e32 v2, v2, v5
	s_waitcnt lgkmcnt(1)
	v_mul_f32_e32 v50, v14, v29
	v_mul_f32_e32 v29, v15, v29
	v_fmac_f32_e32 v48, v11, v37
	s_waitcnt vmcnt(6)
	v_fma_f32 v7, v12, v38, -v28
	v_add_f32_e32 v1, v1, v47
	v_add_f32_e32 v2, v2, v6
	v_mul_f32_e32 v51, v16, v30
	v_mul_f32_e32 v30, v17, v30
	v_fmac_f32_e32 v49, v13, v38
	s_waitcnt vmcnt(5)
	v_fma_f32 v8, v14, v39, -v29
	v_add_f32_e32 v1, v1, v48
	v_add_f32_e32 v2, v2, v7
	s_waitcnt lgkmcnt(0)
	v_mul_f32_e32 v52, v18, v31
	v_mul_f32_e32 v31, v19, v31
	v_fmac_f32_e32 v50, v15, v39
	s_waitcnt vmcnt(4)
	v_fma_f32 v9, v16, v40, -v30
	v_add_f32_e32 v1, v1, v49
	v_add_f32_e32 v2, v2, v8
	v_mul_f32_e32 v53, v20, v32
	v_mul_f32_e32 v32, v21, v32
	v_fmac_f32_e32 v51, v17, v40
	s_waitcnt vmcnt(3)
	v_fma_f32 v10, v18, v41, -v31
	v_add_f32_e32 v1, v1, v50
	v_add_f32_e32 v2, v2, v9
	v_fmac_f32_e32 v52, v19, v41
	s_waitcnt vmcnt(2)
	v_fma_f32 v11, v20, v42, -v32
	v_add_f32_e32 v1, v1, v51
	v_add_f32_e32 v2, v2, v10
	v_fmac_f32_e32 v53, v21, v42
	v_add_f32_e32 v1, v1, v52
	v_add_f32_e32 v2, v2, v11
	;; [unrolled: 1-line block ×3, first 2 shown]
	s_waitcnt vmcnt(1)
	v_sub_f32_e32 v2, v43, v2
	s_waitcnt vmcnt(0)
	v_sub_f32_e32 v1, v44, v1
	buffer_store_dword v2, off, s[0:3], 0 offset:416
	buffer_store_dword v1, off, s[0:3], 0 offset:420
	s_and_saveexec_b64 s[4:5], vcc
	s_cbranch_execz .LBB62_289
; %bb.288:
	buffer_load_dword v1, off, s[0:3], 0 offset:408
	buffer_load_dword v2, off, s[0:3], 0 offset:412
	v_mov_b32_e32 v3, 0
	buffer_store_dword v3, off, s[0:3], 0 offset:408
	buffer_store_dword v3, off, s[0:3], 0 offset:412
	s_waitcnt vmcnt(2)
	ds_write_b64 v25, v[1:2]
.LBB62_289:
	s_or_b64 exec, exec, s[4:5]
	s_waitcnt lgkmcnt(0)
	; wave barrier
	buffer_load_dword v24, off, s[0:3], 0 offset:420
	buffer_load_dword v26, off, s[0:3], 0 offset:428
	;; [unrolled: 1-line block ×24, first 2 shown]
	v_mov_b32_e32 v1, 0
	ds_read_b128 v[2:5], v1 offset:928
	ds_read_b128 v[6:9], v1 offset:944
	;; [unrolled: 1-line block ×5, first 2 shown]
	ds_read_b64 v[22:23], v1 offset:1008
	v_cmp_lt_u32_e32 vcc, 50, v0
	s_waitcnt vmcnt(23) lgkmcnt(5)
	v_mul_f32_e32 v49, v2, v24
	v_mul_f32_e32 v24, v3, v24
	s_waitcnt vmcnt(22)
	v_mul_f32_e32 v50, v4, v26
	v_mul_f32_e32 v26, v5, v26
	s_waitcnt vmcnt(21) lgkmcnt(4)
	v_mul_f32_e32 v51, v6, v27
	v_mul_f32_e32 v27, v7, v27
	s_waitcnt vmcnt(20)
	v_mul_f32_e32 v52, v8, v28
	s_waitcnt vmcnt(19) lgkmcnt(3)
	v_mul_f32_e32 v53, v10, v29
	v_mul_f32_e32 v28, v9, v28
	;; [unrolled: 1-line block ×3, first 2 shown]
	s_waitcnt vmcnt(18)
	v_mul_f32_e32 v54, v12, v30
	s_waitcnt vmcnt(12)
	v_fma_f32 v2, v2, v36, -v24
	v_fmac_f32_e32 v49, v3, v36
	s_waitcnt vmcnt(11)
	v_fma_f32 v3, v4, v37, -v26
	v_add_f32_e32 v2, 0, v2
	s_waitcnt vmcnt(10)
	v_fma_f32 v4, v6, v38, -v27
	v_add_f32_e32 v2, v2, v3
	v_fmac_f32_e32 v50, v5, v37
	s_waitcnt vmcnt(8)
	v_fmac_f32_e32 v53, v11, v40
	v_fma_f32 v5, v8, v39, -v28
	v_add_f32_e32 v11, 0, v49
	v_add_f32_e32 v2, v2, v4
	v_mul_f32_e32 v30, v13, v30
	v_fmac_f32_e32 v51, v7, v38
	v_fma_f32 v6, v10, v40, -v29
	v_add_f32_e32 v11, v11, v50
	v_add_f32_e32 v2, v2, v5
	s_waitcnt lgkmcnt(2)
	v_mul_f32_e32 v55, v14, v31
	v_mul_f32_e32 v31, v15, v31
	v_fmac_f32_e32 v52, v9, v39
	s_waitcnt vmcnt(7)
	v_fma_f32 v7, v12, v41, -v30
	v_add_f32_e32 v3, v11, v51
	v_add_f32_e32 v2, v2, v6
	v_mul_f32_e32 v56, v16, v32
	v_mul_f32_e32 v32, v17, v32
	s_waitcnt vmcnt(6)
	v_fma_f32 v8, v14, v42, -v31
	v_add_f32_e32 v3, v3, v52
	v_add_f32_e32 v2, v2, v7
	s_waitcnt lgkmcnt(1)
	v_mul_f32_e32 v57, v18, v33
	v_mul_f32_e32 v33, v19, v33
	v_fmac_f32_e32 v54, v13, v41
	s_waitcnt vmcnt(5)
	v_fma_f32 v9, v16, v43, -v32
	v_add_f32_e32 v3, v3, v53
	v_add_f32_e32 v2, v2, v8
	v_fmac_f32_e32 v55, v15, v42
	s_waitcnt vmcnt(4)
	v_fma_f32 v10, v18, v44, -v33
	v_add_f32_e32 v3, v3, v54
	v_add_f32_e32 v2, v2, v9
	v_mul_f32_e32 v4, v21, v34
	v_fmac_f32_e32 v56, v17, v43
	v_add_f32_e32 v3, v3, v55
	v_add_f32_e32 v2, v2, v10
	s_waitcnt vmcnt(3)
	v_fma_f32 v4, v20, v45, -v4
	v_mul_f32_e32 v58, v20, v34
	v_fmac_f32_e32 v57, v19, v44
	v_add_f32_e32 v3, v3, v56
	v_add_f32_e32 v2, v2, v4
	s_waitcnt lgkmcnt(0)
	v_mul_f32_e32 v4, v23, v35
	v_mul_f32_e32 v59, v22, v35
	v_fmac_f32_e32 v58, v21, v45
	v_add_f32_e32 v3, v3, v57
	s_waitcnt vmcnt(2)
	v_fma_f32 v4, v22, v46, -v4
	v_fmac_f32_e32 v59, v23, v46
	v_add_f32_e32 v3, v3, v58
	v_add_f32_e32 v2, v2, v4
	;; [unrolled: 1-line block ×3, first 2 shown]
	s_waitcnt vmcnt(1)
	v_sub_f32_e32 v2, v47, v2
	s_waitcnt vmcnt(0)
	v_sub_f32_e32 v3, v48, v3
	buffer_store_dword v2, off, s[0:3], 0 offset:408
	buffer_store_dword v3, off, s[0:3], 0 offset:412
	s_and_saveexec_b64 s[4:5], vcc
	s_cbranch_execz .LBB62_291
; %bb.290:
	buffer_load_dword v2, off, s[0:3], 0 offset:400
	buffer_load_dword v3, off, s[0:3], 0 offset:404
	s_waitcnt vmcnt(0)
	ds_write_b64 v25, v[2:3]
	buffer_store_dword v1, off, s[0:3], 0 offset:400
	buffer_store_dword v1, off, s[0:3], 0 offset:404
.LBB62_291:
	s_or_b64 exec, exec, s[4:5]
	s_waitcnt lgkmcnt(0)
	; wave barrier
	buffer_load_dword v22, off, s[0:3], 0 offset:412
	buffer_load_dword v23, off, s[0:3], 0 offset:420
	;; [unrolled: 1-line block ×26, first 2 shown]
	ds_read2_b64 v[2:5], v1 offset0:115 offset1:116
	ds_read2_b64 v[6:9], v1 offset0:117 offset1:118
	;; [unrolled: 1-line block ×6, first 2 shown]
	v_cmp_lt_u32_e32 vcc, 49, v0
	s_waitcnt vmcnt(25) lgkmcnt(5)
	v_mul_f32_e32 v1, v2, v22
	v_mul_f32_e32 v22, v3, v22
	s_waitcnt vmcnt(24)
	v_mul_f32_e32 v53, v4, v23
	v_mul_f32_e32 v23, v5, v23
	s_waitcnt vmcnt(23) lgkmcnt(4)
	v_mul_f32_e32 v54, v6, v24
	v_mul_f32_e32 v24, v7, v24
	s_waitcnt vmcnt(22)
	v_mul_f32_e32 v55, v8, v30
	v_mul_f32_e32 v30, v9, v30
	s_waitcnt vmcnt(21) lgkmcnt(3)
	v_mul_f32_e32 v56, v10, v31
	v_mul_f32_e32 v31, v11, v31
	s_waitcnt vmcnt(20)
	v_mul_f32_e32 v57, v12, v32
	v_mul_f32_e32 v32, v13, v32
	s_waitcnt vmcnt(13)
	v_fma_f32 v2, v2, v39, -v22
	v_fmac_f32_e32 v1, v3, v39
	s_waitcnt vmcnt(12)
	v_fma_f32 v3, v4, v40, -v23
	v_add_f32_e32 v2, 0, v2
	s_waitcnt vmcnt(11)
	v_fma_f32 v4, v6, v41, -v24
	v_add_f32_e32 v2, v2, v3
	v_fmac_f32_e32 v53, v5, v40
	s_waitcnt vmcnt(10)
	v_fma_f32 v5, v8, v42, -v30
	v_add_f32_e32 v2, v2, v4
	s_waitcnt vmcnt(9)
	v_fma_f32 v6, v10, v43, -v31
	v_add_f32_e32 v2, v2, v5
	s_waitcnt lgkmcnt(2)
	v_mul_f32_e32 v58, v14, v33
	v_mul_f32_e32 v33, v15, v33
	v_fmac_f32_e32 v54, v7, v41
	s_waitcnt vmcnt(8)
	v_fma_f32 v7, v12, v44, -v32
	v_add_f32_e32 v1, 0, v1
	v_add_f32_e32 v2, v2, v6
	v_mul_f32_e32 v59, v16, v34
	v_mul_f32_e32 v34, v17, v34
	s_waitcnt vmcnt(7)
	v_fma_f32 v8, v14, v45, -v33
	v_add_f32_e32 v1, v1, v53
	v_add_f32_e32 v2, v2, v7
	v_fmac_f32_e32 v55, v9, v42
	s_waitcnt vmcnt(6)
	v_fma_f32 v9, v16, v46, -v34
	v_add_f32_e32 v1, v1, v54
	v_add_f32_e32 v2, v2, v8
	s_waitcnt lgkmcnt(1)
	v_mul_f32_e32 v3, v19, v35
	v_fmac_f32_e32 v56, v11, v43
	v_add_f32_e32 v1, v1, v55
	v_add_f32_e32 v2, v2, v9
	s_waitcnt vmcnt(5)
	v_fma_f32 v3, v18, v47, -v3
	v_fmac_f32_e32 v57, v13, v44
	v_add_f32_e32 v1, v1, v56
	v_add_f32_e32 v2, v2, v3
	v_mul_f32_e32 v3, v21, v36
	v_fmac_f32_e32 v58, v15, v45
	v_add_f32_e32 v1, v1, v57
	s_waitcnt vmcnt(4)
	v_fma_f32 v3, v20, v48, -v3
	v_mul_f32_e32 v60, v18, v35
	v_fmac_f32_e32 v59, v17, v46
	v_add_f32_e32 v1, v1, v58
	v_add_f32_e32 v2, v2, v3
	s_waitcnt lgkmcnt(0)
	v_mul_f32_e32 v3, v27, v37
	v_mul_f32_e32 v61, v20, v36
	v_fmac_f32_e32 v60, v19, v47
	v_add_f32_e32 v1, v1, v59
	s_waitcnt vmcnt(3)
	v_fma_f32 v3, v26, v49, -v3
	v_mul_f32_e32 v62, v26, v37
	v_fmac_f32_e32 v61, v21, v48
	v_add_f32_e32 v1, v1, v60
	v_add_f32_e32 v2, v2, v3
	v_mul_f32_e32 v3, v29, v38
	v_mul_f32_e32 v63, v28, v38
	v_fmac_f32_e32 v62, v27, v49
	v_add_f32_e32 v1, v1, v61
	s_waitcnt vmcnt(2)
	v_fma_f32 v3, v28, v50, -v3
	v_fmac_f32_e32 v63, v29, v50
	v_add_f32_e32 v1, v1, v62
	v_add_f32_e32 v2, v2, v3
	;; [unrolled: 1-line block ×3, first 2 shown]
	s_waitcnt vmcnt(1)
	v_sub_f32_e32 v2, v51, v2
	s_waitcnt vmcnt(0)
	v_sub_f32_e32 v1, v52, v1
	buffer_store_dword v2, off, s[0:3], 0 offset:400
	buffer_store_dword v1, off, s[0:3], 0 offset:404
	s_and_saveexec_b64 s[4:5], vcc
	s_cbranch_execz .LBB62_293
; %bb.292:
	buffer_load_dword v1, off, s[0:3], 0 offset:392
	buffer_load_dword v2, off, s[0:3], 0 offset:396
	v_mov_b32_e32 v3, 0
	buffer_store_dword v3, off, s[0:3], 0 offset:392
	buffer_store_dword v3, off, s[0:3], 0 offset:396
	s_waitcnt vmcnt(2)
	ds_write_b64 v25, v[1:2]
.LBB62_293:
	s_or_b64 exec, exec, s[4:5]
	s_waitcnt lgkmcnt(0)
	; wave barrier
	buffer_load_dword v24, off, s[0:3], 0 offset:404
	buffer_load_dword v30, off, s[0:3], 0 offset:412
	;; [unrolled: 1-line block ×28, first 2 shown]
	v_mov_b32_e32 v1, 0
	ds_read_b128 v[2:5], v1 offset:912
	ds_read_b128 v[6:9], v1 offset:928
	ds_read_b128 v[10:13], v1 offset:944
	ds_read_b128 v[14:17], v1 offset:960
	ds_read_b128 v[18:21], v1 offset:976
	ds_read_b128 v[26:29], v1 offset:992
	ds_read_b64 v[22:23], v1 offset:1008
	v_cmp_lt_u32_e32 vcc, 48, v0
	s_waitcnt vmcnt(27) lgkmcnt(6)
	v_mul_f32_e32 v57, v2, v24
	v_mul_f32_e32 v24, v3, v24
	s_waitcnt vmcnt(26)
	v_mul_f32_e32 v58, v4, v30
	v_mul_f32_e32 v30, v5, v30
	s_waitcnt vmcnt(25) lgkmcnt(5)
	v_mul_f32_e32 v59, v6, v31
	v_mul_f32_e32 v31, v7, v31
	s_waitcnt vmcnt(24)
	v_mul_f32_e32 v60, v8, v32
	v_mul_f32_e32 v32, v9, v32
	;; [unrolled: 6-line block ×3, first 2 shown]
	s_waitcnt vmcnt(21) lgkmcnt(3)
	v_mul_f32_e32 v63, v14, v35
	s_waitcnt vmcnt(14)
	v_fma_f32 v2, v2, v42, -v24
	v_fmac_f32_e32 v57, v3, v42
	s_waitcnt vmcnt(13)
	v_fma_f32 v3, v4, v43, -v30
	v_add_f32_e32 v2, 0, v2
	s_waitcnt vmcnt(12)
	v_fma_f32 v4, v6, v44, -v31
	v_add_f32_e32 v2, v2, v3
	v_fmac_f32_e32 v58, v5, v43
	s_waitcnt vmcnt(11)
	v_fma_f32 v5, v8, v45, -v32
	v_add_f32_e32 v2, v2, v4
	s_waitcnt vmcnt(10)
	v_fma_f32 v6, v10, v46, -v33
	v_add_f32_e32 v2, v2, v5
	v_fmac_f32_e32 v59, v7, v44
	s_waitcnt vmcnt(9)
	v_fma_f32 v7, v12, v47, -v34
	v_add_f32_e32 v2, v2, v6
	v_mul_f32_e32 v4, v15, v35
	v_add_f32_e32 v2, v2, v7
	s_waitcnt vmcnt(8)
	v_fma_f32 v4, v14, v48, -v4
	v_add_f32_e32 v2, v2, v4
	v_mul_f32_e32 v4, v17, v36
	v_add_f32_e32 v8, 0, v57
	s_waitcnt vmcnt(7)
	v_fma_f32 v4, v16, v49, -v4
	v_add_f32_e32 v8, v8, v58
	v_add_f32_e32 v2, v2, v4
	s_waitcnt lgkmcnt(2)
	v_mul_f32_e32 v4, v19, v37
	v_fmac_f32_e32 v60, v9, v45
	v_add_f32_e32 v3, v8, v59
	s_waitcnt vmcnt(6)
	v_fma_f32 v4, v18, v50, -v4
	v_fmac_f32_e32 v61, v11, v46
	v_add_f32_e32 v3, v3, v60
	v_add_f32_e32 v2, v2, v4
	v_mul_f32_e32 v4, v21, v38
	v_fmac_f32_e32 v62, v13, v47
	v_add_f32_e32 v3, v3, v61
	s_waitcnt vmcnt(5)
	v_fma_f32 v4, v20, v51, -v4
	v_mul_f32_e32 v64, v16, v36
	v_fmac_f32_e32 v63, v15, v48
	v_add_f32_e32 v3, v3, v62
	v_add_f32_e32 v2, v2, v4
	s_waitcnt lgkmcnt(1)
	v_mul_f32_e32 v4, v27, v39
	v_mul_f32_e32 v65, v18, v37
	v_fmac_f32_e32 v64, v17, v49
	v_add_f32_e32 v3, v3, v63
	s_waitcnt vmcnt(4)
	v_fma_f32 v4, v26, v52, -v4
	v_mul_f32_e32 v66, v20, v38
	v_fmac_f32_e32 v65, v19, v50
	v_add_f32_e32 v3, v3, v64
	v_add_f32_e32 v2, v2, v4
	v_mul_f32_e32 v4, v29, v40
	v_mul_f32_e32 v67, v26, v39
	v_fmac_f32_e32 v66, v21, v51
	v_add_f32_e32 v3, v3, v65
	s_waitcnt vmcnt(3)
	v_fma_f32 v4, v28, v53, -v4
	v_mul_f32_e32 v68, v28, v40
	v_fmac_f32_e32 v67, v27, v52
	v_add_f32_e32 v3, v3, v66
	v_add_f32_e32 v2, v2, v4
	s_waitcnt lgkmcnt(0)
	v_mul_f32_e32 v4, v23, v41
	v_mul_f32_e32 v69, v22, v41
	v_fmac_f32_e32 v68, v29, v53
	v_add_f32_e32 v3, v3, v67
	s_waitcnt vmcnt(2)
	v_fma_f32 v4, v22, v54, -v4
	v_fmac_f32_e32 v69, v23, v54
	v_add_f32_e32 v3, v3, v68
	v_add_f32_e32 v2, v2, v4
	;; [unrolled: 1-line block ×3, first 2 shown]
	s_waitcnt vmcnt(1)
	v_sub_f32_e32 v2, v55, v2
	s_waitcnt vmcnt(0)
	v_sub_f32_e32 v3, v56, v3
	buffer_store_dword v2, off, s[0:3], 0 offset:392
	buffer_store_dword v3, off, s[0:3], 0 offset:396
	s_and_saveexec_b64 s[4:5], vcc
	s_cbranch_execz .LBB62_295
; %bb.294:
	buffer_load_dword v2, off, s[0:3], 0 offset:384
	buffer_load_dword v3, off, s[0:3], 0 offset:388
	s_waitcnt vmcnt(0)
	ds_write_b64 v25, v[2:3]
	buffer_store_dword v1, off, s[0:3], 0 offset:384
	buffer_store_dword v1, off, s[0:3], 0 offset:388
.LBB62_295:
	s_or_b64 exec, exec, s[4:5]
	s_waitcnt lgkmcnt(0)
	; wave barrier
	buffer_load_dword v22, off, s[0:3], 0 offset:396
	buffer_load_dword v23, off, s[0:3], 0 offset:404
	;; [unrolled: 1-line block ×30, first 2 shown]
	ds_read2_b64 v[2:5], v1 offset0:113 offset1:114
	ds_read2_b64 v[6:9], v1 offset0:115 offset1:116
	ds_read2_b64 v[10:13], v1 offset0:117 offset1:118
	ds_read2_b64 v[14:17], v1 offset0:119 offset1:120
	ds_read2_b64 v[18:21], v1 offset0:121 offset1:122
	ds_read2_b64 v[26:29], v1 offset0:123 offset1:124
	ds_read2_b64 v[30:33], v1 offset0:125 offset1:126
	v_cmp_lt_u32_e32 vcc, 47, v0
	s_waitcnt vmcnt(29) lgkmcnt(6)
	v_mul_f32_e32 v1, v2, v22
	v_mul_f32_e32 v22, v3, v22
	s_waitcnt vmcnt(28)
	v_mul_f32_e32 v61, v4, v23
	v_mul_f32_e32 v23, v5, v23
	s_waitcnt vmcnt(27) lgkmcnt(5)
	v_mul_f32_e32 v62, v6, v24
	v_mul_f32_e32 v24, v7, v24
	s_waitcnt vmcnt(26)
	v_mul_f32_e32 v63, v8, v34
	v_mul_f32_e32 v34, v9, v34
	s_waitcnt vmcnt(25) lgkmcnt(4)
	v_mul_f32_e32 v64, v10, v35
	v_mul_f32_e32 v35, v11, v35
	s_waitcnt vmcnt(24)
	v_mul_f32_e32 v65, v12, v36
	s_waitcnt vmcnt(23) lgkmcnt(3)
	v_mul_f32_e32 v66, v14, v37
	s_waitcnt vmcnt(22)
	v_mul_f32_e32 v67, v16, v38
	s_waitcnt vmcnt(21) lgkmcnt(2)
	v_mul_f32_e32 v68, v18, v39
	s_waitcnt vmcnt(15)
	v_fma_f32 v2, v2, v45, -v22
	v_fmac_f32_e32 v1, v3, v45
	s_waitcnt vmcnt(14)
	v_fma_f32 v3, v4, v46, -v23
	v_add_f32_e32 v2, 0, v2
	s_waitcnt vmcnt(13)
	v_fma_f32 v4, v6, v47, -v24
	v_add_f32_e32 v2, v2, v3
	v_fmac_f32_e32 v61, v5, v46
	s_waitcnt vmcnt(12)
	v_fma_f32 v5, v8, v48, -v34
	v_add_f32_e32 v2, v2, v4
	s_waitcnt vmcnt(11)
	v_fma_f32 v6, v10, v49, -v35
	v_add_f32_e32 v2, v2, v5
	v_mul_f32_e32 v3, v13, v36
	v_add_f32_e32 v2, v2, v6
	s_waitcnt vmcnt(10)
	v_fma_f32 v3, v12, v50, -v3
	v_add_f32_e32 v2, v2, v3
	v_mul_f32_e32 v3, v15, v37
	s_waitcnt vmcnt(9)
	v_fma_f32 v3, v14, v51, -v3
	v_add_f32_e32 v2, v2, v3
	v_mul_f32_e32 v3, v17, v38
	s_waitcnt vmcnt(8)
	v_fma_f32 v3, v16, v52, -v3
	v_add_f32_e32 v1, 0, v1
	v_add_f32_e32 v2, v2, v3
	v_mul_f32_e32 v3, v19, v39
	v_fmac_f32_e32 v62, v7, v47
	v_add_f32_e32 v1, v1, v61
	s_waitcnt vmcnt(7)
	v_fma_f32 v3, v18, v53, -v3
	v_fmac_f32_e32 v63, v9, v48
	v_add_f32_e32 v1, v1, v62
	v_add_f32_e32 v2, v2, v3
	v_mul_f32_e32 v3, v21, v40
	v_fmac_f32_e32 v64, v11, v49
	v_add_f32_e32 v1, v1, v63
	s_waitcnt vmcnt(6)
	v_fma_f32 v3, v20, v54, -v3
	v_fmac_f32_e32 v65, v13, v50
	v_add_f32_e32 v1, v1, v64
	v_add_f32_e32 v2, v2, v3
	s_waitcnt lgkmcnt(1)
	v_mul_f32_e32 v3, v27, v41
	v_fmac_f32_e32 v66, v15, v51
	v_add_f32_e32 v1, v1, v65
	s_waitcnt vmcnt(5)
	v_fma_f32 v3, v26, v55, -v3
	v_fmac_f32_e32 v67, v17, v52
	v_add_f32_e32 v1, v1, v66
	v_add_f32_e32 v2, v2, v3
	v_mul_f32_e32 v3, v29, v42
	v_mul_f32_e32 v69, v20, v40
	v_fmac_f32_e32 v68, v19, v53
	v_add_f32_e32 v1, v1, v67
	s_waitcnt vmcnt(4)
	v_fma_f32 v3, v28, v56, -v3
	v_mul_f32_e32 v70, v26, v41
	v_fmac_f32_e32 v69, v21, v54
	v_add_f32_e32 v1, v1, v68
	v_add_f32_e32 v2, v2, v3
	s_waitcnt lgkmcnt(0)
	v_mul_f32_e32 v3, v31, v43
	v_mul_f32_e32 v71, v28, v42
	v_fmac_f32_e32 v70, v27, v55
	v_add_f32_e32 v1, v1, v69
	s_waitcnt vmcnt(3)
	v_fma_f32 v3, v30, v57, -v3
	v_mul_f32_e32 v72, v30, v43
	v_fmac_f32_e32 v71, v29, v56
	v_add_f32_e32 v1, v1, v70
	v_add_f32_e32 v2, v2, v3
	v_mul_f32_e32 v3, v33, v44
	v_mul_f32_e32 v73, v32, v44
	v_fmac_f32_e32 v72, v31, v57
	v_add_f32_e32 v1, v1, v71
	s_waitcnt vmcnt(2)
	v_fma_f32 v3, v32, v58, -v3
	v_fmac_f32_e32 v73, v33, v58
	v_add_f32_e32 v1, v1, v72
	v_add_f32_e32 v2, v2, v3
	;; [unrolled: 1-line block ×3, first 2 shown]
	s_waitcnt vmcnt(1)
	v_sub_f32_e32 v2, v59, v2
	s_waitcnt vmcnt(0)
	v_sub_f32_e32 v1, v60, v1
	buffer_store_dword v2, off, s[0:3], 0 offset:384
	buffer_store_dword v1, off, s[0:3], 0 offset:388
	s_and_saveexec_b64 s[4:5], vcc
	s_cbranch_execz .LBB62_297
; %bb.296:
	buffer_load_dword v1, off, s[0:3], 0 offset:376
	buffer_load_dword v2, off, s[0:3], 0 offset:380
	v_mov_b32_e32 v3, 0
	buffer_store_dword v3, off, s[0:3], 0 offset:376
	buffer_store_dword v3, off, s[0:3], 0 offset:380
	s_waitcnt vmcnt(2)
	ds_write_b64 v25, v[1:2]
.LBB62_297:
	s_or_b64 exec, exec, s[4:5]
	s_waitcnt lgkmcnt(0)
	; wave barrier
	buffer_load_dword v24, off, s[0:3], 0 offset:388
	buffer_load_dword v34, off, s[0:3], 0 offset:396
	;; [unrolled: 1-line block ×32, first 2 shown]
	v_mov_b32_e32 v1, 0
	ds_read_b128 v[2:5], v1 offset:896
	ds_read_b128 v[6:9], v1 offset:912
	;; [unrolled: 1-line block ×7, first 2 shown]
	ds_read_b64 v[22:23], v1 offset:1008
	v_cmp_lt_u32_e32 vcc, 46, v0
	s_waitcnt vmcnt(31) lgkmcnt(7)
	v_mul_f32_e32 v65, v2, v24
	v_mul_f32_e32 v24, v3, v24
	s_waitcnt vmcnt(30)
	v_mul_f32_e32 v66, v4, v34
	v_mul_f32_e32 v34, v5, v34
	s_waitcnt vmcnt(29) lgkmcnt(6)
	v_mul_f32_e32 v67, v6, v35
	v_mul_f32_e32 v35, v7, v35
	s_waitcnt vmcnt(28)
	v_mul_f32_e32 v68, v8, v36
	s_waitcnt vmcnt(27) lgkmcnt(5)
	v_mul_f32_e32 v69, v10, v37
	s_waitcnt vmcnt(26)
	v_mul_f32_e32 v70, v12, v38
	s_waitcnt vmcnt(25) lgkmcnt(4)
	;; [unrolled: 4-line block ×4, first 2 shown]
	v_mul_f32_e32 v75, v26, v43
	s_waitcnt vmcnt(20)
	v_mul_f32_e32 v76, v28, v44
	s_waitcnt vmcnt(16)
	v_fma_f32 v2, v2, v48, -v24
	v_fmac_f32_e32 v65, v3, v48
	s_waitcnt vmcnt(15)
	v_fma_f32 v3, v4, v49, -v34
	v_add_f32_e32 v2, 0, v2
	s_waitcnt vmcnt(14)
	v_fma_f32 v4, v6, v50, -v35
	v_add_f32_e32 v2, v2, v3
	v_add_f32_e32 v2, v2, v4
	v_mul_f32_e32 v4, v9, v36
	s_waitcnt vmcnt(13)
	v_fma_f32 v4, v8, v51, -v4
	v_add_f32_e32 v2, v2, v4
	v_mul_f32_e32 v4, v11, v37
	s_waitcnt vmcnt(12)
	v_fma_f32 v4, v10, v52, -v4
	;; [unrolled: 4-line block ×5, first 2 shown]
	v_add_f32_e32 v2, v2, v4
	v_mul_f32_e32 v4, v19, v41
	v_fmac_f32_e32 v66, v5, v49
	v_add_f32_e32 v5, 0, v65
	s_waitcnt vmcnt(8)
	v_fma_f32 v4, v18, v56, -v4
	v_fmac_f32_e32 v67, v7, v50
	v_add_f32_e32 v5, v5, v66
	v_add_f32_e32 v2, v2, v4
	v_mul_f32_e32 v4, v21, v42
	v_fmac_f32_e32 v68, v9, v51
	v_add_f32_e32 v3, v5, v67
	s_waitcnt vmcnt(7)
	v_fma_f32 v4, v20, v57, -v4
	v_fmac_f32_e32 v69, v11, v52
	v_add_f32_e32 v3, v3, v68
	;; [unrolled: 8-line block ×4, first 2 shown]
	v_add_f32_e32 v2, v2, v4
	s_waitcnt lgkmcnt(1)
	v_mul_f32_e32 v4, v31, v45
	v_fmac_f32_e32 v74, v21, v57
	v_add_f32_e32 v3, v3, v73
	s_waitcnt vmcnt(4)
	v_fma_f32 v4, v30, v60, -v4
	v_fmac_f32_e32 v75, v27, v58
	v_add_f32_e32 v3, v3, v74
	v_add_f32_e32 v2, v2, v4
	v_mul_f32_e32 v4, v33, v46
	v_mul_f32_e32 v77, v30, v45
	v_fmac_f32_e32 v76, v29, v59
	v_add_f32_e32 v3, v3, v75
	s_waitcnt vmcnt(3)
	v_fma_f32 v4, v32, v61, -v4
	v_mul_f32_e32 v78, v32, v46
	v_fmac_f32_e32 v77, v31, v60
	v_add_f32_e32 v3, v3, v76
	v_add_f32_e32 v2, v2, v4
	s_waitcnt lgkmcnt(0)
	v_mul_f32_e32 v4, v23, v47
	v_mul_f32_e32 v79, v22, v47
	v_fmac_f32_e32 v78, v33, v61
	v_add_f32_e32 v3, v3, v77
	s_waitcnt vmcnt(2)
	v_fma_f32 v4, v22, v62, -v4
	v_fmac_f32_e32 v79, v23, v62
	v_add_f32_e32 v3, v3, v78
	v_add_f32_e32 v2, v2, v4
	;; [unrolled: 1-line block ×3, first 2 shown]
	s_waitcnt vmcnt(1)
	v_sub_f32_e32 v2, v63, v2
	s_waitcnt vmcnt(0)
	v_sub_f32_e32 v3, v64, v3
	buffer_store_dword v2, off, s[0:3], 0 offset:376
	buffer_store_dword v3, off, s[0:3], 0 offset:380
	s_and_saveexec_b64 s[4:5], vcc
	s_cbranch_execz .LBB62_299
; %bb.298:
	buffer_load_dword v2, off, s[0:3], 0 offset:368
	buffer_load_dword v3, off, s[0:3], 0 offset:372
	s_waitcnt vmcnt(0)
	ds_write_b64 v25, v[2:3]
	buffer_store_dword v1, off, s[0:3], 0 offset:368
	buffer_store_dword v1, off, s[0:3], 0 offset:372
.LBB62_299:
	s_or_b64 exec, exec, s[4:5]
	s_waitcnt lgkmcnt(0)
	; wave barrier
	buffer_load_dword v22, off, s[0:3], 0 offset:380
	buffer_load_dword v23, off, s[0:3], 0 offset:388
	;; [unrolled: 1-line block ×34, first 2 shown]
	ds_read2_b64 v[2:5], v1 offset0:111 offset1:112
	ds_read2_b64 v[6:9], v1 offset0:113 offset1:114
	;; [unrolled: 1-line block ×8, first 2 shown]
	v_cmp_lt_u32_e32 vcc, 45, v0
	s_waitcnt vmcnt(33) lgkmcnt(7)
	v_mul_f32_e32 v1, v2, v22
	v_mul_f32_e32 v22, v3, v22
	s_waitcnt vmcnt(32)
	v_mul_f32_e32 v69, v4, v23
	v_mul_f32_e32 v23, v5, v23
	s_waitcnt vmcnt(31) lgkmcnt(6)
	v_mul_f32_e32 v70, v6, v24
	s_waitcnt vmcnt(30)
	v_mul_f32_e32 v71, v8, v38
	s_waitcnt vmcnt(29) lgkmcnt(5)
	v_mul_f32_e32 v72, v10, v39
	s_waitcnt vmcnt(28)
	v_mul_f32_e32 v73, v12, v40
	s_waitcnt vmcnt(27) lgkmcnt(4)
	v_mul_f32_e32 v74, v14, v41
	s_waitcnt vmcnt(26)
	v_mul_f32_e32 v75, v16, v42
	s_waitcnt vmcnt(25) lgkmcnt(3)
	v_mul_f32_e32 v76, v18, v43
	s_waitcnt vmcnt(24)
	v_mul_f32_e32 v77, v20, v44
	s_waitcnt vmcnt(23) lgkmcnt(2)
	v_mul_f32_e32 v78, v26, v45
	s_waitcnt vmcnt(22)
	v_mul_f32_e32 v79, v28, v46
	s_waitcnt vmcnt(21) lgkmcnt(1)
	v_mul_f32_e32 v80, v30, v47
	s_waitcnt vmcnt(20)
	v_mul_f32_e32 v81, v32, v48
	s_waitcnt vmcnt(17)
	v_fma_f32 v2, v2, v51, -v22
	v_fmac_f32_e32 v1, v3, v51
	s_waitcnt vmcnt(16)
	v_fma_f32 v3, v4, v52, -v23
	v_add_f32_e32 v2, 0, v2
	v_add_f32_e32 v2, v2, v3
	v_mul_f32_e32 v3, v7, v24
	s_waitcnt vmcnt(15)
	v_fma_f32 v3, v6, v53, -v3
	v_add_f32_e32 v2, v2, v3
	v_mul_f32_e32 v3, v9, v38
	s_waitcnt vmcnt(14)
	v_fma_f32 v3, v8, v54, -v3
	v_add_f32_e32 v2, v2, v3
	v_mul_f32_e32 v3, v11, v39
	s_waitcnt vmcnt(13)
	v_fma_f32 v3, v10, v55, -v3
	v_add_f32_e32 v2, v2, v3
	v_mul_f32_e32 v3, v13, v40
	s_waitcnt vmcnt(12)
	v_fma_f32 v3, v12, v56, -v3
	v_add_f32_e32 v2, v2, v3
	v_mul_f32_e32 v3, v15, v41
	s_waitcnt vmcnt(11)
	v_fma_f32 v3, v14, v57, -v3
	v_add_f32_e32 v2, v2, v3
	v_mul_f32_e32 v3, v17, v42
	s_waitcnt vmcnt(10)
	v_fma_f32 v3, v16, v58, -v3
	v_add_f32_e32 v2, v2, v3
	v_mul_f32_e32 v3, v19, v43
	s_waitcnt vmcnt(9)
	v_fma_f32 v3, v18, v59, -v3
	v_fmac_f32_e32 v69, v5, v52
	v_add_f32_e32 v1, 0, v1
	v_add_f32_e32 v2, v2, v3
	v_mul_f32_e32 v3, v21, v44
	v_fmac_f32_e32 v70, v7, v53
	v_add_f32_e32 v1, v1, v69
	s_waitcnt vmcnt(8)
	v_fma_f32 v3, v20, v60, -v3
	v_fmac_f32_e32 v71, v9, v54
	v_add_f32_e32 v1, v1, v70
	v_add_f32_e32 v2, v2, v3
	v_mul_f32_e32 v3, v27, v45
	v_fmac_f32_e32 v72, v11, v55
	v_add_f32_e32 v1, v1, v71
	s_waitcnt vmcnt(7)
	v_fma_f32 v3, v26, v61, -v3
	;; [unrolled: 8-line block ×5, first 2 shown]
	v_fmac_f32_e32 v79, v29, v62
	v_add_f32_e32 v1, v1, v78
	v_add_f32_e32 v2, v2, v3
	s_waitcnt lgkmcnt(0)
	v_mul_f32_e32 v3, v35, v49
	v_fmac_f32_e32 v80, v31, v63
	v_add_f32_e32 v1, v1, v79
	s_waitcnt vmcnt(3)
	v_fma_f32 v3, v34, v65, -v3
	v_mul_f32_e32 v82, v34, v49
	v_fmac_f32_e32 v81, v33, v64
	v_add_f32_e32 v1, v1, v80
	v_add_f32_e32 v2, v2, v3
	v_mul_f32_e32 v3, v37, v50
	v_mul_f32_e32 v83, v36, v50
	v_fmac_f32_e32 v82, v35, v65
	v_add_f32_e32 v1, v1, v81
	s_waitcnt vmcnt(2)
	v_fma_f32 v3, v36, v66, -v3
	v_fmac_f32_e32 v83, v37, v66
	v_add_f32_e32 v1, v1, v82
	v_add_f32_e32 v2, v2, v3
	;; [unrolled: 1-line block ×3, first 2 shown]
	s_waitcnt vmcnt(1)
	v_sub_f32_e32 v2, v67, v2
	s_waitcnt vmcnt(0)
	v_sub_f32_e32 v1, v68, v1
	buffer_store_dword v2, off, s[0:3], 0 offset:368
	buffer_store_dword v1, off, s[0:3], 0 offset:372
	s_and_saveexec_b64 s[4:5], vcc
	s_cbranch_execz .LBB62_301
; %bb.300:
	buffer_load_dword v1, off, s[0:3], 0 offset:360
	buffer_load_dword v2, off, s[0:3], 0 offset:364
	v_mov_b32_e32 v3, 0
	buffer_store_dword v3, off, s[0:3], 0 offset:360
	buffer_store_dword v3, off, s[0:3], 0 offset:364
	s_waitcnt vmcnt(2)
	ds_write_b64 v25, v[1:2]
.LBB62_301:
	s_or_b64 exec, exec, s[4:5]
	s_waitcnt lgkmcnt(0)
	; wave barrier
	buffer_load_dword v24, off, s[0:3], 0 offset:372
	buffer_load_dword v38, off, s[0:3], 0 offset:380
	;; [unrolled: 1-line block ×36, first 2 shown]
	v_mov_b32_e32 v1, 0
	ds_read_b128 v[2:5], v1 offset:880
	ds_read_b128 v[6:9], v1 offset:896
	;; [unrolled: 1-line block ×8, first 2 shown]
	ds_read_b64 v[22:23], v1 offset:1008
	v_cmp_lt_u32_e32 vcc, 44, v0
	s_waitcnt vmcnt(35) lgkmcnt(8)
	v_mul_f32_e32 v73, v2, v24
	s_waitcnt vmcnt(34)
	v_mul_f32_e32 v74, v4, v38
	s_waitcnt vmcnt(33) lgkmcnt(7)
	v_mul_f32_e32 v75, v6, v39
	s_waitcnt vmcnt(32)
	v_mul_f32_e32 v76, v8, v40
	;; [unrolled: 4-line block ×8, first 2 shown]
	s_waitcnt vmcnt(19) lgkmcnt(0)
	v_mul_f32_e32 v89, v22, v53
	s_waitcnt vmcnt(18)
	v_fmac_f32_e32 v73, v3, v54
	v_mul_f32_e32 v3, v3, v24
	v_fma_f32 v2, v2, v54, -v3
	v_mul_f32_e32 v3, v5, v38
	v_add_f32_e32 v2, 0, v2
	s_waitcnt vmcnt(17)
	v_fma_f32 v3, v4, v55, -v3
	v_add_f32_e32 v2, v2, v3
	v_mul_f32_e32 v3, v7, v39
	s_waitcnt vmcnt(16)
	v_fma_f32 v3, v6, v56, -v3
	v_add_f32_e32 v2, v2, v3
	v_mul_f32_e32 v3, v9, v40
	;; [unrolled: 4-line block ×8, first 2 shown]
	v_fmac_f32_e32 v74, v5, v55
	v_add_f32_e32 v73, 0, v73
	s_waitcnt vmcnt(9)
	v_fma_f32 v3, v20, v63, -v3
	v_fmac_f32_e32 v75, v7, v56
	v_add_f32_e32 v73, v73, v74
	v_add_f32_e32 v2, v2, v3
	v_mul_f32_e32 v3, v27, v47
	v_fmac_f32_e32 v76, v9, v57
	v_add_f32_e32 v73, v73, v75
	s_waitcnt vmcnt(8)
	v_fma_f32 v3, v26, v64, -v3
	v_fmac_f32_e32 v77, v11, v58
	v_add_f32_e32 v73, v73, v76
	v_add_f32_e32 v2, v2, v3
	v_mul_f32_e32 v3, v29, v48
	;; [unrolled: 8-line block ×7, first 2 shown]
	v_fmac_f32_e32 v88, v37, v69
	v_add_f32_e32 v73, v73, v87
	s_waitcnt vmcnt(2)
	v_fma_f32 v3, v22, v70, -v3
	v_fmac_f32_e32 v89, v23, v70
	v_add_f32_e32 v73, v73, v88
	v_add_f32_e32 v2, v2, v3
	;; [unrolled: 1-line block ×3, first 2 shown]
	s_waitcnt vmcnt(1)
	v_sub_f32_e32 v2, v71, v2
	s_waitcnt vmcnt(0)
	v_sub_f32_e32 v3, v72, v73
	buffer_store_dword v2, off, s[0:3], 0 offset:360
	buffer_store_dword v3, off, s[0:3], 0 offset:364
	s_and_saveexec_b64 s[4:5], vcc
	s_cbranch_execz .LBB62_303
; %bb.302:
	buffer_load_dword v2, off, s[0:3], 0 offset:352
	buffer_load_dword v3, off, s[0:3], 0 offset:356
	s_waitcnt vmcnt(0)
	ds_write_b64 v25, v[2:3]
	buffer_store_dword v1, off, s[0:3], 0 offset:352
	buffer_store_dword v1, off, s[0:3], 0 offset:356
.LBB62_303:
	s_or_b64 exec, exec, s[4:5]
	s_waitcnt lgkmcnt(0)
	; wave barrier
	buffer_load_dword v22, off, s[0:3], 0 offset:364
	buffer_load_dword v23, off, s[0:3], 0 offset:372
	;; [unrolled: 1-line block ×38, first 2 shown]
	ds_read2_b64 v[2:5], v1 offset0:109 offset1:110
	ds_read2_b64 v[6:9], v1 offset0:111 offset1:112
	;; [unrolled: 1-line block ×9, first 2 shown]
	v_cmp_lt_u32_e32 vcc, 43, v0
	s_waitcnt vmcnt(37) lgkmcnt(8)
	v_mul_f32_e32 v1, v2, v22
	s_waitcnt vmcnt(36)
	v_mul_f32_e32 v77, v4, v23
	s_waitcnt vmcnt(35) lgkmcnt(7)
	v_mul_f32_e32 v78, v6, v24
	s_waitcnt vmcnt(34)
	v_mul_f32_e32 v79, v8, v42
	s_waitcnt vmcnt(33) lgkmcnt(6)
	v_mul_f32_e32 v80, v10, v43
	s_waitcnt vmcnt(32)
	v_mul_f32_e32 v81, v12, v44
	s_waitcnt vmcnt(31) lgkmcnt(5)
	v_mul_f32_e32 v82, v14, v45
	s_waitcnt vmcnt(30)
	v_mul_f32_e32 v83, v16, v46
	s_waitcnt vmcnt(29) lgkmcnt(4)
	v_mul_f32_e32 v84, v18, v47
	s_waitcnt vmcnt(28)
	v_mul_f32_e32 v85, v20, v48
	s_waitcnt vmcnt(27) lgkmcnt(3)
	v_mul_f32_e32 v86, v26, v49
	s_waitcnt vmcnt(26)
	v_mul_f32_e32 v87, v28, v50
	s_waitcnt vmcnt(25) lgkmcnt(2)
	v_mul_f32_e32 v88, v30, v51
	s_waitcnt vmcnt(24)
	v_mul_f32_e32 v89, v32, v52
	s_waitcnt vmcnt(23) lgkmcnt(1)
	v_mul_f32_e32 v90, v34, v53
	s_waitcnt vmcnt(22)
	v_mul_f32_e32 v91, v36, v54
	s_waitcnt vmcnt(21) lgkmcnt(0)
	v_mul_f32_e32 v92, v38, v55
	s_waitcnt vmcnt(20)
	v_fmac_f32_e32 v1, v3, v56
	v_mul_f32_e32 v3, v3, v22
	v_fma_f32 v2, v2, v56, -v3
	v_mul_f32_e32 v3, v5, v23
	v_add_f32_e32 v2, 0, v2
	s_waitcnt vmcnt(19)
	v_fma_f32 v3, v4, v57, -v3
	v_add_f32_e32 v2, v2, v3
	v_mul_f32_e32 v3, v7, v24
	s_waitcnt vmcnt(18)
	v_fma_f32 v3, v6, v58, -v3
	v_add_f32_e32 v2, v2, v3
	v_mul_f32_e32 v3, v9, v42
	;; [unrolled: 4-line block ×8, first 2 shown]
	s_waitcnt vmcnt(11)
	v_fma_f32 v3, v20, v65, -v3
	v_fmac_f32_e32 v77, v5, v57
	v_add_f32_e32 v1, 0, v1
	v_add_f32_e32 v2, v2, v3
	v_mul_f32_e32 v3, v27, v49
	v_fmac_f32_e32 v78, v7, v58
	v_add_f32_e32 v1, v1, v77
	s_waitcnt vmcnt(10)
	v_fma_f32 v3, v26, v66, -v3
	v_fmac_f32_e32 v79, v9, v59
	v_add_f32_e32 v1, v1, v78
	v_add_f32_e32 v2, v2, v3
	v_mul_f32_e32 v3, v29, v50
	v_fmac_f32_e32 v80, v11, v60
	v_add_f32_e32 v1, v1, v79
	;; [unrolled: 8-line block ×7, first 2 shown]
	s_waitcnt vmcnt(4)
	v_fma_f32 v3, v38, v72, -v3
	v_fmac_f32_e32 v91, v37, v71
	v_add_f32_e32 v1, v1, v90
	v_add_f32_e32 v2, v2, v3
	s_waitcnt vmcnt(3)
	v_mul_f32_e32 v3, v41, v73
	v_add_f32_e32 v1, v1, v91
	v_fmac_f32_e32 v92, v39, v72
	v_mul_f32_e32 v77, v40, v73
	s_waitcnt vmcnt(2)
	v_fma_f32 v3, v40, v74, -v3
	v_add_f32_e32 v1, v1, v92
	v_fmac_f32_e32 v77, v41, v74
	v_add_f32_e32 v2, v2, v3
	v_add_f32_e32 v1, v1, v77
	s_waitcnt vmcnt(1)
	v_sub_f32_e32 v2, v75, v2
	s_waitcnt vmcnt(0)
	v_sub_f32_e32 v1, v76, v1
	buffer_store_dword v2, off, s[0:3], 0 offset:352
	buffer_store_dword v1, off, s[0:3], 0 offset:356
	s_and_saveexec_b64 s[4:5], vcc
	s_cbranch_execz .LBB62_305
; %bb.304:
	buffer_load_dword v1, off, s[0:3], 0 offset:344
	buffer_load_dword v2, off, s[0:3], 0 offset:348
	v_mov_b32_e32 v3, 0
	buffer_store_dword v3, off, s[0:3], 0 offset:344
	buffer_store_dword v3, off, s[0:3], 0 offset:348
	s_waitcnt vmcnt(2)
	ds_write_b64 v25, v[1:2]
.LBB62_305:
	s_or_b64 exec, exec, s[4:5]
	s_waitcnt lgkmcnt(0)
	; wave barrier
	buffer_load_dword v24, off, s[0:3], 0 offset:356
	buffer_load_dword v42, off, s[0:3], 0 offset:364
	;; [unrolled: 1-line block ×40, first 2 shown]
	v_mov_b32_e32 v1, 0
	ds_read_b128 v[2:5], v1 offset:864
	ds_read_b128 v[6:9], v1 offset:880
	;; [unrolled: 1-line block ×9, first 2 shown]
	v_cmp_lt_u32_e32 vcc, 42, v0
	s_waitcnt vmcnt(39) lgkmcnt(8)
	v_mul_f32_e32 v22, v2, v24
	s_waitcnt vmcnt(38)
	v_mul_f32_e32 v23, v4, v42
	s_waitcnt vmcnt(37) lgkmcnt(7)
	v_mul_f32_e32 v81, v6, v43
	s_waitcnt vmcnt(36)
	v_mul_f32_e32 v82, v8, v44
	;; [unrolled: 4-line block ×7, first 2 shown]
	s_waitcnt vmcnt(25) lgkmcnt(1)
	v_mul_f32_e32 v93, v34, v55
	s_waitcnt vmcnt(24)
	v_fmac_f32_e32 v22, v3, v56
	v_mul_f32_e32 v3, v3, v24
	v_fma_f32 v2, v2, v56, -v3
	v_mul_f32_e32 v3, v5, v42
	v_add_f32_e32 v2, 0, v2
	s_waitcnt vmcnt(23)
	v_fma_f32 v3, v4, v57, -v3
	v_add_f32_e32 v2, v2, v3
	v_mul_f32_e32 v3, v7, v43
	s_waitcnt vmcnt(22)
	v_fma_f32 v3, v6, v58, -v3
	v_add_f32_e32 v2, v2, v3
	v_mul_f32_e32 v3, v9, v44
	;; [unrolled: 4-line block ×6, first 2 shown]
	s_waitcnt vmcnt(17)
	v_fma_f32 v3, v16, v63, -v3
	v_fmac_f32_e32 v23, v5, v57
	v_add_f32_e32 v22, 0, v22
	v_add_f32_e32 v2, v2, v3
	v_mul_f32_e32 v3, v19, v49
	v_fmac_f32_e32 v81, v7, v58
	v_add_f32_e32 v22, v22, v23
	s_waitcnt vmcnt(16)
	v_fma_f32 v3, v18, v64, -v3
	v_fmac_f32_e32 v82, v9, v59
	v_add_f32_e32 v22, v22, v81
	v_add_f32_e32 v2, v2, v3
	v_mul_f32_e32 v3, v21, v50
	v_fmac_f32_e32 v83, v11, v60
	v_add_f32_e32 v22, v22, v82
	;; [unrolled: 8-line block ×6, first 2 shown]
	s_waitcnt vmcnt(11)
	v_fma_f32 v3, v32, v69, -v3
	v_fmac_f32_e32 v92, v33, v69
	v_add_f32_e32 v22, v22, v91
	v_add_f32_e32 v2, v2, v3
	v_mul_f32_e32 v3, v35, v55
	s_waitcnt vmcnt(10)
	v_fmac_f32_e32 v93, v35, v70
	v_add_f32_e32 v22, v22, v92
	s_waitcnt vmcnt(9)
	v_mul_f32_e32 v23, v36, v71
	v_fma_f32 v3, v34, v70, -v3
	v_add_f32_e32 v22, v22, v93
	s_waitcnt vmcnt(8)
	v_fmac_f32_e32 v23, v37, v72
	v_add_f32_e32 v2, v2, v3
	v_mul_f32_e32 v3, v37, v71
	v_add_f32_e32 v81, v22, v23
	ds_read_b64 v[22:23], v1 offset:1008
	v_fma_f32 v3, v36, v72, -v3
	v_add_f32_e32 v2, v2, v3
	s_waitcnt vmcnt(7) lgkmcnt(1)
	v_mul_f32_e32 v3, v39, v73
	v_mul_f32_e32 v82, v38, v73
	s_waitcnt vmcnt(6)
	v_fma_f32 v3, v38, v74, -v3
	v_fmac_f32_e32 v82, v39, v74
	v_add_f32_e32 v2, v2, v3
	s_waitcnt vmcnt(5)
	v_mul_f32_e32 v3, v41, v75
	v_add_f32_e32 v81, v81, v82
	v_mul_f32_e32 v82, v40, v75
	s_waitcnt vmcnt(4)
	v_fma_f32 v3, v40, v76, -v3
	v_fmac_f32_e32 v82, v41, v76
	v_add_f32_e32 v2, v2, v3
	s_waitcnt vmcnt(3) lgkmcnt(0)
	v_mul_f32_e32 v3, v23, v77
	v_add_f32_e32 v81, v81, v82
	v_mul_f32_e32 v82, v22, v77
	s_waitcnt vmcnt(2)
	v_fma_f32 v3, v22, v78, -v3
	v_fmac_f32_e32 v82, v23, v78
	v_add_f32_e32 v2, v2, v3
	v_add_f32_e32 v81, v81, v82
	s_waitcnt vmcnt(1)
	v_sub_f32_e32 v2, v79, v2
	s_waitcnt vmcnt(0)
	v_sub_f32_e32 v3, v80, v81
	buffer_store_dword v2, off, s[0:3], 0 offset:344
	buffer_store_dword v3, off, s[0:3], 0 offset:348
	s_and_saveexec_b64 s[4:5], vcc
	s_cbranch_execz .LBB62_307
; %bb.306:
	buffer_load_dword v2, off, s[0:3], 0 offset:336
	buffer_load_dword v3, off, s[0:3], 0 offset:340
	s_waitcnt vmcnt(0)
	ds_write_b64 v25, v[2:3]
	buffer_store_dword v1, off, s[0:3], 0 offset:336
	buffer_store_dword v1, off, s[0:3], 0 offset:340
.LBB62_307:
	s_or_b64 exec, exec, s[4:5]
	s_waitcnt lgkmcnt(0)
	; wave barrier
	buffer_load_dword v22, off, s[0:3], 0 offset:348
	buffer_load_dword v23, off, s[0:3], 0 offset:356
	;; [unrolled: 1-line block ×42, first 2 shown]
	ds_read2_b64 v[2:5], v1 offset0:107 offset1:108
	ds_read2_b64 v[6:9], v1 offset0:109 offset1:110
	;; [unrolled: 1-line block ×8, first 2 shown]
	v_cmp_lt_u32_e32 vcc, 41, v0
	s_waitcnt vmcnt(41) lgkmcnt(7)
	v_mul_f32_e32 v38, v2, v22
	s_waitcnt vmcnt(40)
	v_mul_f32_e32 v39, v4, v23
	s_waitcnt vmcnt(39) lgkmcnt(6)
	v_mul_f32_e32 v40, v6, v24
	s_waitcnt vmcnt(38)
	v_mul_f32_e32 v41, v8, v46
	;; [unrolled: 4-line block ×7, first 2 shown]
	s_waitcnt vmcnt(27) lgkmcnt(0)
	v_mul_f32_e32 v91, v34, v57
	s_waitcnt vmcnt(26)
	v_fmac_f32_e32 v38, v3, v58
	v_mul_f32_e32 v3, v3, v22
	v_fma_f32 v2, v2, v58, -v3
	v_mul_f32_e32 v3, v5, v23
	v_add_f32_e32 v2, 0, v2
	s_waitcnt vmcnt(25)
	v_fma_f32 v3, v4, v59, -v3
	v_add_f32_e32 v2, v2, v3
	v_mul_f32_e32 v3, v7, v24
	s_waitcnt vmcnt(24)
	v_fma_f32 v3, v6, v60, -v3
	v_add_f32_e32 v2, v2, v3
	v_mul_f32_e32 v3, v9, v46
	;; [unrolled: 4-line block ×5, first 2 shown]
	v_fmac_f32_e32 v39, v5, v59
	v_add_f32_e32 v38, 0, v38
	s_waitcnt vmcnt(20)
	v_fma_f32 v3, v14, v64, -v3
	v_fmac_f32_e32 v40, v7, v60
	v_add_f32_e32 v38, v38, v39
	v_add_f32_e32 v2, v2, v3
	v_mul_f32_e32 v3, v17, v50
	v_fmac_f32_e32 v41, v9, v61
	v_add_f32_e32 v38, v38, v40
	s_waitcnt vmcnt(19)
	v_fma_f32 v3, v16, v65, -v3
	v_fmac_f32_e32 v42, v11, v62
	v_add_f32_e32 v38, v38, v41
	v_add_f32_e32 v2, v2, v3
	v_mul_f32_e32 v3, v19, v51
	;; [unrolled: 8-line block ×5, first 2 shown]
	s_waitcnt vmcnt(15)
	v_fmac_f32_e32 v88, v29, v69
	v_add_f32_e32 v38, v38, v87
	v_fma_f32 v3, v28, v69, -v3
	s_waitcnt vmcnt(14)
	v_fmac_f32_e32 v89, v31, v70
	v_add_f32_e32 v38, v38, v88
	v_add_f32_e32 v2, v2, v3
	v_mul_f32_e32 v3, v31, v55
	s_waitcnt vmcnt(13)
	v_fmac_f32_e32 v90, v33, v71
	v_add_f32_e32 v38, v38, v89
	v_fma_f32 v3, v30, v70, -v3
	s_waitcnt vmcnt(12)
	v_fmac_f32_e32 v91, v35, v72
	v_add_f32_e32 v38, v38, v90
	v_add_f32_e32 v2, v2, v3
	v_mul_f32_e32 v3, v33, v56
	v_add_f32_e32 v42, v38, v91
	ds_read2_b64 v[38:41], v1 offset0:123 offset1:124
	v_fma_f32 v3, v32, v71, -v3
	v_add_f32_e32 v2, v2, v3
	v_mul_f32_e32 v3, v35, v57
	s_waitcnt vmcnt(11)
	v_mul_f32_e32 v43, v36, v73
	v_fma_f32 v3, v34, v72, -v3
	s_waitcnt vmcnt(10)
	v_fmac_f32_e32 v43, v37, v74
	v_add_f32_e32 v2, v2, v3
	v_mul_f32_e32 v3, v37, v73
	v_add_f32_e32 v85, v42, v43
	ds_read2_b64 v[42:45], v1 offset0:125 offset1:126
	v_fma_f32 v3, v36, v74, -v3
	v_add_f32_e32 v2, v2, v3
	s_waitcnt vmcnt(9) lgkmcnt(1)
	v_mul_f32_e32 v3, v39, v75
	v_mul_f32_e32 v1, v38, v75
	s_waitcnt vmcnt(8)
	v_fma_f32 v3, v38, v76, -v3
	v_fmac_f32_e32 v1, v39, v76
	v_add_f32_e32 v2, v2, v3
	s_waitcnt vmcnt(7)
	v_mul_f32_e32 v3, v41, v77
	v_add_f32_e32 v1, v85, v1
	v_mul_f32_e32 v85, v40, v77
	s_waitcnt vmcnt(6)
	v_fma_f32 v3, v40, v78, -v3
	v_fmac_f32_e32 v85, v41, v78
	v_add_f32_e32 v2, v2, v3
	s_waitcnt vmcnt(5) lgkmcnt(0)
	v_mul_f32_e32 v3, v43, v79
	v_add_f32_e32 v1, v1, v85
	v_mul_f32_e32 v85, v42, v79
	s_waitcnt vmcnt(4)
	v_fma_f32 v3, v42, v80, -v3
	v_fmac_f32_e32 v85, v43, v80
	v_add_f32_e32 v2, v2, v3
	s_waitcnt vmcnt(3)
	v_mul_f32_e32 v3, v45, v81
	v_add_f32_e32 v1, v1, v85
	v_mul_f32_e32 v85, v44, v81
	s_waitcnt vmcnt(2)
	v_fma_f32 v3, v44, v82, -v3
	v_fmac_f32_e32 v85, v45, v82
	v_add_f32_e32 v2, v2, v3
	v_add_f32_e32 v1, v1, v85
	s_waitcnt vmcnt(1)
	v_sub_f32_e32 v2, v83, v2
	s_waitcnt vmcnt(0)
	v_sub_f32_e32 v1, v84, v1
	buffer_store_dword v2, off, s[0:3], 0 offset:336
	buffer_store_dword v1, off, s[0:3], 0 offset:340
	s_and_saveexec_b64 s[4:5], vcc
	s_cbranch_execz .LBB62_309
; %bb.308:
	buffer_load_dword v1, off, s[0:3], 0 offset:328
	buffer_load_dword v2, off, s[0:3], 0 offset:332
	v_mov_b32_e32 v3, 0
	buffer_store_dword v3, off, s[0:3], 0 offset:328
	buffer_store_dword v3, off, s[0:3], 0 offset:332
	s_waitcnt vmcnt(2)
	ds_write_b64 v25, v[1:2]
.LBB62_309:
	s_or_b64 exec, exec, s[4:5]
	s_waitcnt lgkmcnt(0)
	; wave barrier
	buffer_load_dword v24, off, s[0:3], 0 offset:340
	buffer_load_dword v46, off, s[0:3], 0 offset:348
	;; [unrolled: 1-line block ×44, first 2 shown]
	v_mov_b32_e32 v1, 0
	ds_read_b128 v[2:5], v1 offset:848
	ds_read_b128 v[6:9], v1 offset:864
	;; [unrolled: 1-line block ×8, first 2 shown]
	v_cmp_lt_u32_e32 vcc, 40, v0
	s_waitcnt vmcnt(43) lgkmcnt(7)
	v_mul_f32_e32 v22, v2, v24
	s_waitcnt vmcnt(42)
	v_mul_f32_e32 v23, v4, v46
	s_waitcnt vmcnt(41) lgkmcnt(6)
	v_mul_f32_e32 v38, v6, v47
	s_waitcnt vmcnt(40)
	v_mul_f32_e32 v39, v8, v48
	;; [unrolled: 4-line block ×7, first 2 shown]
	s_waitcnt vmcnt(29)
	v_fmac_f32_e32 v22, v3, v59
	v_mul_f32_e32 v3, v3, v24
	v_fma_f32 v2, v2, v59, -v3
	v_mul_f32_e32 v3, v5, v46
	v_add_f32_e32 v2, 0, v2
	s_waitcnt vmcnt(28)
	v_fma_f32 v3, v4, v60, -v3
	v_add_f32_e32 v2, v2, v3
	v_mul_f32_e32 v3, v7, v47
	s_waitcnt vmcnt(27)
	v_fma_f32 v3, v6, v61, -v3
	v_add_f32_e32 v2, v2, v3
	v_mul_f32_e32 v3, v9, v48
	;; [unrolled: 4-line block ×6, first 2 shown]
	v_fmac_f32_e32 v23, v5, v60
	v_add_f32_e32 v22, 0, v22
	s_waitcnt vmcnt(22)
	v_fma_f32 v3, v16, v66, -v3
	v_fmac_f32_e32 v38, v7, v61
	v_add_f32_e32 v22, v22, v23
	v_add_f32_e32 v2, v2, v3
	v_mul_f32_e32 v3, v19, v53
	v_fmac_f32_e32 v39, v9, v62
	v_add_f32_e32 v22, v22, v38
	s_waitcnt vmcnt(21)
	v_fma_f32 v3, v18, v67, -v3
	v_fmac_f32_e32 v40, v11, v63
	v_add_f32_e32 v22, v22, v39
	v_add_f32_e32 v2, v2, v3
	v_mul_f32_e32 v3, v21, v54
	;; [unrolled: 8-line block ×5, first 2 shown]
	v_fmac_f32_e32 v90, v29, v70
	v_add_f32_e32 v22, v22, v89
	s_waitcnt vmcnt(17)
	v_fma_f32 v3, v30, v71, -v3
	v_fmac_f32_e32 v91, v31, v71
	v_add_f32_e32 v22, v22, v90
	ds_read_b128 v[38:41], v1 offset:976
	ds_read_b128 v[42:45], v1 offset:992
	v_add_f32_e32 v2, v2, v3
	v_mul_f32_e32 v3, v33, v58
	v_add_f32_e32 v22, v22, v91
	s_waitcnt vmcnt(16)
	v_fmac_f32_e32 v92, v33, v72
	s_waitcnt vmcnt(15) lgkmcnt(2)
	v_mul_f32_e32 v23, v34, v73
	v_fma_f32 v3, v32, v72, -v3
	v_add_f32_e32 v22, v22, v92
	s_waitcnt vmcnt(14)
	v_fmac_f32_e32 v23, v35, v74
	v_add_f32_e32 v2, v2, v3
	v_mul_f32_e32 v3, v35, v73
	v_add_f32_e32 v22, v22, v23
	s_waitcnt vmcnt(13)
	v_mul_f32_e32 v23, v36, v75
	v_fma_f32 v3, v34, v74, -v3
	s_waitcnt vmcnt(12)
	v_fmac_f32_e32 v23, v37, v76
	v_add_f32_e32 v2, v2, v3
	v_mul_f32_e32 v3, v37, v75
	v_add_f32_e32 v22, v22, v23
	s_waitcnt vmcnt(11) lgkmcnt(1)
	v_mul_f32_e32 v23, v38, v77
	v_fma_f32 v3, v36, v76, -v3
	s_waitcnt vmcnt(10)
	v_fmac_f32_e32 v23, v39, v78
	v_add_f32_e32 v2, v2, v3
	v_mul_f32_e32 v3, v39, v77
	v_add_f32_e32 v22, v22, v23
	s_waitcnt vmcnt(9)
	v_mul_f32_e32 v23, v40, v79
	v_fma_f32 v3, v38, v78, -v3
	s_waitcnt vmcnt(8)
	v_fmac_f32_e32 v23, v41, v80
	v_add_f32_e32 v2, v2, v3
	v_mul_f32_e32 v3, v41, v79
	v_add_f32_e32 v89, v22, v23
	ds_read_b64 v[22:23], v1 offset:1008
	v_fma_f32 v3, v40, v80, -v3
	v_add_f32_e32 v2, v2, v3
	s_waitcnt vmcnt(7) lgkmcnt(1)
	v_mul_f32_e32 v3, v43, v81
	v_mul_f32_e32 v90, v42, v81
	s_waitcnt vmcnt(6)
	v_fma_f32 v3, v42, v82, -v3
	v_fmac_f32_e32 v90, v43, v82
	v_add_f32_e32 v2, v2, v3
	s_waitcnt vmcnt(5)
	v_mul_f32_e32 v3, v45, v83
	v_add_f32_e32 v89, v89, v90
	v_mul_f32_e32 v90, v44, v83
	s_waitcnt vmcnt(4)
	v_fma_f32 v3, v44, v84, -v3
	v_fmac_f32_e32 v90, v45, v84
	v_add_f32_e32 v2, v2, v3
	s_waitcnt vmcnt(3) lgkmcnt(0)
	v_mul_f32_e32 v3, v23, v85
	v_add_f32_e32 v89, v89, v90
	v_mul_f32_e32 v90, v22, v85
	s_waitcnt vmcnt(2)
	v_fma_f32 v3, v22, v86, -v3
	v_fmac_f32_e32 v90, v23, v86
	v_add_f32_e32 v2, v2, v3
	v_add_f32_e32 v89, v89, v90
	s_waitcnt vmcnt(1)
	v_sub_f32_e32 v2, v87, v2
	s_waitcnt vmcnt(0)
	v_sub_f32_e32 v3, v88, v89
	buffer_store_dword v2, off, s[0:3], 0 offset:328
	buffer_store_dword v3, off, s[0:3], 0 offset:332
	s_and_saveexec_b64 s[4:5], vcc
	s_cbranch_execz .LBB62_311
; %bb.310:
	buffer_load_dword v2, off, s[0:3], 0 offset:320
	buffer_load_dword v3, off, s[0:3], 0 offset:324
	s_waitcnt vmcnt(0)
	ds_write_b64 v25, v[2:3]
	buffer_store_dword v1, off, s[0:3], 0 offset:320
	buffer_store_dword v1, off, s[0:3], 0 offset:324
.LBB62_311:
	s_or_b64 exec, exec, s[4:5]
	s_waitcnt lgkmcnt(0)
	; wave barrier
	buffer_load_dword v22, off, s[0:3], 0 offset:332
	buffer_load_dword v23, off, s[0:3], 0 offset:340
	;; [unrolled: 1-line block ×46, first 2 shown]
	ds_read2_b64 v[2:5], v1 offset0:105 offset1:106
	ds_read2_b64 v[6:9], v1 offset0:107 offset1:108
	;; [unrolled: 1-line block ×8, first 2 shown]
	v_cmp_lt_u32_e32 vcc, 39, v0
	s_waitcnt vmcnt(45) lgkmcnt(7)
	v_mul_f32_e32 v38, v2, v22
	s_waitcnt vmcnt(44)
	v_mul_f32_e32 v39, v4, v23
	s_waitcnt vmcnt(43) lgkmcnt(6)
	v_mul_f32_e32 v40, v6, v24
	s_waitcnt vmcnt(42)
	v_mul_f32_e32 v41, v8, v50
	;; [unrolled: 4-line block ×6, first 2 shown]
	s_waitcnt vmcnt(33) lgkmcnt(1)
	v_mul_f32_e32 v93, v30, v59
	s_waitcnt vmcnt(32)
	v_fmac_f32_e32 v38, v3, v60
	v_mul_f32_e32 v3, v3, v22
	v_fma_f32 v2, v2, v60, -v3
	v_mul_f32_e32 v3, v5, v23
	v_add_f32_e32 v2, 0, v2
	s_waitcnt vmcnt(31)
	v_fma_f32 v3, v4, v61, -v3
	v_add_f32_e32 v2, v2, v3
	v_mul_f32_e32 v3, v7, v24
	s_waitcnt vmcnt(30)
	v_fma_f32 v3, v6, v62, -v3
	v_add_f32_e32 v2, v2, v3
	v_mul_f32_e32 v3, v9, v50
	;; [unrolled: 4-line block ×4, first 2 shown]
	v_fmac_f32_e32 v39, v5, v61
	v_add_f32_e32 v38, 0, v38
	s_waitcnt vmcnt(27)
	v_fma_f32 v3, v12, v65, -v3
	v_fmac_f32_e32 v40, v7, v62
	v_add_f32_e32 v38, v38, v39
	v_add_f32_e32 v2, v2, v3
	v_mul_f32_e32 v3, v15, v53
	v_fmac_f32_e32 v41, v9, v63
	v_add_f32_e32 v38, v38, v40
	s_waitcnt vmcnt(26)
	v_fma_f32 v3, v14, v66, -v3
	v_fmac_f32_e32 v42, v11, v64
	v_add_f32_e32 v38, v38, v41
	v_add_f32_e32 v2, v2, v3
	v_mul_f32_e32 v3, v17, v54
	v_fmac_f32_e32 v43, v13, v65
	v_add_f32_e32 v38, v38, v42
	s_waitcnt vmcnt(25)
	v_fma_f32 v3, v16, v67, -v3
	v_fmac_f32_e32 v44, v15, v66
	v_add_f32_e32 v38, v38, v43
	v_add_f32_e32 v2, v2, v3
	v_mul_f32_e32 v3, v19, v55
	v_fmac_f32_e32 v45, v17, v67
	v_add_f32_e32 v38, v38, v44
	s_waitcnt vmcnt(24)
	v_fma_f32 v3, v18, v68, -v3
	v_fmac_f32_e32 v46, v19, v68
	v_add_f32_e32 v38, v38, v45
	v_add_f32_e32 v2, v2, v3
	v_mul_f32_e32 v3, v21, v56
	s_waitcnt vmcnt(23)
	v_fmac_f32_e32 v47, v21, v69
	v_add_f32_e32 v38, v38, v46
	v_fma_f32 v3, v20, v69, -v3
	s_waitcnt vmcnt(22)
	v_fmac_f32_e32 v48, v27, v70
	v_add_f32_e32 v38, v38, v47
	v_add_f32_e32 v2, v2, v3
	v_mul_f32_e32 v3, v27, v57
	s_waitcnt vmcnt(21)
	v_fmac_f32_e32 v49, v29, v71
	v_add_f32_e32 v38, v38, v48
	v_fma_f32 v3, v26, v70, -v3
	s_waitcnt vmcnt(20)
	v_fmac_f32_e32 v93, v31, v72
	v_add_f32_e32 v38, v38, v49
	s_waitcnt vmcnt(19)
	v_mul_f32_e32 v39, v32, v73
	v_add_f32_e32 v2, v2, v3
	v_mul_f32_e32 v3, v29, v58
	v_add_f32_e32 v38, v38, v93
	s_waitcnt vmcnt(18)
	v_fmac_f32_e32 v39, v33, v74
	v_fma_f32 v3, v28, v71, -v3
	v_add_f32_e32 v38, v38, v39
	s_waitcnt vmcnt(17) lgkmcnt(0)
	v_mul_f32_e32 v39, v34, v75
	v_add_f32_e32 v2, v2, v3
	v_mul_f32_e32 v3, v31, v59
	s_waitcnt vmcnt(16)
	v_fmac_f32_e32 v39, v35, v76
	v_fma_f32 v3, v30, v72, -v3
	v_add_f32_e32 v42, v38, v39
	ds_read2_b64 v[38:41], v1 offset0:121 offset1:122
	v_add_f32_e32 v2, v2, v3
	v_mul_f32_e32 v3, v33, v73
	v_fma_f32 v3, v32, v74, -v3
	v_add_f32_e32 v2, v2, v3
	v_mul_f32_e32 v3, v35, v75
	s_waitcnt vmcnt(15)
	v_mul_f32_e32 v43, v36, v77
	v_fma_f32 v3, v34, v76, -v3
	s_waitcnt vmcnt(14)
	v_fmac_f32_e32 v43, v37, v78
	v_add_f32_e32 v2, v2, v3
	v_mul_f32_e32 v3, v37, v77
	v_add_f32_e32 v46, v42, v43
	ds_read2_b64 v[42:45], v1 offset0:123 offset1:124
	s_waitcnt vmcnt(13) lgkmcnt(1)
	v_mul_f32_e32 v47, v38, v79
	v_fma_f32 v3, v36, v78, -v3
	s_waitcnt vmcnt(12)
	v_fmac_f32_e32 v47, v39, v80
	v_add_f32_e32 v2, v2, v3
	v_mul_f32_e32 v3, v39, v79
	v_add_f32_e32 v46, v46, v47
	s_waitcnt vmcnt(11)
	v_mul_f32_e32 v47, v40, v81
	v_fma_f32 v3, v38, v80, -v3
	s_waitcnt vmcnt(10)
	v_fmac_f32_e32 v47, v41, v82
	v_add_f32_e32 v2, v2, v3
	v_mul_f32_e32 v3, v41, v81
	v_add_f32_e32 v93, v46, v47
	ds_read2_b64 v[46:49], v1 offset0:125 offset1:126
	v_fma_f32 v3, v40, v82, -v3
	v_add_f32_e32 v2, v2, v3
	s_waitcnt vmcnt(9) lgkmcnt(1)
	v_mul_f32_e32 v3, v43, v83
	v_mul_f32_e32 v94, v42, v83
	s_waitcnt vmcnt(8)
	v_fma_f32 v3, v42, v84, -v3
	v_fmac_f32_e32 v94, v43, v84
	v_add_f32_e32 v2, v2, v3
	s_waitcnt vmcnt(7)
	v_mul_f32_e32 v3, v45, v85
	v_add_f32_e32 v1, v93, v94
	v_mul_f32_e32 v93, v44, v85
	s_waitcnt vmcnt(6)
	v_fma_f32 v3, v44, v86, -v3
	v_fmac_f32_e32 v93, v45, v86
	v_add_f32_e32 v2, v2, v3
	s_waitcnt vmcnt(5) lgkmcnt(0)
	v_mul_f32_e32 v3, v47, v87
	v_add_f32_e32 v1, v1, v93
	v_mul_f32_e32 v93, v46, v87
	s_waitcnt vmcnt(4)
	v_fma_f32 v3, v46, v88, -v3
	v_fmac_f32_e32 v93, v47, v88
	v_add_f32_e32 v2, v2, v3
	s_waitcnt vmcnt(3)
	v_mul_f32_e32 v3, v49, v89
	v_add_f32_e32 v1, v1, v93
	v_mul_f32_e32 v93, v48, v89
	s_waitcnt vmcnt(2)
	v_fma_f32 v3, v48, v90, -v3
	v_fmac_f32_e32 v93, v49, v90
	v_add_f32_e32 v2, v2, v3
	v_add_f32_e32 v1, v1, v93
	s_waitcnt vmcnt(1)
	v_sub_f32_e32 v2, v91, v2
	s_waitcnt vmcnt(0)
	v_sub_f32_e32 v1, v92, v1
	buffer_store_dword v2, off, s[0:3], 0 offset:320
	buffer_store_dword v1, off, s[0:3], 0 offset:324
	s_and_saveexec_b64 s[4:5], vcc
	s_cbranch_execz .LBB62_313
; %bb.312:
	buffer_load_dword v1, off, s[0:3], 0 offset:312
	buffer_load_dword v2, off, s[0:3], 0 offset:316
	v_mov_b32_e32 v3, 0
	buffer_store_dword v3, off, s[0:3], 0 offset:312
	buffer_store_dword v3, off, s[0:3], 0 offset:316
	s_waitcnt vmcnt(2)
	ds_write_b64 v25, v[1:2]
.LBB62_313:
	s_or_b64 exec, exec, s[4:5]
	s_waitcnt lgkmcnt(0)
	; wave barrier
	buffer_load_dword v24, off, s[0:3], 0 offset:324
	buffer_load_dword v50, off, s[0:3], 0 offset:332
	;; [unrolled: 1-line block ×48, first 2 shown]
	v_mov_b32_e32 v1, 0
	ds_read_b128 v[2:5], v1 offset:832
	ds_read_b128 v[6:9], v1 offset:848
	;; [unrolled: 1-line block ×7, first 2 shown]
	v_cmp_lt_u32_e32 vcc, 38, v0
	ds_read_b128 v[46:49], v1 offset:992
	s_waitcnt vmcnt(47) lgkmcnt(7)
	v_mul_f32_e32 v22, v2, v24
	s_waitcnt vmcnt(46)
	v_mul_f32_e32 v23, v4, v50
	s_waitcnt vmcnt(45) lgkmcnt(6)
	v_mul_f32_e32 v34, v6, v51
	s_waitcnt vmcnt(44)
	v_mul_f32_e32 v35, v8, v52
	;; [unrolled: 4-line block ×6, first 2 shown]
	s_waitcnt vmcnt(35)
	v_fmac_f32_e32 v22, v3, v61
	v_mul_f32_e32 v3, v3, v24
	v_fma_f32 v2, v2, v61, -v3
	v_mul_f32_e32 v3, v5, v50
	v_add_f32_e32 v2, 0, v2
	s_waitcnt vmcnt(34)
	v_fma_f32 v3, v4, v62, -v3
	v_add_f32_e32 v2, v2, v3
	v_mul_f32_e32 v3, v7, v51
	s_waitcnt vmcnt(33)
	v_fma_f32 v3, v6, v63, -v3
	v_add_f32_e32 v2, v2, v3
	v_mul_f32_e32 v3, v9, v52
	;; [unrolled: 4-line block ×5, first 2 shown]
	v_fmac_f32_e32 v23, v5, v62
	v_add_f32_e32 v22, 0, v22
	s_waitcnt vmcnt(29)
	v_fma_f32 v3, v14, v67, -v3
	v_fmac_f32_e32 v34, v7, v63
	v_add_f32_e32 v22, v22, v23
	v_add_f32_e32 v2, v2, v3
	v_mul_f32_e32 v3, v17, v56
	v_fmac_f32_e32 v35, v9, v64
	v_add_f32_e32 v22, v22, v34
	s_waitcnt vmcnt(28)
	v_fma_f32 v3, v16, v68, -v3
	v_fmac_f32_e32 v36, v11, v65
	v_add_f32_e32 v22, v22, v35
	v_add_f32_e32 v2, v2, v3
	v_mul_f32_e32 v3, v19, v57
	;; [unrolled: 8-line block ×4, first 2 shown]
	v_fmac_f32_e32 v41, v21, v70
	v_add_f32_e32 v22, v22, v40
	s_waitcnt vmcnt(25)
	v_fma_f32 v3, v26, v71, -v3
	v_fmac_f32_e32 v42, v27, v71
	v_add_f32_e32 v22, v22, v41
	ds_read_b128 v[34:37], v1 offset:944
	ds_read_b128 v[38:41], v1 offset:960
	v_add_f32_e32 v2, v2, v3
	v_mul_f32_e32 v3, v29, v60
	s_waitcnt vmcnt(24)
	v_fmac_f32_e32 v43, v29, v72
	v_add_f32_e32 v22, v22, v42
	s_waitcnt vmcnt(23) lgkmcnt(3)
	v_mul_f32_e32 v23, v30, v73
	v_fma_f32 v3, v28, v72, -v3
	v_add_f32_e32 v22, v22, v43
	s_waitcnt vmcnt(22)
	v_fmac_f32_e32 v23, v31, v74
	v_add_f32_e32 v2, v2, v3
	v_mul_f32_e32 v3, v31, v73
	v_add_f32_e32 v22, v22, v23
	s_waitcnt vmcnt(21)
	v_mul_f32_e32 v23, v32, v75
	v_fma_f32 v3, v30, v74, -v3
	s_waitcnt vmcnt(20)
	v_fmac_f32_e32 v23, v33, v76
	v_add_f32_e32 v2, v2, v3
	v_mul_f32_e32 v3, v33, v75
	v_add_f32_e32 v22, v22, v23
	s_waitcnt vmcnt(19) lgkmcnt(1)
	v_mul_f32_e32 v23, v34, v77
	v_fma_f32 v3, v32, v76, -v3
	s_waitcnt vmcnt(18)
	v_fmac_f32_e32 v23, v35, v78
	v_add_f32_e32 v2, v2, v3
	v_mul_f32_e32 v3, v35, v77
	v_add_f32_e32 v22, v22, v23
	s_waitcnt vmcnt(17)
	v_mul_f32_e32 v23, v36, v79
	v_fma_f32 v3, v34, v78, -v3
	s_waitcnt vmcnt(16)
	v_fmac_f32_e32 v23, v37, v80
	ds_read_b128 v[42:45], v1 offset:976
	v_add_f32_e32 v2, v2, v3
	v_mul_f32_e32 v3, v37, v79
	v_add_f32_e32 v22, v22, v23
	s_waitcnt vmcnt(15) lgkmcnt(1)
	v_mul_f32_e32 v23, v38, v81
	v_fma_f32 v3, v36, v80, -v3
	s_waitcnt vmcnt(14)
	v_fmac_f32_e32 v23, v39, v82
	v_add_f32_e32 v2, v2, v3
	v_mul_f32_e32 v3, v39, v81
	v_add_f32_e32 v22, v22, v23
	s_waitcnt vmcnt(13)
	v_mul_f32_e32 v23, v40, v83
	v_fma_f32 v3, v38, v82, -v3
	s_waitcnt vmcnt(12)
	v_fmac_f32_e32 v23, v41, v84
	v_add_f32_e32 v2, v2, v3
	v_mul_f32_e32 v3, v41, v83
	v_add_f32_e32 v22, v22, v23
	s_waitcnt vmcnt(11) lgkmcnt(0)
	v_mul_f32_e32 v23, v42, v85
	v_fma_f32 v3, v40, v84, -v3
	s_waitcnt vmcnt(10)
	v_fmac_f32_e32 v23, v43, v86
	v_add_f32_e32 v2, v2, v3
	v_mul_f32_e32 v3, v43, v85
	v_add_f32_e32 v22, v22, v23
	s_waitcnt vmcnt(9)
	v_mul_f32_e32 v23, v44, v87
	v_fma_f32 v3, v42, v86, -v3
	s_waitcnt vmcnt(8)
	v_fmac_f32_e32 v23, v45, v88
	v_add_f32_e32 v2, v2, v3
	v_mul_f32_e32 v3, v45, v87
	v_add_f32_e32 v97, v22, v23
	ds_read_b64 v[22:23], v1 offset:1008
	v_fma_f32 v3, v44, v88, -v3
	v_add_f32_e32 v2, v2, v3
	s_waitcnt vmcnt(6)
	v_mul_f32_e32 v3, v47, v90
	v_mul_f32_e32 v98, v46, v90
	v_fma_f32 v3, v46, v89, -v3
	v_fmac_f32_e32 v98, v47, v89
	v_add_f32_e32 v2, v2, v3
	s_waitcnt vmcnt(3)
	v_mul_f32_e32 v3, v49, v93
	v_add_f32_e32 v97, v97, v98
	v_mul_f32_e32 v98, v48, v93
	s_waitcnt vmcnt(2)
	v_fma_f32 v3, v48, v94, -v3
	v_fmac_f32_e32 v98, v49, v94
	v_add_f32_e32 v2, v2, v3
	s_waitcnt vmcnt(0) lgkmcnt(0)
	v_mul_f32_e32 v3, v23, v96
	v_add_f32_e32 v97, v97, v98
	v_mul_f32_e32 v98, v22, v96
	v_fma_f32 v3, v22, v95, -v3
	v_fmac_f32_e32 v98, v23, v95
	v_add_f32_e32 v2, v2, v3
	v_add_f32_e32 v97, v97, v98
	v_sub_f32_e32 v2, v91, v2
	v_sub_f32_e32 v3, v92, v97
	buffer_store_dword v2, off, s[0:3], 0 offset:312
	buffer_store_dword v3, off, s[0:3], 0 offset:316
	s_and_saveexec_b64 s[4:5], vcc
	s_cbranch_execz .LBB62_315
; %bb.314:
	buffer_load_dword v2, off, s[0:3], 0 offset:304
	buffer_load_dword v3, off, s[0:3], 0 offset:308
	s_waitcnt vmcnt(0)
	ds_write_b64 v25, v[2:3]
	buffer_store_dword v1, off, s[0:3], 0 offset:304
	buffer_store_dword v1, off, s[0:3], 0 offset:308
.LBB62_315:
	s_or_b64 exec, exec, s[4:5]
	s_waitcnt lgkmcnt(0)
	; wave barrier
	buffer_load_dword v22, off, s[0:3], 0 offset:316
	buffer_load_dword v23, off, s[0:3], 0 offset:324
	;; [unrolled: 1-line block ×48, first 2 shown]
	ds_read2_b64 v[2:5], v1 offset0:103 offset1:104
	ds_read2_b64 v[6:9], v1 offset0:105 offset1:106
	buffer_load_dword v99, off, s[0:3], 0 offset:496
	buffer_load_dword v100, off, s[0:3], 0 offset:500
	ds_read2_b64 v[10:13], v1 offset0:107 offset1:108
	ds_read2_b64 v[14:17], v1 offset0:109 offset1:110
	;; [unrolled: 1-line block ×5, first 2 shown]
	v_cmp_lt_u32_e32 vcc, 37, v0
	s_waitcnt vmcnt(49) lgkmcnt(6)
	v_mul_f32_e32 v34, v2, v22
	s_waitcnt vmcnt(48)
	v_mul_f32_e32 v35, v4, v23
	s_waitcnt vmcnt(47) lgkmcnt(5)
	v_mul_f32_e32 v36, v6, v24
	s_waitcnt vmcnt(46)
	v_mul_f32_e32 v37, v8, v54
	;; [unrolled: 4-line block ×6, first 2 shown]
	s_waitcnt vmcnt(37)
	v_fmac_f32_e32 v34, v3, v63
	v_mul_f32_e32 v3, v3, v22
	v_fma_f32 v2, v2, v63, -v3
	v_mul_f32_e32 v3, v5, v23
	v_add_f32_e32 v2, 0, v2
	s_waitcnt vmcnt(36)
	v_fma_f32 v3, v4, v64, -v3
	v_add_f32_e32 v2, v2, v3
	v_mul_f32_e32 v3, v7, v24
	s_waitcnt vmcnt(35)
	v_fma_f32 v3, v6, v65, -v3
	v_fmac_f32_e32 v35, v5, v64
	v_add_f32_e32 v34, 0, v34
	v_add_f32_e32 v2, v2, v3
	v_mul_f32_e32 v3, v9, v54
	v_fmac_f32_e32 v36, v7, v65
	v_add_f32_e32 v34, v34, v35
	s_waitcnt vmcnt(34)
	v_fma_f32 v3, v8, v66, -v3
	v_fmac_f32_e32 v37, v9, v66
	v_add_f32_e32 v34, v34, v36
	v_add_f32_e32 v2, v2, v3
	v_mul_f32_e32 v3, v11, v55
	s_waitcnt vmcnt(33)
	v_fmac_f32_e32 v38, v11, v67
	v_add_f32_e32 v34, v34, v37
	v_fma_f32 v3, v10, v67, -v3
	s_waitcnt vmcnt(32)
	v_fmac_f32_e32 v39, v13, v68
	v_add_f32_e32 v34, v34, v38
	v_add_f32_e32 v2, v2, v3
	v_mul_f32_e32 v3, v13, v56
	s_waitcnt vmcnt(31)
	v_fmac_f32_e32 v40, v15, v69
	v_add_f32_e32 v34, v34, v39
	v_fma_f32 v3, v12, v68, -v3
	s_waitcnt vmcnt(30)
	;; [unrolled: 9-line block ×3, first 2 shown]
	v_fmac_f32_e32 v43, v21, v72
	v_add_f32_e32 v34, v34, v42
	v_add_f32_e32 v2, v2, v3
	v_mul_f32_e32 v3, v17, v58
	s_waitcnt vmcnt(27)
	v_fmac_f32_e32 v44, v27, v73
	v_add_f32_e32 v34, v34, v43
	v_fma_f32 v3, v16, v70, -v3
	v_add_f32_e32 v34, v34, v44
	s_waitcnt vmcnt(26)
	v_fmac_f32_e32 v45, v29, v74
	v_add_f32_e32 v2, v2, v3
	v_mul_f32_e32 v3, v19, v59
	v_add_f32_e32 v38, v34, v45
	ds_read2_b64 v[34:37], v1 offset0:117 offset1:118
	v_fma_f32 v3, v18, v71, -v3
	s_waitcnt vmcnt(25) lgkmcnt(1)
	v_mul_f32_e32 v39, v30, v75
	v_add_f32_e32 v2, v2, v3
	v_mul_f32_e32 v3, v21, v60
	s_waitcnt vmcnt(24)
	v_fmac_f32_e32 v39, v31, v76
	v_fma_f32 v3, v20, v72, -v3
	v_add_f32_e32 v38, v38, v39
	s_waitcnt vmcnt(23)
	v_mul_f32_e32 v39, v32, v77
	v_add_f32_e32 v2, v2, v3
	v_mul_f32_e32 v3, v27, v61
	s_waitcnt vmcnt(22)
	v_fmac_f32_e32 v39, v33, v78
	v_fma_f32 v3, v26, v73, -v3
	v_add_f32_e32 v38, v38, v39
	s_waitcnt vmcnt(21) lgkmcnt(0)
	v_mul_f32_e32 v39, v34, v79
	v_add_f32_e32 v2, v2, v3
	v_mul_f32_e32 v3, v29, v62
	s_waitcnt vmcnt(20)
	v_fmac_f32_e32 v39, v35, v80
	v_fma_f32 v3, v28, v74, -v3
	v_add_f32_e32 v42, v38, v39
	ds_read2_b64 v[38:41], v1 offset0:119 offset1:120
	v_add_f32_e32 v2, v2, v3
	v_mul_f32_e32 v3, v31, v75
	v_fma_f32 v3, v30, v76, -v3
	s_waitcnt vmcnt(19)
	v_mul_f32_e32 v43, v36, v81
	v_add_f32_e32 v2, v2, v3
	v_mul_f32_e32 v3, v33, v77
	s_waitcnt vmcnt(18)
	v_fmac_f32_e32 v43, v37, v82
	v_fma_f32 v3, v32, v78, -v3
	v_add_f32_e32 v46, v42, v43
	ds_read2_b64 v[42:45], v1 offset0:121 offset1:122
	v_add_f32_e32 v2, v2, v3
	v_mul_f32_e32 v3, v35, v79
	s_waitcnt vmcnt(17) lgkmcnt(1)
	v_mul_f32_e32 v47, v38, v83
	v_fma_f32 v3, v34, v80, -v3
	s_waitcnt vmcnt(16)
	v_fmac_f32_e32 v47, v39, v84
	v_add_f32_e32 v2, v2, v3
	v_mul_f32_e32 v3, v37, v81
	v_add_f32_e32 v46, v46, v47
	s_waitcnt vmcnt(15)
	v_mul_f32_e32 v47, v40, v85
	v_fma_f32 v3, v36, v82, -v3
	s_waitcnt vmcnt(14)
	v_fmac_f32_e32 v47, v41, v86
	v_add_f32_e32 v2, v2, v3
	v_mul_f32_e32 v3, v39, v83
	v_add_f32_e32 v46, v46, v47
	s_waitcnt vmcnt(13) lgkmcnt(0)
	v_mul_f32_e32 v47, v42, v87
	v_fma_f32 v3, v38, v84, -v3
	s_waitcnt vmcnt(12)
	v_fmac_f32_e32 v47, v43, v88
	v_add_f32_e32 v2, v2, v3
	v_mul_f32_e32 v3, v41, v85
	v_add_f32_e32 v50, v46, v47
	ds_read2_b64 v[46:49], v1 offset0:123 offset1:124
	v_fma_f32 v3, v40, v86, -v3
	v_add_f32_e32 v2, v2, v3
	v_mul_f32_e32 v3, v43, v87
	s_waitcnt vmcnt(11)
	v_mul_f32_e32 v51, v44, v89
	v_fma_f32 v3, v42, v88, -v3
	s_waitcnt vmcnt(10)
	v_fmac_f32_e32 v51, v45, v90
	v_add_f32_e32 v2, v2, v3
	v_mul_f32_e32 v3, v45, v89
	v_add_f32_e32 v101, v50, v51
	ds_read2_b64 v[50:53], v1 offset0:125 offset1:126
	v_fma_f32 v3, v44, v90, -v3
	v_add_f32_e32 v2, v2, v3
	s_waitcnt vmcnt(7) lgkmcnt(1)
	v_mul_f32_e32 v3, v47, v93
	v_mul_f32_e32 v1, v46, v93
	s_waitcnt vmcnt(6)
	v_fma_f32 v3, v46, v94, -v3
	v_fmac_f32_e32 v1, v47, v94
	v_add_f32_e32 v2, v2, v3
	s_waitcnt vmcnt(4)
	v_mul_f32_e32 v3, v49, v96
	v_add_f32_e32 v1, v101, v1
	v_mul_f32_e32 v101, v48, v96
	v_fma_f32 v3, v48, v95, -v3
	v_fmac_f32_e32 v101, v49, v95
	v_add_f32_e32 v2, v2, v3
	s_waitcnt vmcnt(2) lgkmcnt(0)
	v_mul_f32_e32 v3, v51, v98
	v_add_f32_e32 v1, v1, v101
	v_mul_f32_e32 v101, v50, v98
	v_fma_f32 v3, v50, v97, -v3
	v_fmac_f32_e32 v101, v51, v97
	v_add_f32_e32 v2, v2, v3
	s_waitcnt vmcnt(0)
	v_mul_f32_e32 v3, v53, v100
	v_add_f32_e32 v1, v1, v101
	v_mul_f32_e32 v101, v52, v100
	v_fma_f32 v3, v52, v99, -v3
	v_fmac_f32_e32 v101, v53, v99
	v_add_f32_e32 v2, v2, v3
	v_add_f32_e32 v1, v1, v101
	v_sub_f32_e32 v2, v91, v2
	v_sub_f32_e32 v1, v92, v1
	buffer_store_dword v2, off, s[0:3], 0 offset:304
	buffer_store_dword v1, off, s[0:3], 0 offset:308
	s_and_saveexec_b64 s[4:5], vcc
	s_cbranch_execz .LBB62_317
; %bb.316:
	buffer_load_dword v1, off, s[0:3], 0 offset:296
	buffer_load_dword v2, off, s[0:3], 0 offset:300
	v_mov_b32_e32 v3, 0
	buffer_store_dword v3, off, s[0:3], 0 offset:296
	buffer_store_dword v3, off, s[0:3], 0 offset:300
	s_waitcnt vmcnt(2)
	ds_write_b64 v25, v[1:2]
.LBB62_317:
	s_or_b64 exec, exec, s[4:5]
	s_waitcnt lgkmcnt(0)
	; wave barrier
	buffer_load_dword v24, off, s[0:3], 0 offset:308
	buffer_load_dword v54, off, s[0:3], 0 offset:316
	;; [unrolled: 1-line block ×52, first 2 shown]
	v_mov_b32_e32 v1, 0
	ds_read_b128 v[2:5], v1 offset:816
	ds_read_b128 v[6:9], v1 offset:832
	;; [unrolled: 1-line block ×8, first 2 shown]
	v_cmp_lt_u32_e32 vcc, 36, v0
	ds_read_b128 v[42:45], v1 offset:960
	s_waitcnt vmcnt(51) lgkmcnt(8)
	v_mul_f32_e32 v22, v2, v24
	s_waitcnt vmcnt(50)
	v_mul_f32_e32 v23, v4, v54
	s_waitcnt vmcnt(49) lgkmcnt(7)
	v_mul_f32_e32 v30, v6, v55
	s_waitcnt vmcnt(48)
	v_mul_f32_e32 v31, v8, v56
	;; [unrolled: 4-line block ×5, first 2 shown]
	s_waitcnt vmcnt(41) lgkmcnt(3)
	v_mul_f32_e32 v38, v26, v63
	s_waitcnt vmcnt(40)
	v_fmac_f32_e32 v22, v3, v64
	v_mul_f32_e32 v3, v3, v24
	v_fma_f32 v2, v2, v64, -v3
	v_mul_f32_e32 v3, v5, v54
	v_add_f32_e32 v2, 0, v2
	s_waitcnt vmcnt(39)
	v_fma_f32 v3, v4, v65, -v3
	v_add_f32_e32 v2, v2, v3
	v_mul_f32_e32 v3, v7, v55
	s_waitcnt vmcnt(38)
	v_fma_f32 v3, v6, v66, -v3
	v_add_f32_e32 v2, v2, v3
	v_mul_f32_e32 v3, v9, v56
	;; [unrolled: 4-line block ×4, first 2 shown]
	s_waitcnt vmcnt(35)
	v_fma_f32 v3, v12, v69, -v3
	v_fmac_f32_e32 v23, v5, v65
	v_add_f32_e32 v22, 0, v22
	v_add_f32_e32 v2, v2, v3
	v_mul_f32_e32 v3, v15, v59
	v_fmac_f32_e32 v30, v7, v66
	v_add_f32_e32 v22, v22, v23
	s_waitcnt vmcnt(34)
	v_fma_f32 v3, v14, v70, -v3
	v_fmac_f32_e32 v31, v9, v67
	v_add_f32_e32 v22, v22, v30
	v_add_f32_e32 v2, v2, v3
	v_mul_f32_e32 v3, v17, v60
	v_fmac_f32_e32 v32, v11, v68
	v_add_f32_e32 v22, v22, v31
	;; [unrolled: 8-line block ×3, first 2 shown]
	s_waitcnt vmcnt(32)
	v_fma_f32 v3, v18, v72, -v3
	v_fmac_f32_e32 v35, v17, v71
	v_add_f32_e32 v22, v22, v34
	ds_read_b128 v[30:33], v1 offset:912
	v_add_f32_e32 v2, v2, v3
	v_mul_f32_e32 v3, v21, v62
	v_fmac_f32_e32 v36, v19, v72
	v_add_f32_e32 v22, v22, v35
	s_waitcnt vmcnt(31)
	v_fma_f32 v3, v20, v73, -v3
	v_fmac_f32_e32 v37, v21, v73
	v_add_f32_e32 v22, v22, v36
	v_add_f32_e32 v2, v2, v3
	v_mul_f32_e32 v3, v27, v63
	v_add_f32_e32 v22, v22, v37
	s_waitcnt vmcnt(30)
	v_fmac_f32_e32 v38, v27, v74
	s_waitcnt vmcnt(29)
	v_mul_f32_e32 v23, v28, v75
	v_fma_f32 v3, v26, v74, -v3
	v_add_f32_e32 v22, v22, v38
	s_waitcnt vmcnt(28)
	v_fmac_f32_e32 v23, v29, v76
	ds_read_b128 v[34:37], v1 offset:928
	v_add_f32_e32 v2, v2, v3
	v_mul_f32_e32 v3, v29, v75
	v_add_f32_e32 v22, v22, v23
	s_waitcnt vmcnt(27) lgkmcnt(1)
	v_mul_f32_e32 v23, v30, v77
	v_fma_f32 v3, v28, v76, -v3
	s_waitcnt vmcnt(26)
	v_fmac_f32_e32 v23, v31, v78
	v_add_f32_e32 v2, v2, v3
	v_mul_f32_e32 v3, v31, v77
	v_add_f32_e32 v22, v22, v23
	s_waitcnt vmcnt(25)
	v_mul_f32_e32 v23, v32, v79
	v_fma_f32 v3, v30, v78, -v3
	s_waitcnt vmcnt(24)
	v_fmac_f32_e32 v23, v33, v80
	ds_read_b128 v[38:41], v1 offset:944
	v_add_f32_e32 v2, v2, v3
	v_mul_f32_e32 v3, v33, v79
	v_add_f32_e32 v22, v22, v23
	s_waitcnt vmcnt(23) lgkmcnt(1)
	v_mul_f32_e32 v23, v34, v81
	v_fma_f32 v3, v32, v80, -v3
	s_waitcnt vmcnt(22)
	v_fmac_f32_e32 v23, v35, v82
	v_add_f32_e32 v2, v2, v3
	v_mul_f32_e32 v3, v35, v81
	v_add_f32_e32 v22, v22, v23
	s_waitcnt vmcnt(21)
	v_mul_f32_e32 v23, v36, v83
	v_fma_f32 v3, v34, v82, -v3
	s_waitcnt vmcnt(20)
	v_fmac_f32_e32 v23, v37, v84
	v_add_f32_e32 v2, v2, v3
	v_mul_f32_e32 v3, v37, v83
	v_add_f32_e32 v22, v22, v23
	s_waitcnt vmcnt(19) lgkmcnt(0)
	v_mul_f32_e32 v23, v38, v85
	v_fma_f32 v3, v36, v84, -v3
	s_waitcnt vmcnt(18)
	v_fmac_f32_e32 v23, v39, v86
	v_add_f32_e32 v2, v2, v3
	v_mul_f32_e32 v3, v39, v85
	v_add_f32_e32 v22, v22, v23
	s_waitcnt vmcnt(17)
	v_mul_f32_e32 v23, v40, v87
	v_fma_f32 v3, v38, v86, -v3
	s_waitcnt vmcnt(16)
	v_fmac_f32_e32 v23, v41, v88
	v_add_f32_e32 v2, v2, v3
	v_mul_f32_e32 v3, v41, v87
	v_add_f32_e32 v22, v22, v23
	s_waitcnt vmcnt(14)
	v_mul_f32_e32 v23, v42, v90
	v_fma_f32 v3, v40, v88, -v3
	v_fmac_f32_e32 v23, v43, v89
	v_add_f32_e32 v2, v2, v3
	v_mul_f32_e32 v3, v43, v90
	v_add_f32_e32 v22, v22, v23
	s_waitcnt vmcnt(11)
	v_mul_f32_e32 v23, v44, v93
	v_fma_f32 v3, v42, v89, -v3
	s_waitcnt vmcnt(10)
	v_fmac_f32_e32 v23, v45, v94
	v_add_f32_e32 v2, v2, v3
	v_mul_f32_e32 v3, v45, v93
	v_add_f32_e32 v22, v22, v23
	s_waitcnt vmcnt(8)
	v_mul_f32_e32 v23, v46, v96
	v_fma_f32 v3, v44, v94, -v3
	v_fmac_f32_e32 v23, v47, v95
	v_add_f32_e32 v2, v2, v3
	v_mul_f32_e32 v3, v47, v96
	v_add_f32_e32 v22, v22, v23
	s_waitcnt vmcnt(6)
	v_mul_f32_e32 v23, v48, v98
	v_fma_f32 v3, v46, v95, -v3
	v_fmac_f32_e32 v23, v49, v97
	v_add_f32_e32 v2, v2, v3
	v_mul_f32_e32 v3, v49, v98
	v_add_f32_e32 v105, v22, v23
	ds_read_b64 v[22:23], v1 offset:1008
	v_fma_f32 v3, v48, v97, -v3
	v_add_f32_e32 v2, v2, v3
	s_waitcnt vmcnt(4)
	v_mul_f32_e32 v3, v51, v100
	v_mul_f32_e32 v106, v50, v100
	v_fma_f32 v3, v50, v99, -v3
	v_fmac_f32_e32 v106, v51, v99
	v_add_f32_e32 v2, v2, v3
	s_waitcnt vmcnt(2)
	v_mul_f32_e32 v3, v53, v102
	v_add_f32_e32 v105, v105, v106
	v_mul_f32_e32 v106, v52, v102
	v_fma_f32 v3, v52, v101, -v3
	v_fmac_f32_e32 v106, v53, v101
	v_add_f32_e32 v2, v2, v3
	s_waitcnt vmcnt(0) lgkmcnt(0)
	v_mul_f32_e32 v3, v23, v104
	v_add_f32_e32 v105, v105, v106
	v_mul_f32_e32 v106, v22, v104
	v_fma_f32 v3, v22, v103, -v3
	v_fmac_f32_e32 v106, v23, v103
	v_add_f32_e32 v2, v2, v3
	v_add_f32_e32 v105, v105, v106
	v_sub_f32_e32 v2, v91, v2
	v_sub_f32_e32 v3, v92, v105
	buffer_store_dword v2, off, s[0:3], 0 offset:296
	buffer_store_dword v3, off, s[0:3], 0 offset:300
	s_and_saveexec_b64 s[4:5], vcc
	s_cbranch_execz .LBB62_319
; %bb.318:
	buffer_load_dword v2, off, s[0:3], 0 offset:288
	buffer_load_dword v3, off, s[0:3], 0 offset:292
	s_waitcnt vmcnt(0)
	ds_write_b64 v25, v[2:3]
	buffer_store_dword v1, off, s[0:3], 0 offset:288
	buffer_store_dword v1, off, s[0:3], 0 offset:292
.LBB62_319:
	s_or_b64 exec, exec, s[4:5]
	s_waitcnt lgkmcnt(0)
	; wave barrier
	buffer_load_dword v22, off, s[0:3], 0 offset:300
	buffer_load_dword v23, off, s[0:3], 0 offset:308
	;; [unrolled: 1-line block ×42, first 2 shown]
	ds_read2_b64 v[2:5], v1 offset0:101 offset1:102
	ds_read2_b64 v[6:9], v1 offset0:103 offset1:104
	;; [unrolled: 1-line block ×4, first 2 shown]
	buffer_load_dword v97, off, s[0:3], 0 offset:460
	buffer_load_dword v98, off, s[0:3], 0 offset:456
	;; [unrolled: 1-line block ×6, first 2 shown]
	ds_read2_b64 v[18:21], v1 offset0:109 offset1:110
	ds_read2_b64 v[26:29], v1 offset0:111 offset1:112
	buffer_load_dword v103, off, s[0:3], 0 offset:480
	buffer_load_dword v104, off, s[0:3], 0 offset:484
	;; [unrolled: 1-line block ×6, first 2 shown]
	v_cmp_lt_u32_e32 vcc, 35, v0
	s_waitcnt vmcnt(53) lgkmcnt(5)
	v_mul_f32_e32 v30, v2, v22
	s_waitcnt vmcnt(52)
	v_mul_f32_e32 v31, v4, v23
	s_waitcnt vmcnt(51) lgkmcnt(4)
	v_mul_f32_e32 v32, v6, v24
	s_waitcnt vmcnt(50)
	v_mul_f32_e32 v33, v8, v58
	;; [unrolled: 4-line block ×5, first 2 shown]
	s_waitcnt vmcnt(43)
	v_fmac_f32_e32 v30, v3, v65
	v_mul_f32_e32 v3, v3, v22
	s_waitcnt vmcnt(42)
	v_fmac_f32_e32 v31, v5, v66
	v_add_f32_e32 v30, 0, v30
	v_fma_f32 v2, v2, v65, -v3
	v_mul_f32_e32 v3, v5, v23
	s_waitcnt vmcnt(41)
	v_fmac_f32_e32 v32, v7, v67
	v_add_f32_e32 v30, v30, v31
	v_add_f32_e32 v2, 0, v2
	v_fma_f32 v3, v4, v66, -v3
	s_waitcnt vmcnt(40)
	v_fmac_f32_e32 v33, v9, v68
	v_add_f32_e32 v30, v30, v32
	v_add_f32_e32 v2, v2, v3
	v_mul_f32_e32 v3, v7, v24
	s_waitcnt vmcnt(39)
	v_fmac_f32_e32 v34, v11, v69
	v_add_f32_e32 v30, v30, v33
	v_fma_f32 v3, v6, v67, -v3
	s_waitcnt vmcnt(38)
	v_fmac_f32_e32 v35, v13, v70
	v_add_f32_e32 v30, v30, v34
	v_add_f32_e32 v2, v2, v3
	v_mul_f32_e32 v3, v9, v58
	s_waitcnt vmcnt(37)
	v_fmac_f32_e32 v36, v15, v71
	;; [unrolled: 9-line block ×3, first 2 shown]
	v_add_f32_e32 v30, v30, v37
	v_fma_f32 v3, v10, v69, -v3
	s_waitcnt vmcnt(34)
	v_fmac_f32_e32 v39, v21, v74
	v_add_f32_e32 v30, v30, v38
	s_waitcnt vmcnt(33) lgkmcnt(0)
	v_mul_f32_e32 v31, v26, v75
	v_add_f32_e32 v2, v2, v3
	v_mul_f32_e32 v3, v13, v60
	v_add_f32_e32 v30, v30, v39
	s_waitcnt vmcnt(32)
	v_fmac_f32_e32 v31, v27, v76
	v_fma_f32 v3, v12, v70, -v3
	v_add_f32_e32 v34, v30, v31
	ds_read2_b64 v[30:33], v1 offset0:113 offset1:114
	v_add_f32_e32 v2, v2, v3
	v_mul_f32_e32 v3, v15, v61
	v_fma_f32 v3, v14, v71, -v3
	s_waitcnt vmcnt(31)
	v_mul_f32_e32 v35, v28, v77
	v_add_f32_e32 v2, v2, v3
	v_mul_f32_e32 v3, v17, v62
	s_waitcnt vmcnt(30)
	v_fmac_f32_e32 v35, v29, v78
	v_fma_f32 v3, v16, v72, -v3
	v_add_f32_e32 v38, v34, v35
	ds_read2_b64 v[34:37], v1 offset0:115 offset1:116
	v_add_f32_e32 v2, v2, v3
	v_mul_f32_e32 v3, v19, v63
	s_waitcnt vmcnt(29) lgkmcnt(1)
	v_mul_f32_e32 v39, v30, v79
	v_fma_f32 v3, v18, v73, -v3
	s_waitcnt vmcnt(28)
	v_fmac_f32_e32 v39, v31, v80
	v_add_f32_e32 v2, v2, v3
	v_mul_f32_e32 v3, v21, v64
	v_add_f32_e32 v38, v38, v39
	s_waitcnt vmcnt(27)
	v_mul_f32_e32 v39, v32, v81
	v_fma_f32 v3, v20, v74, -v3
	s_waitcnt vmcnt(26)
	v_fmac_f32_e32 v39, v33, v82
	v_add_f32_e32 v2, v2, v3
	v_mul_f32_e32 v3, v27, v75
	v_add_f32_e32 v38, v38, v39
	s_waitcnt vmcnt(25) lgkmcnt(0)
	v_mul_f32_e32 v39, v34, v83
	v_fma_f32 v3, v26, v76, -v3
	s_waitcnt vmcnt(24)
	v_fmac_f32_e32 v39, v35, v84
	v_add_f32_e32 v2, v2, v3
	v_mul_f32_e32 v3, v29, v77
	v_add_f32_e32 v42, v38, v39
	ds_read2_b64 v[38:41], v1 offset0:117 offset1:118
	v_fma_f32 v3, v28, v78, -v3
	v_add_f32_e32 v2, v2, v3
	v_mul_f32_e32 v3, v31, v79
	s_waitcnt vmcnt(23)
	v_mul_f32_e32 v43, v36, v85
	v_fma_f32 v3, v30, v80, -v3
	s_waitcnt vmcnt(22)
	v_fmac_f32_e32 v43, v37, v86
	v_add_f32_e32 v2, v2, v3
	v_mul_f32_e32 v3, v33, v81
	v_add_f32_e32 v46, v42, v43
	ds_read2_b64 v[42:45], v1 offset0:119 offset1:120
	v_fma_f32 v3, v32, v82, -v3
	s_waitcnt vmcnt(21) lgkmcnt(1)
	v_mul_f32_e32 v47, v38, v87
	v_add_f32_e32 v2, v2, v3
	v_mul_f32_e32 v3, v35, v83
	s_waitcnt vmcnt(20)
	v_fmac_f32_e32 v47, v39, v88
	v_fma_f32 v3, v34, v84, -v3
	v_add_f32_e32 v46, v46, v47
	s_waitcnt vmcnt(18)
	v_mul_f32_e32 v47, v40, v90
	v_add_f32_e32 v2, v2, v3
	v_mul_f32_e32 v3, v37, v85
	v_fmac_f32_e32 v47, v41, v89
	v_fma_f32 v3, v36, v86, -v3
	v_add_f32_e32 v46, v46, v47
	s_waitcnt vmcnt(15) lgkmcnt(0)
	v_mul_f32_e32 v47, v42, v93
	v_add_f32_e32 v2, v2, v3
	v_mul_f32_e32 v3, v39, v87
	s_waitcnt vmcnt(14)
	v_fmac_f32_e32 v47, v43, v94
	v_fma_f32 v3, v38, v88, -v3
	v_add_f32_e32 v50, v46, v47
	ds_read2_b64 v[46:49], v1 offset0:121 offset1:122
	v_add_f32_e32 v2, v2, v3
	v_mul_f32_e32 v3, v41, v90
	v_fma_f32 v3, v40, v89, -v3
	v_add_f32_e32 v2, v2, v3
	v_mul_f32_e32 v3, v43, v93
	s_waitcnt vmcnt(12)
	v_mul_f32_e32 v51, v44, v96
	v_fma_f32 v3, v42, v94, -v3
	v_fmac_f32_e32 v51, v45, v95
	v_add_f32_e32 v2, v2, v3
	v_mul_f32_e32 v3, v45, v96
	v_add_f32_e32 v54, v50, v51
	ds_read2_b64 v[50:53], v1 offset0:123 offset1:124
	s_waitcnt vmcnt(11) lgkmcnt(1)
	v_mul_f32_e32 v55, v46, v97
	v_fma_f32 v3, v44, v95, -v3
	s_waitcnt vmcnt(10)
	v_fmac_f32_e32 v55, v47, v98
	v_add_f32_e32 v2, v2, v3
	v_mul_f32_e32 v3, v47, v97
	v_add_f32_e32 v54, v54, v55
	s_waitcnt vmcnt(8)
	v_mul_f32_e32 v55, v48, v100
	v_fma_f32 v3, v46, v98, -v3
	v_fmac_f32_e32 v55, v49, v99
	v_add_f32_e32 v2, v2, v3
	v_mul_f32_e32 v3, v49, v100
	v_add_f32_e32 v109, v54, v55
	ds_read2_b64 v[54:57], v1 offset0:125 offset1:126
	v_fma_f32 v3, v48, v99, -v3
	v_add_f32_e32 v2, v2, v3
	s_waitcnt vmcnt(6) lgkmcnt(1)
	v_mul_f32_e32 v3, v51, v102
	v_mul_f32_e32 v110, v50, v102
	v_fma_f32 v3, v50, v101, -v3
	v_fmac_f32_e32 v110, v51, v101
	v_add_f32_e32 v2, v2, v3
	s_waitcnt vmcnt(4)
	v_mul_f32_e32 v3, v53, v104
	v_add_f32_e32 v1, v109, v110
	v_mul_f32_e32 v109, v52, v104
	v_fma_f32 v3, v52, v103, -v3
	v_fmac_f32_e32 v109, v53, v103
	v_add_f32_e32 v2, v2, v3
	s_waitcnt vmcnt(2) lgkmcnt(0)
	v_mul_f32_e32 v3, v55, v106
	v_add_f32_e32 v1, v1, v109
	v_mul_f32_e32 v109, v54, v106
	v_fma_f32 v3, v54, v105, -v3
	v_fmac_f32_e32 v109, v55, v105
	v_add_f32_e32 v2, v2, v3
	s_waitcnt vmcnt(0)
	v_mul_f32_e32 v3, v57, v108
	v_add_f32_e32 v1, v1, v109
	v_mul_f32_e32 v109, v56, v108
	v_fma_f32 v3, v56, v107, -v3
	v_fmac_f32_e32 v109, v57, v107
	v_add_f32_e32 v2, v2, v3
	v_add_f32_e32 v1, v1, v109
	v_sub_f32_e32 v2, v91, v2
	v_sub_f32_e32 v1, v92, v1
	buffer_store_dword v2, off, s[0:3], 0 offset:288
	buffer_store_dword v1, off, s[0:3], 0 offset:292
	s_and_saveexec_b64 s[4:5], vcc
	s_cbranch_execz .LBB62_321
; %bb.320:
	buffer_load_dword v1, off, s[0:3], 0 offset:280
	buffer_load_dword v2, off, s[0:3], 0 offset:284
	v_mov_b32_e32 v3, 0
	buffer_store_dword v3, off, s[0:3], 0 offset:280
	buffer_store_dword v3, off, s[0:3], 0 offset:284
	s_waitcnt vmcnt(2)
	ds_write_b64 v25, v[1:2]
.LBB62_321:
	s_or_b64 exec, exec, s[4:5]
	s_waitcnt lgkmcnt(0)
	; wave barrier
	buffer_load_dword v24, off, s[0:3], 0 offset:292
	buffer_load_dword v58, off, s[0:3], 0 offset:300
	;; [unrolled: 1-line block ×56, first 2 shown]
	v_mov_b32_e32 v1, 0
	ds_read_b128 v[2:5], v1 offset:800
	ds_read_b128 v[6:9], v1 offset:816
	ds_read_b128 v[10:13], v1 offset:832
	ds_read_b128 v[14:17], v1 offset:848
	ds_read_b128 v[18:21], v1 offset:864
	ds_read_b128 v[26:29], v1 offset:880
	ds_read_b128 v[38:41], v1 offset:928
	ds_read_b128 v[42:45], v1 offset:944
	ds_read_b128 v[46:49], v1 offset:960
	ds_read_b128 v[50:53], v1 offset:976
	ds_read_b128 v[54:57], v1 offset:992
	v_cmp_lt_u32_e32 vcc, 34, v0
	s_waitcnt vmcnt(55) lgkmcnt(10)
	v_mul_f32_e32 v22, v2, v24
	s_waitcnt vmcnt(54)
	v_mul_f32_e32 v23, v4, v58
	s_waitcnt vmcnt(53) lgkmcnt(9)
	v_mul_f32_e32 v30, v6, v59
	s_waitcnt vmcnt(52)
	v_mul_f32_e32 v31, v8, v60
	;; [unrolled: 4-line block ×4, first 2 shown]
	s_waitcnt vmcnt(47) lgkmcnt(6)
	v_mul_f32_e32 v36, v18, v65
	s_waitcnt vmcnt(46)
	v_fmac_f32_e32 v22, v3, v66
	v_mul_f32_e32 v3, v3, v24
	v_fma_f32 v2, v2, v66, -v3
	v_mul_f32_e32 v3, v5, v58
	v_add_f32_e32 v2, 0, v2
	s_waitcnt vmcnt(45)
	v_fma_f32 v3, v4, v67, -v3
	v_add_f32_e32 v2, v2, v3
	v_mul_f32_e32 v3, v7, v59
	s_waitcnt vmcnt(44)
	v_fma_f32 v3, v6, v68, -v3
	v_add_f32_e32 v2, v2, v3
	v_mul_f32_e32 v3, v9, v60
	;; [unrolled: 4-line block ×3, first 2 shown]
	s_waitcnt vmcnt(42)
	v_fma_f32 v3, v10, v70, -v3
	v_fmac_f32_e32 v23, v5, v67
	v_add_f32_e32 v22, 0, v22
	v_add_f32_e32 v2, v2, v3
	v_mul_f32_e32 v3, v13, v62
	v_fmac_f32_e32 v30, v7, v68
	v_add_f32_e32 v22, v22, v23
	s_waitcnt vmcnt(41)
	v_fma_f32 v3, v12, v71, -v3
	v_fmac_f32_e32 v31, v9, v69
	v_add_f32_e32 v22, v22, v30
	v_add_f32_e32 v2, v2, v3
	v_mul_f32_e32 v3, v15, v63
	v_fmac_f32_e32 v32, v11, v70
	v_add_f32_e32 v22, v22, v31
	s_waitcnt vmcnt(40)
	v_fma_f32 v3, v14, v72, -v3
	v_fmac_f32_e32 v33, v13, v71
	v_add_f32_e32 v22, v22, v32
	v_add_f32_e32 v2, v2, v3
	v_mul_f32_e32 v3, v17, v64
	v_fmac_f32_e32 v34, v15, v72
	v_add_f32_e32 v22, v22, v33
	s_waitcnt vmcnt(39)
	v_fma_f32 v3, v16, v73, -v3
	v_fmac_f32_e32 v35, v17, v73
	v_add_f32_e32 v22, v22, v34
	v_add_f32_e32 v2, v2, v3
	v_mul_f32_e32 v3, v19, v65
	v_add_f32_e32 v22, v22, v35
	s_waitcnt vmcnt(38)
	v_fmac_f32_e32 v36, v19, v74
	s_waitcnt vmcnt(37)
	v_mul_f32_e32 v23, v20, v75
	v_fma_f32 v3, v18, v74, -v3
	v_add_f32_e32 v22, v22, v36
	s_waitcnt vmcnt(36)
	v_fmac_f32_e32 v23, v21, v76
	ds_read_b128 v[30:33], v1 offset:896
	ds_read_b128 v[34:37], v1 offset:912
	v_add_f32_e32 v2, v2, v3
	v_mul_f32_e32 v3, v21, v75
	v_add_f32_e32 v22, v22, v23
	s_waitcnt vmcnt(35) lgkmcnt(7)
	v_mul_f32_e32 v23, v26, v77
	v_fma_f32 v3, v20, v76, -v3
	s_waitcnt vmcnt(34)
	v_fmac_f32_e32 v23, v27, v78
	v_add_f32_e32 v2, v2, v3
	v_mul_f32_e32 v3, v27, v77
	v_add_f32_e32 v22, v22, v23
	s_waitcnt vmcnt(33)
	v_mul_f32_e32 v23, v28, v79
	v_fma_f32 v3, v26, v78, -v3
	s_waitcnt vmcnt(32)
	v_fmac_f32_e32 v23, v29, v80
	v_add_f32_e32 v2, v2, v3
	v_mul_f32_e32 v3, v29, v79
	v_add_f32_e32 v22, v22, v23
	s_waitcnt vmcnt(31) lgkmcnt(1)
	v_mul_f32_e32 v23, v30, v81
	v_fma_f32 v3, v28, v80, -v3
	s_waitcnt vmcnt(30)
	v_fmac_f32_e32 v23, v31, v82
	v_add_f32_e32 v2, v2, v3
	v_mul_f32_e32 v3, v31, v81
	v_add_f32_e32 v22, v22, v23
	s_waitcnt vmcnt(29)
	v_mul_f32_e32 v23, v32, v83
	v_fma_f32 v3, v30, v82, -v3
	s_waitcnt vmcnt(28)
	v_fmac_f32_e32 v23, v33, v84
	v_add_f32_e32 v2, v2, v3
	v_mul_f32_e32 v3, v33, v83
	v_add_f32_e32 v22, v22, v23
	s_waitcnt vmcnt(27) lgkmcnt(0)
	v_mul_f32_e32 v23, v34, v85
	v_fma_f32 v3, v32, v84, -v3
	s_waitcnt vmcnt(26)
	v_fmac_f32_e32 v23, v35, v86
	v_add_f32_e32 v2, v2, v3
	v_mul_f32_e32 v3, v35, v85
	v_add_f32_e32 v22, v22, v23
	s_waitcnt vmcnt(24)
	v_mul_f32_e32 v23, v36, v88
	v_fma_f32 v3, v34, v86, -v3
	v_fmac_f32_e32 v23, v37, v87
	v_add_f32_e32 v2, v2, v3
	v_mul_f32_e32 v3, v37, v88
	v_add_f32_e32 v22, v22, v23
	s_waitcnt vmcnt(21)
	v_mul_f32_e32 v23, v38, v91
	v_fma_f32 v3, v36, v87, -v3
	s_waitcnt vmcnt(20)
	v_fmac_f32_e32 v23, v39, v92
	v_add_f32_e32 v2, v2, v3
	v_mul_f32_e32 v3, v39, v91
	v_add_f32_e32 v22, v22, v23
	s_waitcnt vmcnt(18)
	v_mul_f32_e32 v23, v40, v94
	v_fma_f32 v3, v38, v92, -v3
	v_fmac_f32_e32 v23, v41, v93
	v_add_f32_e32 v2, v2, v3
	v_mul_f32_e32 v3, v41, v94
	v_add_f32_e32 v22, v22, v23
	s_waitcnt vmcnt(16)
	v_mul_f32_e32 v23, v42, v96
	v_fma_f32 v3, v40, v93, -v3
	;; [unrolled: 7-line block ×7, first 2 shown]
	v_fmac_f32_e32 v23, v53, v105
	v_add_f32_e32 v2, v2, v3
	v_mul_f32_e32 v3, v53, v106
	v_add_f32_e32 v113, v22, v23
	ds_read_b64 v[22:23], v1 offset:1008
	v_fma_f32 v3, v52, v105, -v3
	v_add_f32_e32 v2, v2, v3
	s_waitcnt vmcnt(4)
	v_mul_f32_e32 v3, v55, v108
	v_mul_f32_e32 v114, v54, v108
	v_fma_f32 v3, v54, v107, -v3
	v_fmac_f32_e32 v114, v55, v107
	v_add_f32_e32 v2, v2, v3
	s_waitcnt vmcnt(2)
	v_mul_f32_e32 v3, v57, v110
	v_add_f32_e32 v113, v113, v114
	v_mul_f32_e32 v114, v56, v110
	v_fma_f32 v3, v56, v109, -v3
	v_fmac_f32_e32 v114, v57, v109
	v_add_f32_e32 v2, v2, v3
	s_waitcnt vmcnt(0) lgkmcnt(0)
	v_mul_f32_e32 v3, v23, v112
	v_add_f32_e32 v113, v113, v114
	v_mul_f32_e32 v114, v22, v112
	v_fma_f32 v3, v22, v111, -v3
	v_fmac_f32_e32 v114, v23, v111
	v_add_f32_e32 v2, v2, v3
	v_add_f32_e32 v113, v113, v114
	v_sub_f32_e32 v2, v89, v2
	v_sub_f32_e32 v3, v90, v113
	buffer_store_dword v2, off, s[0:3], 0 offset:280
	buffer_store_dword v3, off, s[0:3], 0 offset:284
	s_and_saveexec_b64 s[4:5], vcc
	s_cbranch_execz .LBB62_323
; %bb.322:
	buffer_load_dword v2, off, s[0:3], 0 offset:272
	buffer_load_dword v3, off, s[0:3], 0 offset:276
	s_waitcnt vmcnt(0)
	ds_write_b64 v25, v[2:3]
	buffer_store_dword v1, off, s[0:3], 0 offset:272
	buffer_store_dword v1, off, s[0:3], 0 offset:276
.LBB62_323:
	s_or_b64 exec, exec, s[4:5]
	s_waitcnt lgkmcnt(0)
	; wave barrier
	buffer_load_dword v22, off, s[0:3], 0 offset:284
	buffer_load_dword v23, off, s[0:3], 0 offset:292
	;; [unrolled: 1-line block ×34, first 2 shown]
	ds_read2_b64 v[2:5], v1 offset0:99 offset1:100
	ds_read2_b64 v[6:9], v1 offset0:101 offset1:102
	buffer_load_dword v93, off, s[0:3], 0 offset:412
	buffer_load_dword v94, off, s[0:3], 0 offset:408
	;; [unrolled: 1-line block ×6, first 2 shown]
	ds_read2_b64 v[10:13], v1 offset0:103 offset1:104
	ds_read2_b64 v[14:17], v1 offset0:105 offset1:106
	;; [unrolled: 1-line block ×4, first 2 shown]
	buffer_load_dword v99, off, s[0:3], 0 offset:436
	buffer_load_dword v100, off, s[0:3], 0 offset:432
	;; [unrolled: 1-line block ×18, first 2 shown]
	v_cmp_lt_u32_e32 vcc, 33, v0
	s_waitcnt vmcnt(57) lgkmcnt(5)
	v_mul_f32_e32 v30, v2, v22
	s_waitcnt vmcnt(56)
	v_mul_f32_e32 v31, v4, v23
	s_waitcnt vmcnt(55) lgkmcnt(4)
	v_mul_f32_e32 v32, v6, v24
	s_waitcnt vmcnt(54)
	v_mul_f32_e32 v33, v8, v62
	;; [unrolled: 4-line block ×4, first 2 shown]
	s_waitcnt vmcnt(49)
	v_fmac_f32_e32 v30, v3, v67
	s_waitcnt vmcnt(48)
	v_fmac_f32_e32 v31, v5, v68
	v_add_f32_e32 v30, 0, v30
	s_waitcnt vmcnt(47)
	v_fmac_f32_e32 v32, v7, v69
	v_add_f32_e32 v30, v30, v31
	;; [unrolled: 3-line block ×4, first 2 shown]
	v_mul_f32_e32 v3, v3, v22
	s_waitcnt vmcnt(44)
	v_fmac_f32_e32 v35, v13, v72
	v_add_f32_e32 v30, v30, v34
	v_fma_f32 v2, v2, v67, -v3
	v_mul_f32_e32 v3, v5, v23
	s_waitcnt vmcnt(43)
	v_fmac_f32_e32 v36, v15, v73
	v_add_f32_e32 v30, v30, v35
	v_add_f32_e32 v2, 0, v2
	v_fma_f32 v3, v4, v68, -v3
	s_waitcnt vmcnt(42)
	v_fmac_f32_e32 v37, v17, v74
	v_add_f32_e32 v30, v30, v36
	s_waitcnt vmcnt(41) lgkmcnt(1)
	v_mul_f32_e32 v31, v18, v75
	v_add_f32_e32 v2, v2, v3
	v_mul_f32_e32 v3, v7, v24
	v_add_f32_e32 v30, v30, v37
	s_waitcnt vmcnt(40)
	v_fmac_f32_e32 v31, v19, v76
	v_fma_f32 v3, v6, v69, -v3
	v_add_f32_e32 v30, v30, v31
	s_waitcnt vmcnt(39)
	v_mul_f32_e32 v31, v20, v77
	v_add_f32_e32 v2, v2, v3
	v_mul_f32_e32 v3, v9, v62
	s_waitcnt vmcnt(38)
	v_fmac_f32_e32 v31, v21, v78
	v_fma_f32 v3, v8, v70, -v3
	v_add_f32_e32 v30, v30, v31
	s_waitcnt vmcnt(37) lgkmcnt(0)
	v_mul_f32_e32 v31, v26, v79
	v_add_f32_e32 v2, v2, v3
	v_mul_f32_e32 v3, v11, v63
	s_waitcnt vmcnt(36)
	v_fmac_f32_e32 v31, v27, v80
	v_fma_f32 v3, v10, v71, -v3
	v_add_f32_e32 v34, v30, v31
	ds_read2_b64 v[30:33], v1 offset0:111 offset1:112
	v_add_f32_e32 v2, v2, v3
	v_mul_f32_e32 v3, v13, v64
	v_fma_f32 v3, v12, v72, -v3
	s_waitcnt vmcnt(35)
	v_mul_f32_e32 v35, v28, v81
	v_add_f32_e32 v2, v2, v3
	v_mul_f32_e32 v3, v15, v65
	s_waitcnt vmcnt(34)
	v_fmac_f32_e32 v35, v29, v82
	v_fma_f32 v3, v14, v73, -v3
	v_add_f32_e32 v38, v34, v35
	ds_read2_b64 v[34:37], v1 offset0:113 offset1:114
	v_add_f32_e32 v2, v2, v3
	v_mul_f32_e32 v3, v17, v66
	s_waitcnt vmcnt(33) lgkmcnt(1)
	v_mul_f32_e32 v39, v30, v83
	v_fma_f32 v3, v16, v74, -v3
	s_waitcnt vmcnt(32)
	v_fmac_f32_e32 v39, v31, v84
	v_add_f32_e32 v2, v2, v3
	v_mul_f32_e32 v3, v19, v75
	v_add_f32_e32 v38, v38, v39
	s_waitcnt vmcnt(31)
	v_mul_f32_e32 v39, v32, v85
	v_fma_f32 v3, v18, v76, -v3
	s_waitcnt vmcnt(30)
	v_fmac_f32_e32 v39, v33, v86
	v_add_f32_e32 v2, v2, v3
	v_mul_f32_e32 v3, v21, v77
	v_add_f32_e32 v38, v38, v39
	s_waitcnt vmcnt(29) lgkmcnt(0)
	v_mul_f32_e32 v39, v34, v87
	v_fma_f32 v3, v20, v78, -v3
	s_waitcnt vmcnt(28)
	v_fmac_f32_e32 v39, v35, v88
	v_add_f32_e32 v2, v2, v3
	v_mul_f32_e32 v3, v27, v79
	v_add_f32_e32 v42, v38, v39
	ds_read2_b64 v[38:41], v1 offset0:115 offset1:116
	v_fma_f32 v3, v26, v80, -v3
	v_add_f32_e32 v2, v2, v3
	v_mul_f32_e32 v3, v29, v81
	s_waitcnt vmcnt(25)
	v_mul_f32_e32 v43, v36, v91
	v_fma_f32 v3, v28, v82, -v3
	s_waitcnt vmcnt(24)
	v_fmac_f32_e32 v43, v37, v92
	v_add_f32_e32 v2, v2, v3
	v_mul_f32_e32 v3, v31, v83
	v_add_f32_e32 v46, v42, v43
	ds_read2_b64 v[42:45], v1 offset0:117 offset1:118
	v_fma_f32 v3, v30, v84, -v3
	s_waitcnt vmcnt(23) lgkmcnt(1)
	v_mul_f32_e32 v47, v38, v93
	v_add_f32_e32 v2, v2, v3
	v_mul_f32_e32 v3, v33, v85
	s_waitcnt vmcnt(22)
	v_fmac_f32_e32 v47, v39, v94
	v_fma_f32 v3, v32, v86, -v3
	v_add_f32_e32 v46, v46, v47
	s_waitcnt vmcnt(20)
	v_mul_f32_e32 v47, v40, v96
	v_add_f32_e32 v2, v2, v3
	v_mul_f32_e32 v3, v35, v87
	v_fmac_f32_e32 v47, v41, v95
	v_fma_f32 v3, v34, v88, -v3
	v_add_f32_e32 v46, v46, v47
	s_waitcnt vmcnt(18) lgkmcnt(0)
	v_mul_f32_e32 v47, v42, v98
	v_add_f32_e32 v2, v2, v3
	v_mul_f32_e32 v3, v37, v91
	v_fmac_f32_e32 v47, v43, v97
	v_fma_f32 v3, v36, v92, -v3
	v_add_f32_e32 v50, v46, v47
	ds_read2_b64 v[46:49], v1 offset0:119 offset1:120
	v_add_f32_e32 v2, v2, v3
	v_mul_f32_e32 v3, v39, v93
	v_fma_f32 v3, v38, v94, -v3
	s_waitcnt vmcnt(17)
	v_mul_f32_e32 v51, v44, v99
	v_add_f32_e32 v2, v2, v3
	v_mul_f32_e32 v3, v41, v96
	s_waitcnt vmcnt(16)
	v_fmac_f32_e32 v51, v45, v100
	v_fma_f32 v3, v40, v95, -v3
	v_add_f32_e32 v54, v50, v51
	ds_read2_b64 v[50:53], v1 offset0:121 offset1:122
	v_add_f32_e32 v2, v2, v3
	v_mul_f32_e32 v3, v43, v98
	s_waitcnt vmcnt(14) lgkmcnt(1)
	v_mul_f32_e32 v55, v46, v102
	v_fma_f32 v3, v42, v97, -v3
	v_fmac_f32_e32 v55, v47, v101
	v_add_f32_e32 v2, v2, v3
	v_mul_f32_e32 v3, v45, v99
	v_add_f32_e32 v54, v54, v55
	s_waitcnt vmcnt(12)
	v_mul_f32_e32 v55, v48, v104
	v_fma_f32 v3, v44, v100, -v3
	v_fmac_f32_e32 v55, v49, v103
	v_add_f32_e32 v2, v2, v3
	v_mul_f32_e32 v3, v47, v102
	v_add_f32_e32 v54, v54, v55
	s_waitcnt vmcnt(10) lgkmcnt(0)
	v_mul_f32_e32 v55, v50, v106
	v_fma_f32 v3, v46, v101, -v3
	v_fmac_f32_e32 v55, v51, v105
	v_add_f32_e32 v2, v2, v3
	v_mul_f32_e32 v3, v49, v104
	v_add_f32_e32 v58, v54, v55
	ds_read2_b64 v[54:57], v1 offset0:123 offset1:124
	v_fma_f32 v3, v48, v103, -v3
	v_add_f32_e32 v2, v2, v3
	v_mul_f32_e32 v3, v51, v106
	s_waitcnt vmcnt(8)
	v_mul_f32_e32 v59, v52, v108
	v_fma_f32 v3, v50, v105, -v3
	v_fmac_f32_e32 v59, v53, v107
	v_add_f32_e32 v2, v2, v3
	v_mul_f32_e32 v3, v53, v108
	v_add_f32_e32 v117, v58, v59
	ds_read2_b64 v[58:61], v1 offset0:125 offset1:126
	v_fma_f32 v3, v52, v107, -v3
	v_add_f32_e32 v2, v2, v3
	s_waitcnt vmcnt(6) lgkmcnt(1)
	v_mul_f32_e32 v3, v55, v110
	v_mul_f32_e32 v1, v54, v110
	v_fma_f32 v3, v54, v109, -v3
	v_fmac_f32_e32 v1, v55, v109
	v_add_f32_e32 v2, v2, v3
	s_waitcnt vmcnt(4)
	v_mul_f32_e32 v3, v57, v112
	v_add_f32_e32 v1, v117, v1
	v_mul_f32_e32 v117, v56, v112
	v_fma_f32 v3, v56, v111, -v3
	v_fmac_f32_e32 v117, v57, v111
	v_add_f32_e32 v2, v2, v3
	s_waitcnt vmcnt(2) lgkmcnt(0)
	v_mul_f32_e32 v3, v59, v114
	v_add_f32_e32 v1, v1, v117
	v_mul_f32_e32 v117, v58, v114
	v_fma_f32 v3, v58, v113, -v3
	v_fmac_f32_e32 v117, v59, v113
	v_add_f32_e32 v2, v2, v3
	s_waitcnt vmcnt(0)
	v_mul_f32_e32 v3, v61, v116
	v_add_f32_e32 v1, v1, v117
	v_mul_f32_e32 v117, v60, v116
	v_fma_f32 v3, v60, v115, -v3
	v_fmac_f32_e32 v117, v61, v115
	v_add_f32_e32 v2, v2, v3
	v_add_f32_e32 v1, v1, v117
	v_sub_f32_e32 v2, v89, v2
	v_sub_f32_e32 v1, v90, v1
	buffer_store_dword v2, off, s[0:3], 0 offset:272
	buffer_store_dword v1, off, s[0:3], 0 offset:276
	s_and_saveexec_b64 s[4:5], vcc
	s_cbranch_execz .LBB62_325
; %bb.324:
	buffer_load_dword v1, off, s[0:3], 0 offset:264
	buffer_load_dword v2, off, s[0:3], 0 offset:268
	v_mov_b32_e32 v3, 0
	buffer_store_dword v3, off, s[0:3], 0 offset:264
	buffer_store_dword v3, off, s[0:3], 0 offset:268
	s_waitcnt vmcnt(2)
	ds_write_b64 v25, v[1:2]
.LBB62_325:
	s_or_b64 exec, exec, s[4:5]
	s_waitcnt lgkmcnt(0)
	; wave barrier
	buffer_load_dword v24, off, s[0:3], 0 offset:276
	buffer_load_dword v62, off, s[0:3], 0 offset:284
	;; [unrolled: 1-line block ×60, first 2 shown]
	v_mov_b32_e32 v1, 0
	ds_read_b128 v[2:5], v1 offset:784
	ds_read_b128 v[6:9], v1 offset:800
	;; [unrolled: 1-line block ×12, first 2 shown]
	v_cmp_lt_u32_e32 vcc, 32, v0
	s_waitcnt vmcnt(59) lgkmcnt(11)
	v_mul_f32_e32 v22, v2, v24
	s_waitcnt vmcnt(58)
	v_mul_f32_e32 v23, v4, v62
	s_waitcnt vmcnt(57) lgkmcnt(10)
	v_mul_f32_e32 v26, v6, v63
	s_waitcnt vmcnt(56)
	v_mul_f32_e32 v27, v8, v64
	;; [unrolled: 4-line block ×3, first 2 shown]
	s_waitcnt vmcnt(53) lgkmcnt(8)
	v_mul_f32_e32 v30, v14, v67
	s_waitcnt vmcnt(52)
	v_fmac_f32_e32 v22, v3, v68
	v_mul_f32_e32 v3, v3, v24
	v_fma_f32 v2, v2, v68, -v3
	v_mul_f32_e32 v3, v5, v62
	v_add_f32_e32 v2, 0, v2
	s_waitcnt vmcnt(51)
	v_fma_f32 v3, v4, v69, -v3
	v_add_f32_e32 v2, v2, v3
	v_mul_f32_e32 v3, v7, v63
	s_waitcnt vmcnt(50)
	v_fma_f32 v3, v6, v70, -v3
	v_add_f32_e32 v2, v2, v3
	v_mul_f32_e32 v3, v9, v64
	s_waitcnt vmcnt(49)
	v_fma_f32 v3, v8, v71, -v3
	v_fmac_f32_e32 v23, v5, v69
	v_add_f32_e32 v22, 0, v22
	v_add_f32_e32 v2, v2, v3
	v_mul_f32_e32 v3, v11, v65
	v_fmac_f32_e32 v26, v7, v70
	v_add_f32_e32 v22, v22, v23
	s_waitcnt vmcnt(48)
	v_fma_f32 v3, v10, v72, -v3
	v_fmac_f32_e32 v27, v9, v71
	v_add_f32_e32 v22, v22, v26
	v_add_f32_e32 v2, v2, v3
	v_mul_f32_e32 v3, v13, v66
	v_fmac_f32_e32 v28, v11, v72
	v_add_f32_e32 v22, v22, v27
	s_waitcnt vmcnt(47)
	v_fma_f32 v3, v12, v73, -v3
	v_fmac_f32_e32 v29, v13, v73
	v_add_f32_e32 v22, v22, v28
	v_add_f32_e32 v2, v2, v3
	v_mul_f32_e32 v3, v15, v67
	s_waitcnt vmcnt(46)
	v_fmac_f32_e32 v30, v15, v74
	v_add_f32_e32 v22, v22, v29
	s_waitcnt vmcnt(45)
	v_mul_f32_e32 v23, v16, v75
	v_fma_f32 v3, v14, v74, -v3
	v_add_f32_e32 v22, v22, v30
	s_waitcnt vmcnt(44)
	v_fmac_f32_e32 v23, v17, v76
	ds_read_b128 v[26:29], v1 offset:864
	ds_read_b128 v[30:33], v1 offset:880
	v_add_f32_e32 v2, v2, v3
	v_mul_f32_e32 v3, v17, v75
	v_add_f32_e32 v22, v22, v23
	s_waitcnt vmcnt(43) lgkmcnt(9)
	v_mul_f32_e32 v23, v18, v77
	v_fma_f32 v3, v16, v76, -v3
	s_waitcnt vmcnt(42)
	v_fmac_f32_e32 v23, v19, v78
	v_add_f32_e32 v2, v2, v3
	v_mul_f32_e32 v3, v19, v77
	v_add_f32_e32 v22, v22, v23
	s_waitcnt vmcnt(41)
	v_mul_f32_e32 v23, v20, v79
	v_fma_f32 v3, v18, v78, -v3
	s_waitcnt vmcnt(40)
	v_fmac_f32_e32 v23, v21, v80
	v_add_f32_e32 v2, v2, v3
	v_mul_f32_e32 v3, v21, v79
	v_add_f32_e32 v22, v22, v23
	s_waitcnt vmcnt(39) lgkmcnt(1)
	v_mul_f32_e32 v23, v26, v81
	v_fma_f32 v3, v20, v80, -v3
	s_waitcnt vmcnt(38)
	v_fmac_f32_e32 v23, v27, v82
	v_add_f32_e32 v2, v2, v3
	v_mul_f32_e32 v3, v27, v81
	v_add_f32_e32 v22, v22, v23
	s_waitcnt vmcnt(37)
	v_mul_f32_e32 v23, v28, v83
	v_fma_f32 v3, v26, v82, -v3
	s_waitcnt vmcnt(36)
	v_fmac_f32_e32 v23, v29, v84
	v_add_f32_e32 v2, v2, v3
	v_mul_f32_e32 v3, v29, v83
	v_add_f32_e32 v22, v22, v23
	s_waitcnt vmcnt(34) lgkmcnt(0)
	v_mul_f32_e32 v23, v30, v86
	v_fma_f32 v3, v28, v84, -v3
	v_fmac_f32_e32 v23, v31, v85
	v_add_f32_e32 v2, v2, v3
	v_mul_f32_e32 v3, v31, v86
	v_add_f32_e32 v22, v22, v23
	s_waitcnt vmcnt(31)
	v_mul_f32_e32 v23, v32, v89
	v_fma_f32 v3, v30, v85, -v3
	s_waitcnt vmcnt(30)
	v_fmac_f32_e32 v23, v33, v90
	v_add_f32_e32 v2, v2, v3
	v_mul_f32_e32 v3, v33, v89
	v_add_f32_e32 v22, v22, v23
	s_waitcnt vmcnt(28)
	v_mul_f32_e32 v23, v34, v92
	v_fma_f32 v3, v32, v90, -v3
	v_fmac_f32_e32 v23, v35, v91
	v_add_f32_e32 v2, v2, v3
	v_mul_f32_e32 v3, v35, v92
	v_add_f32_e32 v22, v22, v23
	s_waitcnt vmcnt(26)
	v_mul_f32_e32 v23, v36, v94
	v_fma_f32 v3, v34, v91, -v3
	;; [unrolled: 7-line block ×12, first 2 shown]
	v_fmac_f32_e32 v23, v57, v113
	v_add_f32_e32 v2, v2, v3
	v_mul_f32_e32 v3, v57, v114
	v_add_f32_e32 v121, v22, v23
	ds_read_b64 v[22:23], v1 offset:1008
	v_fma_f32 v3, v56, v113, -v3
	v_add_f32_e32 v2, v2, v3
	s_waitcnt vmcnt(4)
	v_mul_f32_e32 v3, v59, v116
	v_mul_f32_e32 v122, v58, v116
	v_fma_f32 v3, v58, v115, -v3
	v_fmac_f32_e32 v122, v59, v115
	v_add_f32_e32 v2, v2, v3
	s_waitcnt vmcnt(2)
	v_mul_f32_e32 v3, v61, v118
	v_add_f32_e32 v121, v121, v122
	v_mul_f32_e32 v122, v60, v118
	v_fma_f32 v3, v60, v117, -v3
	v_fmac_f32_e32 v122, v61, v117
	v_add_f32_e32 v2, v2, v3
	s_waitcnt vmcnt(0) lgkmcnt(0)
	v_mul_f32_e32 v3, v23, v120
	v_add_f32_e32 v121, v121, v122
	v_mul_f32_e32 v122, v22, v120
	v_fma_f32 v3, v22, v119, -v3
	v_fmac_f32_e32 v122, v23, v119
	v_add_f32_e32 v2, v2, v3
	v_add_f32_e32 v121, v121, v122
	v_sub_f32_e32 v2, v87, v2
	v_sub_f32_e32 v3, v88, v121
	buffer_store_dword v2, off, s[0:3], 0 offset:264
	buffer_store_dword v3, off, s[0:3], 0 offset:268
	s_and_saveexec_b64 s[4:5], vcc
	s_cbranch_execz .LBB62_327
; %bb.326:
	buffer_load_dword v2, off, s[0:3], 0 offset:256
	buffer_load_dword v3, off, s[0:3], 0 offset:260
	s_waitcnt vmcnt(0)
	ds_write_b64 v25, v[2:3]
	buffer_store_dword v1, off, s[0:3], 0 offset:256
	buffer_store_dword v1, off, s[0:3], 0 offset:260
.LBB62_327:
	s_or_b64 exec, exec, s[4:5]
	s_waitcnt lgkmcnt(0)
	; wave barrier
	buffer_load_dword v22, off, s[0:3], 0 offset:268
	buffer_load_dword v23, off, s[0:3], 0 offset:276
	;; [unrolled: 1-line block ×32, first 2 shown]
	ds_read2_b64 v[2:5], v1 offset0:97 offset1:98
	ds_read2_b64 v[6:9], v1 offset0:99 offset1:100
	;; [unrolled: 1-line block ×4, first 2 shown]
	buffer_load_dword v95, off, s[0:3], 0 offset:388
	buffer_load_dword v96, off, s[0:3], 0 offset:384
	;; [unrolled: 1-line block ×30, first 2 shown]
	v_cmp_lt_u32_e32 vcc, 31, v0
	s_waitcnt vmcnt(61) lgkmcnt(3)
	v_mul_f32_e32 v18, v2, v22
	s_waitcnt vmcnt(60)
	v_mul_f32_e32 v19, v4, v23
	s_waitcnt vmcnt(59) lgkmcnt(2)
	v_mul_f32_e32 v20, v6, v24
	s_waitcnt vmcnt(58)
	v_mul_f32_e32 v21, v8, v66
	;; [unrolled: 4-line block ×3, first 2 shown]
	s_waitcnt vmcnt(55) lgkmcnt(0)
	v_mul_f32_e32 v28, v14, v69
	s_waitcnt vmcnt(54)
	v_fmac_f32_e32 v18, v3, v70
	s_waitcnt vmcnt(53)
	v_fmac_f32_e32 v19, v5, v71
	v_add_f32_e32 v18, 0, v18
	s_waitcnt vmcnt(52)
	v_fmac_f32_e32 v20, v7, v72
	v_add_f32_e32 v18, v18, v19
	;; [unrolled: 3-line block ×6, first 2 shown]
	v_add_f32_e32 v26, v18, v28
	ds_read2_b64 v[18:21], v1 offset0:105 offset1:106
	s_waitcnt vmcnt(47)
	v_mul_f32_e32 v27, v16, v77
	s_waitcnt vmcnt(46)
	v_fmac_f32_e32 v27, v17, v78
	v_mul_f32_e32 v3, v3, v22
	v_add_f32_e32 v30, v26, v27
	ds_read2_b64 v[26:29], v1 offset0:107 offset1:108
	v_fma_f32 v2, v2, v70, -v3
	v_mul_f32_e32 v3, v5, v23
	s_waitcnt vmcnt(45) lgkmcnt(1)
	v_mul_f32_e32 v31, v18, v79
	v_add_f32_e32 v2, 0, v2
	v_fma_f32 v3, v4, v71, -v3
	s_waitcnt vmcnt(44)
	v_fmac_f32_e32 v31, v19, v80
	v_add_f32_e32 v2, v2, v3
	v_mul_f32_e32 v3, v7, v24
	v_add_f32_e32 v30, v30, v31
	s_waitcnt vmcnt(43)
	v_mul_f32_e32 v31, v20, v81
	v_fma_f32 v3, v6, v72, -v3
	s_waitcnt vmcnt(42)
	v_fmac_f32_e32 v31, v21, v82
	v_add_f32_e32 v2, v2, v3
	v_mul_f32_e32 v3, v9, v66
	v_add_f32_e32 v30, v30, v31
	s_waitcnt vmcnt(41) lgkmcnt(0)
	v_mul_f32_e32 v31, v26, v83
	v_fma_f32 v3, v8, v73, -v3
	s_waitcnt vmcnt(40)
	v_fmac_f32_e32 v31, v27, v84
	v_add_f32_e32 v2, v2, v3
	v_mul_f32_e32 v3, v11, v67
	v_add_f32_e32 v34, v30, v31
	ds_read2_b64 v[30:33], v1 offset0:109 offset1:110
	v_fma_f32 v3, v10, v74, -v3
	v_add_f32_e32 v2, v2, v3
	v_mul_f32_e32 v3, v13, v68
	s_waitcnt vmcnt(39)
	v_mul_f32_e32 v35, v28, v85
	v_fma_f32 v3, v12, v75, -v3
	s_waitcnt vmcnt(38)
	v_fmac_f32_e32 v35, v29, v86
	v_add_f32_e32 v2, v2, v3
	v_mul_f32_e32 v3, v15, v69
	v_add_f32_e32 v38, v34, v35
	ds_read2_b64 v[34:37], v1 offset0:111 offset1:112
	v_fma_f32 v3, v14, v76, -v3
	s_waitcnt vmcnt(35) lgkmcnt(1)
	v_mul_f32_e32 v39, v30, v89
	v_add_f32_e32 v2, v2, v3
	v_mul_f32_e32 v3, v17, v77
	s_waitcnt vmcnt(34)
	v_fmac_f32_e32 v39, v31, v90
	v_fma_f32 v3, v16, v78, -v3
	v_add_f32_e32 v38, v38, v39
	s_waitcnt vmcnt(32)
	v_mul_f32_e32 v39, v32, v92
	v_add_f32_e32 v2, v2, v3
	v_mul_f32_e32 v3, v19, v79
	v_fmac_f32_e32 v39, v33, v91
	v_fma_f32 v3, v18, v80, -v3
	v_add_f32_e32 v38, v38, v39
	s_waitcnt vmcnt(30) lgkmcnt(0)
	v_mul_f32_e32 v39, v34, v94
	v_add_f32_e32 v2, v2, v3
	v_mul_f32_e32 v3, v21, v81
	v_fmac_f32_e32 v39, v35, v93
	v_fma_f32 v3, v20, v82, -v3
	v_add_f32_e32 v42, v38, v39
	ds_read2_b64 v[38:41], v1 offset0:113 offset1:114
	v_add_f32_e32 v2, v2, v3
	v_mul_f32_e32 v3, v27, v83
	v_fma_f32 v3, v26, v84, -v3
	s_waitcnt vmcnt(29)
	v_mul_f32_e32 v43, v36, v95
	v_add_f32_e32 v2, v2, v3
	v_mul_f32_e32 v3, v29, v85
	s_waitcnt vmcnt(28)
	v_fmac_f32_e32 v43, v37, v96
	v_fma_f32 v3, v28, v86, -v3
	v_add_f32_e32 v46, v42, v43
	ds_read2_b64 v[42:45], v1 offset0:115 offset1:116
	v_add_f32_e32 v2, v2, v3
	v_mul_f32_e32 v3, v31, v89
	s_waitcnt vmcnt(26) lgkmcnt(1)
	v_mul_f32_e32 v47, v38, v98
	v_fma_f32 v3, v30, v90, -v3
	v_fmac_f32_e32 v47, v39, v97
	v_add_f32_e32 v2, v2, v3
	v_mul_f32_e32 v3, v33, v92
	v_add_f32_e32 v46, v46, v47
	s_waitcnt vmcnt(24)
	v_mul_f32_e32 v47, v40, v100
	v_fma_f32 v3, v32, v91, -v3
	v_fmac_f32_e32 v47, v41, v99
	v_add_f32_e32 v2, v2, v3
	v_mul_f32_e32 v3, v35, v94
	v_add_f32_e32 v46, v46, v47
	s_waitcnt vmcnt(22) lgkmcnt(0)
	v_mul_f32_e32 v47, v42, v102
	v_fma_f32 v3, v34, v93, -v3
	v_fmac_f32_e32 v47, v43, v101
	v_add_f32_e32 v2, v2, v3
	v_mul_f32_e32 v3, v37, v95
	v_add_f32_e32 v50, v46, v47
	ds_read2_b64 v[46:49], v1 offset0:117 offset1:118
	v_fma_f32 v3, v36, v96, -v3
	v_add_f32_e32 v2, v2, v3
	v_mul_f32_e32 v3, v39, v98
	s_waitcnt vmcnt(20)
	v_mul_f32_e32 v51, v44, v104
	v_fma_f32 v3, v38, v97, -v3
	v_fmac_f32_e32 v51, v45, v103
	v_add_f32_e32 v2, v2, v3
	v_mul_f32_e32 v3, v41, v100
	v_add_f32_e32 v54, v50, v51
	ds_read2_b64 v[50:53], v1 offset0:119 offset1:120
	v_fma_f32 v3, v40, v99, -v3
	s_waitcnt vmcnt(18) lgkmcnt(1)
	v_mul_f32_e32 v55, v46, v106
	v_add_f32_e32 v2, v2, v3
	v_mul_f32_e32 v3, v43, v102
	v_fmac_f32_e32 v55, v47, v105
	v_fma_f32 v3, v42, v101, -v3
	v_add_f32_e32 v54, v54, v55
	s_waitcnt vmcnt(16)
	v_mul_f32_e32 v55, v48, v108
	v_add_f32_e32 v2, v2, v3
	v_mul_f32_e32 v3, v45, v104
	v_fmac_f32_e32 v55, v49, v107
	v_fma_f32 v3, v44, v103, -v3
	v_add_f32_e32 v54, v54, v55
	s_waitcnt vmcnt(14) lgkmcnt(0)
	v_mul_f32_e32 v55, v50, v110
	v_add_f32_e32 v2, v2, v3
	v_mul_f32_e32 v3, v47, v106
	v_fmac_f32_e32 v55, v51, v109
	v_fma_f32 v3, v46, v105, -v3
	v_add_f32_e32 v58, v54, v55
	ds_read2_b64 v[54:57], v1 offset0:121 offset1:122
	v_add_f32_e32 v2, v2, v3
	v_mul_f32_e32 v3, v49, v108
	v_fma_f32 v3, v48, v107, -v3
	v_add_f32_e32 v2, v2, v3
	v_mul_f32_e32 v3, v51, v110
	s_waitcnt vmcnt(12)
	v_mul_f32_e32 v59, v52, v112
	v_fma_f32 v3, v50, v109, -v3
	v_fmac_f32_e32 v59, v53, v111
	v_add_f32_e32 v2, v2, v3
	v_mul_f32_e32 v3, v53, v112
	v_add_f32_e32 v62, v58, v59
	ds_read2_b64 v[58:61], v1 offset0:123 offset1:124
	s_waitcnt vmcnt(10) lgkmcnt(1)
	v_mul_f32_e32 v63, v54, v114
	v_fma_f32 v3, v52, v111, -v3
	v_fmac_f32_e32 v63, v55, v113
	v_add_f32_e32 v2, v2, v3
	v_mul_f32_e32 v3, v55, v114
	v_add_f32_e32 v62, v62, v63
	s_waitcnt vmcnt(8)
	v_mul_f32_e32 v63, v56, v116
	v_fma_f32 v3, v54, v113, -v3
	v_fmac_f32_e32 v63, v57, v115
	v_add_f32_e32 v2, v2, v3
	v_mul_f32_e32 v3, v57, v116
	v_add_f32_e32 v125, v62, v63
	ds_read2_b64 v[62:65], v1 offset0:125 offset1:126
	v_fma_f32 v3, v56, v115, -v3
	v_add_f32_e32 v2, v2, v3
	s_waitcnt vmcnt(6) lgkmcnt(1)
	v_mul_f32_e32 v3, v59, v118
	v_mul_f32_e32 v126, v58, v118
	v_fma_f32 v3, v58, v117, -v3
	v_fmac_f32_e32 v126, v59, v117
	v_add_f32_e32 v2, v2, v3
	s_waitcnt vmcnt(4)
	v_mul_f32_e32 v3, v61, v120
	v_add_f32_e32 v1, v125, v126
	v_mul_f32_e32 v125, v60, v120
	v_fma_f32 v3, v60, v119, -v3
	v_fmac_f32_e32 v125, v61, v119
	v_add_f32_e32 v2, v2, v3
	s_waitcnt vmcnt(2) lgkmcnt(0)
	v_mul_f32_e32 v3, v63, v122
	v_add_f32_e32 v1, v1, v125
	v_mul_f32_e32 v125, v62, v122
	v_fma_f32 v3, v62, v121, -v3
	v_fmac_f32_e32 v125, v63, v121
	v_add_f32_e32 v2, v2, v3
	s_waitcnt vmcnt(0)
	v_mul_f32_e32 v3, v65, v124
	v_add_f32_e32 v1, v1, v125
	v_mul_f32_e32 v125, v64, v124
	v_fma_f32 v3, v64, v123, -v3
	v_fmac_f32_e32 v125, v65, v123
	v_add_f32_e32 v2, v2, v3
	v_add_f32_e32 v1, v1, v125
	v_sub_f32_e32 v2, v87, v2
	v_sub_f32_e32 v1, v88, v1
	buffer_store_dword v2, off, s[0:3], 0 offset:256
	buffer_store_dword v1, off, s[0:3], 0 offset:260
	s_and_saveexec_b64 s[4:5], vcc
	s_cbranch_execz .LBB62_329
; %bb.328:
	buffer_load_dword v1, off, s[0:3], 0 offset:248
	buffer_load_dword v2, off, s[0:3], 0 offset:252
	v_mov_b32_e32 v3, 0
	buffer_store_dword v3, off, s[0:3], 0 offset:248
	buffer_store_dword v3, off, s[0:3], 0 offset:252
	s_waitcnt vmcnt(2)
	ds_write_b64 v25, v[1:2]
.LBB62_329:
	s_or_b64 exec, exec, s[4:5]
	s_waitcnt lgkmcnt(0)
	; wave barrier
	buffer_load_dword v24, off, s[0:3], 0 offset:260
	buffer_load_dword v66, off, s[0:3], 0 offset:268
	;; [unrolled: 1-line block ×56, first 2 shown]
	v_mov_b32_e32 v1, 0
	ds_read_b128 v[2:5], v1 offset:768
	buffer_load_dword v121, off, s[0:3], 0 offset:472
	buffer_load_dword v122, off, s[0:3], 0 offset:476
	ds_read_b128 v[6:9], v1 offset:784
	ds_read_b128 v[10:13], v1 offset:800
	;; [unrolled: 1-line block ×3, first 2 shown]
	buffer_load_dword v123, off, s[0:3], 0 offset:480
	buffer_load_dword v124, off, s[0:3], 0 offset:484
	buffer_load_dword v125, off, s[0:3], 0 offset:492
	buffer_load_dword v126, off, s[0:3], 0 offset:496
	buffer_load_dword v127, off, s[0:3], 0 offset:500
	buffer_load_dword v128, off, s[0:3], 0 offset:488
	ds_read_b128 v[30:33], v1 offset:864
	ds_read_b128 v[34:37], v1 offset:880
	;; [unrolled: 1-line block ×9, first 2 shown]
	v_cmp_lt_u32_e32 vcc, 30, v0
	s_waitcnt vmcnt(62) lgkmcnt(12)
	v_mul_f32_e32 v18, v2, v24
	v_mul_f32_e32 v19, v4, v66
	s_waitcnt vmcnt(61) lgkmcnt(11)
	v_mul_f32_e32 v20, v6, v67
	s_waitcnt vmcnt(60)
	v_mul_f32_e32 v21, v8, v68
	s_waitcnt vmcnt(59) lgkmcnt(10)
	v_mul_f32_e32 v22, v10, v69
	s_waitcnt vmcnt(58)
	;; [unrolled: 4-line block ×3, first 2 shown]
	v_mul_f32_e32 v27, v16, v72
	s_waitcnt vmcnt(55)
	v_fmac_f32_e32 v20, v7, v73
	s_waitcnt vmcnt(54)
	v_fmac_f32_e32 v19, v5, v74
	s_waitcnt vmcnt(53)
	v_fmac_f32_e32 v18, v3, v75
	v_mul_f32_e32 v3, v3, v24
	v_fma_f32 v2, v2, v75, -v3
	v_mul_f32_e32 v3, v5, v66
	v_add_f32_e32 v2, 0, v2
	v_fma_f32 v3, v4, v74, -v3
	v_add_f32_e32 v2, v2, v3
	v_mul_f32_e32 v3, v7, v67
	v_add_f32_e32 v18, 0, v18
	v_fma_f32 v3, v6, v73, -v3
	v_add_f32_e32 v18, v18, v19
	v_add_f32_e32 v2, v2, v3
	v_mul_f32_e32 v3, v9, v68
	s_waitcnt vmcnt(49)
	v_fmac_f32_e32 v21, v9, v79
	v_add_f32_e32 v18, v18, v20
	v_fma_f32 v3, v8, v79, -v3
	v_fmac_f32_e32 v22, v11, v78
	v_add_f32_e32 v18, v18, v21
	v_add_f32_e32 v2, v2, v3
	v_mul_f32_e32 v3, v11, v69
	v_fmac_f32_e32 v23, v13, v77
	v_add_f32_e32 v18, v18, v22
	v_fma_f32 v3, v10, v78, -v3
	v_add_f32_e32 v22, v18, v23
	ds_read_b128 v[18:21], v1 offset:832
	v_add_f32_e32 v2, v2, v3
	v_mul_f32_e32 v3, v13, v70
	v_fma_f32 v3, v12, v77, -v3
	v_fmac_f32_e32 v26, v15, v76
	v_add_f32_e32 v2, v2, v3
	v_mul_f32_e32 v3, v15, v71
	v_add_f32_e32 v22, v22, v26
	s_waitcnt vmcnt(44)
	v_fmac_f32_e32 v27, v17, v84
	v_fma_f32 v3, v14, v76, -v3
	v_add_f32_e32 v22, v22, v27
	ds_read_b128 v[26:29], v1 offset:848
	v_add_f32_e32 v2, v2, v3
	v_mul_f32_e32 v3, v17, v72
	s_waitcnt vmcnt(43) lgkmcnt(1)
	v_mul_f32_e32 v23, v18, v85
	v_fma_f32 v3, v16, v84, -v3
	v_fmac_f32_e32 v23, v19, v83
	v_add_f32_e32 v2, v2, v3
	v_mul_f32_e32 v3, v19, v85
	v_add_f32_e32 v22, v22, v23
	s_waitcnt vmcnt(42)
	v_mul_f32_e32 v23, v20, v86
	v_fma_f32 v3, v18, v83, -v3
	v_fmac_f32_e32 v23, v21, v82
	v_add_f32_e32 v2, v2, v3
	v_mul_f32_e32 v3, v21, v86
	v_add_f32_e32 v22, v22, v23
	s_waitcnt lgkmcnt(0)
	v_mul_f32_e32 v23, v26, v81
	v_fma_f32 v3, v20, v82, -v3
	v_fmac_f32_e32 v23, v27, v80
	v_add_f32_e32 v2, v2, v3
	v_mul_f32_e32 v3, v27, v81
	v_add_f32_e32 v22, v22, v23
	s_waitcnt vmcnt(41)
	v_mul_f32_e32 v23, v28, v87
	v_fma_f32 v3, v26, v80, -v3
	s_waitcnt vmcnt(34)
	v_fmac_f32_e32 v23, v29, v94
	v_add_f32_e32 v2, v2, v3
	v_mul_f32_e32 v3, v29, v87
	v_add_f32_e32 v22, v22, v23
	v_mul_f32_e32 v23, v30, v89
	v_fma_f32 v3, v28, v94, -v3
	v_fmac_f32_e32 v23, v31, v88
	v_add_f32_e32 v2, v2, v3
	v_mul_f32_e32 v3, v31, v89
	v_add_f32_e32 v22, v22, v23
	v_mul_f32_e32 v23, v32, v91
	v_fma_f32 v3, v30, v88, -v3
	;; [unrolled: 6-line block ×3, first 2 shown]
	v_fmac_f32_e32 v23, v35, v92
	v_add_f32_e32 v2, v2, v3
	v_mul_f32_e32 v3, v35, v93
	v_add_f32_e32 v22, v22, v23
	s_waitcnt vmcnt(30)
	v_mul_f32_e32 v23, v36, v98
	v_fma_f32 v3, v34, v92, -v3
	v_fmac_f32_e32 v23, v37, v97
	v_add_f32_e32 v2, v2, v3
	v_mul_f32_e32 v3, v37, v98
	v_add_f32_e32 v22, v22, v23
	s_waitcnt vmcnt(28)
	v_mul_f32_e32 v23, v38, v100
	v_fma_f32 v3, v36, v97, -v3
	;; [unrolled: 7-line block ×13, first 2 shown]
	v_fmac_f32_e32 v23, v61, v121
	v_add_f32_e32 v2, v2, v3
	v_mul_f32_e32 v3, v61, v122
	v_add_f32_e32 v129, v22, v23
	ds_read_b64 v[22:23], v1 offset:1008
	v_fma_f32 v3, v60, v121, -v3
	v_add_f32_e32 v2, v2, v3
	s_waitcnt vmcnt(4)
	v_mul_f32_e32 v3, v63, v124
	v_mul_f32_e32 v130, v62, v124
	v_fma_f32 v3, v62, v123, -v3
	v_fmac_f32_e32 v130, v63, v123
	v_add_f32_e32 v2, v2, v3
	s_waitcnt vmcnt(3)
	v_mul_f32_e32 v3, v65, v125
	v_add_f32_e32 v129, v129, v130
	v_mul_f32_e32 v130, v64, v125
	s_waitcnt vmcnt(0)
	v_fma_f32 v3, v64, v128, -v3
	v_fmac_f32_e32 v130, v65, v128
	v_add_f32_e32 v2, v2, v3
	s_waitcnt lgkmcnt(0)
	v_mul_f32_e32 v3, v23, v127
	v_add_f32_e32 v129, v129, v130
	v_mul_f32_e32 v130, v22, v127
	v_fma_f32 v3, v22, v126, -v3
	v_fmac_f32_e32 v130, v23, v126
	v_add_f32_e32 v2, v2, v3
	v_add_f32_e32 v129, v129, v130
	v_sub_f32_e32 v2, v95, v2
	v_sub_f32_e32 v3, v96, v129
	buffer_store_dword v2, off, s[0:3], 0 offset:248
	buffer_store_dword v3, off, s[0:3], 0 offset:252
	s_and_saveexec_b64 s[4:5], vcc
	s_cbranch_execz .LBB62_331
; %bb.330:
	buffer_load_dword v2, off, s[0:3], 0 offset:240
	buffer_load_dword v3, off, s[0:3], 0 offset:244
	s_waitcnt vmcnt(0)
	ds_write_b64 v25, v[2:3]
	buffer_store_dword v1, off, s[0:3], 0 offset:240
	buffer_store_dword v1, off, s[0:3], 0 offset:244
.LBB62_331:
	s_or_b64 exec, exec, s[4:5]
	s_waitcnt lgkmcnt(0)
	; wave barrier
	buffer_load_dword v22, off, s[0:3], 0 offset:308
	buffer_load_dword v23, off, s[0:3], 0 offset:252
	;; [unrolled: 1-line block ×32, first 2 shown]
	ds_read2_b64 v[2:5], v1 offset0:95 offset1:96
	ds_read2_b64 v[6:9], v1 offset0:97 offset1:98
	;; [unrolled: 1-line block ×4, first 2 shown]
	buffer_load_dword v99, off, s[0:3], 0 offset:368
	buffer_load_dword v100, off, s[0:3], 0 offset:372
	buffer_load_dword v101, off, s[0:3], 0 offset:376
	buffer_load_dword v102, off, s[0:3], 0 offset:380
	buffer_load_dword v103, off, s[0:3], 0 offset:384
	buffer_load_dword v104, off, s[0:3], 0 offset:388
	buffer_load_dword v105, off, s[0:3], 0 offset:392
	buffer_load_dword v106, off, s[0:3], 0 offset:396
	buffer_load_dword v107, off, s[0:3], 0 offset:400
	buffer_load_dword v108, off, s[0:3], 0 offset:404
	buffer_load_dword v109, off, s[0:3], 0 offset:408
	buffer_load_dword v110, off, s[0:3], 0 offset:412
	buffer_load_dword v111, off, s[0:3], 0 offset:416
	buffer_load_dword v112, off, s[0:3], 0 offset:420
	buffer_load_dword v113, off, s[0:3], 0 offset:424
	buffer_load_dword v114, off, s[0:3], 0 offset:428
	buffer_load_dword v115, off, s[0:3], 0 offset:432
	buffer_load_dword v116, off, s[0:3], 0 offset:436
	buffer_load_dword v117, off, s[0:3], 0 offset:440
	buffer_load_dword v118, off, s[0:3], 0 offset:444
	buffer_load_dword v119, off, s[0:3], 0 offset:448
	buffer_load_dword v120, off, s[0:3], 0 offset:452
	buffer_load_dword v121, off, s[0:3], 0 offset:456
	buffer_load_dword v122, off, s[0:3], 0 offset:460
	buffer_load_dword v123, off, s[0:3], 0 offset:464
	buffer_load_dword v124, off, s[0:3], 0 offset:468
	buffer_load_dword v125, off, s[0:3], 0 offset:472
	buffer_load_dword v126, off, s[0:3], 0 offset:476
	buffer_load_dword v127, off, s[0:3], 0 offset:484
	buffer_load_dword v128, off, s[0:3], 0 offset:488
	buffer_load_dword v129, off, s[0:3], 0 offset:492
	buffer_load_dword v130, off, s[0:3], 0 offset:480
	v_cmp_lt_u32_e32 vcc, 29, v0
	s_waitcnt vmcnt(62) lgkmcnt(0)
	v_mul_f32_e32 v29, v16, v22
	v_mul_f32_e32 v18, v2, v23
	s_waitcnt vmcnt(61)
	v_mul_f32_e32 v19, v4, v24
	s_waitcnt vmcnt(60)
	;; [unrolled: 2-line block ×3, first 2 shown]
	v_fmac_f32_e32 v20, v7, v71
	s_waitcnt vmcnt(58)
	v_fmac_f32_e32 v19, v5, v72
	s_waitcnt vmcnt(57)
	v_fmac_f32_e32 v18, v3, v73
	v_add_f32_e32 v18, 0, v18
	s_waitcnt vmcnt(56)
	v_mul_f32_e32 v21, v8, v74
	v_add_f32_e32 v18, v18, v19
	s_waitcnt vmcnt(55)
	v_mul_f32_e32 v26, v10, v75
	;; [unrolled: 3-line block ×3, first 2 shown]
	s_waitcnt vmcnt(50)
	v_fmac_f32_e32 v26, v11, v80
	s_waitcnt vmcnt(49)
	v_fmac_f32_e32 v21, v9, v81
	v_add_f32_e32 v18, v18, v21
	v_mul_f32_e32 v28, v14, v77
	v_fmac_f32_e32 v27, v13, v79
	v_add_f32_e32 v18, v18, v26
	v_fmac_f32_e32 v28, v15, v78
	v_add_f32_e32 v18, v18, v27
	s_waitcnt vmcnt(44)
	v_fmac_f32_e32 v29, v17, v86
	v_add_f32_e32 v26, v18, v28
	ds_read2_b64 v[18:21], v1 offset0:103 offset1:104
	v_add_f32_e32 v30, v26, v29
	ds_read2_b64 v[26:29], v1 offset0:105 offset1:106
	buffer_load_dword v131, off, s[0:3], 0 offset:496
	buffer_load_dword v132, off, s[0:3], 0 offset:500
	v_mul_f32_e32 v3, v3, v23
	s_waitcnt vmcnt(45) lgkmcnt(1)
	v_mul_f32_e32 v31, v18, v87
	v_fmac_f32_e32 v31, v19, v85
	v_fma_f32 v2, v2, v73, -v3
	v_mul_f32_e32 v3, v5, v24
	v_add_f32_e32 v30, v30, v31
	v_mul_f32_e32 v31, v20, v83
	v_add_f32_e32 v2, 0, v2
	v_fma_f32 v3, v4, v72, -v3
	v_fmac_f32_e32 v31, v21, v82
	v_add_f32_e32 v2, v2, v3
	v_mul_f32_e32 v3, v7, v70
	v_add_f32_e32 v30, v30, v31
	s_waitcnt vmcnt(44) lgkmcnt(0)
	v_mul_f32_e32 v31, v26, v88
	v_fma_f32 v3, v6, v71, -v3
	v_fmac_f32_e32 v31, v27, v84
	v_add_f32_e32 v2, v2, v3
	v_mul_f32_e32 v3, v9, v74
	v_add_f32_e32 v34, v30, v31
	ds_read2_b64 v[30:33], v1 offset0:107 offset1:108
	v_fma_f32 v3, v8, v81, -v3
	v_add_f32_e32 v2, v2, v3
	v_mul_f32_e32 v3, v11, v75
	s_waitcnt vmcnt(40)
	v_mul_f32_e32 v35, v28, v92
	v_fma_f32 v3, v10, v80, -v3
	v_fmac_f32_e32 v35, v29, v91
	v_add_f32_e32 v2, v2, v3
	v_mul_f32_e32 v3, v13, v76
	v_add_f32_e32 v38, v34, v35
	ds_read2_b64 v[34:37], v1 offset0:109 offset1:110
	v_fma_f32 v3, v12, v79, -v3
	s_waitcnt vmcnt(39) lgkmcnt(1)
	v_mul_f32_e32 v39, v30, v93
	v_add_f32_e32 v2, v2, v3
	v_mul_f32_e32 v3, v15, v77
	s_waitcnt vmcnt(34)
	v_fmac_f32_e32 v39, v31, v98
	v_fma_f32 v3, v14, v78, -v3
	v_add_f32_e32 v38, v38, v39
	v_mul_f32_e32 v39, v32, v95
	v_add_f32_e32 v2, v2, v3
	v_mul_f32_e32 v3, v17, v22
	v_fmac_f32_e32 v39, v33, v94
	v_fma_f32 v3, v16, v86, -v3
	v_add_f32_e32 v38, v38, v39
	s_waitcnt lgkmcnt(0)
	v_mul_f32_e32 v39, v34, v97
	v_add_f32_e32 v2, v2, v3
	v_mul_f32_e32 v3, v19, v87
	v_fmac_f32_e32 v39, v35, v96
	v_fma_f32 v3, v18, v85, -v3
	v_add_f32_e32 v42, v38, v39
	ds_read2_b64 v[38:41], v1 offset0:111 offset1:112
	v_add_f32_e32 v2, v2, v3
	v_mul_f32_e32 v3, v21, v83
	v_fma_f32 v3, v20, v82, -v3
	s_waitcnt vmcnt(32)
	v_mul_f32_e32 v43, v36, v100
	v_add_f32_e32 v2, v2, v3
	v_mul_f32_e32 v3, v27, v88
	v_fmac_f32_e32 v43, v37, v99
	v_fma_f32 v3, v26, v84, -v3
	v_add_f32_e32 v46, v42, v43
	ds_read2_b64 v[42:45], v1 offset0:113 offset1:114
	v_add_f32_e32 v2, v2, v3
	v_mul_f32_e32 v3, v29, v92
	s_waitcnt vmcnt(30) lgkmcnt(1)
	v_mul_f32_e32 v47, v38, v102
	v_fma_f32 v3, v28, v91, -v3
	v_fmac_f32_e32 v47, v39, v101
	v_add_f32_e32 v2, v2, v3
	v_mul_f32_e32 v3, v31, v93
	v_add_f32_e32 v46, v46, v47
	s_waitcnt vmcnt(28)
	v_mul_f32_e32 v47, v40, v104
	v_fma_f32 v3, v30, v98, -v3
	v_fmac_f32_e32 v47, v41, v103
	v_add_f32_e32 v2, v2, v3
	v_mul_f32_e32 v3, v33, v95
	v_add_f32_e32 v46, v46, v47
	s_waitcnt vmcnt(26) lgkmcnt(0)
	v_mul_f32_e32 v47, v42, v106
	v_fma_f32 v3, v32, v94, -v3
	v_fmac_f32_e32 v47, v43, v105
	v_add_f32_e32 v2, v2, v3
	v_mul_f32_e32 v3, v35, v97
	v_add_f32_e32 v50, v46, v47
	ds_read2_b64 v[46:49], v1 offset0:115 offset1:116
	v_fma_f32 v3, v34, v96, -v3
	v_add_f32_e32 v2, v2, v3
	v_mul_f32_e32 v3, v37, v100
	s_waitcnt vmcnt(24)
	v_mul_f32_e32 v51, v44, v108
	v_fma_f32 v3, v36, v99, -v3
	v_fmac_f32_e32 v51, v45, v107
	v_add_f32_e32 v2, v2, v3
	v_mul_f32_e32 v3, v39, v102
	v_add_f32_e32 v54, v50, v51
	ds_read2_b64 v[50:53], v1 offset0:117 offset1:118
	v_fma_f32 v3, v38, v101, -v3
	s_waitcnt vmcnt(22) lgkmcnt(1)
	v_mul_f32_e32 v55, v46, v110
	v_add_f32_e32 v2, v2, v3
	v_mul_f32_e32 v3, v41, v104
	v_fmac_f32_e32 v55, v47, v109
	v_fma_f32 v3, v40, v103, -v3
	v_add_f32_e32 v54, v54, v55
	s_waitcnt vmcnt(20)
	v_mul_f32_e32 v55, v48, v112
	v_add_f32_e32 v2, v2, v3
	v_mul_f32_e32 v3, v43, v106
	v_fmac_f32_e32 v55, v49, v111
	v_fma_f32 v3, v42, v105, -v3
	v_add_f32_e32 v54, v54, v55
	s_waitcnt vmcnt(18) lgkmcnt(0)
	v_mul_f32_e32 v55, v50, v114
	v_add_f32_e32 v2, v2, v3
	v_mul_f32_e32 v3, v45, v108
	v_fmac_f32_e32 v55, v51, v113
	v_fma_f32 v3, v44, v107, -v3
	v_add_f32_e32 v58, v54, v55
	ds_read2_b64 v[54:57], v1 offset0:119 offset1:120
	v_add_f32_e32 v2, v2, v3
	v_mul_f32_e32 v3, v47, v110
	v_fma_f32 v3, v46, v109, -v3
	s_waitcnt vmcnt(16)
	v_mul_f32_e32 v59, v52, v116
	v_add_f32_e32 v2, v2, v3
	v_mul_f32_e32 v3, v49, v112
	v_fmac_f32_e32 v59, v53, v115
	v_fma_f32 v3, v48, v111, -v3
	v_add_f32_e32 v62, v58, v59
	ds_read2_b64 v[58:61], v1 offset0:121 offset1:122
	v_add_f32_e32 v2, v2, v3
	v_mul_f32_e32 v3, v51, v114
	s_waitcnt vmcnt(14) lgkmcnt(1)
	v_mul_f32_e32 v63, v54, v118
	v_fma_f32 v3, v50, v113, -v3
	v_fmac_f32_e32 v63, v55, v117
	v_add_f32_e32 v2, v2, v3
	v_mul_f32_e32 v3, v53, v116
	v_add_f32_e32 v62, v62, v63
	s_waitcnt vmcnt(12)
	v_mul_f32_e32 v63, v56, v120
	v_fma_f32 v3, v52, v115, -v3
	v_fmac_f32_e32 v63, v57, v119
	v_add_f32_e32 v2, v2, v3
	v_mul_f32_e32 v3, v55, v118
	v_add_f32_e32 v62, v62, v63
	s_waitcnt vmcnt(10) lgkmcnt(0)
	v_mul_f32_e32 v63, v58, v122
	v_fma_f32 v3, v54, v117, -v3
	v_fmac_f32_e32 v63, v59, v121
	v_add_f32_e32 v2, v2, v3
	v_mul_f32_e32 v3, v57, v120
	v_add_f32_e32 v66, v62, v63
	ds_read2_b64 v[62:65], v1 offset0:123 offset1:124
	v_fma_f32 v3, v56, v119, -v3
	v_add_f32_e32 v2, v2, v3
	v_mul_f32_e32 v3, v59, v122
	s_waitcnt vmcnt(8)
	v_mul_f32_e32 v67, v60, v124
	v_fma_f32 v3, v58, v121, -v3
	v_fmac_f32_e32 v67, v61, v123
	v_add_f32_e32 v2, v2, v3
	v_mul_f32_e32 v3, v61, v124
	v_add_f32_e32 v133, v66, v67
	ds_read2_b64 v[66:69], v1 offset0:125 offset1:126
	v_fma_f32 v3, v60, v123, -v3
	v_add_f32_e32 v2, v2, v3
	s_waitcnt vmcnt(6) lgkmcnt(1)
	v_mul_f32_e32 v3, v63, v126
	v_mul_f32_e32 v1, v62, v126
	v_fma_f32 v3, v62, v125, -v3
	v_fmac_f32_e32 v1, v63, v125
	v_add_f32_e32 v2, v2, v3
	s_waitcnt vmcnt(5)
	v_mul_f32_e32 v3, v65, v127
	v_add_f32_e32 v1, v133, v1
	v_mul_f32_e32 v133, v64, v127
	s_waitcnt vmcnt(2)
	v_fma_f32 v3, v64, v130, -v3
	v_fmac_f32_e32 v133, v65, v130
	v_add_f32_e32 v2, v2, v3
	s_waitcnt lgkmcnt(0)
	v_mul_f32_e32 v3, v67, v129
	v_add_f32_e32 v1, v1, v133
	v_mul_f32_e32 v133, v66, v129
	v_fma_f32 v3, v66, v128, -v3
	v_fmac_f32_e32 v133, v67, v128
	v_add_f32_e32 v2, v2, v3
	s_waitcnt vmcnt(0)
	v_mul_f32_e32 v3, v69, v132
	v_add_f32_e32 v1, v1, v133
	v_mul_f32_e32 v133, v68, v132
	v_fma_f32 v3, v68, v131, -v3
	v_fmac_f32_e32 v133, v69, v131
	v_add_f32_e32 v2, v2, v3
	v_add_f32_e32 v1, v1, v133
	v_sub_f32_e32 v2, v89, v2
	v_sub_f32_e32 v1, v90, v1
	buffer_store_dword v2, off, s[0:3], 0 offset:240
	buffer_store_dword v1, off, s[0:3], 0 offset:244
	s_and_saveexec_b64 s[4:5], vcc
	s_cbranch_execz .LBB62_333
; %bb.332:
	buffer_load_dword v1, off, s[0:3], 0 offset:232
	buffer_load_dword v2, off, s[0:3], 0 offset:236
	v_mov_b32_e32 v3, 0
	buffer_store_dword v3, off, s[0:3], 0 offset:232
	buffer_store_dword v3, off, s[0:3], 0 offset:236
	s_waitcnt vmcnt(2)
	ds_write_b64 v25, v[1:2]
.LBB62_333:
	s_or_b64 exec, exec, s[4:5]
	s_waitcnt lgkmcnt(0)
	; wave barrier
	buffer_load_dword v24, off, s[0:3], 0 offset:300
	buffer_load_dword v70, off, s[0:3], 0 offset:244
	;; [unrolled: 1-line block ×58, first 2 shown]
	v_mov_b32_e32 v1, 0
	ds_read_b128 v[2:5], v1 offset:752
	ds_read_b128 v[6:9], v1 offset:768
	;; [unrolled: 1-line block ×5, first 2 shown]
	buffer_load_dword v127, off, s[0:3], 0 offset:464
	buffer_load_dword v128, off, s[0:3], 0 offset:468
	;; [unrolled: 1-line block ×6, first 2 shown]
	v_cmp_lt_u32_e32 vcc, 28, v0
	s_waitcnt vmcnt(62) lgkmcnt(1)
	v_mul_f32_e32 v31, v16, v24
	v_mul_f32_e32 v22, v2, v70
	s_waitcnt vmcnt(61)
	v_mul_f32_e32 v23, v4, v71
	s_waitcnt vmcnt(60)
	;; [unrolled: 2-line block ×3, first 2 shown]
	v_fmac_f32_e32 v26, v7, v73
	s_waitcnt vmcnt(58)
	v_fmac_f32_e32 v23, v5, v74
	s_waitcnt vmcnt(57)
	v_fmac_f32_e32 v22, v3, v75
	v_add_f32_e32 v22, 0, v22
	s_waitcnt vmcnt(56)
	v_mul_f32_e32 v27, v8, v76
	v_add_f32_e32 v22, v22, v23
	s_waitcnt vmcnt(55)
	v_mul_f32_e32 v28, v10, v77
	;; [unrolled: 3-line block ×3, first 2 shown]
	s_waitcnt vmcnt(50)
	v_fmac_f32_e32 v28, v11, v82
	s_waitcnt vmcnt(49)
	v_fmac_f32_e32 v27, v9, v83
	v_add_f32_e32 v22, v22, v27
	v_fmac_f32_e32 v29, v13, v81
	v_add_f32_e32 v22, v22, v28
	v_add_f32_e32 v22, v22, v29
	ds_read_b128 v[26:29], v1 offset:832
	buffer_load_dword v133, off, s[0:3], 0 offset:492
	buffer_load_dword v134, off, s[0:3], 0 offset:496
	;; [unrolled: 1-line block ×4, first 2 shown]
	v_mul_f32_e32 v3, v3, v70
	v_fma_f32 v2, v2, v75, -v3
	v_mul_f32_e32 v3, v5, v71
	v_add_f32_e32 v2, 0, v2
	v_fma_f32 v3, v4, v74, -v3
	v_add_f32_e32 v2, v2, v3
	v_mul_f32_e32 v3, v7, v72
	v_fma_f32 v3, v6, v73, -v3
	v_add_f32_e32 v2, v2, v3
	v_mul_f32_e32 v3, v9, v76
	;; [unrolled: 3-line block ×5, first 2 shown]
	v_mul_f32_e32 v30, v14, v79
	v_fma_f32 v3, v14, v80, -v3
	v_fmac_f32_e32 v30, v15, v80
	v_add_f32_e32 v2, v2, v3
	v_mul_f32_e32 v3, v17, v24
	s_waitcnt vmcnt(48)
	v_fmac_f32_e32 v31, v17, v88
	v_add_f32_e32 v22, v22, v30
	s_waitcnt vmcnt(47) lgkmcnt(1)
	v_mul_f32_e32 v23, v18, v89
	v_fma_f32 v3, v16, v88, -v3
	v_add_f32_e32 v22, v22, v31
	v_fmac_f32_e32 v23, v19, v87
	v_add_f32_e32 v2, v2, v3
	v_mul_f32_e32 v3, v19, v89
	v_add_f32_e32 v22, v22, v23
	s_waitcnt vmcnt(46)
	v_mul_f32_e32 v23, v20, v90
	v_fma_f32 v3, v18, v87, -v3
	v_fmac_f32_e32 v23, v21, v86
	ds_read_b128 v[30:33], v1 offset:848
	ds_read_b128 v[34:37], v1 offset:864
	v_add_f32_e32 v2, v2, v3
	v_mul_f32_e32 v3, v21, v90
	v_add_f32_e32 v22, v22, v23
	s_waitcnt lgkmcnt(2)
	v_mul_f32_e32 v23, v26, v85
	v_fma_f32 v3, v20, v86, -v3
	v_fmac_f32_e32 v23, v27, v84
	v_add_f32_e32 v2, v2, v3
	v_mul_f32_e32 v3, v27, v85
	v_add_f32_e32 v22, v22, v23
	s_waitcnt vmcnt(42)
	v_mul_f32_e32 v23, v28, v94
	v_fma_f32 v3, v26, v84, -v3
	v_fmac_f32_e32 v23, v29, v93
	v_add_f32_e32 v2, v2, v3
	v_mul_f32_e32 v3, v29, v94
	v_add_f32_e32 v22, v22, v23
	s_waitcnt vmcnt(40) lgkmcnt(1)
	v_mul_f32_e32 v23, v30, v96
	v_fma_f32 v3, v28, v93, -v3
	v_fmac_f32_e32 v23, v31, v95
	v_add_f32_e32 v2, v2, v3
	v_mul_f32_e32 v3, v31, v96
	v_add_f32_e32 v22, v22, v23
	s_waitcnt vmcnt(38)
	v_mul_f32_e32 v23, v32, v98
	v_fma_f32 v3, v30, v95, -v3
	v_fmac_f32_e32 v23, v33, v97
	ds_read_b128 v[38:41], v1 offset:880
	ds_read_b128 v[42:45], v1 offset:896
	v_add_f32_e32 v2, v2, v3
	v_mul_f32_e32 v3, v33, v98
	v_add_f32_e32 v22, v22, v23
	s_waitcnt vmcnt(36) lgkmcnt(2)
	v_mul_f32_e32 v23, v34, v100
	v_fma_f32 v3, v32, v97, -v3
	v_fmac_f32_e32 v23, v35, v99
	v_add_f32_e32 v2, v2, v3
	v_mul_f32_e32 v3, v35, v100
	v_add_f32_e32 v22, v22, v23
	s_waitcnt vmcnt(34)
	v_mul_f32_e32 v23, v36, v102
	v_fma_f32 v3, v34, v99, -v3
	v_fmac_f32_e32 v23, v37, v101
	v_add_f32_e32 v2, v2, v3
	v_mul_f32_e32 v3, v37, v102
	v_add_f32_e32 v22, v22, v23
	s_waitcnt vmcnt(32) lgkmcnt(1)
	v_mul_f32_e32 v23, v38, v104
	v_fma_f32 v3, v36, v101, -v3
	v_fmac_f32_e32 v23, v39, v103
	v_add_f32_e32 v2, v2, v3
	v_mul_f32_e32 v3, v39, v104
	v_add_f32_e32 v22, v22, v23
	s_waitcnt vmcnt(30)
	v_mul_f32_e32 v23, v40, v106
	v_fma_f32 v3, v38, v103, -v3
	v_fmac_f32_e32 v23, v41, v105
	ds_read_b128 v[46:49], v1 offset:912
	ds_read_b128 v[50:53], v1 offset:928
	v_add_f32_e32 v2, v2, v3
	v_mul_f32_e32 v3, v41, v106
	v_add_f32_e32 v22, v22, v23
	s_waitcnt vmcnt(28) lgkmcnt(2)
	;; [unrolled: 30-line block ×4, first 2 shown]
	v_mul_f32_e32 v23, v58, v124
	v_fma_f32 v3, v56, v121, -v3
	v_fmac_f32_e32 v23, v59, v123
	v_add_f32_e32 v2, v2, v3
	v_mul_f32_e32 v3, v59, v124
	v_add_f32_e32 v22, v22, v23
	s_waitcnt vmcnt(10)
	v_mul_f32_e32 v23, v60, v126
	v_fma_f32 v3, v58, v123, -v3
	v_fmac_f32_e32 v23, v61, v125
	v_add_f32_e32 v2, v2, v3
	v_mul_f32_e32 v3, v61, v126
	v_add_f32_e32 v22, v22, v23
	s_waitcnt vmcnt(8) lgkmcnt(1)
	v_mul_f32_e32 v23, v62, v128
	v_fma_f32 v3, v60, v125, -v3
	v_fmac_f32_e32 v23, v63, v127
	v_add_f32_e32 v2, v2, v3
	v_mul_f32_e32 v3, v63, v128
	v_add_f32_e32 v22, v22, v23
	s_waitcnt vmcnt(7)
	v_mul_f32_e32 v23, v64, v129
	v_fma_f32 v3, v62, v127, -v3
	s_waitcnt vmcnt(4)
	v_fmac_f32_e32 v23, v65, v132
	v_add_f32_e32 v2, v2, v3
	v_mul_f32_e32 v3, v65, v129
	v_add_f32_e32 v137, v22, v23
	ds_read_b64 v[22:23], v1 offset:1008
	v_fma_f32 v3, v64, v132, -v3
	v_add_f32_e32 v2, v2, v3
	s_waitcnt lgkmcnt(1)
	v_mul_f32_e32 v3, v67, v131
	v_mul_f32_e32 v138, v66, v131
	v_fma_f32 v3, v66, v130, -v3
	v_fmac_f32_e32 v138, v67, v130
	v_add_f32_e32 v2, v2, v3
	s_waitcnt vmcnt(3)
	v_mul_f32_e32 v3, v69, v133
	v_add_f32_e32 v137, v137, v138
	v_mul_f32_e32 v138, v68, v133
	s_waitcnt vmcnt(0)
	v_fma_f32 v3, v68, v136, -v3
	v_fmac_f32_e32 v138, v69, v136
	v_add_f32_e32 v2, v2, v3
	s_waitcnt lgkmcnt(0)
	v_mul_f32_e32 v3, v23, v135
	v_add_f32_e32 v137, v137, v138
	v_mul_f32_e32 v138, v22, v135
	v_fma_f32 v3, v22, v134, -v3
	v_fmac_f32_e32 v138, v23, v134
	v_add_f32_e32 v2, v2, v3
	v_add_f32_e32 v137, v137, v138
	v_sub_f32_e32 v2, v91, v2
	v_sub_f32_e32 v3, v92, v137
	buffer_store_dword v2, off, s[0:3], 0 offset:232
	buffer_store_dword v3, off, s[0:3], 0 offset:236
	s_and_saveexec_b64 s[4:5], vcc
	s_cbranch_execz .LBB62_335
; %bb.334:
	buffer_load_dword v2, off, s[0:3], 0 offset:224
	buffer_load_dword v3, off, s[0:3], 0 offset:228
	s_waitcnt vmcnt(0)
	ds_write_b64 v25, v[2:3]
	buffer_store_dword v1, off, s[0:3], 0 offset:224
	buffer_store_dword v1, off, s[0:3], 0 offset:228
.LBB62_335:
	s_or_b64 exec, exec, s[4:5]
	s_waitcnt lgkmcnt(0)
	; wave barrier
	buffer_load_dword v22, off, s[0:3], 0 offset:236
	buffer_load_dword v23, off, s[0:3], 0 offset:244
	;; [unrolled: 1-line block ×32, first 2 shown]
	ds_read2_b64 v[2:5], v1 offset0:93 offset1:94
	ds_read2_b64 v[6:9], v1 offset0:95 offset1:96
	;; [unrolled: 1-line block ×6, first 2 shown]
	buffer_load_dword v103, off, s[0:3], 0 offset:352
	buffer_load_dword v104, off, s[0:3], 0 offset:356
	;; [unrolled: 1-line block ×38, first 2 shown]
	v_cmp_lt_u32_e32 vcc, 27, v0
	s_waitcnt vmcnt(62) lgkmcnt(5)
	v_mul_f32_e32 v30, v2, v22
	v_mul_f32_e32 v31, v4, v23
	s_waitcnt lgkmcnt(4)
	v_mul_f32_e32 v32, v6, v24
	v_mul_f32_e32 v33, v8, v74
	s_waitcnt lgkmcnt(3)
	v_mul_f32_e32 v34, v10, v75
	v_mul_f32_e32 v35, v12, v76
	s_waitcnt lgkmcnt(2)
	v_mul_f32_e32 v36, v14, v77
	v_mul_f32_e32 v37, v16, v78
	s_waitcnt vmcnt(61)
	v_fmac_f32_e32 v32, v7, v79
	s_waitcnt vmcnt(60)
	v_fmac_f32_e32 v31, v5, v80
	;; [unrolled: 2-line block ×3, first 2 shown]
	v_add_f32_e32 v30, 0, v30
	v_add_f32_e32 v30, v30, v31
	;; [unrolled: 1-line block ×3, first 2 shown]
	s_waitcnt vmcnt(55)
	v_fmac_f32_e32 v33, v9, v85
	v_fmac_f32_e32 v34, v11, v84
	v_add_f32_e32 v30, v30, v33
	v_fmac_f32_e32 v35, v13, v83
	v_add_f32_e32 v30, v30, v34
	;; [unrolled: 2-line block ×3, first 2 shown]
	s_waitcnt vmcnt(51)
	v_fmac_f32_e32 v37, v17, v89
	v_add_f32_e32 v30, v30, v36
	s_waitcnt vmcnt(50) lgkmcnt(1)
	v_mul_f32_e32 v31, v18, v90
	v_add_f32_e32 v30, v30, v37
	v_fmac_f32_e32 v31, v19, v88
	v_mul_f32_e32 v3, v3, v22
	v_add_f32_e32 v30, v30, v31
	s_waitcnt vmcnt(49)
	v_mul_f32_e32 v31, v20, v91
	v_fma_f32 v2, v2, v81, -v3
	v_mul_f32_e32 v3, v5, v23
	v_fmac_f32_e32 v31, v21, v87
	v_add_f32_e32 v2, 0, v2
	v_fma_f32 v3, v4, v80, -v3
	v_add_f32_e32 v30, v30, v31
	s_waitcnt vmcnt(48) lgkmcnt(0)
	v_mul_f32_e32 v31, v26, v92
	v_add_f32_e32 v2, v2, v3
	v_mul_f32_e32 v3, v7, v24
	v_fmac_f32_e32 v31, v27, v86
	v_fma_f32 v3, v6, v79, -v3
	v_add_f32_e32 v34, v30, v31
	ds_read2_b64 v[30:33], v1 offset0:105 offset1:106
	v_add_f32_e32 v2, v2, v3
	v_mul_f32_e32 v3, v9, v74
	v_fma_f32 v3, v8, v85, -v3
	s_waitcnt vmcnt(45)
	v_mul_f32_e32 v35, v28, v95
	v_add_f32_e32 v2, v2, v3
	v_mul_f32_e32 v3, v11, v75
	s_waitcnt vmcnt(38)
	v_fmac_f32_e32 v35, v29, v102
	v_fma_f32 v3, v10, v84, -v3
	v_add_f32_e32 v38, v34, v35
	ds_read2_b64 v[34:37], v1 offset0:107 offset1:108
	v_add_f32_e32 v2, v2, v3
	v_mul_f32_e32 v3, v13, v76
	s_waitcnt lgkmcnt(1)
	v_mul_f32_e32 v39, v30, v97
	v_fma_f32 v3, v12, v83, -v3
	v_fmac_f32_e32 v39, v31, v96
	v_add_f32_e32 v2, v2, v3
	v_mul_f32_e32 v3, v15, v77
	v_add_f32_e32 v38, v38, v39
	v_mul_f32_e32 v39, v32, v99
	v_fma_f32 v3, v14, v82, -v3
	v_fmac_f32_e32 v39, v33, v98
	v_add_f32_e32 v2, v2, v3
	v_mul_f32_e32 v3, v17, v78
	v_add_f32_e32 v38, v38, v39
	s_waitcnt lgkmcnt(0)
	v_mul_f32_e32 v39, v34, v101
	v_fma_f32 v3, v16, v89, -v3
	v_fmac_f32_e32 v39, v35, v100
	v_add_f32_e32 v2, v2, v3
	v_mul_f32_e32 v3, v19, v90
	v_add_f32_e32 v42, v38, v39
	ds_read2_b64 v[38:41], v1 offset0:109 offset1:110
	v_fma_f32 v3, v18, v88, -v3
	v_add_f32_e32 v2, v2, v3
	v_mul_f32_e32 v3, v21, v91
	s_waitcnt vmcnt(36)
	v_mul_f32_e32 v43, v36, v104
	v_fma_f32 v3, v20, v87, -v3
	v_fmac_f32_e32 v43, v37, v103
	v_add_f32_e32 v2, v2, v3
	v_mul_f32_e32 v3, v27, v92
	v_add_f32_e32 v46, v42, v43
	ds_read2_b64 v[42:45], v1 offset0:111 offset1:112
	v_fma_f32 v3, v26, v86, -v3
	s_waitcnt vmcnt(34) lgkmcnt(1)
	v_mul_f32_e32 v47, v38, v106
	v_add_f32_e32 v2, v2, v3
	v_mul_f32_e32 v3, v29, v95
	v_fmac_f32_e32 v47, v39, v105
	v_fma_f32 v3, v28, v102, -v3
	v_add_f32_e32 v46, v46, v47
	s_waitcnt vmcnt(32)
	v_mul_f32_e32 v47, v40, v108
	v_add_f32_e32 v2, v2, v3
	v_mul_f32_e32 v3, v31, v97
	v_fmac_f32_e32 v47, v41, v107
	v_fma_f32 v3, v30, v96, -v3
	v_add_f32_e32 v46, v46, v47
	s_waitcnt vmcnt(30) lgkmcnt(0)
	v_mul_f32_e32 v47, v42, v110
	v_add_f32_e32 v2, v2, v3
	v_mul_f32_e32 v3, v33, v99
	v_fmac_f32_e32 v47, v43, v109
	v_fma_f32 v3, v32, v98, -v3
	v_add_f32_e32 v50, v46, v47
	ds_read2_b64 v[46:49], v1 offset0:113 offset1:114
	v_add_f32_e32 v2, v2, v3
	v_mul_f32_e32 v3, v35, v101
	v_fma_f32 v3, v34, v100, -v3
	s_waitcnt vmcnt(28)
	v_mul_f32_e32 v51, v44, v112
	v_add_f32_e32 v2, v2, v3
	v_mul_f32_e32 v3, v37, v104
	v_fmac_f32_e32 v51, v45, v111
	v_fma_f32 v3, v36, v103, -v3
	v_add_f32_e32 v54, v50, v51
	ds_read2_b64 v[50:53], v1 offset0:115 offset1:116
	v_add_f32_e32 v2, v2, v3
	v_mul_f32_e32 v3, v39, v106
	s_waitcnt vmcnt(26) lgkmcnt(1)
	v_mul_f32_e32 v55, v46, v114
	v_fma_f32 v3, v38, v105, -v3
	v_fmac_f32_e32 v55, v47, v113
	v_add_f32_e32 v2, v2, v3
	v_mul_f32_e32 v3, v41, v108
	v_add_f32_e32 v54, v54, v55
	s_waitcnt vmcnt(24)
	v_mul_f32_e32 v55, v48, v116
	v_fma_f32 v3, v40, v107, -v3
	v_fmac_f32_e32 v55, v49, v115
	v_add_f32_e32 v2, v2, v3
	v_mul_f32_e32 v3, v43, v110
	v_add_f32_e32 v54, v54, v55
	s_waitcnt vmcnt(22) lgkmcnt(0)
	v_mul_f32_e32 v55, v50, v118
	v_fma_f32 v3, v42, v109, -v3
	v_fmac_f32_e32 v55, v51, v117
	v_add_f32_e32 v2, v2, v3
	v_mul_f32_e32 v3, v45, v112
	v_add_f32_e32 v58, v54, v55
	ds_read2_b64 v[54:57], v1 offset0:117 offset1:118
	v_fma_f32 v3, v44, v111, -v3
	v_add_f32_e32 v2, v2, v3
	v_mul_f32_e32 v3, v47, v114
	s_waitcnt vmcnt(20)
	v_mul_f32_e32 v59, v52, v120
	v_fma_f32 v3, v46, v113, -v3
	v_fmac_f32_e32 v59, v53, v119
	v_add_f32_e32 v2, v2, v3
	v_mul_f32_e32 v3, v49, v116
	v_add_f32_e32 v62, v58, v59
	ds_read2_b64 v[58:61], v1 offset0:119 offset1:120
	v_fma_f32 v3, v48, v115, -v3
	s_waitcnt vmcnt(18) lgkmcnt(1)
	v_mul_f32_e32 v63, v54, v122
	v_add_f32_e32 v2, v2, v3
	v_mul_f32_e32 v3, v51, v118
	v_fmac_f32_e32 v63, v55, v121
	v_fma_f32 v3, v50, v117, -v3
	v_add_f32_e32 v62, v62, v63
	s_waitcnt vmcnt(16)
	v_mul_f32_e32 v63, v56, v124
	v_add_f32_e32 v2, v2, v3
	v_mul_f32_e32 v3, v53, v120
	v_fmac_f32_e32 v63, v57, v123
	v_fma_f32 v3, v52, v119, -v3
	v_add_f32_e32 v62, v62, v63
	s_waitcnt vmcnt(14) lgkmcnt(0)
	v_mul_f32_e32 v63, v58, v126
	v_add_f32_e32 v2, v2, v3
	v_mul_f32_e32 v3, v55, v122
	v_fmac_f32_e32 v63, v59, v125
	v_fma_f32 v3, v54, v121, -v3
	v_add_f32_e32 v66, v62, v63
	ds_read2_b64 v[62:65], v1 offset0:121 offset1:122
	v_add_f32_e32 v2, v2, v3
	v_mul_f32_e32 v3, v57, v124
	v_fma_f32 v3, v56, v123, -v3
	v_add_f32_e32 v2, v2, v3
	v_mul_f32_e32 v3, v59, v126
	s_waitcnt vmcnt(12)
	v_mul_f32_e32 v67, v60, v128
	v_fma_f32 v3, v58, v125, -v3
	v_fmac_f32_e32 v67, v61, v127
	v_add_f32_e32 v2, v2, v3
	v_mul_f32_e32 v3, v61, v128
	v_add_f32_e32 v70, v66, v67
	ds_read2_b64 v[66:69], v1 offset0:123 offset1:124
	s_waitcnt vmcnt(10) lgkmcnt(1)
	v_mul_f32_e32 v71, v62, v130
	v_fma_f32 v3, v60, v127, -v3
	v_fmac_f32_e32 v71, v63, v129
	v_add_f32_e32 v2, v2, v3
	v_mul_f32_e32 v3, v63, v130
	v_add_f32_e32 v70, v70, v71
	s_waitcnt vmcnt(9)
	v_mul_f32_e32 v71, v64, v131
	v_fma_f32 v3, v62, v129, -v3
	s_waitcnt vmcnt(6)
	v_fmac_f32_e32 v71, v65, v134
	v_add_f32_e32 v2, v2, v3
	v_mul_f32_e32 v3, v65, v131
	v_add_f32_e32 v141, v70, v71
	ds_read2_b64 v[70:73], v1 offset0:125 offset1:126
	v_fma_f32 v3, v64, v134, -v3
	v_add_f32_e32 v2, v2, v3
	s_waitcnt lgkmcnt(1)
	v_mul_f32_e32 v3, v67, v133
	v_mul_f32_e32 v142, v66, v133
	v_fma_f32 v3, v66, v132, -v3
	v_fmac_f32_e32 v142, v67, v132
	v_add_f32_e32 v2, v2, v3
	s_waitcnt vmcnt(4)
	v_mul_f32_e32 v3, v69, v136
	v_add_f32_e32 v1, v141, v142
	v_mul_f32_e32 v141, v68, v136
	v_fma_f32 v3, v68, v135, -v3
	v_fmac_f32_e32 v141, v69, v135
	v_add_f32_e32 v2, v2, v3
	s_waitcnt vmcnt(3) lgkmcnt(0)
	v_mul_f32_e32 v3, v71, v137
	v_add_f32_e32 v1, v1, v141
	v_mul_f32_e32 v141, v70, v137
	s_waitcnt vmcnt(0)
	v_fma_f32 v3, v70, v140, -v3
	v_fmac_f32_e32 v141, v71, v140
	v_add_f32_e32 v2, v2, v3
	v_mul_f32_e32 v3, v73, v139
	v_add_f32_e32 v1, v1, v141
	v_mul_f32_e32 v141, v72, v139
	v_fma_f32 v3, v72, v138, -v3
	v_fmac_f32_e32 v141, v73, v138
	v_add_f32_e32 v2, v2, v3
	v_add_f32_e32 v1, v1, v141
	v_sub_f32_e32 v2, v93, v2
	v_sub_f32_e32 v1, v94, v1
	buffer_store_dword v2, off, s[0:3], 0 offset:224
	buffer_store_dword v1, off, s[0:3], 0 offset:228
	s_and_saveexec_b64 s[4:5], vcc
	s_cbranch_execz .LBB62_337
; %bb.336:
	buffer_load_dword v1, off, s[0:3], 0 offset:216
	buffer_load_dword v2, off, s[0:3], 0 offset:220
	v_mov_b32_e32 v3, 0
	buffer_store_dword v3, off, s[0:3], 0 offset:216
	buffer_store_dword v3, off, s[0:3], 0 offset:220
	s_waitcnt vmcnt(2)
	ds_write_b64 v25, v[1:2]
.LBB62_337:
	s_or_b64 exec, exec, s[4:5]
	s_waitcnt lgkmcnt(0)
	; wave barrier
	buffer_load_dword v24, off, s[0:3], 0 offset:228
	buffer_load_dword v74, off, s[0:3], 0 offset:236
	;; [unrolled: 1-line block ×56, first 2 shown]
	v_mov_b32_e32 v1, 0
	ds_read_b128 v[2:5], v1 offset:736
	ds_read_b128 v[6:9], v1 offset:752
	;; [unrolled: 1-line block ×6, first 2 shown]
	buffer_load_dword v129, off, s[0:3], 0 offset:440
	buffer_load_dword v130, off, s[0:3], 0 offset:444
	buffer_load_dword v131, off, s[0:3], 0 offset:448
	buffer_load_dword v132, off, s[0:3], 0 offset:452
	buffer_load_dword v133, off, s[0:3], 0 offset:460
	buffer_load_dword v134, off, s[0:3], 0 offset:464
	buffer_load_dword v135, off, s[0:3], 0 offset:468
	buffer_load_dword v136, off, s[0:3], 0 offset:456
	buffer_load_dword v137, off, s[0:3], 0 offset:472
	buffer_load_dword v138, off, s[0:3], 0 offset:476
	buffer_load_dword v139, off, s[0:3], 0 offset:480
	buffer_load_dword v140, off, s[0:3], 0 offset:484
	buffer_load_dword v141, off, s[0:3], 0 offset:492
	buffer_load_dword v142, off, s[0:3], 0 offset:496
	buffer_load_dword v143, off, s[0:3], 0 offset:500
	buffer_load_dword v144, off, s[0:3], 0 offset:488
	ds_read_b128 v[38:41], v1 offset:864
	ds_read_b128 v[42:45], v1 offset:880
	;; [unrolled: 1-line block ×9, first 2 shown]
	v_cmp_lt_u32_e32 vcc, 26, v0
	s_waitcnt vmcnt(62) lgkmcnt(14)
	v_mul_f32_e32 v22, v2, v24
	v_mul_f32_e32 v23, v4, v74
	s_waitcnt lgkmcnt(13)
	v_mul_f32_e32 v30, v6, v75
	v_mul_f32_e32 v31, v8, v76
	s_waitcnt lgkmcnt(12)
	;; [unrolled: 3-line block ×4, first 2 shown]
	v_mul_f32_e32 v36, v18, v81
	v_fmac_f32_e32 v30, v7, v82
	s_waitcnt vmcnt(61)
	v_fmac_f32_e32 v23, v5, v83
	s_waitcnt vmcnt(60)
	v_fmac_f32_e32 v22, v3, v84
	v_mul_f32_e32 v3, v3, v24
	v_fma_f32 v2, v2, v84, -v3
	v_mul_f32_e32 v3, v5, v74
	v_add_f32_e32 v2, 0, v2
	v_fma_f32 v3, v4, v83, -v3
	v_add_f32_e32 v2, v2, v3
	v_mul_f32_e32 v3, v7, v75
	v_fma_f32 v3, v6, v82, -v3
	v_add_f32_e32 v2, v2, v3
	v_mul_f32_e32 v3, v9, v76
	s_waitcnt vmcnt(56)
	v_fma_f32 v3, v8, v88, -v3
	v_add_f32_e32 v2, v2, v3
	v_mul_f32_e32 v3, v11, v77
	v_fma_f32 v3, v10, v87, -v3
	v_add_f32_e32 v22, 0, v22
	v_add_f32_e32 v2, v2, v3
	v_mul_f32_e32 v3, v13, v78
	v_add_f32_e32 v22, v22, v23
	v_fma_f32 v3, v12, v86, -v3
	v_fmac_f32_e32 v31, v9, v88
	v_add_f32_e32 v22, v22, v30
	v_add_f32_e32 v2, v2, v3
	v_mul_f32_e32 v3, v15, v79
	v_fmac_f32_e32 v32, v11, v87
	v_add_f32_e32 v22, v22, v31
	v_fma_f32 v3, v14, v85, -v3
	v_fmac_f32_e32 v33, v13, v86
	v_add_f32_e32 v22, v22, v32
	v_add_f32_e32 v2, v2, v3
	v_mul_f32_e32 v3, v17, v80
	v_fmac_f32_e32 v34, v15, v85
	v_add_f32_e32 v22, v22, v33
	s_waitcnt vmcnt(52)
	v_fma_f32 v3, v16, v92, -v3
	v_fmac_f32_e32 v35, v17, v92
	v_add_f32_e32 v22, v22, v34
	v_add_f32_e32 v2, v2, v3
	v_mul_f32_e32 v3, v19, v81
	v_add_f32_e32 v22, v22, v35
	v_fmac_f32_e32 v36, v19, v91
	s_waitcnt vmcnt(51)
	v_mul_f32_e32 v23, v20, v93
	v_fma_f32 v3, v18, v91, -v3
	v_add_f32_e32 v22, v22, v36
	v_fmac_f32_e32 v23, v21, v90
	ds_read_b128 v[30:33], v1 offset:832
	ds_read_b128 v[34:37], v1 offset:848
	v_add_f32_e32 v2, v2, v3
	v_mul_f32_e32 v3, v21, v93
	v_add_f32_e32 v22, v22, v23
	s_waitcnt vmcnt(50) lgkmcnt(11)
	v_mul_f32_e32 v23, v26, v94
	v_fma_f32 v3, v20, v90, -v3
	v_fmac_f32_e32 v23, v27, v89
	v_add_f32_e32 v2, v2, v3
	v_mul_f32_e32 v3, v27, v94
	v_add_f32_e32 v22, v22, v23
	s_waitcnt vmcnt(46)
	v_mul_f32_e32 v23, v28, v98
	v_fma_f32 v3, v26, v89, -v3
	v_fmac_f32_e32 v23, v29, v97
	v_add_f32_e32 v2, v2, v3
	v_mul_f32_e32 v3, v29, v98
	v_add_f32_e32 v22, v22, v23
	s_waitcnt vmcnt(44) lgkmcnt(1)
	v_mul_f32_e32 v23, v30, v100
	v_fma_f32 v3, v28, v97, -v3
	v_fmac_f32_e32 v23, v31, v99
	v_add_f32_e32 v2, v2, v3
	v_mul_f32_e32 v3, v31, v100
	v_add_f32_e32 v22, v22, v23
	s_waitcnt vmcnt(42)
	v_mul_f32_e32 v23, v32, v102
	v_fma_f32 v3, v30, v99, -v3
	v_fmac_f32_e32 v23, v33, v101
	v_add_f32_e32 v2, v2, v3
	v_mul_f32_e32 v3, v33, v102
	v_add_f32_e32 v22, v22, v23
	s_waitcnt vmcnt(40) lgkmcnt(0)
	v_mul_f32_e32 v23, v34, v104
	v_fma_f32 v3, v32, v101, -v3
	v_fmac_f32_e32 v23, v35, v103
	v_add_f32_e32 v2, v2, v3
	v_mul_f32_e32 v3, v35, v104
	v_add_f32_e32 v22, v22, v23
	s_waitcnt vmcnt(38)
	v_mul_f32_e32 v23, v36, v106
	v_fma_f32 v3, v34, v103, -v3
	v_fmac_f32_e32 v23, v37, v105
	v_add_f32_e32 v2, v2, v3
	v_mul_f32_e32 v3, v37, v106
	v_add_f32_e32 v22, v22, v23
	s_waitcnt vmcnt(36)
	v_mul_f32_e32 v23, v38, v108
	v_fma_f32 v3, v36, v105, -v3
	v_fmac_f32_e32 v23, v39, v107
	v_add_f32_e32 v2, v2, v3
	v_mul_f32_e32 v3, v39, v108
	v_add_f32_e32 v22, v22, v23
	s_waitcnt vmcnt(34)
	v_mul_f32_e32 v23, v40, v110
	v_fma_f32 v3, v38, v107, -v3
	v_fmac_f32_e32 v23, v41, v109
	;; [unrolled: 7-line block ×13, first 2 shown]
	v_add_f32_e32 v2, v2, v3
	v_mul_f32_e32 v3, v63, v132
	v_add_f32_e32 v22, v22, v23
	s_waitcnt vmcnt(11)
	v_mul_f32_e32 v23, v64, v133
	v_fma_f32 v3, v62, v131, -v3
	s_waitcnt vmcnt(8)
	v_fmac_f32_e32 v23, v65, v136
	v_add_f32_e32 v2, v2, v3
	v_mul_f32_e32 v3, v65, v133
	v_add_f32_e32 v22, v22, v23
	v_mul_f32_e32 v23, v66, v135
	v_fma_f32 v3, v64, v136, -v3
	v_fmac_f32_e32 v23, v67, v134
	v_add_f32_e32 v2, v2, v3
	v_mul_f32_e32 v3, v67, v135
	v_add_f32_e32 v22, v22, v23
	s_waitcnt vmcnt(6)
	v_mul_f32_e32 v23, v68, v138
	v_fma_f32 v3, v66, v134, -v3
	v_fmac_f32_e32 v23, v69, v137
	v_add_f32_e32 v2, v2, v3
	v_mul_f32_e32 v3, v69, v138
	v_add_f32_e32 v145, v22, v23
	ds_read_b64 v[22:23], v1 offset:1008
	v_fma_f32 v3, v68, v137, -v3
	v_add_f32_e32 v2, v2, v3
	s_waitcnt vmcnt(4)
	v_mul_f32_e32 v3, v71, v140
	v_mul_f32_e32 v146, v70, v140
	v_fma_f32 v3, v70, v139, -v3
	v_fmac_f32_e32 v146, v71, v139
	v_add_f32_e32 v2, v2, v3
	s_waitcnt vmcnt(3)
	v_mul_f32_e32 v3, v73, v141
	v_add_f32_e32 v145, v145, v146
	v_mul_f32_e32 v146, v72, v141
	s_waitcnt vmcnt(0)
	v_fma_f32 v3, v72, v144, -v3
	v_fmac_f32_e32 v146, v73, v144
	v_add_f32_e32 v2, v2, v3
	s_waitcnt lgkmcnt(0)
	v_mul_f32_e32 v3, v23, v143
	v_add_f32_e32 v145, v145, v146
	v_mul_f32_e32 v146, v22, v143
	v_fma_f32 v3, v22, v142, -v3
	v_fmac_f32_e32 v146, v23, v142
	v_add_f32_e32 v2, v2, v3
	v_add_f32_e32 v145, v145, v146
	v_sub_f32_e32 v2, v95, v2
	v_sub_f32_e32 v3, v96, v145
	buffer_store_dword v2, off, s[0:3], 0 offset:216
	buffer_store_dword v3, off, s[0:3], 0 offset:220
	s_and_saveexec_b64 s[4:5], vcc
	s_cbranch_execz .LBB62_339
; %bb.338:
	buffer_load_dword v2, off, s[0:3], 0 offset:208
	buffer_load_dword v3, off, s[0:3], 0 offset:212
	s_waitcnt vmcnt(0)
	ds_write_b64 v25, v[2:3]
	buffer_store_dword v1, off, s[0:3], 0 offset:208
	buffer_store_dword v1, off, s[0:3], 0 offset:212
.LBB62_339:
	s_or_b64 exec, exec, s[4:5]
	s_waitcnt lgkmcnt(0)
	; wave barrier
	buffer_load_dword v22, off, s[0:3], 0 offset:220
	buffer_load_dword v23, off, s[0:3], 0 offset:228
	;; [unrolled: 1-line block ×26, first 2 shown]
	ds_read2_b64 v[2:5], v1 offset0:91 offset1:92
	ds_read2_b64 v[6:9], v1 offset0:93 offset1:94
	ds_read2_b64 v[10:13], v1 offset0:95 offset1:96
	ds_read2_b64 v[14:17], v1 offset0:97 offset1:98
	ds_read2_b64 v[18:21], v1 offset0:99 offset1:100
	ds_read2_b64 v[26:29], v1 offset0:101 offset1:102
	buffer_load_dword v101, off, s[0:3], 0 offset:312
	buffer_load_dword v102, off, s[0:3], 0 offset:316
	;; [unrolled: 1-line block ×46, first 2 shown]
	v_cmp_lt_u32_e32 vcc, 25, v0
	s_waitcnt vmcnt(62) lgkmcnt(5)
	v_mul_f32_e32 v30, v2, v22
	v_mul_f32_e32 v31, v4, v23
	s_waitcnt lgkmcnt(4)
	v_mul_f32_e32 v32, v6, v24
	v_mul_f32_e32 v33, v8, v78
	s_waitcnt lgkmcnt(3)
	;; [unrolled: 3-line block ×4, first 2 shown]
	v_mul_f32_e32 v38, v18, v83
	v_fmac_f32_e32 v32, v7, v84
	s_waitcnt vmcnt(61)
	v_fmac_f32_e32 v31, v5, v85
	s_waitcnt vmcnt(60)
	v_fmac_f32_e32 v30, v3, v86
	v_add_f32_e32 v30, 0, v30
	v_add_f32_e32 v30, v30, v31
	v_add_f32_e32 v30, v30, v32
	s_waitcnt vmcnt(56)
	v_fmac_f32_e32 v33, v9, v90
	v_fmac_f32_e32 v34, v11, v89
	v_add_f32_e32 v30, v30, v33
	v_fmac_f32_e32 v35, v13, v88
	v_add_f32_e32 v30, v30, v34
	;; [unrolled: 2-line block ×3, first 2 shown]
	s_waitcnt vmcnt(52)
	v_fmac_f32_e32 v37, v17, v94
	v_add_f32_e32 v30, v30, v36
	v_fmac_f32_e32 v38, v19, v93
	v_add_f32_e32 v30, v30, v37
	s_waitcnt vmcnt(51)
	v_mul_f32_e32 v31, v20, v95
	v_add_f32_e32 v30, v30, v38
	v_fmac_f32_e32 v31, v21, v92
	v_add_f32_e32 v30, v30, v31
	s_waitcnt vmcnt(50) lgkmcnt(0)
	v_mul_f32_e32 v31, v26, v96
	v_fmac_f32_e32 v31, v27, v91
	s_waitcnt vmcnt(46)
	v_mul_f32_e32 v35, v28, v100
	v_add_f32_e32 v34, v30, v31
	v_fmac_f32_e32 v35, v29, v99
	ds_read2_b64 v[30:33], v1 offset0:103 offset1:104
	v_add_f32_e32 v38, v34, v35
	ds_read2_b64 v[34:37], v1 offset0:105 offset1:106
	buffer_load_dword v147, off, s[0:3], 0 offset:496
	buffer_load_dword v148, off, s[0:3], 0 offset:500
	v_mul_f32_e32 v3, v3, v22
	v_fma_f32 v2, v2, v86, -v3
	v_mul_f32_e32 v3, v5, v23
	v_add_f32_e32 v2, 0, v2
	v_fma_f32 v3, v4, v85, -v3
	v_add_f32_e32 v2, v2, v3
	v_mul_f32_e32 v3, v7, v24
	v_fma_f32 v3, v6, v84, -v3
	v_add_f32_e32 v2, v2, v3
	v_mul_f32_e32 v3, v9, v78
	v_fma_f32 v3, v8, v90, -v3
	v_add_f32_e32 v2, v2, v3
	v_mul_f32_e32 v3, v11, v79
	s_waitcnt vmcnt(46) lgkmcnt(1)
	v_mul_f32_e32 v39, v30, v102
	v_fma_f32 v3, v10, v89, -v3
	v_fmac_f32_e32 v39, v31, v101
	v_add_f32_e32 v2, v2, v3
	v_mul_f32_e32 v3, v13, v80
	v_add_f32_e32 v38, v38, v39
	s_waitcnt vmcnt(44)
	v_mul_f32_e32 v39, v32, v104
	v_fma_f32 v3, v12, v88, -v3
	v_fmac_f32_e32 v39, v33, v103
	v_add_f32_e32 v2, v2, v3
	v_mul_f32_e32 v3, v15, v81
	v_add_f32_e32 v38, v38, v39
	s_waitcnt vmcnt(42) lgkmcnt(0)
	v_mul_f32_e32 v39, v34, v106
	v_fma_f32 v3, v14, v87, -v3
	v_fmac_f32_e32 v39, v35, v105
	v_add_f32_e32 v2, v2, v3
	v_mul_f32_e32 v3, v17, v82
	v_add_f32_e32 v42, v38, v39
	ds_read2_b64 v[38:41], v1 offset0:107 offset1:108
	v_fma_f32 v3, v16, v94, -v3
	v_add_f32_e32 v2, v2, v3
	v_mul_f32_e32 v3, v19, v83
	s_waitcnt vmcnt(40)
	v_mul_f32_e32 v43, v36, v108
	v_fma_f32 v3, v18, v93, -v3
	v_fmac_f32_e32 v43, v37, v107
	v_add_f32_e32 v2, v2, v3
	v_mul_f32_e32 v3, v21, v95
	v_add_f32_e32 v46, v42, v43
	ds_read2_b64 v[42:45], v1 offset0:109 offset1:110
	v_fma_f32 v3, v20, v92, -v3
	s_waitcnt vmcnt(38) lgkmcnt(1)
	v_mul_f32_e32 v47, v38, v110
	v_add_f32_e32 v2, v2, v3
	v_mul_f32_e32 v3, v27, v96
	v_fmac_f32_e32 v47, v39, v109
	v_fma_f32 v3, v26, v91, -v3
	v_add_f32_e32 v46, v46, v47
	s_waitcnt vmcnt(36)
	v_mul_f32_e32 v47, v40, v112
	v_add_f32_e32 v2, v2, v3
	v_mul_f32_e32 v3, v29, v100
	v_fmac_f32_e32 v47, v41, v111
	v_fma_f32 v3, v28, v99, -v3
	v_add_f32_e32 v46, v46, v47
	s_waitcnt vmcnt(34) lgkmcnt(0)
	v_mul_f32_e32 v47, v42, v114
	v_add_f32_e32 v2, v2, v3
	v_mul_f32_e32 v3, v31, v102
	v_fmac_f32_e32 v47, v43, v113
	v_fma_f32 v3, v30, v101, -v3
	v_add_f32_e32 v50, v46, v47
	ds_read2_b64 v[46:49], v1 offset0:111 offset1:112
	v_add_f32_e32 v2, v2, v3
	v_mul_f32_e32 v3, v33, v104
	v_fma_f32 v3, v32, v103, -v3
	s_waitcnt vmcnt(32)
	v_mul_f32_e32 v51, v44, v116
	v_add_f32_e32 v2, v2, v3
	v_mul_f32_e32 v3, v35, v106
	v_fmac_f32_e32 v51, v45, v115
	v_fma_f32 v3, v34, v105, -v3
	v_add_f32_e32 v54, v50, v51
	ds_read2_b64 v[50:53], v1 offset0:113 offset1:114
	v_add_f32_e32 v2, v2, v3
	v_mul_f32_e32 v3, v37, v108
	s_waitcnt vmcnt(30) lgkmcnt(1)
	v_mul_f32_e32 v55, v46, v118
	v_fma_f32 v3, v36, v107, -v3
	v_fmac_f32_e32 v55, v47, v117
	v_add_f32_e32 v2, v2, v3
	v_mul_f32_e32 v3, v39, v110
	v_add_f32_e32 v54, v54, v55
	s_waitcnt vmcnt(28)
	v_mul_f32_e32 v55, v48, v120
	v_fma_f32 v3, v38, v109, -v3
	v_fmac_f32_e32 v55, v49, v119
	v_add_f32_e32 v2, v2, v3
	v_mul_f32_e32 v3, v41, v112
	v_add_f32_e32 v54, v54, v55
	s_waitcnt vmcnt(26) lgkmcnt(0)
	v_mul_f32_e32 v55, v50, v122
	v_fma_f32 v3, v40, v111, -v3
	v_fmac_f32_e32 v55, v51, v121
	v_add_f32_e32 v2, v2, v3
	v_mul_f32_e32 v3, v43, v114
	v_add_f32_e32 v58, v54, v55
	ds_read2_b64 v[54:57], v1 offset0:115 offset1:116
	v_fma_f32 v3, v42, v113, -v3
	v_add_f32_e32 v2, v2, v3
	v_mul_f32_e32 v3, v45, v116
	s_waitcnt vmcnt(24)
	v_mul_f32_e32 v59, v52, v124
	v_fma_f32 v3, v44, v115, -v3
	v_fmac_f32_e32 v59, v53, v123
	v_add_f32_e32 v2, v2, v3
	v_mul_f32_e32 v3, v47, v118
	v_add_f32_e32 v62, v58, v59
	ds_read2_b64 v[58:61], v1 offset0:117 offset1:118
	v_fma_f32 v3, v46, v117, -v3
	s_waitcnt vmcnt(22) lgkmcnt(1)
	v_mul_f32_e32 v63, v54, v126
	v_add_f32_e32 v2, v2, v3
	v_mul_f32_e32 v3, v49, v120
	v_fmac_f32_e32 v63, v55, v125
	v_fma_f32 v3, v48, v119, -v3
	v_add_f32_e32 v62, v62, v63
	s_waitcnt vmcnt(20)
	v_mul_f32_e32 v63, v56, v128
	v_add_f32_e32 v2, v2, v3
	v_mul_f32_e32 v3, v51, v122
	v_fmac_f32_e32 v63, v57, v127
	v_fma_f32 v3, v50, v121, -v3
	v_add_f32_e32 v62, v62, v63
	s_waitcnt vmcnt(18) lgkmcnt(0)
	v_mul_f32_e32 v63, v58, v130
	v_add_f32_e32 v2, v2, v3
	v_mul_f32_e32 v3, v53, v124
	v_fmac_f32_e32 v63, v59, v129
	v_fma_f32 v3, v52, v123, -v3
	v_add_f32_e32 v66, v62, v63
	ds_read2_b64 v[62:65], v1 offset0:119 offset1:120
	v_add_f32_e32 v2, v2, v3
	v_mul_f32_e32 v3, v55, v126
	v_fma_f32 v3, v54, v125, -v3
	s_waitcnt vmcnt(16)
	v_mul_f32_e32 v67, v60, v132
	v_add_f32_e32 v2, v2, v3
	v_mul_f32_e32 v3, v57, v128
	v_fmac_f32_e32 v67, v61, v131
	v_fma_f32 v3, v56, v127, -v3
	v_add_f32_e32 v70, v66, v67
	ds_read2_b64 v[66:69], v1 offset0:121 offset1:122
	v_add_f32_e32 v2, v2, v3
	v_mul_f32_e32 v3, v59, v130
	s_waitcnt vmcnt(14) lgkmcnt(1)
	v_mul_f32_e32 v71, v62, v134
	v_fma_f32 v3, v58, v129, -v3
	v_fmac_f32_e32 v71, v63, v133
	v_add_f32_e32 v2, v2, v3
	v_mul_f32_e32 v3, v61, v132
	v_add_f32_e32 v70, v70, v71
	s_waitcnt vmcnt(13)
	v_mul_f32_e32 v71, v64, v135
	v_fma_f32 v3, v60, v131, -v3
	s_waitcnt vmcnt(10)
	v_fmac_f32_e32 v71, v65, v138
	v_add_f32_e32 v2, v2, v3
	v_mul_f32_e32 v3, v63, v134
	v_add_f32_e32 v70, v70, v71
	s_waitcnt lgkmcnt(0)
	v_mul_f32_e32 v71, v66, v137
	v_fma_f32 v3, v62, v133, -v3
	v_fmac_f32_e32 v71, v67, v136
	v_add_f32_e32 v2, v2, v3
	v_mul_f32_e32 v3, v65, v135
	v_add_f32_e32 v74, v70, v71
	ds_read2_b64 v[70:73], v1 offset0:123 offset1:124
	v_fma_f32 v3, v64, v138, -v3
	v_add_f32_e32 v2, v2, v3
	v_mul_f32_e32 v3, v67, v137
	s_waitcnt vmcnt(8)
	v_mul_f32_e32 v75, v68, v140
	v_fma_f32 v3, v66, v136, -v3
	v_fmac_f32_e32 v75, v69, v139
	v_add_f32_e32 v2, v2, v3
	v_mul_f32_e32 v3, v69, v140
	v_add_f32_e32 v149, v74, v75
	ds_read2_b64 v[74:77], v1 offset0:125 offset1:126
	v_fma_f32 v3, v68, v139, -v3
	v_add_f32_e32 v2, v2, v3
	s_waitcnt vmcnt(6) lgkmcnt(1)
	v_mul_f32_e32 v3, v71, v142
	v_mul_f32_e32 v1, v70, v142
	v_fma_f32 v3, v70, v141, -v3
	v_fmac_f32_e32 v1, v71, v141
	v_add_f32_e32 v2, v2, v3
	s_waitcnt vmcnt(5)
	v_mul_f32_e32 v3, v73, v143
	v_add_f32_e32 v1, v149, v1
	v_mul_f32_e32 v149, v72, v143
	s_waitcnt vmcnt(2)
	v_fma_f32 v3, v72, v146, -v3
	v_fmac_f32_e32 v149, v73, v146
	v_add_f32_e32 v2, v2, v3
	s_waitcnt lgkmcnt(0)
	v_mul_f32_e32 v3, v75, v145
	v_add_f32_e32 v1, v1, v149
	v_mul_f32_e32 v149, v74, v145
	v_fma_f32 v3, v74, v144, -v3
	v_fmac_f32_e32 v149, v75, v144
	v_add_f32_e32 v2, v2, v3
	s_waitcnt vmcnt(0)
	v_mul_f32_e32 v3, v77, v148
	v_add_f32_e32 v1, v1, v149
	v_mul_f32_e32 v149, v76, v148
	v_fma_f32 v3, v76, v147, -v3
	v_fmac_f32_e32 v149, v77, v147
	v_add_f32_e32 v2, v2, v3
	v_add_f32_e32 v1, v1, v149
	v_sub_f32_e32 v2, v97, v2
	v_sub_f32_e32 v1, v98, v1
	buffer_store_dword v2, off, s[0:3], 0 offset:208
	buffer_store_dword v1, off, s[0:3], 0 offset:212
	s_and_saveexec_b64 s[4:5], vcc
	s_cbranch_execz .LBB62_341
; %bb.340:
	buffer_load_dword v1, off, s[0:3], 0 offset:200
	buffer_load_dword v2, off, s[0:3], 0 offset:204
	v_mov_b32_e32 v3, 0
	buffer_store_dword v3, off, s[0:3], 0 offset:200
	buffer_store_dword v3, off, s[0:3], 0 offset:204
	s_waitcnt vmcnt(2)
	ds_write_b64 v25, v[1:2]
.LBB62_341:
	s_or_b64 exec, exec, s[4:5]
	s_waitcnt lgkmcnt(0)
	; wave barrier
	buffer_load_dword v24, off, s[0:3], 0 offset:212
	buffer_load_dword v78, off, s[0:3], 0 offset:220
	;; [unrolled: 1-line block ×50, first 2 shown]
	v_mov_b32_e32 v1, 0
	ds_read_b128 v[2:5], v1 offset:720
	ds_read_b128 v[6:9], v1 offset:736
	;; [unrolled: 1-line block ×6, first 2 shown]
	buffer_load_dword v127, off, s[0:3], 0 offset:400
	buffer_load_dword v128, off, s[0:3], 0 offset:404
	;; [unrolled: 1-line block ×16, first 2 shown]
	v_cmp_lt_u32_e32 vcc, 24, v0
	s_waitcnt vmcnt(62) lgkmcnt(5)
	v_mul_f32_e32 v22, v2, v24
	v_mul_f32_e32 v23, v4, v78
	s_waitcnt lgkmcnt(4)
	v_mul_f32_e32 v30, v6, v79
	v_mul_f32_e32 v31, v8, v80
	s_waitcnt vmcnt(61) lgkmcnt(3)
	v_mul_f32_e32 v32, v10, v81
	s_waitcnt vmcnt(60)
	v_mul_f32_e32 v33, v12, v82
	s_waitcnt vmcnt(59) lgkmcnt(2)
	v_mul_f32_e32 v34, v14, v83
	s_waitcnt vmcnt(58)
	;; [unrolled: 4-line block ×3, first 2 shown]
	v_fmac_f32_e32 v30, v7, v86
	s_waitcnt vmcnt(55)
	v_fmac_f32_e32 v23, v5, v87
	s_waitcnt vmcnt(54)
	v_fmac_f32_e32 v22, v3, v88
	v_add_f32_e32 v22, 0, v22
	v_add_f32_e32 v22, v22, v23
	;; [unrolled: 1-line block ×3, first 2 shown]
	s_waitcnt vmcnt(50)
	v_fmac_f32_e32 v31, v9, v92
	v_fmac_f32_e32 v32, v11, v91
	v_add_f32_e32 v22, v22, v31
	v_fmac_f32_e32 v33, v13, v90
	v_add_f32_e32 v22, v22, v32
	v_add_f32_e32 v22, v22, v33
	ds_read_b128 v[30:33], v1 offset:816
	buffer_load_dword v143, off, s[0:3], 0 offset:464
	buffer_load_dword v144, off, s[0:3], 0 offset:468
	;; [unrolled: 1-line block ×6, first 2 shown]
	v_fmac_f32_e32 v34, v15, v89
	s_waitcnt vmcnt(52)
	v_fmac_f32_e32 v35, v17, v96
	v_add_f32_e32 v22, v22, v34
	v_fmac_f32_e32 v36, v19, v95
	v_add_f32_e32 v22, v22, v35
	v_add_f32_e32 v22, v22, v36
	ds_read_b128 v[34:37], v1 offset:832
	buffer_load_dword v149, off, s[0:3], 0 offset:492
	buffer_load_dword v150, off, s[0:3], 0 offset:496
	;; [unrolled: 1-line block ×4, first 2 shown]
	v_mul_f32_e32 v3, v3, v24
	v_fma_f32 v2, v2, v88, -v3
	v_mul_f32_e32 v3, v5, v78
	v_add_f32_e32 v2, 0, v2
	v_fma_f32 v3, v4, v87, -v3
	v_add_f32_e32 v2, v2, v3
	v_mul_f32_e32 v3, v7, v79
	v_fma_f32 v3, v6, v86, -v3
	v_add_f32_e32 v2, v2, v3
	v_mul_f32_e32 v3, v9, v80
	;; [unrolled: 3-line block ×7, first 2 shown]
	s_waitcnt vmcnt(55)
	v_mul_f32_e32 v23, v20, v97
	v_fma_f32 v3, v18, v95, -v3
	v_fmac_f32_e32 v23, v21, v94
	v_add_f32_e32 v2, v2, v3
	v_mul_f32_e32 v3, v21, v97
	v_add_f32_e32 v22, v22, v23
	s_waitcnt vmcnt(54) lgkmcnt(2)
	v_mul_f32_e32 v23, v26, v98
	v_fma_f32 v3, v20, v94, -v3
	v_fmac_f32_e32 v23, v27, v93
	v_add_f32_e32 v2, v2, v3
	v_mul_f32_e32 v3, v27, v98
	v_add_f32_e32 v22, v22, v23
	s_waitcnt vmcnt(53)
	v_mul_f32_e32 v23, v28, v99
	v_fma_f32 v3, v26, v93, -v3
	s_waitcnt vmcnt(46)
	v_fmac_f32_e32 v23, v29, v106
	v_add_f32_e32 v2, v2, v3
	v_mul_f32_e32 v3, v29, v99
	v_add_f32_e32 v22, v22, v23
	s_waitcnt lgkmcnt(1)
	v_mul_f32_e32 v23, v30, v101
	v_fma_f32 v3, v28, v106, -v3
	v_fmac_f32_e32 v23, v31, v100
	v_add_f32_e32 v2, v2, v3
	v_mul_f32_e32 v3, v31, v101
	v_add_f32_e32 v22, v22, v23
	v_mul_f32_e32 v23, v32, v103
	v_fma_f32 v3, v30, v100, -v3
	v_fmac_f32_e32 v23, v33, v102
	ds_read_b128 v[38:41], v1 offset:848
	ds_read_b128 v[42:45], v1 offset:864
	v_add_f32_e32 v2, v2, v3
	v_mul_f32_e32 v3, v33, v103
	v_add_f32_e32 v22, v22, v23
	s_waitcnt lgkmcnt(2)
	v_mul_f32_e32 v23, v34, v105
	v_fma_f32 v3, v32, v102, -v3
	v_fmac_f32_e32 v23, v35, v104
	v_add_f32_e32 v2, v2, v3
	v_mul_f32_e32 v3, v35, v105
	v_add_f32_e32 v22, v22, v23
	s_waitcnt vmcnt(42)
	v_mul_f32_e32 v23, v36, v110
	v_fma_f32 v3, v34, v104, -v3
	v_fmac_f32_e32 v23, v37, v109
	v_add_f32_e32 v2, v2, v3
	v_mul_f32_e32 v3, v37, v110
	v_add_f32_e32 v22, v22, v23
	s_waitcnt vmcnt(40) lgkmcnt(1)
	v_mul_f32_e32 v23, v38, v112
	v_fma_f32 v3, v36, v109, -v3
	v_fmac_f32_e32 v23, v39, v111
	v_add_f32_e32 v2, v2, v3
	v_mul_f32_e32 v3, v39, v112
	v_add_f32_e32 v22, v22, v23
	s_waitcnt vmcnt(38)
	v_mul_f32_e32 v23, v40, v114
	v_fma_f32 v3, v38, v111, -v3
	v_fmac_f32_e32 v23, v41, v113
	ds_read_b128 v[46:49], v1 offset:880
	ds_read_b128 v[50:53], v1 offset:896
	v_add_f32_e32 v2, v2, v3
	v_mul_f32_e32 v3, v41, v114
	v_add_f32_e32 v22, v22, v23
	s_waitcnt vmcnt(36) lgkmcnt(2)
	v_mul_f32_e32 v23, v42, v116
	v_fma_f32 v3, v40, v113, -v3
	v_fmac_f32_e32 v23, v43, v115
	v_add_f32_e32 v2, v2, v3
	v_mul_f32_e32 v3, v43, v116
	v_add_f32_e32 v22, v22, v23
	s_waitcnt vmcnt(34)
	v_mul_f32_e32 v23, v44, v118
	v_fma_f32 v3, v42, v115, -v3
	v_fmac_f32_e32 v23, v45, v117
	v_add_f32_e32 v2, v2, v3
	v_mul_f32_e32 v3, v45, v118
	v_add_f32_e32 v22, v22, v23
	s_waitcnt vmcnt(32) lgkmcnt(1)
	v_mul_f32_e32 v23, v46, v120
	v_fma_f32 v3, v44, v117, -v3
	v_fmac_f32_e32 v23, v47, v119
	v_add_f32_e32 v2, v2, v3
	v_mul_f32_e32 v3, v47, v120
	v_add_f32_e32 v22, v22, v23
	s_waitcnt vmcnt(30)
	v_mul_f32_e32 v23, v48, v122
	v_fma_f32 v3, v46, v119, -v3
	v_fmac_f32_e32 v23, v49, v121
	ds_read_b128 v[54:57], v1 offset:912
	ds_read_b128 v[58:61], v1 offset:928
	v_add_f32_e32 v2, v2, v3
	v_mul_f32_e32 v3, v49, v122
	v_add_f32_e32 v22, v22, v23
	s_waitcnt vmcnt(28) lgkmcnt(2)
	v_mul_f32_e32 v23, v50, v124
	v_fma_f32 v3, v48, v121, -v3
	v_fmac_f32_e32 v23, v51, v123
	v_add_f32_e32 v2, v2, v3
	v_mul_f32_e32 v3, v51, v124
	v_add_f32_e32 v22, v22, v23
	s_waitcnt vmcnt(26)
	v_mul_f32_e32 v23, v52, v126
	v_fma_f32 v3, v50, v123, -v3
	v_fmac_f32_e32 v23, v53, v125
	v_add_f32_e32 v2, v2, v3
	v_mul_f32_e32 v3, v53, v126
	v_add_f32_e32 v22, v22, v23
	s_waitcnt vmcnt(24) lgkmcnt(1)
	v_mul_f32_e32 v23, v54, v128
	v_fma_f32 v3, v52, v125, -v3
	v_fmac_f32_e32 v23, v55, v127
	v_add_f32_e32 v2, v2, v3
	v_mul_f32_e32 v3, v55, v128
	v_add_f32_e32 v22, v22, v23
	s_waitcnt vmcnt(23)
	v_mul_f32_e32 v23, v56, v129
	v_fma_f32 v3, v54, v127, -v3
	s_waitcnt vmcnt(20)
	v_fmac_f32_e32 v23, v57, v132
	ds_read_b128 v[62:65], v1 offset:944
	ds_read_b128 v[66:69], v1 offset:960
	v_add_f32_e32 v2, v2, v3
	v_mul_f32_e32 v3, v57, v129
	v_add_f32_e32 v22, v22, v23
	s_waitcnt lgkmcnt(2)
	v_mul_f32_e32 v23, v58, v131
	v_fma_f32 v3, v56, v132, -v3
	v_fmac_f32_e32 v23, v59, v130
	v_add_f32_e32 v2, v2, v3
	v_mul_f32_e32 v3, v59, v131
	v_add_f32_e32 v22, v22, v23
	s_waitcnt vmcnt(18)
	v_mul_f32_e32 v23, v60, v134
	v_fma_f32 v3, v58, v130, -v3
	v_fmac_f32_e32 v23, v61, v133
	v_add_f32_e32 v2, v2, v3
	v_mul_f32_e32 v3, v61, v134
	v_add_f32_e32 v22, v22, v23
	s_waitcnt vmcnt(16) lgkmcnt(1)
	v_mul_f32_e32 v23, v62, v136
	v_fma_f32 v3, v60, v133, -v3
	v_fmac_f32_e32 v23, v63, v135
	v_add_f32_e32 v2, v2, v3
	v_mul_f32_e32 v3, v63, v136
	v_add_f32_e32 v22, v22, v23
	s_waitcnt vmcnt(15)
	v_mul_f32_e32 v23, v64, v137
	v_fma_f32 v3, v62, v135, -v3
	s_waitcnt vmcnt(12)
	v_fmac_f32_e32 v23, v65, v140
	ds_read_b128 v[70:73], v1 offset:976
	ds_read_b128 v[74:77], v1 offset:992
	v_add_f32_e32 v2, v2, v3
	v_mul_f32_e32 v3, v65, v137
	v_add_f32_e32 v22, v22, v23
	s_waitcnt lgkmcnt(2)
	v_mul_f32_e32 v23, v66, v139
	v_fma_f32 v3, v64, v140, -v3
	v_fmac_f32_e32 v23, v67, v138
	v_add_f32_e32 v2, v2, v3
	v_mul_f32_e32 v3, v67, v139
	v_add_f32_e32 v22, v22, v23
	s_waitcnt vmcnt(10)
	v_mul_f32_e32 v23, v68, v142
	v_fma_f32 v3, v66, v138, -v3
	v_fmac_f32_e32 v23, v69, v141
	v_add_f32_e32 v2, v2, v3
	v_mul_f32_e32 v3, v69, v142
	v_add_f32_e32 v22, v22, v23
	s_waitcnt vmcnt(8) lgkmcnt(1)
	v_mul_f32_e32 v23, v70, v144
	v_fma_f32 v3, v68, v141, -v3
	v_fmac_f32_e32 v23, v71, v143
	v_add_f32_e32 v2, v2, v3
	v_mul_f32_e32 v3, v71, v144
	v_add_f32_e32 v22, v22, v23
	s_waitcnt vmcnt(7)
	v_mul_f32_e32 v23, v72, v145
	v_fma_f32 v3, v70, v143, -v3
	s_waitcnt vmcnt(4)
	v_fmac_f32_e32 v23, v73, v148
	v_add_f32_e32 v2, v2, v3
	v_mul_f32_e32 v3, v73, v145
	v_add_f32_e32 v153, v22, v23
	ds_read_b64 v[22:23], v1 offset:1008
	v_fma_f32 v3, v72, v148, -v3
	v_add_f32_e32 v2, v2, v3
	s_waitcnt lgkmcnt(1)
	v_mul_f32_e32 v3, v75, v147
	v_mul_f32_e32 v154, v74, v147
	v_fma_f32 v3, v74, v146, -v3
	v_fmac_f32_e32 v154, v75, v146
	v_add_f32_e32 v2, v2, v3
	s_waitcnt vmcnt(3)
	v_mul_f32_e32 v3, v77, v149
	v_add_f32_e32 v153, v153, v154
	v_mul_f32_e32 v154, v76, v149
	s_waitcnt vmcnt(0)
	v_fma_f32 v3, v76, v152, -v3
	v_fmac_f32_e32 v154, v77, v152
	v_add_f32_e32 v2, v2, v3
	s_waitcnt lgkmcnt(0)
	v_mul_f32_e32 v3, v23, v151
	v_add_f32_e32 v153, v153, v154
	v_mul_f32_e32 v154, v22, v151
	v_fma_f32 v3, v22, v150, -v3
	v_fmac_f32_e32 v154, v23, v150
	v_add_f32_e32 v2, v2, v3
	v_add_f32_e32 v153, v153, v154
	v_sub_f32_e32 v2, v107, v2
	v_sub_f32_e32 v3, v108, v153
	buffer_store_dword v2, off, s[0:3], 0 offset:200
	buffer_store_dword v3, off, s[0:3], 0 offset:204
	s_and_saveexec_b64 s[4:5], vcc
	s_cbranch_execz .LBB62_343
; %bb.342:
	buffer_load_dword v2, off, s[0:3], 0 offset:192
	buffer_load_dword v3, off, s[0:3], 0 offset:196
	s_waitcnt vmcnt(0)
	ds_write_b64 v25, v[2:3]
	buffer_store_dword v1, off, s[0:3], 0 offset:192
	buffer_store_dword v1, off, s[0:3], 0 offset:196
.LBB62_343:
	s_or_b64 exec, exec, s[4:5]
	s_waitcnt lgkmcnt(0)
	; wave barrier
	buffer_load_dword v22, off, s[0:3], 0 offset:204
	buffer_load_dword v23, off, s[0:3], 0 offset:212
	buffer_load_dword v24, off, s[0:3], 0 offset:220
	buffer_load_dword v82, off, s[0:3], 0 offset:228
	buffer_load_dword v83, off, s[0:3], 0 offset:236
	buffer_load_dword v84, off, s[0:3], 0 offset:244
	buffer_load_dword v85, off, s[0:3], 0 offset:252
	buffer_load_dword v86, off, s[0:3], 0 offset:260
	buffer_load_dword v87, off, s[0:3], 0 offset:268
	buffer_load_dword v88, off, s[0:3], 0 offset:276
	buffer_load_dword v89, off, s[0:3], 0 offset:216
	buffer_load_dword v90, off, s[0:3], 0 offset:208
	buffer_load_dword v91, off, s[0:3], 0 offset:200
	buffer_load_dword v92, off, s[0:3], 0 offset:248
	buffer_load_dword v93, off, s[0:3], 0 offset:240
	buffer_load_dword v94, off, s[0:3], 0 offset:232
	buffer_load_dword v95, off, s[0:3], 0 offset:224
	buffer_load_dword v96, off, s[0:3], 0 offset:280
	buffer_load_dword v97, off, s[0:3], 0 offset:272
	buffer_load_dword v98, off, s[0:3], 0 offset:264
	buffer_load_dword v99, off, s[0:3], 0 offset:256
	buffer_load_dword v100, off, s[0:3], 0 offset:284
	buffer_load_dword v101, off, s[0:3], 0 offset:292
	buffer_load_dword v102, off, s[0:3], 0 offset:304
	buffer_load_dword v103, off, s[0:3], 0 offset:308
	buffer_load_dword v104, off, s[0:3], 0 offset:312
	buffer_load_dword v105, off, s[0:3], 0 offset:316
	buffer_load_dword v106, off, s[0:3], 0 offset:296
	buffer_load_dword v107, off, s[0:3], 0 offset:288
	buffer_load_dword v108, off, s[0:3], 0 offset:300
	buffer_load_dword v109, off, s[0:3], 0 offset:192
	buffer_load_dword v110, off, s[0:3], 0 offset:196
	ds_read2_b64 v[2:5], v1 offset0:89 offset1:90
	ds_read2_b64 v[6:9], v1 offset0:91 offset1:92
	;; [unrolled: 1-line block ×6, first 2 shown]
	buffer_load_dword v111, off, s[0:3], 0 offset:320
	buffer_load_dword v112, off, s[0:3], 0 offset:324
	;; [unrolled: 1-line block ×32, first 2 shown]
	v_cmp_lt_u32_e32 vcc, 23, v0
	s_waitcnt vmcnt(62) lgkmcnt(5)
	v_mul_f32_e32 v30, v2, v22
	v_mul_f32_e32 v31, v4, v23
	s_waitcnt vmcnt(61) lgkmcnt(4)
	v_mul_f32_e32 v32, v6, v24
	s_waitcnt vmcnt(60)
	v_mul_f32_e32 v33, v8, v82
	s_waitcnt vmcnt(59) lgkmcnt(3)
	v_mul_f32_e32 v34, v10, v83
	s_waitcnt vmcnt(58)
	;; [unrolled: 4-line block ×4, first 2 shown]
	v_mul_f32_e32 v39, v20, v88
	s_waitcnt vmcnt(53)
	v_fmac_f32_e32 v32, v7, v89
	s_waitcnt vmcnt(52)
	v_fmac_f32_e32 v31, v5, v90
	;; [unrolled: 2-line block ×3, first 2 shown]
	v_add_f32_e32 v30, 0, v30
	v_add_f32_e32 v30, v30, v31
	;; [unrolled: 1-line block ×3, first 2 shown]
	s_waitcnt vmcnt(47)
	v_fmac_f32_e32 v33, v9, v95
	v_fmac_f32_e32 v34, v11, v94
	v_add_f32_e32 v30, v30, v33
	v_fmac_f32_e32 v35, v13, v93
	v_add_f32_e32 v30, v30, v34
	;; [unrolled: 2-line block ×3, first 2 shown]
	s_waitcnt vmcnt(43)
	v_fmac_f32_e32 v37, v17, v99
	v_add_f32_e32 v30, v30, v36
	v_fmac_f32_e32 v38, v19, v98
	v_add_f32_e32 v30, v30, v37
	v_fmac_f32_e32 v39, v21, v97
	v_add_f32_e32 v30, v30, v38
	s_waitcnt vmcnt(42) lgkmcnt(0)
	v_mul_f32_e32 v31, v26, v100
	v_add_f32_e32 v30, v30, v39
	v_fmac_f32_e32 v31, v27, v96
	v_add_f32_e32 v34, v30, v31
	ds_read2_b64 v[30:33], v1 offset0:101 offset1:102
	buffer_load_dword v143, off, s[0:3], 0 offset:448
	buffer_load_dword v144, off, s[0:3], 0 offset:452
	s_waitcnt vmcnt(43)
	v_mul_f32_e32 v35, v28, v101
	s_waitcnt vmcnt(37)
	v_fmac_f32_e32 v35, v29, v107
	v_add_f32_e32 v38, v34, v35
	ds_read2_b64 v[34:37], v1 offset0:103 offset1:104
	buffer_load_dword v145, off, s[0:3], 0 offset:456
	buffer_load_dword v146, off, s[0:3], 0 offset:460
	;; [unrolled: 1-line block ×12, first 2 shown]
	v_mul_f32_e32 v3, v3, v22
	v_fma_f32 v2, v2, v91, -v3
	v_mul_f32_e32 v3, v5, v23
	v_add_f32_e32 v2, 0, v2
	v_fma_f32 v3, v4, v90, -v3
	v_add_f32_e32 v2, v2, v3
	v_mul_f32_e32 v3, v7, v24
	v_fma_f32 v3, v6, v89, -v3
	v_add_f32_e32 v2, v2, v3
	v_mul_f32_e32 v3, v9, v82
	v_fma_f32 v3, v8, v95, -v3
	s_waitcnt vmcnt(48) lgkmcnt(1)
	v_mul_f32_e32 v39, v30, v108
	v_add_f32_e32 v2, v2, v3
	v_mul_f32_e32 v3, v11, v83
	v_fmac_f32_e32 v39, v31, v106
	v_fma_f32 v3, v10, v94, -v3
	v_add_f32_e32 v38, v38, v39
	v_mul_f32_e32 v39, v32, v103
	v_add_f32_e32 v2, v2, v3
	v_mul_f32_e32 v3, v13, v84
	v_fmac_f32_e32 v39, v33, v102
	v_fma_f32 v3, v12, v93, -v3
	v_add_f32_e32 v38, v38, v39
	s_waitcnt lgkmcnt(0)
	v_mul_f32_e32 v39, v34, v105
	v_add_f32_e32 v2, v2, v3
	v_mul_f32_e32 v3, v15, v85
	v_fmac_f32_e32 v39, v35, v104
	v_fma_f32 v3, v14, v92, -v3
	v_add_f32_e32 v42, v38, v39
	ds_read2_b64 v[38:41], v1 offset0:105 offset1:106
	v_add_f32_e32 v2, v2, v3
	v_mul_f32_e32 v3, v17, v86
	v_fma_f32 v3, v16, v99, -v3
	s_waitcnt vmcnt(44)
	v_mul_f32_e32 v43, v36, v112
	v_add_f32_e32 v2, v2, v3
	v_mul_f32_e32 v3, v19, v87
	v_fmac_f32_e32 v43, v37, v111
	v_fma_f32 v3, v18, v98, -v3
	v_add_f32_e32 v46, v42, v43
	ds_read2_b64 v[42:45], v1 offset0:107 offset1:108
	v_add_f32_e32 v2, v2, v3
	v_mul_f32_e32 v3, v21, v88
	s_waitcnt vmcnt(42) lgkmcnt(1)
	v_mul_f32_e32 v47, v38, v114
	v_fma_f32 v3, v20, v97, -v3
	v_fmac_f32_e32 v47, v39, v113
	v_add_f32_e32 v2, v2, v3
	v_mul_f32_e32 v3, v27, v100
	v_add_f32_e32 v46, v46, v47
	s_waitcnt vmcnt(40)
	v_mul_f32_e32 v47, v40, v116
	v_fma_f32 v3, v26, v96, -v3
	v_fmac_f32_e32 v47, v41, v115
	v_add_f32_e32 v2, v2, v3
	v_mul_f32_e32 v3, v29, v101
	v_add_f32_e32 v46, v46, v47
	s_waitcnt vmcnt(38) lgkmcnt(0)
	v_mul_f32_e32 v47, v42, v118
	v_fma_f32 v3, v28, v107, -v3
	v_fmac_f32_e32 v47, v43, v117
	v_add_f32_e32 v2, v2, v3
	v_mul_f32_e32 v3, v31, v108
	v_add_f32_e32 v50, v46, v47
	ds_read2_b64 v[46:49], v1 offset0:109 offset1:110
	v_fma_f32 v3, v30, v106, -v3
	v_add_f32_e32 v2, v2, v3
	v_mul_f32_e32 v3, v33, v103
	s_waitcnt vmcnt(36)
	v_mul_f32_e32 v51, v44, v120
	v_fma_f32 v3, v32, v102, -v3
	v_fmac_f32_e32 v51, v45, v119
	v_add_f32_e32 v2, v2, v3
	v_mul_f32_e32 v3, v35, v105
	v_add_f32_e32 v54, v50, v51
	ds_read2_b64 v[50:53], v1 offset0:111 offset1:112
	v_fma_f32 v3, v34, v104, -v3
	s_waitcnt vmcnt(34) lgkmcnt(1)
	v_mul_f32_e32 v55, v46, v122
	v_add_f32_e32 v2, v2, v3
	v_mul_f32_e32 v3, v37, v112
	v_fmac_f32_e32 v55, v47, v121
	v_fma_f32 v3, v36, v111, -v3
	v_add_f32_e32 v54, v54, v55
	s_waitcnt vmcnt(32)
	v_mul_f32_e32 v55, v48, v124
	v_add_f32_e32 v2, v2, v3
	v_mul_f32_e32 v3, v39, v114
	v_fmac_f32_e32 v55, v49, v123
	v_fma_f32 v3, v38, v113, -v3
	v_add_f32_e32 v54, v54, v55
	s_waitcnt vmcnt(30) lgkmcnt(0)
	v_mul_f32_e32 v55, v50, v126
	v_add_f32_e32 v2, v2, v3
	v_mul_f32_e32 v3, v41, v116
	v_fmac_f32_e32 v55, v51, v125
	v_fma_f32 v3, v40, v115, -v3
	v_add_f32_e32 v58, v54, v55
	ds_read2_b64 v[54:57], v1 offset0:113 offset1:114
	v_add_f32_e32 v2, v2, v3
	v_mul_f32_e32 v3, v43, v118
	v_fma_f32 v3, v42, v117, -v3
	s_waitcnt vmcnt(28)
	v_mul_f32_e32 v59, v52, v128
	v_add_f32_e32 v2, v2, v3
	v_mul_f32_e32 v3, v45, v120
	v_fmac_f32_e32 v59, v53, v127
	v_fma_f32 v3, v44, v119, -v3
	v_add_f32_e32 v62, v58, v59
	ds_read2_b64 v[58:61], v1 offset0:115 offset1:116
	v_add_f32_e32 v2, v2, v3
	v_mul_f32_e32 v3, v47, v122
	s_waitcnt vmcnt(26) lgkmcnt(1)
	v_mul_f32_e32 v63, v54, v130
	v_fma_f32 v3, v46, v121, -v3
	v_fmac_f32_e32 v63, v55, v129
	v_add_f32_e32 v2, v2, v3
	v_mul_f32_e32 v3, v49, v124
	v_add_f32_e32 v62, v62, v63
	s_waitcnt vmcnt(25)
	v_mul_f32_e32 v63, v56, v131
	v_fma_f32 v3, v48, v123, -v3
	s_waitcnt vmcnt(22)
	v_fmac_f32_e32 v63, v57, v134
	v_add_f32_e32 v2, v2, v3
	v_mul_f32_e32 v3, v51, v126
	v_add_f32_e32 v62, v62, v63
	s_waitcnt lgkmcnt(0)
	v_mul_f32_e32 v63, v58, v133
	v_fma_f32 v3, v50, v125, -v3
	v_fmac_f32_e32 v63, v59, v132
	v_add_f32_e32 v2, v2, v3
	v_mul_f32_e32 v3, v53, v128
	v_add_f32_e32 v66, v62, v63
	ds_read2_b64 v[62:65], v1 offset0:117 offset1:118
	v_fma_f32 v3, v52, v127, -v3
	v_add_f32_e32 v2, v2, v3
	v_mul_f32_e32 v3, v55, v130
	s_waitcnt vmcnt(20)
	v_mul_f32_e32 v67, v60, v136
	v_fma_f32 v3, v54, v129, -v3
	v_fmac_f32_e32 v67, v61, v135
	v_add_f32_e32 v2, v2, v3
	v_mul_f32_e32 v3, v57, v131
	v_add_f32_e32 v70, v66, v67
	ds_read2_b64 v[66:69], v1 offset0:119 offset1:120
	v_fma_f32 v3, v56, v134, -v3
	s_waitcnt vmcnt(18) lgkmcnt(1)
	v_mul_f32_e32 v71, v62, v138
	v_add_f32_e32 v2, v2, v3
	v_mul_f32_e32 v3, v59, v133
	v_fmac_f32_e32 v71, v63, v137
	v_fma_f32 v3, v58, v132, -v3
	v_add_f32_e32 v70, v70, v71
	s_waitcnt vmcnt(17)
	v_mul_f32_e32 v71, v64, v139
	v_add_f32_e32 v2, v2, v3
	v_mul_f32_e32 v3, v61, v136
	s_waitcnt vmcnt(14)
	v_fmac_f32_e32 v71, v65, v142
	v_fma_f32 v3, v60, v135, -v3
	v_add_f32_e32 v70, v70, v71
	s_waitcnt lgkmcnt(0)
	v_mul_f32_e32 v71, v66, v141
	v_add_f32_e32 v2, v2, v3
	v_mul_f32_e32 v3, v63, v138
	v_fmac_f32_e32 v71, v67, v140
	v_fma_f32 v3, v62, v137, -v3
	v_add_f32_e32 v74, v70, v71
	ds_read2_b64 v[70:73], v1 offset0:121 offset1:122
	v_add_f32_e32 v2, v2, v3
	v_mul_f32_e32 v3, v65, v139
	v_fma_f32 v3, v64, v142, -v3
	v_add_f32_e32 v2, v2, v3
	v_mul_f32_e32 v3, v67, v141
	s_waitcnt vmcnt(12)
	v_mul_f32_e32 v75, v68, v144
	v_fma_f32 v3, v66, v140, -v3
	v_fmac_f32_e32 v75, v69, v143
	v_add_f32_e32 v2, v2, v3
	v_mul_f32_e32 v3, v69, v144
	v_add_f32_e32 v78, v74, v75
	ds_read2_b64 v[74:77], v1 offset0:123 offset1:124
	s_waitcnt vmcnt(10) lgkmcnt(1)
	v_mul_f32_e32 v79, v70, v146
	v_fma_f32 v3, v68, v143, -v3
	v_fmac_f32_e32 v79, v71, v145
	v_add_f32_e32 v2, v2, v3
	v_mul_f32_e32 v3, v71, v146
	v_add_f32_e32 v78, v78, v79
	s_waitcnt vmcnt(9)
	v_mul_f32_e32 v79, v72, v147
	v_fma_f32 v3, v70, v145, -v3
	s_waitcnt vmcnt(6)
	v_fmac_f32_e32 v79, v73, v150
	v_add_f32_e32 v2, v2, v3
	v_mul_f32_e32 v3, v73, v147
	v_add_f32_e32 v157, v78, v79
	ds_read2_b64 v[78:81], v1 offset0:125 offset1:126
	v_fma_f32 v3, v72, v150, -v3
	v_add_f32_e32 v2, v2, v3
	s_waitcnt lgkmcnt(1)
	v_mul_f32_e32 v3, v75, v149
	v_mul_f32_e32 v158, v74, v149
	v_fma_f32 v3, v74, v148, -v3
	v_fmac_f32_e32 v158, v75, v148
	v_add_f32_e32 v2, v2, v3
	s_waitcnt vmcnt(4)
	v_mul_f32_e32 v3, v77, v152
	v_add_f32_e32 v1, v157, v158
	v_mul_f32_e32 v157, v76, v152
	v_fma_f32 v3, v76, v151, -v3
	v_fmac_f32_e32 v157, v77, v151
	v_add_f32_e32 v2, v2, v3
	s_waitcnt vmcnt(3) lgkmcnt(0)
	v_mul_f32_e32 v3, v79, v153
	v_add_f32_e32 v1, v1, v157
	v_mul_f32_e32 v157, v78, v153
	s_waitcnt vmcnt(0)
	v_fma_f32 v3, v78, v156, -v3
	v_fmac_f32_e32 v157, v79, v156
	v_add_f32_e32 v2, v2, v3
	v_mul_f32_e32 v3, v81, v155
	v_add_f32_e32 v1, v1, v157
	v_mul_f32_e32 v157, v80, v155
	v_fma_f32 v3, v80, v154, -v3
	v_fmac_f32_e32 v157, v81, v154
	v_add_f32_e32 v2, v2, v3
	v_add_f32_e32 v1, v1, v157
	v_sub_f32_e32 v2, v109, v2
	v_sub_f32_e32 v1, v110, v1
	buffer_store_dword v2, off, s[0:3], 0 offset:192
	buffer_store_dword v1, off, s[0:3], 0 offset:196
	s_and_saveexec_b64 s[4:5], vcc
	s_cbranch_execz .LBB62_345
; %bb.344:
	buffer_load_dword v1, off, s[0:3], 0 offset:184
	buffer_load_dword v2, off, s[0:3], 0 offset:188
	v_mov_b32_e32 v3, 0
	buffer_store_dword v3, off, s[0:3], 0 offset:184
	buffer_store_dword v3, off, s[0:3], 0 offset:188
	s_waitcnt vmcnt(2)
	ds_write_b64 v25, v[1:2]
.LBB62_345:
	s_or_b64 exec, exec, s[4:5]
	s_waitcnt lgkmcnt(0)
	; wave barrier
	buffer_load_dword v24, off, s[0:3], 0 offset:196
	buffer_load_dword v82, off, s[0:3], 0 offset:204
	;; [unrolled: 1-line block ×50, first 2 shown]
	v_mov_b32_e32 v1, 0
	ds_read_b128 v[2:5], v1 offset:704
	ds_read_b128 v[6:9], v1 offset:720
	;; [unrolled: 1-line block ×6, first 2 shown]
	buffer_load_dword v131, off, s[0:3], 0 offset:384
	buffer_load_dword v132, off, s[0:3], 0 offset:388
	;; [unrolled: 1-line block ×8, first 2 shown]
	v_cmp_lt_u32_e32 vcc, 22, v0
	s_waitcnt vmcnt(57) lgkmcnt(5)
	v_mul_f32_e32 v22, v2, v24
	s_waitcnt vmcnt(56)
	v_mul_f32_e32 v23, v4, v82
	s_waitcnt vmcnt(55) lgkmcnt(4)
	v_mul_f32_e32 v30, v6, v83
	s_waitcnt vmcnt(54)
	v_mul_f32_e32 v31, v8, v84
	;; [unrolled: 4-line block ×5, first 2 shown]
	s_waitcnt vmcnt(47) lgkmcnt(0)
	v_mul_f32_e32 v38, v26, v91
	s_waitcnt vmcnt(46)
	v_fmac_f32_e32 v30, v7, v92
	s_waitcnt vmcnt(45)
	v_fmac_f32_e32 v23, v5, v93
	;; [unrolled: 2-line block ×3, first 2 shown]
	v_add_f32_e32 v22, 0, v22
	v_add_f32_e32 v22, v22, v23
	;; [unrolled: 1-line block ×3, first 2 shown]
	s_waitcnt vmcnt(40)
	v_fmac_f32_e32 v31, v9, v98
	v_fmac_f32_e32 v32, v11, v97
	v_add_f32_e32 v22, v22, v31
	v_fmac_f32_e32 v33, v13, v96
	v_add_f32_e32 v22, v22, v32
	;; [unrolled: 2-line block ×3, first 2 shown]
	s_waitcnt vmcnt(36)
	v_fmac_f32_e32 v35, v17, v102
	v_add_f32_e32 v22, v22, v34
	ds_read_b128 v[30:33], v1 offset:800
	buffer_load_dword v139, off, s[0:3], 0 offset:416
	buffer_load_dword v140, off, s[0:3], 0 offset:420
	;; [unrolled: 1-line block ×6, first 2 shown]
	v_fmac_f32_e32 v36, v19, v101
	v_add_f32_e32 v22, v22, v35
	v_fmac_f32_e32 v37, v21, v100
	v_add_f32_e32 v22, v22, v36
	v_add_f32_e32 v22, v22, v37
	ds_read_b128 v[34:37], v1 offset:816
	buffer_load_dword v145, off, s[0:3], 0 offset:440
	buffer_load_dword v146, off, s[0:3], 0 offset:444
	buffer_load_dword v147, off, s[0:3], 0 offset:448
	buffer_load_dword v148, off, s[0:3], 0 offset:452
	buffer_load_dword v149, off, s[0:3], 0 offset:460
	buffer_load_dword v150, off, s[0:3], 0 offset:464
	buffer_load_dword v151, off, s[0:3], 0 offset:468
	buffer_load_dword v152, off, s[0:3], 0 offset:456
	buffer_load_dword v153, off, s[0:3], 0 offset:472
	buffer_load_dword v154, off, s[0:3], 0 offset:476
	buffer_load_dword v155, off, s[0:3], 0 offset:480
	buffer_load_dword v156, off, s[0:3], 0 offset:484
	buffer_load_dword v157, off, s[0:3], 0 offset:492
	buffer_load_dword v158, off, s[0:3], 0 offset:496
	buffer_load_dword v159, off, s[0:3], 0 offset:500
	buffer_load_dword v160, off, s[0:3], 0 offset:488
	v_mul_f32_e32 v3, v3, v24
	v_fma_f32 v2, v2, v94, -v3
	v_mul_f32_e32 v3, v5, v82
	v_add_f32_e32 v2, 0, v2
	v_fma_f32 v3, v4, v93, -v3
	v_add_f32_e32 v2, v2, v3
	v_mul_f32_e32 v3, v7, v83
	v_fma_f32 v3, v6, v92, -v3
	v_add_f32_e32 v2, v2, v3
	v_mul_f32_e32 v3, v9, v84
	;; [unrolled: 3-line block ×9, first 2 shown]
	v_fmac_f32_e32 v38, v27, v99
	s_waitcnt vmcnt(57)
	v_mul_f32_e32 v23, v28, v103
	v_fma_f32 v3, v26, v99, -v3
	v_add_f32_e32 v22, v22, v38
	s_waitcnt vmcnt(50)
	v_fmac_f32_e32 v23, v29, v110
	v_add_f32_e32 v2, v2, v3
	v_mul_f32_e32 v3, v29, v103
	v_add_f32_e32 v22, v22, v23
	s_waitcnt lgkmcnt(1)
	v_mul_f32_e32 v23, v30, v105
	v_fma_f32 v3, v28, v110, -v3
	v_fmac_f32_e32 v23, v31, v104
	v_add_f32_e32 v2, v2, v3
	v_mul_f32_e32 v3, v31, v105
	v_add_f32_e32 v22, v22, v23
	v_mul_f32_e32 v23, v32, v107
	v_fma_f32 v3, v30, v104, -v3
	v_fmac_f32_e32 v23, v33, v106
	ds_read_b128 v[38:41], v1 offset:832
	ds_read_b128 v[42:45], v1 offset:848
	v_add_f32_e32 v2, v2, v3
	v_mul_f32_e32 v3, v33, v107
	v_add_f32_e32 v22, v22, v23
	s_waitcnt lgkmcnt(2)
	v_mul_f32_e32 v23, v34, v109
	v_fma_f32 v3, v32, v106, -v3
	v_fmac_f32_e32 v23, v35, v108
	v_add_f32_e32 v2, v2, v3
	v_mul_f32_e32 v3, v35, v109
	v_add_f32_e32 v22, v22, v23
	s_waitcnt vmcnt(46)
	v_mul_f32_e32 v23, v36, v114
	v_fma_f32 v3, v34, v108, -v3
	v_fmac_f32_e32 v23, v37, v113
	v_add_f32_e32 v2, v2, v3
	v_mul_f32_e32 v3, v37, v114
	v_add_f32_e32 v22, v22, v23
	s_waitcnt vmcnt(44) lgkmcnt(1)
	v_mul_f32_e32 v23, v38, v116
	v_fma_f32 v3, v36, v113, -v3
	v_fmac_f32_e32 v23, v39, v115
	v_add_f32_e32 v2, v2, v3
	v_mul_f32_e32 v3, v39, v116
	v_add_f32_e32 v22, v22, v23
	s_waitcnt vmcnt(42)
	v_mul_f32_e32 v23, v40, v118
	v_fma_f32 v3, v38, v115, -v3
	v_fmac_f32_e32 v23, v41, v117
	ds_read_b128 v[46:49], v1 offset:864
	ds_read_b128 v[50:53], v1 offset:880
	v_add_f32_e32 v2, v2, v3
	v_mul_f32_e32 v3, v41, v118
	v_add_f32_e32 v22, v22, v23
	s_waitcnt vmcnt(40) lgkmcnt(2)
	v_mul_f32_e32 v23, v42, v120
	v_fma_f32 v3, v40, v117, -v3
	v_fmac_f32_e32 v23, v43, v119
	v_add_f32_e32 v2, v2, v3
	v_mul_f32_e32 v3, v43, v120
	v_add_f32_e32 v22, v22, v23
	s_waitcnt vmcnt(38)
	v_mul_f32_e32 v23, v44, v122
	v_fma_f32 v3, v42, v119, -v3
	v_fmac_f32_e32 v23, v45, v121
	v_add_f32_e32 v2, v2, v3
	v_mul_f32_e32 v3, v45, v122
	v_add_f32_e32 v22, v22, v23
	s_waitcnt vmcnt(36) lgkmcnt(1)
	v_mul_f32_e32 v23, v46, v124
	v_fma_f32 v3, v44, v121, -v3
	v_fmac_f32_e32 v23, v47, v123
	v_add_f32_e32 v2, v2, v3
	v_mul_f32_e32 v3, v47, v124
	v_add_f32_e32 v22, v22, v23
	s_waitcnt vmcnt(34)
	v_mul_f32_e32 v23, v48, v126
	v_fma_f32 v3, v46, v123, -v3
	v_fmac_f32_e32 v23, v49, v125
	ds_read_b128 v[54:57], v1 offset:896
	ds_read_b128 v[58:61], v1 offset:912
	v_add_f32_e32 v2, v2, v3
	v_mul_f32_e32 v3, v49, v126
	v_add_f32_e32 v22, v22, v23
	s_waitcnt vmcnt(32) lgkmcnt(2)
	v_mul_f32_e32 v23, v50, v128
	v_fma_f32 v3, v48, v125, -v3
	v_fmac_f32_e32 v23, v51, v127
	v_add_f32_e32 v2, v2, v3
	v_mul_f32_e32 v3, v51, v128
	v_add_f32_e32 v22, v22, v23
	s_waitcnt vmcnt(30)
	v_mul_f32_e32 v23, v52, v130
	v_fma_f32 v3, v50, v127, -v3
	v_fmac_f32_e32 v23, v53, v129
	v_add_f32_e32 v2, v2, v3
	v_mul_f32_e32 v3, v53, v130
	v_add_f32_e32 v22, v22, v23
	s_waitcnt vmcnt(28) lgkmcnt(1)
	v_mul_f32_e32 v23, v54, v132
	v_fma_f32 v3, v52, v129, -v3
	v_fmac_f32_e32 v23, v55, v131
	v_add_f32_e32 v2, v2, v3
	v_mul_f32_e32 v3, v55, v132
	v_add_f32_e32 v22, v22, v23
	s_waitcnt vmcnt(27)
	v_mul_f32_e32 v23, v56, v133
	v_fma_f32 v3, v54, v131, -v3
	s_waitcnt vmcnt(24)
	v_fmac_f32_e32 v23, v57, v136
	ds_read_b128 v[62:65], v1 offset:928
	ds_read_b128 v[66:69], v1 offset:944
	v_add_f32_e32 v2, v2, v3
	v_mul_f32_e32 v3, v57, v133
	v_add_f32_e32 v22, v22, v23
	s_waitcnt lgkmcnt(2)
	v_mul_f32_e32 v23, v58, v135
	v_fma_f32 v3, v56, v136, -v3
	v_fmac_f32_e32 v23, v59, v134
	v_add_f32_e32 v2, v2, v3
	v_mul_f32_e32 v3, v59, v135
	v_add_f32_e32 v22, v22, v23
	s_waitcnt vmcnt(22)
	v_mul_f32_e32 v23, v60, v138
	v_fma_f32 v3, v58, v134, -v3
	v_fmac_f32_e32 v23, v61, v137
	v_add_f32_e32 v2, v2, v3
	v_mul_f32_e32 v3, v61, v138
	v_add_f32_e32 v22, v22, v23
	s_waitcnt vmcnt(20) lgkmcnt(1)
	v_mul_f32_e32 v23, v62, v140
	v_fma_f32 v3, v60, v137, -v3
	v_fmac_f32_e32 v23, v63, v139
	v_add_f32_e32 v2, v2, v3
	v_mul_f32_e32 v3, v63, v140
	v_add_f32_e32 v22, v22, v23
	s_waitcnt vmcnt(19)
	v_mul_f32_e32 v23, v64, v141
	v_fma_f32 v3, v62, v139, -v3
	s_waitcnt vmcnt(16)
	v_fmac_f32_e32 v23, v65, v144
	ds_read_b128 v[70:73], v1 offset:960
	ds_read_b128 v[74:77], v1 offset:976
	v_add_f32_e32 v2, v2, v3
	v_mul_f32_e32 v3, v65, v141
	v_add_f32_e32 v22, v22, v23
	s_waitcnt lgkmcnt(2)
	v_mul_f32_e32 v23, v66, v143
	v_fma_f32 v3, v64, v144, -v3
	v_fmac_f32_e32 v23, v67, v142
	v_add_f32_e32 v2, v2, v3
	v_mul_f32_e32 v3, v67, v143
	v_add_f32_e32 v22, v22, v23
	s_waitcnt vmcnt(14)
	v_mul_f32_e32 v23, v68, v146
	v_fma_f32 v3, v66, v142, -v3
	v_fmac_f32_e32 v23, v69, v145
	v_add_f32_e32 v2, v2, v3
	v_mul_f32_e32 v3, v69, v146
	v_add_f32_e32 v22, v22, v23
	s_waitcnt vmcnt(12) lgkmcnt(1)
	v_mul_f32_e32 v23, v70, v148
	v_fma_f32 v3, v68, v145, -v3
	v_fmac_f32_e32 v23, v71, v147
	v_add_f32_e32 v2, v2, v3
	v_mul_f32_e32 v3, v71, v148
	v_add_f32_e32 v22, v22, v23
	s_waitcnt vmcnt(11)
	v_mul_f32_e32 v23, v72, v149
	v_fma_f32 v3, v70, v147, -v3
	s_waitcnt vmcnt(8)
	v_fmac_f32_e32 v23, v73, v152
	v_add_f32_e32 v2, v2, v3
	v_mul_f32_e32 v3, v73, v149
	v_add_f32_e32 v22, v22, v23
	s_waitcnt lgkmcnt(0)
	v_mul_f32_e32 v23, v74, v151
	ds_read_b128 v[78:81], v1 offset:992
	v_fma_f32 v3, v72, v152, -v3
	v_fmac_f32_e32 v23, v75, v150
	v_add_f32_e32 v2, v2, v3
	v_mul_f32_e32 v3, v75, v151
	v_add_f32_e32 v22, v22, v23
	s_waitcnt vmcnt(6)
	v_mul_f32_e32 v23, v76, v154
	v_fma_f32 v3, v74, v150, -v3
	v_fmac_f32_e32 v23, v77, v153
	v_add_f32_e32 v2, v2, v3
	v_mul_f32_e32 v3, v77, v154
	v_add_f32_e32 v161, v22, v23
	ds_read_b64 v[22:23], v1 offset:1008
	v_fma_f32 v3, v76, v153, -v3
	v_add_f32_e32 v2, v2, v3
	s_waitcnt vmcnt(4) lgkmcnt(1)
	v_mul_f32_e32 v3, v79, v156
	v_mul_f32_e32 v162, v78, v156
	v_fma_f32 v3, v78, v155, -v3
	v_fmac_f32_e32 v162, v79, v155
	v_add_f32_e32 v2, v2, v3
	s_waitcnt vmcnt(3)
	v_mul_f32_e32 v3, v81, v157
	v_add_f32_e32 v161, v161, v162
	v_mul_f32_e32 v162, v80, v157
	s_waitcnt vmcnt(0)
	v_fma_f32 v3, v80, v160, -v3
	v_fmac_f32_e32 v162, v81, v160
	v_add_f32_e32 v2, v2, v3
	s_waitcnt lgkmcnt(0)
	v_mul_f32_e32 v3, v23, v159
	v_add_f32_e32 v161, v161, v162
	v_mul_f32_e32 v162, v22, v159
	v_fma_f32 v3, v22, v158, -v3
	v_fmac_f32_e32 v162, v23, v158
	v_add_f32_e32 v2, v2, v3
	v_add_f32_e32 v161, v161, v162
	v_sub_f32_e32 v2, v111, v2
	v_sub_f32_e32 v3, v112, v161
	buffer_store_dword v2, off, s[0:3], 0 offset:184
	buffer_store_dword v3, off, s[0:3], 0 offset:188
	s_and_saveexec_b64 s[4:5], vcc
	s_cbranch_execz .LBB62_347
; %bb.346:
	buffer_load_dword v2, off, s[0:3], 0 offset:176
	buffer_load_dword v3, off, s[0:3], 0 offset:180
	s_waitcnt vmcnt(0)
	ds_write_b64 v25, v[2:3]
	buffer_store_dword v1, off, s[0:3], 0 offset:176
	buffer_store_dword v1, off, s[0:3], 0 offset:180
.LBB62_347:
	s_or_b64 exec, exec, s[4:5]
	s_waitcnt lgkmcnt(0)
	; wave barrier
	buffer_load_dword v22, off, s[0:3], 0 offset:188
	buffer_load_dword v23, off, s[0:3], 0 offset:196
	;; [unrolled: 1-line block ×32, first 2 shown]
	ds_read2_b64 v[2:5], v1 offset0:87 offset1:88
	ds_read2_b64 v[6:9], v1 offset0:89 offset1:90
	;; [unrolled: 1-line block ×6, first 2 shown]
	buffer_load_dword v115, off, s[0:3], 0 offset:304
	buffer_load_dword v116, off, s[0:3], 0 offset:308
	;; [unrolled: 1-line block ×26, first 2 shown]
	v_cmp_lt_u32_e32 vcc, 21, v0
	s_waitcnt vmcnt(57) lgkmcnt(5)
	v_mul_f32_e32 v30, v2, v22
	s_waitcnt vmcnt(56)
	v_mul_f32_e32 v31, v4, v23
	s_waitcnt vmcnt(55) lgkmcnt(4)
	v_mul_f32_e32 v32, v6, v24
	s_waitcnt vmcnt(54)
	v_mul_f32_e32 v33, v8, v86
	;; [unrolled: 4-line block ×5, first 2 shown]
	s_waitcnt vmcnt(47) lgkmcnt(0)
	v_mul_f32_e32 v40, v26, v93
	s_waitcnt vmcnt(46)
	v_fmac_f32_e32 v32, v7, v94
	s_waitcnt vmcnt(45)
	v_fmac_f32_e32 v31, v5, v95
	;; [unrolled: 2-line block ×3, first 2 shown]
	v_add_f32_e32 v30, 0, v30
	v_add_f32_e32 v30, v30, v31
	;; [unrolled: 1-line block ×3, first 2 shown]
	s_waitcnt vmcnt(40)
	v_fmac_f32_e32 v33, v9, v100
	v_fmac_f32_e32 v34, v11, v99
	v_add_f32_e32 v30, v30, v33
	v_fmac_f32_e32 v35, v13, v98
	v_add_f32_e32 v30, v30, v34
	v_fmac_f32_e32 v36, v15, v97
	v_add_f32_e32 v30, v30, v35
	s_waitcnt vmcnt(36)
	v_fmac_f32_e32 v37, v17, v104
	v_add_f32_e32 v30, v30, v36
	v_fmac_f32_e32 v38, v19, v103
	v_add_f32_e32 v30, v30, v37
	;; [unrolled: 2-line block ×4, first 2 shown]
	v_add_f32_e32 v34, v30, v40
	ds_read2_b64 v[30:33], v1 offset0:99 offset1:100
	buffer_load_dword v141, off, s[0:3], 0 offset:408
	buffer_load_dword v142, off, s[0:3], 0 offset:412
	;; [unrolled: 1-line block ×6, first 2 shown]
	s_waitcnt vmcnt(41)
	v_mul_f32_e32 v35, v28, v105
	s_waitcnt vmcnt(35)
	v_fmac_f32_e32 v35, v29, v111
	v_add_f32_e32 v38, v34, v35
	ds_read2_b64 v[34:37], v1 offset0:101 offset1:102
	buffer_load_dword v147, off, s[0:3], 0 offset:432
	buffer_load_dword v148, off, s[0:3], 0 offset:436
	;; [unrolled: 1-line block ×10, first 2 shown]
	s_waitcnt vmcnt(44) lgkmcnt(1)
	v_mul_f32_e32 v39, v30, v112
	v_fmac_f32_e32 v39, v31, v110
	v_add_f32_e32 v38, v38, v39
	v_mul_f32_e32 v39, v32, v107
	v_fmac_f32_e32 v39, v33, v106
	v_add_f32_e32 v38, v38, v39
	s_waitcnt lgkmcnt(0)
	v_mul_f32_e32 v39, v34, v109
	buffer_load_dword v157, off, s[0:3], 0 offset:472
	buffer_load_dword v158, off, s[0:3], 0 offset:476
	;; [unrolled: 1-line block ×6, first 2 shown]
	v_fmac_f32_e32 v39, v35, v108
	s_waitcnt vmcnt(46)
	v_mul_f32_e32 v43, v36, v116
	v_add_f32_e32 v42, v38, v39
	v_fmac_f32_e32 v43, v37, v115
	ds_read2_b64 v[38:41], v1 offset0:103 offset1:104
	v_add_f32_e32 v46, v42, v43
	ds_read2_b64 v[42:45], v1 offset0:105 offset1:106
	buffer_load_dword v163, off, s[0:3], 0 offset:496
	buffer_load_dword v164, off, s[0:3], 0 offset:500
	v_mul_f32_e32 v3, v3, v22
	v_fma_f32 v2, v2, v96, -v3
	v_mul_f32_e32 v3, v5, v23
	v_add_f32_e32 v2, 0, v2
	v_fma_f32 v3, v4, v95, -v3
	v_add_f32_e32 v2, v2, v3
	v_mul_f32_e32 v3, v7, v24
	v_fma_f32 v3, v6, v94, -v3
	v_add_f32_e32 v2, v2, v3
	v_mul_f32_e32 v3, v9, v86
	;; [unrolled: 3-line block ×7, first 2 shown]
	s_waitcnt vmcnt(46) lgkmcnt(1)
	v_mul_f32_e32 v47, v38, v118
	v_fma_f32 v3, v18, v103, -v3
	v_fmac_f32_e32 v47, v39, v117
	v_add_f32_e32 v2, v2, v3
	v_mul_f32_e32 v3, v21, v92
	v_add_f32_e32 v46, v46, v47
	s_waitcnt vmcnt(44)
	v_mul_f32_e32 v47, v40, v120
	v_fma_f32 v3, v20, v102, -v3
	v_fmac_f32_e32 v47, v41, v119
	v_add_f32_e32 v2, v2, v3
	v_mul_f32_e32 v3, v27, v93
	v_add_f32_e32 v46, v46, v47
	s_waitcnt vmcnt(42) lgkmcnt(0)
	v_mul_f32_e32 v47, v42, v122
	v_fma_f32 v3, v26, v101, -v3
	v_fmac_f32_e32 v47, v43, v121
	v_add_f32_e32 v2, v2, v3
	v_mul_f32_e32 v3, v29, v105
	v_add_f32_e32 v50, v46, v47
	ds_read2_b64 v[46:49], v1 offset0:107 offset1:108
	v_fma_f32 v3, v28, v111, -v3
	v_add_f32_e32 v2, v2, v3
	v_mul_f32_e32 v3, v31, v112
	s_waitcnt vmcnt(40)
	v_mul_f32_e32 v51, v44, v124
	v_fma_f32 v3, v30, v110, -v3
	v_fmac_f32_e32 v51, v45, v123
	v_add_f32_e32 v2, v2, v3
	v_mul_f32_e32 v3, v33, v107
	v_add_f32_e32 v54, v50, v51
	ds_read2_b64 v[50:53], v1 offset0:109 offset1:110
	v_fma_f32 v3, v32, v106, -v3
	s_waitcnt vmcnt(38) lgkmcnt(1)
	v_mul_f32_e32 v55, v46, v126
	v_add_f32_e32 v2, v2, v3
	v_mul_f32_e32 v3, v35, v109
	v_fmac_f32_e32 v55, v47, v125
	v_fma_f32 v3, v34, v108, -v3
	v_add_f32_e32 v54, v54, v55
	s_waitcnt vmcnt(36)
	v_mul_f32_e32 v55, v48, v128
	v_add_f32_e32 v2, v2, v3
	v_mul_f32_e32 v3, v37, v116
	v_fmac_f32_e32 v55, v49, v127
	v_fma_f32 v3, v36, v115, -v3
	v_add_f32_e32 v54, v54, v55
	s_waitcnt vmcnt(34) lgkmcnt(0)
	v_mul_f32_e32 v55, v50, v130
	v_add_f32_e32 v2, v2, v3
	v_mul_f32_e32 v3, v39, v118
	v_fmac_f32_e32 v55, v51, v129
	v_fma_f32 v3, v38, v117, -v3
	v_add_f32_e32 v58, v54, v55
	ds_read2_b64 v[54:57], v1 offset0:111 offset1:112
	v_add_f32_e32 v2, v2, v3
	v_mul_f32_e32 v3, v41, v120
	v_fma_f32 v3, v40, v119, -v3
	s_waitcnt vmcnt(32)
	v_mul_f32_e32 v59, v52, v132
	v_add_f32_e32 v2, v2, v3
	v_mul_f32_e32 v3, v43, v122
	v_fmac_f32_e32 v59, v53, v131
	v_fma_f32 v3, v42, v121, -v3
	v_add_f32_e32 v62, v58, v59
	ds_read2_b64 v[58:61], v1 offset0:113 offset1:114
	v_add_f32_e32 v2, v2, v3
	v_mul_f32_e32 v3, v45, v124
	s_waitcnt vmcnt(30) lgkmcnt(1)
	v_mul_f32_e32 v63, v54, v134
	v_fma_f32 v3, v44, v123, -v3
	v_fmac_f32_e32 v63, v55, v133
	v_add_f32_e32 v2, v2, v3
	v_mul_f32_e32 v3, v47, v126
	v_add_f32_e32 v62, v62, v63
	s_waitcnt vmcnt(29)
	v_mul_f32_e32 v63, v56, v135
	v_fma_f32 v3, v46, v125, -v3
	s_waitcnt vmcnt(26)
	v_fmac_f32_e32 v63, v57, v138
	v_add_f32_e32 v2, v2, v3
	v_mul_f32_e32 v3, v49, v128
	v_add_f32_e32 v62, v62, v63
	s_waitcnt lgkmcnt(0)
	v_mul_f32_e32 v63, v58, v137
	v_fma_f32 v3, v48, v127, -v3
	v_fmac_f32_e32 v63, v59, v136
	v_add_f32_e32 v2, v2, v3
	v_mul_f32_e32 v3, v51, v130
	v_add_f32_e32 v66, v62, v63
	ds_read2_b64 v[62:65], v1 offset0:115 offset1:116
	v_fma_f32 v3, v50, v129, -v3
	v_add_f32_e32 v2, v2, v3
	v_mul_f32_e32 v3, v53, v132
	s_waitcnt vmcnt(24)
	v_mul_f32_e32 v67, v60, v140
	v_fma_f32 v3, v52, v131, -v3
	v_fmac_f32_e32 v67, v61, v139
	v_add_f32_e32 v2, v2, v3
	v_mul_f32_e32 v3, v55, v134
	v_add_f32_e32 v70, v66, v67
	ds_read2_b64 v[66:69], v1 offset0:117 offset1:118
	v_fma_f32 v3, v54, v133, -v3
	s_waitcnt vmcnt(22) lgkmcnt(1)
	v_mul_f32_e32 v71, v62, v142
	v_add_f32_e32 v2, v2, v3
	v_mul_f32_e32 v3, v57, v135
	v_fmac_f32_e32 v71, v63, v141
	v_fma_f32 v3, v56, v138, -v3
	v_add_f32_e32 v70, v70, v71
	s_waitcnt vmcnt(21)
	v_mul_f32_e32 v71, v64, v143
	v_add_f32_e32 v2, v2, v3
	v_mul_f32_e32 v3, v59, v137
	s_waitcnt vmcnt(18)
	v_fmac_f32_e32 v71, v65, v146
	v_fma_f32 v3, v58, v136, -v3
	v_add_f32_e32 v70, v70, v71
	s_waitcnt lgkmcnt(0)
	v_mul_f32_e32 v71, v66, v145
	v_add_f32_e32 v2, v2, v3
	v_mul_f32_e32 v3, v61, v140
	v_fmac_f32_e32 v71, v67, v144
	v_fma_f32 v3, v60, v139, -v3
	v_add_f32_e32 v74, v70, v71
	ds_read2_b64 v[70:73], v1 offset0:119 offset1:120
	v_add_f32_e32 v2, v2, v3
	v_mul_f32_e32 v3, v63, v142
	v_fma_f32 v3, v62, v141, -v3
	s_waitcnt vmcnt(16)
	v_mul_f32_e32 v75, v68, v148
	v_add_f32_e32 v2, v2, v3
	v_mul_f32_e32 v3, v65, v143
	v_fmac_f32_e32 v75, v69, v147
	v_fma_f32 v3, v64, v146, -v3
	v_add_f32_e32 v78, v74, v75
	ds_read2_b64 v[74:77], v1 offset0:121 offset1:122
	v_add_f32_e32 v2, v2, v3
	v_mul_f32_e32 v3, v67, v145
	s_waitcnt vmcnt(14) lgkmcnt(1)
	v_mul_f32_e32 v79, v70, v150
	v_fma_f32 v3, v66, v144, -v3
	v_fmac_f32_e32 v79, v71, v149
	v_add_f32_e32 v2, v2, v3
	v_mul_f32_e32 v3, v69, v148
	v_add_f32_e32 v78, v78, v79
	s_waitcnt vmcnt(13)
	v_mul_f32_e32 v79, v72, v151
	v_fma_f32 v3, v68, v147, -v3
	s_waitcnt vmcnt(10)
	v_fmac_f32_e32 v79, v73, v154
	v_add_f32_e32 v2, v2, v3
	v_mul_f32_e32 v3, v71, v150
	v_add_f32_e32 v78, v78, v79
	s_waitcnt lgkmcnt(0)
	v_mul_f32_e32 v79, v74, v153
	v_fma_f32 v3, v70, v149, -v3
	v_fmac_f32_e32 v79, v75, v152
	v_add_f32_e32 v2, v2, v3
	v_mul_f32_e32 v3, v73, v151
	v_add_f32_e32 v82, v78, v79
	ds_read2_b64 v[78:81], v1 offset0:123 offset1:124
	v_fma_f32 v3, v72, v154, -v3
	v_add_f32_e32 v2, v2, v3
	v_mul_f32_e32 v3, v75, v153
	s_waitcnt vmcnt(8)
	v_mul_f32_e32 v83, v76, v156
	v_fma_f32 v3, v74, v152, -v3
	v_fmac_f32_e32 v83, v77, v155
	v_add_f32_e32 v2, v2, v3
	v_mul_f32_e32 v3, v77, v156
	v_add_f32_e32 v165, v82, v83
	ds_read2_b64 v[82:85], v1 offset0:125 offset1:126
	v_fma_f32 v3, v76, v155, -v3
	v_add_f32_e32 v2, v2, v3
	s_waitcnt vmcnt(6) lgkmcnt(1)
	v_mul_f32_e32 v3, v79, v158
	v_mul_f32_e32 v1, v78, v158
	v_fma_f32 v3, v78, v157, -v3
	v_fmac_f32_e32 v1, v79, v157
	v_add_f32_e32 v2, v2, v3
	s_waitcnt vmcnt(5)
	v_mul_f32_e32 v3, v81, v159
	v_add_f32_e32 v1, v165, v1
	v_mul_f32_e32 v165, v80, v159
	s_waitcnt vmcnt(2)
	v_fma_f32 v3, v80, v162, -v3
	v_fmac_f32_e32 v165, v81, v162
	v_add_f32_e32 v2, v2, v3
	s_waitcnt lgkmcnt(0)
	v_mul_f32_e32 v3, v83, v161
	v_add_f32_e32 v1, v1, v165
	v_mul_f32_e32 v165, v82, v161
	v_fma_f32 v3, v82, v160, -v3
	v_fmac_f32_e32 v165, v83, v160
	v_add_f32_e32 v2, v2, v3
	s_waitcnt vmcnt(0)
	v_mul_f32_e32 v3, v85, v164
	v_add_f32_e32 v1, v1, v165
	v_mul_f32_e32 v165, v84, v164
	v_fma_f32 v3, v84, v163, -v3
	v_fmac_f32_e32 v165, v85, v163
	v_add_f32_e32 v2, v2, v3
	v_add_f32_e32 v1, v1, v165
	v_sub_f32_e32 v2, v113, v2
	v_sub_f32_e32 v1, v114, v1
	buffer_store_dword v2, off, s[0:3], 0 offset:176
	buffer_store_dword v1, off, s[0:3], 0 offset:180
	s_and_saveexec_b64 s[4:5], vcc
	s_cbranch_execz .LBB62_349
; %bb.348:
	buffer_load_dword v1, off, s[0:3], 0 offset:168
	buffer_load_dword v2, off, s[0:3], 0 offset:172
	v_mov_b32_e32 v3, 0
	buffer_store_dword v3, off, s[0:3], 0 offset:168
	buffer_store_dword v3, off, s[0:3], 0 offset:172
	s_waitcnt vmcnt(2)
	ds_write_b64 v25, v[1:2]
.LBB62_349:
	s_or_b64 exec, exec, s[4:5]
	s_waitcnt lgkmcnt(0)
	; wave barrier
	buffer_load_dword v10, off, s[0:3], 0 offset:180
	buffer_load_dword v9, off, s[0:3], 0 offset:188
	;; [unrolled: 1-line block ×32, first 2 shown]
	v_mov_b32_e32 v1, 0
	buffer_load_dword v117, off, s[0:3], 0 offset:296
	buffer_load_dword v118, off, s[0:3], 0 offset:300
	;; [unrolled: 1-line block ×18, first 2 shown]
	ds_read_b128 v[11:14], v1 offset:688
	ds_read_b128 v[15:18], v1 offset:704
	;; [unrolled: 1-line block ×6, first 2 shown]
	buffer_load_dword v135, off, s[0:3], 0 offset:368
	buffer_load_dword v136, off, s[0:3], 0 offset:372
	;; [unrolled: 1-line block ×6, first 2 shown]
	v_cmp_lt_u32_e32 vcc, 20, v0
	s_waitcnt vmcnt(55) lgkmcnt(5)
	v_mul_f32_e32 v23, v11, v10
	s_waitcnt vmcnt(54)
	v_mul_f32_e32 v24, v13, v9
	s_waitcnt vmcnt(53) lgkmcnt(4)
	v_mul_f32_e32 v38, v15, v8
	s_waitcnt vmcnt(52)
	v_mul_f32_e32 v39, v17, v7
	;; [unrolled: 4-line block ×5, first 2 shown]
	s_waitcnt vmcnt(45) lgkmcnt(0)
	v_mul_f32_e32 v46, v34, v97
	s_waitcnt vmcnt(44)
	v_fmac_f32_e32 v38, v16, v98
	s_waitcnt vmcnt(43)
	v_fmac_f32_e32 v24, v14, v99
	;; [unrolled: 2-line block ×3, first 2 shown]
	v_add_f32_e32 v23, 0, v23
	v_add_f32_e32 v23, v23, v24
	;; [unrolled: 1-line block ×3, first 2 shown]
	s_waitcnt vmcnt(38)
	v_fmac_f32_e32 v39, v18, v104
	v_fmac_f32_e32 v40, v20, v103
	v_add_f32_e32 v23, v23, v39
	v_fmac_f32_e32 v41, v22, v102
	v_add_f32_e32 v23, v23, v40
	v_add_f32_e32 v23, v23, v41
	ds_read_b128 v[38:41], v1 offset:784
	buffer_load_dword v141, off, s[0:3], 0 offset:392
	buffer_load_dword v142, off, s[0:3], 0 offset:396
	v_fmac_f32_e32 v42, v27, v101
	s_waitcnt vmcnt(36)
	v_fmac_f32_e32 v43, v29, v108
	v_add_f32_e32 v23, v23, v42
	v_fmac_f32_e32 v44, v31, v107
	v_add_f32_e32 v23, v23, v43
	;; [unrolled: 2-line block ×3, first 2 shown]
	v_add_f32_e32 v23, v23, v45
	ds_read_b128 v[42:45], v1 offset:800
	buffer_load_dword v143, off, s[0:3], 0 offset:400
	buffer_load_dword v144, off, s[0:3], 0 offset:404
	;; [unrolled: 1-line block ×16, first 2 shown]
	v_fmac_f32_e32 v46, v35, v105
	v_add_f32_e32 v23, v23, v46
	ds_read_b128 v[46:49], v1 offset:816
	buffer_load_dword v159, off, s[0:3], 0 offset:464
	buffer_load_dword v160, off, s[0:3], 0 offset:468
	;; [unrolled: 1-line block ×6, first 2 shown]
	ds_read_b128 v[50:53], v1 offset:832
	buffer_load_dword v165, off, s[0:3], 0 offset:492
	buffer_load_dword v166, off, s[0:3], 0 offset:496
	;; [unrolled: 1-line block ×4, first 2 shown]
	v_mul_f32_e32 v10, v12, v10
	v_fma_f32 v10, v11, v100, -v10
	v_mul_f32_e32 v9, v14, v9
	v_add_f32_e32 v10, 0, v10
	v_fma_f32 v9, v13, v99, -v9
	v_mul_f32_e32 v8, v16, v8
	v_add_f32_e32 v9, v10, v9
	;; [unrolled: 3-line block ×6, first 2 shown]
	v_fma_f32 v4, v26, v101, -v4
	v_add_f32_e32 v4, v5, v4
	v_mul_f32_e32 v5, v29, v94
	v_fma_f32 v5, v28, v108, -v5
	v_add_f32_e32 v4, v4, v5
	v_mul_f32_e32 v5, v31, v95
	;; [unrolled: 3-line block ×4, first 2 shown]
	s_waitcnt vmcnt(61)
	v_mul_f32_e32 v24, v36, v109
	v_fma_f32 v5, v34, v105, -v5
	s_waitcnt vmcnt(55)
	v_fmac_f32_e32 v24, v37, v115
	v_add_f32_e32 v4, v4, v5
	v_mul_f32_e32 v5, v37, v109
	v_add_f32_e32 v23, v23, v24
	s_waitcnt vmcnt(54) lgkmcnt(3)
	v_mul_f32_e32 v24, v38, v116
	v_fma_f32 v5, v36, v115, -v5
	v_fmac_f32_e32 v24, v39, v114
	v_add_f32_e32 v4, v4, v5
	v_mul_f32_e32 v5, v39, v116
	v_add_f32_e32 v23, v23, v24
	v_mul_f32_e32 v24, v40, v111
	v_fma_f32 v5, v38, v114, -v5
	v_fmac_f32_e32 v24, v41, v110
	v_add_f32_e32 v4, v4, v5
	v_mul_f32_e32 v5, v41, v111
	v_add_f32_e32 v23, v23, v24
	s_waitcnt lgkmcnt(2)
	v_mul_f32_e32 v24, v42, v113
	v_fma_f32 v5, v40, v110, -v5
	v_fmac_f32_e32 v24, v43, v112
	v_add_f32_e32 v4, v4, v5
	v_mul_f32_e32 v5, v43, v113
	v_add_f32_e32 v23, v23, v24
	s_waitcnt vmcnt(50)
	v_mul_f32_e32 v24, v44, v118
	v_fma_f32 v5, v42, v112, -v5
	v_fmac_f32_e32 v24, v45, v117
	v_add_f32_e32 v4, v4, v5
	v_mul_f32_e32 v5, v45, v118
	v_add_f32_e32 v23, v23, v24
	s_waitcnt vmcnt(48) lgkmcnt(1)
	v_mul_f32_e32 v24, v46, v120
	v_fma_f32 v5, v44, v117, -v5
	v_fmac_f32_e32 v24, v47, v119
	v_add_f32_e32 v4, v4, v5
	v_mul_f32_e32 v5, v47, v120
	v_add_f32_e32 v23, v23, v24
	s_waitcnt vmcnt(46)
	v_mul_f32_e32 v24, v48, v122
	v_fma_f32 v5, v46, v119, -v5
	v_fmac_f32_e32 v24, v49, v121
	ds_read_b128 v[54:57], v1 offset:848
	ds_read_b128 v[58:61], v1 offset:864
	v_add_f32_e32 v4, v4, v5
	v_mul_f32_e32 v5, v49, v122
	v_add_f32_e32 v23, v23, v24
	s_waitcnt vmcnt(44) lgkmcnt(2)
	v_mul_f32_e32 v24, v50, v124
	v_fma_f32 v5, v48, v121, -v5
	v_fmac_f32_e32 v24, v51, v123
	v_add_f32_e32 v4, v4, v5
	v_mul_f32_e32 v5, v51, v124
	v_add_f32_e32 v23, v23, v24
	s_waitcnt vmcnt(42)
	v_mul_f32_e32 v24, v52, v126
	v_fma_f32 v5, v50, v123, -v5
	v_fmac_f32_e32 v24, v53, v125
	v_add_f32_e32 v4, v4, v5
	v_mul_f32_e32 v5, v53, v126
	v_add_f32_e32 v23, v23, v24
	s_waitcnt vmcnt(40) lgkmcnt(1)
	v_mul_f32_e32 v24, v54, v128
	v_fma_f32 v5, v52, v125, -v5
	v_fmac_f32_e32 v24, v55, v127
	v_add_f32_e32 v4, v4, v5
	v_mul_f32_e32 v5, v55, v128
	v_add_f32_e32 v23, v23, v24
	s_waitcnt vmcnt(38)
	v_mul_f32_e32 v24, v56, v130
	v_fma_f32 v5, v54, v127, -v5
	v_fmac_f32_e32 v24, v57, v129
	ds_read_b128 v[62:65], v1 offset:880
	ds_read_b128 v[66:69], v1 offset:896
	v_add_f32_e32 v4, v4, v5
	v_mul_f32_e32 v5, v57, v130
	v_add_f32_e32 v23, v23, v24
	s_waitcnt vmcnt(36) lgkmcnt(2)
	v_mul_f32_e32 v24, v58, v132
	v_fma_f32 v5, v56, v129, -v5
	v_fmac_f32_e32 v24, v59, v131
	v_add_f32_e32 v4, v4, v5
	v_mul_f32_e32 v5, v59, v132
	v_add_f32_e32 v23, v23, v24
	s_waitcnt vmcnt(34)
	v_mul_f32_e32 v24, v60, v134
	v_fma_f32 v5, v58, v131, -v5
	v_fmac_f32_e32 v24, v61, v133
	v_add_f32_e32 v4, v4, v5
	v_mul_f32_e32 v5, v61, v134
	v_add_f32_e32 v23, v23, v24
	s_waitcnt vmcnt(32) lgkmcnt(1)
	v_mul_f32_e32 v24, v62, v136
	v_fma_f32 v5, v60, v133, -v5
	v_fmac_f32_e32 v24, v63, v135
	v_add_f32_e32 v4, v4, v5
	v_mul_f32_e32 v5, v63, v136
	v_add_f32_e32 v23, v23, v24
	s_waitcnt vmcnt(31)
	v_mul_f32_e32 v24, v64, v137
	v_fma_f32 v5, v62, v135, -v5
	s_waitcnt vmcnt(28)
	v_fmac_f32_e32 v24, v65, v140
	ds_read_b128 v[70:73], v1 offset:912
	ds_read_b128 v[74:77], v1 offset:928
	v_add_f32_e32 v4, v4, v5
	v_mul_f32_e32 v5, v65, v137
	v_add_f32_e32 v23, v23, v24
	s_waitcnt lgkmcnt(2)
	v_mul_f32_e32 v24, v66, v139
	v_fma_f32 v5, v64, v140, -v5
	v_fmac_f32_e32 v24, v67, v138
	v_add_f32_e32 v4, v4, v5
	v_mul_f32_e32 v5, v67, v139
	v_add_f32_e32 v23, v23, v24
	s_waitcnt vmcnt(26)
	v_mul_f32_e32 v24, v68, v142
	v_fma_f32 v5, v66, v138, -v5
	v_fmac_f32_e32 v24, v69, v141
	v_add_f32_e32 v4, v4, v5
	v_mul_f32_e32 v5, v69, v142
	v_add_f32_e32 v23, v23, v24
	s_waitcnt vmcnt(24) lgkmcnt(1)
	v_mul_f32_e32 v24, v70, v144
	v_fma_f32 v5, v68, v141, -v5
	v_fmac_f32_e32 v24, v71, v143
	v_add_f32_e32 v4, v4, v5
	v_mul_f32_e32 v5, v71, v144
	v_add_f32_e32 v23, v23, v24
	s_waitcnt vmcnt(23)
	v_mul_f32_e32 v24, v72, v145
	v_fma_f32 v5, v70, v143, -v5
	s_waitcnt vmcnt(20)
	v_fmac_f32_e32 v24, v73, v148
	ds_read_b128 v[78:81], v1 offset:944
	ds_read_b128 v[82:85], v1 offset:960
	v_add_f32_e32 v4, v4, v5
	v_mul_f32_e32 v5, v73, v145
	v_add_f32_e32 v23, v23, v24
	s_waitcnt lgkmcnt(2)
	;; [unrolled: 31-line block ×3, first 2 shown]
	v_mul_f32_e32 v24, v82, v155
	v_fma_f32 v5, v80, v156, -v5
	v_fmac_f32_e32 v24, v83, v154
	v_add_f32_e32 v4, v4, v5
	v_mul_f32_e32 v5, v83, v155
	v_add_f32_e32 v23, v23, v24
	s_waitcnt vmcnt(10)
	v_mul_f32_e32 v24, v84, v158
	v_fma_f32 v5, v82, v154, -v5
	v_fmac_f32_e32 v24, v85, v157
	v_add_f32_e32 v4, v4, v5
	v_mul_f32_e32 v5, v85, v158
	v_add_f32_e32 v23, v23, v24
	s_waitcnt vmcnt(8) lgkmcnt(1)
	v_mul_f32_e32 v24, v86, v160
	v_fma_f32 v5, v84, v157, -v5
	v_fmac_f32_e32 v24, v87, v159
	v_add_f32_e32 v4, v4, v5
	v_mul_f32_e32 v5, v87, v160
	v_add_f32_e32 v23, v23, v24
	s_waitcnt vmcnt(7)
	v_mul_f32_e32 v24, v88, v161
	v_fma_f32 v5, v86, v159, -v5
	s_waitcnt vmcnt(4)
	v_fmac_f32_e32 v24, v89, v164
	v_add_f32_e32 v4, v4, v5
	v_mul_f32_e32 v5, v89, v161
	v_add_f32_e32 v169, v23, v24
	ds_read_b64 v[23:24], v1 offset:1008
	v_fma_f32 v5, v88, v164, -v5
	v_add_f32_e32 v4, v4, v5
	s_waitcnt lgkmcnt(1)
	v_mul_f32_e32 v5, v91, v163
	v_mul_f32_e32 v170, v90, v163
	v_fma_f32 v5, v90, v162, -v5
	v_fmac_f32_e32 v170, v91, v162
	v_add_f32_e32 v4, v4, v5
	s_waitcnt vmcnt(3)
	v_mul_f32_e32 v5, v93, v165
	v_add_f32_e32 v169, v169, v170
	v_mul_f32_e32 v170, v92, v165
	s_waitcnt vmcnt(0)
	v_fma_f32 v5, v92, v168, -v5
	v_fmac_f32_e32 v170, v93, v168
	v_add_f32_e32 v4, v4, v5
	s_waitcnt lgkmcnt(0)
	v_mul_f32_e32 v5, v24, v167
	v_add_f32_e32 v169, v169, v170
	v_mul_f32_e32 v170, v23, v167
	v_fma_f32 v5, v23, v166, -v5
	v_fmac_f32_e32 v170, v24, v166
	v_add_f32_e32 v4, v4, v5
	v_add_f32_e32 v169, v169, v170
	v_sub_f32_e32 v2, v2, v4
	v_sub_f32_e32 v3, v3, v169
	buffer_store_dword v2, off, s[0:3], 0 offset:168
	buffer_store_dword v3, off, s[0:3], 0 offset:172
	s_and_saveexec_b64 s[4:5], vcc
	s_cbranch_execz .LBB62_351
; %bb.350:
	buffer_load_dword v2, off, s[0:3], 0 offset:160
	buffer_load_dword v3, off, s[0:3], 0 offset:164
	s_waitcnt vmcnt(0)
	ds_write_b64 v25, v[2:3]
	buffer_store_dword v1, off, s[0:3], 0 offset:160
	buffer_store_dword v1, off, s[0:3], 0 offset:164
.LBB62_351:
	s_or_b64 exec, exec, s[4:5]
	s_waitcnt lgkmcnt(0)
	; wave barrier
	buffer_load_dword v22, off, s[0:3], 0 offset:172
	buffer_load_dword v23, off, s[0:3], 0 offset:180
	;; [unrolled: 1-line block ×32, first 2 shown]
	ds_read2_b64 v[2:5], v1 offset0:85 offset1:86
	ds_read2_b64 v[6:9], v1 offset0:87 offset1:88
	;; [unrolled: 1-line block ×6, first 2 shown]
	buffer_load_dword v119, off, s[0:3], 0 offset:288
	buffer_load_dword v120, off, s[0:3], 0 offset:292
	;; [unrolled: 1-line block ×18, first 2 shown]
	v_cmp_lt_u32_e32 vcc, 19, v0
	s_waitcnt vmcnt(49) lgkmcnt(5)
	v_mul_f32_e32 v30, v2, v22
	s_waitcnt vmcnt(48)
	v_mul_f32_e32 v31, v4, v23
	s_waitcnt vmcnt(47) lgkmcnt(4)
	v_mul_f32_e32 v32, v6, v24
	s_waitcnt vmcnt(46)
	v_mul_f32_e32 v33, v8, v90
	;; [unrolled: 4-line block ×6, first 2 shown]
	s_waitcnt vmcnt(37)
	v_fmac_f32_e32 v32, v7, v99
	s_waitcnt vmcnt(36)
	v_fmac_f32_e32 v31, v5, v100
	;; [unrolled: 2-line block ×3, first 2 shown]
	v_add_f32_e32 v30, 0, v30
	v_add_f32_e32 v30, v30, v31
	;; [unrolled: 1-line block ×3, first 2 shown]
	s_waitcnt vmcnt(31)
	v_fmac_f32_e32 v33, v9, v105
	v_fmac_f32_e32 v34, v11, v104
	v_add_f32_e32 v30, v30, v33
	v_fmac_f32_e32 v35, v13, v103
	v_add_f32_e32 v30, v30, v34
	;; [unrolled: 2-line block ×3, first 2 shown]
	s_waitcnt vmcnt(27)
	v_fmac_f32_e32 v37, v17, v109
	v_add_f32_e32 v30, v30, v36
	v_fmac_f32_e32 v38, v19, v108
	v_add_f32_e32 v30, v30, v37
	;; [unrolled: 2-line block ×3, first 2 shown]
	v_add_f32_e32 v34, v30, v39
	ds_read2_b64 v[30:33], v1 offset0:97 offset1:98
	buffer_load_dword v137, off, s[0:3], 0 offset:360
	buffer_load_dword v138, off, s[0:3], 0 offset:364
	;; [unrolled: 1-line block ×6, first 2 shown]
	v_fmac_f32_e32 v40, v27, v106
	s_waitcnt vmcnt(27)
	v_fmac_f32_e32 v41, v29, v115
	v_add_f32_e32 v34, v34, v40
	v_add_f32_e32 v38, v34, v41
	ds_read2_b64 v[34:37], v1 offset0:99 offset1:100
	buffer_load_dword v143, off, s[0:3], 0 offset:384
	buffer_load_dword v144, off, s[0:3], 0 offset:388
	buffer_load_dword v145, off, s[0:3], 0 offset:392
	buffer_load_dword v146, off, s[0:3], 0 offset:396
	buffer_load_dword v147, off, s[0:3], 0 offset:404
	buffer_load_dword v148, off, s[0:3], 0 offset:408
	buffer_load_dword v149, off, s[0:3], 0 offset:412
	buffer_load_dword v150, off, s[0:3], 0 offset:400
	buffer_load_dword v151, off, s[0:3], 0 offset:416
	buffer_load_dword v152, off, s[0:3], 0 offset:420
	s_waitcnt vmcnt(36) lgkmcnt(1)
	v_mul_f32_e32 v39, v30, v116
	buffer_load_dword v153, off, s[0:3], 0 offset:424
	buffer_load_dword v154, off, s[0:3], 0 offset:428
	;; [unrolled: 1-line block ×6, first 2 shown]
	v_fmac_f32_e32 v39, v31, v114
	v_add_f32_e32 v38, v38, v39
	v_mul_f32_e32 v39, v32, v111
	v_fmac_f32_e32 v39, v33, v110
	v_add_f32_e32 v38, v38, v39
	s_waitcnt lgkmcnt(0)
	v_mul_f32_e32 v39, v34, v113
	v_fmac_f32_e32 v39, v35, v112
	v_add_f32_e32 v42, v38, v39
	ds_read2_b64 v[38:41], v1 offset0:101 offset1:102
	buffer_load_dword v159, off, s[0:3], 0 offset:448
	buffer_load_dword v160, off, s[0:3], 0 offset:452
	s_waitcnt vmcnt(40)
	v_mul_f32_e32 v43, v36, v120
	v_fmac_f32_e32 v43, v37, v119
	v_add_f32_e32 v46, v42, v43
	ds_read2_b64 v[42:45], v1 offset0:103 offset1:104
	buffer_load_dword v161, off, s[0:3], 0 offset:456
	buffer_load_dword v162, off, s[0:3], 0 offset:460
	buffer_load_dword v163, off, s[0:3], 0 offset:468
	buffer_load_dword v164, off, s[0:3], 0 offset:472
	buffer_load_dword v165, off, s[0:3], 0 offset:476
	buffer_load_dword v166, off, s[0:3], 0 offset:464
	buffer_load_dword v167, off, s[0:3], 0 offset:480
	buffer_load_dword v168, off, s[0:3], 0 offset:484
	buffer_load_dword v169, off, s[0:3], 0 offset:492
	buffer_load_dword v170, off, s[0:3], 0 offset:496
	buffer_load_dword v171, off, s[0:3], 0 offset:500
	buffer_load_dword v172, off, s[0:3], 0 offset:488
	v_mul_f32_e32 v3, v3, v22
	v_fma_f32 v2, v2, v101, -v3
	v_mul_f32_e32 v3, v5, v23
	v_add_f32_e32 v2, 0, v2
	v_fma_f32 v3, v4, v100, -v3
	v_add_f32_e32 v2, v2, v3
	v_mul_f32_e32 v3, v7, v24
	v_fma_f32 v3, v6, v99, -v3
	v_add_f32_e32 v2, v2, v3
	v_mul_f32_e32 v3, v9, v90
	;; [unrolled: 3-line block ×6, first 2 shown]
	v_fma_f32 v3, v16, v109, -v3
	s_waitcnt vmcnt(50) lgkmcnt(1)
	v_mul_f32_e32 v47, v38, v122
	v_add_f32_e32 v2, v2, v3
	v_mul_f32_e32 v3, v19, v95
	v_fmac_f32_e32 v47, v39, v121
	v_fma_f32 v3, v18, v108, -v3
	v_add_f32_e32 v46, v46, v47
	s_waitcnt vmcnt(48)
	v_mul_f32_e32 v47, v40, v124
	v_add_f32_e32 v2, v2, v3
	v_mul_f32_e32 v3, v21, v96
	v_fmac_f32_e32 v47, v41, v123
	v_fma_f32 v3, v20, v107, -v3
	v_add_f32_e32 v46, v46, v47
	s_waitcnt vmcnt(46) lgkmcnt(0)
	v_mul_f32_e32 v47, v42, v126
	v_add_f32_e32 v2, v2, v3
	v_mul_f32_e32 v3, v27, v97
	v_fmac_f32_e32 v47, v43, v125
	v_fma_f32 v3, v26, v106, -v3
	v_add_f32_e32 v50, v46, v47
	ds_read2_b64 v[46:49], v1 offset0:105 offset1:106
	v_add_f32_e32 v2, v2, v3
	v_mul_f32_e32 v3, v29, v98
	v_fma_f32 v3, v28, v115, -v3
	s_waitcnt vmcnt(44)
	v_mul_f32_e32 v51, v44, v128
	v_add_f32_e32 v2, v2, v3
	v_mul_f32_e32 v3, v31, v116
	v_fmac_f32_e32 v51, v45, v127
	v_fma_f32 v3, v30, v114, -v3
	v_add_f32_e32 v54, v50, v51
	ds_read2_b64 v[50:53], v1 offset0:107 offset1:108
	v_add_f32_e32 v2, v2, v3
	v_mul_f32_e32 v3, v33, v111
	s_waitcnt vmcnt(42) lgkmcnt(1)
	v_mul_f32_e32 v55, v46, v130
	v_fma_f32 v3, v32, v110, -v3
	v_fmac_f32_e32 v55, v47, v129
	v_add_f32_e32 v2, v2, v3
	v_mul_f32_e32 v3, v35, v113
	v_add_f32_e32 v54, v54, v55
	s_waitcnt vmcnt(40)
	v_mul_f32_e32 v55, v48, v132
	v_fma_f32 v3, v34, v112, -v3
	v_fmac_f32_e32 v55, v49, v131
	v_add_f32_e32 v2, v2, v3
	v_mul_f32_e32 v3, v37, v120
	v_add_f32_e32 v54, v54, v55
	s_waitcnt vmcnt(38) lgkmcnt(0)
	v_mul_f32_e32 v55, v50, v134
	v_fma_f32 v3, v36, v119, -v3
	v_fmac_f32_e32 v55, v51, v133
	v_add_f32_e32 v2, v2, v3
	v_mul_f32_e32 v3, v39, v122
	v_add_f32_e32 v58, v54, v55
	ds_read2_b64 v[54:57], v1 offset0:109 offset1:110
	v_fma_f32 v3, v38, v121, -v3
	v_add_f32_e32 v2, v2, v3
	v_mul_f32_e32 v3, v41, v124
	s_waitcnt vmcnt(36)
	v_mul_f32_e32 v59, v52, v136
	v_fma_f32 v3, v40, v123, -v3
	v_fmac_f32_e32 v59, v53, v135
	v_add_f32_e32 v2, v2, v3
	v_mul_f32_e32 v3, v43, v126
	v_add_f32_e32 v62, v58, v59
	ds_read2_b64 v[58:61], v1 offset0:111 offset1:112
	v_fma_f32 v3, v42, v125, -v3
	s_waitcnt vmcnt(34) lgkmcnt(1)
	v_mul_f32_e32 v63, v54, v138
	v_add_f32_e32 v2, v2, v3
	v_mul_f32_e32 v3, v45, v128
	v_fmac_f32_e32 v63, v55, v137
	v_fma_f32 v3, v44, v127, -v3
	v_add_f32_e32 v62, v62, v63
	s_waitcnt vmcnt(33)
	v_mul_f32_e32 v63, v56, v139
	v_add_f32_e32 v2, v2, v3
	v_mul_f32_e32 v3, v47, v130
	s_waitcnt vmcnt(30)
	v_fmac_f32_e32 v63, v57, v142
	v_fma_f32 v3, v46, v129, -v3
	v_add_f32_e32 v62, v62, v63
	s_waitcnt lgkmcnt(0)
	v_mul_f32_e32 v63, v58, v141
	v_add_f32_e32 v2, v2, v3
	v_mul_f32_e32 v3, v49, v132
	v_fmac_f32_e32 v63, v59, v140
	v_fma_f32 v3, v48, v131, -v3
	v_add_f32_e32 v66, v62, v63
	ds_read2_b64 v[62:65], v1 offset0:113 offset1:114
	v_add_f32_e32 v2, v2, v3
	v_mul_f32_e32 v3, v51, v134
	v_fma_f32 v3, v50, v133, -v3
	s_waitcnt vmcnt(28)
	v_mul_f32_e32 v67, v60, v144
	v_add_f32_e32 v2, v2, v3
	v_mul_f32_e32 v3, v53, v136
	v_fmac_f32_e32 v67, v61, v143
	v_fma_f32 v3, v52, v135, -v3
	v_add_f32_e32 v70, v66, v67
	ds_read2_b64 v[66:69], v1 offset0:115 offset1:116
	v_add_f32_e32 v2, v2, v3
	v_mul_f32_e32 v3, v55, v138
	s_waitcnt vmcnt(26) lgkmcnt(1)
	v_mul_f32_e32 v71, v62, v146
	v_fma_f32 v3, v54, v137, -v3
	v_fmac_f32_e32 v71, v63, v145
	v_add_f32_e32 v2, v2, v3
	v_mul_f32_e32 v3, v57, v139
	v_add_f32_e32 v70, v70, v71
	s_waitcnt vmcnt(25)
	v_mul_f32_e32 v71, v64, v147
	v_fma_f32 v3, v56, v142, -v3
	s_waitcnt vmcnt(22)
	v_fmac_f32_e32 v71, v65, v150
	v_add_f32_e32 v2, v2, v3
	v_mul_f32_e32 v3, v59, v141
	v_add_f32_e32 v70, v70, v71
	s_waitcnt lgkmcnt(0)
	v_mul_f32_e32 v71, v66, v149
	v_fma_f32 v3, v58, v140, -v3
	v_fmac_f32_e32 v71, v67, v148
	v_add_f32_e32 v2, v2, v3
	v_mul_f32_e32 v3, v61, v144
	v_add_f32_e32 v74, v70, v71
	ds_read2_b64 v[70:73], v1 offset0:117 offset1:118
	v_fma_f32 v3, v60, v143, -v3
	v_add_f32_e32 v2, v2, v3
	v_mul_f32_e32 v3, v63, v146
	s_waitcnt vmcnt(20)
	v_mul_f32_e32 v75, v68, v152
	v_fma_f32 v3, v62, v145, -v3
	v_fmac_f32_e32 v75, v69, v151
	v_add_f32_e32 v2, v2, v3
	v_mul_f32_e32 v3, v65, v147
	v_add_f32_e32 v78, v74, v75
	ds_read2_b64 v[74:77], v1 offset0:119 offset1:120
	v_fma_f32 v3, v64, v150, -v3
	s_waitcnt vmcnt(18) lgkmcnt(1)
	v_mul_f32_e32 v79, v70, v154
	v_add_f32_e32 v2, v2, v3
	v_mul_f32_e32 v3, v67, v149
	v_fmac_f32_e32 v79, v71, v153
	v_fma_f32 v3, v66, v148, -v3
	v_add_f32_e32 v78, v78, v79
	s_waitcnt vmcnt(17)
	v_mul_f32_e32 v79, v72, v155
	v_add_f32_e32 v2, v2, v3
	v_mul_f32_e32 v3, v69, v152
	s_waitcnt vmcnt(14)
	v_fmac_f32_e32 v79, v73, v158
	v_fma_f32 v3, v68, v151, -v3
	v_add_f32_e32 v78, v78, v79
	s_waitcnt lgkmcnt(0)
	v_mul_f32_e32 v79, v74, v157
	v_add_f32_e32 v2, v2, v3
	v_mul_f32_e32 v3, v71, v154
	v_fmac_f32_e32 v79, v75, v156
	v_fma_f32 v3, v70, v153, -v3
	v_add_f32_e32 v82, v78, v79
	ds_read2_b64 v[78:81], v1 offset0:121 offset1:122
	v_add_f32_e32 v2, v2, v3
	v_mul_f32_e32 v3, v73, v155
	v_fma_f32 v3, v72, v158, -v3
	v_add_f32_e32 v2, v2, v3
	v_mul_f32_e32 v3, v75, v157
	s_waitcnt vmcnt(12)
	v_mul_f32_e32 v83, v76, v160
	v_fma_f32 v3, v74, v156, -v3
	v_fmac_f32_e32 v83, v77, v159
	v_add_f32_e32 v2, v2, v3
	v_mul_f32_e32 v3, v77, v160
	v_add_f32_e32 v86, v82, v83
	ds_read2_b64 v[82:85], v1 offset0:123 offset1:124
	s_waitcnt vmcnt(10) lgkmcnt(1)
	v_mul_f32_e32 v87, v78, v162
	v_fma_f32 v3, v76, v159, -v3
	v_fmac_f32_e32 v87, v79, v161
	v_add_f32_e32 v2, v2, v3
	v_mul_f32_e32 v3, v79, v162
	v_add_f32_e32 v86, v86, v87
	s_waitcnt vmcnt(9)
	v_mul_f32_e32 v87, v80, v163
	v_fma_f32 v3, v78, v161, -v3
	s_waitcnt vmcnt(6)
	v_fmac_f32_e32 v87, v81, v166
	v_add_f32_e32 v2, v2, v3
	v_mul_f32_e32 v3, v81, v163
	v_add_f32_e32 v173, v86, v87
	ds_read2_b64 v[86:89], v1 offset0:125 offset1:126
	v_fma_f32 v3, v80, v166, -v3
	v_add_f32_e32 v2, v2, v3
	s_waitcnt lgkmcnt(1)
	v_mul_f32_e32 v3, v83, v165
	v_mul_f32_e32 v174, v82, v165
	v_fma_f32 v3, v82, v164, -v3
	v_fmac_f32_e32 v174, v83, v164
	v_add_f32_e32 v2, v2, v3
	s_waitcnt vmcnt(4)
	v_mul_f32_e32 v3, v85, v168
	v_add_f32_e32 v1, v173, v174
	v_mul_f32_e32 v173, v84, v168
	v_fma_f32 v3, v84, v167, -v3
	v_fmac_f32_e32 v173, v85, v167
	v_add_f32_e32 v2, v2, v3
	s_waitcnt vmcnt(3) lgkmcnt(0)
	v_mul_f32_e32 v3, v87, v169
	v_add_f32_e32 v1, v1, v173
	v_mul_f32_e32 v173, v86, v169
	s_waitcnt vmcnt(0)
	v_fma_f32 v3, v86, v172, -v3
	v_fmac_f32_e32 v173, v87, v172
	v_add_f32_e32 v2, v2, v3
	v_mul_f32_e32 v3, v89, v171
	v_add_f32_e32 v1, v1, v173
	v_mul_f32_e32 v173, v88, v171
	v_fma_f32 v3, v88, v170, -v3
	v_fmac_f32_e32 v173, v89, v170
	v_add_f32_e32 v2, v2, v3
	v_add_f32_e32 v1, v1, v173
	v_sub_f32_e32 v2, v117, v2
	v_sub_f32_e32 v1, v118, v1
	buffer_store_dword v2, off, s[0:3], 0 offset:160
	buffer_store_dword v1, off, s[0:3], 0 offset:164
	s_and_saveexec_b64 s[4:5], vcc
	s_cbranch_execz .LBB62_353
; %bb.352:
	buffer_load_dword v1, off, s[0:3], 0 offset:152
	buffer_load_dword v2, off, s[0:3], 0 offset:156
	v_mov_b32_e32 v3, 0
	buffer_store_dword v3, off, s[0:3], 0 offset:152
	buffer_store_dword v3, off, s[0:3], 0 offset:156
	s_waitcnt vmcnt(2)
	ds_write_b64 v25, v[1:2]
.LBB62_353:
	s_or_b64 exec, exec, s[4:5]
	s_waitcnt lgkmcnt(0)
	; wave barrier
	buffer_load_dword v10, off, s[0:3], 0 offset:164
	buffer_load_dword v9, off, s[0:3], 0 offset:172
	;; [unrolled: 1-line block ×48, first 2 shown]
	v_mov_b32_e32 v1, 0
	ds_read_b128 v[16:19], v1 offset:672
	ds_read_b128 v[20:23], v1 offset:688
	;; [unrolled: 1-line block ×6, first 2 shown]
	buffer_load_dword v137, off, s[0:3], 0 offset:344
	buffer_load_dword v138, off, s[0:3], 0 offset:348
	v_cmp_lt_u32_e32 vcc, 18, v0
	s_waitcnt vmcnt(49) lgkmcnt(5)
	v_mul_f32_e32 v42, v16, v10
	s_waitcnt vmcnt(48)
	v_mul_f32_e32 v43, v18, v9
	s_waitcnt vmcnt(47) lgkmcnt(4)
	v_mul_f32_e32 v44, v20, v8
	s_waitcnt vmcnt(46)
	v_mul_f32_e32 v45, v22, v7
	s_waitcnt vmcnt(45) lgkmcnt(3)
	v_mul_f32_e32 v46, v26, v6
	s_waitcnt vmcnt(44)
	v_mul_f32_e32 v47, v28, v5
	s_waitcnt vmcnt(43) lgkmcnt(2)
	v_mul_f32_e32 v48, v30, v4
	s_waitcnt vmcnt(42)
	v_mul_f32_e32 v49, v32, v11
	s_waitcnt vmcnt(41) lgkmcnt(1)
	v_mul_f32_e32 v50, v34, v12
	s_waitcnt vmcnt(40)
	v_mul_f32_e32 v51, v36, v13
	s_waitcnt vmcnt(39) lgkmcnt(0)
	v_mul_f32_e32 v52, v38, v14
	s_waitcnt vmcnt(38)
	v_mul_f32_e32 v53, v40, v15
	s_waitcnt vmcnt(37)
	v_fmac_f32_e32 v44, v21, v24
	s_waitcnt vmcnt(36)
	v_fmac_f32_e32 v43, v19, v104
	;; [unrolled: 2-line block ×3, first 2 shown]
	v_add_f32_e32 v42, 0, v42
	v_add_f32_e32 v42, v42, v43
	;; [unrolled: 1-line block ×3, first 2 shown]
	s_waitcnt vmcnt(31)
	v_fmac_f32_e32 v45, v23, v109
	v_fmac_f32_e32 v46, v27, v108
	v_add_f32_e32 v42, v42, v45
	v_fmac_f32_e32 v47, v29, v107
	v_add_f32_e32 v42, v42, v46
	;; [unrolled: 2-line block ×3, first 2 shown]
	s_waitcnt vmcnt(27)
	v_fmac_f32_e32 v49, v33, v113
	v_add_f32_e32 v42, v42, v48
	v_fmac_f32_e32 v50, v35, v112
	v_add_f32_e32 v42, v42, v49
	;; [unrolled: 2-line block ×4, first 2 shown]
	v_add_f32_e32 v46, v42, v52
	ds_read_b128 v[42:45], v1 offset:768
	buffer_load_dword v139, off, s[0:3], 0 offset:352
	buffer_load_dword v140, off, s[0:3], 0 offset:356
	;; [unrolled: 1-line block ×6, first 2 shown]
	s_waitcnt vmcnt(28)
	v_fmac_f32_e32 v53, v41, v118
	v_add_f32_e32 v50, v46, v53
	ds_read_b128 v[46:49], v1 offset:784
	buffer_load_dword v145, off, s[0:3], 0 offset:376
	buffer_load_dword v146, off, s[0:3], 0 offset:380
	buffer_load_dword v147, off, s[0:3], 0 offset:384
	buffer_load_dword v148, off, s[0:3], 0 offset:388
	buffer_load_dword v149, off, s[0:3], 0 offset:396
	buffer_load_dword v150, off, s[0:3], 0 offset:400
	buffer_load_dword v151, off, s[0:3], 0 offset:404
	buffer_load_dword v152, off, s[0:3], 0 offset:392
	s_waitcnt vmcnt(35) lgkmcnt(1)
	v_mul_f32_e32 v51, v42, v119
	buffer_load_dword v153, off, s[0:3], 0 offset:408
	buffer_load_dword v154, off, s[0:3], 0 offset:412
	v_fmac_f32_e32 v51, v43, v117
	v_add_f32_e32 v50, v50, v51
	s_waitcnt vmcnt(36)
	v_mul_f32_e32 v51, v44, v120
	v_fmac_f32_e32 v51, v45, v116
	v_add_f32_e32 v50, v50, v51
	s_waitcnt lgkmcnt(0)
	v_mul_f32_e32 v51, v46, v115
	v_fmac_f32_e32 v51, v47, v114
	v_add_f32_e32 v54, v50, v51
	ds_read_b128 v[50:53], v1 offset:800
	buffer_load_dword v155, off, s[0:3], 0 offset:416
	buffer_load_dword v156, off, s[0:3], 0 offset:420
	;; [unrolled: 1-line block ×6, first 2 shown]
	s_waitcnt vmcnt(38)
	v_mul_f32_e32 v55, v48, v122
	v_fmac_f32_e32 v55, v49, v121
	v_add_f32_e32 v58, v54, v55
	ds_read_b128 v[54:57], v1 offset:816
	buffer_load_dword v161, off, s[0:3], 0 offset:440
	buffer_load_dword v162, off, s[0:3], 0 offset:444
	;; [unrolled: 1-line block ×16, first 2 shown]
	v_mul_f32_e32 v10, v17, v10
	v_fma_f32 v10, v16, v105, -v10
	v_mul_f32_e32 v9, v19, v9
	v_add_f32_e32 v10, 0, v10
	v_fma_f32 v9, v18, v104, -v9
	v_mul_f32_e32 v8, v21, v8
	v_add_f32_e32 v9, v10, v9
	;; [unrolled: 3-line block ×6, first 2 shown]
	v_fma_f32 v4, v30, v106, -v4
	s_waitcnt vmcnt(52) lgkmcnt(1)
	v_mul_f32_e32 v59, v50, v124
	v_add_f32_e32 v4, v5, v4
	v_mul_f32_e32 v5, v33, v11
	v_fmac_f32_e32 v59, v51, v123
	v_fma_f32 v5, v32, v113, -v5
	v_add_f32_e32 v58, v58, v59
	s_waitcnt vmcnt(50)
	v_mul_f32_e32 v59, v52, v126
	v_add_f32_e32 v4, v4, v5
	v_mul_f32_e32 v5, v35, v12
	v_fmac_f32_e32 v59, v53, v125
	v_fma_f32 v5, v34, v112, -v5
	v_add_f32_e32 v58, v58, v59
	s_waitcnt vmcnt(48) lgkmcnt(0)
	v_mul_f32_e32 v59, v54, v128
	v_add_f32_e32 v4, v4, v5
	v_mul_f32_e32 v5, v37, v13
	v_fmac_f32_e32 v59, v55, v127
	v_fma_f32 v5, v36, v111, -v5
	v_add_f32_e32 v62, v58, v59
	ds_read_b128 v[58:61], v1 offset:832
	v_add_f32_e32 v4, v4, v5
	v_mul_f32_e32 v5, v39, v14
	v_fma_f32 v5, v38, v110, -v5
	s_waitcnt vmcnt(46)
	v_mul_f32_e32 v63, v56, v130
	v_add_f32_e32 v4, v4, v5
	v_mul_f32_e32 v5, v41, v15
	v_fmac_f32_e32 v63, v57, v129
	v_fma_f32 v5, v40, v118, -v5
	v_add_f32_e32 v66, v62, v63
	ds_read_b128 v[62:65], v1 offset:848
	v_add_f32_e32 v4, v4, v5
	v_mul_f32_e32 v5, v43, v119
	s_waitcnt vmcnt(44) lgkmcnt(1)
	v_mul_f32_e32 v67, v58, v132
	v_fma_f32 v5, v42, v117, -v5
	v_fmac_f32_e32 v67, v59, v131
	v_add_f32_e32 v4, v4, v5
	v_mul_f32_e32 v5, v45, v120
	v_add_f32_e32 v66, v66, v67
	s_waitcnt vmcnt(42)
	v_mul_f32_e32 v67, v60, v134
	v_fma_f32 v5, v44, v116, -v5
	v_fmac_f32_e32 v67, v61, v133
	v_add_f32_e32 v4, v4, v5
	v_mul_f32_e32 v5, v47, v115
	v_add_f32_e32 v66, v66, v67
	s_waitcnt vmcnt(40) lgkmcnt(0)
	v_mul_f32_e32 v67, v62, v136
	v_fma_f32 v5, v46, v114, -v5
	v_fmac_f32_e32 v67, v63, v135
	v_add_f32_e32 v4, v4, v5
	v_mul_f32_e32 v5, v49, v122
	v_add_f32_e32 v70, v66, v67
	ds_read_b128 v[66:69], v1 offset:864
	v_fma_f32 v5, v48, v121, -v5
	v_add_f32_e32 v4, v4, v5
	v_mul_f32_e32 v5, v51, v124
	s_waitcnt vmcnt(38)
	v_mul_f32_e32 v71, v64, v138
	v_fma_f32 v5, v50, v123, -v5
	v_fmac_f32_e32 v71, v65, v137
	v_add_f32_e32 v4, v4, v5
	v_mul_f32_e32 v5, v53, v126
	v_add_f32_e32 v74, v70, v71
	ds_read_b128 v[70:73], v1 offset:880
	v_fma_f32 v5, v52, v125, -v5
	s_waitcnt vmcnt(36) lgkmcnt(1)
	v_mul_f32_e32 v75, v66, v140
	v_add_f32_e32 v4, v4, v5
	v_mul_f32_e32 v5, v55, v128
	v_fmac_f32_e32 v75, v67, v139
	v_fma_f32 v5, v54, v127, -v5
	v_add_f32_e32 v74, v74, v75
	s_waitcnt vmcnt(35)
	v_mul_f32_e32 v75, v68, v141
	v_add_f32_e32 v4, v4, v5
	v_mul_f32_e32 v5, v57, v130
	s_waitcnt vmcnt(32)
	v_fmac_f32_e32 v75, v69, v144
	v_fma_f32 v5, v56, v129, -v5
	v_add_f32_e32 v74, v74, v75
	s_waitcnt lgkmcnt(0)
	v_mul_f32_e32 v75, v70, v143
	v_add_f32_e32 v4, v4, v5
	v_mul_f32_e32 v5, v59, v132
	v_fmac_f32_e32 v75, v71, v142
	v_fma_f32 v5, v58, v131, -v5
	v_add_f32_e32 v78, v74, v75
	ds_read_b128 v[74:77], v1 offset:896
	v_add_f32_e32 v4, v4, v5
	v_mul_f32_e32 v5, v61, v134
	v_fma_f32 v5, v60, v133, -v5
	s_waitcnt vmcnt(30)
	v_mul_f32_e32 v79, v72, v146
	v_add_f32_e32 v4, v4, v5
	v_mul_f32_e32 v5, v63, v136
	v_fmac_f32_e32 v79, v73, v145
	v_fma_f32 v5, v62, v135, -v5
	v_add_f32_e32 v82, v78, v79
	ds_read_b128 v[78:81], v1 offset:912
	v_add_f32_e32 v4, v4, v5
	v_mul_f32_e32 v5, v65, v138
	s_waitcnt vmcnt(28) lgkmcnt(1)
	v_mul_f32_e32 v83, v74, v148
	v_fma_f32 v5, v64, v137, -v5
	v_fmac_f32_e32 v83, v75, v147
	v_add_f32_e32 v4, v4, v5
	v_mul_f32_e32 v5, v67, v140
	v_add_f32_e32 v82, v82, v83
	s_waitcnt vmcnt(27)
	v_mul_f32_e32 v83, v76, v149
	v_fma_f32 v5, v66, v139, -v5
	s_waitcnt vmcnt(24)
	v_fmac_f32_e32 v83, v77, v152
	v_add_f32_e32 v4, v4, v5
	v_mul_f32_e32 v5, v69, v141
	v_add_f32_e32 v82, v82, v83
	s_waitcnt lgkmcnt(0)
	v_mul_f32_e32 v83, v78, v151
	v_fma_f32 v5, v68, v144, -v5
	v_fmac_f32_e32 v83, v79, v150
	v_add_f32_e32 v4, v4, v5
	v_mul_f32_e32 v5, v71, v143
	v_add_f32_e32 v86, v82, v83
	ds_read_b128 v[82:85], v1 offset:928
	v_fma_f32 v5, v70, v142, -v5
	v_add_f32_e32 v4, v4, v5
	v_mul_f32_e32 v5, v73, v146
	s_waitcnt vmcnt(22)
	v_mul_f32_e32 v87, v80, v154
	v_fma_f32 v5, v72, v145, -v5
	v_fmac_f32_e32 v87, v81, v153
	v_add_f32_e32 v4, v4, v5
	v_mul_f32_e32 v5, v75, v148
	v_add_f32_e32 v90, v86, v87
	ds_read_b128 v[86:89], v1 offset:944
	v_fma_f32 v5, v74, v147, -v5
	s_waitcnt vmcnt(20) lgkmcnt(1)
	v_mul_f32_e32 v91, v82, v156
	v_add_f32_e32 v4, v4, v5
	v_mul_f32_e32 v5, v77, v149
	v_fmac_f32_e32 v91, v83, v155
	v_fma_f32 v5, v76, v152, -v5
	v_add_f32_e32 v90, v90, v91
	s_waitcnt vmcnt(19)
	v_mul_f32_e32 v91, v84, v157
	v_add_f32_e32 v4, v4, v5
	v_mul_f32_e32 v5, v79, v151
	s_waitcnt vmcnt(16)
	v_fmac_f32_e32 v91, v85, v160
	v_fma_f32 v5, v78, v150, -v5
	v_add_f32_e32 v90, v90, v91
	s_waitcnt lgkmcnt(0)
	v_mul_f32_e32 v91, v86, v159
	v_add_f32_e32 v4, v4, v5
	v_mul_f32_e32 v5, v81, v154
	v_fmac_f32_e32 v91, v87, v158
	v_fma_f32 v5, v80, v153, -v5
	v_add_f32_e32 v94, v90, v91
	ds_read_b128 v[90:93], v1 offset:960
	v_add_f32_e32 v4, v4, v5
	v_mul_f32_e32 v5, v83, v156
	v_fma_f32 v5, v82, v155, -v5
	s_waitcnt vmcnt(14)
	v_mul_f32_e32 v95, v88, v162
	v_add_f32_e32 v4, v4, v5
	v_mul_f32_e32 v5, v85, v157
	v_fmac_f32_e32 v95, v89, v161
	v_fma_f32 v5, v84, v160, -v5
	v_add_f32_e32 v98, v94, v95
	ds_read_b128 v[94:97], v1 offset:976
	v_add_f32_e32 v4, v4, v5
	v_mul_f32_e32 v5, v87, v159
	s_waitcnt vmcnt(12) lgkmcnt(1)
	v_mul_f32_e32 v99, v90, v164
	v_fma_f32 v5, v86, v158, -v5
	v_fmac_f32_e32 v99, v91, v163
	v_add_f32_e32 v4, v4, v5
	v_mul_f32_e32 v5, v89, v162
	v_add_f32_e32 v98, v98, v99
	s_waitcnt vmcnt(11)
	v_mul_f32_e32 v99, v92, v165
	v_fma_f32 v5, v88, v161, -v5
	s_waitcnt vmcnt(8)
	v_fmac_f32_e32 v99, v93, v168
	v_add_f32_e32 v4, v4, v5
	v_mul_f32_e32 v5, v91, v164
	v_add_f32_e32 v98, v98, v99
	s_waitcnt lgkmcnt(0)
	v_mul_f32_e32 v99, v94, v167
	v_fma_f32 v5, v90, v163, -v5
	v_fmac_f32_e32 v99, v95, v166
	v_add_f32_e32 v4, v4, v5
	v_mul_f32_e32 v5, v93, v165
	v_add_f32_e32 v102, v98, v99
	ds_read_b128 v[98:101], v1 offset:992
	v_fma_f32 v5, v92, v168, -v5
	v_add_f32_e32 v4, v4, v5
	v_mul_f32_e32 v5, v95, v167
	s_waitcnt vmcnt(6)
	v_mul_f32_e32 v103, v96, v170
	v_fma_f32 v5, v94, v166, -v5
	v_fmac_f32_e32 v103, v97, v169
	v_add_f32_e32 v4, v4, v5
	v_mul_f32_e32 v5, v97, v170
	v_add_f32_e32 v177, v102, v103
	ds_read_b64 v[102:103], v1 offset:1008
	v_fma_f32 v5, v96, v169, -v5
	v_add_f32_e32 v4, v4, v5
	s_waitcnt vmcnt(4) lgkmcnt(1)
	v_mul_f32_e32 v5, v99, v172
	v_mul_f32_e32 v178, v98, v172
	v_fma_f32 v5, v98, v171, -v5
	v_fmac_f32_e32 v178, v99, v171
	v_add_f32_e32 v4, v4, v5
	s_waitcnt vmcnt(3)
	v_mul_f32_e32 v5, v101, v173
	v_add_f32_e32 v177, v177, v178
	v_mul_f32_e32 v178, v100, v173
	s_waitcnt vmcnt(0)
	v_fma_f32 v5, v100, v176, -v5
	v_fmac_f32_e32 v178, v101, v176
	v_add_f32_e32 v4, v4, v5
	s_waitcnt lgkmcnt(0)
	v_mul_f32_e32 v5, v103, v175
	v_add_f32_e32 v177, v177, v178
	v_mul_f32_e32 v178, v102, v175
	v_fma_f32 v5, v102, v174, -v5
	v_fmac_f32_e32 v178, v103, v174
	v_add_f32_e32 v4, v4, v5
	v_add_f32_e32 v177, v177, v178
	v_sub_f32_e32 v2, v2, v4
	v_sub_f32_e32 v3, v3, v177
	buffer_store_dword v2, off, s[0:3], 0 offset:152
	buffer_store_dword v3, off, s[0:3], 0 offset:156
	s_and_saveexec_b64 s[4:5], vcc
	s_cbranch_execz .LBB62_355
; %bb.354:
	buffer_load_dword v2, off, s[0:3], 0 offset:144
	buffer_load_dword v3, off, s[0:3], 0 offset:148
	s_waitcnt vmcnt(0)
	ds_write_b64 v25, v[2:3]
	buffer_store_dword v1, off, s[0:3], 0 offset:144
	buffer_store_dword v1, off, s[0:3], 0 offset:148
.LBB62_355:
	s_or_b64 exec, exec, s[4:5]
	s_waitcnt lgkmcnt(0)
	; wave barrier
	buffer_load_dword v10, off, s[0:3], 0 offset:156
	buffer_load_dword v9, off, s[0:3], 0 offset:164
	;; [unrolled: 1-line block ×32, first 2 shown]
	ds_read2_b64 v[16:19], v1 offset0:83 offset1:84
	ds_read2_b64 v[20:23], v1 offset0:85 offset1:86
	;; [unrolled: 1-line block ×4, first 2 shown]
	buffer_load_dword v123, off, s[0:3], 0 offset:272
	buffer_load_dword v124, off, s[0:3], 0 offset:276
	ds_read2_b64 v[34:37], v1 offset0:91 offset1:92
	ds_read2_b64 v[38:41], v1 offset0:93 offset1:94
	;; [unrolled: 1-line block ×3, first 2 shown]
	buffer_load_dword v125, off, s[0:3], 0 offset:280
	buffer_load_dword v126, off, s[0:3], 0 offset:284
	;; [unrolled: 1-line block ×16, first 2 shown]
	v_cmp_lt_u32_e32 vcc, 17, v0
	s_waitcnt vmcnt(49) lgkmcnt(6)
	v_mul_f32_e32 v46, v16, v10
	s_waitcnt vmcnt(48)
	v_mul_f32_e32 v47, v18, v9
	s_waitcnt vmcnt(47) lgkmcnt(5)
	v_mul_f32_e32 v48, v20, v8
	s_waitcnt vmcnt(46)
	v_mul_f32_e32 v49, v22, v7
	;; [unrolled: 4-line block ×6, first 2 shown]
	s_waitcnt vmcnt(37)
	v_fmac_f32_e32 v48, v21, v24
	s_waitcnt vmcnt(36)
	v_fmac_f32_e32 v47, v19, v106
	;; [unrolled: 2-line block ×3, first 2 shown]
	v_add_f32_e32 v46, 0, v46
	v_add_f32_e32 v46, v46, v47
	;; [unrolled: 1-line block ×3, first 2 shown]
	s_waitcnt vmcnt(31)
	v_fmac_f32_e32 v49, v23, v111
	v_fmac_f32_e32 v50, v27, v110
	v_add_f32_e32 v46, v46, v49
	v_fmac_f32_e32 v51, v29, v109
	v_add_f32_e32 v46, v46, v50
	;; [unrolled: 2-line block ×3, first 2 shown]
	s_waitcnt vmcnt(27)
	v_fmac_f32_e32 v53, v33, v115
	v_add_f32_e32 v46, v46, v52
	v_fmac_f32_e32 v54, v35, v114
	v_add_f32_e32 v46, v46, v53
	;; [unrolled: 2-line block ×4, first 2 shown]
	s_waitcnt vmcnt(23)
	v_fmac_f32_e32 v57, v41, v119
	v_add_f32_e32 v46, v46, v56
	v_add_f32_e32 v50, v46, v57
	ds_read2_b64 v[46:49], v1 offset0:97 offset1:98
	buffer_load_dword v141, off, s[0:3], 0 offset:344
	buffer_load_dword v142, off, s[0:3], 0 offset:348
	;; [unrolled: 1-line block ×14, first 2 shown]
	s_waitcnt vmcnt(36) lgkmcnt(1)
	v_mul_f32_e32 v51, v42, v120
	buffer_load_dword v155, off, s[0:3], 0 offset:400
	buffer_load_dword v156, off, s[0:3], 0 offset:404
	v_fmac_f32_e32 v51, v43, v118
	v_add_f32_e32 v50, v50, v51
	s_waitcnt vmcnt(37)
	v_mul_f32_e32 v51, v44, v121
	v_fmac_f32_e32 v51, v45, v117
	v_add_f32_e32 v50, v50, v51
	s_waitcnt vmcnt(36) lgkmcnt(0)
	v_mul_f32_e32 v51, v46, v122
	v_fmac_f32_e32 v51, v47, v116
	v_add_f32_e32 v54, v50, v51
	ds_read2_b64 v[50:53], v1 offset0:99 offset1:100
	buffer_load_dword v157, off, s[0:3], 0 offset:408
	buffer_load_dword v158, off, s[0:3], 0 offset:412
	;; [unrolled: 1-line block ×6, first 2 shown]
	s_waitcnt vmcnt(38)
	v_mul_f32_e32 v55, v48, v124
	v_fmac_f32_e32 v55, v49, v123
	v_add_f32_e32 v58, v54, v55
	ds_read2_b64 v[54:57], v1 offset0:101 offset1:102
	buffer_load_dword v163, off, s[0:3], 0 offset:432
	buffer_load_dword v164, off, s[0:3], 0 offset:436
	;; [unrolled: 1-line block ×10, first 2 shown]
	s_waitcnt vmcnt(46) lgkmcnt(1)
	v_mul_f32_e32 v59, v50, v126
	v_fmac_f32_e32 v59, v51, v125
	v_add_f32_e32 v58, v58, v59
	s_waitcnt vmcnt(44)
	v_mul_f32_e32 v59, v52, v128
	v_fmac_f32_e32 v59, v53, v127
	v_add_f32_e32 v58, v58, v59
	s_waitcnt vmcnt(42) lgkmcnt(0)
	v_mul_f32_e32 v59, v54, v130
	buffer_load_dword v173, off, s[0:3], 0 offset:472
	buffer_load_dword v174, off, s[0:3], 0 offset:476
	buffer_load_dword v175, off, s[0:3], 0 offset:484
	buffer_load_dword v176, off, s[0:3], 0 offset:488
	buffer_load_dword v177, off, s[0:3], 0 offset:492
	buffer_load_dword v178, off, s[0:3], 0 offset:480
	v_fmac_f32_e32 v59, v55, v129
	s_waitcnt vmcnt(46)
	v_mul_f32_e32 v63, v56, v132
	v_add_f32_e32 v62, v58, v59
	v_fmac_f32_e32 v63, v57, v131
	ds_read2_b64 v[58:61], v1 offset0:103 offset1:104
	v_add_f32_e32 v66, v62, v63
	ds_read2_b64 v[62:65], v1 offset0:105 offset1:106
	buffer_load_dword v179, off, s[0:3], 0 offset:496
	buffer_load_dword v180, off, s[0:3], 0 offset:500
	v_mul_f32_e32 v10, v17, v10
	v_fma_f32 v10, v16, v107, -v10
	v_mul_f32_e32 v9, v19, v9
	v_add_f32_e32 v10, 0, v10
	v_fma_f32 v9, v18, v106, -v9
	v_mul_f32_e32 v8, v21, v8
	v_add_f32_e32 v9, v10, v9
	;; [unrolled: 3-line block ×6, first 2 shown]
	v_fma_f32 v4, v30, v108, -v4
	v_add_f32_e32 v4, v5, v4
	v_mul_f32_e32 v5, v33, v11
	v_fma_f32 v5, v32, v115, -v5
	v_add_f32_e32 v4, v4, v5
	v_mul_f32_e32 v5, v35, v12
	;; [unrolled: 3-line block ×6, first 2 shown]
	s_waitcnt vmcnt(46) lgkmcnt(1)
	v_mul_f32_e32 v67, v58, v134
	v_fma_f32 v5, v42, v118, -v5
	v_fmac_f32_e32 v67, v59, v133
	v_add_f32_e32 v4, v4, v5
	v_mul_f32_e32 v5, v45, v121
	v_add_f32_e32 v66, v66, v67
	s_waitcnt vmcnt(44)
	v_mul_f32_e32 v67, v60, v136
	v_fma_f32 v5, v44, v117, -v5
	v_fmac_f32_e32 v67, v61, v135
	v_add_f32_e32 v4, v4, v5
	v_mul_f32_e32 v5, v47, v122
	v_add_f32_e32 v66, v66, v67
	s_waitcnt vmcnt(42) lgkmcnt(0)
	v_mul_f32_e32 v67, v62, v138
	v_fma_f32 v5, v46, v116, -v5
	v_fmac_f32_e32 v67, v63, v137
	v_add_f32_e32 v4, v4, v5
	v_mul_f32_e32 v5, v49, v124
	v_add_f32_e32 v70, v66, v67
	ds_read2_b64 v[66:69], v1 offset0:107 offset1:108
	v_fma_f32 v5, v48, v123, -v5
	v_add_f32_e32 v4, v4, v5
	v_mul_f32_e32 v5, v51, v126
	s_waitcnt vmcnt(40)
	v_mul_f32_e32 v71, v64, v140
	v_fma_f32 v5, v50, v125, -v5
	v_fmac_f32_e32 v71, v65, v139
	v_add_f32_e32 v4, v4, v5
	v_mul_f32_e32 v5, v53, v128
	v_add_f32_e32 v74, v70, v71
	ds_read2_b64 v[70:73], v1 offset0:109 offset1:110
	v_fma_f32 v5, v52, v127, -v5
	s_waitcnt vmcnt(38) lgkmcnt(1)
	v_mul_f32_e32 v75, v66, v142
	v_add_f32_e32 v4, v4, v5
	v_mul_f32_e32 v5, v55, v130
	v_fmac_f32_e32 v75, v67, v141
	v_fma_f32 v5, v54, v129, -v5
	v_add_f32_e32 v74, v74, v75
	s_waitcnt vmcnt(37)
	v_mul_f32_e32 v75, v68, v143
	v_add_f32_e32 v4, v4, v5
	v_mul_f32_e32 v5, v57, v132
	s_waitcnt vmcnt(34)
	v_fmac_f32_e32 v75, v69, v146
	v_fma_f32 v5, v56, v131, -v5
	v_add_f32_e32 v74, v74, v75
	s_waitcnt lgkmcnt(0)
	v_mul_f32_e32 v75, v70, v145
	v_add_f32_e32 v4, v4, v5
	v_mul_f32_e32 v5, v59, v134
	v_fmac_f32_e32 v75, v71, v144
	v_fma_f32 v5, v58, v133, -v5
	v_add_f32_e32 v78, v74, v75
	ds_read2_b64 v[74:77], v1 offset0:111 offset1:112
	v_add_f32_e32 v4, v4, v5
	v_mul_f32_e32 v5, v61, v136
	v_fma_f32 v5, v60, v135, -v5
	s_waitcnt vmcnt(32)
	v_mul_f32_e32 v79, v72, v148
	v_add_f32_e32 v4, v4, v5
	v_mul_f32_e32 v5, v63, v138
	v_fmac_f32_e32 v79, v73, v147
	v_fma_f32 v5, v62, v137, -v5
	v_add_f32_e32 v82, v78, v79
	ds_read2_b64 v[78:81], v1 offset0:113 offset1:114
	v_add_f32_e32 v4, v4, v5
	v_mul_f32_e32 v5, v65, v140
	s_waitcnt vmcnt(30) lgkmcnt(1)
	v_mul_f32_e32 v83, v74, v150
	v_fma_f32 v5, v64, v139, -v5
	v_fmac_f32_e32 v83, v75, v149
	v_add_f32_e32 v4, v4, v5
	v_mul_f32_e32 v5, v67, v142
	v_add_f32_e32 v82, v82, v83
	s_waitcnt vmcnt(29)
	v_mul_f32_e32 v83, v76, v151
	v_fma_f32 v5, v66, v141, -v5
	s_waitcnt vmcnt(26)
	v_fmac_f32_e32 v83, v77, v154
	v_add_f32_e32 v4, v4, v5
	v_mul_f32_e32 v5, v69, v143
	v_add_f32_e32 v82, v82, v83
	s_waitcnt lgkmcnt(0)
	v_mul_f32_e32 v83, v78, v153
	v_fma_f32 v5, v68, v146, -v5
	v_fmac_f32_e32 v83, v79, v152
	v_add_f32_e32 v4, v4, v5
	v_mul_f32_e32 v5, v71, v145
	v_add_f32_e32 v86, v82, v83
	ds_read2_b64 v[82:85], v1 offset0:115 offset1:116
	v_fma_f32 v5, v70, v144, -v5
	v_add_f32_e32 v4, v4, v5
	v_mul_f32_e32 v5, v73, v148
	s_waitcnt vmcnt(24)
	v_mul_f32_e32 v87, v80, v156
	v_fma_f32 v5, v72, v147, -v5
	v_fmac_f32_e32 v87, v81, v155
	v_add_f32_e32 v4, v4, v5
	v_mul_f32_e32 v5, v75, v150
	v_add_f32_e32 v90, v86, v87
	ds_read2_b64 v[86:89], v1 offset0:117 offset1:118
	v_fma_f32 v5, v74, v149, -v5
	s_waitcnt vmcnt(22) lgkmcnt(1)
	v_mul_f32_e32 v91, v82, v158
	v_add_f32_e32 v4, v4, v5
	v_mul_f32_e32 v5, v77, v151
	v_fmac_f32_e32 v91, v83, v157
	v_fma_f32 v5, v76, v154, -v5
	v_add_f32_e32 v90, v90, v91
	s_waitcnt vmcnt(21)
	v_mul_f32_e32 v91, v84, v159
	v_add_f32_e32 v4, v4, v5
	v_mul_f32_e32 v5, v79, v153
	s_waitcnt vmcnt(18)
	v_fmac_f32_e32 v91, v85, v162
	v_fma_f32 v5, v78, v152, -v5
	v_add_f32_e32 v90, v90, v91
	s_waitcnt lgkmcnt(0)
	v_mul_f32_e32 v91, v86, v161
	v_add_f32_e32 v4, v4, v5
	v_mul_f32_e32 v5, v81, v156
	v_fmac_f32_e32 v91, v87, v160
	v_fma_f32 v5, v80, v155, -v5
	v_add_f32_e32 v94, v90, v91
	ds_read2_b64 v[90:93], v1 offset0:119 offset1:120
	v_add_f32_e32 v4, v4, v5
	v_mul_f32_e32 v5, v83, v158
	v_fma_f32 v5, v82, v157, -v5
	s_waitcnt vmcnt(16)
	v_mul_f32_e32 v95, v88, v164
	v_add_f32_e32 v4, v4, v5
	v_mul_f32_e32 v5, v85, v159
	v_fmac_f32_e32 v95, v89, v163
	v_fma_f32 v5, v84, v162, -v5
	v_add_f32_e32 v98, v94, v95
	ds_read2_b64 v[94:97], v1 offset0:121 offset1:122
	v_add_f32_e32 v4, v4, v5
	v_mul_f32_e32 v5, v87, v161
	s_waitcnt vmcnt(14) lgkmcnt(1)
	v_mul_f32_e32 v99, v90, v166
	v_fma_f32 v5, v86, v160, -v5
	v_fmac_f32_e32 v99, v91, v165
	v_add_f32_e32 v4, v4, v5
	v_mul_f32_e32 v5, v89, v164
	v_add_f32_e32 v98, v98, v99
	s_waitcnt vmcnt(13)
	v_mul_f32_e32 v99, v92, v167
	v_fma_f32 v5, v88, v163, -v5
	s_waitcnt vmcnt(10)
	v_fmac_f32_e32 v99, v93, v170
	v_add_f32_e32 v4, v4, v5
	v_mul_f32_e32 v5, v91, v166
	v_add_f32_e32 v98, v98, v99
	s_waitcnt lgkmcnt(0)
	v_mul_f32_e32 v99, v94, v169
	v_fma_f32 v5, v90, v165, -v5
	v_fmac_f32_e32 v99, v95, v168
	v_add_f32_e32 v4, v4, v5
	v_mul_f32_e32 v5, v93, v167
	v_add_f32_e32 v102, v98, v99
	ds_read2_b64 v[98:101], v1 offset0:123 offset1:124
	v_fma_f32 v5, v92, v170, -v5
	v_add_f32_e32 v4, v4, v5
	v_mul_f32_e32 v5, v95, v169
	s_waitcnt vmcnt(8)
	v_mul_f32_e32 v103, v96, v172
	v_fma_f32 v5, v94, v168, -v5
	v_fmac_f32_e32 v103, v97, v171
	v_add_f32_e32 v4, v4, v5
	v_mul_f32_e32 v5, v97, v172
	v_add_f32_e32 v181, v102, v103
	ds_read2_b64 v[102:105], v1 offset0:125 offset1:126
	v_fma_f32 v5, v96, v171, -v5
	v_add_f32_e32 v4, v4, v5
	s_waitcnt vmcnt(6) lgkmcnt(1)
	v_mul_f32_e32 v5, v99, v174
	v_mul_f32_e32 v1, v98, v174
	v_fma_f32 v5, v98, v173, -v5
	v_fmac_f32_e32 v1, v99, v173
	v_add_f32_e32 v4, v4, v5
	s_waitcnt vmcnt(5)
	v_mul_f32_e32 v5, v101, v175
	v_add_f32_e32 v1, v181, v1
	v_mul_f32_e32 v181, v100, v175
	s_waitcnt vmcnt(2)
	v_fma_f32 v5, v100, v178, -v5
	v_fmac_f32_e32 v181, v101, v178
	v_add_f32_e32 v4, v4, v5
	s_waitcnt lgkmcnt(0)
	v_mul_f32_e32 v5, v103, v177
	v_add_f32_e32 v1, v1, v181
	v_mul_f32_e32 v181, v102, v177
	v_fma_f32 v5, v102, v176, -v5
	v_fmac_f32_e32 v181, v103, v176
	v_add_f32_e32 v4, v4, v5
	s_waitcnt vmcnt(0)
	v_mul_f32_e32 v5, v105, v180
	v_add_f32_e32 v1, v1, v181
	v_mul_f32_e32 v181, v104, v180
	v_fma_f32 v5, v104, v179, -v5
	v_fmac_f32_e32 v181, v105, v179
	v_add_f32_e32 v4, v4, v5
	v_add_f32_e32 v1, v1, v181
	v_sub_f32_e32 v2, v2, v4
	v_sub_f32_e32 v1, v3, v1
	buffer_store_dword v2, off, s[0:3], 0 offset:144
	buffer_store_dword v1, off, s[0:3], 0 offset:148
	s_and_saveexec_b64 s[4:5], vcc
	s_cbranch_execz .LBB62_357
; %bb.356:
	buffer_load_dword v1, off, s[0:3], 0 offset:136
	buffer_load_dword v2, off, s[0:3], 0 offset:140
	v_mov_b32_e32 v3, 0
	buffer_store_dword v3, off, s[0:3], 0 offset:136
	buffer_store_dword v3, off, s[0:3], 0 offset:140
	s_waitcnt vmcnt(2)
	ds_write_b64 v25, v[1:2]
.LBB62_357:
	s_or_b64 exec, exec, s[4:5]
	s_waitcnt lgkmcnt(0)
	; wave barrier
	buffer_load_dword v24, off, s[0:3], 0 offset:148
	buffer_load_dword v96, off, s[0:3], 0 offset:156
	;; [unrolled: 1-line block ×48, first 2 shown]
	v_mov_b32_e32 v1, 0
	ds_read_b128 v[4:7], v1 offset:656
	ds_read_b128 v[8:11], v1 offset:672
	;; [unrolled: 1-line block ×7, first 2 shown]
	v_cmp_lt_u32_e32 vcc, 16, v0
	s_waitcnt vmcnt(47) lgkmcnt(6)
	v_mul_f32_e32 v34, v4, v24
	s_waitcnt vmcnt(46)
	v_mul_f32_e32 v35, v6, v96
	s_waitcnt vmcnt(45) lgkmcnt(5)
	v_mul_f32_e32 v36, v8, v97
	s_waitcnt vmcnt(44)
	v_mul_f32_e32 v37, v10, v98
	;; [unrolled: 4-line block ×6, first 2 shown]
	s_waitcnt vmcnt(35)
	v_fmac_f32_e32 v36, v9, v107
	s_waitcnt vmcnt(34)
	v_fmac_f32_e32 v35, v7, v108
	;; [unrolled: 2-line block ×3, first 2 shown]
	v_add_f32_e32 v34, 0, v34
	v_add_f32_e32 v34, v34, v35
	;; [unrolled: 1-line block ×3, first 2 shown]
	s_waitcnt vmcnt(29)
	v_fmac_f32_e32 v37, v11, v113
	v_fmac_f32_e32 v38, v13, v112
	v_add_f32_e32 v34, v34, v37
	v_fmac_f32_e32 v39, v15, v111
	v_add_f32_e32 v34, v34, v38
	;; [unrolled: 2-line block ×3, first 2 shown]
	s_waitcnt vmcnt(25)
	v_fmac_f32_e32 v41, v19, v117
	v_add_f32_e32 v34, v34, v40
	v_fmac_f32_e32 v42, v21, v116
	v_add_f32_e32 v34, v34, v41
	;; [unrolled: 2-line block ×4, first 2 shown]
	s_waitcnt vmcnt(21)
	v_fmac_f32_e32 v45, v29, v121
	v_add_f32_e32 v34, v34, v44
	v_add_f32_e32 v38, v34, v45
	ds_read_b128 v[34:37], v1 offset:768
	buffer_load_dword v141, off, s[0:3], 0 offset:328
	buffer_load_dword v142, off, s[0:3], 0 offset:332
	buffer_load_dword v143, off, s[0:3], 0 offset:336
	buffer_load_dword v144, off, s[0:3], 0 offset:340
	buffer_load_dword v145, off, s[0:3], 0 offset:348
	buffer_load_dword v146, off, s[0:3], 0 offset:352
	buffer_load_dword v147, off, s[0:3], 0 offset:356
	buffer_load_dword v148, off, s[0:3], 0 offset:344
	buffer_load_dword v149, off, s[0:3], 0 offset:360
	buffer_load_dword v150, off, s[0:3], 0 offset:364
	s_waitcnt vmcnt(30) lgkmcnt(1)
	v_mul_f32_e32 v39, v30, v122
	v_fmac_f32_e32 v39, v31, v120
	buffer_load_dword v151, off, s[0:3], 0 offset:368
	buffer_load_dword v152, off, s[0:3], 0 offset:372
	;; [unrolled: 1-line block ×6, first 2 shown]
	v_add_f32_e32 v38, v38, v39
	s_waitcnt vmcnt(35)
	v_mul_f32_e32 v39, v32, v123
	v_fmac_f32_e32 v39, v33, v119
	v_add_f32_e32 v38, v38, v39
	s_waitcnt vmcnt(34) lgkmcnt(0)
	v_mul_f32_e32 v39, v34, v124
	v_fmac_f32_e32 v39, v35, v118
	v_add_f32_e32 v42, v38, v39
	ds_read_b128 v[38:41], v1 offset:784
	buffer_load_dword v157, off, s[0:3], 0 offset:392
	buffer_load_dword v158, off, s[0:3], 0 offset:396
	s_waitcnt vmcnt(32)
	v_mul_f32_e32 v43, v36, v126
	v_fmac_f32_e32 v43, v37, v125
	v_add_f32_e32 v46, v42, v43
	ds_read_b128 v[42:45], v1 offset:800
	buffer_load_dword v159, off, s[0:3], 0 offset:400
	buffer_load_dword v160, off, s[0:3], 0 offset:404
	;; [unrolled: 1-line block ×14, first 2 shown]
	s_waitcnt vmcnt(44) lgkmcnt(1)
	v_mul_f32_e32 v47, v38, v128
	v_fmac_f32_e32 v47, v39, v127
	buffer_load_dword v173, off, s[0:3], 0 offset:456
	buffer_load_dword v174, off, s[0:3], 0 offset:460
	v_add_f32_e32 v46, v46, v47
	s_waitcnt vmcnt(44)
	v_mul_f32_e32 v47, v40, v130
	v_fmac_f32_e32 v47, v41, v129
	v_add_f32_e32 v46, v46, v47
	s_waitcnt vmcnt(42) lgkmcnt(0)
	v_mul_f32_e32 v47, v42, v132
	v_fmac_f32_e32 v47, v43, v131
	v_mul_f32_e32 v5, v5, v24
	v_add_f32_e32 v50, v46, v47
	ds_read_b128 v[46:49], v1 offset:816
	buffer_load_dword v175, off, s[0:3], 0 offset:464
	buffer_load_dword v176, off, s[0:3], 0 offset:468
	;; [unrolled: 1-line block ×6, first 2 shown]
	v_fma_f32 v4, v4, v109, -v5
	v_mul_f32_e32 v5, v7, v96
	v_add_f32_e32 v4, 0, v4
	v_fma_f32 v5, v6, v108, -v5
	v_add_f32_e32 v4, v4, v5
	v_mul_f32_e32 v5, v9, v97
	s_waitcnt vmcnt(46)
	v_mul_f32_e32 v51, v44, v134
	v_fma_f32 v5, v8, v107, -v5
	v_fmac_f32_e32 v51, v45, v133
	v_add_f32_e32 v4, v4, v5
	v_mul_f32_e32 v5, v11, v98
	v_add_f32_e32 v54, v50, v51
	ds_read_b128 v[50:53], v1 offset:832
	buffer_load_dword v181, off, s[0:3], 0 offset:492
	buffer_load_dword v182, off, s[0:3], 0 offset:496
	;; [unrolled: 1-line block ×4, first 2 shown]
	v_fma_f32 v5, v10, v113, -v5
	v_add_f32_e32 v4, v4, v5
	v_mul_f32_e32 v5, v13, v99
	v_fma_f32 v5, v12, v112, -v5
	v_add_f32_e32 v4, v4, v5
	v_mul_f32_e32 v5, v15, v100
	;; [unrolled: 3-line block ×8, first 2 shown]
	v_fma_f32 v5, v28, v121, -v5
	s_waitcnt vmcnt(48) lgkmcnt(1)
	v_mul_f32_e32 v55, v46, v136
	v_add_f32_e32 v4, v4, v5
	v_mul_f32_e32 v5, v31, v122
	v_fmac_f32_e32 v55, v47, v135
	v_fma_f32 v5, v30, v120, -v5
	v_add_f32_e32 v54, v54, v55
	s_waitcnt vmcnt(46)
	v_mul_f32_e32 v55, v48, v138
	v_add_f32_e32 v4, v4, v5
	v_mul_f32_e32 v5, v33, v123
	v_fmac_f32_e32 v55, v49, v137
	v_fma_f32 v5, v32, v119, -v5
	v_add_f32_e32 v54, v54, v55
	s_waitcnt vmcnt(44) lgkmcnt(0)
	v_mul_f32_e32 v55, v50, v140
	v_add_f32_e32 v4, v4, v5
	v_mul_f32_e32 v5, v35, v124
	v_fmac_f32_e32 v55, v51, v139
	v_fma_f32 v5, v34, v118, -v5
	v_add_f32_e32 v58, v54, v55
	ds_read_b128 v[54:57], v1 offset:848
	v_add_f32_e32 v4, v4, v5
	v_mul_f32_e32 v5, v37, v126
	v_fma_f32 v5, v36, v125, -v5
	s_waitcnt vmcnt(42)
	v_mul_f32_e32 v59, v52, v142
	v_add_f32_e32 v4, v4, v5
	v_mul_f32_e32 v5, v39, v128
	v_fmac_f32_e32 v59, v53, v141
	v_fma_f32 v5, v38, v127, -v5
	v_add_f32_e32 v62, v58, v59
	ds_read_b128 v[58:61], v1 offset:864
	v_add_f32_e32 v4, v4, v5
	v_mul_f32_e32 v5, v41, v130
	s_waitcnt vmcnt(40) lgkmcnt(1)
	v_mul_f32_e32 v63, v54, v144
	v_fma_f32 v5, v40, v129, -v5
	v_fmac_f32_e32 v63, v55, v143
	v_add_f32_e32 v4, v4, v5
	v_mul_f32_e32 v5, v43, v132
	v_add_f32_e32 v62, v62, v63
	s_waitcnt vmcnt(39)
	v_mul_f32_e32 v63, v56, v145
	v_fma_f32 v5, v42, v131, -v5
	s_waitcnt vmcnt(36)
	v_fmac_f32_e32 v63, v57, v148
	v_add_f32_e32 v4, v4, v5
	v_mul_f32_e32 v5, v45, v134
	v_add_f32_e32 v62, v62, v63
	s_waitcnt lgkmcnt(0)
	v_mul_f32_e32 v63, v58, v147
	v_fma_f32 v5, v44, v133, -v5
	v_fmac_f32_e32 v63, v59, v146
	v_add_f32_e32 v4, v4, v5
	v_mul_f32_e32 v5, v47, v136
	v_add_f32_e32 v66, v62, v63
	ds_read_b128 v[62:65], v1 offset:880
	v_fma_f32 v5, v46, v135, -v5
	v_add_f32_e32 v4, v4, v5
	v_mul_f32_e32 v5, v49, v138
	s_waitcnt vmcnt(34)
	v_mul_f32_e32 v67, v60, v150
	v_fma_f32 v5, v48, v137, -v5
	v_fmac_f32_e32 v67, v61, v149
	v_add_f32_e32 v4, v4, v5
	v_mul_f32_e32 v5, v51, v140
	v_add_f32_e32 v70, v66, v67
	ds_read_b128 v[66:69], v1 offset:896
	v_fma_f32 v5, v50, v139, -v5
	s_waitcnt vmcnt(32) lgkmcnt(1)
	v_mul_f32_e32 v71, v62, v152
	v_add_f32_e32 v4, v4, v5
	v_mul_f32_e32 v5, v53, v142
	v_fmac_f32_e32 v71, v63, v151
	v_fma_f32 v5, v52, v141, -v5
	v_add_f32_e32 v70, v70, v71
	s_waitcnt vmcnt(31)
	v_mul_f32_e32 v71, v64, v153
	v_add_f32_e32 v4, v4, v5
	v_mul_f32_e32 v5, v55, v144
	s_waitcnt vmcnt(28)
	v_fmac_f32_e32 v71, v65, v156
	v_fma_f32 v5, v54, v143, -v5
	v_add_f32_e32 v70, v70, v71
	s_waitcnt lgkmcnt(0)
	v_mul_f32_e32 v71, v66, v155
	v_add_f32_e32 v4, v4, v5
	v_mul_f32_e32 v5, v57, v145
	v_fmac_f32_e32 v71, v67, v154
	v_fma_f32 v5, v56, v148, -v5
	v_add_f32_e32 v74, v70, v71
	ds_read_b128 v[70:73], v1 offset:912
	v_add_f32_e32 v4, v4, v5
	v_mul_f32_e32 v5, v59, v147
	v_fma_f32 v5, v58, v146, -v5
	s_waitcnt vmcnt(26)
	v_mul_f32_e32 v75, v68, v158
	v_add_f32_e32 v4, v4, v5
	v_mul_f32_e32 v5, v61, v150
	v_fmac_f32_e32 v75, v69, v157
	v_fma_f32 v5, v60, v149, -v5
	v_add_f32_e32 v78, v74, v75
	ds_read_b128 v[74:77], v1 offset:928
	v_add_f32_e32 v4, v4, v5
	v_mul_f32_e32 v5, v63, v152
	s_waitcnt vmcnt(24) lgkmcnt(1)
	v_mul_f32_e32 v79, v70, v160
	v_fma_f32 v5, v62, v151, -v5
	v_fmac_f32_e32 v79, v71, v159
	v_add_f32_e32 v4, v4, v5
	v_mul_f32_e32 v5, v65, v153
	v_add_f32_e32 v78, v78, v79
	s_waitcnt vmcnt(23)
	v_mul_f32_e32 v79, v72, v161
	v_fma_f32 v5, v64, v156, -v5
	s_waitcnt vmcnt(20)
	v_fmac_f32_e32 v79, v73, v164
	v_add_f32_e32 v4, v4, v5
	v_mul_f32_e32 v5, v67, v155
	v_add_f32_e32 v78, v78, v79
	s_waitcnt lgkmcnt(0)
	v_mul_f32_e32 v79, v74, v163
	v_fma_f32 v5, v66, v154, -v5
	v_fmac_f32_e32 v79, v75, v162
	v_add_f32_e32 v4, v4, v5
	v_mul_f32_e32 v5, v69, v158
	v_add_f32_e32 v82, v78, v79
	ds_read_b128 v[78:81], v1 offset:944
	v_fma_f32 v5, v68, v157, -v5
	v_add_f32_e32 v4, v4, v5
	v_mul_f32_e32 v5, v71, v160
	s_waitcnt vmcnt(18)
	v_mul_f32_e32 v83, v76, v166
	v_fma_f32 v5, v70, v159, -v5
	v_fmac_f32_e32 v83, v77, v165
	v_add_f32_e32 v4, v4, v5
	v_mul_f32_e32 v5, v73, v161
	v_add_f32_e32 v86, v82, v83
	ds_read_b128 v[82:85], v1 offset:960
	v_fma_f32 v5, v72, v164, -v5
	s_waitcnt vmcnt(16) lgkmcnt(1)
	v_mul_f32_e32 v87, v78, v168
	v_add_f32_e32 v4, v4, v5
	v_mul_f32_e32 v5, v75, v163
	v_fmac_f32_e32 v87, v79, v167
	v_fma_f32 v5, v74, v162, -v5
	v_add_f32_e32 v86, v86, v87
	s_waitcnt vmcnt(15)
	v_mul_f32_e32 v87, v80, v169
	v_add_f32_e32 v4, v4, v5
	v_mul_f32_e32 v5, v77, v166
	s_waitcnt vmcnt(12)
	v_fmac_f32_e32 v87, v81, v172
	v_fma_f32 v5, v76, v165, -v5
	v_add_f32_e32 v86, v86, v87
	s_waitcnt lgkmcnt(0)
	v_mul_f32_e32 v87, v82, v171
	v_add_f32_e32 v4, v4, v5
	v_mul_f32_e32 v5, v79, v168
	v_fmac_f32_e32 v87, v83, v170
	v_fma_f32 v5, v78, v167, -v5
	v_add_f32_e32 v90, v86, v87
	ds_read_b128 v[86:89], v1 offset:976
	v_add_f32_e32 v4, v4, v5
	v_mul_f32_e32 v5, v81, v169
	v_fma_f32 v5, v80, v172, -v5
	v_add_f32_e32 v4, v4, v5
	v_mul_f32_e32 v5, v83, v171
	s_waitcnt vmcnt(10)
	v_mul_f32_e32 v91, v84, v174
	v_fma_f32 v5, v82, v170, -v5
	v_fmac_f32_e32 v91, v85, v173
	v_add_f32_e32 v4, v4, v5
	v_mul_f32_e32 v5, v85, v174
	v_add_f32_e32 v94, v90, v91
	ds_read_b128 v[90:93], v1 offset:992
	s_waitcnt vmcnt(8) lgkmcnt(1)
	v_mul_f32_e32 v95, v86, v176
	v_fma_f32 v5, v84, v173, -v5
	v_fmac_f32_e32 v95, v87, v175
	v_add_f32_e32 v4, v4, v5
	v_mul_f32_e32 v5, v87, v176
	v_add_f32_e32 v94, v94, v95
	s_waitcnt vmcnt(7)
	v_mul_f32_e32 v95, v88, v177
	v_fma_f32 v5, v86, v175, -v5
	s_waitcnt vmcnt(4)
	v_fmac_f32_e32 v95, v89, v180
	v_add_f32_e32 v4, v4, v5
	v_mul_f32_e32 v5, v89, v177
	v_add_f32_e32 v185, v94, v95
	ds_read_b64 v[94:95], v1 offset:1008
	v_fma_f32 v5, v88, v180, -v5
	v_add_f32_e32 v4, v4, v5
	s_waitcnt lgkmcnt(1)
	v_mul_f32_e32 v5, v91, v179
	v_mul_f32_e32 v186, v90, v179
	v_fma_f32 v5, v90, v178, -v5
	v_fmac_f32_e32 v186, v91, v178
	v_add_f32_e32 v4, v4, v5
	s_waitcnt vmcnt(3)
	v_mul_f32_e32 v5, v93, v181
	v_add_f32_e32 v185, v185, v186
	v_mul_f32_e32 v186, v92, v181
	s_waitcnt vmcnt(0)
	v_fma_f32 v5, v92, v184, -v5
	v_fmac_f32_e32 v186, v93, v184
	v_add_f32_e32 v4, v4, v5
	s_waitcnt lgkmcnt(0)
	v_mul_f32_e32 v5, v95, v183
	v_add_f32_e32 v185, v185, v186
	v_mul_f32_e32 v186, v94, v183
	v_fma_f32 v5, v94, v182, -v5
	v_fmac_f32_e32 v186, v95, v182
	v_add_f32_e32 v4, v4, v5
	v_add_f32_e32 v185, v185, v186
	v_sub_f32_e32 v2, v2, v4
	v_sub_f32_e32 v3, v3, v185
	buffer_store_dword v2, off, s[0:3], 0 offset:136
	buffer_store_dword v3, off, s[0:3], 0 offset:140
	s_and_saveexec_b64 s[4:5], vcc
	s_cbranch_execz .LBB62_359
; %bb.358:
	buffer_load_dword v2, off, s[0:3], 0 offset:128
	buffer_load_dword v3, off, s[0:3], 0 offset:132
	s_waitcnt vmcnt(0)
	ds_write_b64 v25, v[2:3]
	buffer_store_dword v1, off, s[0:3], 0 offset:128
	buffer_store_dword v1, off, s[0:3], 0 offset:132
.LBB62_359:
	s_or_b64 exec, exec, s[4:5]
	s_waitcnt lgkmcnt(0)
	; wave barrier
	buffer_load_dword v10, off, s[0:3], 0 offset:140
	buffer_load_dword v9, off, s[0:3], 0 offset:148
	;; [unrolled: 1-line block ×33, first 2 shown]
	ds_read2_b64 v[11:14], v1 offset0:81 offset1:82
	ds_read2_b64 v[15:18], v1 offset0:83 offset1:84
	ds_read2_b64 v[19:22], v1 offset0:85 offset1:86
	ds_read2_b64 v[26:29], v1 offset0:87 offset1:88
	ds_read2_b64 v[30:33], v1 offset0:89 offset1:90
	ds_read2_b64 v[34:37], v1 offset0:91 offset1:92
	buffer_load_dword v128, off, s[0:3], 0 offset:256
	buffer_load_dword v129, off, s[0:3], 0 offset:268
	buffer_load_dword v130, off, s[0:3], 0 offset:272
	buffer_load_dword v131, off, s[0:3], 0 offset:276
	buffer_load_dword v132, off, s[0:3], 0 offset:280
	buffer_load_dword v133, off, s[0:3], 0 offset:284
	buffer_load_dword v134, off, s[0:3], 0 offset:264
	ds_read2_b64 v[38:41], v1 offset0:93 offset1:94
	ds_read2_b64 v[42:45], v1 offset0:95 offset1:96
	buffer_load_dword v135, off, s[0:3], 0 offset:288
	buffer_load_dword v136, off, s[0:3], 0 offset:292
	;; [unrolled: 1-line block ×18, first 2 shown]
	v_cmp_lt_u32_e32 vcc, 15, v0
	s_waitcnt vmcnt(57) lgkmcnt(7)
	v_mul_f32_e32 v46, v11, v10
	s_waitcnt vmcnt(56)
	v_mul_f32_e32 v47, v13, v9
	s_waitcnt vmcnt(55) lgkmcnt(6)
	v_mul_f32_e32 v48, v15, v8
	s_waitcnt vmcnt(54)
	v_mul_f32_e32 v49, v17, v7
	;; [unrolled: 4-line block ×6, first 2 shown]
	s_waitcnt vmcnt(45)
	v_fmac_f32_e32 v48, v16, v109
	s_waitcnt vmcnt(44)
	v_fmac_f32_e32 v47, v14, v110
	;; [unrolled: 2-line block ×3, first 2 shown]
	v_add_f32_e32 v46, 0, v46
	v_add_f32_e32 v46, v46, v47
	;; [unrolled: 1-line block ×3, first 2 shown]
	s_waitcnt vmcnt(39)
	v_fmac_f32_e32 v49, v18, v115
	v_fmac_f32_e32 v50, v20, v114
	v_add_f32_e32 v46, v46, v49
	v_fmac_f32_e32 v51, v22, v113
	v_add_f32_e32 v46, v46, v50
	;; [unrolled: 2-line block ×3, first 2 shown]
	s_waitcnt vmcnt(35)
	v_fmac_f32_e32 v53, v29, v119
	v_add_f32_e32 v46, v46, v52
	v_fmac_f32_e32 v54, v31, v118
	v_add_f32_e32 v46, v46, v53
	v_fmac_f32_e32 v55, v33, v117
	v_add_f32_e32 v46, v46, v54
	v_fmac_f32_e32 v56, v35, v116
	v_add_f32_e32 v46, v46, v55
	s_waitcnt vmcnt(31)
	v_fmac_f32_e32 v57, v37, v123
	v_add_f32_e32 v46, v46, v56
	s_waitcnt vmcnt(30) lgkmcnt(1)
	v_mul_f32_e32 v47, v38, v124
	v_add_f32_e32 v46, v46, v57
	v_fmac_f32_e32 v47, v39, v122
	v_add_f32_e32 v46, v46, v47
	s_waitcnt vmcnt(29)
	v_mul_f32_e32 v47, v40, v125
	v_fmac_f32_e32 v47, v41, v121
	v_add_f32_e32 v46, v46, v47
	s_waitcnt vmcnt(28) lgkmcnt(0)
	v_mul_f32_e32 v47, v42, v126
	v_fmac_f32_e32 v47, v43, v120
	v_add_f32_e32 v50, v46, v47
	ds_read2_b64 v[46:49], v1 offset0:97 offset1:98
	buffer_load_dword v153, off, s[0:3], 0 offset:360
	buffer_load_dword v154, off, s[0:3], 0 offset:364
	;; [unrolled: 1-line block ×6, first 2 shown]
	s_waitcnt vmcnt(33)
	v_mul_f32_e32 v51, v44, v127
	s_waitcnt vmcnt(30)
	v_fmac_f32_e32 v51, v45, v128
	v_add_f32_e32 v54, v50, v51
	ds_read2_b64 v[50:53], v1 offset0:99 offset1:100
	buffer_load_dword v159, off, s[0:3], 0 offset:384
	buffer_load_dword v160, off, s[0:3], 0 offset:388
	;; [unrolled: 1-line block ×10, first 2 shown]
	s_waitcnt vmcnt(39) lgkmcnt(1)
	v_mul_f32_e32 v55, v46, v129
	buffer_load_dword v169, off, s[0:3], 0 offset:424
	buffer_load_dword v170, off, s[0:3], 0 offset:428
	;; [unrolled: 1-line block ×6, first 2 shown]
	s_waitcnt vmcnt(40)
	v_fmac_f32_e32 v55, v47, v134
	v_add_f32_e32 v54, v54, v55
	v_mul_f32_e32 v55, v48, v131
	v_fmac_f32_e32 v55, v49, v130
	v_add_f32_e32 v54, v54, v55
	s_waitcnt lgkmcnt(0)
	v_mul_f32_e32 v55, v50, v133
	v_fmac_f32_e32 v55, v51, v132
	v_add_f32_e32 v58, v54, v55
	ds_read2_b64 v[54:57], v1 offset0:101 offset1:102
	buffer_load_dword v175, off, s[0:3], 0 offset:448
	buffer_load_dword v176, off, s[0:3], 0 offset:452
	s_waitcnt vmcnt(40)
	v_mul_f32_e32 v59, v52, v136
	v_fmac_f32_e32 v59, v53, v135
	v_add_f32_e32 v62, v58, v59
	ds_read2_b64 v[58:61], v1 offset0:103 offset1:104
	buffer_load_dword v177, off, s[0:3], 0 offset:456
	buffer_load_dword v178, off, s[0:3], 0 offset:460
	buffer_load_dword v179, off, s[0:3], 0 offset:468
	buffer_load_dword v180, off, s[0:3], 0 offset:472
	buffer_load_dword v181, off, s[0:3], 0 offset:476
	buffer_load_dword v182, off, s[0:3], 0 offset:464
	v_mul_f32_e32 v10, v12, v10
	v_fma_f32 v10, v11, v111, -v10
	v_mul_f32_e32 v9, v14, v9
	v_add_f32_e32 v10, 0, v10
	v_fma_f32 v9, v13, v110, -v9
	v_mul_f32_e32 v8, v16, v8
	buffer_load_dword v183, off, s[0:3], 0 offset:480
	buffer_load_dword v184, off, s[0:3], 0 offset:484
	;; [unrolled: 1-line block ×6, first 2 shown]
	v_add_f32_e32 v9, v10, v9
	v_fma_f32 v8, v15, v109, -v8
	v_mul_f32_e32 v7, v18, v7
	v_add_f32_e32 v8, v9, v8
	v_fma_f32 v7, v17, v115, -v7
	v_mul_f32_e32 v6, v20, v6
	;; [unrolled: 3-line block ×4, first 2 shown]
	v_add_f32_e32 v5, v6, v5
	v_fma_f32 v4, v26, v112, -v4
	v_add_f32_e32 v4, v5, v4
	v_mul_f32_e32 v5, v29, v23
	v_fma_f32 v5, v28, v119, -v5
	v_add_f32_e32 v4, v4, v5
	v_mul_f32_e32 v5, v31, v24
	;; [unrolled: 3-line block ×5, first 2 shown]
	v_fma_f32 v5, v36, v123, -v5
	s_waitcnt vmcnt(50) lgkmcnt(1)
	v_mul_f32_e32 v63, v54, v138
	v_add_f32_e32 v4, v4, v5
	v_mul_f32_e32 v5, v39, v124
	v_fmac_f32_e32 v63, v55, v137
	v_fma_f32 v5, v38, v122, -v5
	v_add_f32_e32 v62, v62, v63
	s_waitcnt vmcnt(48)
	v_mul_f32_e32 v63, v56, v140
	v_add_f32_e32 v4, v4, v5
	v_mul_f32_e32 v5, v41, v125
	v_fmac_f32_e32 v63, v57, v139
	v_fma_f32 v5, v40, v121, -v5
	v_add_f32_e32 v62, v62, v63
	s_waitcnt vmcnt(46) lgkmcnt(0)
	v_mul_f32_e32 v63, v58, v142
	v_add_f32_e32 v4, v4, v5
	v_mul_f32_e32 v5, v43, v126
	v_fmac_f32_e32 v63, v59, v141
	v_fma_f32 v5, v42, v120, -v5
	v_add_f32_e32 v66, v62, v63
	ds_read2_b64 v[62:65], v1 offset0:105 offset1:106
	v_add_f32_e32 v4, v4, v5
	v_mul_f32_e32 v5, v45, v127
	v_fma_f32 v5, v44, v128, -v5
	s_waitcnt vmcnt(44)
	v_mul_f32_e32 v67, v60, v144
	v_add_f32_e32 v4, v4, v5
	v_mul_f32_e32 v5, v47, v129
	v_fmac_f32_e32 v67, v61, v143
	v_fma_f32 v5, v46, v134, -v5
	v_add_f32_e32 v70, v66, v67
	ds_read2_b64 v[66:69], v1 offset0:107 offset1:108
	v_add_f32_e32 v4, v4, v5
	v_mul_f32_e32 v5, v49, v131
	s_waitcnt vmcnt(42) lgkmcnt(1)
	v_mul_f32_e32 v71, v62, v146
	v_fma_f32 v5, v48, v130, -v5
	v_fmac_f32_e32 v71, v63, v145
	v_add_f32_e32 v4, v4, v5
	v_mul_f32_e32 v5, v51, v133
	v_add_f32_e32 v70, v70, v71
	s_waitcnt vmcnt(41)
	v_mul_f32_e32 v71, v64, v147
	v_fma_f32 v5, v50, v132, -v5
	s_waitcnt vmcnt(38)
	v_fmac_f32_e32 v71, v65, v150
	v_add_f32_e32 v4, v4, v5
	v_mul_f32_e32 v5, v53, v136
	v_add_f32_e32 v70, v70, v71
	s_waitcnt lgkmcnt(0)
	v_mul_f32_e32 v71, v66, v149
	v_fma_f32 v5, v52, v135, -v5
	v_fmac_f32_e32 v71, v67, v148
	v_add_f32_e32 v4, v4, v5
	v_mul_f32_e32 v5, v55, v138
	v_add_f32_e32 v74, v70, v71
	ds_read2_b64 v[70:73], v1 offset0:109 offset1:110
	v_fma_f32 v5, v54, v137, -v5
	v_add_f32_e32 v4, v4, v5
	v_mul_f32_e32 v5, v57, v140
	s_waitcnt vmcnt(36)
	v_mul_f32_e32 v75, v68, v152
	v_fma_f32 v5, v56, v139, -v5
	v_fmac_f32_e32 v75, v69, v151
	v_add_f32_e32 v4, v4, v5
	v_mul_f32_e32 v5, v59, v142
	v_add_f32_e32 v78, v74, v75
	ds_read2_b64 v[74:77], v1 offset0:111 offset1:112
	v_fma_f32 v5, v58, v141, -v5
	s_waitcnt vmcnt(34) lgkmcnt(1)
	v_mul_f32_e32 v79, v70, v154
	v_add_f32_e32 v4, v4, v5
	v_mul_f32_e32 v5, v61, v144
	v_fmac_f32_e32 v79, v71, v153
	v_fma_f32 v5, v60, v143, -v5
	v_add_f32_e32 v78, v78, v79
	s_waitcnt vmcnt(33)
	v_mul_f32_e32 v79, v72, v155
	v_add_f32_e32 v4, v4, v5
	v_mul_f32_e32 v5, v63, v146
	s_waitcnt vmcnt(30)
	v_fmac_f32_e32 v79, v73, v158
	v_fma_f32 v5, v62, v145, -v5
	v_add_f32_e32 v78, v78, v79
	s_waitcnt lgkmcnt(0)
	v_mul_f32_e32 v79, v74, v157
	v_add_f32_e32 v4, v4, v5
	v_mul_f32_e32 v5, v65, v147
	v_fmac_f32_e32 v79, v75, v156
	v_fma_f32 v5, v64, v150, -v5
	v_add_f32_e32 v82, v78, v79
	ds_read2_b64 v[78:81], v1 offset0:113 offset1:114
	v_add_f32_e32 v4, v4, v5
	v_mul_f32_e32 v5, v67, v149
	v_fma_f32 v5, v66, v148, -v5
	s_waitcnt vmcnt(28)
	v_mul_f32_e32 v83, v76, v160
	v_add_f32_e32 v4, v4, v5
	v_mul_f32_e32 v5, v69, v152
	v_fmac_f32_e32 v83, v77, v159
	v_fma_f32 v5, v68, v151, -v5
	v_add_f32_e32 v86, v82, v83
	ds_read2_b64 v[82:85], v1 offset0:115 offset1:116
	v_add_f32_e32 v4, v4, v5
	v_mul_f32_e32 v5, v71, v154
	s_waitcnt vmcnt(26) lgkmcnt(1)
	v_mul_f32_e32 v87, v78, v162
	v_fma_f32 v5, v70, v153, -v5
	v_fmac_f32_e32 v87, v79, v161
	v_add_f32_e32 v4, v4, v5
	v_mul_f32_e32 v5, v73, v155
	v_add_f32_e32 v86, v86, v87
	s_waitcnt vmcnt(25)
	v_mul_f32_e32 v87, v80, v163
	v_fma_f32 v5, v72, v158, -v5
	s_waitcnt vmcnt(22)
	v_fmac_f32_e32 v87, v81, v166
	v_add_f32_e32 v4, v4, v5
	v_mul_f32_e32 v5, v75, v157
	v_add_f32_e32 v86, v86, v87
	s_waitcnt lgkmcnt(0)
	v_mul_f32_e32 v87, v82, v165
	v_fma_f32 v5, v74, v156, -v5
	v_fmac_f32_e32 v87, v83, v164
	v_add_f32_e32 v4, v4, v5
	v_mul_f32_e32 v5, v77, v160
	v_add_f32_e32 v90, v86, v87
	ds_read2_b64 v[86:89], v1 offset0:117 offset1:118
	v_fma_f32 v5, v76, v159, -v5
	v_add_f32_e32 v4, v4, v5
	v_mul_f32_e32 v5, v79, v162
	s_waitcnt vmcnt(20)
	v_mul_f32_e32 v91, v84, v168
	v_fma_f32 v5, v78, v161, -v5
	v_fmac_f32_e32 v91, v85, v167
	v_add_f32_e32 v4, v4, v5
	v_mul_f32_e32 v5, v81, v163
	v_add_f32_e32 v94, v90, v91
	ds_read2_b64 v[90:93], v1 offset0:119 offset1:120
	v_fma_f32 v5, v80, v166, -v5
	s_waitcnt vmcnt(18) lgkmcnt(1)
	v_mul_f32_e32 v95, v86, v170
	v_add_f32_e32 v4, v4, v5
	v_mul_f32_e32 v5, v83, v165
	v_fmac_f32_e32 v95, v87, v169
	v_fma_f32 v5, v82, v164, -v5
	v_add_f32_e32 v94, v94, v95
	s_waitcnt vmcnt(17)
	v_mul_f32_e32 v95, v88, v171
	v_add_f32_e32 v4, v4, v5
	v_mul_f32_e32 v5, v85, v168
	s_waitcnt vmcnt(14)
	v_fmac_f32_e32 v95, v89, v174
	v_fma_f32 v5, v84, v167, -v5
	v_add_f32_e32 v94, v94, v95
	s_waitcnt lgkmcnt(0)
	v_mul_f32_e32 v95, v90, v173
	v_add_f32_e32 v4, v4, v5
	v_mul_f32_e32 v5, v87, v170
	v_fmac_f32_e32 v95, v91, v172
	v_fma_f32 v5, v86, v169, -v5
	v_add_f32_e32 v98, v94, v95
	ds_read2_b64 v[94:97], v1 offset0:121 offset1:122
	v_add_f32_e32 v4, v4, v5
	v_mul_f32_e32 v5, v89, v171
	v_fma_f32 v5, v88, v174, -v5
	v_add_f32_e32 v4, v4, v5
	v_mul_f32_e32 v5, v91, v173
	s_waitcnt vmcnt(12)
	v_mul_f32_e32 v99, v92, v176
	v_fma_f32 v5, v90, v172, -v5
	v_fmac_f32_e32 v99, v93, v175
	v_add_f32_e32 v4, v4, v5
	v_mul_f32_e32 v5, v93, v176
	v_add_f32_e32 v102, v98, v99
	ds_read2_b64 v[98:101], v1 offset0:123 offset1:124
	s_waitcnt vmcnt(10) lgkmcnt(1)
	v_mul_f32_e32 v103, v94, v178
	v_fma_f32 v5, v92, v175, -v5
	v_fmac_f32_e32 v103, v95, v177
	v_add_f32_e32 v4, v4, v5
	v_mul_f32_e32 v5, v95, v178
	v_add_f32_e32 v102, v102, v103
	s_waitcnt vmcnt(9)
	v_mul_f32_e32 v103, v96, v179
	v_fma_f32 v5, v94, v177, -v5
	s_waitcnt vmcnt(6)
	v_fmac_f32_e32 v103, v97, v182
	v_add_f32_e32 v4, v4, v5
	v_mul_f32_e32 v5, v97, v179
	v_add_f32_e32 v189, v102, v103
	ds_read2_b64 v[102:105], v1 offset0:125 offset1:126
	v_fma_f32 v5, v96, v182, -v5
	v_add_f32_e32 v4, v4, v5
	s_waitcnt lgkmcnt(1)
	v_mul_f32_e32 v5, v99, v181
	v_mul_f32_e32 v190, v98, v181
	v_fma_f32 v5, v98, v180, -v5
	v_fmac_f32_e32 v190, v99, v180
	v_add_f32_e32 v4, v4, v5
	s_waitcnt vmcnt(4)
	v_mul_f32_e32 v5, v101, v184
	v_add_f32_e32 v1, v189, v190
	v_mul_f32_e32 v189, v100, v184
	v_fma_f32 v5, v100, v183, -v5
	v_fmac_f32_e32 v189, v101, v183
	v_add_f32_e32 v4, v4, v5
	s_waitcnt vmcnt(3) lgkmcnt(0)
	v_mul_f32_e32 v5, v103, v185
	v_add_f32_e32 v1, v1, v189
	v_mul_f32_e32 v189, v102, v185
	s_waitcnt vmcnt(0)
	v_fma_f32 v5, v102, v188, -v5
	v_fmac_f32_e32 v189, v103, v188
	v_add_f32_e32 v4, v4, v5
	v_mul_f32_e32 v5, v105, v187
	v_add_f32_e32 v1, v1, v189
	v_mul_f32_e32 v189, v104, v187
	v_fma_f32 v5, v104, v186, -v5
	v_fmac_f32_e32 v189, v105, v186
	v_add_f32_e32 v4, v4, v5
	v_add_f32_e32 v1, v1, v189
	v_sub_f32_e32 v2, v2, v4
	v_sub_f32_e32 v1, v3, v1
	buffer_store_dword v2, off, s[0:3], 0 offset:128
	buffer_store_dword v1, off, s[0:3], 0 offset:132
	s_and_saveexec_b64 s[4:5], vcc
	s_cbranch_execz .LBB62_361
; %bb.360:
	buffer_load_dword v1, off, s[0:3], 0 offset:120
	buffer_load_dword v2, off, s[0:3], 0 offset:124
	v_mov_b32_e32 v3, 0
	buffer_store_dword v3, off, s[0:3], 0 offset:120
	buffer_store_dword v3, off, s[0:3], 0 offset:124
	s_waitcnt vmcnt(2)
	ds_write_b64 v25, v[1:2]
.LBB62_361:
	s_or_b64 exec, exec, s[4:5]
	s_waitcnt lgkmcnt(0)
	; wave barrier
	buffer_load_dword v8, off, s[0:3], 0 offset:132
	buffer_load_dword v7, off, s[0:3], 0 offset:140
	;; [unrolled: 1-line block ×40, first 2 shown]
	v_mov_b32_e32 v1, 0
	buffer_load_dword v137, off, s[0:3], 0 offset:280
	buffer_load_dword v138, off, s[0:3], 0 offset:284
	;; [unrolled: 1-line block ×8, first 2 shown]
	ds_read_b128 v[11:14], v1 offset:640
	ds_read_b128 v[15:18], v1 offset:656
	;; [unrolled: 1-line block ×7, first 2 shown]
	v_cmp_lt_u32_e32 vcc, 14, v0
	s_waitcnt vmcnt(47) lgkmcnt(6)
	v_mul_f32_e32 v23, v11, v8
	s_waitcnt vmcnt(46)
	v_mul_f32_e32 v24, v13, v7
	s_waitcnt vmcnt(45) lgkmcnt(5)
	v_mul_f32_e32 v42, v15, v6
	s_waitcnt vmcnt(44)
	v_mul_f32_e32 v43, v17, v5
	;; [unrolled: 4-line block ×6, first 2 shown]
	s_waitcnt vmcnt(35)
	v_fmac_f32_e32 v42, v16, v111
	s_waitcnt vmcnt(34)
	v_fmac_f32_e32 v24, v14, v112
	;; [unrolled: 2-line block ×3, first 2 shown]
	v_add_f32_e32 v23, 0, v23
	v_add_f32_e32 v23, v23, v24
	v_add_f32_e32 v23, v23, v42
	s_waitcnt vmcnt(29)
	v_fmac_f32_e32 v43, v18, v117
	v_fmac_f32_e32 v44, v20, v116
	v_add_f32_e32 v23, v23, v43
	v_fmac_f32_e32 v45, v22, v115
	v_add_f32_e32 v23, v23, v44
	v_add_f32_e32 v23, v23, v45
	ds_read_b128 v[42:45], v1 offset:752
	buffer_load_dword v145, off, s[0:3], 0 offset:312
	buffer_load_dword v146, off, s[0:3], 0 offset:316
	buffer_load_dword v147, off, s[0:3], 0 offset:320
	buffer_load_dword v148, off, s[0:3], 0 offset:324
	buffer_load_dword v149, off, s[0:3], 0 offset:332
	buffer_load_dword v150, off, s[0:3], 0 offset:336
	buffer_load_dword v151, off, s[0:3], 0 offset:340
	buffer_load_dword v152, off, s[0:3], 0 offset:328
	buffer_load_dword v153, off, s[0:3], 0 offset:344
	buffer_load_dword v154, off, s[0:3], 0 offset:348
	v_fmac_f32_e32 v46, v27, v114
	s_waitcnt vmcnt(35)
	v_fmac_f32_e32 v47, v29, v121
	v_add_f32_e32 v23, v23, v46
	v_fmac_f32_e32 v48, v31, v120
	v_add_f32_e32 v23, v23, v47
	;; [unrolled: 2-line block ×3, first 2 shown]
	v_add_f32_e32 v23, v23, v49
	ds_read_b128 v[46:49], v1 offset:768
	buffer_load_dword v155, off, s[0:3], 0 offset:352
	buffer_load_dword v156, off, s[0:3], 0 offset:356
	;; [unrolled: 1-line block ×6, first 2 shown]
	v_fmac_f32_e32 v50, v35, v118
	s_waitcnt vmcnt(37)
	v_fmac_f32_e32 v51, v37, v125
	v_add_f32_e32 v23, v23, v50
	v_add_f32_e32 v23, v23, v51
	ds_read_b128 v[50:53], v1 offset:784
	buffer_load_dword v161, off, s[0:3], 0 offset:376
	buffer_load_dword v162, off, s[0:3], 0 offset:380
	;; [unrolled: 1-line block ×10, first 2 shown]
	ds_read_b128 v[54:57], v1 offset:800
	buffer_load_dword v171, off, s[0:3], 0 offset:416
	buffer_load_dword v172, off, s[0:3], 0 offset:420
	;; [unrolled: 1-line block ×6, first 2 shown]
	ds_read_b128 v[58:61], v1 offset:816
	buffer_load_dword v177, off, s[0:3], 0 offset:440
	buffer_load_dword v178, off, s[0:3], 0 offset:444
	;; [unrolled: 1-line block ×10, first 2 shown]
	v_mul_f32_e32 v8, v12, v8
	v_fma_f32 v8, v11, v113, -v8
	v_mul_f32_e32 v7, v14, v7
	v_add_f32_e32 v8, 0, v8
	v_fma_f32 v7, v13, v112, -v7
	v_mul_f32_e32 v6, v16, v6
	v_add_f32_e32 v7, v8, v7
	;; [unrolled: 3-line block ×3, first 2 shown]
	v_fma_f32 v5, v17, v117, -v5
	v_mul_f32_e32 v4, v20, v4
	buffer_load_dword v187, off, s[0:3], 0 offset:480
	buffer_load_dword v188, off, s[0:3], 0 offset:484
	;; [unrolled: 1-line block ×6, first 2 shown]
	v_add_f32_e32 v5, v6, v5
	v_fma_f32 v4, v19, v116, -v4
	v_mul_f32_e32 v3, v22, v3
	v_add_f32_e32 v4, v5, v4
	v_fma_f32 v3, v21, v115, -v3
	v_mul_f32_e32 v2, v27, v2
	v_add_f32_e32 v3, v4, v3
	v_fma_f32 v2, v26, v114, -v2
	v_add_f32_e32 v2, v3, v2
	v_mul_f32_e32 v3, v29, v106
	v_fma_f32 v3, v28, v121, -v3
	v_add_f32_e32 v2, v2, v3
	v_mul_f32_e32 v3, v31, v107
	;; [unrolled: 3-line block ×5, first 2 shown]
	s_waitcnt vmcnt(62) lgkmcnt(5)
	v_mul_f32_e32 v24, v38, v126
	v_fma_f32 v3, v36, v125, -v3
	v_fmac_f32_e32 v24, v39, v124
	v_add_f32_e32 v2, v2, v3
	v_mul_f32_e32 v3, v39, v126
	v_add_f32_e32 v23, v23, v24
	v_mul_f32_e32 v24, v40, v127
	v_fma_f32 v3, v38, v124, -v3
	v_fmac_f32_e32 v24, v41, v123
	v_add_f32_e32 v2, v2, v3
	v_mul_f32_e32 v3, v41, v127
	v_add_f32_e32 v23, v23, v24
	s_waitcnt lgkmcnt(4)
	v_mul_f32_e32 v24, v42, v128
	v_fma_f32 v3, v40, v123, -v3
	v_fmac_f32_e32 v24, v43, v122
	v_add_f32_e32 v2, v2, v3
	v_mul_f32_e32 v3, v43, v128
	v_add_f32_e32 v23, v23, v24
	v_mul_f32_e32 v24, v44, v129
	v_fma_f32 v3, v42, v122, -v3
	s_waitcnt vmcnt(58)
	v_fmac_f32_e32 v24, v45, v136
	v_add_f32_e32 v2, v2, v3
	v_mul_f32_e32 v3, v45, v129
	v_add_f32_e32 v23, v23, v24
	s_waitcnt lgkmcnt(3)
	v_mul_f32_e32 v24, v46, v131
	v_fma_f32 v3, v44, v136, -v3
	v_fmac_f32_e32 v24, v47, v130
	v_add_f32_e32 v2, v2, v3
	v_mul_f32_e32 v3, v47, v131
	v_add_f32_e32 v23, v23, v24
	v_mul_f32_e32 v24, v48, v133
	v_fma_f32 v3, v46, v130, -v3
	v_fmac_f32_e32 v24, v49, v132
	v_add_f32_e32 v2, v2, v3
	v_mul_f32_e32 v3, v49, v133
	v_add_f32_e32 v23, v23, v24
	s_waitcnt lgkmcnt(2)
	v_mul_f32_e32 v24, v50, v135
	v_fma_f32 v3, v48, v132, -v3
	v_fmac_f32_e32 v24, v51, v134
	v_add_f32_e32 v2, v2, v3
	v_mul_f32_e32 v3, v51, v135
	v_add_f32_e32 v23, v23, v24
	s_waitcnt vmcnt(54)
	v_mul_f32_e32 v24, v52, v138
	v_fma_f32 v3, v50, v134, -v3
	v_fmac_f32_e32 v24, v53, v137
	v_add_f32_e32 v2, v2, v3
	v_mul_f32_e32 v3, v53, v138
	v_add_f32_e32 v23, v23, v24
	s_waitcnt vmcnt(52) lgkmcnt(1)
	v_mul_f32_e32 v24, v54, v140
	v_fma_f32 v3, v52, v137, -v3
	v_fmac_f32_e32 v24, v55, v139
	v_add_f32_e32 v2, v2, v3
	v_mul_f32_e32 v3, v55, v140
	v_add_f32_e32 v23, v23, v24
	s_waitcnt vmcnt(50)
	v_mul_f32_e32 v24, v56, v142
	v_fma_f32 v3, v54, v139, -v3
	v_fmac_f32_e32 v24, v57, v141
	ds_read_b128 v[62:65], v1 offset:832
	ds_read_b128 v[66:69], v1 offset:848
	v_add_f32_e32 v2, v2, v3
	v_mul_f32_e32 v3, v57, v142
	v_add_f32_e32 v23, v23, v24
	s_waitcnt vmcnt(48) lgkmcnt(2)
	v_mul_f32_e32 v24, v58, v144
	v_fma_f32 v3, v56, v141, -v3
	v_fmac_f32_e32 v24, v59, v143
	v_add_f32_e32 v2, v2, v3
	v_mul_f32_e32 v3, v59, v144
	v_add_f32_e32 v23, v23, v24
	s_waitcnt vmcnt(46)
	v_mul_f32_e32 v24, v60, v146
	v_fma_f32 v3, v58, v143, -v3
	v_fmac_f32_e32 v24, v61, v145
	v_add_f32_e32 v2, v2, v3
	v_mul_f32_e32 v3, v61, v146
	v_add_f32_e32 v23, v23, v24
	s_waitcnt vmcnt(44) lgkmcnt(1)
	v_mul_f32_e32 v24, v62, v148
	v_fma_f32 v3, v60, v145, -v3
	v_fmac_f32_e32 v24, v63, v147
	v_add_f32_e32 v2, v2, v3
	v_mul_f32_e32 v3, v63, v148
	v_add_f32_e32 v23, v23, v24
	s_waitcnt vmcnt(43)
	v_mul_f32_e32 v24, v64, v149
	v_fma_f32 v3, v62, v147, -v3
	s_waitcnt vmcnt(40)
	v_fmac_f32_e32 v24, v65, v152
	ds_read_b128 v[70:73], v1 offset:864
	ds_read_b128 v[74:77], v1 offset:880
	v_add_f32_e32 v2, v2, v3
	v_mul_f32_e32 v3, v65, v149
	v_add_f32_e32 v23, v23, v24
	s_waitcnt lgkmcnt(2)
	v_mul_f32_e32 v24, v66, v151
	v_fma_f32 v3, v64, v152, -v3
	v_fmac_f32_e32 v24, v67, v150
	v_add_f32_e32 v2, v2, v3
	v_mul_f32_e32 v3, v67, v151
	v_add_f32_e32 v23, v23, v24
	s_waitcnt vmcnt(38)
	v_mul_f32_e32 v24, v68, v154
	v_fma_f32 v3, v66, v150, -v3
	v_fmac_f32_e32 v24, v69, v153
	v_add_f32_e32 v2, v2, v3
	v_mul_f32_e32 v3, v69, v154
	v_add_f32_e32 v23, v23, v24
	s_waitcnt vmcnt(36) lgkmcnt(1)
	v_mul_f32_e32 v24, v70, v156
	v_fma_f32 v3, v68, v153, -v3
	v_fmac_f32_e32 v24, v71, v155
	v_add_f32_e32 v2, v2, v3
	v_mul_f32_e32 v3, v71, v156
	v_add_f32_e32 v23, v23, v24
	s_waitcnt vmcnt(35)
	v_mul_f32_e32 v24, v72, v157
	v_fma_f32 v3, v70, v155, -v3
	s_waitcnt vmcnt(32)
	v_fmac_f32_e32 v24, v73, v160
	ds_read_b128 v[78:81], v1 offset:896
	ds_read_b128 v[82:85], v1 offset:912
	v_add_f32_e32 v2, v2, v3
	v_mul_f32_e32 v3, v73, v157
	v_add_f32_e32 v23, v23, v24
	s_waitcnt lgkmcnt(2)
	;; [unrolled: 31-line block ×4, first 2 shown]
	v_mul_f32_e32 v24, v90, v175
	v_fma_f32 v3, v88, v176, -v3
	v_fmac_f32_e32 v24, v91, v174
	v_add_f32_e32 v2, v2, v3
	v_mul_f32_e32 v3, v91, v175
	v_add_f32_e32 v23, v23, v24
	s_waitcnt vmcnt(14)
	v_mul_f32_e32 v24, v92, v178
	v_fma_f32 v3, v90, v174, -v3
	v_fmac_f32_e32 v24, v93, v177
	v_add_f32_e32 v2, v2, v3
	v_mul_f32_e32 v3, v93, v178
	v_add_f32_e32 v23, v23, v24
	s_waitcnt vmcnt(12) lgkmcnt(1)
	v_mul_f32_e32 v24, v94, v180
	v_fma_f32 v3, v92, v177, -v3
	v_fmac_f32_e32 v24, v95, v179
	v_add_f32_e32 v2, v2, v3
	v_mul_f32_e32 v3, v95, v180
	v_add_f32_e32 v23, v23, v24
	s_waitcnt vmcnt(11)
	v_mul_f32_e32 v24, v96, v181
	v_fma_f32 v3, v94, v179, -v3
	s_waitcnt vmcnt(8)
	v_fmac_f32_e32 v24, v97, v184
	v_add_f32_e32 v2, v2, v3
	v_mul_f32_e32 v3, v97, v181
	v_add_f32_e32 v23, v23, v24
	s_waitcnt lgkmcnt(0)
	v_mul_f32_e32 v24, v98, v183
	ds_read_b128 v[102:105], v1 offset:992
	v_fma_f32 v3, v96, v184, -v3
	v_fmac_f32_e32 v24, v99, v182
	v_add_f32_e32 v2, v2, v3
	v_mul_f32_e32 v3, v99, v183
	v_add_f32_e32 v23, v23, v24
	s_waitcnt vmcnt(6)
	v_mul_f32_e32 v24, v100, v186
	v_fma_f32 v3, v98, v182, -v3
	v_fmac_f32_e32 v24, v101, v185
	v_add_f32_e32 v2, v2, v3
	v_mul_f32_e32 v3, v101, v186
	v_add_f32_e32 v193, v23, v24
	ds_read_b64 v[23:24], v1 offset:1008
	v_fma_f32 v3, v100, v185, -v3
	v_add_f32_e32 v2, v2, v3
	s_waitcnt vmcnt(4) lgkmcnt(1)
	v_mul_f32_e32 v3, v103, v188
	v_mul_f32_e32 v194, v102, v188
	v_fma_f32 v3, v102, v187, -v3
	v_fmac_f32_e32 v194, v103, v187
	v_add_f32_e32 v2, v2, v3
	s_waitcnt vmcnt(3)
	v_mul_f32_e32 v3, v105, v189
	v_add_f32_e32 v193, v193, v194
	v_mul_f32_e32 v194, v104, v189
	s_waitcnt vmcnt(0)
	v_fma_f32 v3, v104, v192, -v3
	v_fmac_f32_e32 v194, v105, v192
	v_add_f32_e32 v2, v2, v3
	s_waitcnt lgkmcnt(0)
	v_mul_f32_e32 v3, v24, v191
	v_add_f32_e32 v193, v193, v194
	v_mul_f32_e32 v194, v23, v191
	v_fma_f32 v3, v23, v190, -v3
	v_fmac_f32_e32 v194, v24, v190
	v_add_f32_e32 v2, v2, v3
	v_add_f32_e32 v193, v193, v194
	v_sub_f32_e32 v2, v9, v2
	v_sub_f32_e32 v3, v10, v193
	buffer_store_dword v2, off, s[0:3], 0 offset:120
	buffer_store_dword v3, off, s[0:3], 0 offset:124
	s_and_saveexec_b64 s[4:5], vcc
	s_cbranch_execz .LBB62_363
; %bb.362:
	buffer_load_dword v2, off, s[0:3], 0 offset:112
	buffer_load_dword v3, off, s[0:3], 0 offset:116
	s_waitcnt vmcnt(0)
	ds_write_b64 v25, v[2:3]
	buffer_store_dword v1, off, s[0:3], 0 offset:112
	buffer_store_dword v1, off, s[0:3], 0 offset:116
.LBB62_363:
	s_or_b64 exec, exec, s[4:5]
	s_waitcnt lgkmcnt(0)
	; wave barrier
	buffer_load_dword v8, off, s[0:3], 0 offset:124
	buffer_load_dword v7, off, s[0:3], 0 offset:132
	;; [unrolled: 1-line block ×40, first 2 shown]
	ds_read2_b64 v[40:43], v1 offset0:79 offset1:80
	ds_read2_b64 v[44:47], v1 offset0:81 offset1:82
	;; [unrolled: 1-line block ×7, first 2 shown]
	buffer_load_dword v139, off, s[0:3], 0 offset:272
	buffer_load_dword v140, off, s[0:3], 0 offset:276
	;; [unrolled: 1-line block ×10, first 2 shown]
	v_cmp_lt_u32_e32 vcc, 13, v0
	s_waitcnt vmcnt(49) lgkmcnt(6)
	v_mul_f32_e32 v68, v40, v8
	s_waitcnt vmcnt(48)
	v_mul_f32_e32 v69, v42, v7
	s_waitcnt vmcnt(47) lgkmcnt(5)
	v_mul_f32_e32 v70, v44, v6
	s_waitcnt vmcnt(46)
	v_mul_f32_e32 v71, v46, v5
	;; [unrolled: 4-line block ×6, first 2 shown]
	s_waitcnt vmcnt(37)
	v_fmac_f32_e32 v70, v45, v21
	s_waitcnt vmcnt(36)
	v_fmac_f32_e32 v69, v43, v24
	;; [unrolled: 2-line block ×3, first 2 shown]
	v_add_f32_e32 v68, 0, v68
	v_add_f32_e32 v68, v68, v69
	;; [unrolled: 1-line block ×3, first 2 shown]
	s_waitcnt vmcnt(31)
	v_fmac_f32_e32 v71, v47, v27
	v_fmac_f32_e32 v72, v49, v23
	v_add_f32_e32 v68, v68, v71
	v_fmac_f32_e32 v73, v51, v20
	v_add_f32_e32 v68, v68, v72
	v_fmac_f32_e32 v74, v53, v18
	v_add_f32_e32 v68, v68, v73
	s_waitcnt vmcnt(27)
	v_fmac_f32_e32 v75, v55, v22
	v_add_f32_e32 v68, v68, v74
	v_fmac_f32_e32 v76, v57, v19
	v_add_f32_e32 v68, v68, v75
	;; [unrolled: 2-line block ×4, first 2 shown]
	s_waitcnt vmcnt(23)
	v_fmac_f32_e32 v79, v63, v35
	v_add_f32_e32 v68, v68, v78
	v_add_f32_e32 v72, v68, v79
	ds_read2_b64 v[68:71], v1 offset0:93 offset1:94
	s_waitcnt vmcnt(22) lgkmcnt(1)
	v_mul_f32_e32 v73, v64, v34
	v_fmac_f32_e32 v73, v65, v31
	buffer_load_dword v149, off, s[0:3], 0 offset:312
	buffer_load_dword v150, off, s[0:3], 0 offset:316
	;; [unrolled: 1-line block ×6, first 2 shown]
	v_add_f32_e32 v72, v72, v73
	s_waitcnt vmcnt(27)
	v_mul_f32_e32 v73, v66, v32
	v_fmac_f32_e32 v73, v67, v29
	v_add_f32_e32 v72, v72, v73
	s_waitcnt vmcnt(26) lgkmcnt(0)
	v_mul_f32_e32 v73, v68, v30
	v_fmac_f32_e32 v73, v69, v26
	v_add_f32_e32 v76, v72, v73
	ds_read2_b64 v[72:75], v1 offset0:95 offset1:96
	buffer_load_dword v155, off, s[0:3], 0 offset:336
	buffer_load_dword v156, off, s[0:3], 0 offset:340
	s_waitcnt vmcnt(27)
	v_mul_f32_e32 v77, v70, v33
	s_waitcnt vmcnt(20)
	v_fmac_f32_e32 v77, v71, v138
	v_add_f32_e32 v80, v76, v77
	ds_read2_b64 v[76:79], v1 offset0:97 offset1:98
	buffer_load_dword v157, off, s[0:3], 0 offset:344
	buffer_load_dword v158, off, s[0:3], 0 offset:348
	;; [unrolled: 1-line block ×14, first 2 shown]
	s_waitcnt lgkmcnt(1)
	v_mul_f32_e32 v81, v72, v37
	buffer_load_dword v171, off, s[0:3], 0 offset:400
	buffer_load_dword v172, off, s[0:3], 0 offset:404
	v_fmac_f32_e32 v81, v73, v36
	v_add_f32_e32 v80, v80, v81
	v_mul_f32_e32 v81, v74, v39
	v_fmac_f32_e32 v81, v75, v38
	v_add_f32_e32 v80, v80, v81
	s_waitcnt lgkmcnt(0)
	v_mul_f32_e32 v81, v76, v137
	v_fmac_f32_e32 v81, v77, v136
	v_add_f32_e32 v84, v80, v81
	ds_read2_b64 v[80:83], v1 offset0:99 offset1:100
	buffer_load_dword v173, off, s[0:3], 0 offset:408
	buffer_load_dword v174, off, s[0:3], 0 offset:412
	;; [unrolled: 1-line block ×6, first 2 shown]
	s_waitcnt vmcnt(38)
	v_mul_f32_e32 v85, v78, v140
	v_fmac_f32_e32 v85, v79, v139
	v_add_f32_e32 v88, v84, v85
	ds_read2_b64 v[84:87], v1 offset0:101 offset1:102
	buffer_load_dword v179, off, s[0:3], 0 offset:432
	buffer_load_dword v180, off, s[0:3], 0 offset:436
	;; [unrolled: 1-line block ×10, first 2 shown]
	v_mul_f32_e32 v8, v41, v8
	s_waitcnt vmcnt(46) lgkmcnt(1)
	v_mul_f32_e32 v89, v80, v142
	v_fma_f32 v8, v40, v28, -v8
	v_mul_f32_e32 v7, v43, v7
	v_fmac_f32_e32 v89, v81, v141
	v_add_f32_e32 v8, 0, v8
	v_fma_f32 v7, v42, v24, -v7
	v_mul_f32_e32 v6, v45, v6
	v_add_f32_e32 v88, v88, v89
	s_waitcnt vmcnt(44)
	v_mul_f32_e32 v89, v82, v144
	v_add_f32_e32 v7, v8, v7
	v_fma_f32 v6, v44, v21, -v6
	v_mul_f32_e32 v5, v47, v5
	v_fmac_f32_e32 v89, v83, v143
	v_add_f32_e32 v6, v7, v6
	v_fma_f32 v5, v46, v27, -v5
	v_mul_f32_e32 v4, v49, v4
	v_add_f32_e32 v88, v88, v89
	s_waitcnt vmcnt(42) lgkmcnt(0)
	v_mul_f32_e32 v89, v84, v146
	buffer_load_dword v189, off, s[0:3], 0 offset:472
	buffer_load_dword v190, off, s[0:3], 0 offset:476
	buffer_load_dword v191, off, s[0:3], 0 offset:484
	buffer_load_dword v192, off, s[0:3], 0 offset:488
	buffer_load_dword v193, off, s[0:3], 0 offset:492
	buffer_load_dword v194, off, s[0:3], 0 offset:480
	v_add_f32_e32 v5, v6, v5
	v_fma_f32 v4, v48, v23, -v4
	v_mul_f32_e32 v3, v51, v3
	v_fmac_f32_e32 v89, v85, v145
	s_waitcnt vmcnt(46)
	v_mul_f32_e32 v93, v86, v148
	v_add_f32_e32 v4, v5, v4
	v_fma_f32 v3, v50, v20, -v3
	v_mul_f32_e32 v2, v53, v2
	v_add_f32_e32 v92, v88, v89
	v_fmac_f32_e32 v93, v87, v147
	v_add_f32_e32 v3, v4, v3
	v_fma_f32 v2, v52, v18, -v2
	ds_read2_b64 v[88:91], v1 offset0:103 offset1:104
	v_add_f32_e32 v96, v92, v93
	ds_read2_b64 v[92:95], v1 offset0:105 offset1:106
	buffer_load_dword v195, off, s[0:3], 0 offset:496
	buffer_load_dword v196, off, s[0:3], 0 offset:500
	v_add_f32_e32 v2, v3, v2
	v_mul_f32_e32 v3, v55, v11
	v_fma_f32 v3, v54, v22, -v3
	v_add_f32_e32 v2, v2, v3
	v_mul_f32_e32 v3, v57, v12
	v_fma_f32 v3, v56, v19, -v3
	;; [unrolled: 3-line block ×9, first 2 shown]
	v_add_f32_e32 v2, v2, v3
	v_mul_f32_e32 v3, v73, v37
	s_waitcnt vmcnt(46) lgkmcnt(1)
	v_mul_f32_e32 v97, v88, v150
	v_fma_f32 v3, v72, v36, -v3
	v_fmac_f32_e32 v97, v89, v149
	v_add_f32_e32 v2, v2, v3
	v_mul_f32_e32 v3, v75, v39
	v_add_f32_e32 v96, v96, v97
	s_waitcnt vmcnt(45)
	v_mul_f32_e32 v97, v90, v151
	v_fma_f32 v3, v74, v38, -v3
	s_waitcnt vmcnt(42)
	v_fmac_f32_e32 v97, v91, v154
	v_add_f32_e32 v2, v2, v3
	v_mul_f32_e32 v3, v77, v137
	v_add_f32_e32 v96, v96, v97
	s_waitcnt lgkmcnt(0)
	v_mul_f32_e32 v97, v92, v153
	v_fma_f32 v3, v76, v136, -v3
	v_fmac_f32_e32 v97, v93, v152
	v_add_f32_e32 v2, v2, v3
	v_mul_f32_e32 v3, v79, v140
	v_add_f32_e32 v100, v96, v97
	ds_read2_b64 v[96:99], v1 offset0:107 offset1:108
	v_fma_f32 v3, v78, v139, -v3
	v_add_f32_e32 v2, v2, v3
	v_mul_f32_e32 v3, v81, v142
	s_waitcnt vmcnt(40)
	v_mul_f32_e32 v101, v94, v156
	v_fma_f32 v3, v80, v141, -v3
	v_fmac_f32_e32 v101, v95, v155
	v_add_f32_e32 v2, v2, v3
	v_mul_f32_e32 v3, v83, v144
	v_add_f32_e32 v104, v100, v101
	ds_read2_b64 v[100:103], v1 offset0:109 offset1:110
	v_fma_f32 v3, v82, v143, -v3
	s_waitcnt vmcnt(38) lgkmcnt(1)
	v_mul_f32_e32 v105, v96, v158
	v_add_f32_e32 v2, v2, v3
	v_mul_f32_e32 v3, v85, v146
	v_fmac_f32_e32 v105, v97, v157
	v_fma_f32 v3, v84, v145, -v3
	v_add_f32_e32 v104, v104, v105
	s_waitcnt vmcnt(37)
	v_mul_f32_e32 v105, v98, v159
	v_add_f32_e32 v2, v2, v3
	v_mul_f32_e32 v3, v87, v148
	s_waitcnt vmcnt(34)
	v_fmac_f32_e32 v105, v99, v162
	v_fma_f32 v3, v86, v147, -v3
	v_add_f32_e32 v104, v104, v105
	s_waitcnt lgkmcnt(0)
	v_mul_f32_e32 v105, v100, v161
	v_add_f32_e32 v2, v2, v3
	v_mul_f32_e32 v3, v89, v150
	v_fmac_f32_e32 v105, v101, v160
	v_fma_f32 v3, v88, v149, -v3
	v_add_f32_e32 v108, v104, v105
	ds_read2_b64 v[104:107], v1 offset0:111 offset1:112
	v_add_f32_e32 v2, v2, v3
	v_mul_f32_e32 v3, v91, v151
	v_fma_f32 v3, v90, v154, -v3
	s_waitcnt vmcnt(32)
	v_mul_f32_e32 v109, v102, v164
	v_add_f32_e32 v2, v2, v3
	v_mul_f32_e32 v3, v93, v153
	v_fmac_f32_e32 v109, v103, v163
	v_fma_f32 v3, v92, v152, -v3
	v_add_f32_e32 v112, v108, v109
	ds_read2_b64 v[108:111], v1 offset0:113 offset1:114
	v_add_f32_e32 v2, v2, v3
	v_mul_f32_e32 v3, v95, v156
	s_waitcnt vmcnt(30) lgkmcnt(1)
	v_mul_f32_e32 v113, v104, v166
	v_fma_f32 v3, v94, v155, -v3
	v_fmac_f32_e32 v113, v105, v165
	v_add_f32_e32 v2, v2, v3
	v_mul_f32_e32 v3, v97, v158
	v_add_f32_e32 v112, v112, v113
	s_waitcnt vmcnt(29)
	v_mul_f32_e32 v113, v106, v167
	v_fma_f32 v3, v96, v157, -v3
	s_waitcnt vmcnt(26)
	v_fmac_f32_e32 v113, v107, v170
	v_add_f32_e32 v2, v2, v3
	v_mul_f32_e32 v3, v99, v159
	v_add_f32_e32 v112, v112, v113
	s_waitcnt lgkmcnt(0)
	v_mul_f32_e32 v113, v108, v169
	v_fma_f32 v3, v98, v162, -v3
	v_fmac_f32_e32 v113, v109, v168
	v_add_f32_e32 v2, v2, v3
	v_mul_f32_e32 v3, v101, v161
	v_add_f32_e32 v116, v112, v113
	ds_read2_b64 v[112:115], v1 offset0:115 offset1:116
	v_fma_f32 v3, v100, v160, -v3
	v_add_f32_e32 v2, v2, v3
	v_mul_f32_e32 v3, v103, v164
	s_waitcnt vmcnt(24)
	v_mul_f32_e32 v117, v110, v172
	v_fma_f32 v3, v102, v163, -v3
	v_fmac_f32_e32 v117, v111, v171
	v_add_f32_e32 v2, v2, v3
	v_mul_f32_e32 v3, v105, v166
	v_add_f32_e32 v120, v116, v117
	ds_read2_b64 v[116:119], v1 offset0:117 offset1:118
	v_fma_f32 v3, v104, v165, -v3
	s_waitcnt vmcnt(22) lgkmcnt(1)
	v_mul_f32_e32 v121, v112, v174
	v_add_f32_e32 v2, v2, v3
	v_mul_f32_e32 v3, v107, v167
	v_fmac_f32_e32 v121, v113, v173
	v_fma_f32 v3, v106, v170, -v3
	v_add_f32_e32 v120, v120, v121
	s_waitcnt vmcnt(21)
	v_mul_f32_e32 v121, v114, v175
	v_add_f32_e32 v2, v2, v3
	v_mul_f32_e32 v3, v109, v169
	s_waitcnt vmcnt(18)
	v_fmac_f32_e32 v121, v115, v178
	v_fma_f32 v3, v108, v168, -v3
	v_add_f32_e32 v120, v120, v121
	s_waitcnt lgkmcnt(0)
	v_mul_f32_e32 v121, v116, v177
	v_add_f32_e32 v2, v2, v3
	v_mul_f32_e32 v3, v111, v172
	v_fmac_f32_e32 v121, v117, v176
	v_fma_f32 v3, v110, v171, -v3
	v_add_f32_e32 v124, v120, v121
	ds_read2_b64 v[120:123], v1 offset0:119 offset1:120
	v_add_f32_e32 v2, v2, v3
	v_mul_f32_e32 v3, v113, v174
	v_fma_f32 v3, v112, v173, -v3
	s_waitcnt vmcnt(16)
	v_mul_f32_e32 v125, v118, v180
	v_add_f32_e32 v2, v2, v3
	v_mul_f32_e32 v3, v115, v175
	v_fmac_f32_e32 v125, v119, v179
	v_fma_f32 v3, v114, v178, -v3
	v_add_f32_e32 v128, v124, v125
	ds_read2_b64 v[124:127], v1 offset0:121 offset1:122
	v_add_f32_e32 v2, v2, v3
	v_mul_f32_e32 v3, v117, v177
	s_waitcnt vmcnt(14) lgkmcnt(1)
	v_mul_f32_e32 v129, v120, v182
	v_fma_f32 v3, v116, v176, -v3
	v_fmac_f32_e32 v129, v121, v181
	v_add_f32_e32 v2, v2, v3
	v_mul_f32_e32 v3, v119, v180
	v_add_f32_e32 v128, v128, v129
	s_waitcnt vmcnt(13)
	v_mul_f32_e32 v129, v122, v183
	v_fma_f32 v3, v118, v179, -v3
	s_waitcnt vmcnt(10)
	v_fmac_f32_e32 v129, v123, v186
	v_add_f32_e32 v2, v2, v3
	v_mul_f32_e32 v3, v121, v182
	v_add_f32_e32 v128, v128, v129
	s_waitcnt lgkmcnt(0)
	v_mul_f32_e32 v129, v124, v185
	v_fma_f32 v3, v120, v181, -v3
	v_fmac_f32_e32 v129, v125, v184
	v_add_f32_e32 v2, v2, v3
	v_mul_f32_e32 v3, v123, v183
	v_add_f32_e32 v132, v128, v129
	ds_read2_b64 v[128:131], v1 offset0:123 offset1:124
	v_fma_f32 v3, v122, v186, -v3
	v_add_f32_e32 v2, v2, v3
	v_mul_f32_e32 v3, v125, v185
	s_waitcnt vmcnt(8)
	v_mul_f32_e32 v133, v126, v188
	v_fma_f32 v3, v124, v184, -v3
	v_fmac_f32_e32 v133, v127, v187
	v_add_f32_e32 v2, v2, v3
	v_mul_f32_e32 v3, v127, v188
	v_add_f32_e32 v197, v132, v133
	ds_read2_b64 v[132:135], v1 offset0:125 offset1:126
	v_fma_f32 v3, v126, v187, -v3
	v_add_f32_e32 v2, v2, v3
	s_waitcnt vmcnt(6) lgkmcnt(1)
	v_mul_f32_e32 v3, v129, v190
	v_mul_f32_e32 v1, v128, v190
	v_fma_f32 v3, v128, v189, -v3
	v_fmac_f32_e32 v1, v129, v189
	v_add_f32_e32 v2, v2, v3
	s_waitcnt vmcnt(5)
	v_mul_f32_e32 v3, v131, v191
	v_add_f32_e32 v1, v197, v1
	v_mul_f32_e32 v197, v130, v191
	s_waitcnt vmcnt(2)
	v_fma_f32 v3, v130, v194, -v3
	v_fmac_f32_e32 v197, v131, v194
	v_add_f32_e32 v2, v2, v3
	s_waitcnt lgkmcnt(0)
	v_mul_f32_e32 v3, v133, v193
	v_add_f32_e32 v1, v1, v197
	v_mul_f32_e32 v197, v132, v193
	v_fma_f32 v3, v132, v192, -v3
	v_fmac_f32_e32 v197, v133, v192
	v_add_f32_e32 v2, v2, v3
	s_waitcnt vmcnt(0)
	v_mul_f32_e32 v3, v135, v196
	v_add_f32_e32 v1, v1, v197
	v_mul_f32_e32 v197, v134, v196
	v_fma_f32 v3, v134, v195, -v3
	v_fmac_f32_e32 v197, v135, v195
	v_add_f32_e32 v2, v2, v3
	v_add_f32_e32 v1, v1, v197
	v_sub_f32_e32 v2, v9, v2
	v_sub_f32_e32 v1, v10, v1
	buffer_store_dword v2, off, s[0:3], 0 offset:112
	buffer_store_dword v1, off, s[0:3], 0 offset:116
	s_and_saveexec_b64 s[4:5], vcc
	s_cbranch_execz .LBB62_365
; %bb.364:
	buffer_load_dword v1, off, s[0:3], 0 offset:104
	buffer_load_dword v2, off, s[0:3], 0 offset:108
	v_mov_b32_e32 v3, 0
	buffer_store_dword v3, off, s[0:3], 0 offset:104
	buffer_store_dword v3, off, s[0:3], 0 offset:108
	s_waitcnt vmcnt(2)
	ds_write_b64 v25, v[1:2]
.LBB62_365:
	s_or_b64 exec, exec, s[4:5]
	s_waitcnt lgkmcnt(0)
	; wave barrier
	buffer_load_dword v8, off, s[0:3], 0 offset:116
	buffer_load_dword v7, off, s[0:3], 0 offset:124
	;; [unrolled: 1-line block ×40, first 2 shown]
	v_mov_b32_e32 v1, 0
	buffer_load_dword v141, off, s[0:3], 0 offset:264
	buffer_load_dword v142, off, s[0:3], 0 offset:268
	;; [unrolled: 1-line block ×10, first 2 shown]
	ds_read_b128 v[15:18], v1 offset:624
	ds_read_b128 v[19:22], v1 offset:640
	;; [unrolled: 1-line block ×7, first 2 shown]
	v_cmp_lt_u32_e32 vcc, 12, v0
	s_waitcnt vmcnt(49) lgkmcnt(6)
	v_mul_f32_e32 v23, v15, v8
	s_waitcnt vmcnt(48)
	v_mul_f32_e32 v24, v17, v7
	s_waitcnt vmcnt(47) lgkmcnt(5)
	v_mul_f32_e32 v46, v19, v6
	s_waitcnt vmcnt(46)
	v_mul_f32_e32 v47, v21, v5
	s_waitcnt vmcnt(45) lgkmcnt(4)
	v_mul_f32_e32 v48, v26, v4
	s_waitcnt vmcnt(44)
	v_mul_f32_e32 v49, v28, v3
	s_waitcnt vmcnt(43) lgkmcnt(3)
	v_mul_f32_e32 v50, v30, v2
	s_waitcnt vmcnt(42)
	v_mul_f32_e32 v51, v32, v11
	s_waitcnt vmcnt(41) lgkmcnt(2)
	v_mul_f32_e32 v52, v34, v12
	s_waitcnt vmcnt(40)
	v_mul_f32_e32 v53, v36, v13
	s_waitcnt vmcnt(39) lgkmcnt(1)
	v_mul_f32_e32 v54, v38, v14
	s_waitcnt vmcnt(38)
	v_fmac_f32_e32 v46, v20, v114
	s_waitcnt vmcnt(37)
	v_fmac_f32_e32 v24, v18, v115
	;; [unrolled: 2-line block ×3, first 2 shown]
	v_add_f32_e32 v23, 0, v23
	v_add_f32_e32 v23, v23, v24
	;; [unrolled: 1-line block ×3, first 2 shown]
	s_waitcnt vmcnt(32)
	v_fmac_f32_e32 v47, v22, v120
	v_fmac_f32_e32 v48, v27, v119
	v_add_f32_e32 v23, v23, v47
	v_fmac_f32_e32 v49, v29, v118
	v_add_f32_e32 v23, v23, v48
	;; [unrolled: 2-line block ×3, first 2 shown]
	s_waitcnt vmcnt(28)
	v_fmac_f32_e32 v51, v33, v124
	v_add_f32_e32 v23, v23, v50
	ds_read_b128 v[46:49], v1 offset:736
	buffer_load_dword v151, off, s[0:3], 0 offset:304
	buffer_load_dword v152, off, s[0:3], 0 offset:308
	v_fmac_f32_e32 v52, v35, v123
	v_add_f32_e32 v23, v23, v51
	v_fmac_f32_e32 v53, v37, v122
	v_add_f32_e32 v23, v23, v52
	v_add_f32_e32 v23, v23, v53
	ds_read_b128 v[50:53], v1 offset:752
	buffer_load_dword v153, off, s[0:3], 0 offset:316
	buffer_load_dword v154, off, s[0:3], 0 offset:320
	;; [unrolled: 1-line block ×4, first 2 shown]
	v_fmac_f32_e32 v54, v39, v121
	v_add_f32_e32 v23, v23, v54
	ds_read_b128 v[54:57], v1 offset:768
	buffer_load_dword v157, off, s[0:3], 0 offset:328
	buffer_load_dword v158, off, s[0:3], 0 offset:332
	;; [unrolled: 1-line block ×16, first 2 shown]
	ds_read_b128 v[58:61], v1 offset:784
	buffer_load_dword v173, off, s[0:3], 0 offset:392
	buffer_load_dword v174, off, s[0:3], 0 offset:396
	ds_read_b128 v[62:65], v1 offset:800
	buffer_load_dword v175, off, s[0:3], 0 offset:400
	buffer_load_dword v176, off, s[0:3], 0 offset:404
	;; [unrolled: 1-line block ×16, first 2 shown]
	v_mul_f32_e32 v8, v16, v8
	v_fma_f32 v8, v15, v116, -v8
	v_mul_f32_e32 v7, v18, v7
	v_add_f32_e32 v8, 0, v8
	v_fma_f32 v7, v17, v115, -v7
	v_mul_f32_e32 v6, v20, v6
	v_add_f32_e32 v7, v8, v7
	v_fma_f32 v6, v19, v114, -v6
	v_mul_f32_e32 v5, v22, v5
	ds_read_b128 v[66:69], v1 offset:816
	buffer_load_dword v191, off, s[0:3], 0 offset:464
	buffer_load_dword v192, off, s[0:3], 0 offset:468
	buffer_load_dword v193, off, s[0:3], 0 offset:476
	buffer_load_dword v194, off, s[0:3], 0 offset:480
	buffer_load_dword v195, off, s[0:3], 0 offset:484
	buffer_load_dword v196, off, s[0:3], 0 offset:472
	v_add_f32_e32 v6, v7, v6
	v_fma_f32 v5, v21, v120, -v5
	v_mul_f32_e32 v4, v27, v4
	v_add_f32_e32 v5, v6, v5
	v_fma_f32 v4, v26, v119, -v4
	v_mul_f32_e32 v3, v29, v3
	;; [unrolled: 3-line block ×3, first 2 shown]
	v_add_f32_e32 v3, v4, v3
	v_fma_f32 v2, v30, v117, -v2
	v_add_f32_e32 v2, v3, v2
	v_mul_f32_e32 v3, v33, v11
	ds_read_b128 v[70:73], v1 offset:832
	buffer_load_dword v197, off, s[0:3], 0 offset:492
	buffer_load_dword v198, off, s[0:3], 0 offset:496
	;; [unrolled: 1-line block ×4, first 2 shown]
	v_fma_f32 v3, v32, v124, -v3
	v_add_f32_e32 v2, v2, v3
	v_mul_f32_e32 v3, v35, v12
	v_fma_f32 v3, v34, v123, -v3
	v_add_f32_e32 v2, v2, v3
	v_mul_f32_e32 v3, v37, v13
	;; [unrolled: 3-line block ×3, first 2 shown]
	s_waitcnt vmcnt(62)
	v_mul_f32_e32 v24, v40, v125
	v_fma_f32 v3, v38, v121, -v3
	v_fmac_f32_e32 v24, v41, v129
	v_add_f32_e32 v2, v2, v3
	v_mul_f32_e32 v3, v41, v125
	v_add_f32_e32 v23, v23, v24
	s_waitcnt lgkmcnt(7)
	v_mul_f32_e32 v24, v42, v130
	v_fma_f32 v3, v40, v129, -v3
	v_fmac_f32_e32 v24, v43, v128
	v_add_f32_e32 v2, v2, v3
	v_mul_f32_e32 v3, v43, v130
	v_add_f32_e32 v23, v23, v24
	v_mul_f32_e32 v24, v44, v131
	v_fma_f32 v3, v42, v128, -v3
	v_fmac_f32_e32 v24, v45, v127
	v_add_f32_e32 v2, v2, v3
	v_mul_f32_e32 v3, v45, v131
	v_add_f32_e32 v23, v23, v24
	s_waitcnt lgkmcnt(6)
	v_mul_f32_e32 v24, v46, v132
	v_fma_f32 v3, v44, v127, -v3
	v_fmac_f32_e32 v24, v47, v126
	v_add_f32_e32 v2, v2, v3
	v_mul_f32_e32 v3, v47, v132
	v_add_f32_e32 v23, v23, v24
	;; [unrolled: 13-line block ×4, first 2 shown]
	s_waitcnt vmcnt(58)
	v_mul_f32_e32 v24, v56, v142
	v_fma_f32 v3, v54, v136, -v3
	v_fmac_f32_e32 v24, v57, v141
	v_add_f32_e32 v2, v2, v3
	v_mul_f32_e32 v3, v57, v142
	v_add_f32_e32 v23, v23, v24
	s_waitcnt vmcnt(56) lgkmcnt(3)
	v_mul_f32_e32 v24, v58, v144
	v_fma_f32 v3, v56, v141, -v3
	v_fmac_f32_e32 v24, v59, v143
	v_add_f32_e32 v2, v2, v3
	v_mul_f32_e32 v3, v59, v144
	v_add_f32_e32 v23, v23, v24
	s_waitcnt vmcnt(54)
	v_mul_f32_e32 v24, v60, v146
	v_fma_f32 v3, v58, v143, -v3
	v_fmac_f32_e32 v24, v61, v145
	v_add_f32_e32 v2, v2, v3
	v_mul_f32_e32 v3, v61, v146
	v_add_f32_e32 v23, v23, v24
	s_waitcnt vmcnt(52) lgkmcnt(2)
	v_mul_f32_e32 v24, v62, v148
	v_fma_f32 v3, v60, v145, -v3
	v_fmac_f32_e32 v24, v63, v147
	v_add_f32_e32 v2, v2, v3
	v_mul_f32_e32 v3, v63, v148
	v_add_f32_e32 v23, v23, v24
	;; [unrolled: 14-line block ×3, first 2 shown]
	s_waitcnt vmcnt(47)
	v_mul_f32_e32 v24, v68, v153
	v_fma_f32 v3, v66, v151, -v3
	s_waitcnt vmcnt(44)
	v_fmac_f32_e32 v24, v69, v156
	ds_read_b128 v[74:77], v1 offset:848
	ds_read_b128 v[78:81], v1 offset:864
	v_add_f32_e32 v2, v2, v3
	v_mul_f32_e32 v3, v69, v153
	v_add_f32_e32 v23, v23, v24
	s_waitcnt lgkmcnt(2)
	v_mul_f32_e32 v24, v70, v155
	v_fma_f32 v3, v68, v156, -v3
	v_fmac_f32_e32 v24, v71, v154
	v_add_f32_e32 v2, v2, v3
	v_mul_f32_e32 v3, v71, v155
	v_add_f32_e32 v23, v23, v24
	s_waitcnt vmcnt(42)
	v_mul_f32_e32 v24, v72, v158
	v_fma_f32 v3, v70, v154, -v3
	v_fmac_f32_e32 v24, v73, v157
	v_add_f32_e32 v2, v2, v3
	v_mul_f32_e32 v3, v73, v158
	v_add_f32_e32 v23, v23, v24
	s_waitcnt vmcnt(40) lgkmcnt(1)
	v_mul_f32_e32 v24, v74, v160
	v_fma_f32 v3, v72, v157, -v3
	v_fmac_f32_e32 v24, v75, v159
	v_add_f32_e32 v2, v2, v3
	v_mul_f32_e32 v3, v75, v160
	v_add_f32_e32 v23, v23, v24
	s_waitcnt vmcnt(39)
	v_mul_f32_e32 v24, v76, v161
	v_fma_f32 v3, v74, v159, -v3
	s_waitcnt vmcnt(36)
	v_fmac_f32_e32 v24, v77, v164
	ds_read_b128 v[82:85], v1 offset:880
	ds_read_b128 v[86:89], v1 offset:896
	v_add_f32_e32 v2, v2, v3
	v_mul_f32_e32 v3, v77, v161
	v_add_f32_e32 v23, v23, v24
	s_waitcnt lgkmcnt(2)
	v_mul_f32_e32 v24, v78, v163
	v_fma_f32 v3, v76, v164, -v3
	v_fmac_f32_e32 v24, v79, v162
	v_add_f32_e32 v2, v2, v3
	v_mul_f32_e32 v3, v79, v163
	v_add_f32_e32 v23, v23, v24
	s_waitcnt vmcnt(34)
	v_mul_f32_e32 v24, v80, v166
	v_fma_f32 v3, v78, v162, -v3
	v_fmac_f32_e32 v24, v81, v165
	v_add_f32_e32 v2, v2, v3
	v_mul_f32_e32 v3, v81, v166
	v_add_f32_e32 v23, v23, v24
	s_waitcnt vmcnt(32) lgkmcnt(1)
	v_mul_f32_e32 v24, v82, v168
	v_fma_f32 v3, v80, v165, -v3
	v_fmac_f32_e32 v24, v83, v167
	v_add_f32_e32 v2, v2, v3
	v_mul_f32_e32 v3, v83, v168
	v_add_f32_e32 v23, v23, v24
	;; [unrolled: 31-line block ×5, first 2 shown]
	s_waitcnt vmcnt(7)
	v_mul_f32_e32 v24, v108, v193
	v_fma_f32 v3, v106, v191, -v3
	s_waitcnt vmcnt(4)
	v_fmac_f32_e32 v24, v109, v196
	v_add_f32_e32 v2, v2, v3
	v_mul_f32_e32 v3, v109, v193
	v_add_f32_e32 v201, v23, v24
	ds_read_b64 v[23:24], v1 offset:1008
	v_fma_f32 v3, v108, v196, -v3
	v_add_f32_e32 v2, v2, v3
	s_waitcnt lgkmcnt(1)
	v_mul_f32_e32 v3, v111, v195
	v_mul_f32_e32 v202, v110, v195
	v_fma_f32 v3, v110, v194, -v3
	v_fmac_f32_e32 v202, v111, v194
	v_add_f32_e32 v2, v2, v3
	s_waitcnt vmcnt(3)
	v_mul_f32_e32 v3, v113, v197
	v_add_f32_e32 v201, v201, v202
	v_mul_f32_e32 v202, v112, v197
	s_waitcnt vmcnt(0)
	v_fma_f32 v3, v112, v200, -v3
	v_fmac_f32_e32 v202, v113, v200
	v_add_f32_e32 v2, v2, v3
	s_waitcnt lgkmcnt(0)
	v_mul_f32_e32 v3, v24, v199
	v_add_f32_e32 v201, v201, v202
	v_mul_f32_e32 v202, v23, v199
	v_fma_f32 v3, v23, v198, -v3
	v_fmac_f32_e32 v202, v24, v198
	v_add_f32_e32 v2, v2, v3
	v_add_f32_e32 v201, v201, v202
	v_sub_f32_e32 v2, v9, v2
	v_sub_f32_e32 v3, v10, v201
	buffer_store_dword v2, off, s[0:3], 0 offset:104
	buffer_store_dword v3, off, s[0:3], 0 offset:108
	s_and_saveexec_b64 s[4:5], vcc
	s_cbranch_execz .LBB62_367
; %bb.366:
	buffer_load_dword v2, off, s[0:3], 0 offset:96
	buffer_load_dword v3, off, s[0:3], 0 offset:100
	s_waitcnt vmcnt(0)
	ds_write_b64 v25, v[2:3]
	buffer_store_dword v1, off, s[0:3], 0 offset:96
	buffer_store_dword v1, off, s[0:3], 0 offset:100
.LBB62_367:
	s_or_b64 exec, exec, s[4:5]
	s_waitcnt lgkmcnt(0)
	; wave barrier
	buffer_load_dword v8, off, s[0:3], 0 offset:108
	buffer_load_dword v7, off, s[0:3], 0 offset:116
	;; [unrolled: 1-line block ×40, first 2 shown]
	ds_read2_b64 v[16:19], v1 offset0:77 offset1:78
	ds_read2_b64 v[20:23], v1 offset0:79 offset1:80
	;; [unrolled: 1-line block ×7, first 2 shown]
	buffer_load_dword v143, off, s[0:3], 0 offset:256
	buffer_load_dword v144, off, s[0:3], 0 offset:260
	;; [unrolled: 1-line block ×11, first 2 shown]
	v_cmp_lt_u32_e32 vcc, 11, v0
	s_waitcnt vmcnt(50) lgkmcnt(6)
	v_mul_f32_e32 v46, v16, v8
	s_waitcnt vmcnt(49)
	v_mul_f32_e32 v47, v18, v7
	s_waitcnt vmcnt(48) lgkmcnt(5)
	v_mul_f32_e32 v48, v20, v6
	s_waitcnt vmcnt(47)
	v_mul_f32_e32 v49, v22, v5
	;; [unrolled: 4-line block ×6, first 2 shown]
	s_waitcnt vmcnt(38)
	v_fmac_f32_e32 v48, v21, v24
	s_waitcnt vmcnt(37)
	v_fmac_f32_e32 v47, v19, v118
	;; [unrolled: 2-line block ×3, first 2 shown]
	v_add_f32_e32 v46, 0, v46
	v_add_f32_e32 v46, v46, v47
	;; [unrolled: 1-line block ×3, first 2 shown]
	s_waitcnt vmcnt(32)
	v_fmac_f32_e32 v49, v23, v123
	v_fmac_f32_e32 v50, v27, v122
	v_add_f32_e32 v46, v46, v49
	v_fmac_f32_e32 v51, v29, v121
	v_add_f32_e32 v46, v46, v50
	;; [unrolled: 2-line block ×3, first 2 shown]
	s_waitcnt vmcnt(28)
	v_fmac_f32_e32 v53, v33, v127
	v_add_f32_e32 v46, v46, v52
	v_fmac_f32_e32 v54, v35, v126
	v_add_f32_e32 v46, v46, v53
	;; [unrolled: 2-line block ×4, first 2 shown]
	v_add_f32_e32 v46, v46, v56
	s_waitcnt vmcnt(24)
	v_fmac_f32_e32 v57, v41, v131
	v_add_f32_e32 v50, v46, v57
	ds_read2_b64 v[46:49], v1 offset0:91 offset1:92
	s_waitcnt vmcnt(23) lgkmcnt(1)
	v_mul_f32_e32 v51, v42, v132
	v_fmac_f32_e32 v51, v43, v130
	v_add_f32_e32 v50, v50, v51
	s_waitcnt vmcnt(22)
	v_mul_f32_e32 v51, v44, v133
	v_fmac_f32_e32 v51, v45, v129
	v_add_f32_e32 v50, v50, v51
	s_waitcnt vmcnt(21) lgkmcnt(0)
	v_mul_f32_e32 v51, v46, v134
	buffer_load_dword v154, off, s[0:3], 0 offset:296
	buffer_load_dword v155, off, s[0:3], 0 offset:304
	;; [unrolled: 1-line block ×3, first 2 shown]
	v_fmac_f32_e32 v51, v47, v128
	v_add_f32_e32 v54, v50, v51
	ds_read2_b64 v[50:53], v1 offset0:93 offset1:94
	buffer_load_dword v157, off, s[0:3], 0 offset:312
	buffer_load_dword v158, off, s[0:3], 0 offset:316
	s_waitcnt vmcnt(25)
	v_mul_f32_e32 v55, v48, v135
	s_waitcnt vmcnt(19)
	v_fmac_f32_e32 v55, v49, v141
	v_add_f32_e32 v58, v54, v55
	ds_read2_b64 v[54:57], v1 offset0:95 offset1:96
	buffer_load_dword v159, off, s[0:3], 0 offset:320
	buffer_load_dword v160, off, s[0:3], 0 offset:324
	;; [unrolled: 1-line block ×8, first 2 shown]
	s_waitcnt vmcnt(26) lgkmcnt(1)
	v_mul_f32_e32 v59, v50, v142
	buffer_load_dword v167, off, s[0:3], 0 offset:352
	buffer_load_dword v168, off, s[0:3], 0 offset:356
	v_fmac_f32_e32 v59, v51, v140
	v_add_f32_e32 v58, v58, v59
	v_mul_f32_e32 v59, v52, v137
	v_fmac_f32_e32 v59, v53, v136
	v_add_f32_e32 v58, v58, v59
	s_waitcnt lgkmcnt(0)
	v_mul_f32_e32 v59, v54, v139
	v_fmac_f32_e32 v59, v55, v138
	v_add_f32_e32 v62, v58, v59
	ds_read2_b64 v[58:61], v1 offset0:97 offset1:98
	buffer_load_dword v169, off, s[0:3], 0 offset:360
	buffer_load_dword v170, off, s[0:3], 0 offset:364
	;; [unrolled: 1-line block ×6, first 2 shown]
	s_waitcnt vmcnt(30)
	v_mul_f32_e32 v63, v56, v144
	v_fmac_f32_e32 v63, v57, v143
	v_add_f32_e32 v66, v62, v63
	ds_read2_b64 v[62:65], v1 offset0:99 offset1:100
	buffer_load_dword v175, off, s[0:3], 0 offset:384
	buffer_load_dword v176, off, s[0:3], 0 offset:388
	;; [unrolled: 1-line block ×10, first 2 shown]
	s_waitcnt vmcnt(38) lgkmcnt(1)
	v_mul_f32_e32 v67, v58, v146
	buffer_load_dword v185, off, s[0:3], 0 offset:424
	buffer_load_dword v186, off, s[0:3], 0 offset:428
	;; [unrolled: 1-line block ×6, first 2 shown]
	v_fmac_f32_e32 v67, v59, v145
	v_add_f32_e32 v66, v66, v67
	s_waitcnt vmcnt(42)
	v_mul_f32_e32 v67, v60, v148
	v_fmac_f32_e32 v67, v61, v147
	v_add_f32_e32 v66, v66, v67
	s_waitcnt vmcnt(40) lgkmcnt(0)
	v_mul_f32_e32 v67, v62, v150
	v_fmac_f32_e32 v67, v63, v149
	v_add_f32_e32 v70, v66, v67
	ds_read2_b64 v[66:69], v1 offset0:101 offset1:102
	buffer_load_dword v191, off, s[0:3], 0 offset:448
	buffer_load_dword v192, off, s[0:3], 0 offset:452
	v_mul_f32_e32 v8, v17, v8
	v_fma_f32 v8, v16, v119, -v8
	v_mul_f32_e32 v7, v19, v7
	s_waitcnt vmcnt(40)
	v_mul_f32_e32 v71, v64, v152
	v_add_f32_e32 v8, 0, v8
	v_fma_f32 v7, v18, v118, -v7
	v_mul_f32_e32 v6, v21, v6
	v_fmac_f32_e32 v71, v65, v151
	v_add_f32_e32 v7, v8, v7
	v_fma_f32 v6, v20, v24, -v6
	v_mul_f32_e32 v5, v23, v5
	v_add_f32_e32 v74, v70, v71
	ds_read2_b64 v[70:73], v1 offset0:103 offset1:104
	buffer_load_dword v193, off, s[0:3], 0 offset:456
	buffer_load_dword v194, off, s[0:3], 0 offset:460
	;; [unrolled: 1-line block ×6, first 2 shown]
	v_add_f32_e32 v6, v7, v6
	v_fma_f32 v5, v22, v123, -v5
	v_mul_f32_e32 v4, v27, v4
	v_add_f32_e32 v5, v6, v5
	v_fma_f32 v4, v26, v122, -v4
	v_mul_f32_e32 v3, v29, v3
	;; [unrolled: 3-line block ×3, first 2 shown]
	v_add_f32_e32 v3, v4, v3
	v_fma_f32 v2, v30, v120, -v2
	v_add_f32_e32 v2, v3, v2
	v_mul_f32_e32 v3, v33, v11
	v_fma_f32 v3, v32, v127, -v3
	v_add_f32_e32 v2, v2, v3
	v_mul_f32_e32 v3, v35, v12
	buffer_load_dword v199, off, s[0:3], 0 offset:480
	buffer_load_dword v200, off, s[0:3], 0 offset:484
	;; [unrolled: 1-line block ×6, first 2 shown]
	v_fma_f32 v3, v34, v126, -v3
	v_add_f32_e32 v2, v2, v3
	v_mul_f32_e32 v3, v37, v13
	v_fma_f32 v3, v36, v125, -v3
	v_add_f32_e32 v2, v2, v3
	v_mul_f32_e32 v3, v39, v14
	;; [unrolled: 3-line block ×7, first 2 shown]
	v_fma_f32 v3, v48, v141, -v3
	s_waitcnt vmcnt(51) lgkmcnt(1)
	v_mul_f32_e32 v75, v66, v153
	v_add_f32_e32 v2, v2, v3
	v_mul_f32_e32 v3, v51, v142
	s_waitcnt vmcnt(50)
	v_fmac_f32_e32 v75, v67, v154
	v_fma_f32 v3, v50, v140, -v3
	v_add_f32_e32 v74, v74, v75
	s_waitcnt vmcnt(48)
	v_mul_f32_e32 v75, v68, v156
	v_add_f32_e32 v2, v2, v3
	v_mul_f32_e32 v3, v53, v137
	v_fmac_f32_e32 v75, v69, v155
	v_fma_f32 v3, v52, v136, -v3
	v_add_f32_e32 v74, v74, v75
	s_waitcnt vmcnt(46) lgkmcnt(0)
	v_mul_f32_e32 v75, v70, v158
	v_add_f32_e32 v2, v2, v3
	v_mul_f32_e32 v3, v55, v139
	v_fmac_f32_e32 v75, v71, v157
	v_fma_f32 v3, v54, v138, -v3
	v_add_f32_e32 v78, v74, v75
	ds_read2_b64 v[74:77], v1 offset0:105 offset1:106
	v_add_f32_e32 v2, v2, v3
	v_mul_f32_e32 v3, v57, v144
	v_fma_f32 v3, v56, v143, -v3
	s_waitcnt vmcnt(44)
	v_mul_f32_e32 v79, v72, v160
	v_add_f32_e32 v2, v2, v3
	v_mul_f32_e32 v3, v59, v146
	v_fmac_f32_e32 v79, v73, v159
	v_fma_f32 v3, v58, v145, -v3
	v_add_f32_e32 v82, v78, v79
	ds_read2_b64 v[78:81], v1 offset0:107 offset1:108
	v_add_f32_e32 v2, v2, v3
	v_mul_f32_e32 v3, v61, v148
	s_waitcnt vmcnt(42) lgkmcnt(1)
	v_mul_f32_e32 v83, v74, v162
	v_fma_f32 v3, v60, v147, -v3
	v_fmac_f32_e32 v83, v75, v161
	v_add_f32_e32 v2, v2, v3
	v_mul_f32_e32 v3, v63, v150
	v_add_f32_e32 v82, v82, v83
	s_waitcnt vmcnt(41)
	v_mul_f32_e32 v83, v76, v163
	v_fma_f32 v3, v62, v149, -v3
	s_waitcnt vmcnt(38)
	v_fmac_f32_e32 v83, v77, v166
	v_add_f32_e32 v2, v2, v3
	v_mul_f32_e32 v3, v65, v152
	v_add_f32_e32 v82, v82, v83
	s_waitcnt lgkmcnt(0)
	v_mul_f32_e32 v83, v78, v165
	v_fma_f32 v3, v64, v151, -v3
	v_fmac_f32_e32 v83, v79, v164
	v_add_f32_e32 v2, v2, v3
	v_mul_f32_e32 v3, v67, v153
	v_add_f32_e32 v86, v82, v83
	ds_read2_b64 v[82:85], v1 offset0:109 offset1:110
	v_fma_f32 v3, v66, v154, -v3
	v_add_f32_e32 v2, v2, v3
	v_mul_f32_e32 v3, v69, v156
	s_waitcnt vmcnt(36)
	v_mul_f32_e32 v87, v80, v168
	v_fma_f32 v3, v68, v155, -v3
	v_fmac_f32_e32 v87, v81, v167
	v_add_f32_e32 v2, v2, v3
	v_mul_f32_e32 v3, v71, v158
	v_add_f32_e32 v90, v86, v87
	ds_read2_b64 v[86:89], v1 offset0:111 offset1:112
	v_fma_f32 v3, v70, v157, -v3
	s_waitcnt vmcnt(34) lgkmcnt(1)
	v_mul_f32_e32 v91, v82, v170
	v_add_f32_e32 v2, v2, v3
	v_mul_f32_e32 v3, v73, v160
	v_fmac_f32_e32 v91, v83, v169
	v_fma_f32 v3, v72, v159, -v3
	v_add_f32_e32 v90, v90, v91
	s_waitcnt vmcnt(33)
	v_mul_f32_e32 v91, v84, v171
	v_add_f32_e32 v2, v2, v3
	v_mul_f32_e32 v3, v75, v162
	s_waitcnt vmcnt(30)
	v_fmac_f32_e32 v91, v85, v174
	v_fma_f32 v3, v74, v161, -v3
	v_add_f32_e32 v90, v90, v91
	s_waitcnt lgkmcnt(0)
	v_mul_f32_e32 v91, v86, v173
	v_add_f32_e32 v2, v2, v3
	v_mul_f32_e32 v3, v77, v163
	v_fmac_f32_e32 v91, v87, v172
	v_fma_f32 v3, v76, v166, -v3
	v_add_f32_e32 v94, v90, v91
	ds_read2_b64 v[90:93], v1 offset0:113 offset1:114
	v_add_f32_e32 v2, v2, v3
	v_mul_f32_e32 v3, v79, v165
	v_fma_f32 v3, v78, v164, -v3
	s_waitcnt vmcnt(28)
	v_mul_f32_e32 v95, v88, v176
	v_add_f32_e32 v2, v2, v3
	v_mul_f32_e32 v3, v81, v168
	v_fmac_f32_e32 v95, v89, v175
	v_fma_f32 v3, v80, v167, -v3
	v_add_f32_e32 v98, v94, v95
	ds_read2_b64 v[94:97], v1 offset0:115 offset1:116
	v_add_f32_e32 v2, v2, v3
	v_mul_f32_e32 v3, v83, v170
	s_waitcnt vmcnt(26) lgkmcnt(1)
	v_mul_f32_e32 v99, v90, v178
	v_fma_f32 v3, v82, v169, -v3
	v_fmac_f32_e32 v99, v91, v177
	v_add_f32_e32 v2, v2, v3
	v_mul_f32_e32 v3, v85, v171
	v_add_f32_e32 v98, v98, v99
	s_waitcnt vmcnt(25)
	v_mul_f32_e32 v99, v92, v179
	v_fma_f32 v3, v84, v174, -v3
	s_waitcnt vmcnt(22)
	v_fmac_f32_e32 v99, v93, v182
	v_add_f32_e32 v2, v2, v3
	v_mul_f32_e32 v3, v87, v173
	v_add_f32_e32 v98, v98, v99
	s_waitcnt lgkmcnt(0)
	v_mul_f32_e32 v99, v94, v181
	v_fma_f32 v3, v86, v172, -v3
	v_fmac_f32_e32 v99, v95, v180
	v_add_f32_e32 v2, v2, v3
	v_mul_f32_e32 v3, v89, v176
	v_add_f32_e32 v102, v98, v99
	ds_read2_b64 v[98:101], v1 offset0:117 offset1:118
	v_fma_f32 v3, v88, v175, -v3
	v_add_f32_e32 v2, v2, v3
	v_mul_f32_e32 v3, v91, v178
	s_waitcnt vmcnt(20)
	v_mul_f32_e32 v103, v96, v184
	v_fma_f32 v3, v90, v177, -v3
	v_fmac_f32_e32 v103, v97, v183
	v_add_f32_e32 v2, v2, v3
	v_mul_f32_e32 v3, v93, v179
	v_add_f32_e32 v106, v102, v103
	ds_read2_b64 v[102:105], v1 offset0:119 offset1:120
	v_fma_f32 v3, v92, v182, -v3
	s_waitcnt vmcnt(18) lgkmcnt(1)
	v_mul_f32_e32 v107, v98, v186
	v_add_f32_e32 v2, v2, v3
	v_mul_f32_e32 v3, v95, v181
	v_fmac_f32_e32 v107, v99, v185
	v_fma_f32 v3, v94, v180, -v3
	v_add_f32_e32 v106, v106, v107
	s_waitcnt vmcnt(17)
	v_mul_f32_e32 v107, v100, v187
	v_add_f32_e32 v2, v2, v3
	v_mul_f32_e32 v3, v97, v184
	s_waitcnt vmcnt(14)
	v_fmac_f32_e32 v107, v101, v190
	v_fma_f32 v3, v96, v183, -v3
	v_add_f32_e32 v106, v106, v107
	s_waitcnt lgkmcnt(0)
	v_mul_f32_e32 v107, v102, v189
	v_add_f32_e32 v2, v2, v3
	v_mul_f32_e32 v3, v99, v186
	v_fmac_f32_e32 v107, v103, v188
	v_fma_f32 v3, v98, v185, -v3
	v_add_f32_e32 v110, v106, v107
	ds_read2_b64 v[106:109], v1 offset0:121 offset1:122
	v_add_f32_e32 v2, v2, v3
	v_mul_f32_e32 v3, v101, v187
	v_fma_f32 v3, v100, v190, -v3
	v_add_f32_e32 v2, v2, v3
	v_mul_f32_e32 v3, v103, v189
	s_waitcnt vmcnt(12)
	v_mul_f32_e32 v111, v104, v192
	v_fma_f32 v3, v102, v188, -v3
	v_fmac_f32_e32 v111, v105, v191
	v_add_f32_e32 v2, v2, v3
	v_mul_f32_e32 v3, v105, v192
	v_add_f32_e32 v114, v110, v111
	ds_read2_b64 v[110:113], v1 offset0:123 offset1:124
	s_waitcnt vmcnt(10) lgkmcnt(1)
	v_mul_f32_e32 v115, v106, v194
	v_fma_f32 v3, v104, v191, -v3
	v_fmac_f32_e32 v115, v107, v193
	v_add_f32_e32 v2, v2, v3
	v_mul_f32_e32 v3, v107, v194
	v_add_f32_e32 v114, v114, v115
	s_waitcnt vmcnt(9)
	v_mul_f32_e32 v115, v108, v195
	v_fma_f32 v3, v106, v193, -v3
	s_waitcnt vmcnt(6)
	v_fmac_f32_e32 v115, v109, v198
	v_add_f32_e32 v2, v2, v3
	v_mul_f32_e32 v3, v109, v195
	v_add_f32_e32 v205, v114, v115
	ds_read2_b64 v[114:117], v1 offset0:125 offset1:126
	v_fma_f32 v3, v108, v198, -v3
	v_add_f32_e32 v2, v2, v3
	s_waitcnt lgkmcnt(1)
	v_mul_f32_e32 v3, v111, v197
	v_mul_f32_e32 v206, v110, v197
	v_fma_f32 v3, v110, v196, -v3
	v_fmac_f32_e32 v206, v111, v196
	v_add_f32_e32 v2, v2, v3
	s_waitcnt vmcnt(4)
	v_mul_f32_e32 v3, v113, v200
	v_add_f32_e32 v1, v205, v206
	v_mul_f32_e32 v205, v112, v200
	v_fma_f32 v3, v112, v199, -v3
	v_fmac_f32_e32 v205, v113, v199
	v_add_f32_e32 v2, v2, v3
	s_waitcnt vmcnt(3) lgkmcnt(0)
	v_mul_f32_e32 v3, v115, v201
	v_add_f32_e32 v1, v1, v205
	v_mul_f32_e32 v205, v114, v201
	s_waitcnt vmcnt(0)
	v_fma_f32 v3, v114, v204, -v3
	v_fmac_f32_e32 v205, v115, v204
	v_add_f32_e32 v2, v2, v3
	v_mul_f32_e32 v3, v117, v203
	v_add_f32_e32 v1, v1, v205
	v_mul_f32_e32 v205, v116, v203
	v_fma_f32 v3, v116, v202, -v3
	v_fmac_f32_e32 v205, v117, v202
	v_add_f32_e32 v2, v2, v3
	v_add_f32_e32 v1, v1, v205
	v_sub_f32_e32 v2, v9, v2
	v_sub_f32_e32 v1, v10, v1
	buffer_store_dword v2, off, s[0:3], 0 offset:96
	buffer_store_dword v1, off, s[0:3], 0 offset:100
	s_and_saveexec_b64 s[4:5], vcc
	s_cbranch_execz .LBB62_369
; %bb.368:
	buffer_load_dword v1, off, s[0:3], 0 offset:88
	buffer_load_dword v2, off, s[0:3], 0 offset:92
	v_mov_b32_e32 v3, 0
	buffer_store_dword v3, off, s[0:3], 0 offset:88
	buffer_store_dword v3, off, s[0:3], 0 offset:92
	s_waitcnt vmcnt(2)
	ds_write_b64 v25, v[1:2]
.LBB62_369:
	s_or_b64 exec, exec, s[4:5]
	s_waitcnt lgkmcnt(0)
	; wave barrier
	buffer_load_dword v10, off, s[0:3], 0 offset:100
	buffer_load_dword v9, off, s[0:3], 0 offset:108
	;; [unrolled: 1-line block ×50, first 2 shown]
	v_mov_b32_e32 v1, 0
	ds_read_b128 v[17:20], v1 offset:608
	ds_read_b128 v[21:24], v1 offset:624
	;; [unrolled: 1-line block ×6, first 2 shown]
	v_cmp_lt_u32_e32 vcc, 10, v0
	s_waitcnt vmcnt(49) lgkmcnt(5)
	v_mul_f32_e32 v42, v17, v10
	s_waitcnt vmcnt(48)
	v_mul_f32_e32 v43, v19, v9
	s_waitcnt vmcnt(47) lgkmcnt(4)
	v_mul_f32_e32 v44, v21, v6
	s_waitcnt vmcnt(46)
	v_mul_f32_e32 v45, v23, v5
	;; [unrolled: 4-line block ×6, first 2 shown]
	s_waitcnt vmcnt(37)
	v_fmac_f32_e32 v44, v22, v120
	s_waitcnt vmcnt(36)
	v_fmac_f32_e32 v43, v20, v121
	;; [unrolled: 2-line block ×3, first 2 shown]
	v_add_f32_e32 v42, 0, v42
	v_add_f32_e32 v42, v42, v43
	;; [unrolled: 1-line block ×3, first 2 shown]
	s_waitcnt vmcnt(31)
	v_fmac_f32_e32 v45, v24, v126
	v_fmac_f32_e32 v46, v27, v125
	v_add_f32_e32 v42, v42, v45
	v_fmac_f32_e32 v47, v29, v124
	v_add_f32_e32 v42, v42, v46
	;; [unrolled: 2-line block ×3, first 2 shown]
	s_waitcnt vmcnt(27)
	v_fmac_f32_e32 v49, v33, v129
	v_add_f32_e32 v42, v42, v48
	v_fmac_f32_e32 v50, v35, v128
	v_add_f32_e32 v42, v42, v49
	;; [unrolled: 2-line block ×4, first 2 shown]
	v_add_f32_e32 v46, v42, v52
	ds_read_b128 v[42:45], v1 offset:704
	s_waitcnt vmcnt(23)
	v_fmac_f32_e32 v53, v41, v133
	v_add_f32_e32 v50, v46, v53
	buffer_load_dword v155, off, s[0:3], 0 offset:288
	buffer_load_dword v156, off, s[0:3], 0 offset:292
	ds_read_b128 v[46:49], v1 offset:720
	s_waitcnt vmcnt(24) lgkmcnt(1)
	v_mul_f32_e32 v51, v42, v134
	v_fmac_f32_e32 v51, v43, v132
	v_add_f32_e32 v50, v50, v51
	s_waitcnt vmcnt(23)
	v_mul_f32_e32 v51, v44, v135
	v_fmac_f32_e32 v51, v45, v131
	buffer_load_dword v157, off, s[0:3], 0 offset:300
	buffer_load_dword v158, off, s[0:3], 0 offset:296
	;; [unrolled: 1-line block ×4, first 2 shown]
	v_add_f32_e32 v50, v50, v51
	s_waitcnt vmcnt(26) lgkmcnt(0)
	v_mul_f32_e32 v51, v46, v136
	v_fmac_f32_e32 v51, v47, v130
	s_waitcnt vmcnt(25)
	v_mul_f32_e32 v55, v48, v137
	v_add_f32_e32 v54, v50, v51
	s_waitcnt vmcnt(18)
	v_fmac_f32_e32 v55, v49, v144
	ds_read_b128 v[50:53], v1 offset:736
	v_add_f32_e32 v58, v54, v55
	ds_read_b128 v[54:57], v1 offset:752
	buffer_load_dword v161, off, s[0:3], 0 offset:312
	buffer_load_dword v162, off, s[0:3], 0 offset:316
	;; [unrolled: 1-line block ×8, first 2 shown]
	s_waitcnt lgkmcnt(1)
	v_mul_f32_e32 v59, v50, v139
	buffer_load_dword v169, off, s[0:3], 0 offset:344
	buffer_load_dword v170, off, s[0:3], 0 offset:348
	v_fmac_f32_e32 v59, v51, v138
	v_add_f32_e32 v58, v58, v59
	v_mul_f32_e32 v59, v52, v141
	v_fmac_f32_e32 v59, v53, v140
	v_add_f32_e32 v58, v58, v59
	s_waitcnt lgkmcnt(0)
	v_mul_f32_e32 v59, v54, v143
	v_fmac_f32_e32 v59, v55, v142
	v_add_f32_e32 v62, v58, v59
	ds_read_b128 v[58:61], v1 offset:768
	buffer_load_dword v171, off, s[0:3], 0 offset:352
	buffer_load_dword v172, off, s[0:3], 0 offset:356
	;; [unrolled: 1-line block ×6, first 2 shown]
	s_waitcnt vmcnt(30)
	v_mul_f32_e32 v63, v56, v146
	v_fmac_f32_e32 v63, v57, v145
	v_add_f32_e32 v66, v62, v63
	ds_read_b128 v[62:65], v1 offset:784
	buffer_load_dword v177, off, s[0:3], 0 offset:376
	buffer_load_dword v178, off, s[0:3], 0 offset:380
	;; [unrolled: 1-line block ×8, first 2 shown]
	s_waitcnt vmcnt(36) lgkmcnt(1)
	v_mul_f32_e32 v67, v58, v148
	buffer_load_dword v185, off, s[0:3], 0 offset:408
	buffer_load_dword v186, off, s[0:3], 0 offset:412
	v_fmac_f32_e32 v67, v59, v147
	v_add_f32_e32 v66, v66, v67
	s_waitcnt vmcnt(36)
	v_mul_f32_e32 v67, v60, v150
	v_fmac_f32_e32 v67, v61, v149
	v_add_f32_e32 v66, v66, v67
	s_waitcnt vmcnt(34) lgkmcnt(0)
	v_mul_f32_e32 v67, v62, v152
	v_fmac_f32_e32 v67, v63, v151
	v_add_f32_e32 v70, v66, v67
	ds_read_b128 v[66:69], v1 offset:800
	buffer_load_dword v187, off, s[0:3], 0 offset:416
	buffer_load_dword v188, off, s[0:3], 0 offset:420
	;; [unrolled: 1-line block ×6, first 2 shown]
	s_waitcnt vmcnt(38)
	v_mul_f32_e32 v71, v64, v154
	v_fmac_f32_e32 v71, v65, v153
	v_add_f32_e32 v74, v70, v71
	ds_read_b128 v[70:73], v1 offset:816
	buffer_load_dword v193, off, s[0:3], 0 offset:440
	buffer_load_dword v194, off, s[0:3], 0 offset:444
	v_mul_f32_e32 v10, v18, v10
	v_fma_f32 v10, v17, v122, -v10
	v_mul_f32_e32 v9, v20, v9
	buffer_load_dword v195, off, s[0:3], 0 offset:448
	buffer_load_dword v196, off, s[0:3], 0 offset:452
	buffer_load_dword v197, off, s[0:3], 0 offset:460
	buffer_load_dword v198, off, s[0:3], 0 offset:464
	buffer_load_dword v199, off, s[0:3], 0 offset:468
	buffer_load_dword v200, off, s[0:3], 0 offset:456
	v_add_f32_e32 v10, 0, v10
	v_fma_f32 v9, v19, v121, -v9
	v_mul_f32_e32 v6, v22, v6
	v_add_f32_e32 v9, v10, v9
	v_fma_f32 v6, v21, v120, -v6
	v_mul_f32_e32 v5, v24, v5
	;; [unrolled: 3-line block ×5, first 2 shown]
	buffer_load_dword v201, off, s[0:3], 0 offset:472
	buffer_load_dword v202, off, s[0:3], 0 offset:476
	v_add_f32_e32 v3, v4, v3
	v_fma_f32 v2, v30, v123, -v2
	v_add_f32_e32 v2, v3, v2
	v_mul_f32_e32 v3, v33, v11
	v_fma_f32 v3, v32, v129, -v3
	v_add_f32_e32 v2, v2, v3
	v_mul_f32_e32 v3, v35, v12
	;; [unrolled: 3-line block ×3, first 2 shown]
	buffer_load_dword v203, off, s[0:3], 0 offset:480
	buffer_load_dword v204, off, s[0:3], 0 offset:484
	buffer_load_dword v205, off, s[0:3], 0 offset:492
	buffer_load_dword v206, off, s[0:3], 0 offset:496
	buffer_load_dword v207, off, s[0:3], 0 offset:500
	buffer_load_dword v208, off, s[0:3], 0 offset:488
	v_fma_f32 v3, v36, v127, -v3
	v_add_f32_e32 v2, v2, v3
	v_mul_f32_e32 v3, v39, v14
	v_fma_f32 v3, v38, v16, -v3
	v_add_f32_e32 v2, v2, v3
	v_mul_f32_e32 v3, v41, v15
	;; [unrolled: 3-line block ×5, first 2 shown]
	v_fma_f32 v3, v46, v130, -v3
	s_waitcnt vmcnt(52) lgkmcnt(1)
	v_mul_f32_e32 v75, v66, v156
	v_add_f32_e32 v2, v2, v3
	v_mul_f32_e32 v3, v49, v137
	v_fmac_f32_e32 v75, v67, v155
	v_fma_f32 v3, v48, v144, -v3
	v_add_f32_e32 v74, v74, v75
	s_waitcnt vmcnt(51)
	v_mul_f32_e32 v75, v68, v157
	v_add_f32_e32 v2, v2, v3
	v_mul_f32_e32 v3, v51, v139
	s_waitcnt vmcnt(50)
	v_fmac_f32_e32 v75, v69, v158
	v_fma_f32 v3, v50, v138, -v3
	v_add_f32_e32 v74, v74, v75
	s_waitcnt vmcnt(48) lgkmcnt(0)
	v_mul_f32_e32 v75, v70, v160
	v_add_f32_e32 v2, v2, v3
	v_mul_f32_e32 v3, v53, v141
	v_fmac_f32_e32 v75, v71, v159
	v_fma_f32 v3, v52, v140, -v3
	v_add_f32_e32 v78, v74, v75
	ds_read_b128 v[74:77], v1 offset:832
	v_add_f32_e32 v2, v2, v3
	v_mul_f32_e32 v3, v55, v143
	v_fma_f32 v3, v54, v142, -v3
	s_waitcnt vmcnt(46)
	v_mul_f32_e32 v79, v72, v162
	v_add_f32_e32 v2, v2, v3
	v_mul_f32_e32 v3, v57, v146
	v_fmac_f32_e32 v79, v73, v161
	v_fma_f32 v3, v56, v145, -v3
	v_add_f32_e32 v82, v78, v79
	ds_read_b128 v[78:81], v1 offset:848
	v_add_f32_e32 v2, v2, v3
	v_mul_f32_e32 v3, v59, v148
	s_waitcnt vmcnt(44) lgkmcnt(1)
	v_mul_f32_e32 v83, v74, v164
	v_fma_f32 v3, v58, v147, -v3
	v_fmac_f32_e32 v83, v75, v163
	v_add_f32_e32 v2, v2, v3
	v_mul_f32_e32 v3, v61, v150
	v_add_f32_e32 v82, v82, v83
	s_waitcnt vmcnt(43)
	v_mul_f32_e32 v83, v76, v165
	v_fma_f32 v3, v60, v149, -v3
	s_waitcnt vmcnt(40)
	v_fmac_f32_e32 v83, v77, v168
	v_add_f32_e32 v2, v2, v3
	v_mul_f32_e32 v3, v63, v152
	v_add_f32_e32 v82, v82, v83
	s_waitcnt lgkmcnt(0)
	v_mul_f32_e32 v83, v78, v167
	v_fma_f32 v3, v62, v151, -v3
	v_fmac_f32_e32 v83, v79, v166
	v_add_f32_e32 v2, v2, v3
	v_mul_f32_e32 v3, v65, v154
	v_add_f32_e32 v86, v82, v83
	ds_read_b128 v[82:85], v1 offset:864
	v_fma_f32 v3, v64, v153, -v3
	v_add_f32_e32 v2, v2, v3
	v_mul_f32_e32 v3, v67, v156
	s_waitcnt vmcnt(38)
	v_mul_f32_e32 v87, v80, v170
	v_fma_f32 v3, v66, v155, -v3
	v_fmac_f32_e32 v87, v81, v169
	v_add_f32_e32 v2, v2, v3
	v_mul_f32_e32 v3, v69, v157
	v_add_f32_e32 v90, v86, v87
	ds_read_b128 v[86:89], v1 offset:880
	v_fma_f32 v3, v68, v158, -v3
	s_waitcnt vmcnt(36) lgkmcnt(1)
	v_mul_f32_e32 v91, v82, v172
	v_add_f32_e32 v2, v2, v3
	v_mul_f32_e32 v3, v71, v160
	v_fmac_f32_e32 v91, v83, v171
	v_fma_f32 v3, v70, v159, -v3
	v_add_f32_e32 v90, v90, v91
	s_waitcnt vmcnt(35)
	v_mul_f32_e32 v91, v84, v173
	v_add_f32_e32 v2, v2, v3
	v_mul_f32_e32 v3, v73, v162
	s_waitcnt vmcnt(32)
	v_fmac_f32_e32 v91, v85, v176
	v_fma_f32 v3, v72, v161, -v3
	v_add_f32_e32 v90, v90, v91
	s_waitcnt lgkmcnt(0)
	v_mul_f32_e32 v91, v86, v175
	v_add_f32_e32 v2, v2, v3
	v_mul_f32_e32 v3, v75, v164
	v_fmac_f32_e32 v91, v87, v174
	v_fma_f32 v3, v74, v163, -v3
	v_add_f32_e32 v94, v90, v91
	ds_read_b128 v[90:93], v1 offset:896
	v_add_f32_e32 v2, v2, v3
	v_mul_f32_e32 v3, v77, v165
	v_fma_f32 v3, v76, v168, -v3
	s_waitcnt vmcnt(30)
	v_mul_f32_e32 v95, v88, v178
	v_add_f32_e32 v2, v2, v3
	v_mul_f32_e32 v3, v79, v167
	v_fmac_f32_e32 v95, v89, v177
	v_fma_f32 v3, v78, v166, -v3
	v_add_f32_e32 v98, v94, v95
	ds_read_b128 v[94:97], v1 offset:912
	v_add_f32_e32 v2, v2, v3
	v_mul_f32_e32 v3, v81, v170
	s_waitcnt vmcnt(28) lgkmcnt(1)
	v_mul_f32_e32 v99, v90, v180
	v_fma_f32 v3, v80, v169, -v3
	v_fmac_f32_e32 v99, v91, v179
	v_add_f32_e32 v2, v2, v3
	v_mul_f32_e32 v3, v83, v172
	v_add_f32_e32 v98, v98, v99
	s_waitcnt vmcnt(27)
	v_mul_f32_e32 v99, v92, v181
	v_fma_f32 v3, v82, v171, -v3
	s_waitcnt vmcnt(24)
	v_fmac_f32_e32 v99, v93, v184
	v_add_f32_e32 v2, v2, v3
	v_mul_f32_e32 v3, v85, v173
	v_add_f32_e32 v98, v98, v99
	s_waitcnt lgkmcnt(0)
	v_mul_f32_e32 v99, v94, v183
	v_fma_f32 v3, v84, v176, -v3
	v_fmac_f32_e32 v99, v95, v182
	v_add_f32_e32 v2, v2, v3
	v_mul_f32_e32 v3, v87, v175
	v_add_f32_e32 v102, v98, v99
	ds_read_b128 v[98:101], v1 offset:928
	v_fma_f32 v3, v86, v174, -v3
	v_add_f32_e32 v2, v2, v3
	v_mul_f32_e32 v3, v89, v178
	s_waitcnt vmcnt(22)
	v_mul_f32_e32 v103, v96, v186
	v_fma_f32 v3, v88, v177, -v3
	v_fmac_f32_e32 v103, v97, v185
	v_add_f32_e32 v2, v2, v3
	v_mul_f32_e32 v3, v91, v180
	v_add_f32_e32 v106, v102, v103
	ds_read_b128 v[102:105], v1 offset:944
	v_fma_f32 v3, v90, v179, -v3
	s_waitcnt vmcnt(20) lgkmcnt(1)
	v_mul_f32_e32 v107, v98, v188
	v_add_f32_e32 v2, v2, v3
	v_mul_f32_e32 v3, v93, v181
	v_fmac_f32_e32 v107, v99, v187
	v_fma_f32 v3, v92, v184, -v3
	v_add_f32_e32 v106, v106, v107
	s_waitcnt vmcnt(19)
	v_mul_f32_e32 v107, v100, v189
	v_add_f32_e32 v2, v2, v3
	v_mul_f32_e32 v3, v95, v183
	s_waitcnt vmcnt(16)
	v_fmac_f32_e32 v107, v101, v192
	v_fma_f32 v3, v94, v182, -v3
	v_add_f32_e32 v106, v106, v107
	s_waitcnt lgkmcnt(0)
	v_mul_f32_e32 v107, v102, v191
	v_add_f32_e32 v2, v2, v3
	v_mul_f32_e32 v3, v97, v186
	v_fmac_f32_e32 v107, v103, v190
	v_fma_f32 v3, v96, v185, -v3
	v_add_f32_e32 v110, v106, v107
	ds_read_b128 v[106:109], v1 offset:960
	v_add_f32_e32 v2, v2, v3
	v_mul_f32_e32 v3, v99, v188
	v_fma_f32 v3, v98, v187, -v3
	s_waitcnt vmcnt(14)
	v_mul_f32_e32 v111, v104, v194
	v_add_f32_e32 v2, v2, v3
	v_mul_f32_e32 v3, v101, v189
	v_fmac_f32_e32 v111, v105, v193
	v_fma_f32 v3, v100, v192, -v3
	v_add_f32_e32 v114, v110, v111
	ds_read_b128 v[110:113], v1 offset:976
	v_add_f32_e32 v2, v2, v3
	v_mul_f32_e32 v3, v103, v191
	s_waitcnt vmcnt(12) lgkmcnt(1)
	v_mul_f32_e32 v115, v106, v196
	v_fma_f32 v3, v102, v190, -v3
	v_fmac_f32_e32 v115, v107, v195
	v_add_f32_e32 v2, v2, v3
	v_mul_f32_e32 v3, v105, v194
	v_add_f32_e32 v114, v114, v115
	s_waitcnt vmcnt(11)
	v_mul_f32_e32 v115, v108, v197
	v_fma_f32 v3, v104, v193, -v3
	s_waitcnt vmcnt(8)
	v_fmac_f32_e32 v115, v109, v200
	v_add_f32_e32 v2, v2, v3
	v_mul_f32_e32 v3, v107, v196
	v_add_f32_e32 v114, v114, v115
	s_waitcnt lgkmcnt(0)
	v_mul_f32_e32 v115, v110, v199
	v_fma_f32 v3, v106, v195, -v3
	v_fmac_f32_e32 v115, v111, v198
	v_add_f32_e32 v2, v2, v3
	v_mul_f32_e32 v3, v109, v197
	v_add_f32_e32 v118, v114, v115
	ds_read_b128 v[114:117], v1 offset:992
	v_fma_f32 v3, v108, v200, -v3
	v_add_f32_e32 v2, v2, v3
	v_mul_f32_e32 v3, v111, v199
	s_waitcnt vmcnt(6)
	v_mul_f32_e32 v119, v112, v202
	v_fma_f32 v3, v110, v198, -v3
	v_fmac_f32_e32 v119, v113, v201
	v_add_f32_e32 v2, v2, v3
	v_mul_f32_e32 v3, v113, v202
	v_add_f32_e32 v209, v118, v119
	ds_read_b64 v[118:119], v1 offset:1008
	v_fma_f32 v3, v112, v201, -v3
	v_add_f32_e32 v2, v2, v3
	s_waitcnt vmcnt(4) lgkmcnt(1)
	v_mul_f32_e32 v3, v115, v204
	v_mul_f32_e32 v210, v114, v204
	v_fma_f32 v3, v114, v203, -v3
	v_fmac_f32_e32 v210, v115, v203
	v_add_f32_e32 v2, v2, v3
	s_waitcnt vmcnt(3)
	v_mul_f32_e32 v3, v117, v205
	v_add_f32_e32 v209, v209, v210
	v_mul_f32_e32 v210, v116, v205
	s_waitcnt vmcnt(0)
	v_fma_f32 v3, v116, v208, -v3
	v_fmac_f32_e32 v210, v117, v208
	v_add_f32_e32 v2, v2, v3
	s_waitcnt lgkmcnt(0)
	v_mul_f32_e32 v3, v119, v207
	v_add_f32_e32 v209, v209, v210
	v_mul_f32_e32 v210, v118, v207
	v_fma_f32 v3, v118, v206, -v3
	v_fmac_f32_e32 v210, v119, v206
	v_add_f32_e32 v2, v2, v3
	v_add_f32_e32 v209, v209, v210
	v_sub_f32_e32 v2, v7, v2
	v_sub_f32_e32 v3, v8, v209
	buffer_store_dword v2, off, s[0:3], 0 offset:88
	buffer_store_dword v3, off, s[0:3], 0 offset:92
	s_and_saveexec_b64 s[4:5], vcc
	s_cbranch_execz .LBB62_371
; %bb.370:
	buffer_load_dword v2, off, s[0:3], 0 offset:80
	buffer_load_dword v3, off, s[0:3], 0 offset:84
	s_waitcnt vmcnt(0)
	ds_write_b64 v25, v[2:3]
	buffer_store_dword v1, off, s[0:3], 0 offset:80
	buffer_store_dword v1, off, s[0:3], 0 offset:84
.LBB62_371:
	s_or_b64 exec, exec, s[4:5]
	s_waitcnt lgkmcnt(0)
	; wave barrier
	buffer_load_dword v10, off, s[0:3], 0 offset:92
	buffer_load_dword v7, off, s[0:3], 0 offset:100
	;; [unrolled: 1-line block ×40, first 2 shown]
	ds_read2_b64 v[26:29], v1 offset0:75 offset1:76
	ds_read2_b64 v[30:33], v1 offset0:77 offset1:78
	;; [unrolled: 1-line block ×6, first 2 shown]
	buffer_load_dword v147, off, s[0:3], 0 offset:240
	buffer_load_dword v148, off, s[0:3], 0 offset:244
	;; [unrolled: 1-line block ×12, first 2 shown]
	v_cmp_lt_u32_e32 vcc, 9, v0
	s_waitcnt vmcnt(51) lgkmcnt(5)
	v_mul_f32_e32 v50, v26, v10
	s_waitcnt vmcnt(50)
	v_mul_f32_e32 v51, v28, v7
	s_waitcnt vmcnt(49) lgkmcnt(4)
	v_mul_f32_e32 v52, v30, v6
	s_waitcnt vmcnt(48)
	v_mul_f32_e32 v53, v32, v5
	;; [unrolled: 4-line block ×5, first 2 shown]
	s_waitcnt vmcnt(41) lgkmcnt(0)
	v_mul_f32_e32 v60, v46, v14
	s_waitcnt vmcnt(40)
	v_fmac_f32_e32 v52, v31, v21
	s_waitcnt vmcnt(39)
	v_fmac_f32_e32 v51, v29, v24
	;; [unrolled: 2-line block ×3, first 2 shown]
	v_add_f32_e32 v50, 0, v50
	v_add_f32_e32 v50, v50, v51
	;; [unrolled: 1-line block ×3, first 2 shown]
	s_waitcnt vmcnt(34)
	v_fmac_f32_e32 v53, v33, v131
	v_fmac_f32_e32 v54, v35, v23
	v_add_f32_e32 v50, v50, v53
	v_fmac_f32_e32 v55, v37, v20
	v_add_f32_e32 v50, v50, v54
	;; [unrolled: 2-line block ×3, first 2 shown]
	s_waitcnt vmcnt(30)
	v_fmac_f32_e32 v57, v41, v22
	v_add_f32_e32 v50, v50, v56
	v_fmac_f32_e32 v58, v43, v19
	v_add_f32_e32 v50, v50, v57
	v_fmac_f32_e32 v59, v45, v16
	v_add_f32_e32 v50, v50, v58
	v_fmac_f32_e32 v60, v47, v15
	v_add_f32_e32 v50, v50, v59
	v_add_f32_e32 v54, v50, v60
	ds_read2_b64 v[50:53], v1 offset0:87 offset1:88
	s_waitcnt vmcnt(29)
	v_mul_f32_e32 v55, v48, v18
	s_waitcnt vmcnt(25)
	v_fmac_f32_e32 v55, v49, v135
	v_add_f32_e32 v58, v54, v55
	ds_read2_b64 v[54:57], v1 offset0:89 offset1:90
	s_waitcnt vmcnt(24) lgkmcnt(1)
	v_mul_f32_e32 v59, v50, v136
	v_fmac_f32_e32 v59, v51, v134
	v_add_f32_e32 v58, v58, v59
	s_waitcnt vmcnt(23)
	v_mul_f32_e32 v59, v52, v137
	buffer_load_dword v159, off, s[0:3], 0 offset:288
	buffer_load_dword v160, off, s[0:3], 0 offset:292
	v_fmac_f32_e32 v59, v53, v133
	v_add_f32_e32 v58, v58, v59
	s_waitcnt vmcnt(24) lgkmcnt(0)
	v_mul_f32_e32 v59, v54, v138
	buffer_load_dword v161, off, s[0:3], 0 offset:296
	buffer_load_dword v162, off, s[0:3], 0 offset:300
	v_fmac_f32_e32 v59, v55, v132
	v_add_f32_e32 v62, v58, v59
	ds_read2_b64 v[58:61], v1 offset0:91 offset1:92
	buffer_load_dword v163, off, s[0:3], 0 offset:304
	buffer_load_dword v164, off, s[0:3], 0 offset:308
	s_waitcnt vmcnt(27)
	v_mul_f32_e32 v63, v56, v139
	s_waitcnt vmcnt(21)
	v_fmac_f32_e32 v63, v57, v145
	v_add_f32_e32 v66, v62, v63
	ds_read2_b64 v[62:65], v1 offset0:93 offset1:94
	s_waitcnt vmcnt(20) lgkmcnt(1)
	v_mul_f32_e32 v67, v58, v146
	v_fmac_f32_e32 v67, v59, v144
	buffer_load_dword v165, off, s[0:3], 0 offset:312
	buffer_load_dword v166, off, s[0:3], 0 offset:316
	;; [unrolled: 1-line block ×6, first 2 shown]
	v_add_f32_e32 v66, v66, v67
	v_mul_f32_e32 v67, v60, v141
	v_fmac_f32_e32 v67, v61, v140
	v_add_f32_e32 v66, v66, v67
	s_waitcnt lgkmcnt(0)
	v_mul_f32_e32 v67, v62, v143
	v_fmac_f32_e32 v67, v63, v142
	v_add_f32_e32 v70, v66, v67
	ds_read2_b64 v[66:69], v1 offset0:95 offset1:96
	buffer_load_dword v171, off, s[0:3], 0 offset:336
	buffer_load_dword v172, off, s[0:3], 0 offset:340
	s_waitcnt vmcnt(24)
	v_mul_f32_e32 v71, v64, v148
	v_fmac_f32_e32 v71, v65, v147
	v_add_f32_e32 v74, v70, v71
	ds_read2_b64 v[70:73], v1 offset0:97 offset1:98
	buffer_load_dword v173, off, s[0:3], 0 offset:344
	buffer_load_dword v174, off, s[0:3], 0 offset:348
	;; [unrolled: 1-line block ×14, first 2 shown]
	s_waitcnt vmcnt(36) lgkmcnt(1)
	v_mul_f32_e32 v75, v66, v150
	buffer_load_dword v187, off, s[0:3], 0 offset:400
	buffer_load_dword v188, off, s[0:3], 0 offset:404
	v_fmac_f32_e32 v75, v67, v149
	v_add_f32_e32 v74, v74, v75
	s_waitcnt vmcnt(36)
	v_mul_f32_e32 v75, v68, v152
	v_fmac_f32_e32 v75, v69, v151
	v_add_f32_e32 v74, v74, v75
	s_waitcnt vmcnt(34) lgkmcnt(0)
	v_mul_f32_e32 v75, v70, v154
	v_fmac_f32_e32 v75, v71, v153
	v_add_f32_e32 v78, v74, v75
	ds_read2_b64 v[74:77], v1 offset0:99 offset1:100
	buffer_load_dword v189, off, s[0:3], 0 offset:408
	buffer_load_dword v190, off, s[0:3], 0 offset:412
	;; [unrolled: 1-line block ×6, first 2 shown]
	s_waitcnt vmcnt(38)
	v_mul_f32_e32 v79, v72, v156
	v_fmac_f32_e32 v79, v73, v155
	v_add_f32_e32 v82, v78, v79
	ds_read2_b64 v[78:81], v1 offset0:101 offset1:102
	buffer_load_dword v195, off, s[0:3], 0 offset:432
	buffer_load_dword v196, off, s[0:3], 0 offset:436
	v_mul_f32_e32 v10, v27, v10
	v_fma_f32 v10, v26, v130, -v10
	v_mul_f32_e32 v7, v29, v7
	buffer_load_dword v197, off, s[0:3], 0 offset:440
	buffer_load_dword v198, off, s[0:3], 0 offset:444
	buffer_load_dword v199, off, s[0:3], 0 offset:452
	buffer_load_dword v200, off, s[0:3], 0 offset:456
	buffer_load_dword v201, off, s[0:3], 0 offset:460
	buffer_load_dword v202, off, s[0:3], 0 offset:448
	v_add_f32_e32 v10, 0, v10
	v_fma_f32 v7, v28, v24, -v7
	v_mul_f32_e32 v6, v31, v6
	v_add_f32_e32 v7, v10, v7
	v_fma_f32 v6, v30, v21, -v6
	v_mul_f32_e32 v5, v33, v5
	;; [unrolled: 3-line block ×5, first 2 shown]
	buffer_load_dword v203, off, s[0:3], 0 offset:464
	buffer_load_dword v204, off, s[0:3], 0 offset:468
	v_add_f32_e32 v3, v4, v3
	v_fma_f32 v2, v38, v17, -v2
	v_add_f32_e32 v2, v3, v2
	v_mul_f32_e32 v3, v41, v11
	s_waitcnt vmcnt(46) lgkmcnt(1)
	v_mul_f32_e32 v83, v74, v158
	v_fma_f32 v3, v40, v22, -v3
	v_fmac_f32_e32 v83, v75, v157
	v_add_f32_e32 v2, v2, v3
	v_mul_f32_e32 v3, v43, v12
	v_add_f32_e32 v82, v82, v83
	v_fma_f32 v3, v42, v19, -v3
	s_waitcnt vmcnt(44)
	v_mul_f32_e32 v83, v76, v160
	v_fmac_f32_e32 v83, v77, v159
	v_add_f32_e32 v2, v2, v3
	v_mul_f32_e32 v3, v45, v13
	v_add_f32_e32 v82, v82, v83
	s_waitcnt vmcnt(42) lgkmcnt(0)
	v_mul_f32_e32 v83, v78, v162
	buffer_load_dword v205, off, s[0:3], 0 offset:472
	buffer_load_dword v206, off, s[0:3], 0 offset:476
	;; [unrolled: 1-line block ×6, first 2 shown]
	v_fma_f32 v3, v44, v16, -v3
	v_fmac_f32_e32 v83, v79, v161
	s_waitcnt vmcnt(46)
	v_mul_f32_e32 v87, v80, v164
	v_add_f32_e32 v2, v2, v3
	v_mul_f32_e32 v3, v47, v14
	v_add_f32_e32 v86, v82, v83
	v_fmac_f32_e32 v87, v81, v163
	v_fma_f32 v3, v46, v15, -v3
	ds_read2_b64 v[82:85], v1 offset0:103 offset1:104
	v_add_f32_e32 v90, v86, v87
	ds_read2_b64 v[86:89], v1 offset0:105 offset1:106
	buffer_load_dword v211, off, s[0:3], 0 offset:496
	buffer_load_dword v212, off, s[0:3], 0 offset:500
	v_add_f32_e32 v2, v2, v3
	v_mul_f32_e32 v3, v49, v18
	v_fma_f32 v3, v48, v135, -v3
	v_add_f32_e32 v2, v2, v3
	v_mul_f32_e32 v3, v51, v136
	v_fma_f32 v3, v50, v134, -v3
	;; [unrolled: 3-line block ×9, first 2 shown]
	v_add_f32_e32 v2, v2, v3
	v_mul_f32_e32 v3, v67, v150
	s_waitcnt vmcnt(46) lgkmcnt(1)
	v_mul_f32_e32 v91, v82, v166
	v_fma_f32 v3, v66, v149, -v3
	v_fmac_f32_e32 v91, v83, v165
	v_add_f32_e32 v2, v2, v3
	v_mul_f32_e32 v3, v69, v152
	v_add_f32_e32 v90, v90, v91
	s_waitcnt vmcnt(45)
	v_mul_f32_e32 v91, v84, v167
	v_fma_f32 v3, v68, v151, -v3
	s_waitcnt vmcnt(42)
	v_fmac_f32_e32 v91, v85, v170
	v_add_f32_e32 v2, v2, v3
	v_mul_f32_e32 v3, v71, v154
	v_add_f32_e32 v90, v90, v91
	s_waitcnt lgkmcnt(0)
	v_mul_f32_e32 v91, v86, v169
	v_fma_f32 v3, v70, v153, -v3
	v_fmac_f32_e32 v91, v87, v168
	v_add_f32_e32 v2, v2, v3
	v_mul_f32_e32 v3, v73, v156
	v_add_f32_e32 v94, v90, v91
	ds_read2_b64 v[90:93], v1 offset0:107 offset1:108
	v_fma_f32 v3, v72, v155, -v3
	v_add_f32_e32 v2, v2, v3
	v_mul_f32_e32 v3, v75, v158
	s_waitcnt vmcnt(40)
	v_mul_f32_e32 v95, v88, v172
	v_fma_f32 v3, v74, v157, -v3
	v_fmac_f32_e32 v95, v89, v171
	v_add_f32_e32 v2, v2, v3
	v_mul_f32_e32 v3, v77, v160
	v_add_f32_e32 v98, v94, v95
	ds_read2_b64 v[94:97], v1 offset0:109 offset1:110
	v_fma_f32 v3, v76, v159, -v3
	s_waitcnt vmcnt(38) lgkmcnt(1)
	v_mul_f32_e32 v99, v90, v174
	v_add_f32_e32 v2, v2, v3
	v_mul_f32_e32 v3, v79, v162
	v_fmac_f32_e32 v99, v91, v173
	v_fma_f32 v3, v78, v161, -v3
	v_add_f32_e32 v98, v98, v99
	s_waitcnt vmcnt(37)
	v_mul_f32_e32 v99, v92, v175
	v_add_f32_e32 v2, v2, v3
	v_mul_f32_e32 v3, v81, v164
	s_waitcnt vmcnt(34)
	v_fmac_f32_e32 v99, v93, v178
	v_fma_f32 v3, v80, v163, -v3
	v_add_f32_e32 v98, v98, v99
	s_waitcnt lgkmcnt(0)
	v_mul_f32_e32 v99, v94, v177
	v_add_f32_e32 v2, v2, v3
	v_mul_f32_e32 v3, v83, v166
	v_fmac_f32_e32 v99, v95, v176
	v_fma_f32 v3, v82, v165, -v3
	v_add_f32_e32 v102, v98, v99
	ds_read2_b64 v[98:101], v1 offset0:111 offset1:112
	v_add_f32_e32 v2, v2, v3
	v_mul_f32_e32 v3, v85, v167
	v_fma_f32 v3, v84, v170, -v3
	s_waitcnt vmcnt(32)
	v_mul_f32_e32 v103, v96, v180
	v_add_f32_e32 v2, v2, v3
	v_mul_f32_e32 v3, v87, v169
	v_fmac_f32_e32 v103, v97, v179
	v_fma_f32 v3, v86, v168, -v3
	v_add_f32_e32 v106, v102, v103
	ds_read2_b64 v[102:105], v1 offset0:113 offset1:114
	v_add_f32_e32 v2, v2, v3
	v_mul_f32_e32 v3, v89, v172
	s_waitcnt vmcnt(30) lgkmcnt(1)
	v_mul_f32_e32 v107, v98, v182
	v_fma_f32 v3, v88, v171, -v3
	v_fmac_f32_e32 v107, v99, v181
	v_add_f32_e32 v2, v2, v3
	v_mul_f32_e32 v3, v91, v174
	v_add_f32_e32 v106, v106, v107
	s_waitcnt vmcnt(29)
	v_mul_f32_e32 v107, v100, v183
	v_fma_f32 v3, v90, v173, -v3
	s_waitcnt vmcnt(26)
	v_fmac_f32_e32 v107, v101, v186
	v_add_f32_e32 v2, v2, v3
	v_mul_f32_e32 v3, v93, v175
	v_add_f32_e32 v106, v106, v107
	s_waitcnt lgkmcnt(0)
	v_mul_f32_e32 v107, v102, v185
	v_fma_f32 v3, v92, v178, -v3
	v_fmac_f32_e32 v107, v103, v184
	v_add_f32_e32 v2, v2, v3
	v_mul_f32_e32 v3, v95, v177
	v_add_f32_e32 v110, v106, v107
	ds_read2_b64 v[106:109], v1 offset0:115 offset1:116
	v_fma_f32 v3, v94, v176, -v3
	v_add_f32_e32 v2, v2, v3
	v_mul_f32_e32 v3, v97, v180
	s_waitcnt vmcnt(24)
	v_mul_f32_e32 v111, v104, v188
	v_fma_f32 v3, v96, v179, -v3
	v_fmac_f32_e32 v111, v105, v187
	v_add_f32_e32 v2, v2, v3
	v_mul_f32_e32 v3, v99, v182
	v_add_f32_e32 v114, v110, v111
	ds_read2_b64 v[110:113], v1 offset0:117 offset1:118
	v_fma_f32 v3, v98, v181, -v3
	s_waitcnt vmcnt(22) lgkmcnt(1)
	v_mul_f32_e32 v115, v106, v190
	v_add_f32_e32 v2, v2, v3
	v_mul_f32_e32 v3, v101, v183
	v_fmac_f32_e32 v115, v107, v189
	v_fma_f32 v3, v100, v186, -v3
	v_add_f32_e32 v114, v114, v115
	s_waitcnt vmcnt(21)
	v_mul_f32_e32 v115, v108, v191
	v_add_f32_e32 v2, v2, v3
	v_mul_f32_e32 v3, v103, v185
	s_waitcnt vmcnt(18)
	v_fmac_f32_e32 v115, v109, v194
	v_fma_f32 v3, v102, v184, -v3
	v_add_f32_e32 v114, v114, v115
	s_waitcnt lgkmcnt(0)
	v_mul_f32_e32 v115, v110, v193
	v_add_f32_e32 v2, v2, v3
	v_mul_f32_e32 v3, v105, v188
	v_fmac_f32_e32 v115, v111, v192
	v_fma_f32 v3, v104, v187, -v3
	v_add_f32_e32 v118, v114, v115
	ds_read2_b64 v[114:117], v1 offset0:119 offset1:120
	v_add_f32_e32 v2, v2, v3
	v_mul_f32_e32 v3, v107, v190
	v_fma_f32 v3, v106, v189, -v3
	s_waitcnt vmcnt(16)
	v_mul_f32_e32 v119, v112, v196
	v_add_f32_e32 v2, v2, v3
	v_mul_f32_e32 v3, v109, v191
	v_fmac_f32_e32 v119, v113, v195
	v_fma_f32 v3, v108, v194, -v3
	v_add_f32_e32 v122, v118, v119
	ds_read2_b64 v[118:121], v1 offset0:121 offset1:122
	v_add_f32_e32 v2, v2, v3
	v_mul_f32_e32 v3, v111, v193
	s_waitcnt vmcnt(14) lgkmcnt(1)
	v_mul_f32_e32 v123, v114, v198
	v_fma_f32 v3, v110, v192, -v3
	v_fmac_f32_e32 v123, v115, v197
	v_add_f32_e32 v2, v2, v3
	v_mul_f32_e32 v3, v113, v196
	v_add_f32_e32 v122, v122, v123
	s_waitcnt vmcnt(13)
	v_mul_f32_e32 v123, v116, v199
	v_fma_f32 v3, v112, v195, -v3
	s_waitcnt vmcnt(10)
	v_fmac_f32_e32 v123, v117, v202
	v_add_f32_e32 v2, v2, v3
	v_mul_f32_e32 v3, v115, v198
	v_add_f32_e32 v122, v122, v123
	s_waitcnt lgkmcnt(0)
	v_mul_f32_e32 v123, v118, v201
	v_fma_f32 v3, v114, v197, -v3
	v_fmac_f32_e32 v123, v119, v200
	v_add_f32_e32 v2, v2, v3
	v_mul_f32_e32 v3, v117, v199
	v_add_f32_e32 v126, v122, v123
	ds_read2_b64 v[122:125], v1 offset0:123 offset1:124
	v_fma_f32 v3, v116, v202, -v3
	v_add_f32_e32 v2, v2, v3
	v_mul_f32_e32 v3, v119, v201
	s_waitcnt vmcnt(8)
	v_mul_f32_e32 v127, v120, v204
	v_fma_f32 v3, v118, v200, -v3
	v_fmac_f32_e32 v127, v121, v203
	v_add_f32_e32 v2, v2, v3
	v_mul_f32_e32 v3, v121, v204
	v_add_f32_e32 v213, v126, v127
	ds_read2_b64 v[126:129], v1 offset0:125 offset1:126
	v_fma_f32 v3, v120, v203, -v3
	v_add_f32_e32 v2, v2, v3
	s_waitcnt vmcnt(6) lgkmcnt(1)
	v_mul_f32_e32 v3, v123, v206
	v_mul_f32_e32 v1, v122, v206
	v_fma_f32 v3, v122, v205, -v3
	v_fmac_f32_e32 v1, v123, v205
	v_add_f32_e32 v2, v2, v3
	s_waitcnt vmcnt(5)
	v_mul_f32_e32 v3, v125, v207
	v_add_f32_e32 v1, v213, v1
	v_mul_f32_e32 v213, v124, v207
	s_waitcnt vmcnt(2)
	v_fma_f32 v3, v124, v210, -v3
	v_fmac_f32_e32 v213, v125, v210
	v_add_f32_e32 v2, v2, v3
	s_waitcnt lgkmcnt(0)
	v_mul_f32_e32 v3, v127, v209
	v_add_f32_e32 v1, v1, v213
	v_mul_f32_e32 v213, v126, v209
	v_fma_f32 v3, v126, v208, -v3
	v_fmac_f32_e32 v213, v127, v208
	v_add_f32_e32 v2, v2, v3
	s_waitcnt vmcnt(0)
	v_mul_f32_e32 v3, v129, v212
	v_add_f32_e32 v1, v1, v213
	v_mul_f32_e32 v213, v128, v212
	v_fma_f32 v3, v128, v211, -v3
	v_fmac_f32_e32 v213, v129, v211
	v_add_f32_e32 v2, v2, v3
	v_add_f32_e32 v1, v1, v213
	v_sub_f32_e32 v2, v8, v2
	v_sub_f32_e32 v1, v9, v1
	buffer_store_dword v2, off, s[0:3], 0 offset:80
	buffer_store_dword v1, off, s[0:3], 0 offset:84
	s_and_saveexec_b64 s[4:5], vcc
	s_cbranch_execz .LBB62_373
; %bb.372:
	buffer_load_dword v1, off, s[0:3], 0 offset:72
	buffer_load_dword v2, off, s[0:3], 0 offset:76
	v_mov_b32_e32 v3, 0
	buffer_store_dword v3, off, s[0:3], 0 offset:72
	buffer_store_dword v3, off, s[0:3], 0 offset:76
	s_waitcnt vmcnt(2)
	ds_write_b64 v25, v[1:2]
.LBB62_373:
	s_or_b64 exec, exec, s[4:5]
	s_waitcnt lgkmcnt(0)
	; wave barrier
	buffer_load_dword v10, off, s[0:3], 0 offset:84
	buffer_load_dword v9, off, s[0:3], 0 offset:92
	;; [unrolled: 1-line block ×51, first 2 shown]
	v_mov_b32_e32 v1, 0
	ds_read_b128 v[39:42], v1 offset:592
	ds_read_b128 v[43:46], v1 offset:608
	;; [unrolled: 1-line block ×6, first 2 shown]
	v_cmp_lt_u32_e32 vcc, 8, v0
	s_waitcnt vmcnt(50) lgkmcnt(5)
	v_mul_f32_e32 v63, v39, v10
	s_waitcnt vmcnt(49)
	v_mul_f32_e32 v64, v41, v9
	s_waitcnt vmcnt(48) lgkmcnt(4)
	v_mul_f32_e32 v65, v43, v8
	s_waitcnt vmcnt(47)
	v_mul_f32_e32 v66, v45, v7
	;; [unrolled: 4-line block ×5, first 2 shown]
	s_waitcnt vmcnt(40) lgkmcnt(0)
	v_mul_f32_e32 v73, v59, v14
	s_waitcnt vmcnt(39)
	v_fmac_f32_e32 v65, v44, v21
	s_waitcnt vmcnt(38)
	v_fmac_f32_e32 v64, v42, v24
	s_waitcnt vmcnt(37)
	v_fmac_f32_e32 v63, v40, v27
	v_add_f32_e32 v63, 0, v63
	v_add_f32_e32 v63, v63, v64
	;; [unrolled: 1-line block ×3, first 2 shown]
	s_waitcnt vmcnt(33)
	v_fmac_f32_e32 v66, v46, v26
	v_fmac_f32_e32 v67, v48, v23
	v_add_f32_e32 v63, v63, v66
	v_fmac_f32_e32 v68, v50, v20
	v_add_f32_e32 v63, v63, v67
	;; [unrolled: 2-line block ×3, first 2 shown]
	s_waitcnt vmcnt(29)
	v_fmac_f32_e32 v70, v54, v22
	v_add_f32_e32 v63, v63, v69
	v_fmac_f32_e32 v71, v56, v19
	v_add_f32_e32 v63, v63, v70
	;; [unrolled: 2-line block ×4, first 2 shown]
	s_waitcnt vmcnt(28)
	v_mul_f32_e32 v64, v61, v18
	v_add_f32_e32 v63, v63, v73
	s_waitcnt vmcnt(24)
	v_fmac_f32_e32 v64, v62, v34
	v_add_f32_e32 v71, v63, v64
	ds_read_b128 v[63:66], v1 offset:688
	ds_read_b128 v[67:70], v1 offset:704
	buffer_load_dword v160, off, s[0:3], 0 offset:272
	buffer_load_dword v161, off, s[0:3], 0 offset:280
	;; [unrolled: 1-line block ×5, first 2 shown]
	v_mul_f32_e32 v10, v40, v10
	s_waitcnt vmcnt(28) lgkmcnt(1)
	v_mul_f32_e32 v72, v63, v33
	v_fmac_f32_e32 v72, v64, v31
	v_add_f32_e32 v71, v71, v72
	s_waitcnt vmcnt(27)
	v_mul_f32_e32 v72, v65, v32
	v_fmac_f32_e32 v72, v66, v29
	v_add_f32_e32 v71, v71, v72
	s_waitcnt vmcnt(26) lgkmcnt(0)
	v_mul_f32_e32 v72, v67, v30
	v_fmac_f32_e32 v72, v68, v28
	v_add_f32_e32 v75, v71, v72
	ds_read_b128 v[71:74], v1 offset:720
	buffer_load_dword v165, off, s[0:3], 0 offset:296
	buffer_load_dword v166, off, s[0:3], 0 offset:300
	s_waitcnt vmcnt(27)
	v_mul_f32_e32 v76, v69, v35
	s_waitcnt vmcnt(20)
	v_fmac_f32_e32 v76, v70, v148
	v_add_f32_e32 v79, v75, v76
	ds_read_b128 v[75:78], v1 offset:736
	s_waitcnt lgkmcnt(1)
	v_mul_f32_e32 v80, v71, v37
	v_fmac_f32_e32 v80, v72, v36
	v_add_f32_e32 v79, v79, v80
	v_mul_f32_e32 v80, v73, v145
	buffer_load_dword v167, off, s[0:3], 0 offset:304
	buffer_load_dword v168, off, s[0:3], 0 offset:308
	v_fmac_f32_e32 v80, v74, v38
	v_add_f32_e32 v79, v79, v80
	s_waitcnt lgkmcnt(0)
	v_mul_f32_e32 v80, v75, v147
	v_fmac_f32_e32 v80, v76, v146
	v_add_f32_e32 v83, v79, v80
	ds_read_b128 v[79:82], v1 offset:752
	buffer_load_dword v169, off, s[0:3], 0 offset:316
	buffer_load_dword v170, off, s[0:3], 0 offset:320
	;; [unrolled: 1-line block ×4, first 2 shown]
	s_waitcnt vmcnt(22)
	v_mul_f32_e32 v84, v77, v150
	v_fmac_f32_e32 v84, v78, v149
	v_add_f32_e32 v87, v83, v84
	ds_read_b128 v[83:86], v1 offset:768
	buffer_load_dword v173, off, s[0:3], 0 offset:328
	buffer_load_dword v174, off, s[0:3], 0 offset:332
	;; [unrolled: 1-line block ×10, first 2 shown]
	s_waitcnt vmcnt(30) lgkmcnt(1)
	v_mul_f32_e32 v88, v79, v152
	v_fmac_f32_e32 v88, v80, v151
	buffer_load_dword v183, off, s[0:3], 0 offset:368
	buffer_load_dword v184, off, s[0:3], 0 offset:372
	;; [unrolled: 1-line block ×6, first 2 shown]
	v_add_f32_e32 v87, v87, v88
	s_waitcnt vmcnt(34)
	v_mul_f32_e32 v88, v81, v154
	v_fmac_f32_e32 v88, v82, v153
	v_add_f32_e32 v87, v87, v88
	s_waitcnt vmcnt(32) lgkmcnt(0)
	v_mul_f32_e32 v88, v83, v156
	v_fmac_f32_e32 v88, v84, v155
	v_add_f32_e32 v91, v87, v88
	ds_read_b128 v[87:90], v1 offset:784
	buffer_load_dword v189, off, s[0:3], 0 offset:392
	buffer_load_dword v190, off, s[0:3], 0 offset:396
	s_waitcnt vmcnt(32)
	v_mul_f32_e32 v92, v85, v158
	v_fmac_f32_e32 v92, v86, v157
	v_add_f32_e32 v95, v91, v92
	ds_read_b128 v[91:94], v1 offset:800
	buffer_load_dword v191, off, s[0:3], 0 offset:400
	buffer_load_dword v192, off, s[0:3], 0 offset:404
	;; [unrolled: 1-line block ×14, first 2 shown]
	v_fma_f32 v10, v39, v27, -v10
	v_mul_f32_e32 v9, v42, v9
	v_add_f32_e32 v10, 0, v10
	v_fma_f32 v9, v41, v24, -v9
	v_mul_f32_e32 v8, v44, v8
	v_add_f32_e32 v9, v10, v9
	;; [unrolled: 3-line block ×4, first 2 shown]
	v_fma_f32 v6, v47, v23, -v6
	v_mul_f32_e32 v5, v50, v5
	s_waitcnt vmcnt(45) lgkmcnt(1)
	v_mul_f32_e32 v96, v87, v159
	v_add_f32_e32 v6, v7, v6
	v_fma_f32 v5, v49, v20, -v5
	v_mul_f32_e32 v4, v52, v4
	buffer_load_dword v205, off, s[0:3], 0 offset:456
	buffer_load_dword v206, off, s[0:3], 0 offset:460
	v_add_f32_e32 v5, v6, v5
	v_fma_f32 v4, v51, v17, -v4
	v_add_f32_e32 v4, v5, v4
	s_waitcnt vmcnt(46)
	v_fmac_f32_e32 v96, v88, v160
	v_add_f32_e32 v95, v95, v96
	s_waitcnt vmcnt(44)
	v_mul_f32_e32 v96, v89, v162
	v_mul_f32_e32 v5, v54, v11
	v_fmac_f32_e32 v96, v90, v161
	v_fma_f32 v5, v53, v22, -v5
	v_add_f32_e32 v95, v95, v96
	s_waitcnt vmcnt(42) lgkmcnt(0)
	v_mul_f32_e32 v96, v91, v164
	v_add_f32_e32 v4, v4, v5
	v_mul_f32_e32 v5, v56, v12
	v_fmac_f32_e32 v96, v92, v163
	v_fma_f32 v5, v55, v19, -v5
	v_add_f32_e32 v99, v95, v96
	ds_read_b128 v[95:98], v1 offset:816
	buffer_load_dword v207, off, s[0:3], 0 offset:464
	buffer_load_dword v208, off, s[0:3], 0 offset:468
	;; [unrolled: 1-line block ×6, first 2 shown]
	v_add_f32_e32 v4, v4, v5
	v_mul_f32_e32 v5, v58, v13
	v_fma_f32 v5, v57, v16, -v5
	v_add_f32_e32 v4, v4, v5
	v_mul_f32_e32 v5, v60, v14
	s_waitcnt vmcnt(46)
	v_mul_f32_e32 v100, v93, v166
	v_fma_f32 v5, v59, v15, -v5
	v_fmac_f32_e32 v100, v94, v165
	v_add_f32_e32 v4, v4, v5
	v_mul_f32_e32 v5, v62, v18
	v_add_f32_e32 v103, v99, v100
	ds_read_b128 v[99:102], v1 offset:832
	buffer_load_dword v213, off, s[0:3], 0 offset:492
	buffer_load_dword v214, off, s[0:3], 0 offset:496
	;; [unrolled: 1-line block ×4, first 2 shown]
	v_fma_f32 v5, v61, v34, -v5
	v_add_f32_e32 v4, v4, v5
	v_mul_f32_e32 v5, v64, v33
	v_fma_f32 v5, v63, v31, -v5
	v_add_f32_e32 v4, v4, v5
	v_mul_f32_e32 v5, v66, v32
	;; [unrolled: 3-line block ×8, first 2 shown]
	v_fma_f32 v5, v77, v149, -v5
	s_waitcnt vmcnt(48) lgkmcnt(1)
	v_mul_f32_e32 v104, v95, v168
	v_add_f32_e32 v4, v4, v5
	v_mul_f32_e32 v5, v80, v152
	v_fmac_f32_e32 v104, v96, v167
	v_fma_f32 v5, v79, v151, -v5
	v_add_f32_e32 v103, v103, v104
	s_waitcnt vmcnt(47)
	v_mul_f32_e32 v104, v97, v169
	v_add_f32_e32 v4, v4, v5
	v_mul_f32_e32 v5, v82, v154
	s_waitcnt vmcnt(44)
	v_fmac_f32_e32 v104, v98, v172
	v_fma_f32 v5, v81, v153, -v5
	v_add_f32_e32 v103, v103, v104
	s_waitcnt lgkmcnt(0)
	v_mul_f32_e32 v104, v99, v171
	v_add_f32_e32 v4, v4, v5
	v_mul_f32_e32 v5, v84, v156
	v_fmac_f32_e32 v104, v100, v170
	v_fma_f32 v5, v83, v155, -v5
	v_add_f32_e32 v107, v103, v104
	ds_read_b128 v[103:106], v1 offset:848
	v_add_f32_e32 v4, v4, v5
	v_mul_f32_e32 v5, v86, v158
	v_fma_f32 v5, v85, v157, -v5
	s_waitcnt vmcnt(42)
	v_mul_f32_e32 v108, v101, v174
	v_add_f32_e32 v4, v4, v5
	v_mul_f32_e32 v5, v88, v159
	v_fmac_f32_e32 v108, v102, v173
	v_fma_f32 v5, v87, v160, -v5
	v_add_f32_e32 v111, v107, v108
	ds_read_b128 v[107:110], v1 offset:864
	v_add_f32_e32 v4, v4, v5
	v_mul_f32_e32 v5, v90, v162
	s_waitcnt vmcnt(40) lgkmcnt(1)
	v_mul_f32_e32 v112, v103, v176
	v_fma_f32 v5, v89, v161, -v5
	v_fmac_f32_e32 v112, v104, v175
	v_add_f32_e32 v4, v4, v5
	v_mul_f32_e32 v5, v92, v164
	v_add_f32_e32 v111, v111, v112
	s_waitcnt vmcnt(39)
	v_mul_f32_e32 v112, v105, v177
	v_fma_f32 v5, v91, v163, -v5
	s_waitcnt vmcnt(36)
	v_fmac_f32_e32 v112, v106, v180
	v_add_f32_e32 v4, v4, v5
	v_mul_f32_e32 v5, v94, v166
	v_add_f32_e32 v111, v111, v112
	s_waitcnt lgkmcnt(0)
	v_mul_f32_e32 v112, v107, v179
	v_fma_f32 v5, v93, v165, -v5
	v_fmac_f32_e32 v112, v108, v178
	v_add_f32_e32 v4, v4, v5
	v_mul_f32_e32 v5, v96, v168
	v_add_f32_e32 v115, v111, v112
	ds_read_b128 v[111:114], v1 offset:880
	v_fma_f32 v5, v95, v167, -v5
	v_add_f32_e32 v4, v4, v5
	v_mul_f32_e32 v5, v98, v169
	s_waitcnt vmcnt(34)
	v_mul_f32_e32 v116, v109, v182
	v_fma_f32 v5, v97, v172, -v5
	v_fmac_f32_e32 v116, v110, v181
	v_add_f32_e32 v4, v4, v5
	v_mul_f32_e32 v5, v100, v171
	v_add_f32_e32 v119, v115, v116
	ds_read_b128 v[115:118], v1 offset:896
	v_fma_f32 v5, v99, v170, -v5
	s_waitcnt vmcnt(32) lgkmcnt(1)
	v_mul_f32_e32 v120, v111, v184
	v_add_f32_e32 v4, v4, v5
	v_mul_f32_e32 v5, v102, v174
	v_fmac_f32_e32 v120, v112, v183
	v_fma_f32 v5, v101, v173, -v5
	v_add_f32_e32 v119, v119, v120
	s_waitcnt vmcnt(31)
	v_mul_f32_e32 v120, v113, v185
	v_add_f32_e32 v4, v4, v5
	v_mul_f32_e32 v5, v104, v176
	s_waitcnt vmcnt(28)
	v_fmac_f32_e32 v120, v114, v188
	v_fma_f32 v5, v103, v175, -v5
	v_add_f32_e32 v119, v119, v120
	s_waitcnt lgkmcnt(0)
	v_mul_f32_e32 v120, v115, v187
	v_add_f32_e32 v4, v4, v5
	v_mul_f32_e32 v5, v106, v177
	v_fmac_f32_e32 v120, v116, v186
	v_fma_f32 v5, v105, v180, -v5
	v_add_f32_e32 v123, v119, v120
	ds_read_b128 v[119:122], v1 offset:912
	v_add_f32_e32 v4, v4, v5
	v_mul_f32_e32 v5, v108, v179
	v_fma_f32 v5, v107, v178, -v5
	s_waitcnt vmcnt(26)
	v_mul_f32_e32 v124, v117, v190
	v_add_f32_e32 v4, v4, v5
	v_mul_f32_e32 v5, v110, v182
	v_fmac_f32_e32 v124, v118, v189
	v_fma_f32 v5, v109, v181, -v5
	v_add_f32_e32 v127, v123, v124
	ds_read_b128 v[123:126], v1 offset:928
	v_add_f32_e32 v4, v4, v5
	v_mul_f32_e32 v5, v112, v184
	s_waitcnt vmcnt(24) lgkmcnt(1)
	v_mul_f32_e32 v128, v119, v192
	v_fma_f32 v5, v111, v183, -v5
	v_fmac_f32_e32 v128, v120, v191
	v_add_f32_e32 v4, v4, v5
	v_mul_f32_e32 v5, v114, v185
	v_add_f32_e32 v127, v127, v128
	s_waitcnt vmcnt(23)
	v_mul_f32_e32 v128, v121, v193
	v_fma_f32 v5, v113, v188, -v5
	s_waitcnt vmcnt(20)
	v_fmac_f32_e32 v128, v122, v196
	v_add_f32_e32 v4, v4, v5
	v_mul_f32_e32 v5, v116, v187
	v_add_f32_e32 v127, v127, v128
	s_waitcnt lgkmcnt(0)
	v_mul_f32_e32 v128, v123, v195
	v_fma_f32 v5, v115, v186, -v5
	v_fmac_f32_e32 v128, v124, v194
	v_add_f32_e32 v4, v4, v5
	v_mul_f32_e32 v5, v118, v190
	v_add_f32_e32 v131, v127, v128
	ds_read_b128 v[127:130], v1 offset:944
	v_fma_f32 v5, v117, v189, -v5
	v_add_f32_e32 v4, v4, v5
	v_mul_f32_e32 v5, v120, v192
	s_waitcnt vmcnt(18)
	v_mul_f32_e32 v132, v125, v198
	v_fma_f32 v5, v119, v191, -v5
	v_fmac_f32_e32 v132, v126, v197
	v_add_f32_e32 v4, v4, v5
	v_mul_f32_e32 v5, v122, v193
	v_add_f32_e32 v135, v131, v132
	ds_read_b128 v[131:134], v1 offset:960
	v_fma_f32 v5, v121, v196, -v5
	s_waitcnt vmcnt(16) lgkmcnt(1)
	v_mul_f32_e32 v136, v127, v200
	v_add_f32_e32 v4, v4, v5
	v_mul_f32_e32 v5, v124, v195
	v_fmac_f32_e32 v136, v128, v199
	v_fma_f32 v5, v123, v194, -v5
	v_add_f32_e32 v135, v135, v136
	s_waitcnt vmcnt(15)
	v_mul_f32_e32 v136, v129, v201
	v_add_f32_e32 v4, v4, v5
	v_mul_f32_e32 v5, v126, v198
	s_waitcnt vmcnt(12)
	v_fmac_f32_e32 v136, v130, v204
	v_fma_f32 v5, v125, v197, -v5
	v_add_f32_e32 v135, v135, v136
	s_waitcnt lgkmcnt(0)
	v_mul_f32_e32 v136, v131, v203
	v_add_f32_e32 v4, v4, v5
	v_mul_f32_e32 v5, v128, v200
	v_fmac_f32_e32 v136, v132, v202
	v_fma_f32 v5, v127, v199, -v5
	v_add_f32_e32 v139, v135, v136
	ds_read_b128 v[135:138], v1 offset:976
	v_add_f32_e32 v4, v4, v5
	v_mul_f32_e32 v5, v130, v201
	v_fma_f32 v5, v129, v204, -v5
	v_add_f32_e32 v4, v4, v5
	v_mul_f32_e32 v5, v132, v203
	s_waitcnt vmcnt(10)
	v_mul_f32_e32 v140, v133, v206
	v_fma_f32 v5, v131, v202, -v5
	v_fmac_f32_e32 v140, v134, v205
	v_add_f32_e32 v4, v4, v5
	v_mul_f32_e32 v5, v134, v206
	v_add_f32_e32 v143, v139, v140
	ds_read_b128 v[139:142], v1 offset:992
	s_waitcnt vmcnt(8) lgkmcnt(1)
	v_mul_f32_e32 v144, v135, v208
	v_fma_f32 v5, v133, v205, -v5
	v_fmac_f32_e32 v144, v136, v207
	v_add_f32_e32 v4, v4, v5
	v_mul_f32_e32 v5, v136, v208
	v_add_f32_e32 v143, v143, v144
	s_waitcnt vmcnt(7)
	v_mul_f32_e32 v144, v137, v209
	v_fma_f32 v5, v135, v207, -v5
	s_waitcnt vmcnt(4)
	v_fmac_f32_e32 v144, v138, v212
	v_add_f32_e32 v4, v4, v5
	v_mul_f32_e32 v5, v138, v209
	v_add_f32_e32 v217, v143, v144
	ds_read_b64 v[143:144], v1 offset:1008
	v_fma_f32 v5, v137, v212, -v5
	v_add_f32_e32 v4, v4, v5
	s_waitcnt lgkmcnt(1)
	v_mul_f32_e32 v5, v140, v211
	v_mul_f32_e32 v218, v139, v211
	v_fma_f32 v5, v139, v210, -v5
	v_fmac_f32_e32 v218, v140, v210
	v_add_f32_e32 v4, v4, v5
	s_waitcnt vmcnt(3)
	v_mul_f32_e32 v5, v142, v213
	v_add_f32_e32 v217, v217, v218
	v_mul_f32_e32 v218, v141, v213
	s_waitcnt vmcnt(0)
	v_fma_f32 v5, v141, v216, -v5
	v_fmac_f32_e32 v218, v142, v216
	v_add_f32_e32 v4, v4, v5
	s_waitcnt lgkmcnt(0)
	v_mul_f32_e32 v5, v144, v215
	v_add_f32_e32 v217, v217, v218
	v_mul_f32_e32 v218, v143, v215
	v_fma_f32 v5, v143, v214, -v5
	v_fmac_f32_e32 v218, v144, v214
	v_add_f32_e32 v4, v4, v5
	v_add_f32_e32 v217, v217, v218
	v_sub_f32_e32 v2, v2, v4
	v_sub_f32_e32 v3, v3, v217
	buffer_store_dword v2, off, s[0:3], 0 offset:72
	buffer_store_dword v3, off, s[0:3], 0 offset:76
	s_and_saveexec_b64 s[4:5], vcc
	s_cbranch_execz .LBB62_375
; %bb.374:
	buffer_load_dword v2, off, s[0:3], 0 offset:64
	buffer_load_dword v3, off, s[0:3], 0 offset:68
	s_waitcnt vmcnt(0)
	ds_write_b64 v25, v[2:3]
	buffer_store_dword v1, off, s[0:3], 0 offset:64
	buffer_store_dword v1, off, s[0:3], 0 offset:68
.LBB62_375:
	s_or_b64 exec, exec, s[4:5]
	s_waitcnt lgkmcnt(0)
	; wave barrier
	buffer_load_dword v10, off, s[0:3], 0 offset:76
	buffer_load_dword v9, off, s[0:3], 0 offset:84
	;; [unrolled: 1-line block ×40, first 2 shown]
	ds_read2_b64 v[36:39], v1 offset0:73 offset1:74
	ds_read2_b64 v[40:43], v1 offset0:75 offset1:76
	;; [unrolled: 1-line block ×6, first 2 shown]
	buffer_load_dword v151, off, s[0:3], 0 offset:224
	buffer_load_dword v152, off, s[0:3], 0 offset:228
	;; [unrolled: 1-line block ×12, first 2 shown]
	v_cmp_lt_u32_e32 vcc, 7, v0
	s_waitcnt vmcnt(51) lgkmcnt(5)
	v_mul_f32_e32 v60, v36, v10
	s_waitcnt vmcnt(50)
	v_mul_f32_e32 v61, v38, v9
	s_waitcnt vmcnt(49) lgkmcnt(4)
	v_mul_f32_e32 v62, v40, v8
	s_waitcnt vmcnt(48)
	v_mul_f32_e32 v63, v42, v7
	;; [unrolled: 4-line block ×5, first 2 shown]
	s_waitcnt vmcnt(41) lgkmcnt(0)
	v_mul_f32_e32 v70, v56, v14
	s_waitcnt vmcnt(40)
	v_fmac_f32_e32 v62, v41, v21
	s_waitcnt vmcnt(39)
	v_fmac_f32_e32 v61, v39, v24
	;; [unrolled: 2-line block ×3, first 2 shown]
	v_add_f32_e32 v60, 0, v60
	v_add_f32_e32 v60, v60, v61
	;; [unrolled: 1-line block ×3, first 2 shown]
	s_waitcnt vmcnt(34)
	v_fmac_f32_e32 v63, v43, v26
	v_fmac_f32_e32 v64, v45, v23
	v_add_f32_e32 v60, v60, v63
	v_fmac_f32_e32 v65, v47, v20
	v_add_f32_e32 v60, v60, v64
	;; [unrolled: 2-line block ×3, first 2 shown]
	s_waitcnt vmcnt(30)
	v_fmac_f32_e32 v67, v51, v22
	v_add_f32_e32 v60, v60, v66
	v_fmac_f32_e32 v68, v53, v19
	v_add_f32_e32 v60, v60, v67
	;; [unrolled: 2-line block ×4, first 2 shown]
	s_waitcnt vmcnt(29)
	v_mul_f32_e32 v65, v58, v18
	v_add_f32_e32 v64, v60, v70
	s_waitcnt vmcnt(25)
	v_fmac_f32_e32 v65, v59, v34
	ds_read2_b64 v[60:63], v1 offset0:85 offset1:86
	v_add_f32_e32 v68, v64, v65
	ds_read2_b64 v[64:67], v1 offset0:87 offset1:88
	buffer_load_dword v163, off, s[0:3], 0 offset:276
	buffer_load_dword v164, off, s[0:3], 0 offset:272
	;; [unrolled: 1-line block ×6, first 2 shown]
	s_waitcnt vmcnt(30) lgkmcnt(1)
	v_mul_f32_e32 v69, v60, v33
	v_fmac_f32_e32 v69, v61, v31
	v_add_f32_e32 v68, v68, v69
	s_waitcnt vmcnt(29)
	v_mul_f32_e32 v69, v62, v32
	v_fmac_f32_e32 v69, v63, v29
	v_add_f32_e32 v68, v68, v69
	s_waitcnt vmcnt(28) lgkmcnt(0)
	v_mul_f32_e32 v69, v64, v30
	v_fmac_f32_e32 v69, v65, v28
	v_add_f32_e32 v72, v68, v69
	ds_read2_b64 v[68:71], v1 offset0:89 offset1:90
	s_waitcnt vmcnt(27)
	v_mul_f32_e32 v73, v66, v35
	s_waitcnt vmcnt(21)
	v_fmac_f32_e32 v73, v67, v149
	v_add_f32_e32 v76, v72, v73
	ds_read2_b64 v[72:75], v1 offset0:91 offset1:92
	s_waitcnt vmcnt(20) lgkmcnt(1)
	v_mul_f32_e32 v77, v68, v150
	v_fmac_f32_e32 v77, v69, v148
	buffer_load_dword v169, off, s[0:3], 0 offset:300
	v_add_f32_e32 v76, v76, v77
	v_mul_f32_e32 v77, v70, v145
	v_fmac_f32_e32 v77, v71, v144
	v_add_f32_e32 v76, v76, v77
	s_waitcnt lgkmcnt(0)
	v_mul_f32_e32 v77, v72, v147
	buffer_load_dword v170, off, s[0:3], 0 offset:296
	buffer_load_dword v171, off, s[0:3], 0 offset:304
	;; [unrolled: 1-line block ×3, first 2 shown]
	v_fmac_f32_e32 v77, v73, v146
	v_add_f32_e32 v80, v76, v77
	ds_read2_b64 v[76:79], v1 offset0:93 offset1:94
	buffer_load_dword v173, off, s[0:3], 0 offset:312
	buffer_load_dword v174, off, s[0:3], 0 offset:316
	s_waitcnt vmcnt(22)
	v_mul_f32_e32 v81, v74, v152
	v_fmac_f32_e32 v81, v75, v151
	v_add_f32_e32 v84, v80, v81
	ds_read2_b64 v[80:83], v1 offset0:95 offset1:96
	buffer_load_dword v175, off, s[0:3], 0 offset:320
	buffer_load_dword v176, off, s[0:3], 0 offset:324
	;; [unrolled: 1-line block ×8, first 2 shown]
	s_waitcnt vmcnt(28) lgkmcnt(1)
	v_mul_f32_e32 v85, v76, v154
	buffer_load_dword v183, off, s[0:3], 0 offset:352
	buffer_load_dword v184, off, s[0:3], 0 offset:356
	v_fmac_f32_e32 v85, v77, v153
	v_add_f32_e32 v84, v84, v85
	s_waitcnt vmcnt(28)
	v_mul_f32_e32 v85, v78, v156
	v_fmac_f32_e32 v85, v79, v155
	v_add_f32_e32 v84, v84, v85
	s_waitcnt vmcnt(26) lgkmcnt(0)
	v_mul_f32_e32 v85, v80, v158
	v_fmac_f32_e32 v85, v81, v157
	v_add_f32_e32 v88, v84, v85
	ds_read2_b64 v[84:87], v1 offset0:97 offset1:98
	buffer_load_dword v185, off, s[0:3], 0 offset:360
	buffer_load_dword v186, off, s[0:3], 0 offset:364
	;; [unrolled: 1-line block ×6, first 2 shown]
	s_waitcnt vmcnt(30)
	v_mul_f32_e32 v89, v82, v160
	v_fmac_f32_e32 v89, v83, v159
	v_add_f32_e32 v92, v88, v89
	ds_read2_b64 v[88:91], v1 offset0:99 offset1:100
	buffer_load_dword v191, off, s[0:3], 0 offset:384
	buffer_load_dword v192, off, s[0:3], 0 offset:388
	;; [unrolled: 1-line block ×10, first 2 shown]
	v_mul_f32_e32 v10, v37, v10
	s_waitcnt vmcnt(38) lgkmcnt(1)
	v_mul_f32_e32 v93, v84, v162
	buffer_load_dword v201, off, s[0:3], 0 offset:424
	buffer_load_dword v202, off, s[0:3], 0 offset:428
	;; [unrolled: 1-line block ×6, first 2 shown]
	v_fma_f32 v10, v36, v27, -v10
	v_mul_f32_e32 v9, v39, v9
	v_fmac_f32_e32 v93, v85, v161
	v_add_f32_e32 v10, 0, v10
	v_fma_f32 v9, v38, v24, -v9
	v_mul_f32_e32 v8, v41, v8
	v_add_f32_e32 v92, v92, v93
	v_add_f32_e32 v9, v10, v9
	v_fma_f32 v8, v40, v21, -v8
	v_mul_f32_e32 v7, v43, v7
	v_add_f32_e32 v8, v9, v8
	v_fma_f32 v7, v42, v26, -v7
	v_mul_f32_e32 v6, v45, v6
	;; [unrolled: 3-line block ×4, first 2 shown]
	v_add_f32_e32 v3, v6, v3
	s_waitcnt vmcnt(43)
	v_mul_f32_e32 v93, v86, v163
	s_waitcnt vmcnt(42)
	v_fmac_f32_e32 v93, v87, v164
	v_add_f32_e32 v92, v92, v93
	s_waitcnt vmcnt(40) lgkmcnt(0)
	v_mul_f32_e32 v93, v88, v166
	v_fmac_f32_e32 v93, v89, v165
	v_add_f32_e32 v96, v92, v93
	ds_read2_b64 v[92:95], v1 offset0:101 offset1:102
	buffer_load_dword v207, off, s[0:3], 0 offset:448
	buffer_load_dword v208, off, s[0:3], 0 offset:452
	v_fma_f32 v2, v48, v17, -v2
	v_add_f32_e32 v2, v3, v2
	v_mul_f32_e32 v3, v51, v11
	v_fma_f32 v3, v50, v22, -v3
	s_waitcnt vmcnt(40)
	v_mul_f32_e32 v97, v90, v168
	v_add_f32_e32 v2, v2, v3
	v_mul_f32_e32 v3, v53, v12
	v_fmac_f32_e32 v97, v91, v167
	v_fma_f32 v3, v52, v19, -v3
	v_add_f32_e32 v100, v96, v97
	ds_read2_b64 v[96:99], v1 offset0:103 offset1:104
	buffer_load_dword v209, off, s[0:3], 0 offset:456
	buffer_load_dword v210, off, s[0:3], 0 offset:460
	;; [unrolled: 1-line block ×6, first 2 shown]
	v_add_f32_e32 v2, v2, v3
	v_mul_f32_e32 v3, v55, v13
	v_fma_f32 v3, v54, v16, -v3
	v_add_f32_e32 v2, v2, v3
	v_mul_f32_e32 v3, v57, v14
	v_fma_f32 v3, v56, v15, -v3
	;; [unrolled: 3-line block ×3, first 2 shown]
	v_add_f32_e32 v2, v2, v3
	v_mul_f32_e32 v3, v61, v33
	buffer_load_dword v215, off, s[0:3], 0 offset:480
	buffer_load_dword v216, off, s[0:3], 0 offset:484
	;; [unrolled: 1-line block ×6, first 2 shown]
	v_fma_f32 v3, v60, v31, -v3
	v_add_f32_e32 v2, v2, v3
	v_mul_f32_e32 v3, v63, v32
	v_fma_f32 v3, v62, v29, -v3
	v_add_f32_e32 v2, v2, v3
	v_mul_f32_e32 v3, v65, v30
	;; [unrolled: 3-line block ×7, first 2 shown]
	v_fma_f32 v3, v74, v151, -v3
	s_waitcnt vmcnt(51) lgkmcnt(1)
	v_mul_f32_e32 v101, v92, v169
	v_add_f32_e32 v2, v2, v3
	v_mul_f32_e32 v3, v77, v154
	s_waitcnt vmcnt(50)
	v_fmac_f32_e32 v101, v93, v170
	v_fma_f32 v3, v76, v153, -v3
	v_add_f32_e32 v100, v100, v101
	s_waitcnt vmcnt(48)
	v_mul_f32_e32 v101, v94, v172
	v_add_f32_e32 v2, v2, v3
	v_mul_f32_e32 v3, v79, v156
	v_fmac_f32_e32 v101, v95, v171
	v_fma_f32 v3, v78, v155, -v3
	v_add_f32_e32 v100, v100, v101
	s_waitcnt vmcnt(46) lgkmcnt(0)
	v_mul_f32_e32 v101, v96, v174
	v_add_f32_e32 v2, v2, v3
	v_mul_f32_e32 v3, v81, v158
	v_fmac_f32_e32 v101, v97, v173
	v_fma_f32 v3, v80, v157, -v3
	v_add_f32_e32 v104, v100, v101
	ds_read2_b64 v[100:103], v1 offset0:105 offset1:106
	v_add_f32_e32 v2, v2, v3
	v_mul_f32_e32 v3, v83, v160
	v_fma_f32 v3, v82, v159, -v3
	s_waitcnt vmcnt(44)
	v_mul_f32_e32 v105, v98, v176
	v_add_f32_e32 v2, v2, v3
	v_mul_f32_e32 v3, v85, v162
	v_fmac_f32_e32 v105, v99, v175
	v_fma_f32 v3, v84, v161, -v3
	v_add_f32_e32 v108, v104, v105
	ds_read2_b64 v[104:107], v1 offset0:107 offset1:108
	v_add_f32_e32 v2, v2, v3
	v_mul_f32_e32 v3, v87, v163
	s_waitcnt vmcnt(42) lgkmcnt(1)
	v_mul_f32_e32 v109, v100, v178
	v_fma_f32 v3, v86, v164, -v3
	v_fmac_f32_e32 v109, v101, v177
	v_add_f32_e32 v2, v2, v3
	v_mul_f32_e32 v3, v89, v166
	v_add_f32_e32 v108, v108, v109
	s_waitcnt vmcnt(41)
	v_mul_f32_e32 v109, v102, v179
	v_fma_f32 v3, v88, v165, -v3
	s_waitcnt vmcnt(38)
	v_fmac_f32_e32 v109, v103, v182
	v_add_f32_e32 v2, v2, v3
	v_mul_f32_e32 v3, v91, v168
	v_add_f32_e32 v108, v108, v109
	s_waitcnt lgkmcnt(0)
	v_mul_f32_e32 v109, v104, v181
	v_fma_f32 v3, v90, v167, -v3
	v_fmac_f32_e32 v109, v105, v180
	v_add_f32_e32 v2, v2, v3
	v_mul_f32_e32 v3, v93, v169
	v_add_f32_e32 v112, v108, v109
	ds_read2_b64 v[108:111], v1 offset0:109 offset1:110
	v_fma_f32 v3, v92, v170, -v3
	v_add_f32_e32 v2, v2, v3
	v_mul_f32_e32 v3, v95, v172
	s_waitcnt vmcnt(36)
	v_mul_f32_e32 v113, v106, v184
	v_fma_f32 v3, v94, v171, -v3
	v_fmac_f32_e32 v113, v107, v183
	v_add_f32_e32 v2, v2, v3
	v_mul_f32_e32 v3, v97, v174
	v_add_f32_e32 v116, v112, v113
	ds_read2_b64 v[112:115], v1 offset0:111 offset1:112
	v_fma_f32 v3, v96, v173, -v3
	s_waitcnt vmcnt(34) lgkmcnt(1)
	v_mul_f32_e32 v117, v108, v186
	v_add_f32_e32 v2, v2, v3
	v_mul_f32_e32 v3, v99, v176
	v_fmac_f32_e32 v117, v109, v185
	v_fma_f32 v3, v98, v175, -v3
	v_add_f32_e32 v116, v116, v117
	s_waitcnt vmcnt(33)
	v_mul_f32_e32 v117, v110, v187
	v_add_f32_e32 v2, v2, v3
	v_mul_f32_e32 v3, v101, v178
	s_waitcnt vmcnt(30)
	v_fmac_f32_e32 v117, v111, v190
	v_fma_f32 v3, v100, v177, -v3
	v_add_f32_e32 v116, v116, v117
	s_waitcnt lgkmcnt(0)
	v_mul_f32_e32 v117, v112, v189
	v_add_f32_e32 v2, v2, v3
	v_mul_f32_e32 v3, v103, v179
	v_fmac_f32_e32 v117, v113, v188
	v_fma_f32 v3, v102, v182, -v3
	v_add_f32_e32 v120, v116, v117
	ds_read2_b64 v[116:119], v1 offset0:113 offset1:114
	v_add_f32_e32 v2, v2, v3
	v_mul_f32_e32 v3, v105, v181
	v_fma_f32 v3, v104, v180, -v3
	s_waitcnt vmcnt(28)
	v_mul_f32_e32 v121, v114, v192
	v_add_f32_e32 v2, v2, v3
	v_mul_f32_e32 v3, v107, v184
	v_fmac_f32_e32 v121, v115, v191
	v_fma_f32 v3, v106, v183, -v3
	v_add_f32_e32 v124, v120, v121
	ds_read2_b64 v[120:123], v1 offset0:115 offset1:116
	v_add_f32_e32 v2, v2, v3
	v_mul_f32_e32 v3, v109, v186
	s_waitcnt vmcnt(26) lgkmcnt(1)
	v_mul_f32_e32 v125, v116, v194
	v_fma_f32 v3, v108, v185, -v3
	v_fmac_f32_e32 v125, v117, v193
	v_add_f32_e32 v2, v2, v3
	v_mul_f32_e32 v3, v111, v187
	v_add_f32_e32 v124, v124, v125
	s_waitcnt vmcnt(25)
	v_mul_f32_e32 v125, v118, v195
	v_fma_f32 v3, v110, v190, -v3
	s_waitcnt vmcnt(22)
	v_fmac_f32_e32 v125, v119, v198
	v_add_f32_e32 v2, v2, v3
	v_mul_f32_e32 v3, v113, v189
	v_add_f32_e32 v124, v124, v125
	s_waitcnt lgkmcnt(0)
	v_mul_f32_e32 v125, v120, v197
	v_fma_f32 v3, v112, v188, -v3
	v_fmac_f32_e32 v125, v121, v196
	v_add_f32_e32 v2, v2, v3
	v_mul_f32_e32 v3, v115, v192
	v_add_f32_e32 v128, v124, v125
	ds_read2_b64 v[124:127], v1 offset0:117 offset1:118
	v_fma_f32 v3, v114, v191, -v3
	v_add_f32_e32 v2, v2, v3
	v_mul_f32_e32 v3, v117, v194
	s_waitcnt vmcnt(20)
	v_mul_f32_e32 v129, v122, v200
	v_fma_f32 v3, v116, v193, -v3
	v_fmac_f32_e32 v129, v123, v199
	v_add_f32_e32 v2, v2, v3
	v_mul_f32_e32 v3, v119, v195
	v_add_f32_e32 v132, v128, v129
	ds_read2_b64 v[128:131], v1 offset0:119 offset1:120
	v_fma_f32 v3, v118, v198, -v3
	s_waitcnt vmcnt(18) lgkmcnt(1)
	v_mul_f32_e32 v133, v124, v202
	v_add_f32_e32 v2, v2, v3
	v_mul_f32_e32 v3, v121, v197
	v_fmac_f32_e32 v133, v125, v201
	v_fma_f32 v3, v120, v196, -v3
	v_add_f32_e32 v132, v132, v133
	s_waitcnt vmcnt(17)
	v_mul_f32_e32 v133, v126, v203
	v_add_f32_e32 v2, v2, v3
	v_mul_f32_e32 v3, v123, v200
	s_waitcnt vmcnt(14)
	v_fmac_f32_e32 v133, v127, v206
	v_fma_f32 v3, v122, v199, -v3
	v_add_f32_e32 v132, v132, v133
	s_waitcnt lgkmcnt(0)
	v_mul_f32_e32 v133, v128, v205
	v_add_f32_e32 v2, v2, v3
	v_mul_f32_e32 v3, v125, v202
	v_fmac_f32_e32 v133, v129, v204
	v_fma_f32 v3, v124, v201, -v3
	v_add_f32_e32 v136, v132, v133
	ds_read2_b64 v[132:135], v1 offset0:121 offset1:122
	v_add_f32_e32 v2, v2, v3
	v_mul_f32_e32 v3, v127, v203
	v_fma_f32 v3, v126, v206, -v3
	v_add_f32_e32 v2, v2, v3
	v_mul_f32_e32 v3, v129, v205
	s_waitcnt vmcnt(12)
	v_mul_f32_e32 v137, v130, v208
	v_fma_f32 v3, v128, v204, -v3
	v_fmac_f32_e32 v137, v131, v207
	v_add_f32_e32 v2, v2, v3
	v_mul_f32_e32 v3, v131, v208
	v_add_f32_e32 v140, v136, v137
	ds_read2_b64 v[136:139], v1 offset0:123 offset1:124
	s_waitcnt vmcnt(10) lgkmcnt(1)
	v_mul_f32_e32 v141, v132, v210
	v_fma_f32 v3, v130, v207, -v3
	v_fmac_f32_e32 v141, v133, v209
	v_add_f32_e32 v2, v2, v3
	v_mul_f32_e32 v3, v133, v210
	v_add_f32_e32 v140, v140, v141
	s_waitcnt vmcnt(9)
	v_mul_f32_e32 v141, v134, v211
	v_fma_f32 v3, v132, v209, -v3
	s_waitcnt vmcnt(6)
	v_fmac_f32_e32 v141, v135, v214
	v_add_f32_e32 v2, v2, v3
	v_mul_f32_e32 v3, v135, v211
	v_add_f32_e32 v221, v140, v141
	ds_read2_b64 v[140:143], v1 offset0:125 offset1:126
	v_fma_f32 v3, v134, v214, -v3
	v_add_f32_e32 v2, v2, v3
	s_waitcnt lgkmcnt(1)
	v_mul_f32_e32 v3, v137, v213
	v_mul_f32_e32 v222, v136, v213
	v_fma_f32 v3, v136, v212, -v3
	v_fmac_f32_e32 v222, v137, v212
	v_add_f32_e32 v2, v2, v3
	s_waitcnt vmcnt(4)
	v_mul_f32_e32 v3, v139, v216
	v_add_f32_e32 v1, v221, v222
	v_mul_f32_e32 v221, v138, v216
	v_fma_f32 v3, v138, v215, -v3
	v_fmac_f32_e32 v221, v139, v215
	v_add_f32_e32 v2, v2, v3
	s_waitcnt vmcnt(3) lgkmcnt(0)
	v_mul_f32_e32 v3, v141, v217
	v_add_f32_e32 v1, v1, v221
	v_mul_f32_e32 v221, v140, v217
	s_waitcnt vmcnt(0)
	v_fma_f32 v3, v140, v220, -v3
	v_fmac_f32_e32 v221, v141, v220
	v_add_f32_e32 v2, v2, v3
	v_mul_f32_e32 v3, v143, v219
	v_add_f32_e32 v1, v1, v221
	v_mul_f32_e32 v221, v142, v219
	v_fma_f32 v3, v142, v218, -v3
	v_fmac_f32_e32 v221, v143, v218
	v_add_f32_e32 v2, v2, v3
	v_add_f32_e32 v1, v1, v221
	v_sub_f32_e32 v2, v4, v2
	v_sub_f32_e32 v1, v5, v1
	buffer_store_dword v2, off, s[0:3], 0 offset:64
	buffer_store_dword v1, off, s[0:3], 0 offset:68
	s_and_saveexec_b64 s[4:5], vcc
	s_cbranch_execz .LBB62_377
; %bb.376:
	buffer_load_dword v1, off, s[0:3], 0 offset:56
	buffer_load_dword v2, off, s[0:3], 0 offset:60
	v_mov_b32_e32 v3, 0
	buffer_store_dword v3, off, s[0:3], 0 offset:56
	buffer_store_dword v3, off, s[0:3], 0 offset:60
	s_waitcnt vmcnt(2)
	ds_write_b64 v25, v[1:2]
.LBB62_377:
	s_or_b64 exec, exec, s[4:5]
	s_waitcnt lgkmcnt(0)
	; wave barrier
	buffer_load_dword v10, off, s[0:3], 0 offset:68
	buffer_load_dword v9, off, s[0:3], 0 offset:76
	;; [unrolled: 1-line block ×52, first 2 shown]
	v_mov_b32_e32 v1, 0
	ds_read_b128 v[42:45], v1 offset:576
	ds_read_b128 v[46:49], v1 offset:592
	;; [unrolled: 1-line block ×6, first 2 shown]
	buffer_load_dword v165, off, s[0:3], 0 offset:264
	buffer_load_dword v166, off, s[0:3], 0 offset:268
	v_cmp_lt_u32_e32 vcc, 6, v0
	s_waitcnt vmcnt(53) lgkmcnt(5)
	v_mul_f32_e32 v66, v42, v10
	s_waitcnt vmcnt(52)
	v_mul_f32_e32 v67, v44, v9
	s_waitcnt vmcnt(51) lgkmcnt(4)
	v_mul_f32_e32 v68, v46, v8
	s_waitcnt vmcnt(50)
	v_mul_f32_e32 v69, v48, v7
	;; [unrolled: 4-line block ×5, first 2 shown]
	s_waitcnt vmcnt(43) lgkmcnt(0)
	v_mul_f32_e32 v76, v62, v14
	s_waitcnt vmcnt(42)
	v_fmac_f32_e32 v68, v47, v21
	s_waitcnt vmcnt(41)
	v_fmac_f32_e32 v67, v45, v24
	;; [unrolled: 2-line block ×3, first 2 shown]
	v_add_f32_e32 v66, 0, v66
	v_add_f32_e32 v66, v66, v67
	v_add_f32_e32 v66, v66, v68
	s_waitcnt vmcnt(36)
	v_fmac_f32_e32 v69, v49, v26
	v_fmac_f32_e32 v70, v51, v23
	v_add_f32_e32 v66, v66, v69
	v_fmac_f32_e32 v71, v53, v20
	v_add_f32_e32 v66, v66, v70
	;; [unrolled: 2-line block ×3, first 2 shown]
	s_waitcnt vmcnt(32)
	v_fmac_f32_e32 v73, v57, v22
	v_add_f32_e32 v66, v66, v72
	v_fmac_f32_e32 v74, v59, v19
	v_add_f32_e32 v66, v66, v73
	;; [unrolled: 2-line block ×3, first 2 shown]
	v_add_f32_e32 v66, v66, v75
	v_fmac_f32_e32 v76, v63, v15
	v_add_f32_e32 v70, v66, v76
	ds_read_b128 v[66:69], v1 offset:672
	buffer_load_dword v167, off, s[0:3], 0 offset:272
	buffer_load_dword v168, off, s[0:3], 0 offset:276
	s_waitcnt vmcnt(33)
	v_mul_f32_e32 v71, v64, v18
	s_waitcnt vmcnt(28)
	v_fmac_f32_e32 v71, v65, v35
	v_add_f32_e32 v74, v70, v71
	ds_read_b128 v[70:73], v1 offset:688
	buffer_load_dword v169, off, s[0:3], 0 offset:280
	buffer_load_dword v170, off, s[0:3], 0 offset:284
	s_waitcnt vmcnt(29) lgkmcnt(1)
	v_mul_f32_e32 v75, v66, v33
	v_fmac_f32_e32 v75, v67, v31
	v_add_f32_e32 v74, v74, v75
	s_waitcnt vmcnt(28)
	v_mul_f32_e32 v75, v68, v32
	v_fmac_f32_e32 v75, v69, v30
	v_add_f32_e32 v74, v74, v75
	s_waitcnt lgkmcnt(0)
	v_mul_f32_e32 v75, v70, v29
	v_fmac_f32_e32 v75, v71, v28
	v_add_f32_e32 v78, v74, v75
	ds_read_b128 v[74:77], v1 offset:704
	s_waitcnt vmcnt(27)
	v_mul_f32_e32 v79, v72, v34
	s_waitcnt vmcnt(20)
	v_fmac_f32_e32 v79, v73, v152
	v_add_f32_e32 v82, v78, v79
	buffer_load_dword v171, off, s[0:3], 0 offset:288
	buffer_load_dword v172, off, s[0:3], 0 offset:292
	ds_read_b128 v[78:81], v1 offset:720
	s_waitcnt lgkmcnt(1)
	v_mul_f32_e32 v83, v74, v37
	v_fmac_f32_e32 v83, v75, v36
	v_add_f32_e32 v82, v82, v83
	v_mul_f32_e32 v83, v76, v39
	v_fmac_f32_e32 v83, v77, v38
	buffer_load_dword v173, off, s[0:3], 0 offset:300
	buffer_load_dword v174, off, s[0:3], 0 offset:296
	;; [unrolled: 1-line block ×4, first 2 shown]
	v_add_f32_e32 v82, v82, v83
	s_waitcnt lgkmcnt(0)
	v_mul_f32_e32 v83, v78, v41
	v_fmac_f32_e32 v83, v79, v40
	s_waitcnt vmcnt(22)
	v_mul_f32_e32 v87, v80, v154
	v_add_f32_e32 v86, v82, v83
	v_fmac_f32_e32 v87, v81, v153
	ds_read_b128 v[82:85], v1 offset:736
	v_add_f32_e32 v90, v86, v87
	ds_read_b128 v[86:89], v1 offset:752
	buffer_load_dword v177, off, s[0:3], 0 offset:312
	buffer_load_dword v178, off, s[0:3], 0 offset:316
	;; [unrolled: 1-line block ×8, first 2 shown]
	s_waitcnt vmcnt(28) lgkmcnt(1)
	v_mul_f32_e32 v91, v82, v156
	buffer_load_dword v185, off, s[0:3], 0 offset:344
	buffer_load_dword v186, off, s[0:3], 0 offset:348
	v_fmac_f32_e32 v91, v83, v155
	v_add_f32_e32 v90, v90, v91
	s_waitcnt vmcnt(28)
	v_mul_f32_e32 v91, v84, v158
	v_fmac_f32_e32 v91, v85, v157
	v_add_f32_e32 v90, v90, v91
	s_waitcnt vmcnt(26) lgkmcnt(0)
	v_mul_f32_e32 v91, v86, v160
	v_fmac_f32_e32 v91, v87, v159
	v_add_f32_e32 v94, v90, v91
	ds_read_b128 v[90:93], v1 offset:768
	buffer_load_dword v187, off, s[0:3], 0 offset:352
	buffer_load_dword v188, off, s[0:3], 0 offset:356
	;; [unrolled: 1-line block ×6, first 2 shown]
	s_waitcnt vmcnt(30)
	v_mul_f32_e32 v95, v88, v162
	v_fmac_f32_e32 v95, v89, v161
	v_add_f32_e32 v98, v94, v95
	ds_read_b128 v[94:97], v1 offset:784
	buffer_load_dword v193, off, s[0:3], 0 offset:376
	buffer_load_dword v194, off, s[0:3], 0 offset:380
	;; [unrolled: 1-line block ×8, first 2 shown]
	s_waitcnt vmcnt(36) lgkmcnt(1)
	v_mul_f32_e32 v99, v90, v164
	buffer_load_dword v201, off, s[0:3], 0 offset:408
	buffer_load_dword v202, off, s[0:3], 0 offset:412
	v_fmac_f32_e32 v99, v91, v163
	v_add_f32_e32 v98, v98, v99
	s_waitcnt vmcnt(36)
	v_mul_f32_e32 v99, v92, v166
	v_fmac_f32_e32 v99, v93, v165
	v_add_f32_e32 v98, v98, v99
	v_mul_f32_e32 v10, v43, v10
	v_fma_f32 v10, v42, v27, -v10
	v_mul_f32_e32 v9, v45, v9
	v_add_f32_e32 v10, 0, v10
	v_fma_f32 v9, v44, v24, -v9
	v_mul_f32_e32 v8, v47, v8
	v_add_f32_e32 v9, v10, v9
	;; [unrolled: 3-line block ×5, first 2 shown]
	v_fma_f32 v5, v52, v20, -v5
	s_waitcnt vmcnt(34) lgkmcnt(0)
	v_mul_f32_e32 v99, v94, v168
	v_fmac_f32_e32 v99, v95, v167
	v_add_f32_e32 v102, v98, v99
	ds_read_b128 v[98:101], v1 offset:800
	buffer_load_dword v203, off, s[0:3], 0 offset:416
	buffer_load_dword v204, off, s[0:3], 0 offset:420
	;; [unrolled: 1-line block ×6, first 2 shown]
	s_waitcnt vmcnt(38)
	v_mul_f32_e32 v103, v96, v170
	v_fmac_f32_e32 v103, v97, v169
	v_add_f32_e32 v106, v102, v103
	ds_read_b128 v[102:105], v1 offset:816
	buffer_load_dword v209, off, s[0:3], 0 offset:440
	buffer_load_dword v210, off, s[0:3], 0 offset:444
	v_mul_f32_e32 v4, v55, v4
	v_add_f32_e32 v5, v6, v5
	v_fma_f32 v4, v54, v17, -v4
	v_add_f32_e32 v4, v5, v4
	v_mul_f32_e32 v5, v57, v11
	v_fma_f32 v5, v56, v22, -v5
	buffer_load_dword v211, off, s[0:3], 0 offset:448
	buffer_load_dword v212, off, s[0:3], 0 offset:452
	;; [unrolled: 1-line block ×6, first 2 shown]
	v_add_f32_e32 v4, v4, v5
	v_mul_f32_e32 v5, v59, v12
	v_fma_f32 v5, v58, v19, -v5
	v_add_f32_e32 v4, v4, v5
	v_mul_f32_e32 v5, v61, v13
	v_fma_f32 v5, v60, v16, -v5
	v_add_f32_e32 v4, v4, v5
	v_mul_f32_e32 v5, v63, v14
	buffer_load_dword v217, off, s[0:3], 0 offset:472
	buffer_load_dword v218, off, s[0:3], 0 offset:476
	v_fma_f32 v5, v62, v15, -v5
	v_add_f32_e32 v4, v4, v5
	v_mul_f32_e32 v5, v65, v18
	v_fma_f32 v5, v64, v35, -v5
	v_add_f32_e32 v4, v4, v5
	v_mul_f32_e32 v5, v67, v33
	;; [unrolled: 3-line block ×3, first 2 shown]
	buffer_load_dword v219, off, s[0:3], 0 offset:480
	buffer_load_dword v220, off, s[0:3], 0 offset:484
	;; [unrolled: 1-line block ×6, first 2 shown]
	v_fma_f32 v5, v68, v30, -v5
	v_add_f32_e32 v4, v4, v5
	v_mul_f32_e32 v5, v71, v29
	v_fma_f32 v5, v70, v28, -v5
	v_add_f32_e32 v4, v4, v5
	v_mul_f32_e32 v5, v73, v34
	;; [unrolled: 3-line block ×5, first 2 shown]
	v_fma_f32 v5, v78, v40, -v5
	s_waitcnt vmcnt(52) lgkmcnt(1)
	v_mul_f32_e32 v107, v98, v172
	v_add_f32_e32 v4, v4, v5
	v_mul_f32_e32 v5, v81, v154
	v_fmac_f32_e32 v107, v99, v171
	v_fma_f32 v5, v80, v153, -v5
	v_add_f32_e32 v106, v106, v107
	s_waitcnt vmcnt(51)
	v_mul_f32_e32 v107, v100, v173
	v_add_f32_e32 v4, v4, v5
	v_mul_f32_e32 v5, v83, v156
	s_waitcnt vmcnt(50)
	v_fmac_f32_e32 v107, v101, v174
	v_fma_f32 v5, v82, v155, -v5
	v_add_f32_e32 v106, v106, v107
	s_waitcnt vmcnt(48) lgkmcnt(0)
	v_mul_f32_e32 v107, v102, v176
	v_add_f32_e32 v4, v4, v5
	v_mul_f32_e32 v5, v85, v158
	v_fmac_f32_e32 v107, v103, v175
	v_fma_f32 v5, v84, v157, -v5
	v_add_f32_e32 v110, v106, v107
	ds_read_b128 v[106:109], v1 offset:832
	v_add_f32_e32 v4, v4, v5
	v_mul_f32_e32 v5, v87, v160
	v_fma_f32 v5, v86, v159, -v5
	s_waitcnt vmcnt(46)
	v_mul_f32_e32 v111, v104, v178
	v_add_f32_e32 v4, v4, v5
	v_mul_f32_e32 v5, v89, v162
	v_fmac_f32_e32 v111, v105, v177
	v_fma_f32 v5, v88, v161, -v5
	v_add_f32_e32 v114, v110, v111
	ds_read_b128 v[110:113], v1 offset:848
	v_add_f32_e32 v4, v4, v5
	v_mul_f32_e32 v5, v91, v164
	s_waitcnt vmcnt(44) lgkmcnt(1)
	v_mul_f32_e32 v115, v106, v180
	v_fma_f32 v5, v90, v163, -v5
	v_fmac_f32_e32 v115, v107, v179
	v_add_f32_e32 v4, v4, v5
	v_mul_f32_e32 v5, v93, v166
	v_add_f32_e32 v114, v114, v115
	s_waitcnt vmcnt(43)
	v_mul_f32_e32 v115, v108, v181
	v_fma_f32 v5, v92, v165, -v5
	s_waitcnt vmcnt(40)
	v_fmac_f32_e32 v115, v109, v184
	v_add_f32_e32 v4, v4, v5
	v_mul_f32_e32 v5, v95, v168
	v_add_f32_e32 v114, v114, v115
	s_waitcnt lgkmcnt(0)
	v_mul_f32_e32 v115, v110, v183
	v_fma_f32 v5, v94, v167, -v5
	v_fmac_f32_e32 v115, v111, v182
	v_add_f32_e32 v4, v4, v5
	v_mul_f32_e32 v5, v97, v170
	v_add_f32_e32 v118, v114, v115
	ds_read_b128 v[114:117], v1 offset:864
	v_fma_f32 v5, v96, v169, -v5
	v_add_f32_e32 v4, v4, v5
	v_mul_f32_e32 v5, v99, v172
	s_waitcnt vmcnt(38)
	v_mul_f32_e32 v119, v112, v186
	v_fma_f32 v5, v98, v171, -v5
	v_fmac_f32_e32 v119, v113, v185
	v_add_f32_e32 v4, v4, v5
	v_mul_f32_e32 v5, v101, v173
	v_add_f32_e32 v122, v118, v119
	ds_read_b128 v[118:121], v1 offset:880
	v_fma_f32 v5, v100, v174, -v5
	s_waitcnt vmcnt(36) lgkmcnt(1)
	v_mul_f32_e32 v123, v114, v188
	v_add_f32_e32 v4, v4, v5
	v_mul_f32_e32 v5, v103, v176
	v_fmac_f32_e32 v123, v115, v187
	v_fma_f32 v5, v102, v175, -v5
	v_add_f32_e32 v122, v122, v123
	s_waitcnt vmcnt(35)
	v_mul_f32_e32 v123, v116, v189
	v_add_f32_e32 v4, v4, v5
	v_mul_f32_e32 v5, v105, v178
	s_waitcnt vmcnt(32)
	v_fmac_f32_e32 v123, v117, v192
	v_fma_f32 v5, v104, v177, -v5
	v_add_f32_e32 v122, v122, v123
	s_waitcnt lgkmcnt(0)
	v_mul_f32_e32 v123, v118, v191
	v_add_f32_e32 v4, v4, v5
	v_mul_f32_e32 v5, v107, v180
	v_fmac_f32_e32 v123, v119, v190
	v_fma_f32 v5, v106, v179, -v5
	v_add_f32_e32 v126, v122, v123
	ds_read_b128 v[122:125], v1 offset:896
	v_add_f32_e32 v4, v4, v5
	v_mul_f32_e32 v5, v109, v181
	v_fma_f32 v5, v108, v184, -v5
	s_waitcnt vmcnt(30)
	v_mul_f32_e32 v127, v120, v194
	v_add_f32_e32 v4, v4, v5
	v_mul_f32_e32 v5, v111, v183
	v_fmac_f32_e32 v127, v121, v193
	v_fma_f32 v5, v110, v182, -v5
	v_add_f32_e32 v130, v126, v127
	ds_read_b128 v[126:129], v1 offset:912
	v_add_f32_e32 v4, v4, v5
	v_mul_f32_e32 v5, v113, v186
	s_waitcnt vmcnt(28) lgkmcnt(1)
	v_mul_f32_e32 v131, v122, v196
	v_fma_f32 v5, v112, v185, -v5
	v_fmac_f32_e32 v131, v123, v195
	v_add_f32_e32 v4, v4, v5
	v_mul_f32_e32 v5, v115, v188
	v_add_f32_e32 v130, v130, v131
	s_waitcnt vmcnt(27)
	v_mul_f32_e32 v131, v124, v197
	v_fma_f32 v5, v114, v187, -v5
	s_waitcnt vmcnt(24)
	v_fmac_f32_e32 v131, v125, v200
	v_add_f32_e32 v4, v4, v5
	v_mul_f32_e32 v5, v117, v189
	v_add_f32_e32 v130, v130, v131
	s_waitcnt lgkmcnt(0)
	v_mul_f32_e32 v131, v126, v199
	v_fma_f32 v5, v116, v192, -v5
	v_fmac_f32_e32 v131, v127, v198
	v_add_f32_e32 v4, v4, v5
	v_mul_f32_e32 v5, v119, v191
	v_add_f32_e32 v134, v130, v131
	ds_read_b128 v[130:133], v1 offset:928
	v_fma_f32 v5, v118, v190, -v5
	v_add_f32_e32 v4, v4, v5
	v_mul_f32_e32 v5, v121, v194
	s_waitcnt vmcnt(22)
	v_mul_f32_e32 v135, v128, v202
	v_fma_f32 v5, v120, v193, -v5
	v_fmac_f32_e32 v135, v129, v201
	v_add_f32_e32 v4, v4, v5
	v_mul_f32_e32 v5, v123, v196
	v_add_f32_e32 v138, v134, v135
	ds_read_b128 v[134:137], v1 offset:944
	v_fma_f32 v5, v122, v195, -v5
	s_waitcnt vmcnt(20) lgkmcnt(1)
	v_mul_f32_e32 v139, v130, v204
	v_add_f32_e32 v4, v4, v5
	v_mul_f32_e32 v5, v125, v197
	v_fmac_f32_e32 v139, v131, v203
	v_fma_f32 v5, v124, v200, -v5
	v_add_f32_e32 v138, v138, v139
	s_waitcnt vmcnt(19)
	v_mul_f32_e32 v139, v132, v205
	v_add_f32_e32 v4, v4, v5
	v_mul_f32_e32 v5, v127, v199
	s_waitcnt vmcnt(16)
	v_fmac_f32_e32 v139, v133, v208
	v_fma_f32 v5, v126, v198, -v5
	v_add_f32_e32 v138, v138, v139
	s_waitcnt lgkmcnt(0)
	v_mul_f32_e32 v139, v134, v207
	v_add_f32_e32 v4, v4, v5
	v_mul_f32_e32 v5, v129, v202
	v_fmac_f32_e32 v139, v135, v206
	v_fma_f32 v5, v128, v201, -v5
	v_add_f32_e32 v142, v138, v139
	ds_read_b128 v[138:141], v1 offset:960
	v_add_f32_e32 v4, v4, v5
	v_mul_f32_e32 v5, v131, v204
	v_fma_f32 v5, v130, v203, -v5
	s_waitcnt vmcnt(14)
	v_mul_f32_e32 v143, v136, v210
	v_add_f32_e32 v4, v4, v5
	v_mul_f32_e32 v5, v133, v205
	v_fmac_f32_e32 v143, v137, v209
	v_fma_f32 v5, v132, v208, -v5
	v_add_f32_e32 v146, v142, v143
	ds_read_b128 v[142:145], v1 offset:976
	v_add_f32_e32 v4, v4, v5
	v_mul_f32_e32 v5, v135, v207
	s_waitcnt vmcnt(12) lgkmcnt(1)
	v_mul_f32_e32 v147, v138, v212
	v_fma_f32 v5, v134, v206, -v5
	v_fmac_f32_e32 v147, v139, v211
	v_add_f32_e32 v4, v4, v5
	v_mul_f32_e32 v5, v137, v210
	v_add_f32_e32 v146, v146, v147
	s_waitcnt vmcnt(11)
	v_mul_f32_e32 v147, v140, v213
	v_fma_f32 v5, v136, v209, -v5
	s_waitcnt vmcnt(8)
	v_fmac_f32_e32 v147, v141, v216
	v_add_f32_e32 v4, v4, v5
	v_mul_f32_e32 v5, v139, v212
	v_add_f32_e32 v146, v146, v147
	s_waitcnt lgkmcnt(0)
	v_mul_f32_e32 v147, v142, v215
	v_fma_f32 v5, v138, v211, -v5
	v_fmac_f32_e32 v147, v143, v214
	v_add_f32_e32 v4, v4, v5
	v_mul_f32_e32 v5, v141, v213
	v_add_f32_e32 v150, v146, v147
	ds_read_b128 v[146:149], v1 offset:992
	v_fma_f32 v5, v140, v216, -v5
	v_add_f32_e32 v4, v4, v5
	v_mul_f32_e32 v5, v143, v215
	s_waitcnt vmcnt(6)
	v_mul_f32_e32 v151, v144, v218
	v_fma_f32 v5, v142, v214, -v5
	v_fmac_f32_e32 v151, v145, v217
	v_add_f32_e32 v4, v4, v5
	v_mul_f32_e32 v5, v145, v218
	v_add_f32_e32 v225, v150, v151
	ds_read_b64 v[150:151], v1 offset:1008
	v_fma_f32 v5, v144, v217, -v5
	v_add_f32_e32 v4, v4, v5
	s_waitcnt vmcnt(4) lgkmcnt(1)
	v_mul_f32_e32 v5, v147, v220
	v_mul_f32_e32 v226, v146, v220
	v_fma_f32 v5, v146, v219, -v5
	v_fmac_f32_e32 v226, v147, v219
	v_add_f32_e32 v4, v4, v5
	s_waitcnt vmcnt(3)
	v_mul_f32_e32 v5, v149, v221
	v_add_f32_e32 v225, v225, v226
	v_mul_f32_e32 v226, v148, v221
	s_waitcnt vmcnt(0)
	v_fma_f32 v5, v148, v224, -v5
	v_fmac_f32_e32 v226, v149, v224
	v_add_f32_e32 v4, v4, v5
	s_waitcnt lgkmcnt(0)
	v_mul_f32_e32 v5, v151, v223
	v_add_f32_e32 v225, v225, v226
	v_mul_f32_e32 v226, v150, v223
	v_fma_f32 v5, v150, v222, -v5
	v_fmac_f32_e32 v226, v151, v222
	v_add_f32_e32 v4, v4, v5
	v_add_f32_e32 v225, v225, v226
	v_sub_f32_e32 v2, v2, v4
	v_sub_f32_e32 v3, v3, v225
	buffer_store_dword v2, off, s[0:3], 0 offset:56
	buffer_store_dword v3, off, s[0:3], 0 offset:60
	s_and_saveexec_b64 s[4:5], vcc
	s_cbranch_execz .LBB62_379
; %bb.378:
	buffer_load_dword v2, off, s[0:3], 0 offset:48
	buffer_load_dword v3, off, s[0:3], 0 offset:52
	s_waitcnt vmcnt(0)
	ds_write_b64 v25, v[2:3]
	buffer_store_dword v1, off, s[0:3], 0 offset:48
	buffer_store_dword v1, off, s[0:3], 0 offset:52
.LBB62_379:
	s_or_b64 exec, exec, s[4:5]
	s_waitcnt lgkmcnt(0)
	; wave barrier
	buffer_load_dword v10, off, s[0:3], 0 offset:60
	buffer_load_dword v9, off, s[0:3], 0 offset:68
	;; [unrolled: 1-line block ×40, first 2 shown]
	ds_read2_b64 v[42:45], v1 offset0:71 offset1:72
	ds_read2_b64 v[46:49], v1 offset0:73 offset1:74
	;; [unrolled: 1-line block ×6, first 2 shown]
	buffer_load_dword v155, off, s[0:3], 0 offset:208
	buffer_load_dword v156, off, s[0:3], 0 offset:212
	;; [unrolled: 1-line block ×16, first 2 shown]
	v_cmp_lt_u32_e32 vcc, 5, v0
	s_waitcnt vmcnt(55) lgkmcnt(5)
	v_mul_f32_e32 v66, v42, v10
	s_waitcnt vmcnt(54)
	v_mul_f32_e32 v67, v44, v9
	s_waitcnt vmcnt(53) lgkmcnt(4)
	v_mul_f32_e32 v68, v46, v8
	s_waitcnt vmcnt(52)
	v_mul_f32_e32 v69, v48, v7
	;; [unrolled: 4-line block ×5, first 2 shown]
	s_waitcnt vmcnt(45)
	v_fmac_f32_e32 v68, v47, v17
	s_waitcnt vmcnt(44)
	v_fmac_f32_e32 v67, v45, v21
	;; [unrolled: 2-line block ×3, first 2 shown]
	v_add_f32_e32 v66, 0, v66
	v_add_f32_e32 v66, v66, v67
	;; [unrolled: 1-line block ×3, first 2 shown]
	s_waitcnt vmcnt(39)
	v_fmac_f32_e32 v69, v49, v24
	v_fmac_f32_e32 v70, v51, v20
	v_add_f32_e32 v66, v66, v69
	v_fmac_f32_e32 v71, v53, v16
	v_add_f32_e32 v66, v66, v70
	;; [unrolled: 2-line block ×3, first 2 shown]
	s_waitcnt vmcnt(35)
	v_fmac_f32_e32 v73, v57, v27
	v_add_f32_e32 v66, v66, v72
	v_fmac_f32_e32 v74, v59, v22
	v_add_f32_e32 v66, v66, v73
	;; [unrolled: 2-line block ×3, first 2 shown]
	s_waitcnt vmcnt(34) lgkmcnt(0)
	v_mul_f32_e32 v67, v62, v19
	v_add_f32_e32 v66, v66, v75
	v_fmac_f32_e32 v67, v63, v15
	v_add_f32_e32 v70, v66, v67
	ds_read2_b64 v[66:69], v1 offset0:83 offset1:84
	s_waitcnt vmcnt(33)
	v_mul_f32_e32 v71, v64, v23
	s_waitcnt vmcnt(29)
	v_fmac_f32_e32 v71, v65, v34
	v_add_f32_e32 v74, v70, v71
	ds_read2_b64 v[70:73], v1 offset0:85 offset1:86
	buffer_load_dword v171, off, s[0:3], 0 offset:272
	buffer_load_dword v172, off, s[0:3], 0 offset:276
	s_waitcnt vmcnt(30) lgkmcnt(1)
	v_mul_f32_e32 v75, v66, v33
	v_fmac_f32_e32 v75, v67, v31
	v_add_f32_e32 v74, v74, v75
	s_waitcnt vmcnt(29)
	v_mul_f32_e32 v75, v68, v32
	v_fmac_f32_e32 v75, v69, v29
	v_add_f32_e32 v74, v74, v75
	s_waitcnt vmcnt(28) lgkmcnt(0)
	v_mul_f32_e32 v75, v70, v30
	v_fmac_f32_e32 v75, v71, v28
	v_add_f32_e32 v78, v74, v75
	buffer_load_dword v173, off, s[0:3], 0 offset:280
	buffer_load_dword v174, off, s[0:3], 0 offset:284
	ds_read2_b64 v[74:77], v1 offset0:87 offset1:88
	s_waitcnt vmcnt(29)
	v_mul_f32_e32 v79, v72, v35
	s_waitcnt vmcnt(22)
	v_fmac_f32_e32 v79, v73, v154
	v_add_f32_e32 v82, v78, v79
	ds_read2_b64 v[78:81], v1 offset0:89 offset1:90
	s_waitcnt lgkmcnt(1)
	v_mul_f32_e32 v83, v74, v37
	v_fmac_f32_e32 v83, v75, v36
	v_add_f32_e32 v82, v82, v83
	v_mul_f32_e32 v83, v76, v39
	buffer_load_dword v175, off, s[0:3], 0 offset:288
	buffer_load_dword v176, off, s[0:3], 0 offset:292
	v_fmac_f32_e32 v83, v77, v38
	v_add_f32_e32 v82, v82, v83
	s_waitcnt lgkmcnt(0)
	v_mul_f32_e32 v83, v78, v41
	buffer_load_dword v177, off, s[0:3], 0 offset:296
	buffer_load_dword v178, off, s[0:3], 0 offset:300
	v_fmac_f32_e32 v83, v79, v40
	v_add_f32_e32 v86, v82, v83
	ds_read2_b64 v[82:85], v1 offset0:91 offset1:92
	buffer_load_dword v179, off, s[0:3], 0 offset:304
	buffer_load_dword v180, off, s[0:3], 0 offset:308
	s_waitcnt vmcnt(24)
	v_mul_f32_e32 v87, v80, v156
	v_fmac_f32_e32 v87, v81, v155
	v_add_f32_e32 v90, v86, v87
	ds_read2_b64 v[86:89], v1 offset0:93 offset1:94
	s_waitcnt vmcnt(22) lgkmcnt(1)
	v_mul_f32_e32 v91, v82, v158
	v_fmac_f32_e32 v91, v83, v157
	buffer_load_dword v181, off, s[0:3], 0 offset:312
	buffer_load_dword v182, off, s[0:3], 0 offset:316
	;; [unrolled: 1-line block ×6, first 2 shown]
	v_add_f32_e32 v90, v90, v91
	s_waitcnt vmcnt(26)
	v_mul_f32_e32 v91, v84, v160
	v_fmac_f32_e32 v91, v85, v159
	v_add_f32_e32 v90, v90, v91
	s_waitcnt vmcnt(24) lgkmcnt(0)
	v_mul_f32_e32 v91, v86, v162
	v_fmac_f32_e32 v91, v87, v161
	v_add_f32_e32 v94, v90, v91
	ds_read2_b64 v[90:93], v1 offset0:95 offset1:96
	buffer_load_dword v187, off, s[0:3], 0 offset:336
	buffer_load_dword v188, off, s[0:3], 0 offset:340
	s_waitcnt vmcnt(24)
	v_mul_f32_e32 v95, v88, v164
	v_fmac_f32_e32 v95, v89, v163
	v_add_f32_e32 v98, v94, v95
	ds_read2_b64 v[94:97], v1 offset0:97 offset1:98
	buffer_load_dword v189, off, s[0:3], 0 offset:344
	buffer_load_dword v190, off, s[0:3], 0 offset:348
	;; [unrolled: 1-line block ×14, first 2 shown]
	s_waitcnt vmcnt(36) lgkmcnt(1)
	v_mul_f32_e32 v99, v90, v166
	buffer_load_dword v203, off, s[0:3], 0 offset:400
	buffer_load_dword v204, off, s[0:3], 0 offset:404
	v_fmac_f32_e32 v99, v91, v165
	v_add_f32_e32 v98, v98, v99
	s_waitcnt vmcnt(36)
	v_mul_f32_e32 v99, v92, v168
	v_fmac_f32_e32 v99, v93, v167
	v_add_f32_e32 v98, v98, v99
	s_waitcnt vmcnt(34) lgkmcnt(0)
	v_mul_f32_e32 v99, v94, v170
	v_fmac_f32_e32 v99, v95, v169
	v_add_f32_e32 v102, v98, v99
	ds_read2_b64 v[98:101], v1 offset0:99 offset1:100
	buffer_load_dword v205, off, s[0:3], 0 offset:408
	buffer_load_dword v206, off, s[0:3], 0 offset:412
	;; [unrolled: 1-line block ×6, first 2 shown]
	v_mul_f32_e32 v10, v43, v10
	v_fma_f32 v10, v42, v26, -v10
	v_mul_f32_e32 v9, v45, v9
	v_add_f32_e32 v10, 0, v10
	v_fma_f32 v9, v44, v21, -v9
	v_mul_f32_e32 v8, v47, v8
	v_add_f32_e32 v9, v10, v9
	;; [unrolled: 3-line block ×5, first 2 shown]
	s_waitcnt vmcnt(38)
	v_mul_f32_e32 v103, v96, v172
	v_fmac_f32_e32 v103, v97, v171
	v_add_f32_e32 v106, v102, v103
	ds_read2_b64 v[102:105], v1 offset0:101 offset1:102
	buffer_load_dword v211, off, s[0:3], 0 offset:432
	buffer_load_dword v212, off, s[0:3], 0 offset:436
	v_fma_f32 v5, v52, v16, -v5
	v_mul_f32_e32 v4, v55, v4
	v_add_f32_e32 v5, v6, v5
	v_fma_f32 v4, v54, v14, -v4
	v_add_f32_e32 v4, v5, v4
	v_mul_f32_e32 v5, v57, v11
	v_fma_f32 v5, v56, v27, -v5
	buffer_load_dword v213, off, s[0:3], 0 offset:440
	buffer_load_dword v214, off, s[0:3], 0 offset:444
	buffer_load_dword v215, off, s[0:3], 0 offset:452
	buffer_load_dword v216, off, s[0:3], 0 offset:456
	buffer_load_dword v217, off, s[0:3], 0 offset:460
	buffer_load_dword v218, off, s[0:3], 0 offset:448
	v_add_f32_e32 v4, v4, v5
	v_mul_f32_e32 v5, v59, v12
	v_fma_f32 v5, v58, v22, -v5
	v_add_f32_e32 v4, v4, v5
	v_mul_f32_e32 v5, v61, v13
	v_fma_f32 v5, v60, v18, -v5
	v_add_f32_e32 v4, v4, v5
	v_mul_f32_e32 v5, v63, v19
	buffer_load_dword v219, off, s[0:3], 0 offset:464
	buffer_load_dword v220, off, s[0:3], 0 offset:468
	v_fma_f32 v5, v62, v15, -v5
	v_add_f32_e32 v4, v4, v5
	v_mul_f32_e32 v5, v65, v23
	s_waitcnt vmcnt(46) lgkmcnt(1)
	v_mul_f32_e32 v107, v98, v174
	v_fma_f32 v5, v64, v34, -v5
	v_fmac_f32_e32 v107, v99, v173
	v_add_f32_e32 v4, v4, v5
	v_mul_f32_e32 v5, v67, v33
	v_add_f32_e32 v106, v106, v107
	s_waitcnt vmcnt(44)
	v_mul_f32_e32 v107, v100, v176
	v_fma_f32 v5, v66, v31, -v5
	v_fmac_f32_e32 v107, v101, v175
	v_add_f32_e32 v4, v4, v5
	v_mul_f32_e32 v5, v69, v32
	v_add_f32_e32 v106, v106, v107
	s_waitcnt vmcnt(42) lgkmcnt(0)
	v_mul_f32_e32 v107, v102, v178
	buffer_load_dword v221, off, s[0:3], 0 offset:472
	buffer_load_dword v222, off, s[0:3], 0 offset:476
	;; [unrolled: 1-line block ×6, first 2 shown]
	v_fma_f32 v5, v68, v29, -v5
	v_fmac_f32_e32 v107, v103, v177
	s_waitcnt vmcnt(46)
	v_mul_f32_e32 v111, v104, v180
	v_add_f32_e32 v4, v4, v5
	v_mul_f32_e32 v5, v71, v30
	v_add_f32_e32 v110, v106, v107
	v_fmac_f32_e32 v111, v105, v179
	v_fma_f32 v5, v70, v28, -v5
	ds_read2_b64 v[106:109], v1 offset0:103 offset1:104
	v_add_f32_e32 v114, v110, v111
	ds_read2_b64 v[110:113], v1 offset0:105 offset1:106
	buffer_load_dword v227, off, s[0:3], 0 offset:496
	buffer_load_dword v228, off, s[0:3], 0 offset:500
	v_add_f32_e32 v4, v4, v5
	v_mul_f32_e32 v5, v73, v35
	v_fma_f32 v5, v72, v154, -v5
	v_add_f32_e32 v4, v4, v5
	v_mul_f32_e32 v5, v75, v37
	v_fma_f32 v5, v74, v36, -v5
	;; [unrolled: 3-line block ×9, first 2 shown]
	v_add_f32_e32 v4, v4, v5
	v_mul_f32_e32 v5, v91, v166
	s_waitcnt vmcnt(46) lgkmcnt(1)
	v_mul_f32_e32 v115, v106, v182
	v_fma_f32 v5, v90, v165, -v5
	v_fmac_f32_e32 v115, v107, v181
	v_add_f32_e32 v4, v4, v5
	v_mul_f32_e32 v5, v93, v168
	v_add_f32_e32 v114, v114, v115
	s_waitcnt vmcnt(45)
	v_mul_f32_e32 v115, v108, v183
	v_fma_f32 v5, v92, v167, -v5
	s_waitcnt vmcnt(42)
	v_fmac_f32_e32 v115, v109, v186
	v_add_f32_e32 v4, v4, v5
	v_mul_f32_e32 v5, v95, v170
	v_add_f32_e32 v114, v114, v115
	s_waitcnt lgkmcnt(0)
	v_mul_f32_e32 v115, v110, v185
	v_fma_f32 v5, v94, v169, -v5
	v_fmac_f32_e32 v115, v111, v184
	v_add_f32_e32 v4, v4, v5
	v_mul_f32_e32 v5, v97, v172
	v_add_f32_e32 v118, v114, v115
	ds_read2_b64 v[114:117], v1 offset0:107 offset1:108
	v_fma_f32 v5, v96, v171, -v5
	v_add_f32_e32 v4, v4, v5
	v_mul_f32_e32 v5, v99, v174
	s_waitcnt vmcnt(40)
	v_mul_f32_e32 v119, v112, v188
	v_fma_f32 v5, v98, v173, -v5
	v_fmac_f32_e32 v119, v113, v187
	v_add_f32_e32 v4, v4, v5
	v_mul_f32_e32 v5, v101, v176
	v_add_f32_e32 v122, v118, v119
	ds_read2_b64 v[118:121], v1 offset0:109 offset1:110
	v_fma_f32 v5, v100, v175, -v5
	s_waitcnt vmcnt(38) lgkmcnt(1)
	v_mul_f32_e32 v123, v114, v190
	v_add_f32_e32 v4, v4, v5
	v_mul_f32_e32 v5, v103, v178
	v_fmac_f32_e32 v123, v115, v189
	v_fma_f32 v5, v102, v177, -v5
	v_add_f32_e32 v122, v122, v123
	s_waitcnt vmcnt(37)
	v_mul_f32_e32 v123, v116, v191
	v_add_f32_e32 v4, v4, v5
	v_mul_f32_e32 v5, v105, v180
	s_waitcnt vmcnt(34)
	v_fmac_f32_e32 v123, v117, v194
	v_fma_f32 v5, v104, v179, -v5
	v_add_f32_e32 v122, v122, v123
	s_waitcnt lgkmcnt(0)
	v_mul_f32_e32 v123, v118, v193
	v_add_f32_e32 v4, v4, v5
	v_mul_f32_e32 v5, v107, v182
	v_fmac_f32_e32 v123, v119, v192
	v_fma_f32 v5, v106, v181, -v5
	v_add_f32_e32 v126, v122, v123
	ds_read2_b64 v[122:125], v1 offset0:111 offset1:112
	v_add_f32_e32 v4, v4, v5
	v_mul_f32_e32 v5, v109, v183
	v_fma_f32 v5, v108, v186, -v5
	s_waitcnt vmcnt(32)
	v_mul_f32_e32 v127, v120, v196
	v_add_f32_e32 v4, v4, v5
	v_mul_f32_e32 v5, v111, v185
	v_fmac_f32_e32 v127, v121, v195
	v_fma_f32 v5, v110, v184, -v5
	v_add_f32_e32 v130, v126, v127
	ds_read2_b64 v[126:129], v1 offset0:113 offset1:114
	v_add_f32_e32 v4, v4, v5
	v_mul_f32_e32 v5, v113, v188
	s_waitcnt vmcnt(30) lgkmcnt(1)
	v_mul_f32_e32 v131, v122, v198
	v_fma_f32 v5, v112, v187, -v5
	v_fmac_f32_e32 v131, v123, v197
	v_add_f32_e32 v4, v4, v5
	v_mul_f32_e32 v5, v115, v190
	v_add_f32_e32 v130, v130, v131
	s_waitcnt vmcnt(29)
	v_mul_f32_e32 v131, v124, v199
	v_fma_f32 v5, v114, v189, -v5
	s_waitcnt vmcnt(26)
	v_fmac_f32_e32 v131, v125, v202
	v_add_f32_e32 v4, v4, v5
	v_mul_f32_e32 v5, v117, v191
	v_add_f32_e32 v130, v130, v131
	s_waitcnt lgkmcnt(0)
	v_mul_f32_e32 v131, v126, v201
	v_fma_f32 v5, v116, v194, -v5
	v_fmac_f32_e32 v131, v127, v200
	v_add_f32_e32 v4, v4, v5
	v_mul_f32_e32 v5, v119, v193
	v_add_f32_e32 v134, v130, v131
	ds_read2_b64 v[130:133], v1 offset0:115 offset1:116
	v_fma_f32 v5, v118, v192, -v5
	v_add_f32_e32 v4, v4, v5
	v_mul_f32_e32 v5, v121, v196
	s_waitcnt vmcnt(24)
	v_mul_f32_e32 v135, v128, v204
	v_fma_f32 v5, v120, v195, -v5
	v_fmac_f32_e32 v135, v129, v203
	v_add_f32_e32 v4, v4, v5
	v_mul_f32_e32 v5, v123, v198
	v_add_f32_e32 v138, v134, v135
	ds_read2_b64 v[134:137], v1 offset0:117 offset1:118
	v_fma_f32 v5, v122, v197, -v5
	s_waitcnt vmcnt(22) lgkmcnt(1)
	v_mul_f32_e32 v139, v130, v206
	v_add_f32_e32 v4, v4, v5
	v_mul_f32_e32 v5, v125, v199
	v_fmac_f32_e32 v139, v131, v205
	v_fma_f32 v5, v124, v202, -v5
	v_add_f32_e32 v138, v138, v139
	s_waitcnt vmcnt(21)
	v_mul_f32_e32 v139, v132, v207
	v_add_f32_e32 v4, v4, v5
	v_mul_f32_e32 v5, v127, v201
	s_waitcnt vmcnt(18)
	v_fmac_f32_e32 v139, v133, v210
	v_fma_f32 v5, v126, v200, -v5
	v_add_f32_e32 v138, v138, v139
	s_waitcnt lgkmcnt(0)
	v_mul_f32_e32 v139, v134, v209
	v_add_f32_e32 v4, v4, v5
	v_mul_f32_e32 v5, v129, v204
	v_fmac_f32_e32 v139, v135, v208
	v_fma_f32 v5, v128, v203, -v5
	v_add_f32_e32 v142, v138, v139
	ds_read2_b64 v[138:141], v1 offset0:119 offset1:120
	v_add_f32_e32 v4, v4, v5
	v_mul_f32_e32 v5, v131, v206
	v_fma_f32 v5, v130, v205, -v5
	s_waitcnt vmcnt(16)
	v_mul_f32_e32 v143, v136, v212
	v_add_f32_e32 v4, v4, v5
	v_mul_f32_e32 v5, v133, v207
	v_fmac_f32_e32 v143, v137, v211
	v_fma_f32 v5, v132, v210, -v5
	v_add_f32_e32 v146, v142, v143
	ds_read2_b64 v[142:145], v1 offset0:121 offset1:122
	v_add_f32_e32 v4, v4, v5
	v_mul_f32_e32 v5, v135, v209
	s_waitcnt vmcnt(14) lgkmcnt(1)
	v_mul_f32_e32 v147, v138, v214
	v_fma_f32 v5, v134, v208, -v5
	v_fmac_f32_e32 v147, v139, v213
	v_add_f32_e32 v4, v4, v5
	v_mul_f32_e32 v5, v137, v212
	v_add_f32_e32 v146, v146, v147
	s_waitcnt vmcnt(13)
	v_mul_f32_e32 v147, v140, v215
	v_fma_f32 v5, v136, v211, -v5
	s_waitcnt vmcnt(10)
	v_fmac_f32_e32 v147, v141, v218
	v_add_f32_e32 v4, v4, v5
	v_mul_f32_e32 v5, v139, v214
	v_add_f32_e32 v146, v146, v147
	s_waitcnt lgkmcnt(0)
	v_mul_f32_e32 v147, v142, v217
	v_fma_f32 v5, v138, v213, -v5
	v_fmac_f32_e32 v147, v143, v216
	v_add_f32_e32 v4, v4, v5
	v_mul_f32_e32 v5, v141, v215
	v_add_f32_e32 v150, v146, v147
	ds_read2_b64 v[146:149], v1 offset0:123 offset1:124
	v_fma_f32 v5, v140, v218, -v5
	v_add_f32_e32 v4, v4, v5
	v_mul_f32_e32 v5, v143, v217
	s_waitcnt vmcnt(8)
	v_mul_f32_e32 v151, v144, v220
	v_fma_f32 v5, v142, v216, -v5
	v_fmac_f32_e32 v151, v145, v219
	v_add_f32_e32 v4, v4, v5
	v_mul_f32_e32 v5, v145, v220
	v_add_f32_e32 v229, v150, v151
	ds_read2_b64 v[150:153], v1 offset0:125 offset1:126
	v_fma_f32 v5, v144, v219, -v5
	v_add_f32_e32 v4, v4, v5
	s_waitcnt vmcnt(6) lgkmcnt(1)
	v_mul_f32_e32 v5, v147, v222
	v_mul_f32_e32 v1, v146, v222
	v_fma_f32 v5, v146, v221, -v5
	v_fmac_f32_e32 v1, v147, v221
	v_add_f32_e32 v4, v4, v5
	s_waitcnt vmcnt(5)
	v_mul_f32_e32 v5, v149, v223
	v_add_f32_e32 v1, v229, v1
	v_mul_f32_e32 v229, v148, v223
	s_waitcnt vmcnt(2)
	v_fma_f32 v5, v148, v226, -v5
	v_fmac_f32_e32 v229, v149, v226
	v_add_f32_e32 v4, v4, v5
	s_waitcnt lgkmcnt(0)
	v_mul_f32_e32 v5, v151, v225
	v_add_f32_e32 v1, v1, v229
	v_mul_f32_e32 v229, v150, v225
	v_fma_f32 v5, v150, v224, -v5
	v_fmac_f32_e32 v229, v151, v224
	v_add_f32_e32 v4, v4, v5
	s_waitcnt vmcnt(0)
	v_mul_f32_e32 v5, v153, v228
	v_add_f32_e32 v1, v1, v229
	v_mul_f32_e32 v229, v152, v228
	v_fma_f32 v5, v152, v227, -v5
	v_fmac_f32_e32 v229, v153, v227
	v_add_f32_e32 v4, v4, v5
	v_add_f32_e32 v1, v1, v229
	v_sub_f32_e32 v2, v2, v4
	v_sub_f32_e32 v1, v3, v1
	buffer_store_dword v2, off, s[0:3], 0 offset:48
	buffer_store_dword v1, off, s[0:3], 0 offset:52
	s_and_saveexec_b64 s[4:5], vcc
	s_cbranch_execz .LBB62_381
; %bb.380:
	buffer_load_dword v1, off, s[0:3], 0 offset:40
	buffer_load_dword v2, off, s[0:3], 0 offset:44
	v_mov_b32_e32 v3, 0
	buffer_store_dword v3, off, s[0:3], 0 offset:40
	buffer_store_dword v3, off, s[0:3], 0 offset:44
	s_waitcnt vmcnt(2)
	ds_write_b64 v25, v[1:2]
.LBB62_381:
	s_or_b64 exec, exec, s[4:5]
	s_waitcnt lgkmcnt(0)
	; wave barrier
	buffer_load_dword v9, off, s[0:3], 0 offset:52
	buffer_load_dword v8, off, s[0:3], 0 offset:60
	;; [unrolled: 1-line block ×52, first 2 shown]
	v_mov_b32_e32 v26, 0
	ds_read_b128 v[55:58], v26 offset:560
	ds_read_b128 v[59:62], v26 offset:576
	;; [unrolled: 1-line block ×6, first 2 shown]
	buffer_load_dword v169, off, s[0:3], 0 offset:252
	buffer_load_dword v170, off, s[0:3], 0 offset:248
	;; [unrolled: 1-line block ×4, first 2 shown]
	v_cmp_lt_u32_e32 vcc, 4, v0
	s_waitcnt vmcnt(55) lgkmcnt(5)
	v_mul_f32_e32 v79, v55, v9
	s_waitcnt vmcnt(54)
	v_mul_f32_e32 v80, v57, v8
	s_waitcnt vmcnt(53) lgkmcnt(4)
	v_mul_f32_e32 v81, v59, v7
	s_waitcnt vmcnt(52)
	v_mul_f32_e32 v82, v61, v6
	;; [unrolled: 4-line block ×3, first 2 shown]
	s_waitcnt vmcnt(49) lgkmcnt(2)
	v_mul_f32_e32 v85, v67, v3
	s_waitcnt vmcnt(48)
	v_fmac_f32_e32 v81, v60, v14
	s_waitcnt vmcnt(47)
	v_fmac_f32_e32 v80, v58, v16
	;; [unrolled: 2-line block ×3, first 2 shown]
	v_add_f32_e32 v79, 0, v79
	v_add_f32_e32 v79, v79, v80
	;; [unrolled: 1-line block ×3, first 2 shown]
	s_waitcnt vmcnt(45)
	v_mul_f32_e32 v86, v69, v12
	s_waitcnt vmcnt(41)
	v_fmac_f32_e32 v85, v68, v20
	s_waitcnt vmcnt(40)
	v_fmac_f32_e32 v84, v66, v22
	;; [unrolled: 2-line block ×4, first 2 shown]
	v_add_f32_e32 v79, v79, v82
	v_add_f32_e32 v79, v79, v83
	;; [unrolled: 1-line block ×3, first 2 shown]
	s_waitcnt lgkmcnt(1)
	v_mul_f32_e32 v87, v71, v11
	s_waitcnt vmcnt(34)
	v_fmac_f32_e32 v86, v70, v23
	v_add_f32_e32 v79, v79, v85
	v_mul_f32_e32 v88, v73, v10
	v_fmac_f32_e32 v87, v72, v21
	v_add_f32_e32 v79, v79, v86
	s_waitcnt lgkmcnt(0)
	v_mul_f32_e32 v89, v75, v13
	v_fmac_f32_e32 v88, v74, v17
	v_add_f32_e32 v79, v79, v87
	v_add_f32_e32 v79, v79, v88
	v_fmac_f32_e32 v89, v76, v15
	v_add_f32_e32 v83, v79, v89
	ds_read_b128 v[79:82], v26 offset:656
	buffer_load_dword v173, off, s[0:3], 0 offset:264
	buffer_load_dword v174, off, s[0:3], 0 offset:268
	s_waitcnt vmcnt(35)
	v_mul_f32_e32 v84, v77, v18
	s_waitcnt vmcnt(31)
	v_fmac_f32_e32 v84, v78, v34
	v_add_f32_e32 v87, v83, v84
	ds_read_b128 v[83:86], v26 offset:672
	s_waitcnt vmcnt(30) lgkmcnt(1)
	v_mul_f32_e32 v88, v79, v33
	v_fmac_f32_e32 v88, v80, v31
	v_add_f32_e32 v87, v87, v88
	s_waitcnt vmcnt(29)
	v_mul_f32_e32 v88, v81, v32
	v_fmac_f32_e32 v88, v82, v29
	v_add_f32_e32 v87, v87, v88
	s_waitcnt vmcnt(28) lgkmcnt(0)
	v_mul_f32_e32 v88, v83, v30
	v_fmac_f32_e32 v88, v84, v28
	v_add_f32_e32 v87, v87, v88
	s_waitcnt vmcnt(25)
	v_mul_f32_e32 v88, v85, v36
	s_waitcnt vmcnt(24)
	v_fmac_f32_e32 v88, v86, v35
	buffer_load_dword v175, off, s[0:3], 0 offset:276
	v_add_f32_e32 v95, v87, v88
	ds_read_b128 v[87:90], v26 offset:688
	ds_read_b128 v[91:94], v26 offset:704
	buffer_load_dword v176, off, s[0:3], 0 offset:272
	buffer_load_dword v177, off, s[0:3], 0 offset:280
	;; [unrolled: 1-line block ×5, first 2 shown]
	v_mul_f32_e32 v9, v56, v9
	s_waitcnt vmcnt(28) lgkmcnt(1)
	v_mul_f32_e32 v96, v87, v38
	v_fmac_f32_e32 v96, v88, v37
	v_add_f32_e32 v95, v95, v96
	s_waitcnt vmcnt(26)
	v_mul_f32_e32 v96, v89, v40
	v_fmac_f32_e32 v96, v90, v39
	v_add_f32_e32 v95, v95, v96
	s_waitcnt vmcnt(24) lgkmcnt(0)
	v_mul_f32_e32 v96, v91, v42
	v_fmac_f32_e32 v96, v92, v41
	v_add_f32_e32 v99, v95, v96
	ds_read_b128 v[95:98], v26 offset:720
	buffer_load_dword v181, off, s[0:3], 0 offset:296
	buffer_load_dword v182, off, s[0:3], 0 offset:300
	s_waitcnt vmcnt(24)
	v_mul_f32_e32 v100, v93, v44
	v_fmac_f32_e32 v100, v94, v43
	v_add_f32_e32 v103, v99, v100
	ds_read_b128 v[99:102], v26 offset:736
	s_waitcnt vmcnt(22) lgkmcnt(1)
	v_mul_f32_e32 v104, v95, v46
	v_fmac_f32_e32 v104, v96, v45
	v_add_f32_e32 v103, v103, v104
	s_waitcnt vmcnt(20)
	v_mul_f32_e32 v104, v97, v48
	buffer_load_dword v183, off, s[0:3], 0 offset:304
	buffer_load_dword v184, off, s[0:3], 0 offset:308
	v_fmac_f32_e32 v104, v98, v47
	v_add_f32_e32 v103, v103, v104
	s_waitcnt vmcnt(20) lgkmcnt(0)
	v_mul_f32_e32 v104, v99, v50
	v_fmac_f32_e32 v104, v100, v49
	v_add_f32_e32 v107, v103, v104
	ds_read_b128 v[103:106], v26 offset:752
	buffer_load_dword v185, off, s[0:3], 0 offset:316
	buffer_load_dword v186, off, s[0:3], 0 offset:320
	;; [unrolled: 1-line block ×4, first 2 shown]
	s_waitcnt vmcnt(22)
	v_mul_f32_e32 v108, v101, v52
	v_fmac_f32_e32 v108, v102, v51
	v_add_f32_e32 v111, v107, v108
	ds_read_b128 v[107:110], v26 offset:768
	buffer_load_dword v189, off, s[0:3], 0 offset:328
	buffer_load_dword v190, off, s[0:3], 0 offset:332
	;; [unrolled: 1-line block ×10, first 2 shown]
	s_waitcnt vmcnt(30) lgkmcnt(1)
	v_mul_f32_e32 v112, v103, v54
	v_fmac_f32_e32 v112, v104, v53
	buffer_load_dword v199, off, s[0:3], 0 offset:368
	buffer_load_dword v200, off, s[0:3], 0 offset:372
	;; [unrolled: 1-line block ×6, first 2 shown]
	v_add_f32_e32 v111, v111, v112
	s_waitcnt vmcnt(35)
	v_mul_f32_e32 v112, v105, v169
	s_waitcnt vmcnt(34)
	v_fmac_f32_e32 v112, v106, v170
	v_add_f32_e32 v111, v111, v112
	s_waitcnt vmcnt(32) lgkmcnt(0)
	v_mul_f32_e32 v112, v107, v172
	v_fmac_f32_e32 v112, v108, v171
	v_add_f32_e32 v115, v111, v112
	ds_read_b128 v[111:114], v26 offset:784
	buffer_load_dword v205, off, s[0:3], 0 offset:392
	buffer_load_dword v206, off, s[0:3], 0 offset:396
	v_fma_f32 v9, v55, v19, -v9
	v_mul_f32_e32 v8, v58, v8
	v_add_f32_e32 v9, 0, v9
	v_fma_f32 v8, v57, v16, -v8
	v_mul_f32_e32 v7, v60, v7
	v_add_f32_e32 v8, v9, v8
	;; [unrolled: 3-line block ×4, first 2 shown]
	s_waitcnt vmcnt(32)
	v_mul_f32_e32 v116, v109, v174
	v_fmac_f32_e32 v116, v110, v173
	v_add_f32_e32 v119, v115, v116
	ds_read_b128 v[115:118], v26 offset:800
	buffer_load_dword v207, off, s[0:3], 0 offset:400
	buffer_load_dword v208, off, s[0:3], 0 offset:404
	;; [unrolled: 1-line block ×8, first 2 shown]
	v_fma_f32 v5, v63, v24, -v5
	v_mul_f32_e32 v4, v66, v4
	v_add_f32_e32 v5, v6, v5
	v_fma_f32 v4, v65, v22, -v4
	v_mul_f32_e32 v3, v68, v3
	v_add_f32_e32 v4, v5, v4
	v_fma_f32 v3, v67, v20, -v3
	v_add_f32_e32 v3, v4, v3
	v_mul_f32_e32 v4, v70, v12
	buffer_load_dword v215, off, s[0:3], 0 offset:432
	buffer_load_dword v216, off, s[0:3], 0 offset:436
	;; [unrolled: 1-line block ×6, first 2 shown]
	v_fma_f32 v4, v69, v23, -v4
	v_add_f32_e32 v3, v3, v4
	v_mul_f32_e32 v4, v72, v11
	v_fma_f32 v4, v71, v21, -v4
	v_add_f32_e32 v3, v3, v4
	v_mul_f32_e32 v4, v74, v10
	v_fma_f32 v4, v73, v17, -v4
	s_waitcnt vmcnt(45) lgkmcnt(1)
	v_mul_f32_e32 v120, v111, v175
	v_add_f32_e32 v3, v3, v4
	v_mul_f32_e32 v4, v76, v13
	s_waitcnt vmcnt(44)
	v_fmac_f32_e32 v120, v112, v176
	buffer_load_dword v221, off, s[0:3], 0 offset:456
	buffer_load_dword v222, off, s[0:3], 0 offset:460
	v_fma_f32 v4, v75, v15, -v4
	v_add_f32_e32 v119, v119, v120
	s_waitcnt vmcnt(44)
	v_mul_f32_e32 v120, v113, v178
	v_add_f32_e32 v3, v3, v4
	v_mul_f32_e32 v4, v78, v18
	v_fmac_f32_e32 v120, v114, v177
	v_fma_f32 v4, v77, v34, -v4
	v_add_f32_e32 v119, v119, v120
	s_waitcnt vmcnt(42) lgkmcnt(0)
	v_mul_f32_e32 v120, v115, v180
	v_add_f32_e32 v3, v3, v4
	v_mul_f32_e32 v4, v80, v33
	v_fmac_f32_e32 v120, v116, v179
	v_fma_f32 v4, v79, v31, -v4
	v_add_f32_e32 v123, v119, v120
	ds_read_b128 v[119:122], v26 offset:816
	buffer_load_dword v223, off, s[0:3], 0 offset:464
	buffer_load_dword v224, off, s[0:3], 0 offset:468
	;; [unrolled: 1-line block ×6, first 2 shown]
	v_add_f32_e32 v3, v3, v4
	v_mul_f32_e32 v4, v82, v32
	v_fma_f32 v4, v81, v29, -v4
	v_add_f32_e32 v3, v3, v4
	v_mul_f32_e32 v4, v84, v30
	s_waitcnt vmcnt(46)
	v_mul_f32_e32 v124, v117, v182
	v_fma_f32 v4, v83, v28, -v4
	v_fmac_f32_e32 v124, v118, v181
	v_add_f32_e32 v3, v3, v4
	v_mul_f32_e32 v4, v86, v36
	v_add_f32_e32 v127, v123, v124
	ds_read_b128 v[123:126], v26 offset:832
	buffer_load_dword v229, off, s[0:3], 0 offset:492
	buffer_load_dword v230, off, s[0:3], 0 offset:496
	;; [unrolled: 1-line block ×4, first 2 shown]
	v_fma_f32 v4, v85, v35, -v4
	v_add_f32_e32 v3, v3, v4
	v_mul_f32_e32 v4, v88, v38
	v_fma_f32 v4, v87, v37, -v4
	v_add_f32_e32 v3, v3, v4
	v_mul_f32_e32 v4, v90, v40
	;; [unrolled: 3-line block ×8, first 2 shown]
	v_fma_f32 v4, v101, v51, -v4
	s_waitcnt vmcnt(48) lgkmcnt(1)
	v_mul_f32_e32 v128, v119, v184
	v_add_f32_e32 v3, v3, v4
	v_mul_f32_e32 v4, v104, v54
	v_fmac_f32_e32 v128, v120, v183
	v_fma_f32 v4, v103, v53, -v4
	v_add_f32_e32 v127, v127, v128
	s_waitcnt vmcnt(47)
	v_mul_f32_e32 v128, v121, v185
	v_add_f32_e32 v3, v3, v4
	v_mul_f32_e32 v4, v106, v169
	s_waitcnt vmcnt(44)
	v_fmac_f32_e32 v128, v122, v188
	v_fma_f32 v4, v105, v170, -v4
	v_add_f32_e32 v127, v127, v128
	s_waitcnt lgkmcnt(0)
	v_mul_f32_e32 v128, v123, v187
	v_add_f32_e32 v3, v3, v4
	v_mul_f32_e32 v4, v108, v172
	v_fmac_f32_e32 v128, v124, v186
	v_fma_f32 v4, v107, v171, -v4
	v_add_f32_e32 v131, v127, v128
	ds_read_b128 v[127:130], v26 offset:848
	v_add_f32_e32 v3, v3, v4
	v_mul_f32_e32 v4, v110, v174
	v_fma_f32 v4, v109, v173, -v4
	s_waitcnt vmcnt(42)
	v_mul_f32_e32 v132, v125, v190
	v_add_f32_e32 v3, v3, v4
	v_mul_f32_e32 v4, v112, v175
	v_fmac_f32_e32 v132, v126, v189
	v_fma_f32 v4, v111, v176, -v4
	v_add_f32_e32 v135, v131, v132
	ds_read_b128 v[131:134], v26 offset:864
	v_add_f32_e32 v3, v3, v4
	v_mul_f32_e32 v4, v114, v178
	s_waitcnt vmcnt(40) lgkmcnt(1)
	v_mul_f32_e32 v136, v127, v192
	v_fma_f32 v4, v113, v177, -v4
	v_fmac_f32_e32 v136, v128, v191
	v_add_f32_e32 v3, v3, v4
	v_mul_f32_e32 v4, v116, v180
	v_add_f32_e32 v135, v135, v136
	s_waitcnt vmcnt(39)
	v_mul_f32_e32 v136, v129, v193
	v_fma_f32 v4, v115, v179, -v4
	s_waitcnt vmcnt(36)
	v_fmac_f32_e32 v136, v130, v196
	v_add_f32_e32 v3, v3, v4
	v_mul_f32_e32 v4, v118, v182
	v_add_f32_e32 v135, v135, v136
	s_waitcnt lgkmcnt(0)
	v_mul_f32_e32 v136, v131, v195
	v_fma_f32 v4, v117, v181, -v4
	v_fmac_f32_e32 v136, v132, v194
	v_add_f32_e32 v3, v3, v4
	v_mul_f32_e32 v4, v120, v184
	v_add_f32_e32 v139, v135, v136
	ds_read_b128 v[135:138], v26 offset:880
	v_fma_f32 v4, v119, v183, -v4
	v_add_f32_e32 v3, v3, v4
	v_mul_f32_e32 v4, v122, v185
	s_waitcnt vmcnt(34)
	v_mul_f32_e32 v140, v133, v198
	v_fma_f32 v4, v121, v188, -v4
	v_fmac_f32_e32 v140, v134, v197
	v_add_f32_e32 v3, v3, v4
	v_mul_f32_e32 v4, v124, v187
	v_add_f32_e32 v143, v139, v140
	ds_read_b128 v[139:142], v26 offset:896
	v_fma_f32 v4, v123, v186, -v4
	s_waitcnt vmcnt(32) lgkmcnt(1)
	v_mul_f32_e32 v144, v135, v200
	v_add_f32_e32 v3, v3, v4
	v_mul_f32_e32 v4, v126, v190
	v_fmac_f32_e32 v144, v136, v199
	v_fma_f32 v4, v125, v189, -v4
	v_add_f32_e32 v143, v143, v144
	s_waitcnt vmcnt(31)
	v_mul_f32_e32 v144, v137, v201
	v_add_f32_e32 v3, v3, v4
	v_mul_f32_e32 v4, v128, v192
	s_waitcnt vmcnt(28)
	v_fmac_f32_e32 v144, v138, v204
	v_fma_f32 v4, v127, v191, -v4
	v_add_f32_e32 v143, v143, v144
	s_waitcnt lgkmcnt(0)
	v_mul_f32_e32 v144, v139, v203
	v_add_f32_e32 v3, v3, v4
	v_mul_f32_e32 v4, v130, v193
	v_fmac_f32_e32 v144, v140, v202
	v_fma_f32 v4, v129, v196, -v4
	v_add_f32_e32 v147, v143, v144
	ds_read_b128 v[143:146], v26 offset:912
	v_add_f32_e32 v3, v3, v4
	v_mul_f32_e32 v4, v132, v195
	v_fma_f32 v4, v131, v194, -v4
	s_waitcnt vmcnt(26)
	v_mul_f32_e32 v148, v141, v206
	v_add_f32_e32 v3, v3, v4
	v_mul_f32_e32 v4, v134, v198
	v_fmac_f32_e32 v148, v142, v205
	v_fma_f32 v4, v133, v197, -v4
	v_add_f32_e32 v151, v147, v148
	ds_read_b128 v[147:150], v26 offset:928
	v_add_f32_e32 v3, v3, v4
	v_mul_f32_e32 v4, v136, v200
	s_waitcnt vmcnt(24) lgkmcnt(1)
	v_mul_f32_e32 v152, v143, v208
	v_fma_f32 v4, v135, v199, -v4
	v_fmac_f32_e32 v152, v144, v207
	v_add_f32_e32 v3, v3, v4
	v_mul_f32_e32 v4, v138, v201
	v_add_f32_e32 v151, v151, v152
	s_waitcnt vmcnt(23)
	v_mul_f32_e32 v152, v145, v209
	v_fma_f32 v4, v137, v204, -v4
	s_waitcnt vmcnt(20)
	v_fmac_f32_e32 v152, v146, v212
	v_add_f32_e32 v3, v3, v4
	v_mul_f32_e32 v4, v140, v203
	v_add_f32_e32 v151, v151, v152
	s_waitcnt lgkmcnt(0)
	v_mul_f32_e32 v152, v147, v211
	v_fma_f32 v4, v139, v202, -v4
	v_fmac_f32_e32 v152, v148, v210
	v_add_f32_e32 v3, v3, v4
	v_mul_f32_e32 v4, v142, v206
	v_add_f32_e32 v155, v151, v152
	ds_read_b128 v[151:154], v26 offset:944
	v_fma_f32 v4, v141, v205, -v4
	v_add_f32_e32 v3, v3, v4
	v_mul_f32_e32 v4, v144, v208
	s_waitcnt vmcnt(18)
	v_mul_f32_e32 v156, v149, v214
	v_fma_f32 v4, v143, v207, -v4
	v_fmac_f32_e32 v156, v150, v213
	v_add_f32_e32 v3, v3, v4
	v_mul_f32_e32 v4, v146, v209
	v_add_f32_e32 v159, v155, v156
	ds_read_b128 v[155:158], v26 offset:960
	v_fma_f32 v4, v145, v212, -v4
	s_waitcnt vmcnt(16) lgkmcnt(1)
	v_mul_f32_e32 v160, v151, v216
	v_add_f32_e32 v3, v3, v4
	v_mul_f32_e32 v4, v148, v211
	v_fmac_f32_e32 v160, v152, v215
	v_fma_f32 v4, v147, v210, -v4
	v_add_f32_e32 v159, v159, v160
	s_waitcnt vmcnt(15)
	v_mul_f32_e32 v160, v153, v217
	v_add_f32_e32 v3, v3, v4
	v_mul_f32_e32 v4, v150, v214
	s_waitcnt vmcnt(12)
	v_fmac_f32_e32 v160, v154, v220
	v_fma_f32 v4, v149, v213, -v4
	v_add_f32_e32 v159, v159, v160
	s_waitcnt lgkmcnt(0)
	v_mul_f32_e32 v160, v155, v219
	v_add_f32_e32 v3, v3, v4
	v_mul_f32_e32 v4, v152, v216
	v_fmac_f32_e32 v160, v156, v218
	v_fma_f32 v4, v151, v215, -v4
	v_add_f32_e32 v163, v159, v160
	ds_read_b128 v[159:162], v26 offset:976
	v_add_f32_e32 v3, v3, v4
	v_mul_f32_e32 v4, v154, v217
	v_fma_f32 v4, v153, v220, -v4
	v_add_f32_e32 v3, v3, v4
	v_mul_f32_e32 v4, v156, v219
	s_waitcnt vmcnt(10)
	v_mul_f32_e32 v164, v157, v222
	v_fma_f32 v4, v155, v218, -v4
	v_fmac_f32_e32 v164, v158, v221
	v_add_f32_e32 v3, v3, v4
	v_mul_f32_e32 v4, v158, v222
	v_add_f32_e32 v167, v163, v164
	ds_read_b128 v[163:166], v26 offset:992
	s_waitcnt vmcnt(8) lgkmcnt(1)
	v_mul_f32_e32 v168, v159, v224
	v_fma_f32 v4, v157, v221, -v4
	v_fmac_f32_e32 v168, v160, v223
	v_add_f32_e32 v3, v3, v4
	v_mul_f32_e32 v4, v160, v224
	v_add_f32_e32 v167, v167, v168
	s_waitcnt vmcnt(7)
	v_mul_f32_e32 v168, v161, v225
	v_fma_f32 v4, v159, v223, -v4
	s_waitcnt vmcnt(4)
	v_fmac_f32_e32 v168, v162, v228
	v_add_f32_e32 v3, v3, v4
	v_mul_f32_e32 v4, v162, v225
	v_add_f32_e32 v235, v167, v168
	ds_read_b64 v[167:168], v26 offset:1008
	v_fma_f32 v4, v161, v228, -v4
	v_add_f32_e32 v3, v3, v4
	s_waitcnt lgkmcnt(1)
	v_mul_f32_e32 v4, v164, v227
	v_mul_f32_e32 v246, v163, v227
	v_fma_f32 v4, v163, v226, -v4
	v_fmac_f32_e32 v246, v164, v226
	v_add_f32_e32 v3, v3, v4
	s_waitcnt vmcnt(3)
	v_mul_f32_e32 v4, v166, v229
	v_add_f32_e32 v235, v235, v246
	v_mul_f32_e32 v246, v165, v229
	s_waitcnt vmcnt(0)
	v_fma_f32 v4, v165, v234, -v4
	v_fmac_f32_e32 v246, v166, v234
	v_add_f32_e32 v3, v3, v4
	s_waitcnt lgkmcnt(0)
	v_mul_f32_e32 v4, v168, v231
	v_add_f32_e32 v235, v235, v246
	v_mul_f32_e32 v246, v167, v231
	v_fma_f32 v4, v167, v230, -v4
	v_fmac_f32_e32 v246, v168, v230
	v_add_f32_e32 v3, v3, v4
	v_add_f32_e32 v235, v235, v246
	v_sub_f32_e32 v1, v1, v3
	v_sub_f32_e32 v2, v2, v235
	buffer_store_dword v1, off, s[0:3], 0 offset:40
	buffer_store_dword v2, off, s[0:3], 0 offset:44
	s_and_saveexec_b64 s[4:5], vcc
	s_cbranch_execz .LBB62_383
; %bb.382:
	buffer_load_dword v1, off, s[0:3], 0 offset:32
	buffer_load_dword v2, off, s[0:3], 0 offset:36
	s_waitcnt vmcnt(0)
	ds_write_b64 v25, v[1:2]
	buffer_store_dword v26, off, s[0:3], 0 offset:32
	buffer_store_dword v26, off, s[0:3], 0 offset:36
.LBB62_383:
	s_or_b64 exec, exec, s[4:5]
	s_waitcnt lgkmcnt(0)
	; wave barrier
	buffer_load_dword v35, off, s[0:3], 0 offset:44
	buffer_load_dword v34, off, s[0:3], 0 offset:52
	;; [unrolled: 1-line block ×34, first 2 shown]
	ds_read2_b64 v[17:20], v26 offset0:69 offset1:70
	ds_read2_b64 v[9:12], v26 offset0:71 offset1:72
	;; [unrolled: 1-line block ×4, first 2 shown]
	buffer_load_dword v61, off, s[0:3], 0 offset:172
	buffer_load_dword v62, off, s[0:3], 0 offset:176
	;; [unrolled: 1-line block ×6, first 2 shown]
	ds_read2_b64 v[21:24], v26 offset0:77 offset1:78
	ds_read2_b64 v[13:16], v26 offset0:79 offset1:80
	buffer_load_dword v66, off, s[0:3], 0 offset:192
	buffer_load_dword v68, off, s[0:3], 0 offset:196
	;; [unrolled: 1-line block ×16, first 2 shown]
	v_cmp_lt_u32_e32 vcc, 3, v0
	s_waitcnt vmcnt(55) lgkmcnt(5)
	v_mul_f32_e32 v80, v17, v35
	s_waitcnt vmcnt(54)
	v_mul_f32_e32 v81, v19, v34
	s_waitcnt vmcnt(53) lgkmcnt(4)
	v_mul_f32_e32 v82, v9, v33
	s_waitcnt vmcnt(52)
	v_mul_f32_e32 v83, v11, v32
	;; [unrolled: 4-line block ×4, first 2 shown]
	s_waitcnt vmcnt(47) lgkmcnt(1)
	v_mul_f32_e32 v88, v21, v37
	s_waitcnt vmcnt(46)
	v_fmac_f32_e32 v82, v10, v40
	s_waitcnt vmcnt(45)
	v_fmac_f32_e32 v81, v20, v43
	;; [unrolled: 2-line block ×3, first 2 shown]
	v_add_f32_e32 v80, 0, v80
	v_add_f32_e32 v80, v80, v81
	v_add_f32_e32 v80, v80, v82
	s_waitcnt vmcnt(40)
	v_fmac_f32_e32 v83, v12, v44
	v_fmac_f32_e32 v84, v6, v41
	v_add_f32_e32 v80, v80, v83
	v_fmac_f32_e32 v85, v8, v39
	v_add_f32_e32 v80, v80, v84
	;; [unrolled: 2-line block ×3, first 2 shown]
	s_waitcnt vmcnt(36)
	v_fmac_f32_e32 v87, v4, v51
	v_add_f32_e32 v80, v80, v86
	v_fmac_f32_e32 v88, v22, v48
	v_add_f32_e32 v80, v80, v87
	s_waitcnt vmcnt(35)
	v_mul_f32_e32 v81, v23, v49
	v_add_f32_e32 v80, v80, v88
	v_fmac_f32_e32 v81, v24, v45
	v_add_f32_e32 v80, v80, v81
	s_waitcnt vmcnt(34) lgkmcnt(0)
	v_mul_f32_e32 v81, v13, v47
	v_fmac_f32_e32 v81, v14, v42
	v_add_f32_e32 v84, v80, v81
	ds_read2_b64 v[80:83], v26 offset0:81 offset1:82
	buffer_load_dword v175, off, s[0:3], 0 offset:256
	buffer_load_dword v176, off, s[0:3], 0 offset:260
	s_waitcnt vmcnt(35)
	v_mul_f32_e32 v85, v15, v50
	s_waitcnt vmcnt(31)
	v_fmac_f32_e32 v85, v16, v58
	v_add_f32_e32 v88, v84, v85
	ds_read2_b64 v[84:87], v26 offset0:83 offset1:84
	s_waitcnt vmcnt(30) lgkmcnt(1)
	v_mul_f32_e32 v89, v80, v57
	v_fmac_f32_e32 v89, v81, v55
	v_add_f32_e32 v88, v88, v89
	s_waitcnt vmcnt(29)
	v_mul_f32_e32 v89, v82, v56
	v_fmac_f32_e32 v89, v83, v53
	buffer_load_dword v177, off, s[0:3], 0 offset:264
	buffer_load_dword v178, off, s[0:3], 0 offset:268
	v_add_f32_e32 v88, v88, v89
	s_waitcnt vmcnt(30) lgkmcnt(0)
	v_mul_f32_e32 v89, v84, v54
	v_fmac_f32_e32 v89, v85, v52
	s_waitcnt vmcnt(26)
	v_mul_f32_e32 v93, v86, v60
	v_add_f32_e32 v92, v88, v89
	v_fmac_f32_e32 v93, v87, v59
	ds_read2_b64 v[88:91], v26 offset0:85 offset1:86
	v_add_f32_e32 v96, v92, v93
	ds_read2_b64 v[92:95], v26 offset0:87 offset1:88
	buffer_load_dword v179, off, s[0:3], 0 offset:276
	buffer_load_dword v180, off, s[0:3], 0 offset:272
	;; [unrolled: 1-line block ×6, first 2 shown]
	s_waitcnt vmcnt(31) lgkmcnt(1)
	v_mul_f32_e32 v97, v88, v61
	s_waitcnt vmcnt(26)
	v_fmac_f32_e32 v97, v89, v67
	v_add_f32_e32 v96, v96, v97
	v_mul_f32_e32 v97, v90, v63
	v_fmac_f32_e32 v97, v91, v62
	v_add_f32_e32 v96, v96, v97
	s_waitcnt lgkmcnt(0)
	v_mul_f32_e32 v97, v92, v65
	v_fmac_f32_e32 v97, v93, v64
	v_add_f32_e32 v100, v96, v97
	ds_read2_b64 v[96:99], v26 offset0:89 offset1:90
	s_waitcnt vmcnt(24)
	v_mul_f32_e32 v101, v94, v68
	v_fmac_f32_e32 v101, v95, v66
	v_add_f32_e32 v104, v100, v101
	ds_read2_b64 v[100:103], v26 offset0:91 offset1:92
	s_waitcnt vmcnt(22) lgkmcnt(1)
	v_mul_f32_e32 v105, v96, v70
	v_fmac_f32_e32 v105, v97, v69
	buffer_load_dword v185, off, s[0:3], 0 offset:300
	v_add_f32_e32 v104, v104, v105
	s_waitcnt vmcnt(21)
	v_mul_f32_e32 v105, v98, v72
	v_fmac_f32_e32 v105, v99, v71
	v_add_f32_e32 v104, v104, v105
	s_waitcnt vmcnt(19) lgkmcnt(0)
	v_mul_f32_e32 v105, v100, v74
	buffer_load_dword v186, off, s[0:3], 0 offset:296
	buffer_load_dword v187, off, s[0:3], 0 offset:304
	;; [unrolled: 1-line block ×3, first 2 shown]
	v_fmac_f32_e32 v105, v101, v73
	v_add_f32_e32 v108, v104, v105
	ds_read2_b64 v[104:107], v26 offset0:93 offset1:94
	buffer_load_dword v189, off, s[0:3], 0 offset:312
	buffer_load_dword v190, off, s[0:3], 0 offset:316
	s_waitcnt vmcnt(22)
	v_mul_f32_e32 v109, v102, v76
	v_fmac_f32_e32 v109, v103, v75
	v_add_f32_e32 v112, v108, v109
	ds_read2_b64 v[108:111], v26 offset0:95 offset1:96
	buffer_load_dword v191, off, s[0:3], 0 offset:320
	buffer_load_dword v192, off, s[0:3], 0 offset:324
	;; [unrolled: 1-line block ×8, first 2 shown]
	s_waitcnt vmcnt(28) lgkmcnt(1)
	v_mul_f32_e32 v113, v104, v78
	buffer_load_dword v199, off, s[0:3], 0 offset:352
	buffer_load_dword v200, off, s[0:3], 0 offset:356
	v_fmac_f32_e32 v113, v105, v77
	v_add_f32_e32 v112, v112, v113
	s_waitcnt vmcnt(28)
	v_mul_f32_e32 v113, v106, v172
	v_fmac_f32_e32 v113, v107, v79
	v_add_f32_e32 v112, v112, v113
	s_waitcnt vmcnt(26) lgkmcnt(0)
	v_mul_f32_e32 v113, v108, v174
	v_fmac_f32_e32 v113, v109, v173
	v_add_f32_e32 v116, v112, v113
	ds_read2_b64 v[112:115], v26 offset0:97 offset1:98
	buffer_load_dword v201, off, s[0:3], 0 offset:360
	buffer_load_dword v202, off, s[0:3], 0 offset:364
	;; [unrolled: 1-line block ×6, first 2 shown]
	v_mul_f32_e32 v18, v18, v35
	v_fma_f32 v17, v17, v46, -v18
	v_mul_f32_e32 v18, v20, v34
	v_add_f32_e32 v17, 0, v17
	v_fma_f32 v18, v19, v43, -v18
	v_mul_f32_e32 v10, v10, v33
	v_add_f32_e32 v17, v17, v18
	;; [unrolled: 3-line block ×4, first 2 shown]
	s_waitcnt vmcnt(30)
	v_mul_f32_e32 v117, v110, v176
	v_fmac_f32_e32 v117, v111, v175
	v_add_f32_e32 v120, v116, v117
	ds_read2_b64 v[116:119], v26 offset0:99 offset1:100
	buffer_load_dword v207, off, s[0:3], 0 offset:384
	buffer_load_dword v208, off, s[0:3], 0 offset:388
	;; [unrolled: 1-line block ×10, first 2 shown]
	v_fma_f32 v5, v5, v41, -v6
	v_mul_f32_e32 v6, v8, v30
	v_add_f32_e32 v5, v9, v5
	v_fma_f32 v6, v7, v39, -v6
	v_mul_f32_e32 v2, v2, v29
	v_add_f32_e32 v5, v5, v6
	v_fma_f32 v1, v1, v38, -v2
	v_mul_f32_e32 v2, v4, v36
	s_waitcnt vmcnt(38) lgkmcnt(1)
	v_mul_f32_e32 v121, v112, v178
	buffer_load_dword v217, off, s[0:3], 0 offset:424
	buffer_load_dword v218, off, s[0:3], 0 offset:428
	;; [unrolled: 1-line block ×6, first 2 shown]
	v_add_f32_e32 v1, v5, v1
	v_fma_f32 v2, v3, v51, -v2
	v_fmac_f32_e32 v121, v113, v177
	v_add_f32_e32 v1, v1, v2
	v_mul_f32_e32 v2, v22, v37
	v_add_f32_e32 v120, v120, v121
	s_waitcnt vmcnt(43)
	v_mul_f32_e32 v121, v114, v179
	v_fma_f32 v2, v21, v48, -v2
	s_waitcnt vmcnt(42)
	v_fmac_f32_e32 v121, v115, v180
	v_add_f32_e32 v1, v1, v2
	v_mul_f32_e32 v2, v24, v49
	v_add_f32_e32 v120, v120, v121
	s_waitcnt vmcnt(40) lgkmcnt(0)
	v_mul_f32_e32 v121, v116, v182
	v_fma_f32 v2, v23, v45, -v2
	v_fmac_f32_e32 v121, v117, v181
	v_add_f32_e32 v1, v1, v2
	v_mul_f32_e32 v2, v14, v47
	v_add_f32_e32 v124, v120, v121
	ds_read2_b64 v[120:123], v26 offset0:101 offset1:102
	buffer_load_dword v223, off, s[0:3], 0 offset:448
	buffer_load_dword v224, off, s[0:3], 0 offset:452
	v_fma_f32 v2, v13, v42, -v2
	v_add_f32_e32 v1, v1, v2
	v_mul_f32_e32 v2, v16, v50
	v_fma_f32 v2, v15, v58, -v2
	s_waitcnt vmcnt(40)
	v_mul_f32_e32 v125, v118, v184
	v_add_f32_e32 v1, v1, v2
	v_mul_f32_e32 v2, v81, v57
	v_fmac_f32_e32 v125, v119, v183
	v_fma_f32 v2, v80, v55, -v2
	v_add_f32_e32 v128, v124, v125
	ds_read2_b64 v[124:127], v26 offset0:103 offset1:104
	buffer_load_dword v225, off, s[0:3], 0 offset:456
	buffer_load_dword v226, off, s[0:3], 0 offset:460
	;; [unrolled: 1-line block ×6, first 2 shown]
	v_add_f32_e32 v1, v1, v2
	v_mul_f32_e32 v2, v83, v56
	v_fma_f32 v2, v82, v53, -v2
	v_add_f32_e32 v1, v1, v2
	v_mul_f32_e32 v2, v85, v54
	v_fma_f32 v2, v84, v52, -v2
	v_add_f32_e32 v1, v1, v2
	v_mul_f32_e32 v2, v87, v60
	v_fma_f32 v2, v86, v59, -v2
	v_add_f32_e32 v1, v1, v2
	v_mul_f32_e32 v2, v89, v61
	buffer_load_dword v231, off, s[0:3], 0 offset:480
	buffer_load_dword v234, off, s[0:3], 0 offset:484
	;; [unrolled: 1-line block ×6, first 2 shown]
	v_fma_f32 v2, v88, v67, -v2
	v_add_f32_e32 v1, v1, v2
	v_mul_f32_e32 v2, v91, v63
	v_fma_f32 v2, v90, v62, -v2
	v_add_f32_e32 v1, v1, v2
	v_mul_f32_e32 v2, v93, v65
	;; [unrolled: 3-line block ×7, first 2 shown]
	v_fma_f32 v2, v102, v75, -v2
	s_waitcnt vmcnt(51) lgkmcnt(1)
	v_mul_f32_e32 v129, v120, v185
	v_add_f32_e32 v1, v1, v2
	v_mul_f32_e32 v2, v105, v78
	s_waitcnt vmcnt(50)
	v_fmac_f32_e32 v129, v121, v186
	v_fma_f32 v2, v104, v77, -v2
	v_add_f32_e32 v128, v128, v129
	s_waitcnt vmcnt(48)
	v_mul_f32_e32 v129, v122, v188
	v_add_f32_e32 v1, v1, v2
	v_mul_f32_e32 v2, v107, v172
	v_fmac_f32_e32 v129, v123, v187
	v_fma_f32 v2, v106, v79, -v2
	v_add_f32_e32 v128, v128, v129
	s_waitcnt vmcnt(46) lgkmcnt(0)
	v_mul_f32_e32 v129, v124, v190
	v_add_f32_e32 v1, v1, v2
	v_mul_f32_e32 v2, v109, v174
	v_fmac_f32_e32 v129, v125, v189
	v_fma_f32 v2, v108, v173, -v2
	v_add_f32_e32 v132, v128, v129
	ds_read2_b64 v[128:131], v26 offset0:105 offset1:106
	v_add_f32_e32 v1, v1, v2
	v_mul_f32_e32 v2, v111, v176
	v_fma_f32 v2, v110, v175, -v2
	s_waitcnt vmcnt(44)
	v_mul_f32_e32 v133, v126, v192
	v_add_f32_e32 v1, v1, v2
	v_mul_f32_e32 v2, v113, v178
	v_fmac_f32_e32 v133, v127, v191
	v_fma_f32 v2, v112, v177, -v2
	v_add_f32_e32 v136, v132, v133
	ds_read2_b64 v[132:135], v26 offset0:107 offset1:108
	v_add_f32_e32 v1, v1, v2
	v_mul_f32_e32 v2, v115, v179
	s_waitcnt vmcnt(42) lgkmcnt(1)
	v_mul_f32_e32 v137, v128, v194
	v_fma_f32 v2, v114, v180, -v2
	v_fmac_f32_e32 v137, v129, v193
	v_add_f32_e32 v1, v1, v2
	v_mul_f32_e32 v2, v117, v182
	v_add_f32_e32 v136, v136, v137
	s_waitcnt vmcnt(41)
	v_mul_f32_e32 v137, v130, v195
	v_fma_f32 v2, v116, v181, -v2
	s_waitcnt vmcnt(38)
	v_fmac_f32_e32 v137, v131, v198
	v_add_f32_e32 v1, v1, v2
	v_mul_f32_e32 v2, v119, v184
	v_add_f32_e32 v136, v136, v137
	s_waitcnt lgkmcnt(0)
	v_mul_f32_e32 v137, v132, v197
	v_fma_f32 v2, v118, v183, -v2
	v_fmac_f32_e32 v137, v133, v196
	v_add_f32_e32 v1, v1, v2
	v_mul_f32_e32 v2, v121, v185
	v_add_f32_e32 v140, v136, v137
	ds_read2_b64 v[136:139], v26 offset0:109 offset1:110
	v_fma_f32 v2, v120, v186, -v2
	v_add_f32_e32 v1, v1, v2
	v_mul_f32_e32 v2, v123, v188
	s_waitcnt vmcnt(36)
	v_mul_f32_e32 v141, v134, v200
	v_fma_f32 v2, v122, v187, -v2
	v_fmac_f32_e32 v141, v135, v199
	v_add_f32_e32 v1, v1, v2
	v_mul_f32_e32 v2, v125, v190
	v_add_f32_e32 v144, v140, v141
	ds_read2_b64 v[140:143], v26 offset0:111 offset1:112
	v_fma_f32 v2, v124, v189, -v2
	s_waitcnt vmcnt(34) lgkmcnt(1)
	v_mul_f32_e32 v145, v136, v202
	v_add_f32_e32 v1, v1, v2
	v_mul_f32_e32 v2, v127, v192
	v_fmac_f32_e32 v145, v137, v201
	v_fma_f32 v2, v126, v191, -v2
	v_add_f32_e32 v144, v144, v145
	s_waitcnt vmcnt(33)
	v_mul_f32_e32 v145, v138, v203
	v_add_f32_e32 v1, v1, v2
	v_mul_f32_e32 v2, v129, v194
	s_waitcnt vmcnt(30)
	v_fmac_f32_e32 v145, v139, v206
	v_fma_f32 v2, v128, v193, -v2
	v_add_f32_e32 v144, v144, v145
	s_waitcnt lgkmcnt(0)
	v_mul_f32_e32 v145, v140, v205
	v_add_f32_e32 v1, v1, v2
	v_mul_f32_e32 v2, v131, v195
	v_fmac_f32_e32 v145, v141, v204
	v_fma_f32 v2, v130, v198, -v2
	v_add_f32_e32 v148, v144, v145
	ds_read2_b64 v[144:147], v26 offset0:113 offset1:114
	v_add_f32_e32 v1, v1, v2
	v_mul_f32_e32 v2, v133, v197
	v_fma_f32 v2, v132, v196, -v2
	s_waitcnt vmcnt(28)
	v_mul_f32_e32 v149, v142, v208
	v_add_f32_e32 v1, v1, v2
	v_mul_f32_e32 v2, v135, v200
	v_fmac_f32_e32 v149, v143, v207
	v_fma_f32 v2, v134, v199, -v2
	v_add_f32_e32 v152, v148, v149
	ds_read2_b64 v[148:151], v26 offset0:115 offset1:116
	v_add_f32_e32 v1, v1, v2
	v_mul_f32_e32 v2, v137, v202
	s_waitcnt vmcnt(26) lgkmcnt(1)
	v_mul_f32_e32 v153, v144, v210
	v_fma_f32 v2, v136, v201, -v2
	v_fmac_f32_e32 v153, v145, v209
	v_add_f32_e32 v1, v1, v2
	v_mul_f32_e32 v2, v139, v203
	v_add_f32_e32 v152, v152, v153
	s_waitcnt vmcnt(25)
	v_mul_f32_e32 v153, v146, v211
	v_fma_f32 v2, v138, v206, -v2
	s_waitcnt vmcnt(22)
	v_fmac_f32_e32 v153, v147, v214
	v_add_f32_e32 v1, v1, v2
	v_mul_f32_e32 v2, v141, v205
	v_add_f32_e32 v152, v152, v153
	s_waitcnt lgkmcnt(0)
	v_mul_f32_e32 v153, v148, v213
	v_fma_f32 v2, v140, v204, -v2
	v_fmac_f32_e32 v153, v149, v212
	v_add_f32_e32 v1, v1, v2
	v_mul_f32_e32 v2, v143, v208
	v_add_f32_e32 v156, v152, v153
	ds_read2_b64 v[152:155], v26 offset0:117 offset1:118
	v_fma_f32 v2, v142, v207, -v2
	v_add_f32_e32 v1, v1, v2
	v_mul_f32_e32 v2, v145, v210
	s_waitcnt vmcnt(20)
	v_mul_f32_e32 v157, v150, v216
	v_fma_f32 v2, v144, v209, -v2
	v_fmac_f32_e32 v157, v151, v215
	v_add_f32_e32 v1, v1, v2
	v_mul_f32_e32 v2, v147, v211
	v_add_f32_e32 v160, v156, v157
	ds_read2_b64 v[156:159], v26 offset0:119 offset1:120
	v_fma_f32 v2, v146, v214, -v2
	s_waitcnt vmcnt(18) lgkmcnt(1)
	v_mul_f32_e32 v161, v152, v218
	v_add_f32_e32 v1, v1, v2
	v_mul_f32_e32 v2, v149, v213
	v_fmac_f32_e32 v161, v153, v217
	v_fma_f32 v2, v148, v212, -v2
	v_add_f32_e32 v160, v160, v161
	s_waitcnt vmcnt(17)
	v_mul_f32_e32 v161, v154, v219
	v_add_f32_e32 v1, v1, v2
	v_mul_f32_e32 v2, v151, v216
	s_waitcnt vmcnt(14)
	v_fmac_f32_e32 v161, v155, v222
	v_fma_f32 v2, v150, v215, -v2
	v_add_f32_e32 v160, v160, v161
	s_waitcnt lgkmcnt(0)
	v_mul_f32_e32 v161, v156, v221
	v_add_f32_e32 v1, v1, v2
	v_mul_f32_e32 v2, v153, v218
	v_fmac_f32_e32 v161, v157, v220
	v_fma_f32 v2, v152, v217, -v2
	v_add_f32_e32 v164, v160, v161
	ds_read2_b64 v[160:163], v26 offset0:121 offset1:122
	v_add_f32_e32 v1, v1, v2
	v_mul_f32_e32 v2, v155, v219
	v_fma_f32 v2, v154, v222, -v2
	v_add_f32_e32 v1, v1, v2
	v_mul_f32_e32 v2, v157, v221
	s_waitcnt vmcnt(12)
	v_mul_f32_e32 v165, v158, v224
	v_fma_f32 v2, v156, v220, -v2
	v_fmac_f32_e32 v165, v159, v223
	v_add_f32_e32 v1, v1, v2
	v_mul_f32_e32 v2, v159, v224
	v_add_f32_e32 v168, v164, v165
	ds_read2_b64 v[164:167], v26 offset0:123 offset1:124
	s_waitcnt vmcnt(10) lgkmcnt(1)
	v_mul_f32_e32 v169, v160, v226
	v_fma_f32 v2, v158, v223, -v2
	v_fmac_f32_e32 v169, v161, v225
	v_add_f32_e32 v1, v1, v2
	v_mul_f32_e32 v2, v161, v226
	v_add_f32_e32 v168, v168, v169
	s_waitcnt vmcnt(9)
	v_mul_f32_e32 v169, v162, v227
	v_fma_f32 v2, v160, v225, -v2
	s_waitcnt vmcnt(6)
	v_fmac_f32_e32 v169, v163, v230
	v_add_f32_e32 v1, v1, v2
	v_mul_f32_e32 v2, v163, v227
	v_add_f32_e32 v249, v168, v169
	ds_read2_b64 v[168:171], v26 offset0:125 offset1:126
	v_fma_f32 v2, v162, v230, -v2
	v_add_f32_e32 v1, v1, v2
	s_waitcnt lgkmcnt(1)
	v_mul_f32_e32 v2, v165, v229
	v_mul_f32_e32 v250, v164, v229
	v_fma_f32 v2, v164, v228, -v2
	v_fmac_f32_e32 v250, v165, v228
	v_add_f32_e32 v1, v1, v2
	s_waitcnt vmcnt(4)
	v_mul_f32_e32 v2, v167, v234
	v_add_f32_e32 v26, v249, v250
	v_mul_f32_e32 v249, v166, v234
	v_fma_f32 v2, v166, v231, -v2
	v_fmac_f32_e32 v249, v167, v231
	v_add_f32_e32 v1, v1, v2
	s_waitcnt vmcnt(3) lgkmcnt(0)
	v_mul_f32_e32 v2, v169, v235
	v_add_f32_e32 v26, v26, v249
	v_mul_f32_e32 v249, v168, v235
	s_waitcnt vmcnt(0)
	v_fma_f32 v2, v168, v248, -v2
	v_fmac_f32_e32 v249, v169, v248
	v_add_f32_e32 v1, v1, v2
	v_mul_f32_e32 v2, v171, v247
	v_add_f32_e32 v26, v26, v249
	v_mul_f32_e32 v249, v170, v247
	v_fma_f32 v2, v170, v246, -v2
	v_fmac_f32_e32 v249, v171, v246
	v_add_f32_e32 v1, v1, v2
	v_add_f32_e32 v26, v26, v249
	v_sub_f32_e32 v1, v27, v1
	v_sub_f32_e32 v2, v28, v26
	buffer_store_dword v1, off, s[0:3], 0 offset:32
	buffer_store_dword v2, off, s[0:3], 0 offset:36
	s_and_saveexec_b64 s[4:5], vcc
	s_cbranch_execz .LBB62_385
; %bb.384:
	buffer_load_dword v1, off, s[0:3], 0 offset:24
	buffer_load_dword v2, off, s[0:3], 0 offset:28
	v_mov_b32_e32 v3, 0
	buffer_store_dword v3, off, s[0:3], 0 offset:24
	buffer_store_dword v3, off, s[0:3], 0 offset:28
	s_waitcnt vmcnt(2)
	ds_write_b64 v25, v[1:2]
.LBB62_385:
	s_or_b64 exec, exec, s[4:5]
	s_waitcnt lgkmcnt(0)
	; wave barrier
	buffer_load_dword v9, off, s[0:3], 0 offset:36
	buffer_load_dword v8, off, s[0:3], 0 offset:44
	;; [unrolled: 1-line block ×56, first 2 shown]
	v_mov_b32_e32 v26, 0
	ds_read_b128 v[59:62], v26 offset:544
	ds_read_b128 v[63:66], v26 offset:560
	;; [unrolled: 1-line block ×6, first 2 shown]
	buffer_load_dword v177, off, s[0:3], 0 offset:248
	buffer_load_dword v178, off, s[0:3], 0 offset:252
	v_cmp_lt_u32_e32 vcc, 2, v0
	s_waitcnt vmcnt(57) lgkmcnt(5)
	v_mul_f32_e32 v83, v59, v9
	s_waitcnt vmcnt(56)
	v_mul_f32_e32 v84, v61, v8
	s_waitcnt vmcnt(55) lgkmcnt(4)
	v_mul_f32_e32 v85, v63, v7
	s_waitcnt vmcnt(54)
	v_mul_f32_e32 v86, v65, v6
	;; [unrolled: 4-line block ×4, first 2 shown]
	s_waitcnt vmcnt(49) lgkmcnt(1)
	v_mul_f32_e32 v91, v75, v11
	s_waitcnt vmcnt(48)
	v_fmac_f32_e32 v85, v64, v14
	s_waitcnt vmcnt(47)
	v_fmac_f32_e32 v84, v62, v17
	;; [unrolled: 2-line block ×3, first 2 shown]
	v_add_f32_e32 v83, 0, v83
	v_add_f32_e32 v83, v83, v84
	;; [unrolled: 1-line block ×3, first 2 shown]
	s_waitcnt vmcnt(42)
	v_fmac_f32_e32 v86, v66, v18
	v_fmac_f32_e32 v87, v68, v15
	v_add_f32_e32 v83, v83, v86
	v_fmac_f32_e32 v88, v70, v13
	v_add_f32_e32 v83, v83, v87
	;; [unrolled: 2-line block ×3, first 2 shown]
	s_waitcnt vmcnt(38)
	v_fmac_f32_e32 v90, v74, v27
	v_add_f32_e32 v83, v83, v89
	v_add_f32_e32 v83, v83, v90
	v_fmac_f32_e32 v91, v76, v22
	s_waitcnt vmcnt(37)
	v_mul_f32_e32 v84, v77, v23
	v_add_f32_e32 v83, v83, v91
	v_fmac_f32_e32 v84, v78, v19
	v_add_f32_e32 v83, v83, v84
	s_waitcnt vmcnt(36) lgkmcnt(0)
	v_mul_f32_e32 v84, v79, v21
	v_fmac_f32_e32 v84, v80, v16
	v_add_f32_e32 v87, v83, v84
	ds_read_b128 v[83:86], v26 offset:640
	s_waitcnt vmcnt(35)
	v_mul_f32_e32 v88, v81, v24
	s_waitcnt vmcnt(30)
	v_fmac_f32_e32 v88, v82, v35
	v_add_f32_e32 v91, v87, v88
	ds_read_b128 v[87:90], v26 offset:656
	s_waitcnt vmcnt(29) lgkmcnt(1)
	v_mul_f32_e32 v92, v83, v34
	v_fmac_f32_e32 v92, v84, v31
	buffer_load_dword v179, off, s[0:3], 0 offset:256
	buffer_load_dword v180, off, s[0:3], 0 offset:260
	v_add_f32_e32 v91, v91, v92
	s_waitcnt vmcnt(30)
	v_mul_f32_e32 v92, v85, v32
	v_fmac_f32_e32 v92, v86, v30
	v_add_f32_e32 v91, v91, v92
	s_waitcnt lgkmcnt(0)
	v_mul_f32_e32 v92, v87, v29
	buffer_load_dword v181, off, s[0:3], 0 offset:264
	buffer_load_dword v182, off, s[0:3], 0 offset:268
	v_fmac_f32_e32 v92, v88, v28
	v_add_f32_e32 v95, v91, v92
	ds_read_b128 v[91:94], v26 offset:672
	buffer_load_dword v183, off, s[0:3], 0 offset:272
	buffer_load_dword v184, off, s[0:3], 0 offset:276
	s_waitcnt vmcnt(30)
	v_mul_f32_e32 v96, v89, v36
	v_fmac_f32_e32 v96, v90, v33
	v_add_f32_e32 v99, v95, v96
	ds_read_b128 v[95:98], v26 offset:688
	buffer_load_dword v185, off, s[0:3], 0 offset:280
	buffer_load_dword v186, off, s[0:3], 0 offset:284
	s_waitcnt vmcnt(30) lgkmcnt(1)
	v_mul_f32_e32 v100, v91, v38
	v_fmac_f32_e32 v100, v92, v37
	v_add_f32_e32 v99, v99, v100
	s_waitcnt vmcnt(28)
	v_mul_f32_e32 v100, v93, v40
	v_fmac_f32_e32 v100, v94, v39
	v_add_f32_e32 v99, v99, v100
	s_waitcnt vmcnt(26) lgkmcnt(0)
	v_mul_f32_e32 v100, v95, v42
	v_fmac_f32_e32 v100, v96, v41
	v_add_f32_e32 v103, v99, v100
	ds_read_b128 v[99:102], v26 offset:704
	s_waitcnt vmcnt(24)
	v_mul_f32_e32 v104, v97, v44
	v_fmac_f32_e32 v104, v98, v43
	v_add_f32_e32 v107, v103, v104
	buffer_load_dword v187, off, s[0:3], 0 offset:288
	buffer_load_dword v188, off, s[0:3], 0 offset:292
	ds_read_b128 v[103:106], v26 offset:720
	s_waitcnt vmcnt(24) lgkmcnt(1)
	v_mul_f32_e32 v108, v99, v46
	v_fmac_f32_e32 v108, v100, v45
	v_add_f32_e32 v107, v107, v108
	s_waitcnt vmcnt(22)
	v_mul_f32_e32 v108, v101, v48
	v_fmac_f32_e32 v108, v102, v47
	buffer_load_dword v189, off, s[0:3], 0 offset:300
	buffer_load_dword v190, off, s[0:3], 0 offset:296
	;; [unrolled: 1-line block ×4, first 2 shown]
	v_add_f32_e32 v107, v107, v108
	s_waitcnt vmcnt(24) lgkmcnt(0)
	v_mul_f32_e32 v108, v103, v50
	v_fmac_f32_e32 v108, v104, v49
	s_waitcnt vmcnt(22)
	v_mul_f32_e32 v112, v105, v52
	v_add_f32_e32 v111, v107, v108
	v_fmac_f32_e32 v112, v106, v51
	ds_read_b128 v[107:110], v26 offset:736
	v_add_f32_e32 v115, v111, v112
	ds_read_b128 v[111:114], v26 offset:752
	buffer_load_dword v193, off, s[0:3], 0 offset:312
	buffer_load_dword v194, off, s[0:3], 0 offset:316
	;; [unrolled: 1-line block ×8, first 2 shown]
	s_waitcnt vmcnt(28) lgkmcnt(1)
	v_mul_f32_e32 v116, v107, v54
	buffer_load_dword v201, off, s[0:3], 0 offset:344
	buffer_load_dword v202, off, s[0:3], 0 offset:348
	v_fmac_f32_e32 v116, v108, v53
	v_add_f32_e32 v115, v115, v116
	s_waitcnt vmcnt(28)
	v_mul_f32_e32 v116, v109, v56
	v_fmac_f32_e32 v116, v110, v55
	v_add_f32_e32 v115, v115, v116
	s_waitcnt vmcnt(26) lgkmcnt(0)
	v_mul_f32_e32 v116, v111, v58
	v_fmac_f32_e32 v116, v112, v57
	v_add_f32_e32 v119, v115, v116
	ds_read_b128 v[115:118], v26 offset:768
	buffer_load_dword v203, off, s[0:3], 0 offset:352
	buffer_load_dword v204, off, s[0:3], 0 offset:356
	;; [unrolled: 1-line block ×6, first 2 shown]
	s_waitcnt vmcnt(30)
	v_mul_f32_e32 v120, v113, v178
	v_fmac_f32_e32 v120, v114, v177
	v_add_f32_e32 v123, v119, v120
	ds_read_b128 v[119:122], v26 offset:784
	buffer_load_dword v209, off, s[0:3], 0 offset:376
	buffer_load_dword v210, off, s[0:3], 0 offset:380
	;; [unrolled: 1-line block ×8, first 2 shown]
	v_mul_f32_e32 v9, v60, v9
	buffer_load_dword v217, off, s[0:3], 0 offset:408
	buffer_load_dword v218, off, s[0:3], 0 offset:412
	v_fma_f32 v9, v59, v20, -v9
	v_mul_f32_e32 v8, v62, v8
	v_add_f32_e32 v9, 0, v9
	v_fma_f32 v8, v61, v17, -v8
	v_mul_f32_e32 v7, v64, v7
	v_add_f32_e32 v8, v9, v8
	v_fma_f32 v7, v63, v14, -v7
	v_mul_f32_e32 v6, v66, v6
	v_add_f32_e32 v7, v8, v7
	v_fma_f32 v6, v65, v18, -v6
	v_mul_f32_e32 v5, v68, v5
	v_add_f32_e32 v6, v7, v6
	s_waitcnt vmcnt(38) lgkmcnt(1)
	v_mul_f32_e32 v124, v115, v180
	v_fmac_f32_e32 v124, v116, v179
	v_add_f32_e32 v123, v123, v124
	v_fma_f32 v5, v67, v15, -v5
	v_mul_f32_e32 v4, v70, v4
	v_add_f32_e32 v5, v6, v5
	s_waitcnt vmcnt(36)
	v_mul_f32_e32 v124, v117, v182
	v_fmac_f32_e32 v124, v118, v181
	v_add_f32_e32 v123, v123, v124
	v_fma_f32 v4, v69, v13, -v4
	s_waitcnt vmcnt(34) lgkmcnt(0)
	v_mul_f32_e32 v124, v119, v184
	v_fmac_f32_e32 v124, v120, v183
	v_mul_f32_e32 v3, v72, v3
	v_add_f32_e32 v127, v123, v124
	ds_read_b128 v[123:126], v26 offset:800
	buffer_load_dword v219, off, s[0:3], 0 offset:416
	buffer_load_dword v220, off, s[0:3], 0 offset:420
	;; [unrolled: 1-line block ×6, first 2 shown]
	v_add_f32_e32 v4, v5, v4
	v_fma_f32 v3, v71, v12, -v3
	v_add_f32_e32 v3, v4, v3
	v_mul_f32_e32 v4, v74, v10
	v_fma_f32 v4, v73, v27, -v4
	s_waitcnt vmcnt(38)
	v_mul_f32_e32 v128, v121, v186
	v_add_f32_e32 v3, v3, v4
	v_mul_f32_e32 v4, v76, v11
	v_fmac_f32_e32 v128, v122, v185
	v_fma_f32 v4, v75, v22, -v4
	v_add_f32_e32 v131, v127, v128
	ds_read_b128 v[127:130], v26 offset:816
	buffer_load_dword v225, off, s[0:3], 0 offset:440
	buffer_load_dword v226, off, s[0:3], 0 offset:444
	v_add_f32_e32 v3, v3, v4
	v_mul_f32_e32 v4, v78, v23
	v_fma_f32 v4, v77, v19, -v4
	v_add_f32_e32 v3, v3, v4
	v_mul_f32_e32 v4, v80, v21
	v_fma_f32 v4, v79, v16, -v4
	v_add_f32_e32 v3, v3, v4
	v_mul_f32_e32 v4, v82, v24
	v_fma_f32 v4, v81, v35, -v4
	buffer_load_dword v227, off, s[0:3], 0 offset:448
	buffer_load_dword v228, off, s[0:3], 0 offset:452
	;; [unrolled: 1-line block ×6, first 2 shown]
	v_add_f32_e32 v3, v3, v4
	v_mul_f32_e32 v4, v84, v34
	v_fma_f32 v4, v83, v31, -v4
	v_add_f32_e32 v3, v3, v4
	v_mul_f32_e32 v4, v86, v32
	v_fma_f32 v4, v85, v30, -v4
	v_add_f32_e32 v3, v3, v4
	v_mul_f32_e32 v4, v88, v29
	buffer_load_dword v235, off, s[0:3], 0 offset:472
	buffer_load_dword v246, off, s[0:3], 0 offset:476
	v_fma_f32 v4, v87, v28, -v4
	v_add_f32_e32 v3, v3, v4
	v_mul_f32_e32 v4, v90, v36
	v_fma_f32 v4, v89, v33, -v4
	v_add_f32_e32 v3, v3, v4
	v_mul_f32_e32 v4, v92, v38
	;; [unrolled: 3-line block ×3, first 2 shown]
	buffer_load_dword v247, off, s[0:3], 0 offset:480
	buffer_load_dword v248, off, s[0:3], 0 offset:484
	;; [unrolled: 1-line block ×6, first 2 shown]
	v_fma_f32 v4, v93, v39, -v4
	v_add_f32_e32 v3, v3, v4
	v_mul_f32_e32 v4, v96, v42
	v_fma_f32 v4, v95, v41, -v4
	v_add_f32_e32 v3, v3, v4
	v_mul_f32_e32 v4, v98, v44
	;; [unrolled: 3-line block ×5, first 2 shown]
	v_fma_f32 v4, v103, v49, -v4
	s_waitcnt vmcnt(52) lgkmcnt(1)
	v_mul_f32_e32 v132, v123, v188
	v_add_f32_e32 v3, v3, v4
	v_mul_f32_e32 v4, v106, v52
	v_fmac_f32_e32 v132, v124, v187
	v_fma_f32 v4, v105, v51, -v4
	v_add_f32_e32 v131, v131, v132
	s_waitcnt vmcnt(51)
	v_mul_f32_e32 v132, v125, v189
	v_add_f32_e32 v3, v3, v4
	v_mul_f32_e32 v4, v108, v54
	s_waitcnt vmcnt(50)
	v_fmac_f32_e32 v132, v126, v190
	v_fma_f32 v4, v107, v53, -v4
	v_add_f32_e32 v131, v131, v132
	s_waitcnt vmcnt(48) lgkmcnt(0)
	v_mul_f32_e32 v132, v127, v192
	v_add_f32_e32 v3, v3, v4
	v_mul_f32_e32 v4, v110, v56
	v_fmac_f32_e32 v132, v128, v191
	v_fma_f32 v4, v109, v55, -v4
	v_add_f32_e32 v135, v131, v132
	ds_read_b128 v[131:134], v26 offset:832
	v_add_f32_e32 v3, v3, v4
	v_mul_f32_e32 v4, v112, v58
	v_fma_f32 v4, v111, v57, -v4
	s_waitcnt vmcnt(46)
	v_mul_f32_e32 v136, v129, v194
	v_add_f32_e32 v3, v3, v4
	v_mul_f32_e32 v4, v114, v178
	v_fmac_f32_e32 v136, v130, v193
	v_fma_f32 v4, v113, v177, -v4
	v_add_f32_e32 v139, v135, v136
	ds_read_b128 v[135:138], v26 offset:848
	v_add_f32_e32 v3, v3, v4
	v_mul_f32_e32 v4, v116, v180
	s_waitcnt vmcnt(44) lgkmcnt(1)
	v_mul_f32_e32 v140, v131, v196
	v_fma_f32 v4, v115, v179, -v4
	v_fmac_f32_e32 v140, v132, v195
	v_add_f32_e32 v3, v3, v4
	v_mul_f32_e32 v4, v118, v182
	v_add_f32_e32 v139, v139, v140
	s_waitcnt vmcnt(43)
	v_mul_f32_e32 v140, v133, v197
	v_fma_f32 v4, v117, v181, -v4
	s_waitcnt vmcnt(40)
	v_fmac_f32_e32 v140, v134, v200
	v_add_f32_e32 v3, v3, v4
	v_mul_f32_e32 v4, v120, v184
	v_add_f32_e32 v139, v139, v140
	s_waitcnt lgkmcnt(0)
	v_mul_f32_e32 v140, v135, v199
	v_fma_f32 v4, v119, v183, -v4
	v_fmac_f32_e32 v140, v136, v198
	v_add_f32_e32 v3, v3, v4
	v_mul_f32_e32 v4, v122, v186
	v_add_f32_e32 v143, v139, v140
	ds_read_b128 v[139:142], v26 offset:864
	v_fma_f32 v4, v121, v185, -v4
	v_add_f32_e32 v3, v3, v4
	v_mul_f32_e32 v4, v124, v188
	s_waitcnt vmcnt(38)
	v_mul_f32_e32 v144, v137, v202
	v_fma_f32 v4, v123, v187, -v4
	v_fmac_f32_e32 v144, v138, v201
	v_add_f32_e32 v3, v3, v4
	v_mul_f32_e32 v4, v126, v189
	v_add_f32_e32 v147, v143, v144
	ds_read_b128 v[143:146], v26 offset:880
	v_fma_f32 v4, v125, v190, -v4
	s_waitcnt vmcnt(36) lgkmcnt(1)
	v_mul_f32_e32 v148, v139, v204
	v_add_f32_e32 v3, v3, v4
	v_mul_f32_e32 v4, v128, v192
	v_fmac_f32_e32 v148, v140, v203
	v_fma_f32 v4, v127, v191, -v4
	v_add_f32_e32 v147, v147, v148
	s_waitcnt vmcnt(35)
	v_mul_f32_e32 v148, v141, v205
	v_add_f32_e32 v3, v3, v4
	v_mul_f32_e32 v4, v130, v194
	s_waitcnt vmcnt(32)
	v_fmac_f32_e32 v148, v142, v208
	v_fma_f32 v4, v129, v193, -v4
	v_add_f32_e32 v147, v147, v148
	s_waitcnt lgkmcnt(0)
	v_mul_f32_e32 v148, v143, v207
	v_add_f32_e32 v3, v3, v4
	v_mul_f32_e32 v4, v132, v196
	v_fmac_f32_e32 v148, v144, v206
	v_fma_f32 v4, v131, v195, -v4
	v_add_f32_e32 v151, v147, v148
	ds_read_b128 v[147:150], v26 offset:896
	v_add_f32_e32 v3, v3, v4
	v_mul_f32_e32 v4, v134, v197
	v_fma_f32 v4, v133, v200, -v4
	s_waitcnt vmcnt(30)
	v_mul_f32_e32 v152, v145, v210
	v_add_f32_e32 v3, v3, v4
	v_mul_f32_e32 v4, v136, v199
	v_fmac_f32_e32 v152, v146, v209
	v_fma_f32 v4, v135, v198, -v4
	v_add_f32_e32 v155, v151, v152
	ds_read_b128 v[151:154], v26 offset:912
	v_add_f32_e32 v3, v3, v4
	v_mul_f32_e32 v4, v138, v202
	s_waitcnt vmcnt(28) lgkmcnt(1)
	v_mul_f32_e32 v156, v147, v212
	v_fma_f32 v4, v137, v201, -v4
	v_fmac_f32_e32 v156, v148, v211
	v_add_f32_e32 v3, v3, v4
	v_mul_f32_e32 v4, v140, v204
	v_add_f32_e32 v155, v155, v156
	s_waitcnt vmcnt(27)
	v_mul_f32_e32 v156, v149, v213
	v_fma_f32 v4, v139, v203, -v4
	s_waitcnt vmcnt(24)
	v_fmac_f32_e32 v156, v150, v216
	v_add_f32_e32 v3, v3, v4
	v_mul_f32_e32 v4, v142, v205
	v_add_f32_e32 v155, v155, v156
	s_waitcnt lgkmcnt(0)
	v_mul_f32_e32 v156, v151, v215
	v_fma_f32 v4, v141, v208, -v4
	v_fmac_f32_e32 v156, v152, v214
	v_add_f32_e32 v3, v3, v4
	v_mul_f32_e32 v4, v144, v207
	v_add_f32_e32 v159, v155, v156
	ds_read_b128 v[155:158], v26 offset:928
	v_fma_f32 v4, v143, v206, -v4
	v_add_f32_e32 v3, v3, v4
	v_mul_f32_e32 v4, v146, v210
	s_waitcnt vmcnt(22)
	v_mul_f32_e32 v160, v153, v218
	v_fma_f32 v4, v145, v209, -v4
	v_fmac_f32_e32 v160, v154, v217
	v_add_f32_e32 v3, v3, v4
	v_mul_f32_e32 v4, v148, v212
	v_add_f32_e32 v163, v159, v160
	ds_read_b128 v[159:162], v26 offset:944
	v_fma_f32 v4, v147, v211, -v4
	s_waitcnt vmcnt(20) lgkmcnt(1)
	v_mul_f32_e32 v164, v155, v220
	v_add_f32_e32 v3, v3, v4
	v_mul_f32_e32 v4, v150, v213
	v_fmac_f32_e32 v164, v156, v219
	v_fma_f32 v4, v149, v216, -v4
	v_add_f32_e32 v163, v163, v164
	s_waitcnt vmcnt(19)
	v_mul_f32_e32 v164, v157, v221
	v_add_f32_e32 v3, v3, v4
	v_mul_f32_e32 v4, v152, v215
	s_waitcnt vmcnt(16)
	v_fmac_f32_e32 v164, v158, v224
	v_fma_f32 v4, v151, v214, -v4
	v_add_f32_e32 v163, v163, v164
	s_waitcnt lgkmcnt(0)
	v_mul_f32_e32 v164, v159, v223
	v_add_f32_e32 v3, v3, v4
	v_mul_f32_e32 v4, v154, v218
	v_fmac_f32_e32 v164, v160, v222
	v_fma_f32 v4, v153, v217, -v4
	v_add_f32_e32 v167, v163, v164
	ds_read_b128 v[163:166], v26 offset:960
	v_add_f32_e32 v3, v3, v4
	v_mul_f32_e32 v4, v156, v220
	v_fma_f32 v4, v155, v219, -v4
	s_waitcnt vmcnt(14)
	v_mul_f32_e32 v168, v161, v226
	v_add_f32_e32 v3, v3, v4
	v_mul_f32_e32 v4, v158, v221
	v_fmac_f32_e32 v168, v162, v225
	v_fma_f32 v4, v157, v224, -v4
	v_add_f32_e32 v171, v167, v168
	ds_read_b128 v[167:170], v26 offset:976
	v_add_f32_e32 v3, v3, v4
	v_mul_f32_e32 v4, v160, v223
	s_waitcnt vmcnt(12) lgkmcnt(1)
	v_mul_f32_e32 v172, v163, v228
	v_fma_f32 v4, v159, v222, -v4
	v_fmac_f32_e32 v172, v164, v227
	v_add_f32_e32 v3, v3, v4
	v_mul_f32_e32 v4, v162, v226
	v_add_f32_e32 v171, v171, v172
	s_waitcnt vmcnt(11)
	v_mul_f32_e32 v172, v165, v229
	v_fma_f32 v4, v161, v225, -v4
	s_waitcnt vmcnt(8)
	v_fmac_f32_e32 v172, v166, v234
	v_add_f32_e32 v3, v3, v4
	v_mul_f32_e32 v4, v164, v228
	v_add_f32_e32 v171, v171, v172
	s_waitcnt lgkmcnt(0)
	v_mul_f32_e32 v172, v167, v231
	v_fma_f32 v4, v163, v227, -v4
	v_fmac_f32_e32 v172, v168, v230
	v_add_f32_e32 v3, v3, v4
	v_mul_f32_e32 v4, v166, v229
	v_add_f32_e32 v175, v171, v172
	ds_read_b128 v[171:174], v26 offset:992
	v_fma_f32 v4, v165, v234, -v4
	v_add_f32_e32 v3, v3, v4
	v_mul_f32_e32 v4, v168, v231
	s_waitcnt vmcnt(6)
	v_mul_f32_e32 v176, v169, v246
	v_fma_f32 v4, v167, v230, -v4
	v_fmac_f32_e32 v176, v170, v235
	v_add_f32_e32 v3, v3, v4
	v_mul_f32_e32 v4, v170, v246
	v_add_f32_e32 v253, v175, v176
	ds_read_b64 v[175:176], v26 offset:1008
	v_fma_f32 v4, v169, v235, -v4
	v_add_f32_e32 v3, v3, v4
	s_waitcnt vmcnt(4) lgkmcnt(1)
	v_mul_f32_e32 v4, v172, v248
	v_mul_f32_e32 v254, v171, v248
	v_fma_f32 v4, v171, v247, -v4
	v_fmac_f32_e32 v254, v172, v247
	v_add_f32_e32 v3, v3, v4
	s_waitcnt vmcnt(3)
	v_mul_f32_e32 v4, v174, v249
	v_add_f32_e32 v253, v253, v254
	v_mul_f32_e32 v254, v173, v249
	s_waitcnt vmcnt(0)
	v_fma_f32 v4, v173, v252, -v4
	v_fmac_f32_e32 v254, v174, v252
	v_add_f32_e32 v3, v3, v4
	s_waitcnt lgkmcnt(0)
	v_mul_f32_e32 v4, v176, v251
	v_add_f32_e32 v253, v253, v254
	v_mul_f32_e32 v254, v175, v251
	v_fma_f32 v4, v175, v250, -v4
	v_fmac_f32_e32 v254, v176, v250
	v_add_f32_e32 v3, v3, v4
	v_add_f32_e32 v253, v253, v254
	v_sub_f32_e32 v1, v1, v3
	v_sub_f32_e32 v2, v2, v253
	buffer_store_dword v1, off, s[0:3], 0 offset:24
	buffer_store_dword v2, off, s[0:3], 0 offset:28
	s_and_saveexec_b64 s[4:5], vcc
	s_cbranch_execz .LBB62_387
; %bb.386:
	buffer_load_dword v1, off, s[0:3], 0 offset:16
	buffer_load_dword v2, off, s[0:3], 0 offset:20
	s_waitcnt vmcnt(0)
	ds_write_b64 v25, v[1:2]
	buffer_store_dword v26, off, s[0:3], 0 offset:16
	buffer_store_dword v26, off, s[0:3], 0 offset:20
.LBB62_387:
	s_or_b64 exec, exec, s[4:5]
	s_waitcnt lgkmcnt(0)
	; wave barrier
	buffer_load_dword v35, off, s[0:3], 0 offset:28
	buffer_load_dword v34, off, s[0:3], 0 offset:36
	;; [unrolled: 1-line block ×40, first 2 shown]
	ds_read2_b64 v[21:24], v26 offset0:67 offset1:68
	ds_read2_b64 v[17:20], v26 offset0:69 offset1:70
	;; [unrolled: 1-line block ×6, first 2 shown]
	buffer_load_dword v66, off, s[0:3], 0 offset:176
	buffer_load_dword v68, off, s[0:3], 0 offset:180
	;; [unrolled: 1-line block ×19, first 2 shown]
	v_cmp_lt_u32_e32 vcc, 1, v0
	s_waitcnt vmcnt(58) lgkmcnt(5)
	v_mul_f32_e32 v83, v21, v35
	s_waitcnt vmcnt(57)
	v_mul_f32_e32 v84, v23, v34
	s_waitcnt vmcnt(56) lgkmcnt(4)
	v_mul_f32_e32 v85, v17, v33
	s_waitcnt vmcnt(55)
	v_mul_f32_e32 v86, v19, v32
	;; [unrolled: 4-line block ×4, first 2 shown]
	s_waitcnt vmcnt(50) lgkmcnt(1)
	v_mul_f32_e32 v91, v5, v37
	s_waitcnt vmcnt(49)
	v_fmac_f32_e32 v85, v18, v40
	s_waitcnt vmcnt(48)
	v_fmac_f32_e32 v84, v24, v43
	;; [unrolled: 2-line block ×3, first 2 shown]
	v_add_f32_e32 v83, 0, v83
	v_add_f32_e32 v83, v83, v84
	;; [unrolled: 1-line block ×3, first 2 shown]
	s_waitcnt vmcnt(43)
	v_fmac_f32_e32 v86, v20, v44
	v_fmac_f32_e32 v87, v14, v41
	v_add_f32_e32 v83, v83, v86
	v_fmac_f32_e32 v88, v16, v39
	v_add_f32_e32 v83, v83, v87
	;; [unrolled: 2-line block ×3, first 2 shown]
	s_waitcnt vmcnt(39)
	v_fmac_f32_e32 v90, v12, v51
	v_add_f32_e32 v83, v83, v89
	v_fmac_f32_e32 v91, v6, v48
	v_add_f32_e32 v83, v83, v90
	s_waitcnt vmcnt(38)
	v_mul_f32_e32 v84, v7, v49
	v_add_f32_e32 v83, v83, v91
	v_fmac_f32_e32 v84, v8, v45
	v_add_f32_e32 v83, v83, v84
	s_waitcnt vmcnt(37) lgkmcnt(0)
	v_mul_f32_e32 v84, v1, v47
	v_fmac_f32_e32 v84, v2, v42
	v_add_f32_e32 v87, v83, v84
	ds_read2_b64 v[83:86], v26 offset0:79 offset1:80
	s_waitcnt vmcnt(36)
	v_mul_f32_e32 v88, v3, v50
	s_waitcnt vmcnt(30)
	v_fmac_f32_e32 v88, v4, v58
	v_add_f32_e32 v91, v87, v88
	ds_read2_b64 v[87:90], v26 offset0:81 offset1:82
	s_waitcnt vmcnt(29) lgkmcnt(1)
	v_mul_f32_e32 v92, v83, v57
	v_fmac_f32_e32 v92, v84, v56
	buffer_load_dword v182, off, s[0:3], 0 offset:248
	buffer_load_dword v183, off, s[0:3], 0 offset:256
	;; [unrolled: 1-line block ×3, first 2 shown]
	v_add_f32_e32 v91, v91, v92
	v_mul_f32_e32 v92, v85, v53
	v_fmac_f32_e32 v92, v86, v52
	buffer_load_dword v185, off, s[0:3], 0 offset:264
	buffer_load_dword v186, off, s[0:3], 0 offset:268
	v_add_f32_e32 v91, v91, v92
	s_waitcnt lgkmcnt(0)
	v_mul_f32_e32 v92, v87, v55
	v_fmac_f32_e32 v92, v88, v54
	v_add_f32_e32 v95, v91, v92
	ds_read2_b64 v[91:94], v26 offset0:83 offset1:84
	s_waitcnt vmcnt(31)
	v_mul_f32_e32 v96, v89, v59
	s_waitcnt vmcnt(24)
	v_fmac_f32_e32 v96, v90, v67
	v_add_f32_e32 v99, v95, v96
	ds_read2_b64 v[95:98], v26 offset0:85 offset1:86
	buffer_load_dword v187, off, s[0:3], 0 offset:272
	buffer_load_dword v188, off, s[0:3], 0 offset:276
	s_waitcnt lgkmcnt(1)
	v_mul_f32_e32 v100, v91, v61
	v_fmac_f32_e32 v100, v92, v60
	v_add_f32_e32 v99, v99, v100
	v_mul_f32_e32 v100, v93, v63
	v_fmac_f32_e32 v100, v94, v62
	v_add_f32_e32 v99, v99, v100
	s_waitcnt lgkmcnt(0)
	v_mul_f32_e32 v100, v95, v65
	v_fmac_f32_e32 v100, v96, v64
	v_add_f32_e32 v103, v99, v100
	buffer_load_dword v189, off, s[0:3], 0 offset:280
	buffer_load_dword v190, off, s[0:3], 0 offset:284
	ds_read2_b64 v[99:102], v26 offset0:87 offset1:88
	s_waitcnt vmcnt(26)
	v_mul_f32_e32 v104, v97, v68
	v_fmac_f32_e32 v104, v98, v66
	v_add_f32_e32 v107, v103, v104
	ds_read2_b64 v[103:106], v26 offset0:89 offset1:90
	s_waitcnt vmcnt(24) lgkmcnt(1)
	v_mul_f32_e32 v108, v99, v70
	v_fmac_f32_e32 v108, v100, v69
	v_add_f32_e32 v107, v107, v108
	s_waitcnt vmcnt(22)
	v_mul_f32_e32 v108, v101, v72
	buffer_load_dword v191, off, s[0:3], 0 offset:288
	buffer_load_dword v192, off, s[0:3], 0 offset:292
	v_fmac_f32_e32 v108, v102, v71
	v_add_f32_e32 v107, v107, v108
	s_waitcnt vmcnt(22) lgkmcnt(0)
	v_mul_f32_e32 v108, v103, v74
	buffer_load_dword v193, off, s[0:3], 0 offset:296
	buffer_load_dword v194, off, s[0:3], 0 offset:300
	v_fmac_f32_e32 v108, v104, v73
	v_add_f32_e32 v111, v107, v108
	ds_read2_b64 v[107:110], v26 offset0:91 offset1:92
	buffer_load_dword v195, off, s[0:3], 0 offset:304
	buffer_load_dword v196, off, s[0:3], 0 offset:308
	s_waitcnt vmcnt(24)
	v_mul_f32_e32 v112, v105, v76
	v_fmac_f32_e32 v112, v106, v75
	v_add_f32_e32 v115, v111, v112
	ds_read2_b64 v[111:114], v26 offset0:93 offset1:94
	s_waitcnt vmcnt(22) lgkmcnt(1)
	v_mul_f32_e32 v116, v107, v78
	v_fmac_f32_e32 v116, v108, v77
	buffer_load_dword v197, off, s[0:3], 0 offset:312
	buffer_load_dword v198, off, s[0:3], 0 offset:316
	;; [unrolled: 1-line block ×6, first 2 shown]
	v_add_f32_e32 v115, v115, v116
	s_waitcnt vmcnt(26)
	v_mul_f32_e32 v116, v109, v80
	v_fmac_f32_e32 v116, v110, v79
	v_add_f32_e32 v115, v115, v116
	s_waitcnt vmcnt(24) lgkmcnt(0)
	v_mul_f32_e32 v116, v111, v82
	v_fmac_f32_e32 v116, v112, v81
	v_add_f32_e32 v119, v115, v116
	ds_read2_b64 v[115:118], v26 offset0:95 offset1:96
	buffer_load_dword v203, off, s[0:3], 0 offset:336
	buffer_load_dword v204, off, s[0:3], 0 offset:340
	s_waitcnt vmcnt(24)
	v_mul_f32_e32 v120, v113, v180
	v_fmac_f32_e32 v120, v114, v179
	v_add_f32_e32 v123, v119, v120
	ds_read2_b64 v[119:122], v26 offset0:97 offset1:98
	buffer_load_dword v205, off, s[0:3], 0 offset:344
	buffer_load_dword v206, off, s[0:3], 0 offset:348
	;; [unrolled: 1-line block ×14, first 2 shown]
	s_waitcnt vmcnt(37) lgkmcnt(1)
	v_mul_f32_e32 v124, v115, v181
	buffer_load_dword v219, off, s[0:3], 0 offset:400
	buffer_load_dword v220, off, s[0:3], 0 offset:404
	v_mul_f32_e32 v22, v22, v35
	v_fma_f32 v21, v21, v46, -v22
	v_mul_f32_e32 v22, v24, v34
	v_add_f32_e32 v21, 0, v21
	v_fma_f32 v22, v23, v43, -v22
	v_mul_f32_e32 v18, v18, v33
	v_add_f32_e32 v21, v21, v22
	;; [unrolled: 3-line block ×3, first 2 shown]
	s_waitcnt vmcnt(38)
	v_fmac_f32_e32 v124, v116, v182
	v_add_f32_e32 v123, v123, v124
	s_waitcnt vmcnt(36)
	v_mul_f32_e32 v124, v117, v184
	v_fmac_f32_e32 v124, v118, v183
	v_add_f32_e32 v123, v123, v124
	v_fma_f32 v18, v19, v44, -v18
	s_waitcnt vmcnt(34) lgkmcnt(0)
	v_mul_f32_e32 v124, v119, v186
	v_fmac_f32_e32 v124, v120, v185
	v_add_f32_e32 v127, v123, v124
	ds_read2_b64 v[123:126], v26 offset0:99 offset1:100
	buffer_load_dword v221, off, s[0:3], 0 offset:408
	buffer_load_dword v222, off, s[0:3], 0 offset:412
	;; [unrolled: 1-line block ×6, first 2 shown]
	v_mul_f32_e32 v14, v14, v31
	v_add_f32_e32 v17, v17, v18
	v_fma_f32 v13, v13, v41, -v14
	v_mul_f32_e32 v14, v16, v30
	v_add_f32_e32 v13, v17, v13
	s_waitcnt vmcnt(38)
	v_mul_f32_e32 v128, v121, v188
	v_fmac_f32_e32 v128, v122, v187
	v_fma_f32 v14, v15, v39, -v14
	v_mul_f32_e32 v10, v10, v29
	v_add_f32_e32 v131, v127, v128
	ds_read2_b64 v[127:130], v26 offset0:101 offset1:102
	buffer_load_dword v227, off, s[0:3], 0 offset:432
	buffer_load_dword v228, off, s[0:3], 0 offset:436
	v_add_f32_e32 v13, v13, v14
	v_fma_f32 v9, v9, v38, -v10
	v_mul_f32_e32 v10, v12, v36
	v_add_f32_e32 v9, v13, v9
	v_fma_f32 v10, v11, v51, -v10
	v_mul_f32_e32 v6, v6, v37
	;; [unrolled: 3-line block ×5, first 2 shown]
	v_add_f32_e32 v1, v5, v1
	v_fma_f32 v2, v3, v58, -v2
	buffer_load_dword v229, off, s[0:3], 0 offset:440
	buffer_load_dword v230, off, s[0:3], 0 offset:444
	;; [unrolled: 1-line block ×6, first 2 shown]
	v_add_f32_e32 v1, v1, v2
	v_mul_f32_e32 v2, v84, v57
	v_fma_f32 v2, v83, v56, -v2
	v_add_f32_e32 v1, v1, v2
	v_mul_f32_e32 v2, v86, v53
	v_fma_f32 v2, v85, v52, -v2
	v_add_f32_e32 v1, v1, v2
	v_mul_f32_e32 v2, v88, v55
	buffer_load_dword v247, off, s[0:3], 0 offset:464
	buffer_load_dword v248, off, s[0:3], 0 offset:468
	v_fma_f32 v2, v87, v54, -v2
	v_add_f32_e32 v1, v1, v2
	v_mul_f32_e32 v2, v90, v59
	s_waitcnt vmcnt(46) lgkmcnt(1)
	v_mul_f32_e32 v132, v123, v190
	v_fma_f32 v2, v89, v67, -v2
	v_fmac_f32_e32 v132, v124, v189
	v_add_f32_e32 v1, v1, v2
	v_mul_f32_e32 v2, v92, v61
	v_add_f32_e32 v131, v131, v132
	s_waitcnt vmcnt(44)
	v_mul_f32_e32 v132, v125, v192
	v_fma_f32 v2, v91, v60, -v2
	v_fmac_f32_e32 v132, v126, v191
	v_add_f32_e32 v1, v1, v2
	v_mul_f32_e32 v2, v94, v63
	v_add_f32_e32 v131, v131, v132
	s_waitcnt vmcnt(42) lgkmcnt(0)
	v_mul_f32_e32 v132, v127, v194
	buffer_load_dword v249, off, s[0:3], 0 offset:472
	buffer_load_dword v250, off, s[0:3], 0 offset:476
	;; [unrolled: 1-line block ×6, first 2 shown]
	v_fma_f32 v2, v93, v62, -v2
	v_fmac_f32_e32 v132, v128, v193
	s_waitcnt vmcnt(46)
	v_mul_f32_e32 v136, v129, v196
	v_add_f32_e32 v1, v1, v2
	v_mul_f32_e32 v2, v96, v65
	v_add_f32_e32 v135, v131, v132
	v_fmac_f32_e32 v136, v130, v195
	v_fma_f32 v2, v95, v64, -v2
	ds_read2_b64 v[131:134], v26 offset0:103 offset1:104
	v_add_f32_e32 v139, v135, v136
	ds_read2_b64 v[135:138], v26 offset0:105 offset1:106
	buffer_load_dword v255, off, s[0:3], 0 offset:496
	buffer_load_dword v236, off, s[0:3], 0 offset:500
	v_add_f32_e32 v1, v1, v2
	v_mul_f32_e32 v2, v98, v68
	v_fma_f32 v2, v97, v66, -v2
	v_add_f32_e32 v1, v1, v2
	v_mul_f32_e32 v2, v100, v70
	v_fma_f32 v2, v99, v69, -v2
	;; [unrolled: 3-line block ×9, first 2 shown]
	v_add_f32_e32 v1, v1, v2
	v_mul_f32_e32 v2, v116, v181
	s_waitcnt vmcnt(46) lgkmcnt(1)
	v_mul_f32_e32 v140, v131, v198
	v_fma_f32 v2, v115, v182, -v2
	v_fmac_f32_e32 v140, v132, v197
	v_add_f32_e32 v1, v1, v2
	v_mul_f32_e32 v2, v118, v184
	v_add_f32_e32 v139, v139, v140
	s_waitcnt vmcnt(45)
	v_mul_f32_e32 v140, v133, v199
	v_fma_f32 v2, v117, v183, -v2
	s_waitcnt vmcnt(42)
	v_fmac_f32_e32 v140, v134, v202
	v_add_f32_e32 v1, v1, v2
	v_mul_f32_e32 v2, v120, v186
	v_add_f32_e32 v139, v139, v140
	s_waitcnt lgkmcnt(0)
	v_mul_f32_e32 v140, v135, v201
	v_fma_f32 v2, v119, v185, -v2
	v_fmac_f32_e32 v140, v136, v200
	v_add_f32_e32 v1, v1, v2
	v_mul_f32_e32 v2, v122, v188
	v_add_f32_e32 v143, v139, v140
	ds_read2_b64 v[139:142], v26 offset0:107 offset1:108
	v_fma_f32 v2, v121, v187, -v2
	v_add_f32_e32 v1, v1, v2
	v_mul_f32_e32 v2, v124, v190
	s_waitcnt vmcnt(40)
	v_mul_f32_e32 v144, v137, v204
	v_fma_f32 v2, v123, v189, -v2
	v_fmac_f32_e32 v144, v138, v203
	v_add_f32_e32 v1, v1, v2
	v_mul_f32_e32 v2, v126, v192
	v_add_f32_e32 v147, v143, v144
	ds_read2_b64 v[143:146], v26 offset0:109 offset1:110
	v_fma_f32 v2, v125, v191, -v2
	s_waitcnt vmcnt(38) lgkmcnt(1)
	v_mul_f32_e32 v148, v139, v206
	v_add_f32_e32 v1, v1, v2
	v_mul_f32_e32 v2, v128, v194
	v_fmac_f32_e32 v148, v140, v205
	v_fma_f32 v2, v127, v193, -v2
	v_add_f32_e32 v147, v147, v148
	s_waitcnt vmcnt(37)
	v_mul_f32_e32 v148, v141, v207
	v_add_f32_e32 v1, v1, v2
	v_mul_f32_e32 v2, v130, v196
	s_waitcnt vmcnt(34)
	v_fmac_f32_e32 v148, v142, v210
	v_fma_f32 v2, v129, v195, -v2
	v_add_f32_e32 v147, v147, v148
	s_waitcnt lgkmcnt(0)
	v_mul_f32_e32 v148, v143, v209
	v_add_f32_e32 v1, v1, v2
	v_mul_f32_e32 v2, v132, v198
	v_fmac_f32_e32 v148, v144, v208
	v_fma_f32 v2, v131, v197, -v2
	v_add_f32_e32 v151, v147, v148
	ds_read2_b64 v[147:150], v26 offset0:111 offset1:112
	v_add_f32_e32 v1, v1, v2
	v_mul_f32_e32 v2, v134, v199
	v_fma_f32 v2, v133, v202, -v2
	s_waitcnt vmcnt(32)
	v_mul_f32_e32 v152, v145, v212
	v_add_f32_e32 v1, v1, v2
	v_mul_f32_e32 v2, v136, v201
	v_fmac_f32_e32 v152, v146, v211
	v_fma_f32 v2, v135, v200, -v2
	v_add_f32_e32 v155, v151, v152
	ds_read2_b64 v[151:154], v26 offset0:113 offset1:114
	v_add_f32_e32 v1, v1, v2
	v_mul_f32_e32 v2, v138, v204
	s_waitcnt vmcnt(30) lgkmcnt(1)
	v_mul_f32_e32 v156, v147, v214
	v_fma_f32 v2, v137, v203, -v2
	v_fmac_f32_e32 v156, v148, v213
	v_add_f32_e32 v1, v1, v2
	v_mul_f32_e32 v2, v140, v206
	v_add_f32_e32 v155, v155, v156
	s_waitcnt vmcnt(29)
	v_mul_f32_e32 v156, v149, v215
	v_fma_f32 v2, v139, v205, -v2
	s_waitcnt vmcnt(26)
	v_fmac_f32_e32 v156, v150, v218
	v_add_f32_e32 v1, v1, v2
	v_mul_f32_e32 v2, v142, v207
	v_add_f32_e32 v155, v155, v156
	s_waitcnt lgkmcnt(0)
	v_mul_f32_e32 v156, v151, v217
	v_fma_f32 v2, v141, v210, -v2
	v_fmac_f32_e32 v156, v152, v216
	v_add_f32_e32 v1, v1, v2
	v_mul_f32_e32 v2, v144, v209
	v_add_f32_e32 v159, v155, v156
	ds_read2_b64 v[155:158], v26 offset0:115 offset1:116
	v_fma_f32 v2, v143, v208, -v2
	v_add_f32_e32 v1, v1, v2
	v_mul_f32_e32 v2, v146, v212
	s_waitcnt vmcnt(24)
	v_mul_f32_e32 v160, v153, v220
	v_fma_f32 v2, v145, v211, -v2
	v_fmac_f32_e32 v160, v154, v219
	v_add_f32_e32 v1, v1, v2
	v_mul_f32_e32 v2, v148, v214
	v_add_f32_e32 v163, v159, v160
	ds_read2_b64 v[159:162], v26 offset0:117 offset1:118
	v_fma_f32 v2, v147, v213, -v2
	s_waitcnt vmcnt(22) lgkmcnt(1)
	v_mul_f32_e32 v164, v155, v222
	v_add_f32_e32 v1, v1, v2
	v_mul_f32_e32 v2, v150, v215
	v_fmac_f32_e32 v164, v156, v221
	v_fma_f32 v2, v149, v218, -v2
	v_add_f32_e32 v163, v163, v164
	s_waitcnt vmcnt(21)
	v_mul_f32_e32 v164, v157, v223
	v_add_f32_e32 v1, v1, v2
	v_mul_f32_e32 v2, v152, v217
	s_waitcnt vmcnt(18)
	v_fmac_f32_e32 v164, v158, v226
	v_fma_f32 v2, v151, v216, -v2
	v_add_f32_e32 v163, v163, v164
	s_waitcnt lgkmcnt(0)
	v_mul_f32_e32 v164, v159, v225
	v_add_f32_e32 v1, v1, v2
	v_mul_f32_e32 v2, v154, v220
	v_fmac_f32_e32 v164, v160, v224
	v_fma_f32 v2, v153, v219, -v2
	v_add_f32_e32 v167, v163, v164
	ds_read2_b64 v[163:166], v26 offset0:119 offset1:120
	v_add_f32_e32 v1, v1, v2
	v_mul_f32_e32 v2, v156, v222
	v_fma_f32 v2, v155, v221, -v2
	s_waitcnt vmcnt(16)
	v_mul_f32_e32 v168, v161, v228
	v_add_f32_e32 v1, v1, v2
	v_mul_f32_e32 v2, v158, v223
	v_fmac_f32_e32 v168, v162, v227
	v_fma_f32 v2, v157, v226, -v2
	v_add_f32_e32 v171, v167, v168
	ds_read2_b64 v[167:170], v26 offset0:121 offset1:122
	v_add_f32_e32 v1, v1, v2
	v_mul_f32_e32 v2, v160, v225
	s_waitcnt vmcnt(14) lgkmcnt(1)
	v_mul_f32_e32 v172, v163, v230
	v_fma_f32 v2, v159, v224, -v2
	v_fmac_f32_e32 v172, v164, v229
	v_add_f32_e32 v1, v1, v2
	v_mul_f32_e32 v2, v162, v228
	v_add_f32_e32 v171, v171, v172
	s_waitcnt vmcnt(13)
	v_mul_f32_e32 v172, v165, v231
	v_fma_f32 v2, v161, v227, -v2
	s_waitcnt vmcnt(10)
	v_fmac_f32_e32 v172, v166, v246
	v_add_f32_e32 v1, v1, v2
	v_mul_f32_e32 v2, v164, v230
	v_add_f32_e32 v171, v171, v172
	s_waitcnt lgkmcnt(0)
	v_mul_f32_e32 v172, v167, v235
	v_fma_f32 v2, v163, v229, -v2
	v_fmac_f32_e32 v172, v168, v234
	v_add_f32_e32 v1, v1, v2
	v_mul_f32_e32 v2, v166, v231
	v_add_f32_e32 v175, v171, v172
	ds_read2_b64 v[171:174], v26 offset0:123 offset1:124
	v_fma_f32 v2, v165, v246, -v2
	v_add_f32_e32 v1, v1, v2
	v_mul_f32_e32 v2, v168, v235
	s_waitcnt vmcnt(8)
	v_mul_f32_e32 v176, v169, v248
	v_fma_f32 v2, v167, v234, -v2
	v_fmac_f32_e32 v176, v170, v247
	v_add_f32_e32 v1, v1, v2
	v_mul_f32_e32 v2, v170, v248
	v_add_f32_e32 v237, v175, v176
	ds_read2_b64 v[175:178], v26 offset0:125 offset1:126
	v_fma_f32 v2, v169, v247, -v2
	v_add_f32_e32 v1, v1, v2
	s_waitcnt vmcnt(6) lgkmcnt(1)
	v_mul_f32_e32 v2, v172, v250
	v_mul_f32_e32 v26, v171, v250
	v_fma_f32 v2, v171, v249, -v2
	v_fmac_f32_e32 v26, v172, v249
	v_add_f32_e32 v1, v1, v2
	s_waitcnt vmcnt(5)
	v_mul_f32_e32 v2, v174, v251
	v_add_f32_e32 v26, v237, v26
	v_mul_f32_e32 v237, v173, v251
	s_waitcnt vmcnt(2)
	v_fma_f32 v2, v173, v254, -v2
	v_fmac_f32_e32 v237, v174, v254
	v_add_f32_e32 v1, v1, v2
	s_waitcnt lgkmcnt(0)
	v_mul_f32_e32 v2, v176, v253
	v_add_f32_e32 v26, v26, v237
	v_mul_f32_e32 v237, v175, v253
	v_fma_f32 v2, v175, v252, -v2
	v_fmac_f32_e32 v237, v176, v252
	v_add_f32_e32 v1, v1, v2
	s_waitcnt vmcnt(0)
	v_mul_f32_e32 v2, v178, v236
	v_add_f32_e32 v26, v26, v237
	v_mul_f32_e32 v237, v177, v236
	v_fma_f32 v2, v177, v255, -v2
	v_fmac_f32_e32 v237, v178, v255
	v_add_f32_e32 v1, v1, v2
	v_add_f32_e32 v26, v26, v237
	v_sub_f32_e32 v1, v27, v1
	v_sub_f32_e32 v2, v28, v26
	buffer_store_dword v1, off, s[0:3], 0 offset:16
	buffer_store_dword v2, off, s[0:3], 0 offset:20
	s_and_saveexec_b64 s[4:5], vcc
	s_cbranch_execz .LBB62_389
; %bb.388:
	buffer_load_dword v1, off, s[0:3], 0 offset:8
	buffer_load_dword v2, off, s[0:3], 0 offset:12
	v_mov_b32_e32 v3, 0
	buffer_store_dword v3, off, s[0:3], 0 offset:8
	buffer_store_dword v3, off, s[0:3], 0 offset:12
	s_waitcnt vmcnt(2)
	ds_write_b64 v25, v[1:2]
.LBB62_389:
	s_or_b64 exec, exec, s[4:5]
	s_waitcnt lgkmcnt(0)
	; wave barrier
	buffer_load_dword v21, off, s[0:3], 0 offset:20
	buffer_load_dword v20, off, s[0:3], 0 offset:28
	;; [unrolled: 1-line block ×56, first 2 shown]
	v_mov_b32_e32 v116, 0
	ds_read_b128 v[74:77], v116 offset:528
	ds_read_b128 v[78:81], v116 offset:544
	;; [unrolled: 1-line block ×6, first 2 shown]
	v_cmp_ne_u32_e32 vcc, 0, v0
	s_waitcnt vmcnt(55) lgkmcnt(5)
	v_mul_f32_e32 v70, v74, v21
	s_waitcnt vmcnt(54)
	v_mul_f32_e32 v71, v76, v20
	s_waitcnt vmcnt(53) lgkmcnt(4)
	v_mul_f32_e32 v72, v78, v19
	s_waitcnt vmcnt(52)
	v_mul_f32_e32 v73, v80, v18
	;; [unrolled: 4-line block ×4, first 2 shown]
	s_waitcnt vmcnt(47) lgkmcnt(1)
	v_mul_f32_e32 v90, v5, v23
	s_waitcnt vmcnt(46)
	v_fmac_f32_e32 v72, v79, v27
	s_waitcnt vmcnt(45)
	v_fmac_f32_e32 v71, v77, v40
	;; [unrolled: 2-line block ×3, first 2 shown]
	v_add_f32_e32 v70, 0, v70
	v_add_f32_e32 v70, v70, v71
	;; [unrolled: 1-line block ×3, first 2 shown]
	s_waitcnt vmcnt(40)
	v_fmac_f32_e32 v73, v81, v30
	v_fmac_f32_e32 v86, v83, v28
	v_add_f32_e32 v70, v70, v73
	v_fmac_f32_e32 v87, v85, v26
	v_add_f32_e32 v70, v70, v86
	;; [unrolled: 2-line block ×3, first 2 shown]
	s_waitcnt vmcnt(36)
	v_fmac_f32_e32 v89, v12, v36
	v_add_f32_e32 v70, v70, v88
	v_fmac_f32_e32 v90, v6, v33
	v_add_f32_e32 v70, v70, v89
	v_add_f32_e32 v72, v70, v90
	buffer_load_dword v70, off, s[0:3], 0 offset:232
	buffer_load_dword v71, off, s[0:3], 0 offset:236
	s_waitcnt vmcnt(37)
	v_mul_f32_e32 v73, v7, v34
	v_fmac_f32_e32 v73, v8, v31
	ds_read_b128 v[86:89], v116 offset:624
	v_add_f32_e32 v72, v72, v73
	s_waitcnt vmcnt(36) lgkmcnt(1)
	v_mul_f32_e32 v73, v1, v32
	v_fmac_f32_e32 v73, v2, v29
	s_waitcnt vmcnt(35)
	v_mul_f32_e32 v91, v3, v35
	v_add_f32_e32 v90, v72, v73
	buffer_load_dword v72, off, s[0:3], 0 offset:240
	buffer_load_dword v73, off, s[0:3], 0 offset:244
	s_waitcnt vmcnt(30)
	v_fmac_f32_e32 v91, v4, v47
	v_add_f32_e32 v94, v90, v91
	ds_read_b128 v[90:93], v116 offset:640
	s_waitcnt lgkmcnt(1)
	v_mul_f32_e32 v95, v86, v38
	v_fmac_f32_e32 v95, v87, v37
	v_add_f32_e32 v94, v94, v95
	v_mul_f32_e32 v95, v88, v41
	buffer_load_dword v114, off, s[0:3], 0 offset:252
	buffer_load_dword v115, off, s[0:3], 0 offset:248
	;; [unrolled: 1-line block ×4, first 2 shown]
	v_fmac_f32_e32 v95, v89, v39
	v_add_f32_e32 v94, v94, v95
	s_waitcnt lgkmcnt(0)
	v_mul_f32_e32 v95, v90, v44
	v_fmac_f32_e32 v95, v91, v42
	v_add_f32_e32 v98, v94, v95
	ds_read_b128 v[94:97], v116 offset:656
	s_waitcnt vmcnt(30)
	v_mul_f32_e32 v99, v92, v46
	buffer_load_dword v183, off, s[0:3], 0 offset:264
	buffer_load_dword v184, off, s[0:3], 0 offset:268
	v_fmac_f32_e32 v99, v93, v45
	v_add_f32_e32 v102, v98, v99
	ds_read_b128 v[98:101], v116 offset:672
	s_waitcnt vmcnt(30) lgkmcnt(1)
	v_mul_f32_e32 v103, v94, v49
	v_fmac_f32_e32 v103, v95, v48
	v_add_f32_e32 v102, v102, v103
	s_waitcnt vmcnt(28)
	v_mul_f32_e32 v103, v96, v51
	v_fmac_f32_e32 v103, v97, v50
	v_add_f32_e32 v102, v102, v103
	s_waitcnt vmcnt(26) lgkmcnt(0)
	v_mul_f32_e32 v103, v98, v53
	v_fmac_f32_e32 v103, v99, v52
	v_add_f32_e32 v102, v102, v103
	s_waitcnt vmcnt(24)
	v_mul_f32_e32 v103, v100, v55
	v_fmac_f32_e32 v103, v101, v54
	buffer_load_dword v185, off, s[0:3], 0 offset:276
	v_add_f32_e32 v110, v102, v103
	ds_read_b128 v[102:105], v116 offset:688
	ds_read_b128 v[106:109], v116 offset:704
	buffer_load_dword v186, off, s[0:3], 0 offset:272
	buffer_load_dword v187, off, s[0:3], 0 offset:280
	buffer_load_dword v188, off, s[0:3], 0 offset:284
	buffer_load_dword v189, off, s[0:3], 0 offset:288
	buffer_load_dword v190, off, s[0:3], 0 offset:292
	v_mul_f32_e32 v21, v75, v21
	s_waitcnt vmcnt(28) lgkmcnt(1)
	v_mul_f32_e32 v111, v102, v57
	v_fmac_f32_e32 v111, v103, v56
	v_add_f32_e32 v110, v110, v111
	s_waitcnt vmcnt(26)
	v_mul_f32_e32 v111, v104, v59
	v_fmac_f32_e32 v111, v105, v58
	v_add_f32_e32 v110, v110, v111
	s_waitcnt vmcnt(24) lgkmcnt(0)
	v_mul_f32_e32 v111, v106, v61
	v_fmac_f32_e32 v111, v107, v60
	v_add_f32_e32 v117, v110, v111
	ds_read_b128 v[110:113], v116 offset:720
	buffer_load_dword v191, off, s[0:3], 0 offset:296
	buffer_load_dword v192, off, s[0:3], 0 offset:300
	s_waitcnt vmcnt(24)
	v_mul_f32_e32 v118, v108, v63
	v_fmac_f32_e32 v118, v109, v62
	v_add_f32_e32 v121, v117, v118
	ds_read_b128 v[117:120], v116 offset:736
	s_waitcnt vmcnt(22) lgkmcnt(1)
	v_mul_f32_e32 v122, v110, v65
	v_fmac_f32_e32 v122, v111, v64
	v_add_f32_e32 v121, v121, v122
	s_waitcnt vmcnt(21)
	v_mul_f32_e32 v122, v112, v66
	buffer_load_dword v193, off, s[0:3], 0 offset:304
	buffer_load_dword v194, off, s[0:3], 0 offset:308
	s_waitcnt vmcnt(20)
	v_fmac_f32_e32 v122, v113, v69
	v_add_f32_e32 v121, v121, v122
	s_waitcnt lgkmcnt(0)
	v_mul_f32_e32 v122, v117, v68
	v_fmac_f32_e32 v122, v118, v67
	buffer_load_dword v195, off, s[0:3], 0 offset:316
	v_add_f32_e32 v125, v121, v122
	ds_read_b128 v[121:124], v116 offset:752
	buffer_load_dword v196, off, s[0:3], 0 offset:320
	buffer_load_dword v197, off, s[0:3], 0 offset:324
	;; [unrolled: 1-line block ×3, first 2 shown]
	v_fma_f32 v43, v74, v43, -v21
	v_mul_f32_e32 v20, v77, v20
	v_fma_f32 v40, v76, v40, -v20
	v_add_f32_e32 v43, 0, v43
	v_mul_f32_e32 v19, v79, v19
	v_add_f32_e32 v40, v43, v40
	s_waitcnt vmcnt(22)
	v_mul_f32_e32 v126, v119, v71
	v_fmac_f32_e32 v126, v120, v70
	v_add_f32_e32 v129, v125, v126
	ds_read_b128 v[125:128], v116 offset:768
	buffer_load_dword v199, off, s[0:3], 0 offset:328
	buffer_load_dword v200, off, s[0:3], 0 offset:332
	;; [unrolled: 1-line block ×16, first 2 shown]
	v_fma_f32 v19, v78, v27, -v19
	s_waitcnt vmcnt(36) lgkmcnt(1)
	v_mul_f32_e32 v130, v121, v73
	v_fmac_f32_e32 v130, v122, v72
	v_add_f32_e32 v129, v129, v130
	v_mul_f32_e32 v18, v81, v18
	v_add_f32_e32 v19, v40, v19
	s_waitcnt vmcnt(35)
	v_mul_f32_e32 v130, v123, v114
	s_waitcnt vmcnt(34)
	v_fmac_f32_e32 v130, v124, v115
	v_add_f32_e32 v129, v129, v130
	s_waitcnt vmcnt(32) lgkmcnt(0)
	v_mul_f32_e32 v130, v125, v182
	v_fmac_f32_e32 v130, v126, v181
	v_add_f32_e32 v133, v129, v130
	ds_read_b128 v[129:132], v116 offset:784
	buffer_load_dword v215, off, s[0:3], 0 offset:392
	buffer_load_dword v216, off, s[0:3], 0 offset:396
	v_fma_f32 v18, v80, v30, -v18
	v_mul_f32_e32 v17, v83, v17
	v_add_f32_e32 v18, v19, v18
	s_waitcnt vmcnt(32)
	v_mul_f32_e32 v134, v127, v184
	v_fmac_f32_e32 v134, v128, v183
	v_add_f32_e32 v137, v133, v134
	ds_read_b128 v[133:136], v116 offset:800
	buffer_load_dword v217, off, s[0:3], 0 offset:400
	buffer_load_dword v218, off, s[0:3], 0 offset:404
	;; [unrolled: 1-line block ×6, first 2 shown]
	v_fma_f32 v17, v82, v28, -v17
	v_mul_f32_e32 v16, v85, v16
	v_add_f32_e32 v17, v18, v17
	v_fma_f32 v16, v84, v26, -v16
	v_mul_f32_e32 v10, v10, v15
	buffer_load_dword v223, off, s[0:3], 0 offset:424
	buffer_load_dword v224, off, s[0:3], 0 offset:428
	v_add_f32_e32 v16, v17, v16
	v_fma_f32 v9, v9, v24, -v10
	v_mul_f32_e32 v10, v12, v22
	v_add_f32_e32 v9, v16, v9
	v_fma_f32 v10, v11, v36, -v10
	v_mul_f32_e32 v6, v6, v23
	;; [unrolled: 3-line block ×5, first 2 shown]
	v_add_f32_e32 v1, v5, v1
	v_fma_f32 v2, v3, v47, -v2
	s_waitcnt vmcnt(39) lgkmcnt(1)
	v_mul_f32_e32 v138, v129, v185
	buffer_load_dword v225, off, s[0:3], 0 offset:432
	buffer_load_dword v226, off, s[0:3], 0 offset:436
	;; [unrolled: 1-line block ×6, first 2 shown]
	v_add_f32_e32 v1, v1, v2
	v_mul_f32_e32 v2, v87, v38
	s_waitcnt vmcnt(44)
	v_fmac_f32_e32 v138, v130, v186
	v_fma_f32 v2, v86, v37, -v2
	v_add_f32_e32 v137, v137, v138
	s_waitcnt vmcnt(42)
	v_mul_f32_e32 v138, v131, v188
	v_add_f32_e32 v1, v1, v2
	v_mul_f32_e32 v2, v89, v41
	v_fmac_f32_e32 v138, v132, v187
	v_fma_f32 v2, v88, v39, -v2
	v_add_f32_e32 v137, v137, v138
	s_waitcnt vmcnt(40) lgkmcnt(0)
	v_mul_f32_e32 v138, v133, v190
	v_add_f32_e32 v1, v1, v2
	v_mul_f32_e32 v2, v91, v44
	v_fmac_f32_e32 v138, v134, v189
	v_fma_f32 v2, v90, v42, -v2
	v_add_f32_e32 v141, v137, v138
	ds_read_b128 v[137:140], v116 offset:816
	buffer_load_dword v231, off, s[0:3], 0 offset:456
	buffer_load_dword v234, off, s[0:3], 0 offset:460
	v_add_f32_e32 v1, v1, v2
	v_mul_f32_e32 v2, v93, v46
	v_fma_f32 v2, v92, v45, -v2
	s_waitcnt vmcnt(40)
	v_mul_f32_e32 v142, v135, v192
	v_add_f32_e32 v1, v1, v2
	v_mul_f32_e32 v2, v95, v49
	v_fmac_f32_e32 v142, v136, v191
	v_fma_f32 v2, v94, v48, -v2
	v_add_f32_e32 v145, v141, v142
	ds_read_b128 v[141:144], v116 offset:832
	buffer_load_dword v235, off, s[0:3], 0 offset:464
	buffer_load_dword v236, off, s[0:3], 0 offset:468
	buffer_load_dword v237, off, s[0:3], 0 offset:476
	buffer_load_dword v246, off, s[0:3], 0 offset:480
	buffer_load_dword v247, off, s[0:3], 0 offset:484
	buffer_load_dword v248, off, s[0:3], 0 offset:472
	v_add_f32_e32 v1, v1, v2
	v_mul_f32_e32 v2, v97, v51
	v_fma_f32 v2, v96, v50, -v2
	v_add_f32_e32 v1, v1, v2
	v_mul_f32_e32 v2, v99, v53
	v_fma_f32 v2, v98, v52, -v2
	v_add_f32_e32 v1, v1, v2
	v_mul_f32_e32 v2, v101, v55
	buffer_load_dword v249, off, s[0:3], 0 offset:492
	buffer_load_dword v250, off, s[0:3], 0 offset:496
	;; [unrolled: 1-line block ×4, first 2 shown]
	v_fma_f32 v2, v100, v54, -v2
	v_add_f32_e32 v1, v1, v2
	v_mul_f32_e32 v2, v103, v57
	v_fma_f32 v2, v102, v56, -v2
	v_add_f32_e32 v1, v1, v2
	v_mul_f32_e32 v2, v105, v59
	;; [unrolled: 3-line block ×9, first 2 shown]
	s_waitcnt vmcnt(48) lgkmcnt(1)
	v_mul_f32_e32 v146, v137, v194
	v_fma_f32 v2, v121, v72, -v2
	v_fmac_f32_e32 v146, v138, v193
	v_add_f32_e32 v1, v1, v2
	v_mul_f32_e32 v2, v124, v114
	v_add_f32_e32 v145, v145, v146
	s_waitcnt vmcnt(47)
	v_mul_f32_e32 v146, v139, v195
	v_fma_f32 v2, v123, v115, -v2
	s_waitcnt vmcnt(44)
	v_fmac_f32_e32 v146, v140, v198
	v_add_f32_e32 v1, v1, v2
	v_mul_f32_e32 v2, v126, v182
	v_add_f32_e32 v145, v145, v146
	s_waitcnt lgkmcnt(0)
	v_mul_f32_e32 v146, v141, v197
	v_fma_f32 v2, v125, v181, -v2
	v_fmac_f32_e32 v146, v142, v196
	v_add_f32_e32 v1, v1, v2
	v_mul_f32_e32 v2, v128, v184
	v_add_f32_e32 v149, v145, v146
	ds_read_b128 v[145:148], v116 offset:848
	v_fma_f32 v2, v127, v183, -v2
	v_add_f32_e32 v1, v1, v2
	v_mul_f32_e32 v2, v130, v185
	s_waitcnt vmcnt(42)
	v_mul_f32_e32 v150, v143, v200
	v_fma_f32 v2, v129, v186, -v2
	v_fmac_f32_e32 v150, v144, v199
	v_add_f32_e32 v1, v1, v2
	v_mul_f32_e32 v2, v132, v188
	v_add_f32_e32 v153, v149, v150
	ds_read_b128 v[149:152], v116 offset:864
	v_fma_f32 v2, v131, v187, -v2
	s_waitcnt vmcnt(40) lgkmcnt(1)
	v_mul_f32_e32 v154, v145, v202
	v_add_f32_e32 v1, v1, v2
	v_mul_f32_e32 v2, v134, v190
	v_fmac_f32_e32 v154, v146, v201
	v_fma_f32 v2, v133, v189, -v2
	v_add_f32_e32 v153, v153, v154
	s_waitcnt vmcnt(39)
	v_mul_f32_e32 v154, v147, v203
	v_add_f32_e32 v1, v1, v2
	v_mul_f32_e32 v2, v136, v192
	s_waitcnt vmcnt(36)
	v_fmac_f32_e32 v154, v148, v206
	v_fma_f32 v2, v135, v191, -v2
	v_add_f32_e32 v153, v153, v154
	s_waitcnt lgkmcnt(0)
	v_mul_f32_e32 v154, v149, v205
	v_add_f32_e32 v1, v1, v2
	v_mul_f32_e32 v2, v138, v194
	v_fmac_f32_e32 v154, v150, v204
	v_fma_f32 v2, v137, v193, -v2
	v_add_f32_e32 v157, v153, v154
	ds_read_b128 v[153:156], v116 offset:880
	v_add_f32_e32 v1, v1, v2
	v_mul_f32_e32 v2, v140, v195
	v_fma_f32 v2, v139, v198, -v2
	s_waitcnt vmcnt(34)
	v_mul_f32_e32 v158, v151, v208
	v_add_f32_e32 v1, v1, v2
	v_mul_f32_e32 v2, v142, v197
	v_fmac_f32_e32 v158, v152, v207
	v_fma_f32 v2, v141, v196, -v2
	v_add_f32_e32 v161, v157, v158
	ds_read_b128 v[157:160], v116 offset:896
	v_add_f32_e32 v1, v1, v2
	v_mul_f32_e32 v2, v144, v200
	s_waitcnt vmcnt(32) lgkmcnt(1)
	v_mul_f32_e32 v162, v153, v210
	v_fma_f32 v2, v143, v199, -v2
	v_fmac_f32_e32 v162, v154, v209
	v_add_f32_e32 v1, v1, v2
	v_mul_f32_e32 v2, v146, v202
	v_add_f32_e32 v161, v161, v162
	s_waitcnt vmcnt(31)
	v_mul_f32_e32 v162, v155, v211
	v_fma_f32 v2, v145, v201, -v2
	s_waitcnt vmcnt(28)
	v_fmac_f32_e32 v162, v156, v214
	v_add_f32_e32 v1, v1, v2
	v_mul_f32_e32 v2, v148, v203
	v_add_f32_e32 v161, v161, v162
	s_waitcnt lgkmcnt(0)
	v_mul_f32_e32 v162, v157, v213
	v_fma_f32 v2, v147, v206, -v2
	v_fmac_f32_e32 v162, v158, v212
	v_add_f32_e32 v1, v1, v2
	v_mul_f32_e32 v2, v150, v205
	v_add_f32_e32 v165, v161, v162
	ds_read_b128 v[161:164], v116 offset:912
	v_fma_f32 v2, v149, v204, -v2
	v_add_f32_e32 v1, v1, v2
	v_mul_f32_e32 v2, v152, v208
	s_waitcnt vmcnt(26)
	v_mul_f32_e32 v166, v159, v216
	v_fma_f32 v2, v151, v207, -v2
	v_fmac_f32_e32 v166, v160, v215
	v_add_f32_e32 v1, v1, v2
	v_mul_f32_e32 v2, v154, v210
	v_add_f32_e32 v169, v165, v166
	ds_read_b128 v[165:168], v116 offset:928
	v_fma_f32 v2, v153, v209, -v2
	s_waitcnt vmcnt(24) lgkmcnt(1)
	v_mul_f32_e32 v170, v161, v218
	v_add_f32_e32 v1, v1, v2
	v_mul_f32_e32 v2, v156, v211
	v_fmac_f32_e32 v170, v162, v217
	v_fma_f32 v2, v155, v214, -v2
	v_add_f32_e32 v169, v169, v170
	s_waitcnt vmcnt(23)
	v_mul_f32_e32 v170, v163, v219
	v_add_f32_e32 v1, v1, v2
	v_mul_f32_e32 v2, v158, v213
	s_waitcnt vmcnt(20)
	v_fmac_f32_e32 v170, v164, v222
	v_fma_f32 v2, v157, v212, -v2
	v_add_f32_e32 v169, v169, v170
	s_waitcnt lgkmcnt(0)
	v_mul_f32_e32 v170, v165, v221
	v_add_f32_e32 v1, v1, v2
	v_mul_f32_e32 v2, v160, v216
	v_fmac_f32_e32 v170, v166, v220
	v_fma_f32 v2, v159, v215, -v2
	v_add_f32_e32 v173, v169, v170
	ds_read_b128 v[169:172], v116 offset:944
	v_add_f32_e32 v1, v1, v2
	v_mul_f32_e32 v2, v162, v218
	v_fma_f32 v2, v161, v217, -v2
	s_waitcnt vmcnt(18)
	v_mul_f32_e32 v174, v167, v224
	v_add_f32_e32 v1, v1, v2
	v_mul_f32_e32 v2, v164, v219
	v_fmac_f32_e32 v174, v168, v223
	v_fma_f32 v2, v163, v222, -v2
	v_add_f32_e32 v177, v173, v174
	ds_read_b128 v[173:176], v116 offset:960
	v_add_f32_e32 v1, v1, v2
	v_mul_f32_e32 v2, v166, v221
	s_waitcnt vmcnt(16) lgkmcnt(1)
	v_mul_f32_e32 v178, v169, v226
	v_fma_f32 v2, v165, v220, -v2
	v_fmac_f32_e32 v178, v170, v225
	v_add_f32_e32 v1, v1, v2
	v_mul_f32_e32 v2, v168, v224
	v_add_f32_e32 v177, v177, v178
	s_waitcnt vmcnt(15)
	v_mul_f32_e32 v178, v171, v227
	v_fma_f32 v2, v167, v223, -v2
	s_waitcnt vmcnt(12)
	v_fmac_f32_e32 v178, v172, v230
	v_add_f32_e32 v1, v1, v2
	v_mul_f32_e32 v2, v170, v226
	v_add_f32_e32 v177, v177, v178
	s_waitcnt lgkmcnt(0)
	v_mul_f32_e32 v178, v173, v229
	v_fma_f32 v2, v169, v225, -v2
	v_fmac_f32_e32 v178, v174, v228
	v_add_f32_e32 v1, v1, v2
	v_mul_f32_e32 v2, v172, v227
	v_add_f32_e32 v253, v177, v178
	ds_read_b128 v[177:180], v116 offset:976
	ds_read_b128 v[74:77], v116 offset:992
	v_fma_f32 v2, v171, v230, -v2
	v_add_f32_e32 v1, v1, v2
	v_mul_f32_e32 v2, v174, v229
	v_fma_f32 v2, v173, v228, -v2
	v_add_f32_e32 v1, v1, v2
	s_waitcnt vmcnt(10)
	v_mul_f32_e32 v2, v176, v234
	v_mul_f32_e32 v254, v175, v234
	v_fma_f32 v2, v175, v231, -v2
	v_fmac_f32_e32 v254, v176, v231
	s_waitcnt vmcnt(8) lgkmcnt(1)
	v_mul_f32_e32 v20, v177, v236
	v_add_f32_e32 v1, v1, v2
	v_mul_f32_e32 v2, v178, v236
	v_add_f32_e32 v253, v253, v254
	v_fmac_f32_e32 v20, v178, v235
	s_waitcnt vmcnt(7)
	v_mul_f32_e32 v21, v179, v237
	v_fma_f32 v2, v177, v235, -v2
	v_add_f32_e32 v20, v253, v20
	s_waitcnt vmcnt(4)
	v_fmac_f32_e32 v21, v180, v248
	v_add_f32_e32 v1, v1, v2
	v_mul_f32_e32 v2, v180, v237
	v_add_f32_e32 v253, v20, v21
	ds_read_b64 v[20:21], v116 offset:1008
	v_fma_f32 v2, v179, v248, -v2
	v_add_f32_e32 v1, v1, v2
	s_waitcnt lgkmcnt(1)
	v_mul_f32_e32 v2, v75, v247
	v_mul_f32_e32 v254, v74, v247
	v_fma_f32 v2, v74, v246, -v2
	v_fmac_f32_e32 v254, v75, v246
	v_add_f32_e32 v1, v1, v2
	s_waitcnt vmcnt(3)
	v_mul_f32_e32 v2, v77, v249
	v_add_f32_e32 v253, v253, v254
	v_mul_f32_e32 v254, v76, v249
	s_waitcnt vmcnt(0)
	v_fma_f32 v2, v76, v252, -v2
	v_fmac_f32_e32 v254, v77, v252
	v_add_f32_e32 v1, v1, v2
	s_waitcnt lgkmcnt(0)
	v_mul_f32_e32 v2, v21, v251
	v_add_f32_e32 v253, v253, v254
	v_mul_f32_e32 v254, v20, v251
	v_fma_f32 v2, v20, v250, -v2
	v_fmac_f32_e32 v254, v21, v250
	v_add_f32_e32 v1, v1, v2
	v_add_f32_e32 v253, v253, v254
	v_sub_f32_e32 v1, v13, v1
	v_sub_f32_e32 v2, v14, v253
	buffer_store_dword v1, off, s[0:3], 0 offset:8
	buffer_store_dword v2, off, s[0:3], 0 offset:12
	s_and_saveexec_b64 s[4:5], vcc
	s_cbranch_execz .LBB62_391
; %bb.390:
	buffer_load_dword v0, off, s[0:3], 0
	buffer_load_dword v1, off, s[0:3], 0 offset:4
	s_waitcnt vmcnt(0)
	ds_write_b64 v25, v[0:1]
	buffer_store_dword v116, off, s[0:3], 0
	buffer_store_dword v116, off, s[0:3], 0 offset:4
.LBB62_391:
	s_or_b64 exec, exec, s[4:5]
	s_waitcnt lgkmcnt(0)
	; wave barrier
	buffer_load_dword v117, off, s[0:3], 0 offset:12
	buffer_load_dword v118, off, s[0:3], 0 offset:20
	;; [unrolled: 1-line block ×24, first 2 shown]
	buffer_load_dword v246, off, s[0:3], 0
	buffer_load_dword v132, off, s[0:3], 0 offset:108
	buffer_load_dword v131, off, s[0:3], 0 offset:104
	ds_read2_b64 v[112:115], v116 offset0:65 offset1:66
	ds_read2_b64 v[0:3], v116 offset0:67 offset1:68
	buffer_load_dword v133, off, s[0:3], 0 offset:112
	buffer_load_dword v134, off, s[0:3], 0 offset:116
	;; [unrolled: 1-line block ×4, first 2 shown]
	ds_read2_b64 v[16:19], v116 offset0:69 offset1:70
	ds_read2_b64 v[12:15], v116 offset0:71 offset1:72
	;; [unrolled: 1-line block ×4, first 2 shown]
	buffer_load_dword v137, off, s[0:3], 0 offset:128
	buffer_load_dword v138, off, s[0:3], 0 offset:132
	buffer_load_dword v139, off, s[0:3], 0 offset:136
	buffer_load_dword v140, off, s[0:3], 0 offset:140
	buffer_load_dword v141, off, s[0:3], 0 offset:144
	buffer_load_dword v142, off, s[0:3], 0 offset:148
	buffer_load_dword v143, off, s[0:3], 0 offset:152
	buffer_load_dword v144, off, s[0:3], 0 offset:156
	buffer_load_dword v145, off, s[0:3], 0 offset:160
	buffer_load_dword v146, off, s[0:3], 0 offset:164
	buffer_load_dword v147, off, s[0:3], 0 offset:168
	buffer_load_dword v148, off, s[0:3], 0 offset:172
	buffer_load_dword v149, off, s[0:3], 0 offset:176
	buffer_load_dword v150, off, s[0:3], 0 offset:180
	buffer_load_dword v151, off, s[0:3], 0 offset:184
	buffer_load_dword v152, off, s[0:3], 0 offset:188
	buffer_load_dword v153, off, s[0:3], 0 offset:192
	buffer_load_dword v154, off, s[0:3], 0 offset:196
	buffer_load_dword v155, off, s[0:3], 0 offset:200
	buffer_load_dword v156, off, s[0:3], 0 offset:204
	buffer_load_dword v157, off, s[0:3], 0 offset:208
	buffer_load_dword v158, off, s[0:3], 0 offset:212
	buffer_load_dword v159, off, s[0:3], 0 offset:216
	buffer_load_dword v160, off, s[0:3], 0 offset:220
	buffer_load_dword v161, off, s[0:3], 0 offset:224
	buffer_load_dword v162, off, s[0:3], 0 offset:228
	buffer_load_dword v163, off, s[0:3], 0 offset:232
	buffer_load_dword v164, off, s[0:3], 0 offset:236
	s_and_b64 vcc, exec, s[22:23]
	s_waitcnt vmcnt(58) lgkmcnt(5)
	v_mul_f32_e32 v20, v112, v117
	s_waitcnt vmcnt(57)
	v_mul_f32_e32 v21, v114, v118
	s_waitcnt vmcnt(56) lgkmcnt(4)
	v_mul_f32_e32 v22, v0, v251
	s_waitcnt vmcnt(55)
	v_mul_f32_e32 v23, v2, v250
	;; [unrolled: 4-line block ×5, first 2 shown]
	s_waitcnt vmcnt(48)
	v_fmac_f32_e32 v20, v113, v119
	s_waitcnt vmcnt(47)
	v_fmac_f32_e32 v21, v115, v231
	v_add_f32_e32 v20, 0, v20
	s_waitcnt vmcnt(46)
	v_fmac_f32_e32 v22, v1, v127
	v_add_f32_e32 v20, v20, v21
	;; [unrolled: 3-line block ×8, first 2 shown]
	v_add_f32_e32 v20, v20, v28
	s_waitcnt vmcnt(39)
	v_fmac_f32_e32 v29, v11, v120
	s_waitcnt vmcnt(38) lgkmcnt(0)
	v_mul_f32_e32 v21, v4, v255
	ds_read2_b64 v[24:27], v116 offset0:77 offset1:78
	v_add_f32_e32 v20, v20, v29
	s_waitcnt vmcnt(37)
	v_fmac_f32_e32 v21, v5, v128
	v_add_f32_e32 v20, v20, v21
	s_waitcnt vmcnt(36)
	v_mul_f32_e32 v21, v6, v130
	s_waitcnt vmcnt(35)
	v_fmac_f32_e32 v21, v7, v129
	v_add_f32_e32 v28, v20, v21
	ds_read2_b64 v[20:23], v116 offset0:79 offset1:80
	s_waitcnt vmcnt(33) lgkmcnt(1)
	v_mul_f32_e32 v29, v24, v132
	s_waitcnt vmcnt(32)
	v_fmac_f32_e32 v29, v25, v131
	buffer_load_dword v165, off, s[0:3], 0 offset:240
	buffer_load_dword v166, off, s[0:3], 0 offset:244
	v_add_f32_e32 v28, v28, v29
	s_waitcnt vmcnt(32)
	v_mul_f32_e32 v29, v26, v134
	v_fmac_f32_e32 v29, v27, v133
	buffer_load_dword v167, off, s[0:3], 0 offset:248
	buffer_load_dword v168, off, s[0:3], 0 offset:252
	v_add_f32_e32 v28, v28, v29
	s_waitcnt vmcnt(32) lgkmcnt(0)
	v_mul_f32_e32 v29, v20, v136
	v_fmac_f32_e32 v29, v21, v135
	v_add_f32_e32 v32, v28, v29
	ds_read2_b64 v[28:31], v116 offset0:81 offset1:82
	buffer_load_dword v169, off, s[0:3], 0 offset:256
	buffer_load_dword v170, off, s[0:3], 0 offset:260
	s_waitcnt vmcnt(32)
	v_mul_f32_e32 v33, v22, v138
	v_fmac_f32_e32 v33, v23, v137
	v_add_f32_e32 v36, v32, v33
	ds_read2_b64 v[32:35], v116 offset0:83 offset1:84
	s_waitcnt vmcnt(30) lgkmcnt(1)
	v_mul_f32_e32 v37, v28, v140
	v_fmac_f32_e32 v37, v29, v139
	v_add_f32_e32 v36, v36, v37
	s_waitcnt vmcnt(28)
	v_mul_f32_e32 v37, v30, v142
	v_fmac_f32_e32 v37, v31, v141
	v_add_f32_e32 v36, v36, v37
	s_waitcnt vmcnt(26) lgkmcnt(0)
	v_mul_f32_e32 v37, v32, v144
	v_fmac_f32_e32 v37, v33, v143
	buffer_load_dword v171, off, s[0:3], 0 offset:264
	buffer_load_dword v172, off, s[0:3], 0 offset:268
	v_add_f32_e32 v40, v36, v37
	ds_read2_b64 v[36:39], v116 offset0:85 offset1:86
	s_waitcnt vmcnt(26)
	v_mul_f32_e32 v41, v34, v146
	buffer_load_dword v173, off, s[0:3], 0 offset:272
	buffer_load_dword v174, off, s[0:3], 0 offset:276
	v_fmac_f32_e32 v41, v35, v145
	v_add_f32_e32 v44, v40, v41
	ds_read2_b64 v[40:43], v116 offset0:87 offset1:88
	s_waitcnt vmcnt(26) lgkmcnt(1)
	v_mul_f32_e32 v45, v36, v148
	buffer_load_dword v175, off, s[0:3], 0 offset:280
	buffer_load_dword v176, off, s[0:3], 0 offset:284
	v_fmac_f32_e32 v45, v37, v147
	v_add_f32_e32 v44, v44, v45
	s_waitcnt vmcnt(26)
	v_mul_f32_e32 v45, v38, v150
	buffer_load_dword v177, off, s[0:3], 0 offset:288
	buffer_load_dword v178, off, s[0:3], 0 offset:292
	v_fmac_f32_e32 v45, v39, v149
	v_add_f32_e32 v44, v44, v45
	s_waitcnt vmcnt(26) lgkmcnt(0)
	v_mul_f32_e32 v45, v40, v152
	ds_read2_b64 v[48:51], v116 offset0:89 offset1:90
	v_fmac_f32_e32 v45, v41, v151
	v_add_f32_e32 v44, v44, v45
	s_waitcnt vmcnt(24)
	v_mul_f32_e32 v45, v42, v154
	v_fmac_f32_e32 v45, v43, v153
	v_add_f32_e32 v52, v44, v45
	ds_read2_b64 v[44:47], v116 offset0:91 offset1:92
	s_waitcnt vmcnt(22) lgkmcnt(1)
	v_mul_f32_e32 v53, v48, v156
	v_fmac_f32_e32 v53, v49, v155
	buffer_load_dword v179, off, s[0:3], 0 offset:296
	buffer_load_dword v180, off, s[0:3], 0 offset:300
	v_add_f32_e32 v52, v52, v53
	s_waitcnt vmcnt(22)
	v_mul_f32_e32 v53, v50, v158
	v_fmac_f32_e32 v53, v51, v157
	v_add_f32_e32 v52, v52, v53
	s_waitcnt vmcnt(20) lgkmcnt(0)
	v_mul_f32_e32 v53, v44, v160
	buffer_load_dword v181, off, s[0:3], 0 offset:304
	buffer_load_dword v182, off, s[0:3], 0 offset:308
	v_fmac_f32_e32 v53, v45, v159
	v_add_f32_e32 v52, v52, v53
	s_waitcnt vmcnt(20)
	v_mul_f32_e32 v53, v46, v162
	ds_read2_b64 v[56:59], v116 offset0:93 offset1:94
	buffer_load_dword v183, off, s[0:3], 0 offset:312
	buffer_load_dword v184, off, s[0:3], 0 offset:316
	v_fmac_f32_e32 v53, v47, v161
	v_add_f32_e32 v60, v52, v53
	ds_read2_b64 v[52:55], v116 offset0:95 offset1:96
	buffer_load_dword v185, off, s[0:3], 0 offset:320
	buffer_load_dword v188, off, s[0:3], 0 offset:324
	;; [unrolled: 1-line block ×10, first 2 shown]
	s_waitcnt vmcnt(30) lgkmcnt(1)
	v_mul_f32_e32 v61, v56, v164
	v_fmac_f32_e32 v61, v57, v163
	v_add_f32_e32 v60, v60, v61
	buffer_load_dword v194, off, s[0:3], 0 offset:360
	buffer_load_dword v198, off, s[0:3], 0 offset:364
	ds_read2_b64 v[64:67], v116 offset0:97 offset1:98
	buffer_load_dword v200, off, s[0:3], 0 offset:372
	buffer_load_dword v199, off, s[0:3], 0 offset:368
	;; [unrolled: 1-line block ×4, first 2 shown]
	v_mul_f32_e32 v113, v113, v117
	v_mul_f32_e32 v1, v1, v251
	v_fma_f32 v0, v0, v127, -v1
	v_mul_f32_e32 v1, v3, v250
	v_fma_f32 v1, v2, v126, -v1
	s_waitcnt vmcnt(34)
	v_mul_f32_e32 v61, v58, v166
	v_fmac_f32_e32 v61, v59, v165
	v_add_f32_e32 v60, v60, v61
	s_waitcnt vmcnt(32) lgkmcnt(1)
	v_mul_f32_e32 v61, v52, v168
	v_fmac_f32_e32 v61, v53, v167
	v_add_f32_e32 v60, v60, v61
	s_waitcnt vmcnt(30)
	v_mul_f32_e32 v61, v54, v170
	v_fmac_f32_e32 v61, v55, v169
	v_add_f32_e32 v68, v60, v61
	ds_read2_b64 v[60:63], v116 offset0:99 offset1:100
	buffer_load_dword v197, off, s[0:3], 0 offset:384
	buffer_load_dword v204, off, s[0:3], 0 offset:388
	;; [unrolled: 1-line block ×16, first 2 shown]
	ds_read2_b64 v[72:75], v116 offset0:101 offset1:102
	buffer_load_dword v213, off, s[0:3], 0 offset:448
	buffer_load_dword v220, off, s[0:3], 0 offset:452
	s_waitcnt vmcnt(46) lgkmcnt(2)
	v_mul_f32_e32 v69, v64, v172
	v_fmac_f32_e32 v69, v65, v171
	v_add_f32_e32 v68, v68, v69
	s_waitcnt vmcnt(44)
	v_mul_f32_e32 v69, v66, v174
	v_fmac_f32_e32 v69, v67, v173
	v_add_f32_e32 v68, v68, v69
	s_waitcnt vmcnt(42) lgkmcnt(1)
	v_mul_f32_e32 v69, v60, v176
	v_fmac_f32_e32 v69, v61, v175
	v_add_f32_e32 v68, v68, v69
	s_waitcnt vmcnt(40)
	v_mul_f32_e32 v69, v62, v178
	v_fmac_f32_e32 v69, v63, v177
	v_add_f32_e32 v76, v68, v69
	ds_read2_b64 v[68:71], v116 offset0:103 offset1:104
	buffer_load_dword v218, off, s[0:3], 0 offset:456
	buffer_load_dword v223, off, s[0:3], 0 offset:460
	;; [unrolled: 1-line block ×12, first 2 shown]
	ds_read2_b64 v[80:83], v116 offset0:105 offset1:106
	ds_read2_b64 v[88:91], v116 offset0:109 offset1:110
	;; [unrolled: 1-line block ×4, first 2 shown]
	s_waitcnt vmcnt(50) lgkmcnt(5)
	v_mul_f32_e32 v77, v72, v180
	v_fmac_f32_e32 v77, v73, v179
	v_add_f32_e32 v76, v76, v77
	s_waitcnt vmcnt(48)
	v_mul_f32_e32 v77, v74, v182
	v_fmac_f32_e32 v77, v75, v181
	v_add_f32_e32 v76, v76, v77
	s_waitcnt vmcnt(46) lgkmcnt(4)
	v_mul_f32_e32 v77, v68, v184
	v_fmac_f32_e32 v77, v69, v183
	v_add_f32_e32 v76, v76, v77
	s_waitcnt vmcnt(44)
	v_mul_f32_e32 v77, v70, v188
	v_fmac_f32_e32 v77, v71, v185
	v_add_f32_e32 v84, v76, v77
	ds_read2_b64 v[76:79], v116 offset0:107 offset1:108
	s_waitcnt vmcnt(42) lgkmcnt(4)
	v_mul_f32_e32 v85, v80, v190
	v_fmac_f32_e32 v85, v81, v186
	v_add_f32_e32 v84, v84, v85
	s_waitcnt vmcnt(41)
	v_mul_f32_e32 v85, v82, v192
	s_waitcnt vmcnt(40)
	v_fmac_f32_e32 v85, v83, v191
	v_add_f32_e32 v84, v84, v85
	s_waitcnt vmcnt(38) lgkmcnt(0)
	v_mul_f32_e32 v85, v76, v193
	v_fmac_f32_e32 v85, v77, v187
	v_add_f32_e32 v84, v84, v85
	s_waitcnt vmcnt(36)
	v_mul_f32_e32 v85, v78, v196
	v_fmac_f32_e32 v85, v79, v189
	v_add_f32_e32 v92, v84, v85
	ds_read2_b64 v[84:87], v116 offset0:111 offset1:112
	s_waitcnt vmcnt(34)
	v_mul_f32_e32 v93, v88, v198
	v_fmac_f32_e32 v93, v89, v194
	v_add_f32_e32 v92, v92, v93
	s_waitcnt vmcnt(33)
	v_mul_f32_e32 v93, v90, v200
	s_waitcnt vmcnt(32)
	v_fmac_f32_e32 v93, v91, v199
	v_add_f32_e32 v92, v92, v93
	s_waitcnt vmcnt(30) lgkmcnt(0)
	v_mul_f32_e32 v93, v84, v201
	v_fmac_f32_e32 v93, v85, v195
	v_add_f32_e32 v92, v92, v93
	s_waitcnt vmcnt(28)
	v_mul_f32_e32 v93, v86, v204
	v_fmac_f32_e32 v93, v87, v197
	v_add_f32_e32 v100, v92, v93
	ds_read2_b64 v[92:95], v116 offset0:115 offset1:116
	s_waitcnt vmcnt(26)
	;; [unrolled: 18-line block ×3, first 2 shown]
	v_mul_f32_e32 v109, v104, v214
	v_fmac_f32_e32 v109, v105, v210
	v_add_f32_e32 v108, v108, v109
	s_waitcnt vmcnt(17)
	v_mul_f32_e32 v109, v106, v216
	s_waitcnt vmcnt(16)
	v_fmac_f32_e32 v109, v107, v215
	v_add_f32_e32 v108, v108, v109
	s_waitcnt vmcnt(14) lgkmcnt(0)
	v_mul_f32_e32 v109, v100, v217
	v_fmac_f32_e32 v109, v101, v211
	s_waitcnt vmcnt(12)
	v_mul_f32_e32 v235, v102, v220
	v_add_f32_e32 v234, v108, v109
	v_fmac_f32_e32 v235, v103, v213
	v_add_f32_e32 v236, v234, v235
	v_fma_f32 v234, v112, v119, -v113
	v_mul_f32_e32 v112, v115, v118
	v_fma_f32 v235, v114, v231, -v112
	v_add_f32_e32 v234, 0, v234
	v_add_f32_e32 v234, v234, v235
	v_add_f32_e32 v0, v234, v0
	v_add_f32_e32 v0, v0, v1
	v_mul_f32_e32 v1, v17, v249
	v_fma_f32 v1, v16, v124, -v1
	v_add_f32_e32 v0, v0, v1
	v_mul_f32_e32 v1, v19, v248
	v_fma_f32 v1, v18, v122, -v1
	v_add_f32_e32 v0, v0, v1
	;; [unrolled: 3-line block ×10, first 2 shown]
	v_mul_f32_e32 v1, v21, v136
	ds_read2_b64 v[108:111], v116 offset0:121 offset1:122
	ds_read2_b64 v[112:115], v116 offset0:123 offset1:124
	v_fma_f32 v1, v20, v135, -v1
	v_add_f32_e32 v0, v0, v1
	v_mul_f32_e32 v1, v23, v138
	v_fma_f32 v1, v22, v137, -v1
	v_add_f32_e32 v0, v0, v1
	v_mul_f32_e32 v1, v29, v140
	v_fma_f32 v1, v28, v139, -v1
	s_waitcnt vmcnt(10) lgkmcnt(1)
	v_mul_f32_e32 v117, v108, v223
	v_add_f32_e32 v0, v0, v1
	v_mul_f32_e32 v1, v31, v142
	v_fmac_f32_e32 v117, v109, v218
	s_waitcnt vmcnt(9)
	v_mul_f32_e32 v118, v110, v225
	v_fma_f32 v1, v30, v141, -v1
	v_add_f32_e32 v117, v236, v117
	s_waitcnt vmcnt(8)
	v_fmac_f32_e32 v118, v111, v224
	v_add_f32_e32 v0, v0, v1
	v_mul_f32_e32 v1, v33, v144
	v_add_f32_e32 v231, v117, v118
	ds_read2_b64 v[116:119], v116 offset0:125 offset1:126
	v_fma_f32 v1, v32, v143, -v1
	s_waitcnt vmcnt(6) lgkmcnt(1)
	v_mul_f32_e32 v236, v112, v226
	v_add_f32_e32 v0, v0, v1
	v_mul_f32_e32 v1, v35, v146
	v_fmac_f32_e32 v236, v113, v219
	v_fma_f32 v1, v34, v145, -v1
	v_add_f32_e32 v231, v231, v236
	s_waitcnt vmcnt(4)
	v_mul_f32_e32 v236, v114, v227
	v_add_f32_e32 v0, v0, v1
	v_mul_f32_e32 v1, v37, v148
	v_fmac_f32_e32 v236, v115, v221
	v_fma_f32 v1, v36, v147, -v1
	v_add_f32_e32 v231, v231, v236
	s_waitcnt vmcnt(3) lgkmcnt(0)
	v_mul_f32_e32 v236, v116, v229
	v_add_f32_e32 v0, v0, v1
	v_mul_f32_e32 v1, v39, v150
	s_waitcnt vmcnt(2)
	v_fmac_f32_e32 v236, v117, v228
	v_fma_f32 v1, v38, v149, -v1
	v_add_f32_e32 v231, v231, v236
	s_waitcnt vmcnt(0)
	v_mul_f32_e32 v236, v118, v230
	v_add_f32_e32 v0, v0, v1
	v_mul_f32_e32 v1, v41, v152
	v_fmac_f32_e32 v236, v119, v222
	v_fma_f32 v1, v40, v151, -v1
	v_add_f32_e32 v231, v231, v236
	buffer_load_dword v236, off, s[0:3], 0 offset:4
	v_add_f32_e32 v0, v0, v1
	v_mul_f32_e32 v1, v43, v154
	v_fma_f32 v1, v42, v153, -v1
	v_add_f32_e32 v0, v0, v1
	v_mul_f32_e32 v1, v49, v156
	v_fma_f32 v1, v48, v155, -v1
	;; [unrolled: 3-line block ×39, first 2 shown]
	v_add_f32_e32 v0, v0, v1
	v_sub_f32_e32 v0, v246, v0
	s_waitcnt vmcnt(0)
	v_sub_f32_e32 v1, v236, v231
	buffer_store_dword v0, off, s[0:3], 0
	buffer_store_dword v1, off, s[0:3], 0 offset:4
	s_cbranch_vccz .LBB62_516
; %bb.392:
	v_mov_b32_e32 v0, 0
	global_load_dword v1, v0, s[20:21] offset:244
	s_waitcnt vmcnt(0)
	v_add_u32_e32 v1, -1, v1
	v_cmp_ne_u32_e32 vcc, 61, v1
	s_cbranch_vccz .LBB62_394
; %bb.393:
	v_lshlrev_b32_e32 v1, 3, v1
	buffer_load_dword v2, v1, s[0:3], 0 offen
	buffer_load_dword v3, v1, s[0:3], 0 offen offset:4
	buffer_load_dword v4, off, s[0:3], 0 offset:488
	buffer_load_dword v5, off, s[0:3], 0 offset:492
	s_waitcnt vmcnt(3)
	buffer_store_dword v2, off, s[0:3], 0 offset:488
	s_waitcnt vmcnt(3)
	buffer_store_dword v3, off, s[0:3], 0 offset:492
	s_waitcnt vmcnt(3)
	buffer_store_dword v4, v1, s[0:3], 0 offen
	s_waitcnt vmcnt(3)
	buffer_store_dword v5, v1, s[0:3], 0 offen offset:4
.LBB62_394:
	global_load_dword v0, v0, s[20:21] offset:240
	s_waitcnt vmcnt(0)
	v_add_u32_e32 v0, -1, v0
	v_cmp_eq_u32_e32 vcc, 60, v0
	s_cbranch_vccnz .LBB62_396
; %bb.395:
	v_lshlrev_b32_e32 v0, 3, v0
	buffer_load_dword v1, v0, s[0:3], 0 offen
	buffer_load_dword v2, v0, s[0:3], 0 offen offset:4
	buffer_load_dword v3, off, s[0:3], 0 offset:484
	buffer_load_dword v4, off, s[0:3], 0 offset:480
	s_waitcnt vmcnt(3)
	buffer_store_dword v1, off, s[0:3], 0 offset:480
	s_waitcnt vmcnt(3)
	buffer_store_dword v2, off, s[0:3], 0 offset:484
	s_waitcnt vmcnt(3)
	buffer_store_dword v3, v0, s[0:3], 0 offen offset:4
	s_waitcnt vmcnt(3)
	buffer_store_dword v4, v0, s[0:3], 0 offen
.LBB62_396:
	v_mov_b32_e32 v0, 0
	global_load_dword v1, v0, s[20:21] offset:236
	s_waitcnt vmcnt(0)
	v_add_u32_e32 v1, -1, v1
	v_cmp_eq_u32_e32 vcc, 59, v1
	s_cbranch_vccnz .LBB62_398
; %bb.397:
	v_lshlrev_b32_e32 v1, 3, v1
	buffer_load_dword v2, v1, s[0:3], 0 offen
	buffer_load_dword v3, v1, s[0:3], 0 offen offset:4
	buffer_load_dword v4, off, s[0:3], 0 offset:472
	buffer_load_dword v5, off, s[0:3], 0 offset:476
	s_waitcnt vmcnt(3)
	buffer_store_dword v2, off, s[0:3], 0 offset:472
	s_waitcnt vmcnt(3)
	buffer_store_dword v3, off, s[0:3], 0 offset:476
	s_waitcnt vmcnt(3)
	buffer_store_dword v4, v1, s[0:3], 0 offen
	s_waitcnt vmcnt(3)
	buffer_store_dword v5, v1, s[0:3], 0 offen offset:4
.LBB62_398:
	global_load_dword v0, v0, s[20:21] offset:232
	s_waitcnt vmcnt(0)
	v_add_u32_e32 v0, -1, v0
	v_cmp_eq_u32_e32 vcc, 58, v0
	s_cbranch_vccnz .LBB62_400
; %bb.399:
	v_lshlrev_b32_e32 v0, 3, v0
	buffer_load_dword v1, v0, s[0:3], 0 offen
	buffer_load_dword v2, v0, s[0:3], 0 offen offset:4
	buffer_load_dword v3, off, s[0:3], 0 offset:468
	buffer_load_dword v4, off, s[0:3], 0 offset:464
	s_waitcnt vmcnt(3)
	buffer_store_dword v1, off, s[0:3], 0 offset:464
	s_waitcnt vmcnt(3)
	buffer_store_dword v2, off, s[0:3], 0 offset:468
	s_waitcnt vmcnt(3)
	buffer_store_dword v3, v0, s[0:3], 0 offen offset:4
	s_waitcnt vmcnt(3)
	buffer_store_dword v4, v0, s[0:3], 0 offen
.LBB62_400:
	v_mov_b32_e32 v0, 0
	global_load_dword v1, v0, s[20:21] offset:228
	s_waitcnt vmcnt(0)
	v_add_u32_e32 v1, -1, v1
	v_cmp_eq_u32_e32 vcc, 57, v1
	s_cbranch_vccnz .LBB62_402
; %bb.401:
	v_lshlrev_b32_e32 v1, 3, v1
	buffer_load_dword v2, v1, s[0:3], 0 offen
	buffer_load_dword v3, v1, s[0:3], 0 offen offset:4
	buffer_load_dword v4, off, s[0:3], 0 offset:456
	buffer_load_dword v5, off, s[0:3], 0 offset:460
	s_waitcnt vmcnt(3)
	buffer_store_dword v2, off, s[0:3], 0 offset:456
	s_waitcnt vmcnt(3)
	buffer_store_dword v3, off, s[0:3], 0 offset:460
	s_waitcnt vmcnt(3)
	buffer_store_dword v4, v1, s[0:3], 0 offen
	s_waitcnt vmcnt(3)
	buffer_store_dword v5, v1, s[0:3], 0 offen offset:4
.LBB62_402:
	;; [unrolled: 41-line block ×30, first 2 shown]
	global_load_dword v0, v0, s[20:21]
	s_waitcnt vmcnt(0)
	v_add_u32_e32 v0, -1, v0
	v_cmp_eq_u32_e32 vcc, 0, v0
	s_cbranch_vccnz .LBB62_516
; %bb.515:
	v_lshlrev_b32_e32 v0, 3, v0
	buffer_load_dword v1, v0, s[0:3], 0 offen
	buffer_load_dword v2, v0, s[0:3], 0 offen offset:4
	buffer_load_dword v3, off, s[0:3], 0 offset:4
	buffer_load_dword v4, off, s[0:3], 0
	s_waitcnt vmcnt(3)
	buffer_store_dword v1, off, s[0:3], 0
	s_waitcnt vmcnt(3)
	buffer_store_dword v2, off, s[0:3], 0 offset:4
	s_waitcnt vmcnt(3)
	buffer_store_dword v3, v0, s[0:3], 0 offen offset:4
	s_waitcnt vmcnt(3)
	buffer_store_dword v4, v0, s[0:3], 0 offen
.LBB62_516:
	buffer_load_dword v0, off, s[0:3], 0
	s_nop 0
	buffer_load_dword v1, off, s[0:3], 0 offset:4
	buffer_load_dword v2, off, s[0:3], 0 offset:8
	;; [unrolled: 1-line block ×125, first 2 shown]
	s_waitcnt vmcnt(62)
	global_store_dwordx2 v[232:233], v[0:1], off
	buffer_load_dword v0, off, s[0:3], 0 offset:952 ; 4-byte Folded Reload
	s_nop 0
	buffer_load_dword v1, off, s[0:3], 0 offset:956 ; 4-byte Folded Reload
	s_waitcnt vmcnt(0)
	global_store_dwordx2 v[0:1], v[2:3], off
	buffer_load_dword v0, off, s[0:3], 0 offset:504 ; 4-byte Folded Reload
	s_nop 0
	buffer_load_dword v1, off, s[0:3], 0 offset:508 ; 4-byte Folded Reload
	;; [unrolled: 5-line block ×58, first 2 shown]
	s_waitcnt vmcnt(0)
	global_store_dwordx2 v[0:1], v[116:117], off
	global_store_dwordx2 v[238:239], v[118:119], off
	;; [unrolled: 1-line block ×5, first 2 shown]
	s_endpgm
	.section	.rodata,"a",@progbits
	.p2align	6, 0x0
	.amdhsa_kernel _ZN9rocsolver6v33100L18getri_kernel_smallILi63E19rocblas_complex_numIfEPS3_EEvT1_iilPiilS6_bb
		.amdhsa_group_segment_fixed_size 1016
		.amdhsa_private_segment_fixed_size 976
		.amdhsa_kernarg_size 60
		.amdhsa_user_sgpr_count 6
		.amdhsa_user_sgpr_private_segment_buffer 1
		.amdhsa_user_sgpr_dispatch_ptr 0
		.amdhsa_user_sgpr_queue_ptr 0
		.amdhsa_user_sgpr_kernarg_segment_ptr 1
		.amdhsa_user_sgpr_dispatch_id 0
		.amdhsa_user_sgpr_flat_scratch_init 0
		.amdhsa_user_sgpr_private_segment_size 0
		.amdhsa_uses_dynamic_stack 0
		.amdhsa_system_sgpr_private_segment_wavefront_offset 1
		.amdhsa_system_sgpr_workgroup_id_x 1
		.amdhsa_system_sgpr_workgroup_id_y 0
		.amdhsa_system_sgpr_workgroup_id_z 0
		.amdhsa_system_sgpr_workgroup_info 0
		.amdhsa_system_vgpr_workitem_id 0
		.amdhsa_next_free_vgpr 256
		.amdhsa_next_free_sgpr 24
		.amdhsa_reserve_vcc 1
		.amdhsa_reserve_flat_scratch 0
		.amdhsa_float_round_mode_32 0
		.amdhsa_float_round_mode_16_64 0
		.amdhsa_float_denorm_mode_32 3
		.amdhsa_float_denorm_mode_16_64 3
		.amdhsa_dx10_clamp 1
		.amdhsa_ieee_mode 1
		.amdhsa_fp16_overflow 0
		.amdhsa_exception_fp_ieee_invalid_op 0
		.amdhsa_exception_fp_denorm_src 0
		.amdhsa_exception_fp_ieee_div_zero 0
		.amdhsa_exception_fp_ieee_overflow 0
		.amdhsa_exception_fp_ieee_underflow 0
		.amdhsa_exception_fp_ieee_inexact 0
		.amdhsa_exception_int_div_zero 0
	.end_amdhsa_kernel
	.section	.text._ZN9rocsolver6v33100L18getri_kernel_smallILi63E19rocblas_complex_numIfEPS3_EEvT1_iilPiilS6_bb,"axG",@progbits,_ZN9rocsolver6v33100L18getri_kernel_smallILi63E19rocblas_complex_numIfEPS3_EEvT1_iilPiilS6_bb,comdat
.Lfunc_end62:
	.size	_ZN9rocsolver6v33100L18getri_kernel_smallILi63E19rocblas_complex_numIfEPS3_EEvT1_iilPiilS6_bb, .Lfunc_end62-_ZN9rocsolver6v33100L18getri_kernel_smallILi63E19rocblas_complex_numIfEPS3_EEvT1_iilPiilS6_bb
                                        ; -- End function
	.set _ZN9rocsolver6v33100L18getri_kernel_smallILi63E19rocblas_complex_numIfEPS3_EEvT1_iilPiilS6_bb.num_vgpr, 256
	.set _ZN9rocsolver6v33100L18getri_kernel_smallILi63E19rocblas_complex_numIfEPS3_EEvT1_iilPiilS6_bb.num_agpr, 0
	.set _ZN9rocsolver6v33100L18getri_kernel_smallILi63E19rocblas_complex_numIfEPS3_EEvT1_iilPiilS6_bb.numbered_sgpr, 24
	.set _ZN9rocsolver6v33100L18getri_kernel_smallILi63E19rocblas_complex_numIfEPS3_EEvT1_iilPiilS6_bb.num_named_barrier, 0
	.set _ZN9rocsolver6v33100L18getri_kernel_smallILi63E19rocblas_complex_numIfEPS3_EEvT1_iilPiilS6_bb.private_seg_size, 976
	.set _ZN9rocsolver6v33100L18getri_kernel_smallILi63E19rocblas_complex_numIfEPS3_EEvT1_iilPiilS6_bb.uses_vcc, 1
	.set _ZN9rocsolver6v33100L18getri_kernel_smallILi63E19rocblas_complex_numIfEPS3_EEvT1_iilPiilS6_bb.uses_flat_scratch, 0
	.set _ZN9rocsolver6v33100L18getri_kernel_smallILi63E19rocblas_complex_numIfEPS3_EEvT1_iilPiilS6_bb.has_dyn_sized_stack, 0
	.set _ZN9rocsolver6v33100L18getri_kernel_smallILi63E19rocblas_complex_numIfEPS3_EEvT1_iilPiilS6_bb.has_recursion, 0
	.set _ZN9rocsolver6v33100L18getri_kernel_smallILi63E19rocblas_complex_numIfEPS3_EEvT1_iilPiilS6_bb.has_indirect_call, 0
	.section	.AMDGPU.csdata,"",@progbits
; Kernel info:
; codeLenInByte = 140096
; TotalNumSgprs: 28
; NumVgprs: 256
; ScratchSize: 976
; MemoryBound: 0
; FloatMode: 240
; IeeeMode: 1
; LDSByteSize: 1016 bytes/workgroup (compile time only)
; SGPRBlocks: 3
; VGPRBlocks: 63
; NumSGPRsForWavesPerEU: 28
; NumVGPRsForWavesPerEU: 256
; Occupancy: 1
; WaveLimiterHint : 1
; COMPUTE_PGM_RSRC2:SCRATCH_EN: 1
; COMPUTE_PGM_RSRC2:USER_SGPR: 6
; COMPUTE_PGM_RSRC2:TRAP_HANDLER: 0
; COMPUTE_PGM_RSRC2:TGID_X_EN: 1
; COMPUTE_PGM_RSRC2:TGID_Y_EN: 0
; COMPUTE_PGM_RSRC2:TGID_Z_EN: 0
; COMPUTE_PGM_RSRC2:TIDIG_COMP_CNT: 0
	.section	.text._ZN9rocsolver6v33100L18getri_kernel_smallILi64E19rocblas_complex_numIfEPS3_EEvT1_iilPiilS6_bb,"axG",@progbits,_ZN9rocsolver6v33100L18getri_kernel_smallILi64E19rocblas_complex_numIfEPS3_EEvT1_iilPiilS6_bb,comdat
	.globl	_ZN9rocsolver6v33100L18getri_kernel_smallILi64E19rocblas_complex_numIfEPS3_EEvT1_iilPiilS6_bb ; -- Begin function _ZN9rocsolver6v33100L18getri_kernel_smallILi64E19rocblas_complex_numIfEPS3_EEvT1_iilPiilS6_bb
	.p2align	8
	.type	_ZN9rocsolver6v33100L18getri_kernel_smallILi64E19rocblas_complex_numIfEPS3_EEvT1_iilPiilS6_bb,@function
_ZN9rocsolver6v33100L18getri_kernel_smallILi64E19rocblas_complex_numIfEPS3_EEvT1_iilPiilS6_bb: ; @_ZN9rocsolver6v33100L18getri_kernel_smallILi64E19rocblas_complex_numIfEPS3_EEvT1_iilPiilS6_bb
; %bb.0:
	s_add_u32 s0, s0, s7
	s_addc_u32 s1, s1, 0
	v_cmp_gt_u32_e32 vcc, 64, v0
	s_and_saveexec_b64 s[8:9], vcc
	s_cbranch_execz .LBB63_270
; %bb.1:
	s_load_dword s12, s[4:5], 0x38
	s_load_dwordx4 s[16:19], s[4:5], 0x10
	s_load_dwordx4 s[8:11], s[4:5], 0x28
                                        ; implicit-def: $sgpr20_sgpr21
	s_waitcnt lgkmcnt(0)
	s_bitcmp1_b32 s12, 8
	s_cselect_b64 s[22:23], -1, 0
	s_ashr_i32 s7, s6, 31
	s_bfe_u32 s12, s12, 0x10008
	s_cmp_eq_u32 s12, 0
	s_cbranch_scc1 .LBB63_3
; %bb.2:
	s_load_dword s12, s[4:5], 0x20
	s_mul_i32 s13, s8, s7
	s_mul_hi_u32 s14, s8, s6
	s_mul_i32 s9, s9, s6
	s_add_i32 s14, s14, s13
	s_add_i32 s9, s14, s9
	s_mul_i32 s8, s8, s6
	s_waitcnt lgkmcnt(0)
	s_ashr_i32 s13, s12, 31
	s_lshl_b64 s[8:9], s[8:9], 2
	s_add_u32 s14, s18, s8
	s_addc_u32 s15, s19, s9
	s_lshl_b64 s[8:9], s[12:13], 2
	s_add_u32 s20, s14, s8
	s_addc_u32 s21, s15, s9
.LBB63_3:
	s_load_dwordx4 s[12:15], s[4:5], 0x0
	s_load_dword s8, s[4:5], 0x38
	s_mul_i32 s9, s16, s7
	s_mul_hi_u32 s18, s16, s6
	s_add_i32 s9, s18, s9
	s_waitcnt lgkmcnt(0)
	s_ashr_i32 s5, s14, 31
	s_mov_b32 s4, s14
	s_mul_i32 s14, s17, s6
	s_add_i32 s17, s9, s14
	s_mul_i32 s16, s16, s6
	s_lshl_b64 s[16:17], s[16:17], 3
	s_add_u32 s9, s12, s16
	s_addc_u32 s12, s13, s17
	s_lshl_b64 s[4:5], s[4:5], 3
	s_add_u32 s4, s9, s4
	s_addc_u32 s5, s12, s5
	s_add_i32 s9, s15, s15
	v_add_u32_e32 v1, s9, v0
	v_ashrrev_i32_e32 v2, 31, v1
	v_lshlrev_b64 v[2:3], 3, v[1:2]
	v_add_u32_e32 v1, s15, v1
	v_mov_b32_e32 v4, s5
	v_add_co_u32_e32 v11, vcc, s4, v2
	v_ashrrev_i32_e32 v2, 31, v1
	v_addc_co_u32_e32 v12, vcc, v4, v3, vcc
	v_lshlrev_b64 v[2:3], 3, v[1:2]
	v_add_u32_e32 v1, s15, v1
	v_add_co_u32_e32 v13, vcc, s4, v2
	v_ashrrev_i32_e32 v2, 31, v1
	v_addc_co_u32_e32 v14, vcc, v4, v3, vcc
	v_lshlrev_b64 v[2:3], 3, v[1:2]
	v_add_u32_e32 v1, s15, v1
	;; [unrolled: 5-line block ×53, first 2 shown]
	v_add_co_u32_e32 v121, vcc, s4, v2
	v_addc_co_u32_e32 v122, vcc, v4, v3, vcc
	v_ashrrev_i32_e32 v2, 31, v1
	v_lshlrev_b32_e32 v3, 3, v0
	v_lshlrev_b64 v[4:5], 3, v[1:2]
	v_mov_b32_e32 v2, s5
	v_add_co_u32_e32 v247, vcc, s4, v3
	s_ashr_i32 s13, s15, 31
	s_mov_b32 s12, s15
	v_addc_co_u32_e32 v248, vcc, 0, v2, vcc
	s_lshl_b64 s[12:13], s[12:13], 3
	v_mov_b32_e32 v2, s13
	v_add_co_u32_e32 v8, vcc, s12, v247
	v_addc_co_u32_e32 v9, vcc, v248, v2, vcc
	global_load_dwordx2 v[6:7], v3, s[4:5]
	s_nop 0
	buffer_store_dword v8, off, s[0:3], 0 offset:968 ; 4-byte Folded Spill
	s_nop 0
	buffer_store_dword v9, off, s[0:3], 0 offset:972 ; 4-byte Folded Spill
	v_mov_b32_e32 v10, s5
	v_add_co_u32_e32 v123, vcc, s4, v4
	v_addc_co_u32_e32 v124, vcc, v10, v5, vcc
	v_add_u32_e32 v1, s15, v1
	v_ashrrev_i32_e32 v2, 31, v1
	v_mov_b32_e32 v16, s5
	v_mov_b32_e32 v22, s5
	s_bitcmp0_b32 s8, 0
	s_mov_b64 s[8:9], -1
	global_load_dwordx2 v[8:9], v[8:9], off
	s_nop 0
	buffer_store_dword v11, off, s[0:3], 0 offset:512 ; 4-byte Folded Spill
	s_nop 0
	buffer_store_dword v12, off, s[0:3], 0 offset:516 ; 4-byte Folded Spill
	global_load_dwordx2 v[4:5], v[11:12], off
	s_nop 0
	buffer_store_dword v13, off, s[0:3], 0 offset:520 ; 4-byte Folded Spill
	s_nop 0
	buffer_store_dword v14, off, s[0:3], 0 offset:524 ; 4-byte Folded Spill
	;; [unrolled: 5-line block ×3, first 2 shown]
	v_lshlrev_b64 v[12:13], 3, v[1:2]
	v_add_u32_e32 v1, s15, v1
	v_add_co_u32_e32 v125, vcc, s4, v12
	v_addc_co_u32_e32 v126, vcc, v16, v13, vcc
	v_ashrrev_i32_e32 v2, 31, v1
	global_load_dwordx2 v[14:15], v[17:18], off
	s_nop 0
	buffer_store_dword v19, off, s[0:3], 0 offset:536 ; 4-byte Folded Spill
	s_nop 0
	buffer_store_dword v20, off, s[0:3], 0 offset:540 ; 4-byte Folded Spill
	global_load_dwordx2 v[12:13], v[19:20], off
	s_nop 0
	buffer_store_dword v23, off, s[0:3], 0 offset:544 ; 4-byte Folded Spill
	s_nop 0
	buffer_store_dword v24, off, s[0:3], 0 offset:548 ; 4-byte Folded Spill
	v_lshlrev_b64 v[18:19], 3, v[1:2]
	v_add_u32_e32 v1, s15, v1
	v_add_co_u32_e32 v127, vcc, s4, v18
	v_addc_co_u32_e32 v128, vcc, v22, v19, vcc
	v_ashrrev_i32_e32 v2, 31, v1
	global_load_dwordx2 v[16:17], v[23:24], off
	s_nop 0
	buffer_store_dword v25, off, s[0:3], 0 offset:552 ; 4-byte Folded Spill
	s_nop 0
	buffer_store_dword v26, off, s[0:3], 0 offset:556 ; 4-byte Folded Spill
	v_lshlrev_b64 v[22:23], 3, v[1:2]
	v_add_u32_e32 v1, s15, v1
	v_add_co_u32_e32 v129, vcc, s4, v22
	v_ashrrev_i32_e32 v2, 31, v1
	global_load_dwordx2 v[20:21], v[25:26], off
	s_nop 0
	buffer_store_dword v27, off, s[0:3], 0 offset:560 ; 4-byte Folded Spill
	s_nop 0
	buffer_store_dword v28, off, s[0:3], 0 offset:564 ; 4-byte Folded Spill
	global_load_dwordx2 v[18:19], v[27:28], off
	s_nop 0
	buffer_store_dword v29, off, s[0:3], 0 offset:568 ; 4-byte Folded Spill
	s_nop 0
	buffer_store_dword v30, off, s[0:3], 0 offset:572 ; 4-byte Folded Spill
	v_mov_b32_e32 v28, s5
	v_addc_co_u32_e32 v130, vcc, v28, v23, vcc
	global_load_dwordx2 v[24:25], v[29:30], off
	s_nop 0
	buffer_store_dword v31, off, s[0:3], 0 offset:576 ; 4-byte Folded Spill
	s_nop 0
	buffer_store_dword v32, off, s[0:3], 0 offset:580 ; 4-byte Folded Spill
	v_lshlrev_b64 v[28:29], 3, v[1:2]
	v_add_u32_e32 v1, s15, v1
	v_add_co_u32_e32 v131, vcc, s4, v28
	v_ashrrev_i32_e32 v2, 31, v1
	global_load_dwordx2 v[26:27], v[31:32], off
	s_nop 0
	buffer_store_dword v33, off, s[0:3], 0 offset:584 ; 4-byte Folded Spill
	s_nop 0
	buffer_store_dword v34, off, s[0:3], 0 offset:588 ; 4-byte Folded Spill
	v_mov_b32_e32 v32, s5
	v_addc_co_u32_e32 v132, vcc, v32, v29, vcc
	global_load_dwordx2 v[22:23], v[33:34], off
	s_nop 0
	buffer_store_dword v35, off, s[0:3], 0 offset:592 ; 4-byte Folded Spill
	s_nop 0
	buffer_store_dword v36, off, s[0:3], 0 offset:596 ; 4-byte Folded Spill
	global_load_dwordx2 v[30:31], v[35:36], off
	s_nop 0
	buffer_store_dword v37, off, s[0:3], 0 offset:600 ; 4-byte Folded Spill
	s_nop 0
	buffer_store_dword v38, off, s[0:3], 0 offset:604 ; 4-byte Folded Spill
	v_lshlrev_b64 v[34:35], 3, v[1:2]
	v_add_u32_e32 v1, s15, v1
	v_add_co_u32_e32 v241, vcc, s4, v34
	v_ashrrev_i32_e32 v2, 31, v1
	global_load_dwordx2 v[28:29], v[37:38], off
	s_nop 0
	buffer_store_dword v39, off, s[0:3], 0 offset:608 ; 4-byte Folded Spill
	s_nop 0
	buffer_store_dword v40, off, s[0:3], 0 offset:612 ; 4-byte Folded Spill
	v_mov_b32_e32 v38, s5
	v_addc_co_u32_e32 v242, vcc, v38, v35, vcc
	global_load_dwordx2 v[32:33], v[39:40], off
	s_nop 0
	buffer_store_dword v41, off, s[0:3], 0 offset:616 ; 4-byte Folded Spill
	s_nop 0
	buffer_store_dword v42, off, s[0:3], 0 offset:620 ; 4-byte Folded Spill
	v_lshlrev_b64 v[38:39], 3, v[1:2]
	v_add_u32_e32 v1, s15, v1
	v_add_co_u32_e32 v243, vcc, s4, v38
	v_ashrrev_i32_e32 v2, 31, v1
	v_lshlrev_b64 v[1:2], 3, v[1:2]
	global_load_dwordx2 v[36:37], v[41:42], off
	s_nop 0
	buffer_store_dword v43, off, s[0:3], 0 offset:624 ; 4-byte Folded Spill
	s_nop 0
	buffer_store_dword v44, off, s[0:3], 0 offset:628 ; 4-byte Folded Spill
	global_load_dwordx2 v[34:35], v[43:44], off
	s_nop 0
	buffer_store_dword v45, off, s[0:3], 0 offset:632 ; 4-byte Folded Spill
	s_nop 0
	buffer_store_dword v46, off, s[0:3], 0 offset:636 ; 4-byte Folded Spill
	v_mov_b32_e32 v44, s5
	v_addc_co_u32_e32 v244, vcc, v44, v39, vcc
	v_add_co_u32_e32 v245, vcc, s4, v1
	global_load_dwordx2 v[40:41], v[45:46], off
	s_nop 0
	buffer_store_dword v47, off, s[0:3], 0 offset:640 ; 4-byte Folded Spill
	s_nop 0
	buffer_store_dword v48, off, s[0:3], 0 offset:644 ; 4-byte Folded Spill
	v_mov_b32_e32 v46, s5
	v_addc_co_u32_e32 v246, vcc, v46, v2, vcc
	global_load_dwordx2 v[42:43], v[47:48], off
	s_nop 0
	buffer_store_dword v49, off, s[0:3], 0 offset:648 ; 4-byte Folded Spill
	s_nop 0
	buffer_store_dword v50, off, s[0:3], 0 offset:652 ; 4-byte Folded Spill
	global_load_dwordx2 v[38:39], v[49:50], off
	s_nop 0
	buffer_store_dword v51, off, s[0:3], 0 offset:656 ; 4-byte Folded Spill
	s_nop 0
	buffer_store_dword v52, off, s[0:3], 0 offset:660 ; 4-byte Folded Spill
	;; [unrolled: 5-line block ×3, first 2 shown]
	global_load_dwordx2 v[1:2], v[53:54], off
	s_waitcnt vmcnt(62)
	buffer_store_dword v7, off, s[0:3], 0 offset:4
	buffer_store_dword v6, off, s[0:3], 0
	s_waitcnt vmcnt(62)
	buffer_store_dword v9, off, s[0:3], 0 offset:12
	buffer_store_dword v55, off, s[0:3], 0 offset:672 ; 4-byte Folded Spill
	s_nop 0
	buffer_store_dword v56, off, s[0:3], 0 offset:676 ; 4-byte Folded Spill
	global_load_dwordx2 v[6:7], v[55:56], off
	s_nop 0
	buffer_store_dword v8, off, s[0:3], 0 offset:8
	s_waitcnt vmcnt(62)
	buffer_store_dword v5, off, s[0:3], 0 offset:20
	buffer_store_dword v4, off, s[0:3], 0 offset:16
	buffer_store_dword v57, off, s[0:3], 0 offset:680 ; 4-byte Folded Spill
	s_nop 0
	buffer_store_dword v58, off, s[0:3], 0 offset:684 ; 4-byte Folded Spill
	global_load_dwordx2 v[4:5], v[57:58], off
	s_waitcnt vmcnt(62)
	buffer_store_dword v11, off, s[0:3], 0 offset:28
	buffer_store_dword v10, off, s[0:3], 0 offset:24
	buffer_store_dword v59, off, s[0:3], 0 offset:688 ; 4-byte Folded Spill
	s_nop 0
	buffer_store_dword v60, off, s[0:3], 0 offset:692 ; 4-byte Folded Spill
	global_load_dwordx2 v[8:9], v[59:60], off
	s_nop 0
	buffer_store_dword v15, off, s[0:3], 0 offset:36
	buffer_store_dword v61, off, s[0:3], 0 offset:696 ; 4-byte Folded Spill
	s_nop 0
	buffer_store_dword v62, off, s[0:3], 0 offset:700 ; 4-byte Folded Spill
	global_load_dwordx2 v[10:11], v[61:62], off
	s_nop 0
	buffer_store_dword v14, off, s[0:3], 0 offset:32
	buffer_store_dword v63, off, s[0:3], 0 offset:704 ; 4-byte Folded Spill
	s_nop 0
	buffer_store_dword v64, off, s[0:3], 0 offset:708 ; 4-byte Folded Spill
	global_load_dwordx2 v[14:15], v[63:64], off
	s_waitcnt vmcnt(62)
	buffer_store_dword v13, off, s[0:3], 0 offset:44
	buffer_store_dword v65, off, s[0:3], 0 offset:712 ; 4-byte Folded Spill
	s_nop 0
	buffer_store_dword v66, off, s[0:3], 0 offset:716 ; 4-byte Folded Spill
	global_load_dwordx2 v[46:47], v[65:66], off
	s_nop 0
	buffer_store_dword v12, off, s[0:3], 0 offset:40
	buffer_store_dword v67, off, s[0:3], 0 offset:720 ; 4-byte Folded Spill
	s_nop 0
	buffer_store_dword v68, off, s[0:3], 0 offset:724 ; 4-byte Folded Spill
	global_load_dwordx2 v[12:13], v[67:68], off
	s_nop 0
	;; [unrolled: 6-line block ×7, first 2 shown]
	buffer_store_dword v18, off, s[0:3], 0 offset:64
	buffer_store_dword v79, off, s[0:3], 0 offset:768 ; 4-byte Folded Spill
	s_nop 0
	buffer_store_dword v80, off, s[0:3], 0 offset:772 ; 4-byte Folded Spill
	global_load_dwordx2 v[18:19], v[79:80], off
	s_waitcnt vmcnt(62)
	buffer_store_dword v24, off, s[0:3], 0 offset:72
	buffer_store_dword v81, off, s[0:3], 0 offset:776 ; 4-byte Folded Spill
	s_nop 0
	buffer_store_dword v82, off, s[0:3], 0 offset:780 ; 4-byte Folded Spill
	global_load_dwordx2 v[54:55], v[81:82], off
	s_nop 0
	buffer_store_dword v25, off, s[0:3], 0 offset:76
	buffer_store_dword v83, off, s[0:3], 0 offset:784 ; 4-byte Folded Spill
	s_nop 0
	buffer_store_dword v84, off, s[0:3], 0 offset:788 ; 4-byte Folded Spill
	global_load_dwordx2 v[24:25], v[83:84], off
	s_nop 0
	;; [unrolled: 6-line block ×21, first 2 shown]
	buffer_store_dword v38, off, s[0:3], 0 offset:152
	buffer_store_dword v123, off, s[0:3], 0 offset:944 ; 4-byte Folded Spill
	s_nop 0
	buffer_store_dword v124, off, s[0:3], 0 offset:948 ; 4-byte Folded Spill
	global_load_dwordx2 v[38:39], v[123:124], off
	s_waitcnt vmcnt(62)
	buffer_store_dword v45, off, s[0:3], 0 offset:164
	buffer_store_dword v125, off, s[0:3], 0 offset:952 ; 4-byte Folded Spill
	s_nop 0
	buffer_store_dword v126, off, s[0:3], 0 offset:956 ; 4-byte Folded Spill
	global_load_dwordx2 v[76:77], v[125:126], off
	s_nop 0
	buffer_store_dword v44, off, s[0:3], 0 offset:160
	buffer_store_dword v127, off, s[0:3], 0 offset:960 ; 4-byte Folded Spill
	s_nop 0
	buffer_store_dword v128, off, s[0:3], 0 offset:964 ; 4-byte Folded Spill
	global_load_dwordx2 v[44:45], v[127:128], off
	s_nop 0
	;; [unrolled: 6-line block ×3, first 2 shown]
	buffer_store_dword v2, off, s[0:3], 0 offset:172
	buffer_store_dword v131, off, s[0:3], 0 offset:984 ; 4-byte Folded Spill
	s_nop 0
	buffer_store_dword v132, off, s[0:3], 0 offset:988 ; 4-byte Folded Spill
	global_load_dwordx2 v[80:81], v[241:242], off
	global_load_dwordx2 v[82:83], v[245:246], off
	;; [unrolled: 1-line block ×3, first 2 shown]
	s_nop 0
	buffer_store_dword v6, off, s[0:3], 0 offset:176
	buffer_store_dword v7, off, s[0:3], 0 offset:180
	global_load_dwordx2 v[6:7], v[243:244], off
	s_nop 0
	buffer_store_dword v4, off, s[0:3], 0 offset:184
	buffer_store_dword v5, off, s[0:3], 0 offset:188
	;; [unrolled: 1-line block ×36, first 2 shown]
	s_waitcnt vmcnt(62)
	buffer_store_dword v60, off, s[0:3], 0 offset:328
	buffer_store_dword v61, off, s[0:3], 0 offset:332
	;; [unrolled: 1-line block ×28, first 2 shown]
	s_waitcnt vmcnt(62)
	buffer_store_dword v75, off, s[0:3], 0 offset:444
	buffer_store_dword v74, off, s[0:3], 0 offset:440
	;; [unrolled: 1-line block ×18, first 2 shown]
	s_cbranch_scc1 .LBB63_268
; %bb.4:
	v_cmp_eq_u32_e64 s[4:5], 0, v0
	s_and_saveexec_b64 s[8:9], s[4:5]
; %bb.5:
	v_mov_b32_e32 v1, 0
	ds_write_b32 v1, v1 offset:1024
; %bb.6:
	s_or_b64 exec, exec, s[8:9]
	v_mov_b32_e32 v1, 0
	v_lshl_add_u32 v5, v0, 3, v1
	s_waitcnt lgkmcnt(0)
	; wave barrier
	buffer_load_dword v1, v5, s[0:3], 0 offen
	buffer_load_dword v2, v5, s[0:3], 0 offen offset:4
	s_waitcnt vmcnt(1)
	v_cmp_eq_f32_e32 vcc, 0, v1
	s_waitcnt vmcnt(0)
	v_cmp_eq_f32_e64 s[8:9], 0, v2
	s_and_b64 s[8:9], vcc, s[8:9]
	s_and_saveexec_b64 s[12:13], s[8:9]
	s_cbranch_execz .LBB63_10
; %bb.7:
	v_mov_b32_e32 v1, 0
	ds_read_b32 v4, v1 offset:1024
	v_add_u32_e32 v2, 1, v0
	s_waitcnt lgkmcnt(0)
	v_readfirstlane_b32 s8, v4
	s_cmp_eq_u32 s8, 0
	s_cselect_b64 s[14:15], -1, 0
	v_cmp_gt_i32_e32 vcc, s8, v2
	s_or_b64 s[14:15], s[14:15], vcc
	s_and_b64 exec, exec, s[14:15]
	s_cbranch_execz .LBB63_10
; %bb.8:
	s_mov_b64 s[14:15], 0
	v_mov_b32_e32 v4, s8
.LBB63_9:                               ; =>This Inner Loop Header: Depth=1
	ds_cmpst_rtn_b32 v4, v1, v4, v2 offset:1024
	s_waitcnt lgkmcnt(0)
	v_cmp_ne_u32_e32 vcc, 0, v4
	v_cmp_le_i32_e64 s[8:9], v4, v2
	s_and_b64 s[8:9], vcc, s[8:9]
	s_and_b64 s[8:9], exec, s[8:9]
	s_or_b64 s[14:15], s[8:9], s[14:15]
	s_andn2_b64 exec, exec, s[14:15]
	s_cbranch_execnz .LBB63_9
.LBB63_10:
	s_or_b64 exec, exec, s[12:13]
	v_mov_b32_e32 v2, 0
	; wave barrier
	ds_read_b32 v1, v2 offset:1024
	s_and_saveexec_b64 s[8:9], s[4:5]
	s_cbranch_execz .LBB63_12
; %bb.11:
	s_lshl_b64 s[12:13], s[6:7], 2
	s_add_u32 s12, s10, s12
	s_addc_u32 s13, s11, s13
	s_waitcnt lgkmcnt(0)
	global_store_dword v2, v1, s[12:13]
.LBB63_12:
	s_or_b64 exec, exec, s[8:9]
	s_waitcnt lgkmcnt(0)
	v_cmp_ne_u32_e32 vcc, 0, v1
	s_mov_b64 s[8:9], 0
	s_cbranch_vccnz .LBB63_268
; %bb.13:
	buffer_load_dword v2, v5, s[0:3], 0 offen
	buffer_load_dword v4, v5, s[0:3], 0 offen offset:4
                                        ; implicit-def: $vgpr7
                                        ; implicit-def: $vgpr6
                                        ; implicit-def: $vgpr1
	s_waitcnt vmcnt(0)
	v_cmp_ngt_f32_e64 s[8:9], |v2|, |v4|
	s_and_saveexec_b64 s[12:13], s[8:9]
	s_xor_b64 s[8:9], exec, s[12:13]
	s_cbranch_execz .LBB63_15
; %bb.14:
	v_div_scale_f32 v1, s[12:13], v4, v4, v2
	v_div_scale_f32 v6, vcc, v2, v4, v2
	v_rcp_f32_e32 v7, v1
	v_fma_f32 v8, -v1, v7, 1.0
	v_fmac_f32_e32 v7, v8, v7
	v_mul_f32_e32 v8, v6, v7
	v_fma_f32 v9, -v1, v8, v6
	v_fmac_f32_e32 v8, v9, v7
	v_fma_f32 v1, -v1, v8, v6
	v_div_fmas_f32 v1, v1, v7, v8
	v_div_fixup_f32 v1, v1, v4, v2
	v_fmac_f32_e32 v4, v2, v1
	v_div_scale_f32 v2, s[12:13], v4, v4, 1.0
	v_div_scale_f32 v6, vcc, 1.0, v4, 1.0
	v_rcp_f32_e32 v7, v2
	v_fma_f32 v8, -v2, v7, 1.0
	v_fmac_f32_e32 v7, v8, v7
	v_mul_f32_e32 v8, v6, v7
	v_fma_f32 v9, -v2, v8, v6
	v_fmac_f32_e32 v8, v9, v7
	v_fma_f32 v2, -v2, v8, v6
	v_div_fmas_f32 v2, v2, v7, v8
	v_div_fixup_f32 v2, v2, v4, 1.0
	v_mul_f32_e32 v7, v1, v2
	v_xor_b32_e32 v6, 0x80000000, v2
	v_xor_b32_e32 v1, 0x80000000, v7
                                        ; implicit-def: $vgpr2
                                        ; implicit-def: $vgpr4
.LBB63_15:
	s_andn2_saveexec_b64 s[8:9], s[8:9]
	s_cbranch_execz .LBB63_17
; %bb.16:
	v_div_scale_f32 v1, s[12:13], v2, v2, v4
	v_div_scale_f32 v6, vcc, v4, v2, v4
	v_rcp_f32_e32 v7, v1
	v_fma_f32 v8, -v1, v7, 1.0
	v_fmac_f32_e32 v7, v8, v7
	v_mul_f32_e32 v8, v6, v7
	v_fma_f32 v9, -v1, v8, v6
	v_fmac_f32_e32 v8, v9, v7
	v_fma_f32 v1, -v1, v8, v6
	v_div_fmas_f32 v1, v1, v7, v8
	v_div_fixup_f32 v6, v1, v2, v4
	v_fmac_f32_e32 v2, v4, v6
	v_div_scale_f32 v1, s[12:13], v2, v2, 1.0
	v_div_scale_f32 v4, vcc, 1.0, v2, 1.0
	v_rcp_f32_e32 v7, v1
	v_fma_f32 v8, -v1, v7, 1.0
	v_fmac_f32_e32 v7, v8, v7
	v_mul_f32_e32 v8, v4, v7
	v_fma_f32 v9, -v1, v8, v4
	v_fmac_f32_e32 v8, v9, v7
	v_fma_f32 v1, -v1, v8, v4
	v_div_fmas_f32 v1, v1, v7, v8
	v_div_fixup_f32 v7, v1, v2, 1.0
	v_xor_b32_e32 v1, 0x80000000, v7
	v_mul_f32_e64 v6, v6, -v7
.LBB63_17:
	s_or_b64 exec, exec, s[8:9]
	buffer_store_dword v7, v5, s[0:3], 0 offen
	buffer_store_dword v6, v5, s[0:3], 0 offen offset:4
	buffer_load_dword v8, off, s[0:3], 0 offset:12
	s_nop 0
	buffer_load_dword v7, off, s[0:3], 0 offset:8
	v_xor_b32_e32 v2, 0x80000000, v6
	v_or_b32_e32 v4, 0x200, v3
	s_waitcnt vmcnt(0)
	ds_write2st64_b64 v3, v[1:2], v[7:8] offset1:1
	s_waitcnt lgkmcnt(0)
	; wave barrier
	s_and_saveexec_b64 s[8:9], s[4:5]
	s_cbranch_execz .LBB63_19
; %bb.18:
	buffer_load_dword v8, v5, s[0:3], 0 offen offset:4
	buffer_load_dword v9, v5, s[0:3], 0 offen
	ds_read_b64 v[1:2], v4
	v_mov_b32_e32 v6, 0
	ds_read_b64 v[6:7], v6 offset:8
	s_waitcnt vmcnt(1) lgkmcnt(1)
	v_mul_f32_e32 v10, v2, v8
	v_mul_f32_e32 v8, v1, v8
	s_waitcnt vmcnt(0)
	v_fmac_f32_e32 v8, v2, v9
	v_fma_f32 v1, v1, v9, -v10
	v_add_f32_e32 v2, 0, v8
	v_add_f32_e32 v1, 0, v1
	s_waitcnt lgkmcnt(0)
	v_mul_f32_e32 v8, v2, v7
	v_mul_f32_e32 v7, v1, v7
	v_fma_f32 v1, v1, v6, -v8
	v_fmac_f32_e32 v7, v2, v6
	buffer_store_dword v1, off, s[0:3], 0 offset:8
	buffer_store_dword v7, off, s[0:3], 0 offset:12
.LBB63_19:
	s_or_b64 exec, exec, s[8:9]
	; wave barrier
	buffer_load_dword v1, off, s[0:3], 0 offset:16
	buffer_load_dword v2, off, s[0:3], 0 offset:20
	v_cmp_gt_u32_e32 vcc, 2, v0
	s_waitcnt vmcnt(0)
	ds_write_b64 v4, v[1:2]
	s_waitcnt lgkmcnt(0)
	; wave barrier
	s_and_saveexec_b64 s[8:9], vcc
	s_cbranch_execz .LBB63_23
; %bb.20:
	buffer_load_dword v6, v5, s[0:3], 0 offen offset:4
	s_nop 0
	buffer_load_dword v5, v5, s[0:3], 0 offen
	ds_read_b64 v[1:2], v4
	s_waitcnt vmcnt(1) lgkmcnt(0)
	v_mul_f32_e32 v7, v2, v6
	v_mul_f32_e32 v6, v1, v6
	s_waitcnt vmcnt(0)
	v_fma_f32 v1, v1, v5, -v7
	v_fmac_f32_e32 v6, v2, v5
	v_add_f32_e32 v2, 0, v1
	v_add_f32_e32 v1, 0, v6
	s_and_saveexec_b64 s[12:13], s[4:5]
	s_cbranch_execz .LBB63_22
; %bb.21:
	buffer_load_dword v7, off, s[0:3], 0 offset:12
	buffer_load_dword v8, off, s[0:3], 0 offset:8
	v_mov_b32_e32 v5, 0
	ds_read_b64 v[5:6], v5 offset:520
	s_waitcnt vmcnt(1) lgkmcnt(0)
	v_mul_f32_e32 v9, v5, v7
	v_mul_f32_e32 v7, v6, v7
	s_waitcnt vmcnt(0)
	v_fmac_f32_e32 v9, v6, v8
	v_fma_f32 v5, v5, v8, -v7
	v_add_f32_e32 v1, v1, v9
	v_add_f32_e32 v2, v2, v5
.LBB63_22:
	s_or_b64 exec, exec, s[12:13]
	v_mov_b32_e32 v5, 0
	ds_read_b64 v[5:6], v5 offset:16
	s_waitcnt lgkmcnt(0)
	v_mul_f32_e32 v7, v1, v6
	v_mul_f32_e32 v6, v2, v6
	v_fma_f32 v2, v2, v5, -v7
	v_fmac_f32_e32 v6, v1, v5
	buffer_store_dword v2, off, s[0:3], 0 offset:16
	buffer_store_dword v6, off, s[0:3], 0 offset:20
.LBB63_23:
	s_or_b64 exec, exec, s[8:9]
	; wave barrier
	buffer_load_dword v1, off, s[0:3], 0 offset:24
	buffer_load_dword v2, off, s[0:3], 0 offset:28
	v_cmp_gt_u32_e32 vcc, 3, v0
	s_waitcnt vmcnt(0)
	ds_write_b64 v4, v[1:2]
	v_add_u32_e32 v1, -1, v0
	s_waitcnt lgkmcnt(0)
	; wave barrier
	s_and_saveexec_b64 s[4:5], vcc
	s_cbranch_execz .LBB63_27
; %bb.24:
	v_add_u32_e32 v5, -1, v0
	v_or_b32_e32 v6, 0x200, v3
	v_mov_b32_e32 v7, v3
	v_mov_b32_e32 v2, 0
	s_mov_b64 s[8:9], 0
	v_mov_b32_e32 v8, 0
.LBB63_25:                              ; =>This Inner Loop Header: Depth=1
	buffer_load_dword v11, v7, s[0:3], 0 offen offset:4
	buffer_load_dword v12, v7, s[0:3], 0 offen
	ds_read_b64 v[9:10], v6
	v_add_u32_e32 v5, 1, v5
	v_cmp_lt_u32_e32 vcc, 1, v5
	v_add_u32_e32 v6, 8, v6
	v_add_u32_e32 v7, 8, v7
	s_or_b64 s[8:9], vcc, s[8:9]
	s_waitcnt vmcnt(1) lgkmcnt(0)
	v_mul_f32_e32 v13, v10, v11
	v_mul_f32_e32 v11, v9, v11
	s_waitcnt vmcnt(0)
	v_fma_f32 v9, v9, v12, -v13
	v_fmac_f32_e32 v11, v10, v12
	v_add_f32_e32 v8, v8, v9
	v_add_f32_e32 v2, v2, v11
	s_andn2_b64 exec, exec, s[8:9]
	s_cbranch_execnz .LBB63_25
; %bb.26:
	s_or_b64 exec, exec, s[8:9]
	v_mov_b32_e32 v5, 0
	ds_read_b64 v[5:6], v5 offset:24
	s_waitcnt lgkmcnt(0)
	v_mul_f32_e32 v7, v2, v6
	v_mul_f32_e32 v6, v8, v6
	v_fma_f32 v7, v8, v5, -v7
	v_fmac_f32_e32 v6, v2, v5
	buffer_store_dword v7, off, s[0:3], 0 offset:24
	buffer_store_dword v6, off, s[0:3], 0 offset:28
.LBB63_27:
	s_or_b64 exec, exec, s[4:5]
	; wave barrier
	buffer_load_dword v5, off, s[0:3], 0 offset:32
	buffer_load_dword v6, off, s[0:3], 0 offset:36
	v_cmp_gt_u32_e32 vcc, 4, v0
	s_waitcnt vmcnt(0)
	ds_write_b64 v4, v[5:6]
	s_waitcnt lgkmcnt(0)
	; wave barrier
	s_and_saveexec_b64 s[4:5], vcc
	s_cbranch_execz .LBB63_31
; %bb.28:
	v_add_u32_e32 v5, -1, v0
	v_or_b32_e32 v6, 0x200, v3
	v_mov_b32_e32 v7, v3
	v_mov_b32_e32 v2, 0
	s_mov_b64 s[8:9], 0
	v_mov_b32_e32 v8, 0
.LBB63_29:                              ; =>This Inner Loop Header: Depth=1
	buffer_load_dword v11, v7, s[0:3], 0 offen offset:4
	buffer_load_dword v12, v7, s[0:3], 0 offen
	ds_read_b64 v[9:10], v6
	v_add_u32_e32 v5, 1, v5
	v_cmp_lt_u32_e32 vcc, 2, v5
	v_add_u32_e32 v6, 8, v6
	v_add_u32_e32 v7, 8, v7
	s_or_b64 s[8:9], vcc, s[8:9]
	s_waitcnt vmcnt(1) lgkmcnt(0)
	v_mul_f32_e32 v13, v10, v11
	v_mul_f32_e32 v11, v9, v11
	s_waitcnt vmcnt(0)
	v_fma_f32 v9, v9, v12, -v13
	v_fmac_f32_e32 v11, v10, v12
	v_add_f32_e32 v8, v8, v9
	v_add_f32_e32 v2, v2, v11
	s_andn2_b64 exec, exec, s[8:9]
	s_cbranch_execnz .LBB63_29
; %bb.30:
	s_or_b64 exec, exec, s[8:9]
	v_mov_b32_e32 v5, 0
	ds_read_b64 v[5:6], v5 offset:32
	s_waitcnt lgkmcnt(0)
	v_mul_f32_e32 v7, v2, v6
	v_mul_f32_e32 v6, v8, v6
	v_fma_f32 v7, v8, v5, -v7
	v_fmac_f32_e32 v6, v2, v5
	buffer_store_dword v7, off, s[0:3], 0 offset:32
	buffer_store_dword v6, off, s[0:3], 0 offset:36
.LBB63_31:
	s_or_b64 exec, exec, s[4:5]
	; wave barrier
	buffer_load_dword v5, off, s[0:3], 0 offset:40
	buffer_load_dword v6, off, s[0:3], 0 offset:44
	v_cmp_gt_u32_e32 vcc, 5, v0
	s_waitcnt vmcnt(0)
	ds_write_b64 v4, v[5:6]
	;; [unrolled: 49-line block ×19, first 2 shown]
	s_waitcnt lgkmcnt(0)
	; wave barrier
	s_and_saveexec_b64 s[4:5], vcc
	s_cbranch_execz .LBB63_103
; %bb.100:
	v_add_u32_e32 v5, -1, v0
	v_or_b32_e32 v6, 0x200, v3
	v_mov_b32_e32 v7, v3
	v_mov_b32_e32 v2, 0
	s_mov_b64 s[8:9], 0
	v_mov_b32_e32 v8, 0
.LBB63_101:                             ; =>This Inner Loop Header: Depth=1
	buffer_load_dword v11, v7, s[0:3], 0 offen offset:4
	buffer_load_dword v12, v7, s[0:3], 0 offen
	ds_read_b64 v[9:10], v6
	v_add_u32_e32 v5, 1, v5
	v_cmp_lt_u32_e32 vcc, 20, v5
	v_add_u32_e32 v6, 8, v6
	v_add_u32_e32 v7, 8, v7
	s_or_b64 s[8:9], vcc, s[8:9]
	s_waitcnt vmcnt(1) lgkmcnt(0)
	v_mul_f32_e32 v13, v10, v11
	v_mul_f32_e32 v11, v9, v11
	s_waitcnt vmcnt(0)
	v_fma_f32 v9, v9, v12, -v13
	v_fmac_f32_e32 v11, v10, v12
	v_add_f32_e32 v8, v8, v9
	v_add_f32_e32 v2, v2, v11
	s_andn2_b64 exec, exec, s[8:9]
	s_cbranch_execnz .LBB63_101
; %bb.102:
	s_or_b64 exec, exec, s[8:9]
	v_mov_b32_e32 v5, 0
	ds_read_b64 v[5:6], v5 offset:176
	s_waitcnt lgkmcnt(0)
	v_mul_f32_e32 v7, v2, v6
	v_mul_f32_e32 v6, v8, v6
	v_fma_f32 v7, v8, v5, -v7
	v_fmac_f32_e32 v6, v2, v5
	buffer_store_dword v7, off, s[0:3], 0 offset:176
	buffer_store_dword v6, off, s[0:3], 0 offset:180
.LBB63_103:
	s_or_b64 exec, exec, s[4:5]
	; wave barrier
	buffer_load_dword v5, off, s[0:3], 0 offset:184
	buffer_load_dword v6, off, s[0:3], 0 offset:188
	v_cmp_gt_u32_e32 vcc, 23, v0
	s_waitcnt vmcnt(0)
	ds_write_b64 v4, v[5:6]
	s_waitcnt lgkmcnt(0)
	; wave barrier
	s_and_saveexec_b64 s[4:5], vcc
	s_cbranch_execz .LBB63_107
; %bb.104:
	v_add_u32_e32 v5, -1, v0
	v_or_b32_e32 v6, 0x200, v3
	v_mov_b32_e32 v7, v3
	v_mov_b32_e32 v2, 0
	s_mov_b64 s[8:9], 0
	v_mov_b32_e32 v8, 0
.LBB63_105:                             ; =>This Inner Loop Header: Depth=1
	buffer_load_dword v11, v7, s[0:3], 0 offen offset:4
	buffer_load_dword v12, v7, s[0:3], 0 offen
	ds_read_b64 v[9:10], v6
	v_add_u32_e32 v5, 1, v5
	v_cmp_lt_u32_e32 vcc, 21, v5
	v_add_u32_e32 v6, 8, v6
	v_add_u32_e32 v7, 8, v7
	s_or_b64 s[8:9], vcc, s[8:9]
	s_waitcnt vmcnt(1) lgkmcnt(0)
	v_mul_f32_e32 v13, v10, v11
	v_mul_f32_e32 v11, v9, v11
	s_waitcnt vmcnt(0)
	v_fma_f32 v9, v9, v12, -v13
	v_fmac_f32_e32 v11, v10, v12
	v_add_f32_e32 v8, v8, v9
	v_add_f32_e32 v2, v2, v11
	s_andn2_b64 exec, exec, s[8:9]
	s_cbranch_execnz .LBB63_105
; %bb.106:
	s_or_b64 exec, exec, s[8:9]
	v_mov_b32_e32 v5, 0
	ds_read_b64 v[5:6], v5 offset:184
	s_waitcnt lgkmcnt(0)
	v_mul_f32_e32 v7, v2, v6
	v_mul_f32_e32 v6, v8, v6
	v_fma_f32 v7, v8, v5, -v7
	v_fmac_f32_e32 v6, v2, v5
	buffer_store_dword v7, off, s[0:3], 0 offset:184
	buffer_store_dword v6, off, s[0:3], 0 offset:188
.LBB63_107:
	s_or_b64 exec, exec, s[4:5]
	; wave barrier
	buffer_load_dword v5, off, s[0:3], 0 offset:192
	buffer_load_dword v6, off, s[0:3], 0 offset:196
	v_cmp_gt_u32_e32 vcc, 24, v0
	s_waitcnt vmcnt(0)
	ds_write_b64 v4, v[5:6]
	s_waitcnt lgkmcnt(0)
	; wave barrier
	s_and_saveexec_b64 s[4:5], vcc
	s_cbranch_execz .LBB63_111
; %bb.108:
	v_add_u32_e32 v5, -1, v0
	v_or_b32_e32 v6, 0x200, v3
	v_mov_b32_e32 v7, v3
	v_mov_b32_e32 v2, 0
	s_mov_b64 s[8:9], 0
	v_mov_b32_e32 v8, 0
.LBB63_109:                             ; =>This Inner Loop Header: Depth=1
	buffer_load_dword v11, v7, s[0:3], 0 offen offset:4
	buffer_load_dword v12, v7, s[0:3], 0 offen
	ds_read_b64 v[9:10], v6
	v_add_u32_e32 v5, 1, v5
	v_cmp_lt_u32_e32 vcc, 22, v5
	v_add_u32_e32 v6, 8, v6
	v_add_u32_e32 v7, 8, v7
	s_or_b64 s[8:9], vcc, s[8:9]
	s_waitcnt vmcnt(1) lgkmcnt(0)
	v_mul_f32_e32 v13, v10, v11
	v_mul_f32_e32 v11, v9, v11
	s_waitcnt vmcnt(0)
	v_fma_f32 v9, v9, v12, -v13
	v_fmac_f32_e32 v11, v10, v12
	v_add_f32_e32 v8, v8, v9
	v_add_f32_e32 v2, v2, v11
	s_andn2_b64 exec, exec, s[8:9]
	s_cbranch_execnz .LBB63_109
; %bb.110:
	s_or_b64 exec, exec, s[8:9]
	v_mov_b32_e32 v5, 0
	ds_read_b64 v[5:6], v5 offset:192
	s_waitcnt lgkmcnt(0)
	v_mul_f32_e32 v7, v2, v6
	v_mul_f32_e32 v6, v8, v6
	v_fma_f32 v7, v8, v5, -v7
	v_fmac_f32_e32 v6, v2, v5
	buffer_store_dword v7, off, s[0:3], 0 offset:192
	buffer_store_dword v6, off, s[0:3], 0 offset:196
.LBB63_111:
	s_or_b64 exec, exec, s[4:5]
	; wave barrier
	buffer_load_dword v5, off, s[0:3], 0 offset:200
	buffer_load_dword v6, off, s[0:3], 0 offset:204
	v_cmp_gt_u32_e32 vcc, 25, v0
	s_waitcnt vmcnt(0)
	ds_write_b64 v4, v[5:6]
	s_waitcnt lgkmcnt(0)
	; wave barrier
	s_and_saveexec_b64 s[4:5], vcc
	s_cbranch_execz .LBB63_115
; %bb.112:
	v_add_u32_e32 v5, -1, v0
	v_or_b32_e32 v6, 0x200, v3
	v_mov_b32_e32 v7, v3
	v_mov_b32_e32 v2, 0
	s_mov_b64 s[8:9], 0
	v_mov_b32_e32 v8, 0
.LBB63_113:                             ; =>This Inner Loop Header: Depth=1
	buffer_load_dword v11, v7, s[0:3], 0 offen offset:4
	buffer_load_dword v12, v7, s[0:3], 0 offen
	ds_read_b64 v[9:10], v6
	v_add_u32_e32 v5, 1, v5
	v_cmp_lt_u32_e32 vcc, 23, v5
	v_add_u32_e32 v6, 8, v6
	v_add_u32_e32 v7, 8, v7
	s_or_b64 s[8:9], vcc, s[8:9]
	s_waitcnt vmcnt(1) lgkmcnt(0)
	v_mul_f32_e32 v13, v10, v11
	v_mul_f32_e32 v11, v9, v11
	s_waitcnt vmcnt(0)
	v_fma_f32 v9, v9, v12, -v13
	v_fmac_f32_e32 v11, v10, v12
	v_add_f32_e32 v8, v8, v9
	v_add_f32_e32 v2, v2, v11
	s_andn2_b64 exec, exec, s[8:9]
	s_cbranch_execnz .LBB63_113
; %bb.114:
	s_or_b64 exec, exec, s[8:9]
	v_mov_b32_e32 v5, 0
	ds_read_b64 v[5:6], v5 offset:200
	s_waitcnt lgkmcnt(0)
	v_mul_f32_e32 v7, v2, v6
	v_mul_f32_e32 v6, v8, v6
	v_fma_f32 v7, v8, v5, -v7
	v_fmac_f32_e32 v6, v2, v5
	buffer_store_dword v7, off, s[0:3], 0 offset:200
	buffer_store_dword v6, off, s[0:3], 0 offset:204
.LBB63_115:
	s_or_b64 exec, exec, s[4:5]
	; wave barrier
	buffer_load_dword v5, off, s[0:3], 0 offset:208
	buffer_load_dword v6, off, s[0:3], 0 offset:212
	v_cmp_gt_u32_e32 vcc, 26, v0
	s_waitcnt vmcnt(0)
	ds_write_b64 v4, v[5:6]
	s_waitcnt lgkmcnt(0)
	; wave barrier
	s_and_saveexec_b64 s[4:5], vcc
	s_cbranch_execz .LBB63_119
; %bb.116:
	v_add_u32_e32 v5, -1, v0
	v_or_b32_e32 v6, 0x200, v3
	v_mov_b32_e32 v7, v3
	v_mov_b32_e32 v2, 0
	s_mov_b64 s[8:9], 0
	v_mov_b32_e32 v8, 0
.LBB63_117:                             ; =>This Inner Loop Header: Depth=1
	buffer_load_dword v11, v7, s[0:3], 0 offen offset:4
	buffer_load_dword v12, v7, s[0:3], 0 offen
	ds_read_b64 v[9:10], v6
	v_add_u32_e32 v5, 1, v5
	v_cmp_lt_u32_e32 vcc, 24, v5
	v_add_u32_e32 v6, 8, v6
	v_add_u32_e32 v7, 8, v7
	s_or_b64 s[8:9], vcc, s[8:9]
	s_waitcnt vmcnt(1) lgkmcnt(0)
	v_mul_f32_e32 v13, v10, v11
	v_mul_f32_e32 v11, v9, v11
	s_waitcnt vmcnt(0)
	v_fma_f32 v9, v9, v12, -v13
	v_fmac_f32_e32 v11, v10, v12
	v_add_f32_e32 v8, v8, v9
	v_add_f32_e32 v2, v2, v11
	s_andn2_b64 exec, exec, s[8:9]
	s_cbranch_execnz .LBB63_117
; %bb.118:
	s_or_b64 exec, exec, s[8:9]
	v_mov_b32_e32 v5, 0
	ds_read_b64 v[5:6], v5 offset:208
	s_waitcnt lgkmcnt(0)
	v_mul_f32_e32 v7, v2, v6
	v_mul_f32_e32 v6, v8, v6
	v_fma_f32 v7, v8, v5, -v7
	v_fmac_f32_e32 v6, v2, v5
	buffer_store_dword v7, off, s[0:3], 0 offset:208
	buffer_store_dword v6, off, s[0:3], 0 offset:212
.LBB63_119:
	s_or_b64 exec, exec, s[4:5]
	; wave barrier
	buffer_load_dword v5, off, s[0:3], 0 offset:216
	buffer_load_dword v6, off, s[0:3], 0 offset:220
	v_cmp_gt_u32_e32 vcc, 27, v0
	s_waitcnt vmcnt(0)
	ds_write_b64 v4, v[5:6]
	s_waitcnt lgkmcnt(0)
	; wave barrier
	s_and_saveexec_b64 s[4:5], vcc
	s_cbranch_execz .LBB63_123
; %bb.120:
	v_add_u32_e32 v5, -1, v0
	v_or_b32_e32 v6, 0x200, v3
	v_mov_b32_e32 v7, v3
	v_mov_b32_e32 v2, 0
	s_mov_b64 s[8:9], 0
	v_mov_b32_e32 v8, 0
.LBB63_121:                             ; =>This Inner Loop Header: Depth=1
	buffer_load_dword v11, v7, s[0:3], 0 offen offset:4
	buffer_load_dword v12, v7, s[0:3], 0 offen
	ds_read_b64 v[9:10], v6
	v_add_u32_e32 v5, 1, v5
	v_cmp_lt_u32_e32 vcc, 25, v5
	v_add_u32_e32 v6, 8, v6
	v_add_u32_e32 v7, 8, v7
	s_or_b64 s[8:9], vcc, s[8:9]
	s_waitcnt vmcnt(1) lgkmcnt(0)
	v_mul_f32_e32 v13, v10, v11
	v_mul_f32_e32 v11, v9, v11
	s_waitcnt vmcnt(0)
	v_fma_f32 v9, v9, v12, -v13
	v_fmac_f32_e32 v11, v10, v12
	v_add_f32_e32 v8, v8, v9
	v_add_f32_e32 v2, v2, v11
	s_andn2_b64 exec, exec, s[8:9]
	s_cbranch_execnz .LBB63_121
; %bb.122:
	s_or_b64 exec, exec, s[8:9]
	v_mov_b32_e32 v5, 0
	ds_read_b64 v[5:6], v5 offset:216
	s_waitcnt lgkmcnt(0)
	v_mul_f32_e32 v7, v2, v6
	v_mul_f32_e32 v6, v8, v6
	v_fma_f32 v7, v8, v5, -v7
	v_fmac_f32_e32 v6, v2, v5
	buffer_store_dword v7, off, s[0:3], 0 offset:216
	buffer_store_dword v6, off, s[0:3], 0 offset:220
.LBB63_123:
	s_or_b64 exec, exec, s[4:5]
	; wave barrier
	buffer_load_dword v5, off, s[0:3], 0 offset:224
	buffer_load_dword v6, off, s[0:3], 0 offset:228
	v_cmp_gt_u32_e32 vcc, 28, v0
	s_waitcnt vmcnt(0)
	ds_write_b64 v4, v[5:6]
	s_waitcnt lgkmcnt(0)
	; wave barrier
	s_and_saveexec_b64 s[4:5], vcc
	s_cbranch_execz .LBB63_127
; %bb.124:
	v_add_u32_e32 v5, -1, v0
	v_or_b32_e32 v6, 0x200, v3
	v_mov_b32_e32 v7, v3
	v_mov_b32_e32 v2, 0
	s_mov_b64 s[8:9], 0
	v_mov_b32_e32 v8, 0
.LBB63_125:                             ; =>This Inner Loop Header: Depth=1
	buffer_load_dword v11, v7, s[0:3], 0 offen offset:4
	buffer_load_dword v12, v7, s[0:3], 0 offen
	ds_read_b64 v[9:10], v6
	v_add_u32_e32 v5, 1, v5
	v_cmp_lt_u32_e32 vcc, 26, v5
	v_add_u32_e32 v6, 8, v6
	v_add_u32_e32 v7, 8, v7
	s_or_b64 s[8:9], vcc, s[8:9]
	s_waitcnt vmcnt(1) lgkmcnt(0)
	v_mul_f32_e32 v13, v10, v11
	v_mul_f32_e32 v11, v9, v11
	s_waitcnt vmcnt(0)
	v_fma_f32 v9, v9, v12, -v13
	v_fmac_f32_e32 v11, v10, v12
	v_add_f32_e32 v8, v8, v9
	v_add_f32_e32 v2, v2, v11
	s_andn2_b64 exec, exec, s[8:9]
	s_cbranch_execnz .LBB63_125
; %bb.126:
	s_or_b64 exec, exec, s[8:9]
	v_mov_b32_e32 v5, 0
	ds_read_b64 v[5:6], v5 offset:224
	s_waitcnt lgkmcnt(0)
	v_mul_f32_e32 v7, v2, v6
	v_mul_f32_e32 v6, v8, v6
	v_fma_f32 v7, v8, v5, -v7
	v_fmac_f32_e32 v6, v2, v5
	buffer_store_dword v7, off, s[0:3], 0 offset:224
	buffer_store_dword v6, off, s[0:3], 0 offset:228
.LBB63_127:
	s_or_b64 exec, exec, s[4:5]
	; wave barrier
	buffer_load_dword v5, off, s[0:3], 0 offset:232
	buffer_load_dword v6, off, s[0:3], 0 offset:236
	v_cmp_gt_u32_e32 vcc, 29, v0
	s_waitcnt vmcnt(0)
	ds_write_b64 v4, v[5:6]
	s_waitcnt lgkmcnt(0)
	; wave barrier
	s_and_saveexec_b64 s[4:5], vcc
	s_cbranch_execz .LBB63_131
; %bb.128:
	v_add_u32_e32 v5, -1, v0
	v_or_b32_e32 v6, 0x200, v3
	v_mov_b32_e32 v7, v3
	v_mov_b32_e32 v2, 0
	s_mov_b64 s[8:9], 0
	v_mov_b32_e32 v8, 0
.LBB63_129:                             ; =>This Inner Loop Header: Depth=1
	buffer_load_dword v11, v7, s[0:3], 0 offen offset:4
	buffer_load_dword v12, v7, s[0:3], 0 offen
	ds_read_b64 v[9:10], v6
	v_add_u32_e32 v5, 1, v5
	v_cmp_lt_u32_e32 vcc, 27, v5
	v_add_u32_e32 v6, 8, v6
	v_add_u32_e32 v7, 8, v7
	s_or_b64 s[8:9], vcc, s[8:9]
	s_waitcnt vmcnt(1) lgkmcnt(0)
	v_mul_f32_e32 v13, v10, v11
	v_mul_f32_e32 v11, v9, v11
	s_waitcnt vmcnt(0)
	v_fma_f32 v9, v9, v12, -v13
	v_fmac_f32_e32 v11, v10, v12
	v_add_f32_e32 v8, v8, v9
	v_add_f32_e32 v2, v2, v11
	s_andn2_b64 exec, exec, s[8:9]
	s_cbranch_execnz .LBB63_129
; %bb.130:
	s_or_b64 exec, exec, s[8:9]
	v_mov_b32_e32 v5, 0
	ds_read_b64 v[5:6], v5 offset:232
	s_waitcnt lgkmcnt(0)
	v_mul_f32_e32 v7, v2, v6
	v_mul_f32_e32 v6, v8, v6
	v_fma_f32 v7, v8, v5, -v7
	v_fmac_f32_e32 v6, v2, v5
	buffer_store_dword v7, off, s[0:3], 0 offset:232
	buffer_store_dword v6, off, s[0:3], 0 offset:236
.LBB63_131:
	s_or_b64 exec, exec, s[4:5]
	; wave barrier
	buffer_load_dword v5, off, s[0:3], 0 offset:240
	buffer_load_dword v6, off, s[0:3], 0 offset:244
	v_cmp_gt_u32_e32 vcc, 30, v0
	s_waitcnt vmcnt(0)
	ds_write_b64 v4, v[5:6]
	s_waitcnt lgkmcnt(0)
	; wave barrier
	s_and_saveexec_b64 s[4:5], vcc
	s_cbranch_execz .LBB63_135
; %bb.132:
	v_add_u32_e32 v5, -1, v0
	v_or_b32_e32 v6, 0x200, v3
	v_mov_b32_e32 v7, v3
	v_mov_b32_e32 v2, 0
	s_mov_b64 s[8:9], 0
	v_mov_b32_e32 v8, 0
.LBB63_133:                             ; =>This Inner Loop Header: Depth=1
	buffer_load_dword v11, v7, s[0:3], 0 offen offset:4
	buffer_load_dword v12, v7, s[0:3], 0 offen
	ds_read_b64 v[9:10], v6
	v_add_u32_e32 v5, 1, v5
	v_cmp_lt_u32_e32 vcc, 28, v5
	v_add_u32_e32 v6, 8, v6
	v_add_u32_e32 v7, 8, v7
	s_or_b64 s[8:9], vcc, s[8:9]
	s_waitcnt vmcnt(1) lgkmcnt(0)
	v_mul_f32_e32 v13, v10, v11
	v_mul_f32_e32 v11, v9, v11
	s_waitcnt vmcnt(0)
	v_fma_f32 v9, v9, v12, -v13
	v_fmac_f32_e32 v11, v10, v12
	v_add_f32_e32 v8, v8, v9
	v_add_f32_e32 v2, v2, v11
	s_andn2_b64 exec, exec, s[8:9]
	s_cbranch_execnz .LBB63_133
; %bb.134:
	s_or_b64 exec, exec, s[8:9]
	v_mov_b32_e32 v5, 0
	ds_read_b64 v[5:6], v5 offset:240
	s_waitcnt lgkmcnt(0)
	v_mul_f32_e32 v7, v2, v6
	v_mul_f32_e32 v6, v8, v6
	v_fma_f32 v7, v8, v5, -v7
	v_fmac_f32_e32 v6, v2, v5
	buffer_store_dword v7, off, s[0:3], 0 offset:240
	buffer_store_dword v6, off, s[0:3], 0 offset:244
.LBB63_135:
	s_or_b64 exec, exec, s[4:5]
	; wave barrier
	buffer_load_dword v5, off, s[0:3], 0 offset:248
	buffer_load_dword v6, off, s[0:3], 0 offset:252
	v_cmp_gt_u32_e32 vcc, 31, v0
	s_waitcnt vmcnt(0)
	ds_write_b64 v4, v[5:6]
	s_waitcnt lgkmcnt(0)
	; wave barrier
	s_and_saveexec_b64 s[4:5], vcc
	s_cbranch_execz .LBB63_139
; %bb.136:
	v_add_u32_e32 v5, -1, v0
	v_or_b32_e32 v6, 0x200, v3
	v_mov_b32_e32 v7, v3
	v_mov_b32_e32 v2, 0
	s_mov_b64 s[8:9], 0
	v_mov_b32_e32 v8, 0
.LBB63_137:                             ; =>This Inner Loop Header: Depth=1
	buffer_load_dword v11, v7, s[0:3], 0 offen offset:4
	buffer_load_dword v12, v7, s[0:3], 0 offen
	ds_read_b64 v[9:10], v6
	v_add_u32_e32 v5, 1, v5
	v_cmp_lt_u32_e32 vcc, 29, v5
	v_add_u32_e32 v6, 8, v6
	v_add_u32_e32 v7, 8, v7
	s_or_b64 s[8:9], vcc, s[8:9]
	s_waitcnt vmcnt(1) lgkmcnt(0)
	v_mul_f32_e32 v13, v10, v11
	v_mul_f32_e32 v11, v9, v11
	s_waitcnt vmcnt(0)
	v_fma_f32 v9, v9, v12, -v13
	v_fmac_f32_e32 v11, v10, v12
	v_add_f32_e32 v8, v8, v9
	v_add_f32_e32 v2, v2, v11
	s_andn2_b64 exec, exec, s[8:9]
	s_cbranch_execnz .LBB63_137
; %bb.138:
	s_or_b64 exec, exec, s[8:9]
	v_mov_b32_e32 v5, 0
	ds_read_b64 v[5:6], v5 offset:248
	s_waitcnt lgkmcnt(0)
	v_mul_f32_e32 v7, v2, v6
	v_mul_f32_e32 v6, v8, v6
	v_fma_f32 v7, v8, v5, -v7
	v_fmac_f32_e32 v6, v2, v5
	buffer_store_dword v7, off, s[0:3], 0 offset:248
	buffer_store_dword v6, off, s[0:3], 0 offset:252
.LBB63_139:
	s_or_b64 exec, exec, s[4:5]
	; wave barrier
	buffer_load_dword v5, off, s[0:3], 0 offset:256
	buffer_load_dword v6, off, s[0:3], 0 offset:260
	v_cmp_gt_u32_e32 vcc, 32, v0
	s_waitcnt vmcnt(0)
	ds_write_b64 v4, v[5:6]
	s_waitcnt lgkmcnt(0)
	; wave barrier
	s_and_saveexec_b64 s[4:5], vcc
	s_cbranch_execz .LBB63_143
; %bb.140:
	v_add_u32_e32 v5, -1, v0
	v_or_b32_e32 v6, 0x200, v3
	v_mov_b32_e32 v7, v3
	v_mov_b32_e32 v2, 0
	s_mov_b64 s[8:9], 0
	v_mov_b32_e32 v8, 0
.LBB63_141:                             ; =>This Inner Loop Header: Depth=1
	buffer_load_dword v11, v7, s[0:3], 0 offen offset:4
	buffer_load_dword v12, v7, s[0:3], 0 offen
	ds_read_b64 v[9:10], v6
	v_add_u32_e32 v5, 1, v5
	v_cmp_lt_u32_e32 vcc, 30, v5
	v_add_u32_e32 v6, 8, v6
	v_add_u32_e32 v7, 8, v7
	s_or_b64 s[8:9], vcc, s[8:9]
	s_waitcnt vmcnt(1) lgkmcnt(0)
	v_mul_f32_e32 v13, v10, v11
	v_mul_f32_e32 v11, v9, v11
	s_waitcnt vmcnt(0)
	v_fma_f32 v9, v9, v12, -v13
	v_fmac_f32_e32 v11, v10, v12
	v_add_f32_e32 v8, v8, v9
	v_add_f32_e32 v2, v2, v11
	s_andn2_b64 exec, exec, s[8:9]
	s_cbranch_execnz .LBB63_141
; %bb.142:
	s_or_b64 exec, exec, s[8:9]
	v_mov_b32_e32 v5, 0
	ds_read_b64 v[5:6], v5 offset:256
	s_waitcnt lgkmcnt(0)
	v_mul_f32_e32 v7, v2, v6
	v_mul_f32_e32 v6, v8, v6
	v_fma_f32 v7, v8, v5, -v7
	v_fmac_f32_e32 v6, v2, v5
	buffer_store_dword v7, off, s[0:3], 0 offset:256
	buffer_store_dword v6, off, s[0:3], 0 offset:260
.LBB63_143:
	s_or_b64 exec, exec, s[4:5]
	; wave barrier
	buffer_load_dword v5, off, s[0:3], 0 offset:264
	buffer_load_dword v6, off, s[0:3], 0 offset:268
	v_cmp_gt_u32_e32 vcc, 33, v0
	s_waitcnt vmcnt(0)
	ds_write_b64 v4, v[5:6]
	s_waitcnt lgkmcnt(0)
	; wave barrier
	s_and_saveexec_b64 s[4:5], vcc
	s_cbranch_execz .LBB63_147
; %bb.144:
	v_add_u32_e32 v5, -1, v0
	v_or_b32_e32 v6, 0x200, v3
	v_mov_b32_e32 v7, v3
	v_mov_b32_e32 v2, 0
	s_mov_b64 s[8:9], 0
	v_mov_b32_e32 v8, 0
.LBB63_145:                             ; =>This Inner Loop Header: Depth=1
	buffer_load_dword v11, v7, s[0:3], 0 offen offset:4
	buffer_load_dword v12, v7, s[0:3], 0 offen
	ds_read_b64 v[9:10], v6
	v_add_u32_e32 v5, 1, v5
	v_cmp_lt_u32_e32 vcc, 31, v5
	v_add_u32_e32 v6, 8, v6
	v_add_u32_e32 v7, 8, v7
	s_or_b64 s[8:9], vcc, s[8:9]
	s_waitcnt vmcnt(1) lgkmcnt(0)
	v_mul_f32_e32 v13, v10, v11
	v_mul_f32_e32 v11, v9, v11
	s_waitcnt vmcnt(0)
	v_fma_f32 v9, v9, v12, -v13
	v_fmac_f32_e32 v11, v10, v12
	v_add_f32_e32 v8, v8, v9
	v_add_f32_e32 v2, v2, v11
	s_andn2_b64 exec, exec, s[8:9]
	s_cbranch_execnz .LBB63_145
; %bb.146:
	s_or_b64 exec, exec, s[8:9]
	v_mov_b32_e32 v5, 0
	ds_read_b64 v[5:6], v5 offset:264
	s_waitcnt lgkmcnt(0)
	v_mul_f32_e32 v7, v2, v6
	v_mul_f32_e32 v6, v8, v6
	v_fma_f32 v7, v8, v5, -v7
	v_fmac_f32_e32 v6, v2, v5
	buffer_store_dword v7, off, s[0:3], 0 offset:264
	buffer_store_dword v6, off, s[0:3], 0 offset:268
.LBB63_147:
	s_or_b64 exec, exec, s[4:5]
	; wave barrier
	buffer_load_dword v5, off, s[0:3], 0 offset:272
	buffer_load_dword v6, off, s[0:3], 0 offset:276
	v_cmp_gt_u32_e32 vcc, 34, v0
	s_waitcnt vmcnt(0)
	ds_write_b64 v4, v[5:6]
	s_waitcnt lgkmcnt(0)
	; wave barrier
	s_and_saveexec_b64 s[4:5], vcc
	s_cbranch_execz .LBB63_151
; %bb.148:
	v_add_u32_e32 v5, -1, v0
	v_or_b32_e32 v6, 0x200, v3
	v_mov_b32_e32 v7, v3
	v_mov_b32_e32 v2, 0
	s_mov_b64 s[8:9], 0
	v_mov_b32_e32 v8, 0
.LBB63_149:                             ; =>This Inner Loop Header: Depth=1
	buffer_load_dword v11, v7, s[0:3], 0 offen offset:4
	buffer_load_dword v12, v7, s[0:3], 0 offen
	ds_read_b64 v[9:10], v6
	v_add_u32_e32 v5, 1, v5
	v_cmp_lt_u32_e32 vcc, 32, v5
	v_add_u32_e32 v6, 8, v6
	v_add_u32_e32 v7, 8, v7
	s_or_b64 s[8:9], vcc, s[8:9]
	s_waitcnt vmcnt(1) lgkmcnt(0)
	v_mul_f32_e32 v13, v10, v11
	v_mul_f32_e32 v11, v9, v11
	s_waitcnt vmcnt(0)
	v_fma_f32 v9, v9, v12, -v13
	v_fmac_f32_e32 v11, v10, v12
	v_add_f32_e32 v8, v8, v9
	v_add_f32_e32 v2, v2, v11
	s_andn2_b64 exec, exec, s[8:9]
	s_cbranch_execnz .LBB63_149
; %bb.150:
	s_or_b64 exec, exec, s[8:9]
	v_mov_b32_e32 v5, 0
	ds_read_b64 v[5:6], v5 offset:272
	s_waitcnt lgkmcnt(0)
	v_mul_f32_e32 v7, v2, v6
	v_mul_f32_e32 v6, v8, v6
	v_fma_f32 v7, v8, v5, -v7
	v_fmac_f32_e32 v6, v2, v5
	buffer_store_dword v7, off, s[0:3], 0 offset:272
	buffer_store_dword v6, off, s[0:3], 0 offset:276
.LBB63_151:
	s_or_b64 exec, exec, s[4:5]
	; wave barrier
	buffer_load_dword v5, off, s[0:3], 0 offset:280
	buffer_load_dword v6, off, s[0:3], 0 offset:284
	v_cmp_gt_u32_e32 vcc, 35, v0
	s_waitcnt vmcnt(0)
	ds_write_b64 v4, v[5:6]
	s_waitcnt lgkmcnt(0)
	; wave barrier
	s_and_saveexec_b64 s[4:5], vcc
	s_cbranch_execz .LBB63_155
; %bb.152:
	v_add_u32_e32 v5, -1, v0
	v_or_b32_e32 v6, 0x200, v3
	v_mov_b32_e32 v7, v3
	v_mov_b32_e32 v2, 0
	s_mov_b64 s[8:9], 0
	v_mov_b32_e32 v8, 0
.LBB63_153:                             ; =>This Inner Loop Header: Depth=1
	buffer_load_dword v11, v7, s[0:3], 0 offen offset:4
	buffer_load_dword v12, v7, s[0:3], 0 offen
	ds_read_b64 v[9:10], v6
	v_add_u32_e32 v5, 1, v5
	v_cmp_lt_u32_e32 vcc, 33, v5
	v_add_u32_e32 v6, 8, v6
	v_add_u32_e32 v7, 8, v7
	s_or_b64 s[8:9], vcc, s[8:9]
	s_waitcnt vmcnt(1) lgkmcnt(0)
	v_mul_f32_e32 v13, v10, v11
	v_mul_f32_e32 v11, v9, v11
	s_waitcnt vmcnt(0)
	v_fma_f32 v9, v9, v12, -v13
	v_fmac_f32_e32 v11, v10, v12
	v_add_f32_e32 v8, v8, v9
	v_add_f32_e32 v2, v2, v11
	s_andn2_b64 exec, exec, s[8:9]
	s_cbranch_execnz .LBB63_153
; %bb.154:
	s_or_b64 exec, exec, s[8:9]
	v_mov_b32_e32 v5, 0
	ds_read_b64 v[5:6], v5 offset:280
	s_waitcnt lgkmcnt(0)
	v_mul_f32_e32 v7, v2, v6
	v_mul_f32_e32 v6, v8, v6
	v_fma_f32 v7, v8, v5, -v7
	v_fmac_f32_e32 v6, v2, v5
	buffer_store_dword v7, off, s[0:3], 0 offset:280
	buffer_store_dword v6, off, s[0:3], 0 offset:284
.LBB63_155:
	s_or_b64 exec, exec, s[4:5]
	; wave barrier
	buffer_load_dword v5, off, s[0:3], 0 offset:288
	buffer_load_dword v6, off, s[0:3], 0 offset:292
	v_cmp_gt_u32_e32 vcc, 36, v0
	s_waitcnt vmcnt(0)
	ds_write_b64 v4, v[5:6]
	s_waitcnt lgkmcnt(0)
	; wave barrier
	s_and_saveexec_b64 s[4:5], vcc
	s_cbranch_execz .LBB63_159
; %bb.156:
	v_add_u32_e32 v5, -1, v0
	v_or_b32_e32 v6, 0x200, v3
	v_mov_b32_e32 v7, v3
	v_mov_b32_e32 v2, 0
	s_mov_b64 s[8:9], 0
	v_mov_b32_e32 v8, 0
.LBB63_157:                             ; =>This Inner Loop Header: Depth=1
	buffer_load_dword v11, v7, s[0:3], 0 offen offset:4
	buffer_load_dword v12, v7, s[0:3], 0 offen
	ds_read_b64 v[9:10], v6
	v_add_u32_e32 v5, 1, v5
	v_cmp_lt_u32_e32 vcc, 34, v5
	v_add_u32_e32 v6, 8, v6
	v_add_u32_e32 v7, 8, v7
	s_or_b64 s[8:9], vcc, s[8:9]
	s_waitcnt vmcnt(1) lgkmcnt(0)
	v_mul_f32_e32 v13, v10, v11
	v_mul_f32_e32 v11, v9, v11
	s_waitcnt vmcnt(0)
	v_fma_f32 v9, v9, v12, -v13
	v_fmac_f32_e32 v11, v10, v12
	v_add_f32_e32 v8, v8, v9
	v_add_f32_e32 v2, v2, v11
	s_andn2_b64 exec, exec, s[8:9]
	s_cbranch_execnz .LBB63_157
; %bb.158:
	s_or_b64 exec, exec, s[8:9]
	v_mov_b32_e32 v5, 0
	ds_read_b64 v[5:6], v5 offset:288
	s_waitcnt lgkmcnt(0)
	v_mul_f32_e32 v7, v2, v6
	v_mul_f32_e32 v6, v8, v6
	v_fma_f32 v7, v8, v5, -v7
	v_fmac_f32_e32 v6, v2, v5
	buffer_store_dword v7, off, s[0:3], 0 offset:288
	buffer_store_dword v6, off, s[0:3], 0 offset:292
.LBB63_159:
	s_or_b64 exec, exec, s[4:5]
	; wave barrier
	buffer_load_dword v5, off, s[0:3], 0 offset:296
	buffer_load_dword v6, off, s[0:3], 0 offset:300
	v_cmp_gt_u32_e32 vcc, 37, v0
	s_waitcnt vmcnt(0)
	ds_write_b64 v4, v[5:6]
	s_waitcnt lgkmcnt(0)
	; wave barrier
	s_and_saveexec_b64 s[4:5], vcc
	s_cbranch_execz .LBB63_163
; %bb.160:
	v_add_u32_e32 v5, -1, v0
	v_or_b32_e32 v6, 0x200, v3
	v_mov_b32_e32 v7, v3
	v_mov_b32_e32 v2, 0
	s_mov_b64 s[8:9], 0
	v_mov_b32_e32 v8, 0
.LBB63_161:                             ; =>This Inner Loop Header: Depth=1
	buffer_load_dword v11, v7, s[0:3], 0 offen offset:4
	buffer_load_dword v12, v7, s[0:3], 0 offen
	ds_read_b64 v[9:10], v6
	v_add_u32_e32 v5, 1, v5
	v_cmp_lt_u32_e32 vcc, 35, v5
	v_add_u32_e32 v6, 8, v6
	v_add_u32_e32 v7, 8, v7
	s_or_b64 s[8:9], vcc, s[8:9]
	s_waitcnt vmcnt(1) lgkmcnt(0)
	v_mul_f32_e32 v13, v10, v11
	v_mul_f32_e32 v11, v9, v11
	s_waitcnt vmcnt(0)
	v_fma_f32 v9, v9, v12, -v13
	v_fmac_f32_e32 v11, v10, v12
	v_add_f32_e32 v8, v8, v9
	v_add_f32_e32 v2, v2, v11
	s_andn2_b64 exec, exec, s[8:9]
	s_cbranch_execnz .LBB63_161
; %bb.162:
	s_or_b64 exec, exec, s[8:9]
	v_mov_b32_e32 v5, 0
	ds_read_b64 v[5:6], v5 offset:296
	s_waitcnt lgkmcnt(0)
	v_mul_f32_e32 v7, v2, v6
	v_mul_f32_e32 v6, v8, v6
	v_fma_f32 v7, v8, v5, -v7
	v_fmac_f32_e32 v6, v2, v5
	buffer_store_dword v7, off, s[0:3], 0 offset:296
	buffer_store_dword v6, off, s[0:3], 0 offset:300
.LBB63_163:
	s_or_b64 exec, exec, s[4:5]
	; wave barrier
	buffer_load_dword v5, off, s[0:3], 0 offset:304
	buffer_load_dword v6, off, s[0:3], 0 offset:308
	v_cmp_gt_u32_e32 vcc, 38, v0
	s_waitcnt vmcnt(0)
	ds_write_b64 v4, v[5:6]
	s_waitcnt lgkmcnt(0)
	; wave barrier
	s_and_saveexec_b64 s[4:5], vcc
	s_cbranch_execz .LBB63_167
; %bb.164:
	v_add_u32_e32 v5, -1, v0
	v_or_b32_e32 v6, 0x200, v3
	v_mov_b32_e32 v7, v3
	v_mov_b32_e32 v2, 0
	s_mov_b64 s[8:9], 0
	v_mov_b32_e32 v8, 0
.LBB63_165:                             ; =>This Inner Loop Header: Depth=1
	buffer_load_dword v11, v7, s[0:3], 0 offen offset:4
	buffer_load_dword v12, v7, s[0:3], 0 offen
	ds_read_b64 v[9:10], v6
	v_add_u32_e32 v5, 1, v5
	v_cmp_lt_u32_e32 vcc, 36, v5
	v_add_u32_e32 v6, 8, v6
	v_add_u32_e32 v7, 8, v7
	s_or_b64 s[8:9], vcc, s[8:9]
	s_waitcnt vmcnt(1) lgkmcnt(0)
	v_mul_f32_e32 v13, v10, v11
	v_mul_f32_e32 v11, v9, v11
	s_waitcnt vmcnt(0)
	v_fma_f32 v9, v9, v12, -v13
	v_fmac_f32_e32 v11, v10, v12
	v_add_f32_e32 v8, v8, v9
	v_add_f32_e32 v2, v2, v11
	s_andn2_b64 exec, exec, s[8:9]
	s_cbranch_execnz .LBB63_165
; %bb.166:
	s_or_b64 exec, exec, s[8:9]
	v_mov_b32_e32 v5, 0
	ds_read_b64 v[5:6], v5 offset:304
	s_waitcnt lgkmcnt(0)
	v_mul_f32_e32 v7, v2, v6
	v_mul_f32_e32 v6, v8, v6
	v_fma_f32 v7, v8, v5, -v7
	v_fmac_f32_e32 v6, v2, v5
	buffer_store_dword v7, off, s[0:3], 0 offset:304
	buffer_store_dword v6, off, s[0:3], 0 offset:308
.LBB63_167:
	s_or_b64 exec, exec, s[4:5]
	; wave barrier
	buffer_load_dword v5, off, s[0:3], 0 offset:312
	buffer_load_dword v6, off, s[0:3], 0 offset:316
	v_cmp_gt_u32_e32 vcc, 39, v0
	s_waitcnt vmcnt(0)
	ds_write_b64 v4, v[5:6]
	s_waitcnt lgkmcnt(0)
	; wave barrier
	s_and_saveexec_b64 s[4:5], vcc
	s_cbranch_execz .LBB63_171
; %bb.168:
	v_add_u32_e32 v5, -1, v0
	v_or_b32_e32 v6, 0x200, v3
	v_mov_b32_e32 v7, v3
	v_mov_b32_e32 v2, 0
	s_mov_b64 s[8:9], 0
	v_mov_b32_e32 v8, 0
.LBB63_169:                             ; =>This Inner Loop Header: Depth=1
	buffer_load_dword v11, v7, s[0:3], 0 offen offset:4
	buffer_load_dword v12, v7, s[0:3], 0 offen
	ds_read_b64 v[9:10], v6
	v_add_u32_e32 v5, 1, v5
	v_cmp_lt_u32_e32 vcc, 37, v5
	v_add_u32_e32 v6, 8, v6
	v_add_u32_e32 v7, 8, v7
	s_or_b64 s[8:9], vcc, s[8:9]
	s_waitcnt vmcnt(1) lgkmcnt(0)
	v_mul_f32_e32 v13, v10, v11
	v_mul_f32_e32 v11, v9, v11
	s_waitcnt vmcnt(0)
	v_fma_f32 v9, v9, v12, -v13
	v_fmac_f32_e32 v11, v10, v12
	v_add_f32_e32 v8, v8, v9
	v_add_f32_e32 v2, v2, v11
	s_andn2_b64 exec, exec, s[8:9]
	s_cbranch_execnz .LBB63_169
; %bb.170:
	s_or_b64 exec, exec, s[8:9]
	v_mov_b32_e32 v5, 0
	ds_read_b64 v[5:6], v5 offset:312
	s_waitcnt lgkmcnt(0)
	v_mul_f32_e32 v7, v2, v6
	v_mul_f32_e32 v6, v8, v6
	v_fma_f32 v7, v8, v5, -v7
	v_fmac_f32_e32 v6, v2, v5
	buffer_store_dword v7, off, s[0:3], 0 offset:312
	buffer_store_dword v6, off, s[0:3], 0 offset:316
.LBB63_171:
	s_or_b64 exec, exec, s[4:5]
	; wave barrier
	buffer_load_dword v5, off, s[0:3], 0 offset:320
	buffer_load_dword v6, off, s[0:3], 0 offset:324
	v_cmp_gt_u32_e32 vcc, 40, v0
	s_waitcnt vmcnt(0)
	ds_write_b64 v4, v[5:6]
	s_waitcnt lgkmcnt(0)
	; wave barrier
	s_and_saveexec_b64 s[4:5], vcc
	s_cbranch_execz .LBB63_175
; %bb.172:
	v_add_u32_e32 v5, -1, v0
	v_or_b32_e32 v6, 0x200, v3
	v_mov_b32_e32 v7, v3
	v_mov_b32_e32 v2, 0
	s_mov_b64 s[8:9], 0
	v_mov_b32_e32 v8, 0
.LBB63_173:                             ; =>This Inner Loop Header: Depth=1
	buffer_load_dword v11, v7, s[0:3], 0 offen offset:4
	buffer_load_dword v12, v7, s[0:3], 0 offen
	ds_read_b64 v[9:10], v6
	v_add_u32_e32 v5, 1, v5
	v_cmp_lt_u32_e32 vcc, 38, v5
	v_add_u32_e32 v6, 8, v6
	v_add_u32_e32 v7, 8, v7
	s_or_b64 s[8:9], vcc, s[8:9]
	s_waitcnt vmcnt(1) lgkmcnt(0)
	v_mul_f32_e32 v13, v10, v11
	v_mul_f32_e32 v11, v9, v11
	s_waitcnt vmcnt(0)
	v_fma_f32 v9, v9, v12, -v13
	v_fmac_f32_e32 v11, v10, v12
	v_add_f32_e32 v8, v8, v9
	v_add_f32_e32 v2, v2, v11
	s_andn2_b64 exec, exec, s[8:9]
	s_cbranch_execnz .LBB63_173
; %bb.174:
	s_or_b64 exec, exec, s[8:9]
	v_mov_b32_e32 v5, 0
	ds_read_b64 v[5:6], v5 offset:320
	s_waitcnt lgkmcnt(0)
	v_mul_f32_e32 v7, v2, v6
	v_mul_f32_e32 v6, v8, v6
	v_fma_f32 v7, v8, v5, -v7
	v_fmac_f32_e32 v6, v2, v5
	buffer_store_dword v7, off, s[0:3], 0 offset:320
	buffer_store_dword v6, off, s[0:3], 0 offset:324
.LBB63_175:
	s_or_b64 exec, exec, s[4:5]
	; wave barrier
	buffer_load_dword v5, off, s[0:3], 0 offset:328
	buffer_load_dword v6, off, s[0:3], 0 offset:332
	v_cmp_gt_u32_e32 vcc, 41, v0
	s_waitcnt vmcnt(0)
	ds_write_b64 v4, v[5:6]
	s_waitcnt lgkmcnt(0)
	; wave barrier
	s_and_saveexec_b64 s[4:5], vcc
	s_cbranch_execz .LBB63_179
; %bb.176:
	v_add_u32_e32 v5, -1, v0
	v_or_b32_e32 v6, 0x200, v3
	v_mov_b32_e32 v7, v3
	v_mov_b32_e32 v2, 0
	s_mov_b64 s[8:9], 0
	v_mov_b32_e32 v8, 0
.LBB63_177:                             ; =>This Inner Loop Header: Depth=1
	buffer_load_dword v11, v7, s[0:3], 0 offen offset:4
	buffer_load_dword v12, v7, s[0:3], 0 offen
	ds_read_b64 v[9:10], v6
	v_add_u32_e32 v5, 1, v5
	v_cmp_lt_u32_e32 vcc, 39, v5
	v_add_u32_e32 v6, 8, v6
	v_add_u32_e32 v7, 8, v7
	s_or_b64 s[8:9], vcc, s[8:9]
	s_waitcnt vmcnt(1) lgkmcnt(0)
	v_mul_f32_e32 v13, v10, v11
	v_mul_f32_e32 v11, v9, v11
	s_waitcnt vmcnt(0)
	v_fma_f32 v9, v9, v12, -v13
	v_fmac_f32_e32 v11, v10, v12
	v_add_f32_e32 v8, v8, v9
	v_add_f32_e32 v2, v2, v11
	s_andn2_b64 exec, exec, s[8:9]
	s_cbranch_execnz .LBB63_177
; %bb.178:
	s_or_b64 exec, exec, s[8:9]
	v_mov_b32_e32 v5, 0
	ds_read_b64 v[5:6], v5 offset:328
	s_waitcnt lgkmcnt(0)
	v_mul_f32_e32 v7, v2, v6
	v_mul_f32_e32 v6, v8, v6
	v_fma_f32 v7, v8, v5, -v7
	v_fmac_f32_e32 v6, v2, v5
	buffer_store_dword v7, off, s[0:3], 0 offset:328
	buffer_store_dword v6, off, s[0:3], 0 offset:332
.LBB63_179:
	s_or_b64 exec, exec, s[4:5]
	; wave barrier
	buffer_load_dword v5, off, s[0:3], 0 offset:336
	buffer_load_dword v6, off, s[0:3], 0 offset:340
	v_cmp_gt_u32_e32 vcc, 42, v0
	s_waitcnt vmcnt(0)
	ds_write_b64 v4, v[5:6]
	s_waitcnt lgkmcnt(0)
	; wave barrier
	s_and_saveexec_b64 s[4:5], vcc
	s_cbranch_execz .LBB63_183
; %bb.180:
	v_add_u32_e32 v5, -1, v0
	v_or_b32_e32 v6, 0x200, v3
	v_mov_b32_e32 v7, v3
	v_mov_b32_e32 v2, 0
	s_mov_b64 s[8:9], 0
	v_mov_b32_e32 v8, 0
.LBB63_181:                             ; =>This Inner Loop Header: Depth=1
	buffer_load_dword v11, v7, s[0:3], 0 offen offset:4
	buffer_load_dword v12, v7, s[0:3], 0 offen
	ds_read_b64 v[9:10], v6
	v_add_u32_e32 v5, 1, v5
	v_cmp_lt_u32_e32 vcc, 40, v5
	v_add_u32_e32 v6, 8, v6
	v_add_u32_e32 v7, 8, v7
	s_or_b64 s[8:9], vcc, s[8:9]
	s_waitcnt vmcnt(1) lgkmcnt(0)
	v_mul_f32_e32 v13, v10, v11
	v_mul_f32_e32 v11, v9, v11
	s_waitcnt vmcnt(0)
	v_fma_f32 v9, v9, v12, -v13
	v_fmac_f32_e32 v11, v10, v12
	v_add_f32_e32 v8, v8, v9
	v_add_f32_e32 v2, v2, v11
	s_andn2_b64 exec, exec, s[8:9]
	s_cbranch_execnz .LBB63_181
; %bb.182:
	s_or_b64 exec, exec, s[8:9]
	v_mov_b32_e32 v5, 0
	ds_read_b64 v[5:6], v5 offset:336
	s_waitcnt lgkmcnt(0)
	v_mul_f32_e32 v7, v2, v6
	v_mul_f32_e32 v6, v8, v6
	v_fma_f32 v7, v8, v5, -v7
	v_fmac_f32_e32 v6, v2, v5
	buffer_store_dword v7, off, s[0:3], 0 offset:336
	buffer_store_dword v6, off, s[0:3], 0 offset:340
.LBB63_183:
	s_or_b64 exec, exec, s[4:5]
	; wave barrier
	buffer_load_dword v5, off, s[0:3], 0 offset:344
	buffer_load_dword v6, off, s[0:3], 0 offset:348
	v_cmp_gt_u32_e32 vcc, 43, v0
	s_waitcnt vmcnt(0)
	ds_write_b64 v4, v[5:6]
	s_waitcnt lgkmcnt(0)
	; wave barrier
	s_and_saveexec_b64 s[4:5], vcc
	s_cbranch_execz .LBB63_187
; %bb.184:
	v_add_u32_e32 v5, -1, v0
	v_or_b32_e32 v6, 0x200, v3
	v_mov_b32_e32 v7, v3
	v_mov_b32_e32 v2, 0
	s_mov_b64 s[8:9], 0
	v_mov_b32_e32 v8, 0
.LBB63_185:                             ; =>This Inner Loop Header: Depth=1
	buffer_load_dword v11, v7, s[0:3], 0 offen offset:4
	buffer_load_dword v12, v7, s[0:3], 0 offen
	ds_read_b64 v[9:10], v6
	v_add_u32_e32 v5, 1, v5
	v_cmp_lt_u32_e32 vcc, 41, v5
	v_add_u32_e32 v6, 8, v6
	v_add_u32_e32 v7, 8, v7
	s_or_b64 s[8:9], vcc, s[8:9]
	s_waitcnt vmcnt(1) lgkmcnt(0)
	v_mul_f32_e32 v13, v10, v11
	v_mul_f32_e32 v11, v9, v11
	s_waitcnt vmcnt(0)
	v_fma_f32 v9, v9, v12, -v13
	v_fmac_f32_e32 v11, v10, v12
	v_add_f32_e32 v8, v8, v9
	v_add_f32_e32 v2, v2, v11
	s_andn2_b64 exec, exec, s[8:9]
	s_cbranch_execnz .LBB63_185
; %bb.186:
	s_or_b64 exec, exec, s[8:9]
	v_mov_b32_e32 v5, 0
	ds_read_b64 v[5:6], v5 offset:344
	s_waitcnt lgkmcnt(0)
	v_mul_f32_e32 v7, v2, v6
	v_mul_f32_e32 v6, v8, v6
	v_fma_f32 v7, v8, v5, -v7
	v_fmac_f32_e32 v6, v2, v5
	buffer_store_dword v7, off, s[0:3], 0 offset:344
	buffer_store_dword v6, off, s[0:3], 0 offset:348
.LBB63_187:
	s_or_b64 exec, exec, s[4:5]
	; wave barrier
	buffer_load_dword v5, off, s[0:3], 0 offset:352
	buffer_load_dword v6, off, s[0:3], 0 offset:356
	v_cmp_gt_u32_e32 vcc, 44, v0
	s_waitcnt vmcnt(0)
	ds_write_b64 v4, v[5:6]
	s_waitcnt lgkmcnt(0)
	; wave barrier
	s_and_saveexec_b64 s[4:5], vcc
	s_cbranch_execz .LBB63_191
; %bb.188:
	v_add_u32_e32 v5, -1, v0
	v_or_b32_e32 v6, 0x200, v3
	v_mov_b32_e32 v7, v3
	v_mov_b32_e32 v2, 0
	s_mov_b64 s[8:9], 0
	v_mov_b32_e32 v8, 0
.LBB63_189:                             ; =>This Inner Loop Header: Depth=1
	buffer_load_dword v11, v7, s[0:3], 0 offen offset:4
	buffer_load_dword v12, v7, s[0:3], 0 offen
	ds_read_b64 v[9:10], v6
	v_add_u32_e32 v5, 1, v5
	v_cmp_lt_u32_e32 vcc, 42, v5
	v_add_u32_e32 v6, 8, v6
	v_add_u32_e32 v7, 8, v7
	s_or_b64 s[8:9], vcc, s[8:9]
	s_waitcnt vmcnt(1) lgkmcnt(0)
	v_mul_f32_e32 v13, v10, v11
	v_mul_f32_e32 v11, v9, v11
	s_waitcnt vmcnt(0)
	v_fma_f32 v9, v9, v12, -v13
	v_fmac_f32_e32 v11, v10, v12
	v_add_f32_e32 v8, v8, v9
	v_add_f32_e32 v2, v2, v11
	s_andn2_b64 exec, exec, s[8:9]
	s_cbranch_execnz .LBB63_189
; %bb.190:
	s_or_b64 exec, exec, s[8:9]
	v_mov_b32_e32 v5, 0
	ds_read_b64 v[5:6], v5 offset:352
	s_waitcnt lgkmcnt(0)
	v_mul_f32_e32 v7, v2, v6
	v_mul_f32_e32 v6, v8, v6
	v_fma_f32 v7, v8, v5, -v7
	v_fmac_f32_e32 v6, v2, v5
	buffer_store_dword v7, off, s[0:3], 0 offset:352
	buffer_store_dword v6, off, s[0:3], 0 offset:356
.LBB63_191:
	s_or_b64 exec, exec, s[4:5]
	; wave barrier
	buffer_load_dword v5, off, s[0:3], 0 offset:360
	buffer_load_dword v6, off, s[0:3], 0 offset:364
	v_cmp_gt_u32_e32 vcc, 45, v0
	s_waitcnt vmcnt(0)
	ds_write_b64 v4, v[5:6]
	s_waitcnt lgkmcnt(0)
	; wave barrier
	s_and_saveexec_b64 s[4:5], vcc
	s_cbranch_execz .LBB63_195
; %bb.192:
	v_add_u32_e32 v5, -1, v0
	v_or_b32_e32 v6, 0x200, v3
	v_mov_b32_e32 v7, v3
	v_mov_b32_e32 v2, 0
	s_mov_b64 s[8:9], 0
	v_mov_b32_e32 v8, 0
.LBB63_193:                             ; =>This Inner Loop Header: Depth=1
	buffer_load_dword v11, v7, s[0:3], 0 offen offset:4
	buffer_load_dword v12, v7, s[0:3], 0 offen
	ds_read_b64 v[9:10], v6
	v_add_u32_e32 v5, 1, v5
	v_cmp_lt_u32_e32 vcc, 43, v5
	v_add_u32_e32 v6, 8, v6
	v_add_u32_e32 v7, 8, v7
	s_or_b64 s[8:9], vcc, s[8:9]
	s_waitcnt vmcnt(1) lgkmcnt(0)
	v_mul_f32_e32 v13, v10, v11
	v_mul_f32_e32 v11, v9, v11
	s_waitcnt vmcnt(0)
	v_fma_f32 v9, v9, v12, -v13
	v_fmac_f32_e32 v11, v10, v12
	v_add_f32_e32 v8, v8, v9
	v_add_f32_e32 v2, v2, v11
	s_andn2_b64 exec, exec, s[8:9]
	s_cbranch_execnz .LBB63_193
; %bb.194:
	s_or_b64 exec, exec, s[8:9]
	v_mov_b32_e32 v5, 0
	ds_read_b64 v[5:6], v5 offset:360
	s_waitcnt lgkmcnt(0)
	v_mul_f32_e32 v7, v2, v6
	v_mul_f32_e32 v6, v8, v6
	v_fma_f32 v7, v8, v5, -v7
	v_fmac_f32_e32 v6, v2, v5
	buffer_store_dword v7, off, s[0:3], 0 offset:360
	buffer_store_dword v6, off, s[0:3], 0 offset:364
.LBB63_195:
	s_or_b64 exec, exec, s[4:5]
	; wave barrier
	buffer_load_dword v5, off, s[0:3], 0 offset:368
	buffer_load_dword v6, off, s[0:3], 0 offset:372
	v_cmp_gt_u32_e32 vcc, 46, v0
	s_waitcnt vmcnt(0)
	ds_write_b64 v4, v[5:6]
	s_waitcnt lgkmcnt(0)
	; wave barrier
	s_and_saveexec_b64 s[4:5], vcc
	s_cbranch_execz .LBB63_199
; %bb.196:
	v_add_u32_e32 v5, -1, v0
	v_or_b32_e32 v6, 0x200, v3
	v_mov_b32_e32 v7, v3
	v_mov_b32_e32 v2, 0
	s_mov_b64 s[8:9], 0
	v_mov_b32_e32 v8, 0
.LBB63_197:                             ; =>This Inner Loop Header: Depth=1
	buffer_load_dword v11, v7, s[0:3], 0 offen offset:4
	buffer_load_dword v12, v7, s[0:3], 0 offen
	ds_read_b64 v[9:10], v6
	v_add_u32_e32 v5, 1, v5
	v_cmp_lt_u32_e32 vcc, 44, v5
	v_add_u32_e32 v6, 8, v6
	v_add_u32_e32 v7, 8, v7
	s_or_b64 s[8:9], vcc, s[8:9]
	s_waitcnt vmcnt(1) lgkmcnt(0)
	v_mul_f32_e32 v13, v10, v11
	v_mul_f32_e32 v11, v9, v11
	s_waitcnt vmcnt(0)
	v_fma_f32 v9, v9, v12, -v13
	v_fmac_f32_e32 v11, v10, v12
	v_add_f32_e32 v8, v8, v9
	v_add_f32_e32 v2, v2, v11
	s_andn2_b64 exec, exec, s[8:9]
	s_cbranch_execnz .LBB63_197
; %bb.198:
	s_or_b64 exec, exec, s[8:9]
	v_mov_b32_e32 v5, 0
	ds_read_b64 v[5:6], v5 offset:368
	s_waitcnt lgkmcnt(0)
	v_mul_f32_e32 v7, v2, v6
	v_mul_f32_e32 v6, v8, v6
	v_fma_f32 v7, v8, v5, -v7
	v_fmac_f32_e32 v6, v2, v5
	buffer_store_dword v7, off, s[0:3], 0 offset:368
	buffer_store_dword v6, off, s[0:3], 0 offset:372
.LBB63_199:
	s_or_b64 exec, exec, s[4:5]
	; wave barrier
	buffer_load_dword v5, off, s[0:3], 0 offset:376
	buffer_load_dword v6, off, s[0:3], 0 offset:380
	v_cmp_gt_u32_e32 vcc, 47, v0
	s_waitcnt vmcnt(0)
	ds_write_b64 v4, v[5:6]
	s_waitcnt lgkmcnt(0)
	; wave barrier
	s_and_saveexec_b64 s[4:5], vcc
	s_cbranch_execz .LBB63_203
; %bb.200:
	v_add_u32_e32 v5, -1, v0
	v_or_b32_e32 v6, 0x200, v3
	v_mov_b32_e32 v7, v3
	v_mov_b32_e32 v2, 0
	s_mov_b64 s[8:9], 0
	v_mov_b32_e32 v8, 0
.LBB63_201:                             ; =>This Inner Loop Header: Depth=1
	buffer_load_dword v11, v7, s[0:3], 0 offen offset:4
	buffer_load_dword v12, v7, s[0:3], 0 offen
	ds_read_b64 v[9:10], v6
	v_add_u32_e32 v5, 1, v5
	v_cmp_lt_u32_e32 vcc, 45, v5
	v_add_u32_e32 v6, 8, v6
	v_add_u32_e32 v7, 8, v7
	s_or_b64 s[8:9], vcc, s[8:9]
	s_waitcnt vmcnt(1) lgkmcnt(0)
	v_mul_f32_e32 v13, v10, v11
	v_mul_f32_e32 v11, v9, v11
	s_waitcnt vmcnt(0)
	v_fma_f32 v9, v9, v12, -v13
	v_fmac_f32_e32 v11, v10, v12
	v_add_f32_e32 v8, v8, v9
	v_add_f32_e32 v2, v2, v11
	s_andn2_b64 exec, exec, s[8:9]
	s_cbranch_execnz .LBB63_201
; %bb.202:
	s_or_b64 exec, exec, s[8:9]
	v_mov_b32_e32 v5, 0
	ds_read_b64 v[5:6], v5 offset:376
	s_waitcnt lgkmcnt(0)
	v_mul_f32_e32 v7, v2, v6
	v_mul_f32_e32 v6, v8, v6
	v_fma_f32 v7, v8, v5, -v7
	v_fmac_f32_e32 v6, v2, v5
	buffer_store_dword v7, off, s[0:3], 0 offset:376
	buffer_store_dword v6, off, s[0:3], 0 offset:380
.LBB63_203:
	s_or_b64 exec, exec, s[4:5]
	; wave barrier
	buffer_load_dword v5, off, s[0:3], 0 offset:384
	buffer_load_dword v6, off, s[0:3], 0 offset:388
	v_cmp_gt_u32_e32 vcc, 48, v0
	s_waitcnt vmcnt(0)
	ds_write_b64 v4, v[5:6]
	s_waitcnt lgkmcnt(0)
	; wave barrier
	s_and_saveexec_b64 s[4:5], vcc
	s_cbranch_execz .LBB63_207
; %bb.204:
	v_add_u32_e32 v5, -1, v0
	v_or_b32_e32 v6, 0x200, v3
	v_mov_b32_e32 v7, v3
	v_mov_b32_e32 v2, 0
	s_mov_b64 s[8:9], 0
	v_mov_b32_e32 v8, 0
.LBB63_205:                             ; =>This Inner Loop Header: Depth=1
	buffer_load_dword v11, v7, s[0:3], 0 offen offset:4
	buffer_load_dword v12, v7, s[0:3], 0 offen
	ds_read_b64 v[9:10], v6
	v_add_u32_e32 v5, 1, v5
	v_cmp_lt_u32_e32 vcc, 46, v5
	v_add_u32_e32 v6, 8, v6
	v_add_u32_e32 v7, 8, v7
	s_or_b64 s[8:9], vcc, s[8:9]
	s_waitcnt vmcnt(1) lgkmcnt(0)
	v_mul_f32_e32 v13, v10, v11
	v_mul_f32_e32 v11, v9, v11
	s_waitcnt vmcnt(0)
	v_fma_f32 v9, v9, v12, -v13
	v_fmac_f32_e32 v11, v10, v12
	v_add_f32_e32 v8, v8, v9
	v_add_f32_e32 v2, v2, v11
	s_andn2_b64 exec, exec, s[8:9]
	s_cbranch_execnz .LBB63_205
; %bb.206:
	s_or_b64 exec, exec, s[8:9]
	v_mov_b32_e32 v5, 0
	ds_read_b64 v[5:6], v5 offset:384
	s_waitcnt lgkmcnt(0)
	v_mul_f32_e32 v7, v2, v6
	v_mul_f32_e32 v6, v8, v6
	v_fma_f32 v7, v8, v5, -v7
	v_fmac_f32_e32 v6, v2, v5
	buffer_store_dword v7, off, s[0:3], 0 offset:384
	buffer_store_dword v6, off, s[0:3], 0 offset:388
.LBB63_207:
	s_or_b64 exec, exec, s[4:5]
	; wave barrier
	buffer_load_dword v5, off, s[0:3], 0 offset:392
	buffer_load_dword v6, off, s[0:3], 0 offset:396
	v_cmp_gt_u32_e32 vcc, 49, v0
	s_waitcnt vmcnt(0)
	ds_write_b64 v4, v[5:6]
	s_waitcnt lgkmcnt(0)
	; wave barrier
	s_and_saveexec_b64 s[4:5], vcc
	s_cbranch_execz .LBB63_211
; %bb.208:
	v_add_u32_e32 v5, -1, v0
	v_or_b32_e32 v6, 0x200, v3
	v_mov_b32_e32 v7, v3
	v_mov_b32_e32 v2, 0
	s_mov_b64 s[8:9], 0
	v_mov_b32_e32 v8, 0
.LBB63_209:                             ; =>This Inner Loop Header: Depth=1
	buffer_load_dword v11, v7, s[0:3], 0 offen offset:4
	buffer_load_dword v12, v7, s[0:3], 0 offen
	ds_read_b64 v[9:10], v6
	v_add_u32_e32 v5, 1, v5
	v_cmp_lt_u32_e32 vcc, 47, v5
	v_add_u32_e32 v6, 8, v6
	v_add_u32_e32 v7, 8, v7
	s_or_b64 s[8:9], vcc, s[8:9]
	s_waitcnt vmcnt(1) lgkmcnt(0)
	v_mul_f32_e32 v13, v10, v11
	v_mul_f32_e32 v11, v9, v11
	s_waitcnt vmcnt(0)
	v_fma_f32 v9, v9, v12, -v13
	v_fmac_f32_e32 v11, v10, v12
	v_add_f32_e32 v8, v8, v9
	v_add_f32_e32 v2, v2, v11
	s_andn2_b64 exec, exec, s[8:9]
	s_cbranch_execnz .LBB63_209
; %bb.210:
	s_or_b64 exec, exec, s[8:9]
	v_mov_b32_e32 v5, 0
	ds_read_b64 v[5:6], v5 offset:392
	s_waitcnt lgkmcnt(0)
	v_mul_f32_e32 v7, v2, v6
	v_mul_f32_e32 v6, v8, v6
	v_fma_f32 v7, v8, v5, -v7
	v_fmac_f32_e32 v6, v2, v5
	buffer_store_dword v7, off, s[0:3], 0 offset:392
	buffer_store_dword v6, off, s[0:3], 0 offset:396
.LBB63_211:
	s_or_b64 exec, exec, s[4:5]
	; wave barrier
	buffer_load_dword v5, off, s[0:3], 0 offset:400
	buffer_load_dword v6, off, s[0:3], 0 offset:404
	v_cmp_gt_u32_e32 vcc, 50, v0
	s_waitcnt vmcnt(0)
	ds_write_b64 v4, v[5:6]
	s_waitcnt lgkmcnt(0)
	; wave barrier
	s_and_saveexec_b64 s[4:5], vcc
	s_cbranch_execz .LBB63_215
; %bb.212:
	v_add_u32_e32 v5, -1, v0
	v_or_b32_e32 v6, 0x200, v3
	v_mov_b32_e32 v7, v3
	v_mov_b32_e32 v2, 0
	s_mov_b64 s[8:9], 0
	v_mov_b32_e32 v8, 0
.LBB63_213:                             ; =>This Inner Loop Header: Depth=1
	buffer_load_dword v11, v7, s[0:3], 0 offen offset:4
	buffer_load_dword v12, v7, s[0:3], 0 offen
	ds_read_b64 v[9:10], v6
	v_add_u32_e32 v5, 1, v5
	v_cmp_lt_u32_e32 vcc, 48, v5
	v_add_u32_e32 v6, 8, v6
	v_add_u32_e32 v7, 8, v7
	s_or_b64 s[8:9], vcc, s[8:9]
	s_waitcnt vmcnt(1) lgkmcnt(0)
	v_mul_f32_e32 v13, v10, v11
	v_mul_f32_e32 v11, v9, v11
	s_waitcnt vmcnt(0)
	v_fma_f32 v9, v9, v12, -v13
	v_fmac_f32_e32 v11, v10, v12
	v_add_f32_e32 v8, v8, v9
	v_add_f32_e32 v2, v2, v11
	s_andn2_b64 exec, exec, s[8:9]
	s_cbranch_execnz .LBB63_213
; %bb.214:
	s_or_b64 exec, exec, s[8:9]
	v_mov_b32_e32 v5, 0
	ds_read_b64 v[5:6], v5 offset:400
	s_waitcnt lgkmcnt(0)
	v_mul_f32_e32 v7, v2, v6
	v_mul_f32_e32 v6, v8, v6
	v_fma_f32 v7, v8, v5, -v7
	v_fmac_f32_e32 v6, v2, v5
	buffer_store_dword v7, off, s[0:3], 0 offset:400
	buffer_store_dword v6, off, s[0:3], 0 offset:404
.LBB63_215:
	s_or_b64 exec, exec, s[4:5]
	; wave barrier
	buffer_load_dword v5, off, s[0:3], 0 offset:408
	buffer_load_dword v6, off, s[0:3], 0 offset:412
	v_cmp_gt_u32_e32 vcc, 51, v0
	s_waitcnt vmcnt(0)
	ds_write_b64 v4, v[5:6]
	s_waitcnt lgkmcnt(0)
	; wave barrier
	s_and_saveexec_b64 s[4:5], vcc
	s_cbranch_execz .LBB63_219
; %bb.216:
	v_add_u32_e32 v5, -1, v0
	v_or_b32_e32 v6, 0x200, v3
	v_mov_b32_e32 v7, v3
	v_mov_b32_e32 v2, 0
	s_mov_b64 s[8:9], 0
	v_mov_b32_e32 v8, 0
.LBB63_217:                             ; =>This Inner Loop Header: Depth=1
	buffer_load_dword v11, v7, s[0:3], 0 offen offset:4
	buffer_load_dword v12, v7, s[0:3], 0 offen
	ds_read_b64 v[9:10], v6
	v_add_u32_e32 v5, 1, v5
	v_cmp_lt_u32_e32 vcc, 49, v5
	v_add_u32_e32 v6, 8, v6
	v_add_u32_e32 v7, 8, v7
	s_or_b64 s[8:9], vcc, s[8:9]
	s_waitcnt vmcnt(1) lgkmcnt(0)
	v_mul_f32_e32 v13, v10, v11
	v_mul_f32_e32 v11, v9, v11
	s_waitcnt vmcnt(0)
	v_fma_f32 v9, v9, v12, -v13
	v_fmac_f32_e32 v11, v10, v12
	v_add_f32_e32 v8, v8, v9
	v_add_f32_e32 v2, v2, v11
	s_andn2_b64 exec, exec, s[8:9]
	s_cbranch_execnz .LBB63_217
; %bb.218:
	s_or_b64 exec, exec, s[8:9]
	v_mov_b32_e32 v5, 0
	ds_read_b64 v[5:6], v5 offset:408
	s_waitcnt lgkmcnt(0)
	v_mul_f32_e32 v7, v2, v6
	v_mul_f32_e32 v6, v8, v6
	v_fma_f32 v7, v8, v5, -v7
	v_fmac_f32_e32 v6, v2, v5
	buffer_store_dword v7, off, s[0:3], 0 offset:408
	buffer_store_dword v6, off, s[0:3], 0 offset:412
.LBB63_219:
	s_or_b64 exec, exec, s[4:5]
	; wave barrier
	buffer_load_dword v5, off, s[0:3], 0 offset:416
	buffer_load_dword v6, off, s[0:3], 0 offset:420
	v_cmp_gt_u32_e32 vcc, 52, v0
	s_waitcnt vmcnt(0)
	ds_write_b64 v4, v[5:6]
	s_waitcnt lgkmcnt(0)
	; wave barrier
	s_and_saveexec_b64 s[4:5], vcc
	s_cbranch_execz .LBB63_223
; %bb.220:
	v_add_u32_e32 v5, -1, v0
	v_or_b32_e32 v6, 0x200, v3
	v_mov_b32_e32 v7, v3
	v_mov_b32_e32 v2, 0
	s_mov_b64 s[8:9], 0
	v_mov_b32_e32 v8, 0
.LBB63_221:                             ; =>This Inner Loop Header: Depth=1
	buffer_load_dword v11, v7, s[0:3], 0 offen offset:4
	buffer_load_dword v12, v7, s[0:3], 0 offen
	ds_read_b64 v[9:10], v6
	v_add_u32_e32 v5, 1, v5
	v_cmp_lt_u32_e32 vcc, 50, v5
	v_add_u32_e32 v6, 8, v6
	v_add_u32_e32 v7, 8, v7
	s_or_b64 s[8:9], vcc, s[8:9]
	s_waitcnt vmcnt(1) lgkmcnt(0)
	v_mul_f32_e32 v13, v10, v11
	v_mul_f32_e32 v11, v9, v11
	s_waitcnt vmcnt(0)
	v_fma_f32 v9, v9, v12, -v13
	v_fmac_f32_e32 v11, v10, v12
	v_add_f32_e32 v8, v8, v9
	v_add_f32_e32 v2, v2, v11
	s_andn2_b64 exec, exec, s[8:9]
	s_cbranch_execnz .LBB63_221
; %bb.222:
	s_or_b64 exec, exec, s[8:9]
	v_mov_b32_e32 v5, 0
	ds_read_b64 v[5:6], v5 offset:416
	s_waitcnt lgkmcnt(0)
	v_mul_f32_e32 v7, v2, v6
	v_mul_f32_e32 v6, v8, v6
	v_fma_f32 v7, v8, v5, -v7
	v_fmac_f32_e32 v6, v2, v5
	buffer_store_dword v7, off, s[0:3], 0 offset:416
	buffer_store_dword v6, off, s[0:3], 0 offset:420
.LBB63_223:
	s_or_b64 exec, exec, s[4:5]
	; wave barrier
	buffer_load_dword v5, off, s[0:3], 0 offset:424
	buffer_load_dword v6, off, s[0:3], 0 offset:428
	v_cmp_gt_u32_e32 vcc, 53, v0
	s_waitcnt vmcnt(0)
	ds_write_b64 v4, v[5:6]
	s_waitcnt lgkmcnt(0)
	; wave barrier
	s_and_saveexec_b64 s[4:5], vcc
	s_cbranch_execz .LBB63_227
; %bb.224:
	v_add_u32_e32 v5, -1, v0
	v_or_b32_e32 v6, 0x200, v3
	v_mov_b32_e32 v7, v3
	v_mov_b32_e32 v2, 0
	s_mov_b64 s[8:9], 0
	v_mov_b32_e32 v8, 0
.LBB63_225:                             ; =>This Inner Loop Header: Depth=1
	buffer_load_dword v11, v7, s[0:3], 0 offen offset:4
	buffer_load_dword v12, v7, s[0:3], 0 offen
	ds_read_b64 v[9:10], v6
	v_add_u32_e32 v5, 1, v5
	v_cmp_lt_u32_e32 vcc, 51, v5
	v_add_u32_e32 v6, 8, v6
	v_add_u32_e32 v7, 8, v7
	s_or_b64 s[8:9], vcc, s[8:9]
	s_waitcnt vmcnt(1) lgkmcnt(0)
	v_mul_f32_e32 v13, v10, v11
	v_mul_f32_e32 v11, v9, v11
	s_waitcnt vmcnt(0)
	v_fma_f32 v9, v9, v12, -v13
	v_fmac_f32_e32 v11, v10, v12
	v_add_f32_e32 v8, v8, v9
	v_add_f32_e32 v2, v2, v11
	s_andn2_b64 exec, exec, s[8:9]
	s_cbranch_execnz .LBB63_225
; %bb.226:
	s_or_b64 exec, exec, s[8:9]
	v_mov_b32_e32 v5, 0
	ds_read_b64 v[5:6], v5 offset:424
	s_waitcnt lgkmcnt(0)
	v_mul_f32_e32 v7, v2, v6
	v_mul_f32_e32 v6, v8, v6
	v_fma_f32 v7, v8, v5, -v7
	v_fmac_f32_e32 v6, v2, v5
	buffer_store_dword v7, off, s[0:3], 0 offset:424
	buffer_store_dword v6, off, s[0:3], 0 offset:428
.LBB63_227:
	s_or_b64 exec, exec, s[4:5]
	; wave barrier
	buffer_load_dword v5, off, s[0:3], 0 offset:432
	buffer_load_dword v6, off, s[0:3], 0 offset:436
	v_cmp_gt_u32_e32 vcc, 54, v0
	s_waitcnt vmcnt(0)
	ds_write_b64 v4, v[5:6]
	s_waitcnt lgkmcnt(0)
	; wave barrier
	s_and_saveexec_b64 s[4:5], vcc
	s_cbranch_execz .LBB63_231
; %bb.228:
	v_add_u32_e32 v5, -1, v0
	v_or_b32_e32 v6, 0x200, v3
	v_mov_b32_e32 v7, v3
	v_mov_b32_e32 v2, 0
	s_mov_b64 s[8:9], 0
	v_mov_b32_e32 v8, 0
.LBB63_229:                             ; =>This Inner Loop Header: Depth=1
	buffer_load_dword v11, v7, s[0:3], 0 offen offset:4
	buffer_load_dword v12, v7, s[0:3], 0 offen
	ds_read_b64 v[9:10], v6
	v_add_u32_e32 v5, 1, v5
	v_cmp_lt_u32_e32 vcc, 52, v5
	v_add_u32_e32 v6, 8, v6
	v_add_u32_e32 v7, 8, v7
	s_or_b64 s[8:9], vcc, s[8:9]
	s_waitcnt vmcnt(1) lgkmcnt(0)
	v_mul_f32_e32 v13, v10, v11
	v_mul_f32_e32 v11, v9, v11
	s_waitcnt vmcnt(0)
	v_fma_f32 v9, v9, v12, -v13
	v_fmac_f32_e32 v11, v10, v12
	v_add_f32_e32 v8, v8, v9
	v_add_f32_e32 v2, v2, v11
	s_andn2_b64 exec, exec, s[8:9]
	s_cbranch_execnz .LBB63_229
; %bb.230:
	s_or_b64 exec, exec, s[8:9]
	v_mov_b32_e32 v5, 0
	ds_read_b64 v[5:6], v5 offset:432
	s_waitcnt lgkmcnt(0)
	v_mul_f32_e32 v7, v2, v6
	v_mul_f32_e32 v6, v8, v6
	v_fma_f32 v7, v8, v5, -v7
	v_fmac_f32_e32 v6, v2, v5
	buffer_store_dword v7, off, s[0:3], 0 offset:432
	buffer_store_dword v6, off, s[0:3], 0 offset:436
.LBB63_231:
	s_or_b64 exec, exec, s[4:5]
	; wave barrier
	buffer_load_dword v5, off, s[0:3], 0 offset:440
	buffer_load_dword v6, off, s[0:3], 0 offset:444
	v_cmp_gt_u32_e32 vcc, 55, v0
	s_waitcnt vmcnt(0)
	ds_write_b64 v4, v[5:6]
	s_waitcnt lgkmcnt(0)
	; wave barrier
	s_and_saveexec_b64 s[4:5], vcc
	s_cbranch_execz .LBB63_235
; %bb.232:
	v_add_u32_e32 v5, -1, v0
	v_or_b32_e32 v6, 0x200, v3
	v_mov_b32_e32 v7, v3
	v_mov_b32_e32 v2, 0
	s_mov_b64 s[8:9], 0
	v_mov_b32_e32 v8, 0
.LBB63_233:                             ; =>This Inner Loop Header: Depth=1
	buffer_load_dword v11, v7, s[0:3], 0 offen offset:4
	buffer_load_dword v12, v7, s[0:3], 0 offen
	ds_read_b64 v[9:10], v6
	v_add_u32_e32 v5, 1, v5
	v_cmp_lt_u32_e32 vcc, 53, v5
	v_add_u32_e32 v6, 8, v6
	v_add_u32_e32 v7, 8, v7
	s_or_b64 s[8:9], vcc, s[8:9]
	s_waitcnt vmcnt(1) lgkmcnt(0)
	v_mul_f32_e32 v13, v10, v11
	v_mul_f32_e32 v11, v9, v11
	s_waitcnt vmcnt(0)
	v_fma_f32 v9, v9, v12, -v13
	v_fmac_f32_e32 v11, v10, v12
	v_add_f32_e32 v8, v8, v9
	v_add_f32_e32 v2, v2, v11
	s_andn2_b64 exec, exec, s[8:9]
	s_cbranch_execnz .LBB63_233
; %bb.234:
	s_or_b64 exec, exec, s[8:9]
	v_mov_b32_e32 v5, 0
	ds_read_b64 v[5:6], v5 offset:440
	s_waitcnt lgkmcnt(0)
	v_mul_f32_e32 v7, v2, v6
	v_mul_f32_e32 v6, v8, v6
	v_fma_f32 v7, v8, v5, -v7
	v_fmac_f32_e32 v6, v2, v5
	buffer_store_dword v7, off, s[0:3], 0 offset:440
	buffer_store_dword v6, off, s[0:3], 0 offset:444
.LBB63_235:
	s_or_b64 exec, exec, s[4:5]
	; wave barrier
	buffer_load_dword v5, off, s[0:3], 0 offset:448
	buffer_load_dword v6, off, s[0:3], 0 offset:452
	v_cmp_gt_u32_e32 vcc, 56, v0
	s_waitcnt vmcnt(0)
	ds_write_b64 v4, v[5:6]
	s_waitcnt lgkmcnt(0)
	; wave barrier
	s_and_saveexec_b64 s[4:5], vcc
	s_cbranch_execz .LBB63_239
; %bb.236:
	v_add_u32_e32 v5, -1, v0
	v_or_b32_e32 v6, 0x200, v3
	v_mov_b32_e32 v7, v3
	v_mov_b32_e32 v2, 0
	s_mov_b64 s[8:9], 0
	v_mov_b32_e32 v8, 0
.LBB63_237:                             ; =>This Inner Loop Header: Depth=1
	buffer_load_dword v11, v7, s[0:3], 0 offen offset:4
	buffer_load_dword v12, v7, s[0:3], 0 offen
	ds_read_b64 v[9:10], v6
	v_add_u32_e32 v5, 1, v5
	v_cmp_lt_u32_e32 vcc, 54, v5
	v_add_u32_e32 v6, 8, v6
	v_add_u32_e32 v7, 8, v7
	s_or_b64 s[8:9], vcc, s[8:9]
	s_waitcnt vmcnt(1) lgkmcnt(0)
	v_mul_f32_e32 v13, v10, v11
	v_mul_f32_e32 v11, v9, v11
	s_waitcnt vmcnt(0)
	v_fma_f32 v9, v9, v12, -v13
	v_fmac_f32_e32 v11, v10, v12
	v_add_f32_e32 v8, v8, v9
	v_add_f32_e32 v2, v2, v11
	s_andn2_b64 exec, exec, s[8:9]
	s_cbranch_execnz .LBB63_237
; %bb.238:
	s_or_b64 exec, exec, s[8:9]
	v_mov_b32_e32 v5, 0
	ds_read_b64 v[5:6], v5 offset:448
	s_waitcnt lgkmcnt(0)
	v_mul_f32_e32 v7, v2, v6
	v_mul_f32_e32 v6, v8, v6
	v_fma_f32 v7, v8, v5, -v7
	v_fmac_f32_e32 v6, v2, v5
	buffer_store_dword v7, off, s[0:3], 0 offset:448
	buffer_store_dword v6, off, s[0:3], 0 offset:452
.LBB63_239:
	s_or_b64 exec, exec, s[4:5]
	; wave barrier
	buffer_load_dword v5, off, s[0:3], 0 offset:456
	buffer_load_dword v6, off, s[0:3], 0 offset:460
	v_cmp_gt_u32_e32 vcc, 57, v0
	s_waitcnt vmcnt(0)
	ds_write_b64 v4, v[5:6]
	s_waitcnt lgkmcnt(0)
	; wave barrier
	s_and_saveexec_b64 s[4:5], vcc
	s_cbranch_execz .LBB63_243
; %bb.240:
	v_add_u32_e32 v5, -1, v0
	v_or_b32_e32 v6, 0x200, v3
	v_mov_b32_e32 v7, v3
	v_mov_b32_e32 v2, 0
	s_mov_b64 s[8:9], 0
	v_mov_b32_e32 v8, 0
.LBB63_241:                             ; =>This Inner Loop Header: Depth=1
	buffer_load_dword v11, v7, s[0:3], 0 offen offset:4
	buffer_load_dword v12, v7, s[0:3], 0 offen
	ds_read_b64 v[9:10], v6
	v_add_u32_e32 v5, 1, v5
	v_cmp_lt_u32_e32 vcc, 55, v5
	v_add_u32_e32 v6, 8, v6
	v_add_u32_e32 v7, 8, v7
	s_or_b64 s[8:9], vcc, s[8:9]
	s_waitcnt vmcnt(1) lgkmcnt(0)
	v_mul_f32_e32 v13, v10, v11
	v_mul_f32_e32 v11, v9, v11
	s_waitcnt vmcnt(0)
	v_fma_f32 v9, v9, v12, -v13
	v_fmac_f32_e32 v11, v10, v12
	v_add_f32_e32 v8, v8, v9
	v_add_f32_e32 v2, v2, v11
	s_andn2_b64 exec, exec, s[8:9]
	s_cbranch_execnz .LBB63_241
; %bb.242:
	s_or_b64 exec, exec, s[8:9]
	v_mov_b32_e32 v5, 0
	ds_read_b64 v[5:6], v5 offset:456
	s_waitcnt lgkmcnt(0)
	v_mul_f32_e32 v7, v2, v6
	v_mul_f32_e32 v6, v8, v6
	v_fma_f32 v7, v8, v5, -v7
	v_fmac_f32_e32 v6, v2, v5
	buffer_store_dword v7, off, s[0:3], 0 offset:456
	buffer_store_dword v6, off, s[0:3], 0 offset:460
.LBB63_243:
	s_or_b64 exec, exec, s[4:5]
	; wave barrier
	buffer_load_dword v5, off, s[0:3], 0 offset:464
	buffer_load_dword v6, off, s[0:3], 0 offset:468
	v_cmp_gt_u32_e32 vcc, 58, v0
	s_waitcnt vmcnt(0)
	ds_write_b64 v4, v[5:6]
	s_waitcnt lgkmcnt(0)
	; wave barrier
	s_and_saveexec_b64 s[4:5], vcc
	s_cbranch_execz .LBB63_247
; %bb.244:
	v_add_u32_e32 v5, -1, v0
	v_or_b32_e32 v6, 0x200, v3
	v_mov_b32_e32 v7, v3
	v_mov_b32_e32 v2, 0
	s_mov_b64 s[8:9], 0
	v_mov_b32_e32 v8, 0
.LBB63_245:                             ; =>This Inner Loop Header: Depth=1
	buffer_load_dword v11, v7, s[0:3], 0 offen offset:4
	buffer_load_dword v12, v7, s[0:3], 0 offen
	ds_read_b64 v[9:10], v6
	v_add_u32_e32 v5, 1, v5
	v_cmp_lt_u32_e32 vcc, 56, v5
	v_add_u32_e32 v6, 8, v6
	v_add_u32_e32 v7, 8, v7
	s_or_b64 s[8:9], vcc, s[8:9]
	s_waitcnt vmcnt(1) lgkmcnt(0)
	v_mul_f32_e32 v13, v10, v11
	v_mul_f32_e32 v11, v9, v11
	s_waitcnt vmcnt(0)
	v_fma_f32 v9, v9, v12, -v13
	v_fmac_f32_e32 v11, v10, v12
	v_add_f32_e32 v8, v8, v9
	v_add_f32_e32 v2, v2, v11
	s_andn2_b64 exec, exec, s[8:9]
	s_cbranch_execnz .LBB63_245
; %bb.246:
	s_or_b64 exec, exec, s[8:9]
	v_mov_b32_e32 v5, 0
	ds_read_b64 v[5:6], v5 offset:464
	s_waitcnt lgkmcnt(0)
	v_mul_f32_e32 v7, v2, v6
	v_mul_f32_e32 v6, v8, v6
	v_fma_f32 v7, v8, v5, -v7
	v_fmac_f32_e32 v6, v2, v5
	buffer_store_dword v7, off, s[0:3], 0 offset:464
	buffer_store_dword v6, off, s[0:3], 0 offset:468
.LBB63_247:
	s_or_b64 exec, exec, s[4:5]
	; wave barrier
	buffer_load_dword v5, off, s[0:3], 0 offset:472
	buffer_load_dword v6, off, s[0:3], 0 offset:476
	v_cmp_gt_u32_e32 vcc, 59, v0
	s_waitcnt vmcnt(0)
	ds_write_b64 v4, v[5:6]
	s_waitcnt lgkmcnt(0)
	; wave barrier
	s_and_saveexec_b64 s[4:5], vcc
	s_cbranch_execz .LBB63_251
; %bb.248:
	v_add_u32_e32 v5, -1, v0
	v_or_b32_e32 v6, 0x200, v3
	v_mov_b32_e32 v7, v3
	v_mov_b32_e32 v2, 0
	s_mov_b64 s[8:9], 0
	v_mov_b32_e32 v8, 0
.LBB63_249:                             ; =>This Inner Loop Header: Depth=1
	buffer_load_dword v11, v7, s[0:3], 0 offen offset:4
	buffer_load_dword v12, v7, s[0:3], 0 offen
	ds_read_b64 v[9:10], v6
	v_add_u32_e32 v5, 1, v5
	v_cmp_lt_u32_e32 vcc, 57, v5
	v_add_u32_e32 v6, 8, v6
	v_add_u32_e32 v7, 8, v7
	s_or_b64 s[8:9], vcc, s[8:9]
	s_waitcnt vmcnt(1) lgkmcnt(0)
	v_mul_f32_e32 v13, v10, v11
	v_mul_f32_e32 v11, v9, v11
	s_waitcnt vmcnt(0)
	v_fma_f32 v9, v9, v12, -v13
	v_fmac_f32_e32 v11, v10, v12
	v_add_f32_e32 v8, v8, v9
	v_add_f32_e32 v2, v2, v11
	s_andn2_b64 exec, exec, s[8:9]
	s_cbranch_execnz .LBB63_249
; %bb.250:
	s_or_b64 exec, exec, s[8:9]
	v_mov_b32_e32 v5, 0
	ds_read_b64 v[5:6], v5 offset:472
	s_waitcnt lgkmcnt(0)
	v_mul_f32_e32 v7, v2, v6
	v_mul_f32_e32 v6, v8, v6
	v_fma_f32 v7, v8, v5, -v7
	v_fmac_f32_e32 v6, v2, v5
	buffer_store_dword v7, off, s[0:3], 0 offset:472
	buffer_store_dword v6, off, s[0:3], 0 offset:476
.LBB63_251:
	s_or_b64 exec, exec, s[4:5]
	; wave barrier
	buffer_load_dword v5, off, s[0:3], 0 offset:480
	buffer_load_dword v6, off, s[0:3], 0 offset:484
	v_cmp_gt_u32_e32 vcc, 60, v0
	s_waitcnt vmcnt(0)
	ds_write_b64 v4, v[5:6]
	s_waitcnt lgkmcnt(0)
	; wave barrier
	s_and_saveexec_b64 s[4:5], vcc
	s_cbranch_execz .LBB63_255
; %bb.252:
	v_add_u32_e32 v5, -1, v0
	v_or_b32_e32 v6, 0x200, v3
	v_mov_b32_e32 v7, v3
	v_mov_b32_e32 v2, 0
	s_mov_b64 s[8:9], 0
	v_mov_b32_e32 v8, 0
.LBB63_253:                             ; =>This Inner Loop Header: Depth=1
	buffer_load_dword v11, v7, s[0:3], 0 offen offset:4
	buffer_load_dword v12, v7, s[0:3], 0 offen
	ds_read_b64 v[9:10], v6
	v_add_u32_e32 v5, 1, v5
	v_cmp_lt_u32_e32 vcc, 58, v5
	v_add_u32_e32 v6, 8, v6
	v_add_u32_e32 v7, 8, v7
	s_or_b64 s[8:9], vcc, s[8:9]
	s_waitcnt vmcnt(1) lgkmcnt(0)
	v_mul_f32_e32 v13, v10, v11
	v_mul_f32_e32 v11, v9, v11
	s_waitcnt vmcnt(0)
	v_fma_f32 v9, v9, v12, -v13
	v_fmac_f32_e32 v11, v10, v12
	v_add_f32_e32 v8, v8, v9
	v_add_f32_e32 v2, v2, v11
	s_andn2_b64 exec, exec, s[8:9]
	s_cbranch_execnz .LBB63_253
; %bb.254:
	s_or_b64 exec, exec, s[8:9]
	v_mov_b32_e32 v5, 0
	ds_read_b64 v[5:6], v5 offset:480
	s_waitcnt lgkmcnt(0)
	v_mul_f32_e32 v7, v2, v6
	v_mul_f32_e32 v6, v8, v6
	v_fma_f32 v7, v8, v5, -v7
	v_fmac_f32_e32 v6, v2, v5
	buffer_store_dword v7, off, s[0:3], 0 offset:480
	buffer_store_dword v6, off, s[0:3], 0 offset:484
.LBB63_255:
	s_or_b64 exec, exec, s[4:5]
	; wave barrier
	buffer_load_dword v5, off, s[0:3], 0 offset:488
	buffer_load_dword v6, off, s[0:3], 0 offset:492
	v_cmp_gt_u32_e32 vcc, 61, v0
	s_waitcnt vmcnt(0)
	ds_write_b64 v4, v[5:6]
	s_waitcnt lgkmcnt(0)
	; wave barrier
	s_and_saveexec_b64 s[4:5], vcc
	s_cbranch_execz .LBB63_259
; %bb.256:
	v_add_u32_e32 v5, -1, v0
	v_or_b32_e32 v6, 0x200, v3
	v_mov_b32_e32 v7, v3
	v_mov_b32_e32 v2, 0
	s_mov_b64 s[8:9], 0
	v_mov_b32_e32 v8, 0
.LBB63_257:                             ; =>This Inner Loop Header: Depth=1
	buffer_load_dword v11, v7, s[0:3], 0 offen offset:4
	buffer_load_dword v12, v7, s[0:3], 0 offen
	ds_read_b64 v[9:10], v6
	v_add_u32_e32 v5, 1, v5
	v_cmp_lt_u32_e32 vcc, 59, v5
	v_add_u32_e32 v6, 8, v6
	v_add_u32_e32 v7, 8, v7
	s_or_b64 s[8:9], vcc, s[8:9]
	s_waitcnt vmcnt(1) lgkmcnt(0)
	v_mul_f32_e32 v13, v10, v11
	v_mul_f32_e32 v11, v9, v11
	s_waitcnt vmcnt(0)
	v_fma_f32 v9, v9, v12, -v13
	v_fmac_f32_e32 v11, v10, v12
	v_add_f32_e32 v8, v8, v9
	v_add_f32_e32 v2, v2, v11
	s_andn2_b64 exec, exec, s[8:9]
	s_cbranch_execnz .LBB63_257
; %bb.258:
	s_or_b64 exec, exec, s[8:9]
	v_mov_b32_e32 v5, 0
	ds_read_b64 v[5:6], v5 offset:488
	s_waitcnt lgkmcnt(0)
	v_mul_f32_e32 v7, v2, v6
	v_mul_f32_e32 v6, v8, v6
	v_fma_f32 v7, v8, v5, -v7
	v_fmac_f32_e32 v6, v2, v5
	buffer_store_dword v7, off, s[0:3], 0 offset:488
	buffer_store_dword v6, off, s[0:3], 0 offset:492
.LBB63_259:
	s_or_b64 exec, exec, s[4:5]
	; wave barrier
	buffer_load_dword v5, off, s[0:3], 0 offset:496
	buffer_load_dword v6, off, s[0:3], 0 offset:500
	v_cmp_gt_u32_e32 vcc, 62, v0
	s_waitcnt vmcnt(0)
	ds_write_b64 v4, v[5:6]
	s_waitcnt lgkmcnt(0)
	; wave barrier
	s_and_saveexec_b64 s[4:5], vcc
	s_cbranch_execz .LBB63_263
; %bb.260:
	v_add_u32_e32 v5, -1, v0
	v_or_b32_e32 v6, 0x200, v3
	v_mov_b32_e32 v7, v3
	v_mov_b32_e32 v2, 0
	s_mov_b64 s[8:9], 0
	v_mov_b32_e32 v8, 0
.LBB63_261:                             ; =>This Inner Loop Header: Depth=1
	buffer_load_dword v11, v7, s[0:3], 0 offen offset:4
	buffer_load_dword v12, v7, s[0:3], 0 offen
	ds_read_b64 v[9:10], v6
	v_add_u32_e32 v5, 1, v5
	v_cmp_lt_u32_e32 vcc, 60, v5
	v_add_u32_e32 v6, 8, v6
	v_add_u32_e32 v7, 8, v7
	s_or_b64 s[8:9], vcc, s[8:9]
	s_waitcnt vmcnt(1) lgkmcnt(0)
	v_mul_f32_e32 v13, v10, v11
	v_mul_f32_e32 v11, v9, v11
	s_waitcnt vmcnt(0)
	v_fma_f32 v9, v9, v12, -v13
	v_fmac_f32_e32 v11, v10, v12
	v_add_f32_e32 v8, v8, v9
	v_add_f32_e32 v2, v2, v11
	s_andn2_b64 exec, exec, s[8:9]
	s_cbranch_execnz .LBB63_261
; %bb.262:
	s_or_b64 exec, exec, s[8:9]
	v_mov_b32_e32 v5, 0
	ds_read_b64 v[5:6], v5 offset:496
	s_waitcnt lgkmcnt(0)
	v_mul_f32_e32 v7, v2, v6
	v_mul_f32_e32 v6, v8, v6
	v_fma_f32 v7, v8, v5, -v7
	v_fmac_f32_e32 v6, v2, v5
	buffer_store_dword v7, off, s[0:3], 0 offset:496
	buffer_store_dword v6, off, s[0:3], 0 offset:500
.LBB63_263:
	s_or_b64 exec, exec, s[4:5]
	; wave barrier
	buffer_load_dword v5, off, s[0:3], 0 offset:504
	buffer_load_dword v6, off, s[0:3], 0 offset:508
	v_cmp_ne_u32_e32 vcc, 63, v0
	s_waitcnt vmcnt(0)
	ds_write_b64 v4, v[5:6]
	s_waitcnt lgkmcnt(0)
	; wave barrier
	s_and_saveexec_b64 s[4:5], vcc
	s_cbranch_execz .LBB63_267
; %bb.264:
	v_or_b32_e32 v4, 0x200, v3
	v_mov_b32_e32 v2, 0
	s_mov_b64 s[8:9], 0
	v_mov_b32_e32 v5, 0
.LBB63_265:                             ; =>This Inner Loop Header: Depth=1
	buffer_load_dword v8, v3, s[0:3], 0 offen offset:4
	buffer_load_dword v9, v3, s[0:3], 0 offen
	ds_read_b64 v[6:7], v4
	v_add_u32_e32 v1, 1, v1
	v_cmp_lt_u32_e32 vcc, 61, v1
	v_add_u32_e32 v4, 8, v4
	v_add_u32_e32 v3, 8, v3
	s_or_b64 s[8:9], vcc, s[8:9]
	s_waitcnt vmcnt(1) lgkmcnt(0)
	v_mul_f32_e32 v10, v7, v8
	v_mul_f32_e32 v8, v6, v8
	s_waitcnt vmcnt(0)
	v_fma_f32 v6, v6, v9, -v10
	v_fmac_f32_e32 v8, v7, v9
	v_add_f32_e32 v5, v5, v6
	v_add_f32_e32 v2, v2, v8
	s_andn2_b64 exec, exec, s[8:9]
	s_cbranch_execnz .LBB63_265
; %bb.266:
	s_or_b64 exec, exec, s[8:9]
	v_mov_b32_e32 v1, 0
	ds_read_b64 v[3:4], v1 offset:504
	s_waitcnt lgkmcnt(0)
	v_mul_f32_e32 v1, v2, v4
	v_mul_f32_e32 v4, v5, v4
	v_fma_f32 v1, v5, v3, -v1
	v_fmac_f32_e32 v4, v2, v3
	buffer_store_dword v1, off, s[0:3], 0 offset:504
	buffer_store_dword v4, off, s[0:3], 0 offset:508
.LBB63_267:
	s_or_b64 exec, exec, s[4:5]
	s_mov_b64 s[8:9], -1
	; wave barrier
.LBB63_268:
	s_and_b64 vcc, exec, s[8:9]
	s_cbranch_vccz .LBB63_270
; %bb.269:
	s_lshl_b64 s[4:5], s[6:7], 2
	s_add_u32 s4, s10, s4
	s_addc_u32 s5, s11, s5
	v_mov_b32_e32 v1, 0
	global_load_dword v1, v1, s[4:5]
	s_waitcnt vmcnt(0)
	v_cmp_ne_u32_e32 vcc, 0, v1
	s_cbranch_vccz .LBB63_271
.LBB63_270:
	s_endpgm
.LBB63_271:
	v_mov_b32_e32 v1, 0x200
	v_lshl_or_b32 v249, v0, 3, v1
	v_cmp_eq_u32_e32 vcc, 63, v0
	s_and_saveexec_b64 s[4:5], vcc
	s_cbranch_execz .LBB63_273
; %bb.272:
	buffer_load_dword v1, off, s[0:3], 0 offset:496
	buffer_load_dword v2, off, s[0:3], 0 offset:500
	v_mov_b32_e32 v3, 0
	buffer_store_dword v3, off, s[0:3], 0 offset:496
	buffer_store_dword v3, off, s[0:3], 0 offset:500
	s_waitcnt vmcnt(2)
	ds_write_b64 v249, v[1:2]
.LBB63_273:
	s_or_b64 exec, exec, s[4:5]
	s_waitcnt lgkmcnt(0)
	; wave barrier
	buffer_load_dword v4, off, s[0:3], 0 offset:508
	buffer_load_dword v5, off, s[0:3], 0 offset:504
	buffer_load_dword v6, off, s[0:3], 0 offset:496
	buffer_load_dword v7, off, s[0:3], 0 offset:500
	v_mov_b32_e32 v1, 0
	ds_read_b64 v[2:3], v1 offset:1016
	v_cmp_lt_u32_e32 vcc, 61, v0
	s_waitcnt vmcnt(3) lgkmcnt(0)
	v_mul_f32_e32 v8, v2, v4
	v_mul_f32_e32 v4, v3, v4
	s_waitcnt vmcnt(2)
	v_fma_f32 v2, v2, v5, -v4
	v_fmac_f32_e32 v8, v3, v5
	v_add_f32_e32 v2, 0, v2
	v_add_f32_e32 v3, 0, v8
	s_waitcnt vmcnt(1)
	v_sub_f32_e32 v2, v6, v2
	s_waitcnt vmcnt(0)
	v_sub_f32_e32 v3, v7, v3
	buffer_store_dword v2, off, s[0:3], 0 offset:496
	buffer_store_dword v3, off, s[0:3], 0 offset:500
	s_and_saveexec_b64 s[4:5], vcc
	s_cbranch_execz .LBB63_275
; %bb.274:
	buffer_load_dword v2, off, s[0:3], 0 offset:488
	buffer_load_dword v3, off, s[0:3], 0 offset:492
	s_waitcnt vmcnt(0)
	ds_write_b64 v249, v[2:3]
	buffer_store_dword v1, off, s[0:3], 0 offset:488
	buffer_store_dword v1, off, s[0:3], 0 offset:492
.LBB63_275:
	s_or_b64 exec, exec, s[4:5]
	s_waitcnt lgkmcnt(0)
	; wave barrier
	buffer_load_dword v5, off, s[0:3], 0 offset:500
	buffer_load_dword v6, off, s[0:3], 0 offset:508
	;; [unrolled: 1-line block ×6, first 2 shown]
	ds_read_b128 v[1:4], v1 offset:1008
	v_cmp_lt_u32_e32 vcc, 60, v0
	s_waitcnt vmcnt(5) lgkmcnt(0)
	v_mul_f32_e32 v11, v1, v5
	v_mul_f32_e32 v5, v2, v5
	s_waitcnt vmcnt(4)
	v_mul_f32_e32 v12, v3, v6
	v_mul_f32_e32 v6, v4, v6
	s_waitcnt vmcnt(3)
	v_fma_f32 v1, v1, v7, -v5
	v_fmac_f32_e32 v11, v2, v7
	s_waitcnt vmcnt(2)
	v_fma_f32 v2, v3, v8, -v6
	v_add_f32_e32 v1, 0, v1
	v_fmac_f32_e32 v12, v4, v8
	v_add_f32_e32 v3, 0, v11
	v_add_f32_e32 v1, v1, v2
	;; [unrolled: 1-line block ×3, first 2 shown]
	s_waitcnt vmcnt(1)
	v_sub_f32_e32 v1, v9, v1
	s_waitcnt vmcnt(0)
	v_sub_f32_e32 v2, v10, v3
	buffer_store_dword v1, off, s[0:3], 0 offset:488
	buffer_store_dword v2, off, s[0:3], 0 offset:492
	s_and_saveexec_b64 s[4:5], vcc
	s_cbranch_execz .LBB63_277
; %bb.276:
	buffer_load_dword v1, off, s[0:3], 0 offset:480
	buffer_load_dword v2, off, s[0:3], 0 offset:484
	v_mov_b32_e32 v3, 0
	buffer_store_dword v3, off, s[0:3], 0 offset:480
	buffer_store_dword v3, off, s[0:3], 0 offset:484
	s_waitcnt vmcnt(2)
	ds_write_b64 v249, v[1:2]
.LBB63_277:
	s_or_b64 exec, exec, s[4:5]
	s_waitcnt lgkmcnt(0)
	; wave barrier
	buffer_load_dword v8, off, s[0:3], 0 offset:492
	buffer_load_dword v9, off, s[0:3], 0 offset:500
	;; [unrolled: 1-line block ×8, first 2 shown]
	v_mov_b32_e32 v1, 0
	ds_read2_b64 v[2:5], v1 offset0:125 offset1:126
	ds_read_b64 v[6:7], v1 offset:1016
	v_cmp_lt_u32_e32 vcc, 59, v0
	s_waitcnt vmcnt(7) lgkmcnt(1)
	v_mul_f32_e32 v16, v2, v8
	v_mul_f32_e32 v8, v3, v8
	s_waitcnt vmcnt(6)
	v_mul_f32_e32 v17, v4, v9
	v_mul_f32_e32 v9, v5, v9
	s_waitcnt vmcnt(4)
	v_fma_f32 v2, v2, v11, -v8
	s_waitcnt lgkmcnt(0)
	v_mul_f32_e32 v18, v6, v10
	v_mul_f32_e32 v10, v7, v10
	v_fmac_f32_e32 v16, v3, v11
	s_waitcnt vmcnt(3)
	v_fma_f32 v3, v4, v12, -v9
	v_add_f32_e32 v2, 0, v2
	v_fmac_f32_e32 v17, v5, v12
	s_waitcnt vmcnt(2)
	v_fma_f32 v4, v6, v13, -v10
	v_add_f32_e32 v5, 0, v16
	v_add_f32_e32 v2, v2, v3
	v_fmac_f32_e32 v18, v7, v13
	v_add_f32_e32 v5, v5, v17
	v_add_f32_e32 v2, v2, v4
	v_add_f32_e32 v3, v5, v18
	s_waitcnt vmcnt(1)
	v_sub_f32_e32 v2, v14, v2
	s_waitcnt vmcnt(0)
	v_sub_f32_e32 v3, v15, v3
	buffer_store_dword v2, off, s[0:3], 0 offset:480
	buffer_store_dword v3, off, s[0:3], 0 offset:484
	s_and_saveexec_b64 s[4:5], vcc
	s_cbranch_execz .LBB63_279
; %bb.278:
	buffer_load_dword v2, off, s[0:3], 0 offset:472
	buffer_load_dword v3, off, s[0:3], 0 offset:476
	s_waitcnt vmcnt(0)
	ds_write_b64 v249, v[2:3]
	buffer_store_dword v1, off, s[0:3], 0 offset:472
	buffer_store_dword v1, off, s[0:3], 0 offset:476
.LBB63_279:
	s_or_b64 exec, exec, s[4:5]
	s_waitcnt lgkmcnt(0)
	; wave barrier
	buffer_load_dword v10, off, s[0:3], 0 offset:484
	buffer_load_dword v11, off, s[0:3], 0 offset:492
	;; [unrolled: 1-line block ×10, first 2 shown]
	ds_read_b128 v[2:5], v1 offset:992
	ds_read_b128 v[6:9], v1 offset:1008
	v_cmp_lt_u32_e32 vcc, 58, v0
	s_waitcnt vmcnt(9) lgkmcnt(1)
	v_mul_f32_e32 v1, v2, v10
	v_mul_f32_e32 v10, v3, v10
	s_waitcnt vmcnt(8)
	v_mul_f32_e32 v20, v4, v11
	v_mul_f32_e32 v11, v5, v11
	s_waitcnt vmcnt(5)
	v_fma_f32 v2, v2, v14, -v10
	s_waitcnt lgkmcnt(0)
	v_mul_f32_e32 v21, v6, v12
	v_mul_f32_e32 v12, v7, v12
	v_fmac_f32_e32 v1, v3, v14
	s_waitcnt vmcnt(4)
	v_fma_f32 v3, v4, v15, -v11
	v_add_f32_e32 v2, 0, v2
	v_mul_f32_e32 v22, v8, v13
	v_mul_f32_e32 v13, v9, v13
	v_fmac_f32_e32 v20, v5, v15
	s_waitcnt vmcnt(3)
	v_fma_f32 v4, v6, v16, -v12
	v_add_f32_e32 v1, 0, v1
	v_add_f32_e32 v2, v2, v3
	v_fmac_f32_e32 v21, v7, v16
	s_waitcnt vmcnt(2)
	v_fma_f32 v5, v8, v17, -v13
	v_add_f32_e32 v1, v1, v20
	v_add_f32_e32 v2, v2, v4
	v_fmac_f32_e32 v22, v9, v17
	v_add_f32_e32 v1, v1, v21
	v_add_f32_e32 v2, v2, v5
	;; [unrolled: 1-line block ×3, first 2 shown]
	s_waitcnt vmcnt(1)
	v_sub_f32_e32 v2, v18, v2
	s_waitcnt vmcnt(0)
	v_sub_f32_e32 v1, v19, v1
	buffer_store_dword v2, off, s[0:3], 0 offset:472
	buffer_store_dword v1, off, s[0:3], 0 offset:476
	s_and_saveexec_b64 s[4:5], vcc
	s_cbranch_execz .LBB63_281
; %bb.280:
	buffer_load_dword v1, off, s[0:3], 0 offset:464
	buffer_load_dword v2, off, s[0:3], 0 offset:468
	v_mov_b32_e32 v3, 0
	buffer_store_dword v3, off, s[0:3], 0 offset:464
	buffer_store_dword v3, off, s[0:3], 0 offset:468
	s_waitcnt vmcnt(2)
	ds_write_b64 v249, v[1:2]
.LBB63_281:
	s_or_b64 exec, exec, s[4:5]
	s_waitcnt lgkmcnt(0)
	; wave barrier
	buffer_load_dword v12, off, s[0:3], 0 offset:476
	buffer_load_dword v13, off, s[0:3], 0 offset:484
	;; [unrolled: 1-line block ×12, first 2 shown]
	v_mov_b32_e32 v1, 0
	ds_read2_b64 v[2:5], v1 offset0:123 offset1:124
	ds_read2_b64 v[6:9], v1 offset0:125 offset1:126
	ds_read_b64 v[10:11], v1 offset:1016
	v_cmp_lt_u32_e32 vcc, 57, v0
	s_waitcnt vmcnt(11) lgkmcnt(2)
	v_mul_f32_e32 v24, v2, v12
	v_mul_f32_e32 v12, v3, v12
	s_waitcnt vmcnt(10)
	v_mul_f32_e32 v25, v4, v13
	v_mul_f32_e32 v13, v5, v13
	s_waitcnt vmcnt(9) lgkmcnt(1)
	v_mul_f32_e32 v26, v6, v14
	s_waitcnt vmcnt(6)
	v_fma_f32 v2, v2, v17, -v12
	v_mul_f32_e32 v14, v7, v14
	v_fmac_f32_e32 v24, v3, v17
	s_waitcnt vmcnt(5)
	v_fma_f32 v3, v4, v18, -v13
	v_add_f32_e32 v2, 0, v2
	v_mul_f32_e32 v27, v8, v15
	v_mul_f32_e32 v15, v9, v15
	v_fmac_f32_e32 v25, v5, v18
	s_waitcnt vmcnt(4)
	v_fmac_f32_e32 v26, v7, v19
	v_fma_f32 v4, v6, v19, -v14
	v_add_f32_e32 v7, 0, v24
	v_add_f32_e32 v2, v2, v3
	s_waitcnt lgkmcnt(0)
	v_mul_f32_e32 v28, v10, v16
	v_mul_f32_e32 v16, v11, v16
	s_waitcnt vmcnt(3)
	v_fma_f32 v5, v8, v20, -v15
	v_add_f32_e32 v7, v7, v25
	v_add_f32_e32 v2, v2, v4
	v_fmac_f32_e32 v27, v9, v20
	s_waitcnt vmcnt(2)
	v_fma_f32 v6, v10, v21, -v16
	v_add_f32_e32 v3, v7, v26
	v_add_f32_e32 v2, v2, v5
	v_fmac_f32_e32 v28, v11, v21
	v_add_f32_e32 v3, v3, v27
	v_add_f32_e32 v2, v2, v6
	;; [unrolled: 1-line block ×3, first 2 shown]
	s_waitcnt vmcnt(1)
	v_sub_f32_e32 v2, v22, v2
	s_waitcnt vmcnt(0)
	v_sub_f32_e32 v3, v23, v3
	buffer_store_dword v2, off, s[0:3], 0 offset:464
	buffer_store_dword v3, off, s[0:3], 0 offset:468
	s_and_saveexec_b64 s[4:5], vcc
	s_cbranch_execz .LBB63_283
; %bb.282:
	buffer_load_dword v2, off, s[0:3], 0 offset:456
	buffer_load_dword v3, off, s[0:3], 0 offset:460
	s_waitcnt vmcnt(0)
	ds_write_b64 v249, v[2:3]
	buffer_store_dword v1, off, s[0:3], 0 offset:456
	buffer_store_dword v1, off, s[0:3], 0 offset:460
.LBB63_283:
	s_or_b64 exec, exec, s[4:5]
	s_waitcnt lgkmcnt(0)
	; wave barrier
	buffer_load_dword v14, off, s[0:3], 0 offset:468
	buffer_load_dword v15, off, s[0:3], 0 offset:476
	;; [unrolled: 1-line block ×14, first 2 shown]
	ds_read_b128 v[2:5], v1 offset:976
	ds_read_b128 v[6:9], v1 offset:992
	;; [unrolled: 1-line block ×3, first 2 shown]
	v_cmp_lt_u32_e32 vcc, 56, v0
	s_waitcnt vmcnt(13) lgkmcnt(2)
	v_mul_f32_e32 v1, v2, v14
	v_mul_f32_e32 v14, v3, v14
	s_waitcnt vmcnt(12)
	v_mul_f32_e32 v28, v4, v15
	v_mul_f32_e32 v15, v5, v15
	s_waitcnt vmcnt(11) lgkmcnt(1)
	v_mul_f32_e32 v29, v6, v16
	v_mul_f32_e32 v16, v7, v16
	s_waitcnt vmcnt(7)
	v_fma_f32 v2, v2, v20, -v14
	v_fmac_f32_e32 v1, v3, v20
	s_waitcnt vmcnt(6)
	v_fma_f32 v3, v4, v21, -v15
	v_add_f32_e32 v2, 0, v2
	v_mul_f32_e32 v30, v8, v17
	v_mul_f32_e32 v17, v9, v17
	v_fmac_f32_e32 v28, v5, v21
	s_waitcnt vmcnt(5)
	v_fma_f32 v4, v6, v22, -v16
	v_add_f32_e32 v1, 0, v1
	v_add_f32_e32 v2, v2, v3
	s_waitcnt lgkmcnt(0)
	v_mul_f32_e32 v31, v10, v18
	v_mul_f32_e32 v18, v11, v18
	v_fmac_f32_e32 v29, v7, v22
	s_waitcnt vmcnt(4)
	v_fma_f32 v5, v8, v23, -v17
	v_add_f32_e32 v1, v1, v28
	v_add_f32_e32 v2, v2, v4
	v_mul_f32_e32 v32, v12, v19
	v_mul_f32_e32 v19, v13, v19
	v_fmac_f32_e32 v30, v9, v23
	s_waitcnt vmcnt(3)
	v_fma_f32 v6, v10, v24, -v18
	v_add_f32_e32 v1, v1, v29
	v_add_f32_e32 v2, v2, v5
	v_fmac_f32_e32 v31, v11, v24
	s_waitcnt vmcnt(2)
	v_fma_f32 v7, v12, v25, -v19
	v_add_f32_e32 v1, v1, v30
	v_add_f32_e32 v2, v2, v6
	v_fmac_f32_e32 v32, v13, v25
	v_add_f32_e32 v1, v1, v31
	v_add_f32_e32 v2, v2, v7
	;; [unrolled: 1-line block ×3, first 2 shown]
	s_waitcnt vmcnt(1)
	v_sub_f32_e32 v2, v26, v2
	s_waitcnt vmcnt(0)
	v_sub_f32_e32 v1, v27, v1
	buffer_store_dword v2, off, s[0:3], 0 offset:456
	buffer_store_dword v1, off, s[0:3], 0 offset:460
	s_and_saveexec_b64 s[4:5], vcc
	s_cbranch_execz .LBB63_285
; %bb.284:
	buffer_load_dword v1, off, s[0:3], 0 offset:448
	buffer_load_dword v2, off, s[0:3], 0 offset:452
	v_mov_b32_e32 v3, 0
	buffer_store_dword v3, off, s[0:3], 0 offset:448
	buffer_store_dword v3, off, s[0:3], 0 offset:452
	s_waitcnt vmcnt(2)
	ds_write_b64 v249, v[1:2]
.LBB63_285:
	s_or_b64 exec, exec, s[4:5]
	s_waitcnt lgkmcnt(0)
	; wave barrier
	buffer_load_dword v16, off, s[0:3], 0 offset:460
	buffer_load_dword v17, off, s[0:3], 0 offset:468
	;; [unrolled: 1-line block ×16, first 2 shown]
	v_mov_b32_e32 v1, 0
	ds_read2_b64 v[2:5], v1 offset0:121 offset1:122
	ds_read2_b64 v[6:9], v1 offset0:123 offset1:124
	;; [unrolled: 1-line block ×3, first 2 shown]
	ds_read_b64 v[14:15], v1 offset:1016
	v_cmp_lt_u32_e32 vcc, 55, v0
	s_waitcnt vmcnt(15) lgkmcnt(3)
	v_mul_f32_e32 v32, v2, v16
	v_mul_f32_e32 v16, v3, v16
	s_waitcnt vmcnt(14)
	v_mul_f32_e32 v33, v4, v17
	v_mul_f32_e32 v17, v5, v17
	s_waitcnt vmcnt(13) lgkmcnt(2)
	v_mul_f32_e32 v34, v6, v18
	s_waitcnt vmcnt(12)
	v_mul_f32_e32 v35, v8, v19
	v_mul_f32_e32 v18, v7, v18
	s_waitcnt vmcnt(8)
	v_fma_f32 v2, v2, v23, -v16
	v_fmac_f32_e32 v32, v3, v23
	s_waitcnt vmcnt(7)
	v_fma_f32 v3, v4, v24, -v17
	v_add_f32_e32 v2, 0, v2
	v_mul_f32_e32 v19, v9, v19
	v_fmac_f32_e32 v33, v5, v24
	s_waitcnt vmcnt(5)
	v_fmac_f32_e32 v35, v9, v26
	v_fma_f32 v4, v6, v25, -v18
	v_add_f32_e32 v9, 0, v32
	v_add_f32_e32 v2, v2, v3
	s_waitcnt lgkmcnt(1)
	v_mul_f32_e32 v36, v10, v20
	v_mul_f32_e32 v20, v11, v20
	v_fmac_f32_e32 v34, v7, v25
	v_fma_f32 v5, v8, v26, -v19
	v_add_f32_e32 v9, v9, v33
	v_add_f32_e32 v2, v2, v4
	v_mul_f32_e32 v37, v12, v21
	v_mul_f32_e32 v21, v13, v21
	s_waitcnt vmcnt(4)
	v_fma_f32 v6, v10, v27, -v20
	v_add_f32_e32 v3, v9, v34
	v_add_f32_e32 v2, v2, v5
	s_waitcnt lgkmcnt(0)
	v_mul_f32_e32 v38, v14, v22
	v_mul_f32_e32 v22, v15, v22
	v_fmac_f32_e32 v36, v11, v27
	s_waitcnt vmcnt(3)
	v_fma_f32 v7, v12, v28, -v21
	v_add_f32_e32 v3, v3, v35
	v_add_f32_e32 v2, v2, v6
	v_fmac_f32_e32 v37, v13, v28
	s_waitcnt vmcnt(2)
	v_fma_f32 v8, v14, v29, -v22
	v_add_f32_e32 v3, v3, v36
	v_add_f32_e32 v2, v2, v7
	v_fmac_f32_e32 v38, v15, v29
	v_add_f32_e32 v3, v3, v37
	v_add_f32_e32 v2, v2, v8
	;; [unrolled: 1-line block ×3, first 2 shown]
	s_waitcnt vmcnt(1)
	v_sub_f32_e32 v2, v30, v2
	s_waitcnt vmcnt(0)
	v_sub_f32_e32 v3, v31, v3
	buffer_store_dword v2, off, s[0:3], 0 offset:448
	buffer_store_dword v3, off, s[0:3], 0 offset:452
	s_and_saveexec_b64 s[4:5], vcc
	s_cbranch_execz .LBB63_287
; %bb.286:
	buffer_load_dword v2, off, s[0:3], 0 offset:440
	buffer_load_dword v3, off, s[0:3], 0 offset:444
	s_waitcnt vmcnt(0)
	ds_write_b64 v249, v[2:3]
	buffer_store_dword v1, off, s[0:3], 0 offset:440
	buffer_store_dword v1, off, s[0:3], 0 offset:444
.LBB63_287:
	s_or_b64 exec, exec, s[4:5]
	s_waitcnt lgkmcnt(0)
	; wave barrier
	buffer_load_dword v18, off, s[0:3], 0 offset:452
	buffer_load_dword v19, off, s[0:3], 0 offset:460
	;; [unrolled: 1-line block ×18, first 2 shown]
	ds_read_b128 v[2:5], v1 offset:960
	ds_read_b128 v[6:9], v1 offset:976
	;; [unrolled: 1-line block ×4, first 2 shown]
	v_cmp_lt_u32_e32 vcc, 54, v0
	s_waitcnt vmcnt(17) lgkmcnt(3)
	v_mul_f32_e32 v1, v2, v18
	v_mul_f32_e32 v18, v3, v18
	s_waitcnt vmcnt(16)
	v_mul_f32_e32 v36, v4, v19
	v_mul_f32_e32 v19, v5, v19
	s_waitcnt vmcnt(15) lgkmcnt(2)
	v_mul_f32_e32 v37, v6, v20
	v_mul_f32_e32 v20, v7, v20
	s_waitcnt vmcnt(14)
	v_mul_f32_e32 v38, v8, v21
	v_mul_f32_e32 v21, v9, v21
	s_waitcnt vmcnt(9)
	v_fma_f32 v2, v2, v26, -v18
	v_fmac_f32_e32 v1, v3, v26
	s_waitcnt vmcnt(8)
	v_fma_f32 v3, v4, v27, -v19
	v_add_f32_e32 v2, 0, v2
	v_fmac_f32_e32 v36, v5, v27
	s_waitcnt vmcnt(7)
	v_fma_f32 v4, v6, v28, -v20
	v_add_f32_e32 v1, 0, v1
	v_add_f32_e32 v2, v2, v3
	s_waitcnt lgkmcnt(1)
	v_mul_f32_e32 v39, v10, v22
	v_mul_f32_e32 v22, v11, v22
	v_fmac_f32_e32 v37, v7, v28
	s_waitcnt vmcnt(6)
	v_fma_f32 v5, v8, v29, -v21
	v_add_f32_e32 v1, v1, v36
	v_add_f32_e32 v2, v2, v4
	v_mul_f32_e32 v40, v12, v23
	v_mul_f32_e32 v23, v13, v23
	v_fmac_f32_e32 v38, v9, v29
	s_waitcnt vmcnt(5)
	v_fma_f32 v6, v10, v30, -v22
	v_add_f32_e32 v1, v1, v37
	v_add_f32_e32 v2, v2, v5
	s_waitcnt lgkmcnt(0)
	v_mul_f32_e32 v41, v14, v24
	v_mul_f32_e32 v24, v15, v24
	v_fmac_f32_e32 v39, v11, v30
	s_waitcnt vmcnt(4)
	v_fma_f32 v7, v12, v31, -v23
	v_add_f32_e32 v1, v1, v38
	v_add_f32_e32 v2, v2, v6
	v_mul_f32_e32 v42, v16, v25
	v_mul_f32_e32 v25, v17, v25
	v_fmac_f32_e32 v40, v13, v31
	s_waitcnt vmcnt(3)
	v_fma_f32 v8, v14, v32, -v24
	v_add_f32_e32 v1, v1, v39
	v_add_f32_e32 v2, v2, v7
	v_fmac_f32_e32 v41, v15, v32
	s_waitcnt vmcnt(2)
	v_fma_f32 v9, v16, v33, -v25
	v_add_f32_e32 v1, v1, v40
	v_add_f32_e32 v2, v2, v8
	v_fmac_f32_e32 v42, v17, v33
	v_add_f32_e32 v1, v1, v41
	v_add_f32_e32 v2, v2, v9
	;; [unrolled: 1-line block ×3, first 2 shown]
	s_waitcnt vmcnt(1)
	v_sub_f32_e32 v2, v34, v2
	s_waitcnt vmcnt(0)
	v_sub_f32_e32 v1, v35, v1
	buffer_store_dword v2, off, s[0:3], 0 offset:440
	buffer_store_dword v1, off, s[0:3], 0 offset:444
	s_and_saveexec_b64 s[4:5], vcc
	s_cbranch_execz .LBB63_289
; %bb.288:
	buffer_load_dword v1, off, s[0:3], 0 offset:432
	buffer_load_dword v2, off, s[0:3], 0 offset:436
	v_mov_b32_e32 v3, 0
	buffer_store_dword v3, off, s[0:3], 0 offset:432
	buffer_store_dword v3, off, s[0:3], 0 offset:436
	s_waitcnt vmcnt(2)
	ds_write_b64 v249, v[1:2]
.LBB63_289:
	s_or_b64 exec, exec, s[4:5]
	s_waitcnt lgkmcnt(0)
	; wave barrier
	buffer_load_dword v20, off, s[0:3], 0 offset:444
	buffer_load_dword v21, off, s[0:3], 0 offset:452
	;; [unrolled: 1-line block ×20, first 2 shown]
	v_mov_b32_e32 v1, 0
	ds_read2_b64 v[2:5], v1 offset0:119 offset1:120
	ds_read2_b64 v[6:9], v1 offset0:121 offset1:122
	;; [unrolled: 1-line block ×4, first 2 shown]
	ds_read_b64 v[18:19], v1 offset:1016
	v_cmp_lt_u32_e32 vcc, 53, v0
	s_waitcnt vmcnt(19) lgkmcnt(4)
	v_mul_f32_e32 v40, v2, v20
	v_mul_f32_e32 v20, v3, v20
	s_waitcnt vmcnt(18)
	v_mul_f32_e32 v41, v4, v21
	v_mul_f32_e32 v21, v5, v21
	s_waitcnt vmcnt(17) lgkmcnt(3)
	v_mul_f32_e32 v42, v6, v22
	s_waitcnt vmcnt(15) lgkmcnt(2)
	v_mul_f32_e32 v44, v10, v24
	v_mul_f32_e32 v22, v7, v22
	;; [unrolled: 1-line block ×4, first 2 shown]
	s_waitcnt vmcnt(10)
	v_fma_f32 v2, v2, v29, -v20
	v_fmac_f32_e32 v40, v3, v29
	s_waitcnt vmcnt(9)
	v_fma_f32 v3, v4, v30, -v21
	v_add_f32_e32 v2, 0, v2
	v_mul_f32_e32 v24, v11, v24
	v_fmac_f32_e32 v41, v5, v30
	s_waitcnt vmcnt(6)
	v_fmac_f32_e32 v44, v11, v33
	v_fma_f32 v4, v6, v31, -v22
	v_add_f32_e32 v11, 0, v40
	v_add_f32_e32 v2, v2, v3
	v_fmac_f32_e32 v42, v7, v31
	v_fma_f32 v5, v8, v32, -v23
	v_add_f32_e32 v11, v11, v41
	v_add_f32_e32 v2, v2, v4
	v_mul_f32_e32 v45, v12, v25
	v_mul_f32_e32 v25, v13, v25
	v_fmac_f32_e32 v43, v9, v32
	v_fma_f32 v6, v10, v33, -v24
	v_add_f32_e32 v3, v11, v42
	v_add_f32_e32 v2, v2, v5
	s_waitcnt lgkmcnt(1)
	v_mul_f32_e32 v46, v14, v26
	v_mul_f32_e32 v26, v15, v26
	s_waitcnt vmcnt(5)
	v_fma_f32 v7, v12, v34, -v25
	v_add_f32_e32 v3, v3, v43
	v_add_f32_e32 v2, v2, v6
	v_mul_f32_e32 v47, v16, v27
	v_mul_f32_e32 v27, v17, v27
	v_fmac_f32_e32 v45, v13, v34
	s_waitcnt vmcnt(4)
	v_fma_f32 v8, v14, v35, -v26
	v_add_f32_e32 v3, v3, v44
	v_add_f32_e32 v2, v2, v7
	s_waitcnt lgkmcnt(0)
	v_mul_f32_e32 v48, v18, v28
	v_mul_f32_e32 v28, v19, v28
	v_fmac_f32_e32 v46, v15, v35
	s_waitcnt vmcnt(3)
	v_fma_f32 v9, v16, v36, -v27
	v_add_f32_e32 v3, v3, v45
	v_add_f32_e32 v2, v2, v8
	v_fmac_f32_e32 v47, v17, v36
	s_waitcnt vmcnt(2)
	v_fma_f32 v10, v18, v37, -v28
	v_add_f32_e32 v3, v3, v46
	v_add_f32_e32 v2, v2, v9
	v_fmac_f32_e32 v48, v19, v37
	v_add_f32_e32 v3, v3, v47
	v_add_f32_e32 v2, v2, v10
	;; [unrolled: 1-line block ×3, first 2 shown]
	s_waitcnt vmcnt(1)
	v_sub_f32_e32 v2, v38, v2
	s_waitcnt vmcnt(0)
	v_sub_f32_e32 v3, v39, v3
	buffer_store_dword v2, off, s[0:3], 0 offset:432
	buffer_store_dword v3, off, s[0:3], 0 offset:436
	s_and_saveexec_b64 s[4:5], vcc
	s_cbranch_execz .LBB63_291
; %bb.290:
	buffer_load_dword v2, off, s[0:3], 0 offset:424
	buffer_load_dword v3, off, s[0:3], 0 offset:428
	s_waitcnt vmcnt(0)
	ds_write_b64 v249, v[2:3]
	buffer_store_dword v1, off, s[0:3], 0 offset:424
	buffer_store_dword v1, off, s[0:3], 0 offset:428
.LBB63_291:
	s_or_b64 exec, exec, s[4:5]
	s_waitcnt lgkmcnt(0)
	; wave barrier
	buffer_load_dword v22, off, s[0:3], 0 offset:436
	buffer_load_dword v23, off, s[0:3], 0 offset:444
	;; [unrolled: 1-line block ×22, first 2 shown]
	ds_read_b128 v[2:5], v1 offset:944
	ds_read_b128 v[6:9], v1 offset:960
	;; [unrolled: 1-line block ×5, first 2 shown]
	v_cmp_lt_u32_e32 vcc, 52, v0
	s_waitcnt vmcnt(21) lgkmcnt(4)
	v_mul_f32_e32 v1, v2, v22
	v_mul_f32_e32 v22, v3, v22
	s_waitcnt vmcnt(20)
	v_mul_f32_e32 v44, v4, v23
	v_mul_f32_e32 v23, v5, v23
	s_waitcnt vmcnt(19) lgkmcnt(3)
	v_mul_f32_e32 v45, v6, v24
	v_mul_f32_e32 v24, v7, v24
	s_waitcnt vmcnt(18)
	v_mul_f32_e32 v46, v8, v25
	v_mul_f32_e32 v25, v9, v25
	s_waitcnt vmcnt(17) lgkmcnt(2)
	v_mul_f32_e32 v47, v10, v26
	v_mul_f32_e32 v26, v11, v26
	s_waitcnt vmcnt(11)
	v_fma_f32 v2, v2, v32, -v22
	v_fmac_f32_e32 v1, v3, v32
	s_waitcnt vmcnt(10)
	v_fma_f32 v3, v4, v33, -v23
	v_add_f32_e32 v2, 0, v2
	v_fmac_f32_e32 v44, v5, v33
	s_waitcnt vmcnt(9)
	v_fma_f32 v4, v6, v34, -v24
	v_add_f32_e32 v1, 0, v1
	v_add_f32_e32 v2, v2, v3
	v_fmac_f32_e32 v45, v7, v34
	s_waitcnt vmcnt(8)
	v_fma_f32 v5, v8, v35, -v25
	v_add_f32_e32 v1, v1, v44
	v_add_f32_e32 v2, v2, v4
	v_mul_f32_e32 v48, v12, v27
	v_mul_f32_e32 v27, v13, v27
	v_fmac_f32_e32 v46, v9, v35
	s_waitcnt vmcnt(7)
	v_fma_f32 v6, v10, v36, -v26
	v_add_f32_e32 v1, v1, v45
	v_add_f32_e32 v2, v2, v5
	s_waitcnt lgkmcnt(1)
	v_mul_f32_e32 v49, v14, v28
	v_mul_f32_e32 v28, v15, v28
	v_fmac_f32_e32 v47, v11, v36
	s_waitcnt vmcnt(6)
	v_fma_f32 v7, v12, v37, -v27
	v_add_f32_e32 v1, v1, v46
	v_add_f32_e32 v2, v2, v6
	v_mul_f32_e32 v50, v16, v29
	v_mul_f32_e32 v29, v17, v29
	v_fmac_f32_e32 v48, v13, v37
	s_waitcnt vmcnt(5)
	v_fma_f32 v8, v14, v38, -v28
	v_add_f32_e32 v1, v1, v47
	v_add_f32_e32 v2, v2, v7
	s_waitcnt lgkmcnt(0)
	v_mul_f32_e32 v51, v18, v30
	v_mul_f32_e32 v30, v19, v30
	v_fmac_f32_e32 v49, v15, v38
	s_waitcnt vmcnt(4)
	v_fma_f32 v9, v16, v39, -v29
	v_add_f32_e32 v1, v1, v48
	v_add_f32_e32 v2, v2, v8
	v_mul_f32_e32 v52, v20, v31
	v_mul_f32_e32 v31, v21, v31
	v_fmac_f32_e32 v50, v17, v39
	s_waitcnt vmcnt(3)
	v_fma_f32 v10, v18, v40, -v30
	v_add_f32_e32 v1, v1, v49
	v_add_f32_e32 v2, v2, v9
	v_fmac_f32_e32 v51, v19, v40
	s_waitcnt vmcnt(2)
	v_fma_f32 v11, v20, v41, -v31
	v_add_f32_e32 v1, v1, v50
	v_add_f32_e32 v2, v2, v10
	v_fmac_f32_e32 v52, v21, v41
	v_add_f32_e32 v1, v1, v51
	v_add_f32_e32 v2, v2, v11
	;; [unrolled: 1-line block ×3, first 2 shown]
	s_waitcnt vmcnt(1)
	v_sub_f32_e32 v2, v42, v2
	s_waitcnt vmcnt(0)
	v_sub_f32_e32 v1, v43, v1
	buffer_store_dword v2, off, s[0:3], 0 offset:424
	buffer_store_dword v1, off, s[0:3], 0 offset:428
	s_and_saveexec_b64 s[4:5], vcc
	s_cbranch_execz .LBB63_293
; %bb.292:
	buffer_load_dword v1, off, s[0:3], 0 offset:416
	buffer_load_dword v2, off, s[0:3], 0 offset:420
	v_mov_b32_e32 v3, 0
	buffer_store_dword v3, off, s[0:3], 0 offset:416
	buffer_store_dword v3, off, s[0:3], 0 offset:420
	s_waitcnt vmcnt(2)
	ds_write_b64 v249, v[1:2]
.LBB63_293:
	s_or_b64 exec, exec, s[4:5]
	s_waitcnt lgkmcnt(0)
	; wave barrier
	buffer_load_dword v24, off, s[0:3], 0 offset:428
	buffer_load_dword v25, off, s[0:3], 0 offset:436
	;; [unrolled: 1-line block ×24, first 2 shown]
	v_mov_b32_e32 v1, 0
	ds_read2_b64 v[2:5], v1 offset0:117 offset1:118
	ds_read2_b64 v[6:9], v1 offset0:119 offset1:120
	;; [unrolled: 1-line block ×5, first 2 shown]
	ds_read_b64 v[22:23], v1 offset:1016
	v_cmp_lt_u32_e32 vcc, 51, v0
	s_waitcnt vmcnt(23) lgkmcnt(5)
	v_mul_f32_e32 v48, v2, v24
	v_mul_f32_e32 v24, v3, v24
	s_waitcnt vmcnt(22)
	v_mul_f32_e32 v49, v4, v25
	v_mul_f32_e32 v25, v5, v25
	s_waitcnt vmcnt(21) lgkmcnt(4)
	v_mul_f32_e32 v50, v6, v26
	v_mul_f32_e32 v26, v7, v26
	s_waitcnt vmcnt(20)
	v_mul_f32_e32 v51, v8, v27
	s_waitcnt vmcnt(19) lgkmcnt(3)
	v_mul_f32_e32 v52, v10, v28
	v_mul_f32_e32 v27, v9, v27
	;; [unrolled: 1-line block ×3, first 2 shown]
	s_waitcnt vmcnt(18)
	v_mul_f32_e32 v53, v12, v29
	s_waitcnt vmcnt(12)
	v_fma_f32 v2, v2, v35, -v24
	v_fmac_f32_e32 v48, v3, v35
	s_waitcnt vmcnt(11)
	v_fma_f32 v3, v4, v36, -v25
	v_add_f32_e32 v2, 0, v2
	s_waitcnt vmcnt(10)
	v_fma_f32 v4, v6, v37, -v26
	v_add_f32_e32 v2, v2, v3
	v_fmac_f32_e32 v49, v5, v36
	s_waitcnt vmcnt(8)
	v_fmac_f32_e32 v52, v11, v39
	v_fma_f32 v5, v8, v38, -v27
	v_add_f32_e32 v11, 0, v48
	v_add_f32_e32 v2, v2, v4
	v_mul_f32_e32 v29, v13, v29
	v_fmac_f32_e32 v50, v7, v37
	v_fma_f32 v6, v10, v39, -v28
	v_add_f32_e32 v11, v11, v49
	v_add_f32_e32 v2, v2, v5
	s_waitcnt lgkmcnt(2)
	v_mul_f32_e32 v54, v14, v30
	v_mul_f32_e32 v30, v15, v30
	v_fmac_f32_e32 v51, v9, v38
	s_waitcnt vmcnt(7)
	v_fma_f32 v7, v12, v40, -v29
	v_add_f32_e32 v3, v11, v50
	v_add_f32_e32 v2, v2, v6
	v_mul_f32_e32 v55, v16, v31
	v_mul_f32_e32 v31, v17, v31
	s_waitcnt vmcnt(6)
	v_fma_f32 v8, v14, v41, -v30
	v_add_f32_e32 v3, v3, v51
	v_add_f32_e32 v2, v2, v7
	s_waitcnt lgkmcnt(1)
	v_mul_f32_e32 v56, v18, v32
	v_mul_f32_e32 v32, v19, v32
	v_fmac_f32_e32 v53, v13, v40
	s_waitcnt vmcnt(5)
	v_fma_f32 v9, v16, v42, -v31
	v_add_f32_e32 v3, v3, v52
	v_add_f32_e32 v2, v2, v8
	v_fmac_f32_e32 v54, v15, v41
	s_waitcnt vmcnt(4)
	v_fma_f32 v10, v18, v43, -v32
	v_add_f32_e32 v3, v3, v53
	v_add_f32_e32 v2, v2, v9
	v_mul_f32_e32 v4, v21, v33
	v_fmac_f32_e32 v55, v17, v42
	v_add_f32_e32 v3, v3, v54
	v_add_f32_e32 v2, v2, v10
	s_waitcnt vmcnt(3)
	v_fma_f32 v4, v20, v44, -v4
	v_mul_f32_e32 v57, v20, v33
	v_fmac_f32_e32 v56, v19, v43
	v_add_f32_e32 v3, v3, v55
	v_add_f32_e32 v2, v2, v4
	s_waitcnt lgkmcnt(0)
	v_mul_f32_e32 v4, v23, v34
	v_mul_f32_e32 v58, v22, v34
	v_fmac_f32_e32 v57, v21, v44
	v_add_f32_e32 v3, v3, v56
	s_waitcnt vmcnt(2)
	v_fma_f32 v4, v22, v45, -v4
	v_fmac_f32_e32 v58, v23, v45
	v_add_f32_e32 v3, v3, v57
	v_add_f32_e32 v2, v2, v4
	;; [unrolled: 1-line block ×3, first 2 shown]
	s_waitcnt vmcnt(1)
	v_sub_f32_e32 v2, v46, v2
	s_waitcnt vmcnt(0)
	v_sub_f32_e32 v3, v47, v3
	buffer_store_dword v2, off, s[0:3], 0 offset:416
	buffer_store_dword v3, off, s[0:3], 0 offset:420
	s_and_saveexec_b64 s[4:5], vcc
	s_cbranch_execz .LBB63_295
; %bb.294:
	buffer_load_dword v2, off, s[0:3], 0 offset:408
	buffer_load_dword v3, off, s[0:3], 0 offset:412
	s_waitcnt vmcnt(0)
	ds_write_b64 v249, v[2:3]
	buffer_store_dword v1, off, s[0:3], 0 offset:408
	buffer_store_dword v1, off, s[0:3], 0 offset:412
.LBB63_295:
	s_or_b64 exec, exec, s[4:5]
	s_waitcnt lgkmcnt(0)
	; wave barrier
	buffer_load_dword v26, off, s[0:3], 0 offset:420
	buffer_load_dword v27, off, s[0:3], 0 offset:428
	;; [unrolled: 1-line block ×26, first 2 shown]
	ds_read_b128 v[2:5], v1 offset:928
	ds_read_b128 v[6:9], v1 offset:944
	;; [unrolled: 1-line block ×6, first 2 shown]
	v_cmp_lt_u32_e32 vcc, 50, v0
	s_waitcnt vmcnt(25) lgkmcnt(5)
	v_mul_f32_e32 v1, v2, v26
	v_mul_f32_e32 v26, v3, v26
	s_waitcnt vmcnt(24)
	v_mul_f32_e32 v52, v4, v27
	v_mul_f32_e32 v27, v5, v27
	s_waitcnt vmcnt(23) lgkmcnt(4)
	v_mul_f32_e32 v53, v6, v28
	v_mul_f32_e32 v28, v7, v28
	s_waitcnt vmcnt(22)
	v_mul_f32_e32 v54, v8, v29
	v_mul_f32_e32 v29, v9, v29
	;; [unrolled: 6-line block ×3, first 2 shown]
	s_waitcnt vmcnt(13)
	v_fma_f32 v2, v2, v38, -v26
	v_fmac_f32_e32 v1, v3, v38
	s_waitcnt vmcnt(12)
	v_fma_f32 v3, v4, v39, -v27
	v_add_f32_e32 v2, 0, v2
	s_waitcnt vmcnt(11)
	v_fma_f32 v4, v6, v40, -v28
	v_add_f32_e32 v2, v2, v3
	v_fmac_f32_e32 v52, v5, v39
	s_waitcnt vmcnt(10)
	v_fma_f32 v5, v8, v41, -v29
	v_add_f32_e32 v2, v2, v4
	s_waitcnt vmcnt(9)
	v_fma_f32 v6, v10, v42, -v30
	v_add_f32_e32 v2, v2, v5
	s_waitcnt lgkmcnt(2)
	v_mul_f32_e32 v57, v14, v32
	v_mul_f32_e32 v32, v15, v32
	v_fmac_f32_e32 v53, v7, v40
	s_waitcnt vmcnt(8)
	v_fma_f32 v7, v12, v43, -v31
	v_add_f32_e32 v1, 0, v1
	v_add_f32_e32 v2, v2, v6
	v_mul_f32_e32 v58, v16, v33
	v_mul_f32_e32 v33, v17, v33
	s_waitcnt vmcnt(7)
	v_fma_f32 v8, v14, v44, -v32
	v_add_f32_e32 v1, v1, v52
	v_add_f32_e32 v2, v2, v7
	v_fmac_f32_e32 v54, v9, v41
	s_waitcnt vmcnt(6)
	v_fma_f32 v9, v16, v45, -v33
	v_add_f32_e32 v1, v1, v53
	v_add_f32_e32 v2, v2, v8
	s_waitcnt lgkmcnt(1)
	v_mul_f32_e32 v3, v19, v34
	v_fmac_f32_e32 v55, v11, v42
	v_add_f32_e32 v1, v1, v54
	v_add_f32_e32 v2, v2, v9
	s_waitcnt vmcnt(5)
	v_fma_f32 v3, v18, v46, -v3
	v_fmac_f32_e32 v56, v13, v43
	v_add_f32_e32 v1, v1, v55
	v_add_f32_e32 v2, v2, v3
	v_mul_f32_e32 v3, v21, v35
	v_fmac_f32_e32 v57, v15, v44
	v_add_f32_e32 v1, v1, v56
	s_waitcnt vmcnt(4)
	v_fma_f32 v3, v20, v47, -v3
	v_mul_f32_e32 v59, v18, v34
	v_fmac_f32_e32 v58, v17, v45
	v_add_f32_e32 v1, v1, v57
	v_add_f32_e32 v2, v2, v3
	s_waitcnt lgkmcnt(0)
	v_mul_f32_e32 v3, v23, v36
	v_mul_f32_e32 v60, v20, v35
	v_fmac_f32_e32 v59, v19, v46
	v_add_f32_e32 v1, v1, v58
	s_waitcnt vmcnt(3)
	v_fma_f32 v3, v22, v48, -v3
	v_mul_f32_e32 v61, v22, v36
	v_fmac_f32_e32 v60, v21, v47
	v_add_f32_e32 v1, v1, v59
	v_add_f32_e32 v2, v2, v3
	v_mul_f32_e32 v3, v25, v37
	v_mul_f32_e32 v62, v24, v37
	v_fmac_f32_e32 v61, v23, v48
	v_add_f32_e32 v1, v1, v60
	s_waitcnt vmcnt(2)
	v_fma_f32 v3, v24, v49, -v3
	v_fmac_f32_e32 v62, v25, v49
	v_add_f32_e32 v1, v1, v61
	v_add_f32_e32 v2, v2, v3
	;; [unrolled: 1-line block ×3, first 2 shown]
	s_waitcnt vmcnt(1)
	v_sub_f32_e32 v2, v50, v2
	s_waitcnt vmcnt(0)
	v_sub_f32_e32 v1, v51, v1
	buffer_store_dword v2, off, s[0:3], 0 offset:408
	buffer_store_dword v1, off, s[0:3], 0 offset:412
	s_and_saveexec_b64 s[4:5], vcc
	s_cbranch_execz .LBB63_297
; %bb.296:
	buffer_load_dword v1, off, s[0:3], 0 offset:400
	buffer_load_dword v2, off, s[0:3], 0 offset:404
	v_mov_b32_e32 v3, 0
	buffer_store_dword v3, off, s[0:3], 0 offset:400
	buffer_store_dword v3, off, s[0:3], 0 offset:404
	s_waitcnt vmcnt(2)
	ds_write_b64 v249, v[1:2]
.LBB63_297:
	s_or_b64 exec, exec, s[4:5]
	s_waitcnt lgkmcnt(0)
	; wave barrier
	buffer_load_dword v28, off, s[0:3], 0 offset:412
	buffer_load_dword v29, off, s[0:3], 0 offset:420
	;; [unrolled: 1-line block ×28, first 2 shown]
	v_mov_b32_e32 v1, 0
	ds_read2_b64 v[2:5], v1 offset0:115 offset1:116
	ds_read2_b64 v[6:9], v1 offset0:117 offset1:118
	;; [unrolled: 1-line block ×6, first 2 shown]
	ds_read_b64 v[26:27], v1 offset:1016
	v_cmp_lt_u32_e32 vcc, 49, v0
	s_waitcnt vmcnt(27) lgkmcnt(6)
	v_mul_f32_e32 v56, v2, v28
	v_mul_f32_e32 v28, v3, v28
	s_waitcnt vmcnt(26)
	v_mul_f32_e32 v57, v4, v29
	v_mul_f32_e32 v29, v5, v29
	s_waitcnt vmcnt(25) lgkmcnt(5)
	v_mul_f32_e32 v58, v6, v30
	v_mul_f32_e32 v30, v7, v30
	s_waitcnt vmcnt(24)
	v_mul_f32_e32 v59, v8, v31
	v_mul_f32_e32 v31, v9, v31
	;; [unrolled: 6-line block ×3, first 2 shown]
	s_waitcnt vmcnt(21) lgkmcnt(3)
	v_mul_f32_e32 v62, v14, v34
	s_waitcnt vmcnt(14)
	v_fma_f32 v2, v2, v41, -v28
	v_fmac_f32_e32 v56, v3, v41
	s_waitcnt vmcnt(13)
	v_fma_f32 v3, v4, v42, -v29
	v_add_f32_e32 v2, 0, v2
	s_waitcnt vmcnt(12)
	v_fma_f32 v4, v6, v43, -v30
	v_add_f32_e32 v2, v2, v3
	v_fmac_f32_e32 v57, v5, v42
	s_waitcnt vmcnt(11)
	v_fma_f32 v5, v8, v44, -v31
	v_add_f32_e32 v2, v2, v4
	s_waitcnt vmcnt(10)
	v_fma_f32 v6, v10, v45, -v32
	v_add_f32_e32 v2, v2, v5
	v_fmac_f32_e32 v58, v7, v43
	s_waitcnt vmcnt(9)
	v_fma_f32 v7, v12, v46, -v33
	v_add_f32_e32 v2, v2, v6
	v_mul_f32_e32 v4, v15, v34
	v_add_f32_e32 v2, v2, v7
	s_waitcnt vmcnt(8)
	v_fma_f32 v4, v14, v47, -v4
	v_add_f32_e32 v2, v2, v4
	v_mul_f32_e32 v4, v17, v35
	v_add_f32_e32 v8, 0, v56
	s_waitcnt vmcnt(7)
	v_fma_f32 v4, v16, v48, -v4
	v_add_f32_e32 v8, v8, v57
	v_add_f32_e32 v2, v2, v4
	s_waitcnt lgkmcnt(2)
	v_mul_f32_e32 v4, v19, v36
	v_fmac_f32_e32 v59, v9, v44
	v_add_f32_e32 v3, v8, v58
	s_waitcnt vmcnt(6)
	v_fma_f32 v4, v18, v49, -v4
	v_fmac_f32_e32 v60, v11, v45
	v_add_f32_e32 v3, v3, v59
	v_add_f32_e32 v2, v2, v4
	v_mul_f32_e32 v4, v21, v37
	v_fmac_f32_e32 v61, v13, v46
	v_add_f32_e32 v3, v3, v60
	s_waitcnt vmcnt(5)
	v_fma_f32 v4, v20, v50, -v4
	v_mul_f32_e32 v63, v16, v35
	v_fmac_f32_e32 v62, v15, v47
	v_add_f32_e32 v3, v3, v61
	v_add_f32_e32 v2, v2, v4
	s_waitcnt lgkmcnt(1)
	v_mul_f32_e32 v4, v23, v38
	v_mul_f32_e32 v64, v18, v36
	v_fmac_f32_e32 v63, v17, v48
	v_add_f32_e32 v3, v3, v62
	s_waitcnt vmcnt(4)
	v_fma_f32 v4, v22, v51, -v4
	v_mul_f32_e32 v65, v20, v37
	v_fmac_f32_e32 v64, v19, v49
	v_add_f32_e32 v3, v3, v63
	v_add_f32_e32 v2, v2, v4
	v_mul_f32_e32 v4, v25, v39
	v_mul_f32_e32 v66, v22, v38
	v_fmac_f32_e32 v65, v21, v50
	v_add_f32_e32 v3, v3, v64
	s_waitcnt vmcnt(3)
	v_fma_f32 v4, v24, v52, -v4
	v_mul_f32_e32 v67, v24, v39
	v_fmac_f32_e32 v66, v23, v51
	v_add_f32_e32 v3, v3, v65
	v_add_f32_e32 v2, v2, v4
	s_waitcnt lgkmcnt(0)
	v_mul_f32_e32 v4, v27, v40
	v_mul_f32_e32 v68, v26, v40
	v_fmac_f32_e32 v67, v25, v52
	v_add_f32_e32 v3, v3, v66
	s_waitcnt vmcnt(2)
	v_fma_f32 v4, v26, v53, -v4
	v_fmac_f32_e32 v68, v27, v53
	v_add_f32_e32 v3, v3, v67
	v_add_f32_e32 v2, v2, v4
	;; [unrolled: 1-line block ×3, first 2 shown]
	s_waitcnt vmcnt(1)
	v_sub_f32_e32 v2, v54, v2
	s_waitcnt vmcnt(0)
	v_sub_f32_e32 v3, v55, v3
	buffer_store_dword v2, off, s[0:3], 0 offset:400
	buffer_store_dword v3, off, s[0:3], 0 offset:404
	s_and_saveexec_b64 s[4:5], vcc
	s_cbranch_execz .LBB63_299
; %bb.298:
	buffer_load_dword v2, off, s[0:3], 0 offset:392
	buffer_load_dword v3, off, s[0:3], 0 offset:396
	s_waitcnt vmcnt(0)
	ds_write_b64 v249, v[2:3]
	buffer_store_dword v1, off, s[0:3], 0 offset:392
	buffer_store_dword v1, off, s[0:3], 0 offset:396
.LBB63_299:
	s_or_b64 exec, exec, s[4:5]
	s_waitcnt lgkmcnt(0)
	; wave barrier
	buffer_load_dword v30, off, s[0:3], 0 offset:404
	buffer_load_dword v31, off, s[0:3], 0 offset:412
	;; [unrolled: 1-line block ×30, first 2 shown]
	ds_read_b128 v[2:5], v1 offset:912
	ds_read_b128 v[6:9], v1 offset:928
	;; [unrolled: 1-line block ×7, first 2 shown]
	v_cmp_lt_u32_e32 vcc, 48, v0
	s_waitcnt vmcnt(29) lgkmcnt(6)
	v_mul_f32_e32 v1, v2, v30
	v_mul_f32_e32 v30, v3, v30
	s_waitcnt vmcnt(28)
	v_mul_f32_e32 v60, v4, v31
	v_mul_f32_e32 v31, v5, v31
	s_waitcnt vmcnt(27) lgkmcnt(5)
	v_mul_f32_e32 v61, v6, v32
	v_mul_f32_e32 v32, v7, v32
	s_waitcnt vmcnt(26)
	v_mul_f32_e32 v62, v8, v33
	v_mul_f32_e32 v33, v9, v33
	s_waitcnt vmcnt(25) lgkmcnt(4)
	v_mul_f32_e32 v63, v10, v34
	v_mul_f32_e32 v34, v11, v34
	s_waitcnt vmcnt(24)
	v_mul_f32_e32 v64, v12, v35
	s_waitcnt vmcnt(23) lgkmcnt(3)
	v_mul_f32_e32 v65, v14, v36
	s_waitcnt vmcnt(22)
	v_mul_f32_e32 v66, v16, v37
	s_waitcnt vmcnt(21) lgkmcnt(2)
	v_mul_f32_e32 v67, v18, v38
	s_waitcnt vmcnt(15)
	v_fma_f32 v2, v2, v44, -v30
	v_fmac_f32_e32 v1, v3, v44
	s_waitcnt vmcnt(14)
	v_fma_f32 v3, v4, v45, -v31
	v_add_f32_e32 v2, 0, v2
	s_waitcnt vmcnt(13)
	v_fma_f32 v4, v6, v46, -v32
	v_add_f32_e32 v2, v2, v3
	v_fmac_f32_e32 v60, v5, v45
	s_waitcnt vmcnt(12)
	v_fma_f32 v5, v8, v47, -v33
	v_add_f32_e32 v2, v2, v4
	s_waitcnt vmcnt(11)
	v_fma_f32 v6, v10, v48, -v34
	v_add_f32_e32 v2, v2, v5
	v_mul_f32_e32 v3, v13, v35
	v_add_f32_e32 v2, v2, v6
	s_waitcnt vmcnt(10)
	v_fma_f32 v3, v12, v49, -v3
	v_add_f32_e32 v2, v2, v3
	v_mul_f32_e32 v3, v15, v36
	s_waitcnt vmcnt(9)
	v_fma_f32 v3, v14, v50, -v3
	v_add_f32_e32 v2, v2, v3
	v_mul_f32_e32 v3, v17, v37
	s_waitcnt vmcnt(8)
	v_fma_f32 v3, v16, v51, -v3
	v_add_f32_e32 v1, 0, v1
	v_add_f32_e32 v2, v2, v3
	v_mul_f32_e32 v3, v19, v38
	v_fmac_f32_e32 v61, v7, v46
	v_add_f32_e32 v1, v1, v60
	s_waitcnt vmcnt(7)
	v_fma_f32 v3, v18, v52, -v3
	v_fmac_f32_e32 v62, v9, v47
	v_add_f32_e32 v1, v1, v61
	v_add_f32_e32 v2, v2, v3
	v_mul_f32_e32 v3, v21, v39
	v_fmac_f32_e32 v63, v11, v48
	v_add_f32_e32 v1, v1, v62
	s_waitcnt vmcnt(6)
	v_fma_f32 v3, v20, v53, -v3
	v_fmac_f32_e32 v64, v13, v49
	v_add_f32_e32 v1, v1, v63
	v_add_f32_e32 v2, v2, v3
	s_waitcnt lgkmcnt(1)
	v_mul_f32_e32 v3, v23, v40
	v_fmac_f32_e32 v65, v15, v50
	v_add_f32_e32 v1, v1, v64
	s_waitcnt vmcnt(5)
	v_fma_f32 v3, v22, v54, -v3
	v_fmac_f32_e32 v66, v17, v51
	v_add_f32_e32 v1, v1, v65
	v_add_f32_e32 v2, v2, v3
	v_mul_f32_e32 v3, v25, v41
	v_mul_f32_e32 v68, v20, v39
	v_fmac_f32_e32 v67, v19, v52
	v_add_f32_e32 v1, v1, v66
	s_waitcnt vmcnt(4)
	v_fma_f32 v3, v24, v55, -v3
	v_mul_f32_e32 v69, v22, v40
	v_fmac_f32_e32 v68, v21, v53
	v_add_f32_e32 v1, v1, v67
	v_add_f32_e32 v2, v2, v3
	s_waitcnt lgkmcnt(0)
	v_mul_f32_e32 v3, v27, v42
	v_mul_f32_e32 v70, v24, v41
	v_fmac_f32_e32 v69, v23, v54
	v_add_f32_e32 v1, v1, v68
	s_waitcnt vmcnt(3)
	v_fma_f32 v3, v26, v56, -v3
	v_mul_f32_e32 v71, v26, v42
	v_fmac_f32_e32 v70, v25, v55
	v_add_f32_e32 v1, v1, v69
	v_add_f32_e32 v2, v2, v3
	v_mul_f32_e32 v3, v29, v43
	v_mul_f32_e32 v72, v28, v43
	v_fmac_f32_e32 v71, v27, v56
	v_add_f32_e32 v1, v1, v70
	s_waitcnt vmcnt(2)
	v_fma_f32 v3, v28, v57, -v3
	v_fmac_f32_e32 v72, v29, v57
	v_add_f32_e32 v1, v1, v71
	v_add_f32_e32 v2, v2, v3
	;; [unrolled: 1-line block ×3, first 2 shown]
	s_waitcnt vmcnt(1)
	v_sub_f32_e32 v2, v58, v2
	s_waitcnt vmcnt(0)
	v_sub_f32_e32 v1, v59, v1
	buffer_store_dword v2, off, s[0:3], 0 offset:392
	buffer_store_dword v1, off, s[0:3], 0 offset:396
	s_and_saveexec_b64 s[4:5], vcc
	s_cbranch_execz .LBB63_301
; %bb.300:
	buffer_load_dword v1, off, s[0:3], 0 offset:384
	buffer_load_dword v2, off, s[0:3], 0 offset:388
	v_mov_b32_e32 v3, 0
	buffer_store_dword v3, off, s[0:3], 0 offset:384
	buffer_store_dword v3, off, s[0:3], 0 offset:388
	s_waitcnt vmcnt(2)
	ds_write_b64 v249, v[1:2]
.LBB63_301:
	s_or_b64 exec, exec, s[4:5]
	s_waitcnt lgkmcnt(0)
	; wave barrier
	buffer_load_dword v32, off, s[0:3], 0 offset:396
	buffer_load_dword v33, off, s[0:3], 0 offset:404
	;; [unrolled: 1-line block ×32, first 2 shown]
	v_mov_b32_e32 v1, 0
	ds_read2_b64 v[2:5], v1 offset0:113 offset1:114
	ds_read2_b64 v[6:9], v1 offset0:115 offset1:116
	;; [unrolled: 1-line block ×7, first 2 shown]
	ds_read_b64 v[30:31], v1 offset:1016
	v_cmp_lt_u32_e32 vcc, 47, v0
	s_waitcnt vmcnt(31) lgkmcnt(7)
	v_mul_f32_e32 v64, v2, v32
	v_mul_f32_e32 v32, v3, v32
	s_waitcnt vmcnt(30)
	v_mul_f32_e32 v65, v4, v33
	v_mul_f32_e32 v33, v5, v33
	s_waitcnt vmcnt(29) lgkmcnt(6)
	v_mul_f32_e32 v66, v6, v34
	v_mul_f32_e32 v34, v7, v34
	s_waitcnt vmcnt(28)
	v_mul_f32_e32 v67, v8, v35
	s_waitcnt vmcnt(27) lgkmcnt(5)
	v_mul_f32_e32 v68, v10, v36
	s_waitcnt vmcnt(26)
	v_mul_f32_e32 v69, v12, v37
	s_waitcnt vmcnt(25) lgkmcnt(4)
	v_mul_f32_e32 v70, v14, v38
	s_waitcnt vmcnt(24)
	v_mul_f32_e32 v71, v16, v39
	s_waitcnt vmcnt(23) lgkmcnt(3)
	v_mul_f32_e32 v72, v18, v40
	s_waitcnt vmcnt(22)
	v_mul_f32_e32 v73, v20, v41
	s_waitcnt vmcnt(21) lgkmcnt(2)
	v_mul_f32_e32 v74, v22, v42
	s_waitcnt vmcnt(20)
	v_mul_f32_e32 v75, v24, v43
	s_waitcnt vmcnt(16)
	v_fma_f32 v2, v2, v47, -v32
	v_fmac_f32_e32 v64, v3, v47
	s_waitcnt vmcnt(15)
	v_fma_f32 v3, v4, v48, -v33
	v_add_f32_e32 v2, 0, v2
	s_waitcnt vmcnt(14)
	v_fma_f32 v4, v6, v49, -v34
	v_add_f32_e32 v2, v2, v3
	v_add_f32_e32 v2, v2, v4
	v_mul_f32_e32 v4, v9, v35
	s_waitcnt vmcnt(13)
	v_fma_f32 v4, v8, v50, -v4
	v_add_f32_e32 v2, v2, v4
	v_mul_f32_e32 v4, v11, v36
	s_waitcnt vmcnt(12)
	v_fma_f32 v4, v10, v51, -v4
	;; [unrolled: 4-line block ×5, first 2 shown]
	v_add_f32_e32 v2, v2, v4
	v_mul_f32_e32 v4, v19, v40
	v_fmac_f32_e32 v65, v5, v48
	v_add_f32_e32 v5, 0, v64
	s_waitcnt vmcnt(8)
	v_fma_f32 v4, v18, v55, -v4
	v_fmac_f32_e32 v66, v7, v49
	v_add_f32_e32 v5, v5, v65
	v_add_f32_e32 v2, v2, v4
	v_mul_f32_e32 v4, v21, v41
	v_fmac_f32_e32 v67, v9, v50
	v_add_f32_e32 v3, v5, v66
	s_waitcnt vmcnt(7)
	v_fma_f32 v4, v20, v56, -v4
	v_fmac_f32_e32 v68, v11, v51
	v_add_f32_e32 v3, v3, v67
	;; [unrolled: 8-line block ×4, first 2 shown]
	v_add_f32_e32 v2, v2, v4
	s_waitcnt lgkmcnt(1)
	v_mul_f32_e32 v4, v27, v44
	v_fmac_f32_e32 v73, v21, v56
	v_add_f32_e32 v3, v3, v72
	s_waitcnt vmcnt(4)
	v_fma_f32 v4, v26, v59, -v4
	v_fmac_f32_e32 v74, v23, v57
	v_add_f32_e32 v3, v3, v73
	v_add_f32_e32 v2, v2, v4
	v_mul_f32_e32 v4, v29, v45
	v_mul_f32_e32 v76, v26, v44
	v_fmac_f32_e32 v75, v25, v58
	v_add_f32_e32 v3, v3, v74
	s_waitcnt vmcnt(3)
	v_fma_f32 v4, v28, v60, -v4
	v_mul_f32_e32 v77, v28, v45
	v_fmac_f32_e32 v76, v27, v59
	v_add_f32_e32 v3, v3, v75
	v_add_f32_e32 v2, v2, v4
	s_waitcnt lgkmcnt(0)
	v_mul_f32_e32 v4, v31, v46
	v_mul_f32_e32 v78, v30, v46
	v_fmac_f32_e32 v77, v29, v60
	v_add_f32_e32 v3, v3, v76
	s_waitcnt vmcnt(2)
	v_fma_f32 v4, v30, v61, -v4
	v_fmac_f32_e32 v78, v31, v61
	v_add_f32_e32 v3, v3, v77
	v_add_f32_e32 v2, v2, v4
	;; [unrolled: 1-line block ×3, first 2 shown]
	s_waitcnt vmcnt(1)
	v_sub_f32_e32 v2, v62, v2
	s_waitcnt vmcnt(0)
	v_sub_f32_e32 v3, v63, v3
	buffer_store_dword v2, off, s[0:3], 0 offset:384
	buffer_store_dword v3, off, s[0:3], 0 offset:388
	s_and_saveexec_b64 s[4:5], vcc
	s_cbranch_execz .LBB63_303
; %bb.302:
	buffer_load_dword v2, off, s[0:3], 0 offset:376
	buffer_load_dword v3, off, s[0:3], 0 offset:380
	s_waitcnt vmcnt(0)
	ds_write_b64 v249, v[2:3]
	buffer_store_dword v1, off, s[0:3], 0 offset:376
	buffer_store_dword v1, off, s[0:3], 0 offset:380
.LBB63_303:
	s_or_b64 exec, exec, s[4:5]
	s_waitcnt lgkmcnt(0)
	; wave barrier
	buffer_load_dword v34, off, s[0:3], 0 offset:388
	buffer_load_dword v35, off, s[0:3], 0 offset:396
	buffer_load_dword v36, off, s[0:3], 0 offset:404
	buffer_load_dword v37, off, s[0:3], 0 offset:412
	buffer_load_dword v38, off, s[0:3], 0 offset:420
	buffer_load_dword v39, off, s[0:3], 0 offset:428
	buffer_load_dword v40, off, s[0:3], 0 offset:436
	buffer_load_dword v41, off, s[0:3], 0 offset:444
	buffer_load_dword v42, off, s[0:3], 0 offset:452
	buffer_load_dword v43, off, s[0:3], 0 offset:460
	buffer_load_dword v44, off, s[0:3], 0 offset:468
	buffer_load_dword v45, off, s[0:3], 0 offset:476
	buffer_load_dword v46, off, s[0:3], 0 offset:484
	buffer_load_dword v47, off, s[0:3], 0 offset:492
	buffer_load_dword v48, off, s[0:3], 0 offset:500
	buffer_load_dword v49, off, s[0:3], 0 offset:508
	buffer_load_dword v50, off, s[0:3], 0 offset:384
	buffer_load_dword v51, off, s[0:3], 0 offset:392
	buffer_load_dword v52, off, s[0:3], 0 offset:400
	buffer_load_dword v53, off, s[0:3], 0 offset:408
	buffer_load_dword v54, off, s[0:3], 0 offset:416
	buffer_load_dword v55, off, s[0:3], 0 offset:424
	buffer_load_dword v56, off, s[0:3], 0 offset:432
	buffer_load_dword v57, off, s[0:3], 0 offset:440
	buffer_load_dword v58, off, s[0:3], 0 offset:448
	buffer_load_dword v59, off, s[0:3], 0 offset:456
	buffer_load_dword v60, off, s[0:3], 0 offset:464
	buffer_load_dword v61, off, s[0:3], 0 offset:472
	buffer_load_dword v62, off, s[0:3], 0 offset:480
	buffer_load_dword v63, off, s[0:3], 0 offset:488
	buffer_load_dword v64, off, s[0:3], 0 offset:496
	buffer_load_dword v65, off, s[0:3], 0 offset:504
	buffer_load_dword v66, off, s[0:3], 0 offset:376
	buffer_load_dword v67, off, s[0:3], 0 offset:380
	ds_read_b128 v[2:5], v1 offset:896
	ds_read_b128 v[6:9], v1 offset:912
	;; [unrolled: 1-line block ×8, first 2 shown]
	v_cmp_lt_u32_e32 vcc, 46, v0
	s_waitcnt vmcnt(33) lgkmcnt(7)
	v_mul_f32_e32 v1, v2, v34
	v_mul_f32_e32 v34, v3, v34
	s_waitcnt vmcnt(32)
	v_mul_f32_e32 v68, v4, v35
	v_mul_f32_e32 v35, v5, v35
	s_waitcnt vmcnt(31) lgkmcnt(6)
	v_mul_f32_e32 v69, v6, v36
	s_waitcnt vmcnt(30)
	v_mul_f32_e32 v70, v8, v37
	s_waitcnt vmcnt(29) lgkmcnt(5)
	v_mul_f32_e32 v71, v10, v38
	s_waitcnt vmcnt(28)
	;; [unrolled: 4-line block ×6, first 2 shown]
	v_mul_f32_e32 v80, v28, v47
	s_waitcnt vmcnt(17)
	v_fma_f32 v2, v2, v50, -v34
	v_fmac_f32_e32 v1, v3, v50
	s_waitcnt vmcnt(16)
	v_fma_f32 v3, v4, v51, -v35
	v_add_f32_e32 v2, 0, v2
	v_add_f32_e32 v2, v2, v3
	v_mul_f32_e32 v3, v7, v36
	s_waitcnt vmcnt(15)
	v_fma_f32 v3, v6, v52, -v3
	v_add_f32_e32 v2, v2, v3
	v_mul_f32_e32 v3, v9, v37
	s_waitcnt vmcnt(14)
	v_fma_f32 v3, v8, v53, -v3
	;; [unrolled: 4-line block ×7, first 2 shown]
	v_fmac_f32_e32 v68, v5, v51
	v_add_f32_e32 v1, 0, v1
	v_add_f32_e32 v2, v2, v3
	v_mul_f32_e32 v3, v21, v43
	v_fmac_f32_e32 v69, v7, v52
	v_add_f32_e32 v1, v1, v68
	s_waitcnt vmcnt(8)
	v_fma_f32 v3, v20, v59, -v3
	v_fmac_f32_e32 v70, v9, v53
	v_add_f32_e32 v1, v1, v69
	v_add_f32_e32 v2, v2, v3
	v_mul_f32_e32 v3, v23, v44
	v_fmac_f32_e32 v71, v11, v54
	v_add_f32_e32 v1, v1, v70
	s_waitcnt vmcnt(7)
	v_fma_f32 v3, v22, v60, -v3
	;; [unrolled: 8-line block ×5, first 2 shown]
	v_fmac_f32_e32 v78, v25, v61
	v_add_f32_e32 v1, v1, v77
	v_add_f32_e32 v2, v2, v3
	s_waitcnt lgkmcnt(0)
	v_mul_f32_e32 v3, v31, v48
	v_fmac_f32_e32 v79, v27, v62
	v_add_f32_e32 v1, v1, v78
	s_waitcnt vmcnt(3)
	v_fma_f32 v3, v30, v64, -v3
	v_mul_f32_e32 v81, v30, v48
	v_fmac_f32_e32 v80, v29, v63
	v_add_f32_e32 v1, v1, v79
	v_add_f32_e32 v2, v2, v3
	v_mul_f32_e32 v3, v33, v49
	v_mul_f32_e32 v82, v32, v49
	v_fmac_f32_e32 v81, v31, v64
	v_add_f32_e32 v1, v1, v80
	s_waitcnt vmcnt(2)
	v_fma_f32 v3, v32, v65, -v3
	v_fmac_f32_e32 v82, v33, v65
	v_add_f32_e32 v1, v1, v81
	v_add_f32_e32 v2, v2, v3
	;; [unrolled: 1-line block ×3, first 2 shown]
	s_waitcnt vmcnt(1)
	v_sub_f32_e32 v2, v66, v2
	s_waitcnt vmcnt(0)
	v_sub_f32_e32 v1, v67, v1
	buffer_store_dword v2, off, s[0:3], 0 offset:376
	buffer_store_dword v1, off, s[0:3], 0 offset:380
	s_and_saveexec_b64 s[4:5], vcc
	s_cbranch_execz .LBB63_305
; %bb.304:
	buffer_load_dword v1, off, s[0:3], 0 offset:368
	buffer_load_dword v2, off, s[0:3], 0 offset:372
	v_mov_b32_e32 v3, 0
	buffer_store_dword v3, off, s[0:3], 0 offset:368
	buffer_store_dword v3, off, s[0:3], 0 offset:372
	s_waitcnt vmcnt(2)
	ds_write_b64 v249, v[1:2]
.LBB63_305:
	s_or_b64 exec, exec, s[4:5]
	s_waitcnt lgkmcnt(0)
	; wave barrier
	buffer_load_dword v36, off, s[0:3], 0 offset:380
	buffer_load_dword v37, off, s[0:3], 0 offset:388
	;; [unrolled: 1-line block ×36, first 2 shown]
	v_mov_b32_e32 v1, 0
	ds_read2_b64 v[2:5], v1 offset0:111 offset1:112
	ds_read2_b64 v[6:9], v1 offset0:113 offset1:114
	;; [unrolled: 1-line block ×8, first 2 shown]
	ds_read_b64 v[34:35], v1 offset:1016
	v_cmp_lt_u32_e32 vcc, 45, v0
	s_waitcnt vmcnt(35) lgkmcnt(8)
	v_mul_f32_e32 v72, v2, v36
	s_waitcnt vmcnt(34)
	v_mul_f32_e32 v73, v4, v37
	s_waitcnt vmcnt(33) lgkmcnt(7)
	v_mul_f32_e32 v74, v6, v38
	s_waitcnt vmcnt(32)
	v_mul_f32_e32 v75, v8, v39
	;; [unrolled: 4-line block ×8, first 2 shown]
	s_waitcnt vmcnt(19) lgkmcnt(0)
	v_mul_f32_e32 v88, v34, v52
	s_waitcnt vmcnt(18)
	v_fmac_f32_e32 v72, v3, v53
	v_mul_f32_e32 v3, v3, v36
	v_fma_f32 v2, v2, v53, -v3
	v_mul_f32_e32 v3, v5, v37
	v_add_f32_e32 v2, 0, v2
	s_waitcnt vmcnt(17)
	v_fma_f32 v3, v4, v54, -v3
	v_add_f32_e32 v2, v2, v3
	v_mul_f32_e32 v3, v7, v38
	s_waitcnt vmcnt(16)
	v_fma_f32 v3, v6, v55, -v3
	v_add_f32_e32 v2, v2, v3
	v_mul_f32_e32 v3, v9, v39
	;; [unrolled: 4-line block ×8, first 2 shown]
	v_fmac_f32_e32 v73, v5, v54
	v_add_f32_e32 v72, 0, v72
	s_waitcnt vmcnt(9)
	v_fma_f32 v3, v20, v62, -v3
	v_fmac_f32_e32 v74, v7, v55
	v_add_f32_e32 v72, v72, v73
	v_add_f32_e32 v2, v2, v3
	v_mul_f32_e32 v3, v23, v46
	v_fmac_f32_e32 v75, v9, v56
	v_add_f32_e32 v72, v72, v74
	s_waitcnt vmcnt(8)
	v_fma_f32 v3, v22, v63, -v3
	v_fmac_f32_e32 v76, v11, v57
	v_add_f32_e32 v72, v72, v75
	v_add_f32_e32 v2, v2, v3
	v_mul_f32_e32 v3, v25, v47
	;; [unrolled: 8-line block ×7, first 2 shown]
	v_fmac_f32_e32 v87, v33, v68
	v_add_f32_e32 v72, v72, v86
	s_waitcnt vmcnt(2)
	v_fma_f32 v3, v34, v69, -v3
	v_fmac_f32_e32 v88, v35, v69
	v_add_f32_e32 v72, v72, v87
	v_add_f32_e32 v2, v2, v3
	;; [unrolled: 1-line block ×3, first 2 shown]
	s_waitcnt vmcnt(1)
	v_sub_f32_e32 v2, v70, v2
	s_waitcnt vmcnt(0)
	v_sub_f32_e32 v3, v71, v72
	buffer_store_dword v2, off, s[0:3], 0 offset:368
	buffer_store_dword v3, off, s[0:3], 0 offset:372
	s_and_saveexec_b64 s[4:5], vcc
	s_cbranch_execz .LBB63_307
; %bb.306:
	buffer_load_dword v2, off, s[0:3], 0 offset:360
	buffer_load_dword v3, off, s[0:3], 0 offset:364
	s_waitcnt vmcnt(0)
	ds_write_b64 v249, v[2:3]
	buffer_store_dword v1, off, s[0:3], 0 offset:360
	buffer_store_dword v1, off, s[0:3], 0 offset:364
.LBB63_307:
	s_or_b64 exec, exec, s[4:5]
	s_waitcnt lgkmcnt(0)
	; wave barrier
	buffer_load_dword v38, off, s[0:3], 0 offset:372
	buffer_load_dword v39, off, s[0:3], 0 offset:380
	;; [unrolled: 1-line block ×38, first 2 shown]
	ds_read_b128 v[2:5], v1 offset:880
	ds_read_b128 v[6:9], v1 offset:896
	;; [unrolled: 1-line block ×9, first 2 shown]
	v_cmp_lt_u32_e32 vcc, 44, v0
	s_waitcnt vmcnt(37) lgkmcnt(8)
	v_mul_f32_e32 v1, v2, v38
	s_waitcnt vmcnt(36)
	v_mul_f32_e32 v76, v4, v39
	s_waitcnt vmcnt(35) lgkmcnt(7)
	v_mul_f32_e32 v77, v6, v40
	s_waitcnt vmcnt(34)
	v_mul_f32_e32 v78, v8, v41
	;; [unrolled: 4-line block ×8, first 2 shown]
	s_waitcnt vmcnt(21) lgkmcnt(0)
	v_mul_f32_e32 v91, v34, v54
	s_waitcnt vmcnt(20)
	v_fmac_f32_e32 v1, v3, v55
	v_mul_f32_e32 v3, v3, v38
	v_fma_f32 v2, v2, v55, -v3
	v_mul_f32_e32 v3, v5, v39
	v_add_f32_e32 v2, 0, v2
	s_waitcnt vmcnt(19)
	v_fma_f32 v3, v4, v56, -v3
	v_add_f32_e32 v2, v2, v3
	v_mul_f32_e32 v3, v7, v40
	s_waitcnt vmcnt(18)
	v_fma_f32 v3, v6, v57, -v3
	v_add_f32_e32 v2, v2, v3
	v_mul_f32_e32 v3, v9, v41
	;; [unrolled: 4-line block ×8, first 2 shown]
	s_waitcnt vmcnt(11)
	v_fma_f32 v3, v20, v64, -v3
	v_fmac_f32_e32 v76, v5, v56
	v_add_f32_e32 v1, 0, v1
	v_add_f32_e32 v2, v2, v3
	v_mul_f32_e32 v3, v23, v48
	v_fmac_f32_e32 v77, v7, v57
	v_add_f32_e32 v1, v1, v76
	s_waitcnt vmcnt(10)
	v_fma_f32 v3, v22, v65, -v3
	v_fmac_f32_e32 v78, v9, v58
	v_add_f32_e32 v1, v1, v77
	v_add_f32_e32 v2, v2, v3
	v_mul_f32_e32 v3, v25, v49
	v_fmac_f32_e32 v79, v11, v59
	v_add_f32_e32 v1, v1, v78
	;; [unrolled: 8-line block ×7, first 2 shown]
	s_waitcnt vmcnt(4)
	v_fma_f32 v3, v34, v71, -v3
	v_fmac_f32_e32 v90, v33, v70
	v_add_f32_e32 v1, v1, v89
	v_add_f32_e32 v2, v2, v3
	s_waitcnt vmcnt(3)
	v_mul_f32_e32 v3, v37, v72
	v_add_f32_e32 v1, v1, v90
	v_fmac_f32_e32 v91, v35, v71
	v_mul_f32_e32 v76, v36, v72
	s_waitcnt vmcnt(2)
	v_fma_f32 v3, v36, v73, -v3
	v_add_f32_e32 v1, v1, v91
	v_fmac_f32_e32 v76, v37, v73
	v_add_f32_e32 v2, v2, v3
	v_add_f32_e32 v1, v1, v76
	s_waitcnt vmcnt(1)
	v_sub_f32_e32 v2, v74, v2
	s_waitcnt vmcnt(0)
	v_sub_f32_e32 v1, v75, v1
	buffer_store_dword v2, off, s[0:3], 0 offset:360
	buffer_store_dword v1, off, s[0:3], 0 offset:364
	s_and_saveexec_b64 s[4:5], vcc
	s_cbranch_execz .LBB63_309
; %bb.308:
	buffer_load_dword v1, off, s[0:3], 0 offset:352
	buffer_load_dword v2, off, s[0:3], 0 offset:356
	v_mov_b32_e32 v3, 0
	buffer_store_dword v3, off, s[0:3], 0 offset:352
	buffer_store_dword v3, off, s[0:3], 0 offset:356
	s_waitcnt vmcnt(2)
	ds_write_b64 v249, v[1:2]
.LBB63_309:
	s_or_b64 exec, exec, s[4:5]
	s_waitcnt lgkmcnt(0)
	; wave barrier
	buffer_load_dword v40, off, s[0:3], 0 offset:364
	buffer_load_dword v41, off, s[0:3], 0 offset:372
	;; [unrolled: 1-line block ×40, first 2 shown]
	v_mov_b32_e32 v1, 0
	ds_read2_b64 v[2:5], v1 offset0:109 offset1:110
	ds_read2_b64 v[6:9], v1 offset0:111 offset1:112
	ds_read2_b64 v[10:13], v1 offset0:113 offset1:114
	ds_read2_b64 v[14:17], v1 offset0:115 offset1:116
	ds_read2_b64 v[18:21], v1 offset0:117 offset1:118
	ds_read2_b64 v[22:25], v1 offset0:119 offset1:120
	ds_read2_b64 v[26:29], v1 offset0:121 offset1:122
	ds_read2_b64 v[30:33], v1 offset0:123 offset1:124
	ds_read2_b64 v[34:37], v1 offset0:125 offset1:126
	v_cmp_lt_u32_e32 vcc, 43, v0
	s_waitcnt vmcnt(39) lgkmcnt(8)
	v_mul_f32_e32 v38, v2, v40
	s_waitcnt vmcnt(38)
	v_mul_f32_e32 v39, v4, v41
	s_waitcnt vmcnt(37) lgkmcnt(7)
	v_mul_f32_e32 v80, v6, v42
	s_waitcnt vmcnt(36)
	v_mul_f32_e32 v81, v8, v43
	;; [unrolled: 4-line block ×7, first 2 shown]
	s_waitcnt vmcnt(25) lgkmcnt(1)
	v_mul_f32_e32 v92, v30, v54
	s_waitcnt vmcnt(24)
	v_fmac_f32_e32 v38, v3, v55
	v_mul_f32_e32 v3, v3, v40
	v_fma_f32 v2, v2, v55, -v3
	v_mul_f32_e32 v3, v5, v41
	v_add_f32_e32 v2, 0, v2
	s_waitcnt vmcnt(23)
	v_fma_f32 v3, v4, v56, -v3
	v_add_f32_e32 v2, v2, v3
	v_mul_f32_e32 v3, v7, v42
	s_waitcnt vmcnt(22)
	v_fma_f32 v3, v6, v57, -v3
	v_add_f32_e32 v2, v2, v3
	v_mul_f32_e32 v3, v9, v43
	;; [unrolled: 4-line block ×6, first 2 shown]
	s_waitcnt vmcnt(17)
	v_fma_f32 v3, v16, v62, -v3
	v_fmac_f32_e32 v39, v5, v56
	v_add_f32_e32 v38, 0, v38
	v_add_f32_e32 v2, v2, v3
	v_mul_f32_e32 v3, v19, v48
	v_fmac_f32_e32 v80, v7, v57
	v_add_f32_e32 v38, v38, v39
	s_waitcnt vmcnt(16)
	v_fma_f32 v3, v18, v63, -v3
	v_fmac_f32_e32 v81, v9, v58
	v_add_f32_e32 v38, v38, v80
	v_add_f32_e32 v2, v2, v3
	v_mul_f32_e32 v3, v21, v49
	v_fmac_f32_e32 v82, v11, v59
	v_add_f32_e32 v38, v38, v81
	;; [unrolled: 8-line block ×6, first 2 shown]
	s_waitcnt vmcnt(11)
	v_fma_f32 v3, v28, v68, -v3
	v_fmac_f32_e32 v91, v29, v68
	v_add_f32_e32 v38, v38, v90
	v_add_f32_e32 v2, v2, v3
	v_mul_f32_e32 v3, v31, v54
	s_waitcnt vmcnt(10)
	v_fmac_f32_e32 v92, v31, v69
	v_add_f32_e32 v38, v38, v91
	s_waitcnt vmcnt(9)
	v_mul_f32_e32 v39, v32, v70
	v_fma_f32 v3, v30, v69, -v3
	v_add_f32_e32 v38, v38, v92
	s_waitcnt vmcnt(8)
	v_fmac_f32_e32 v39, v33, v71
	v_add_f32_e32 v2, v2, v3
	v_mul_f32_e32 v3, v33, v70
	v_add_f32_e32 v80, v38, v39
	ds_read_b64 v[38:39], v1 offset:1016
	v_fma_f32 v3, v32, v71, -v3
	v_add_f32_e32 v2, v2, v3
	s_waitcnt vmcnt(7) lgkmcnt(1)
	v_mul_f32_e32 v3, v35, v72
	v_mul_f32_e32 v81, v34, v72
	s_waitcnt vmcnt(6)
	v_fma_f32 v3, v34, v73, -v3
	v_fmac_f32_e32 v81, v35, v73
	v_add_f32_e32 v2, v2, v3
	s_waitcnt vmcnt(5)
	v_mul_f32_e32 v3, v37, v74
	v_add_f32_e32 v80, v80, v81
	v_mul_f32_e32 v81, v36, v74
	s_waitcnt vmcnt(4)
	v_fma_f32 v3, v36, v75, -v3
	v_fmac_f32_e32 v81, v37, v75
	v_add_f32_e32 v2, v2, v3
	s_waitcnt vmcnt(3) lgkmcnt(0)
	v_mul_f32_e32 v3, v39, v76
	v_add_f32_e32 v80, v80, v81
	v_mul_f32_e32 v81, v38, v76
	s_waitcnt vmcnt(2)
	v_fma_f32 v3, v38, v77, -v3
	v_fmac_f32_e32 v81, v39, v77
	v_add_f32_e32 v2, v2, v3
	v_add_f32_e32 v80, v80, v81
	s_waitcnt vmcnt(1)
	v_sub_f32_e32 v2, v78, v2
	s_waitcnt vmcnt(0)
	v_sub_f32_e32 v3, v79, v80
	buffer_store_dword v2, off, s[0:3], 0 offset:352
	buffer_store_dword v3, off, s[0:3], 0 offset:356
	s_and_saveexec_b64 s[4:5], vcc
	s_cbranch_execz .LBB63_311
; %bb.310:
	buffer_load_dword v2, off, s[0:3], 0 offset:344
	buffer_load_dword v3, off, s[0:3], 0 offset:348
	s_waitcnt vmcnt(0)
	ds_write_b64 v249, v[2:3]
	buffer_store_dword v1, off, s[0:3], 0 offset:344
	buffer_store_dword v1, off, s[0:3], 0 offset:348
.LBB63_311:
	s_or_b64 exec, exec, s[4:5]
	s_waitcnt lgkmcnt(0)
	; wave barrier
	buffer_load_dword v42, off, s[0:3], 0 offset:356
	buffer_load_dword v43, off, s[0:3], 0 offset:364
	;; [unrolled: 1-line block ×42, first 2 shown]
	ds_read_b128 v[2:5], v1 offset:864
	ds_read_b128 v[6:9], v1 offset:880
	;; [unrolled: 1-line block ×8, first 2 shown]
	v_cmp_lt_u32_e32 vcc, 42, v0
	s_waitcnt vmcnt(41) lgkmcnt(7)
	v_mul_f32_e32 v34, v2, v42
	s_waitcnt vmcnt(40)
	v_mul_f32_e32 v35, v4, v43
	s_waitcnt vmcnt(39) lgkmcnt(6)
	v_mul_f32_e32 v36, v6, v44
	s_waitcnt vmcnt(38)
	v_mul_f32_e32 v37, v8, v45
	;; [unrolled: 4-line block ×7, first 2 shown]
	s_waitcnt vmcnt(27) lgkmcnt(0)
	v_mul_f32_e32 v90, v30, v56
	s_waitcnt vmcnt(26)
	v_fmac_f32_e32 v34, v3, v57
	v_mul_f32_e32 v3, v3, v42
	v_fma_f32 v2, v2, v57, -v3
	v_mul_f32_e32 v3, v5, v43
	v_add_f32_e32 v2, 0, v2
	s_waitcnt vmcnt(25)
	v_fma_f32 v3, v4, v58, -v3
	v_add_f32_e32 v2, v2, v3
	v_mul_f32_e32 v3, v7, v44
	s_waitcnt vmcnt(24)
	v_fma_f32 v3, v6, v59, -v3
	v_add_f32_e32 v2, v2, v3
	v_mul_f32_e32 v3, v9, v45
	;; [unrolled: 4-line block ×5, first 2 shown]
	v_fmac_f32_e32 v35, v5, v58
	v_add_f32_e32 v34, 0, v34
	s_waitcnt vmcnt(20)
	v_fma_f32 v3, v14, v63, -v3
	v_fmac_f32_e32 v36, v7, v59
	v_add_f32_e32 v34, v34, v35
	v_add_f32_e32 v2, v2, v3
	v_mul_f32_e32 v3, v17, v49
	v_fmac_f32_e32 v37, v9, v60
	v_add_f32_e32 v34, v34, v36
	s_waitcnt vmcnt(19)
	v_fma_f32 v3, v16, v64, -v3
	v_fmac_f32_e32 v38, v11, v61
	v_add_f32_e32 v34, v34, v37
	v_add_f32_e32 v2, v2, v3
	v_mul_f32_e32 v3, v19, v50
	;; [unrolled: 8-line block ×5, first 2 shown]
	s_waitcnt vmcnt(15)
	v_fmac_f32_e32 v87, v25, v68
	v_add_f32_e32 v34, v34, v86
	v_fma_f32 v3, v24, v68, -v3
	s_waitcnt vmcnt(14)
	v_fmac_f32_e32 v88, v27, v69
	v_add_f32_e32 v34, v34, v87
	v_add_f32_e32 v2, v2, v3
	v_mul_f32_e32 v3, v27, v54
	s_waitcnt vmcnt(13)
	v_fmac_f32_e32 v89, v29, v70
	v_add_f32_e32 v34, v34, v88
	v_fma_f32 v3, v26, v69, -v3
	s_waitcnt vmcnt(12)
	v_fmac_f32_e32 v90, v31, v71
	v_add_f32_e32 v34, v34, v89
	v_add_f32_e32 v2, v2, v3
	v_mul_f32_e32 v3, v29, v55
	v_add_f32_e32 v38, v34, v90
	ds_read_b128 v[34:37], v1 offset:992
	v_fma_f32 v3, v28, v70, -v3
	v_add_f32_e32 v2, v2, v3
	v_mul_f32_e32 v3, v31, v56
	s_waitcnt vmcnt(11)
	v_mul_f32_e32 v39, v32, v72
	v_fma_f32 v3, v30, v71, -v3
	s_waitcnt vmcnt(10)
	v_fmac_f32_e32 v39, v33, v73
	v_add_f32_e32 v2, v2, v3
	v_mul_f32_e32 v3, v33, v72
	v_add_f32_e32 v84, v38, v39
	ds_read_b128 v[38:41], v1 offset:1008
	v_fma_f32 v3, v32, v73, -v3
	v_add_f32_e32 v2, v2, v3
	s_waitcnt vmcnt(9) lgkmcnt(1)
	v_mul_f32_e32 v3, v35, v74
	v_mul_f32_e32 v1, v34, v74
	s_waitcnt vmcnt(8)
	v_fma_f32 v3, v34, v75, -v3
	v_fmac_f32_e32 v1, v35, v75
	v_add_f32_e32 v2, v2, v3
	s_waitcnt vmcnt(7)
	v_mul_f32_e32 v3, v37, v76
	v_add_f32_e32 v1, v84, v1
	v_mul_f32_e32 v84, v36, v76
	s_waitcnt vmcnt(6)
	v_fma_f32 v3, v36, v77, -v3
	v_fmac_f32_e32 v84, v37, v77
	v_add_f32_e32 v2, v2, v3
	s_waitcnt vmcnt(5) lgkmcnt(0)
	v_mul_f32_e32 v3, v39, v78
	v_add_f32_e32 v1, v1, v84
	v_mul_f32_e32 v84, v38, v78
	s_waitcnt vmcnt(4)
	v_fma_f32 v3, v38, v79, -v3
	v_fmac_f32_e32 v84, v39, v79
	v_add_f32_e32 v2, v2, v3
	s_waitcnt vmcnt(3)
	v_mul_f32_e32 v3, v41, v80
	v_add_f32_e32 v1, v1, v84
	v_mul_f32_e32 v84, v40, v80
	s_waitcnt vmcnt(2)
	v_fma_f32 v3, v40, v81, -v3
	v_fmac_f32_e32 v84, v41, v81
	v_add_f32_e32 v2, v2, v3
	v_add_f32_e32 v1, v1, v84
	s_waitcnt vmcnt(1)
	v_sub_f32_e32 v2, v82, v2
	s_waitcnt vmcnt(0)
	v_sub_f32_e32 v1, v83, v1
	buffer_store_dword v2, off, s[0:3], 0 offset:344
	buffer_store_dword v1, off, s[0:3], 0 offset:348
	s_and_saveexec_b64 s[4:5], vcc
	s_cbranch_execz .LBB63_313
; %bb.312:
	buffer_load_dword v1, off, s[0:3], 0 offset:336
	buffer_load_dword v2, off, s[0:3], 0 offset:340
	v_mov_b32_e32 v3, 0
	buffer_store_dword v3, off, s[0:3], 0 offset:336
	buffer_store_dword v3, off, s[0:3], 0 offset:340
	s_waitcnt vmcnt(2)
	ds_write_b64 v249, v[1:2]
.LBB63_313:
	s_or_b64 exec, exec, s[4:5]
	s_waitcnt lgkmcnt(0)
	; wave barrier
	buffer_load_dword v44, off, s[0:3], 0 offset:348
	buffer_load_dword v45, off, s[0:3], 0 offset:356
	;; [unrolled: 1-line block ×44, first 2 shown]
	v_mov_b32_e32 v1, 0
	ds_read2_b64 v[2:5], v1 offset0:107 offset1:108
	ds_read2_b64 v[6:9], v1 offset0:109 offset1:110
	;; [unrolled: 1-line block ×8, first 2 shown]
	v_cmp_lt_u32_e32 vcc, 41, v0
	s_waitcnt vmcnt(43) lgkmcnt(7)
	v_mul_f32_e32 v34, v2, v44
	s_waitcnt vmcnt(42)
	v_mul_f32_e32 v35, v4, v45
	s_waitcnt vmcnt(41) lgkmcnt(6)
	v_mul_f32_e32 v36, v6, v46
	s_waitcnt vmcnt(40)
	v_mul_f32_e32 v37, v8, v47
	;; [unrolled: 4-line block ×7, first 2 shown]
	s_waitcnt vmcnt(29)
	v_fmac_f32_e32 v34, v3, v58
	v_mul_f32_e32 v3, v3, v44
	v_fma_f32 v2, v2, v58, -v3
	v_mul_f32_e32 v3, v5, v45
	v_add_f32_e32 v2, 0, v2
	s_waitcnt vmcnt(28)
	v_fma_f32 v3, v4, v59, -v3
	v_add_f32_e32 v2, v2, v3
	v_mul_f32_e32 v3, v7, v46
	s_waitcnt vmcnt(27)
	v_fma_f32 v3, v6, v60, -v3
	v_add_f32_e32 v2, v2, v3
	v_mul_f32_e32 v3, v9, v47
	;; [unrolled: 4-line block ×4, first 2 shown]
	s_waitcnt vmcnt(24)
	v_fma_f32 v3, v12, v63, -v3
	v_fmac_f32_e32 v35, v5, v59
	v_add_f32_e32 v34, 0, v34
	v_add_f32_e32 v2, v2, v3
	v_mul_f32_e32 v3, v15, v50
	v_fmac_f32_e32 v36, v7, v60
	v_add_f32_e32 v34, v34, v35
	s_waitcnt vmcnt(23)
	v_fma_f32 v3, v14, v64, -v3
	v_fmac_f32_e32 v37, v9, v61
	v_add_f32_e32 v34, v34, v36
	v_add_f32_e32 v2, v2, v3
	v_mul_f32_e32 v3, v17, v51
	v_fmac_f32_e32 v38, v11, v62
	v_add_f32_e32 v34, v34, v37
	s_waitcnt vmcnt(22)
	v_fma_f32 v3, v16, v65, -v3
	v_fmac_f32_e32 v39, v13, v63
	v_add_f32_e32 v34, v34, v38
	v_add_f32_e32 v2, v2, v3
	v_mul_f32_e32 v3, v19, v52
	v_fmac_f32_e32 v40, v15, v64
	v_add_f32_e32 v34, v34, v39
	s_waitcnt vmcnt(21)
	v_fma_f32 v3, v18, v66, -v3
	v_fmac_f32_e32 v41, v17, v65
	v_add_f32_e32 v34, v34, v40
	v_add_f32_e32 v2, v2, v3
	v_mul_f32_e32 v3, v21, v53
	v_fmac_f32_e32 v42, v19, v66
	v_add_f32_e32 v34, v34, v41
	s_waitcnt vmcnt(20)
	v_fma_f32 v3, v20, v67, -v3
	v_fmac_f32_e32 v43, v21, v67
	v_add_f32_e32 v34, v34, v42
	v_add_f32_e32 v2, v2, v3
	v_mul_f32_e32 v3, v23, v54
	s_waitcnt vmcnt(19)
	v_fmac_f32_e32 v88, v23, v68
	v_add_f32_e32 v34, v34, v43
	v_fma_f32 v3, v22, v68, -v3
	s_waitcnt vmcnt(18)
	v_fmac_f32_e32 v89, v25, v69
	v_add_f32_e32 v34, v34, v88
	v_add_f32_e32 v2, v2, v3
	v_mul_f32_e32 v3, v25, v55
	s_waitcnt vmcnt(17)
	v_fmac_f32_e32 v90, v27, v70
	v_add_f32_e32 v34, v34, v89
	v_fma_f32 v3, v24, v69, -v3
	v_add_f32_e32 v34, v34, v90
	s_waitcnt vmcnt(16)
	v_fmac_f32_e32 v91, v29, v71
	s_waitcnt vmcnt(15) lgkmcnt(0)
	v_mul_f32_e32 v35, v30, v72
	v_add_f32_e32 v2, v2, v3
	v_mul_f32_e32 v3, v27, v56
	v_add_f32_e32 v34, v34, v91
	s_waitcnt vmcnt(14)
	v_fmac_f32_e32 v35, v31, v73
	v_fma_f32 v3, v26, v70, -v3
	v_add_f32_e32 v38, v34, v35
	ds_read2_b64 v[34:37], v1 offset0:123 offset1:124
	v_add_f32_e32 v2, v2, v3
	v_mul_f32_e32 v3, v29, v57
	v_fma_f32 v3, v28, v71, -v3
	v_add_f32_e32 v2, v2, v3
	v_mul_f32_e32 v3, v31, v72
	s_waitcnt vmcnt(13)
	v_mul_f32_e32 v39, v32, v74
	v_fma_f32 v3, v30, v73, -v3
	s_waitcnt vmcnt(12)
	v_fmac_f32_e32 v39, v33, v75
	v_add_f32_e32 v2, v2, v3
	v_mul_f32_e32 v3, v33, v74
	v_add_f32_e32 v42, v38, v39
	ds_read2_b64 v[38:41], v1 offset0:125 offset1:126
	s_waitcnt vmcnt(11) lgkmcnt(1)
	v_mul_f32_e32 v43, v34, v76
	v_fma_f32 v3, v32, v75, -v3
	s_waitcnt vmcnt(10)
	v_fmac_f32_e32 v43, v35, v77
	v_add_f32_e32 v2, v2, v3
	v_mul_f32_e32 v3, v35, v76
	v_add_f32_e32 v42, v42, v43
	s_waitcnt vmcnt(9)
	v_mul_f32_e32 v43, v36, v78
	v_fma_f32 v3, v34, v77, -v3
	s_waitcnt vmcnt(8)
	v_fmac_f32_e32 v43, v37, v79
	v_add_f32_e32 v2, v2, v3
	v_mul_f32_e32 v3, v37, v78
	v_add_f32_e32 v88, v42, v43
	ds_read_b64 v[42:43], v1 offset:1016
	v_fma_f32 v3, v36, v79, -v3
	v_add_f32_e32 v2, v2, v3
	s_waitcnt vmcnt(7) lgkmcnt(1)
	v_mul_f32_e32 v3, v39, v80
	v_mul_f32_e32 v89, v38, v80
	s_waitcnt vmcnt(6)
	v_fma_f32 v3, v38, v81, -v3
	v_fmac_f32_e32 v89, v39, v81
	v_add_f32_e32 v2, v2, v3
	s_waitcnt vmcnt(5)
	v_mul_f32_e32 v3, v41, v82
	v_add_f32_e32 v88, v88, v89
	v_mul_f32_e32 v89, v40, v82
	s_waitcnt vmcnt(4)
	v_fma_f32 v3, v40, v83, -v3
	v_fmac_f32_e32 v89, v41, v83
	v_add_f32_e32 v2, v2, v3
	s_waitcnt vmcnt(3) lgkmcnt(0)
	v_mul_f32_e32 v3, v43, v84
	v_add_f32_e32 v88, v88, v89
	v_mul_f32_e32 v89, v42, v84
	s_waitcnt vmcnt(2)
	v_fma_f32 v3, v42, v85, -v3
	v_fmac_f32_e32 v89, v43, v85
	v_add_f32_e32 v2, v2, v3
	v_add_f32_e32 v88, v88, v89
	s_waitcnt vmcnt(1)
	v_sub_f32_e32 v2, v86, v2
	s_waitcnt vmcnt(0)
	v_sub_f32_e32 v3, v87, v88
	buffer_store_dword v2, off, s[0:3], 0 offset:336
	buffer_store_dword v3, off, s[0:3], 0 offset:340
	s_and_saveexec_b64 s[4:5], vcc
	s_cbranch_execz .LBB63_315
; %bb.314:
	buffer_load_dword v2, off, s[0:3], 0 offset:328
	buffer_load_dword v3, off, s[0:3], 0 offset:332
	s_waitcnt vmcnt(0)
	ds_write_b64 v249, v[2:3]
	buffer_store_dword v1, off, s[0:3], 0 offset:328
	buffer_store_dword v1, off, s[0:3], 0 offset:332
.LBB63_315:
	s_or_b64 exec, exec, s[4:5]
	s_waitcnt lgkmcnt(0)
	; wave barrier
	buffer_load_dword v46, off, s[0:3], 0 offset:340
	buffer_load_dword v47, off, s[0:3], 0 offset:348
	;; [unrolled: 1-line block ×46, first 2 shown]
	ds_read_b128 v[2:5], v1 offset:848
	ds_read_b128 v[6:9], v1 offset:864
	;; [unrolled: 1-line block ×8, first 2 shown]
	v_cmp_lt_u32_e32 vcc, 40, v0
	s_waitcnt vmcnt(45) lgkmcnt(7)
	v_mul_f32_e32 v34, v2, v46
	s_waitcnt vmcnt(44)
	v_mul_f32_e32 v35, v4, v47
	s_waitcnt vmcnt(43) lgkmcnt(6)
	v_mul_f32_e32 v36, v6, v48
	s_waitcnt vmcnt(42)
	v_mul_f32_e32 v37, v8, v49
	;; [unrolled: 4-line block ×6, first 2 shown]
	s_waitcnt vmcnt(33) lgkmcnt(1)
	v_mul_f32_e32 v92, v26, v58
	s_waitcnt vmcnt(32)
	v_fmac_f32_e32 v34, v3, v59
	v_mul_f32_e32 v3, v3, v46
	v_fma_f32 v2, v2, v59, -v3
	v_mul_f32_e32 v3, v5, v47
	v_add_f32_e32 v2, 0, v2
	s_waitcnt vmcnt(31)
	v_fma_f32 v3, v4, v60, -v3
	v_add_f32_e32 v2, v2, v3
	v_mul_f32_e32 v3, v7, v48
	s_waitcnt vmcnt(30)
	v_fma_f32 v3, v6, v61, -v3
	v_add_f32_e32 v2, v2, v3
	v_mul_f32_e32 v3, v9, v49
	;; [unrolled: 4-line block ×4, first 2 shown]
	v_fmac_f32_e32 v35, v5, v60
	v_add_f32_e32 v34, 0, v34
	s_waitcnt vmcnt(27)
	v_fma_f32 v3, v12, v64, -v3
	v_fmac_f32_e32 v36, v7, v61
	v_add_f32_e32 v34, v34, v35
	v_add_f32_e32 v2, v2, v3
	v_mul_f32_e32 v3, v15, v52
	v_fmac_f32_e32 v37, v9, v62
	v_add_f32_e32 v34, v34, v36
	s_waitcnt vmcnt(26)
	v_fma_f32 v3, v14, v65, -v3
	v_fmac_f32_e32 v38, v11, v63
	v_add_f32_e32 v34, v34, v37
	v_add_f32_e32 v2, v2, v3
	v_mul_f32_e32 v3, v17, v53
	;; [unrolled: 8-line block ×4, first 2 shown]
	s_waitcnt vmcnt(23)
	v_fmac_f32_e32 v43, v21, v68
	v_add_f32_e32 v34, v34, v42
	v_fma_f32 v3, v20, v68, -v3
	s_waitcnt vmcnt(22)
	v_fmac_f32_e32 v44, v23, v69
	v_add_f32_e32 v34, v34, v43
	v_add_f32_e32 v2, v2, v3
	v_mul_f32_e32 v3, v23, v56
	s_waitcnt vmcnt(21)
	v_fmac_f32_e32 v45, v25, v70
	v_add_f32_e32 v34, v34, v44
	v_fma_f32 v3, v22, v69, -v3
	s_waitcnt vmcnt(20)
	v_fmac_f32_e32 v92, v27, v71
	v_add_f32_e32 v34, v34, v45
	s_waitcnt vmcnt(19)
	v_mul_f32_e32 v35, v28, v72
	v_add_f32_e32 v2, v2, v3
	v_mul_f32_e32 v3, v25, v57
	v_add_f32_e32 v34, v34, v92
	s_waitcnt vmcnt(18)
	v_fmac_f32_e32 v35, v29, v73
	v_fma_f32 v3, v24, v70, -v3
	v_add_f32_e32 v34, v34, v35
	s_waitcnt vmcnt(17) lgkmcnt(0)
	v_mul_f32_e32 v35, v30, v74
	v_add_f32_e32 v2, v2, v3
	v_mul_f32_e32 v3, v27, v58
	s_waitcnt vmcnt(16)
	v_fmac_f32_e32 v35, v31, v75
	v_fma_f32 v3, v26, v71, -v3
	v_add_f32_e32 v38, v34, v35
	ds_read_b128 v[34:37], v1 offset:976
	v_add_f32_e32 v2, v2, v3
	v_mul_f32_e32 v3, v29, v72
	v_fma_f32 v3, v28, v73, -v3
	v_add_f32_e32 v2, v2, v3
	v_mul_f32_e32 v3, v31, v74
	s_waitcnt vmcnt(15)
	v_mul_f32_e32 v39, v32, v76
	v_fma_f32 v3, v30, v75, -v3
	s_waitcnt vmcnt(14)
	v_fmac_f32_e32 v39, v33, v77
	v_add_f32_e32 v2, v2, v3
	v_mul_f32_e32 v3, v33, v76
	v_add_f32_e32 v42, v38, v39
	ds_read_b128 v[38:41], v1 offset:992
	s_waitcnt vmcnt(13) lgkmcnt(1)
	v_mul_f32_e32 v43, v34, v78
	v_fma_f32 v3, v32, v77, -v3
	s_waitcnt vmcnt(12)
	v_fmac_f32_e32 v43, v35, v79
	v_add_f32_e32 v2, v2, v3
	v_mul_f32_e32 v3, v35, v78
	v_add_f32_e32 v42, v42, v43
	s_waitcnt vmcnt(11)
	v_mul_f32_e32 v43, v36, v80
	v_fma_f32 v3, v34, v79, -v3
	s_waitcnt vmcnt(10)
	v_fmac_f32_e32 v43, v37, v81
	v_add_f32_e32 v2, v2, v3
	v_mul_f32_e32 v3, v37, v80
	v_add_f32_e32 v92, v42, v43
	ds_read_b128 v[42:45], v1 offset:1008
	v_fma_f32 v3, v36, v81, -v3
	v_add_f32_e32 v2, v2, v3
	s_waitcnt vmcnt(9) lgkmcnt(1)
	v_mul_f32_e32 v3, v39, v82
	v_mul_f32_e32 v93, v38, v82
	s_waitcnt vmcnt(8)
	v_fma_f32 v3, v38, v83, -v3
	v_fmac_f32_e32 v93, v39, v83
	v_add_f32_e32 v2, v2, v3
	s_waitcnt vmcnt(7)
	v_mul_f32_e32 v3, v41, v84
	v_add_f32_e32 v1, v92, v93
	v_mul_f32_e32 v92, v40, v84
	s_waitcnt vmcnt(6)
	v_fma_f32 v3, v40, v85, -v3
	v_fmac_f32_e32 v92, v41, v85
	v_add_f32_e32 v2, v2, v3
	s_waitcnt vmcnt(5) lgkmcnt(0)
	v_mul_f32_e32 v3, v43, v86
	v_add_f32_e32 v1, v1, v92
	v_mul_f32_e32 v92, v42, v86
	s_waitcnt vmcnt(4)
	v_fma_f32 v3, v42, v87, -v3
	v_fmac_f32_e32 v92, v43, v87
	v_add_f32_e32 v2, v2, v3
	s_waitcnt vmcnt(3)
	v_mul_f32_e32 v3, v45, v88
	v_add_f32_e32 v1, v1, v92
	v_mul_f32_e32 v92, v44, v88
	s_waitcnt vmcnt(2)
	v_fma_f32 v3, v44, v89, -v3
	v_fmac_f32_e32 v92, v45, v89
	v_add_f32_e32 v2, v2, v3
	v_add_f32_e32 v1, v1, v92
	s_waitcnt vmcnt(1)
	v_sub_f32_e32 v2, v90, v2
	s_waitcnt vmcnt(0)
	v_sub_f32_e32 v1, v91, v1
	buffer_store_dword v2, off, s[0:3], 0 offset:328
	buffer_store_dword v1, off, s[0:3], 0 offset:332
	s_and_saveexec_b64 s[4:5], vcc
	s_cbranch_execz .LBB63_317
; %bb.316:
	buffer_load_dword v1, off, s[0:3], 0 offset:320
	buffer_load_dword v2, off, s[0:3], 0 offset:324
	v_mov_b32_e32 v3, 0
	buffer_store_dword v3, off, s[0:3], 0 offset:320
	buffer_store_dword v3, off, s[0:3], 0 offset:324
	s_waitcnt vmcnt(2)
	ds_write_b64 v249, v[1:2]
.LBB63_317:
	s_or_b64 exec, exec, s[4:5]
	s_waitcnt lgkmcnt(0)
	; wave barrier
	buffer_load_dword v48, off, s[0:3], 0 offset:332
	buffer_load_dword v49, off, s[0:3], 0 offset:340
	;; [unrolled: 1-line block ×48, first 2 shown]
	v_mov_b32_e32 v1, 0
	ds_read2_b64 v[2:5], v1 offset0:105 offset1:106
	ds_read2_b64 v[6:9], v1 offset0:107 offset1:108
	;; [unrolled: 1-line block ×7, first 2 shown]
	v_cmp_lt_u32_e32 vcc, 39, v0
	s_waitcnt vmcnt(47) lgkmcnt(6)
	v_mul_f32_e32 v30, v2, v48
	s_waitcnt vmcnt(46)
	v_mul_f32_e32 v31, v4, v49
	s_waitcnt vmcnt(45) lgkmcnt(5)
	v_mul_f32_e32 v32, v6, v50
	s_waitcnt vmcnt(44)
	v_mul_f32_e32 v33, v8, v51
	;; [unrolled: 4-line block ×6, first 2 shown]
	s_waitcnt vmcnt(35)
	v_fmac_f32_e32 v30, v3, v60
	v_mul_f32_e32 v3, v3, v48
	v_fma_f32 v2, v2, v60, -v3
	v_mul_f32_e32 v3, v5, v49
	v_add_f32_e32 v2, 0, v2
	s_waitcnt vmcnt(34)
	v_fma_f32 v3, v4, v61, -v3
	v_add_f32_e32 v2, v2, v3
	v_mul_f32_e32 v3, v7, v50
	s_waitcnt vmcnt(33)
	v_fma_f32 v3, v6, v62, -v3
	v_fmac_f32_e32 v31, v5, v61
	v_add_f32_e32 v30, 0, v30
	v_add_f32_e32 v2, v2, v3
	v_mul_f32_e32 v3, v9, v51
	v_fmac_f32_e32 v32, v7, v62
	v_add_f32_e32 v30, v30, v31
	s_waitcnt vmcnt(32)
	v_fma_f32 v3, v8, v63, -v3
	v_fmac_f32_e32 v33, v9, v63
	v_add_f32_e32 v30, v30, v32
	v_add_f32_e32 v2, v2, v3
	v_mul_f32_e32 v3, v11, v52
	s_waitcnt vmcnt(31)
	v_fmac_f32_e32 v34, v11, v64
	v_add_f32_e32 v30, v30, v33
	v_fma_f32 v3, v10, v64, -v3
	s_waitcnt vmcnt(30)
	v_fmac_f32_e32 v35, v13, v65
	v_add_f32_e32 v30, v30, v34
	v_add_f32_e32 v2, v2, v3
	v_mul_f32_e32 v3, v13, v53
	s_waitcnt vmcnt(29)
	v_fmac_f32_e32 v36, v15, v66
	v_add_f32_e32 v30, v30, v35
	v_fma_f32 v3, v12, v65, -v3
	s_waitcnt vmcnt(28)
	;; [unrolled: 9-line block ×4, first 2 shown]
	v_fmac_f32_e32 v41, v25, v71
	v_add_f32_e32 v30, v30, v40
	v_add_f32_e32 v2, v2, v3
	v_mul_f32_e32 v3, v19, v56
	v_add_f32_e32 v34, v30, v41
	ds_read2_b64 v[30:33], v1 offset0:119 offset1:120
	v_fma_f32 v3, v18, v68, -v3
	s_waitcnt vmcnt(23) lgkmcnt(1)
	v_mul_f32_e32 v35, v26, v72
	v_add_f32_e32 v2, v2, v3
	v_mul_f32_e32 v3, v21, v57
	s_waitcnt vmcnt(22)
	v_fmac_f32_e32 v35, v27, v73
	v_fma_f32 v3, v20, v69, -v3
	v_add_f32_e32 v34, v34, v35
	s_waitcnt vmcnt(21)
	v_mul_f32_e32 v35, v28, v74
	v_add_f32_e32 v2, v2, v3
	v_mul_f32_e32 v3, v23, v58
	s_waitcnt vmcnt(20)
	v_fmac_f32_e32 v35, v29, v75
	v_fma_f32 v3, v22, v70, -v3
	v_add_f32_e32 v34, v34, v35
	s_waitcnt vmcnt(19) lgkmcnt(0)
	v_mul_f32_e32 v35, v30, v76
	v_add_f32_e32 v2, v2, v3
	v_mul_f32_e32 v3, v25, v59
	s_waitcnt vmcnt(18)
	v_fmac_f32_e32 v35, v31, v77
	v_fma_f32 v3, v24, v71, -v3
	v_add_f32_e32 v38, v34, v35
	ds_read2_b64 v[34:37], v1 offset0:121 offset1:122
	v_add_f32_e32 v2, v2, v3
	v_mul_f32_e32 v3, v27, v72
	v_fma_f32 v3, v26, v73, -v3
	s_waitcnt vmcnt(17)
	v_mul_f32_e32 v39, v32, v78
	v_add_f32_e32 v2, v2, v3
	v_mul_f32_e32 v3, v29, v74
	s_waitcnt vmcnt(16)
	v_fmac_f32_e32 v39, v33, v79
	v_fma_f32 v3, v28, v75, -v3
	v_add_f32_e32 v42, v38, v39
	ds_read2_b64 v[38:41], v1 offset0:123 offset1:124
	v_add_f32_e32 v2, v2, v3
	v_mul_f32_e32 v3, v31, v76
	s_waitcnt vmcnt(15) lgkmcnt(1)
	v_mul_f32_e32 v43, v34, v80
	v_fma_f32 v3, v30, v77, -v3
	s_waitcnt vmcnt(14)
	v_fmac_f32_e32 v43, v35, v81
	v_add_f32_e32 v2, v2, v3
	v_mul_f32_e32 v3, v33, v78
	v_add_f32_e32 v42, v42, v43
	s_waitcnt vmcnt(13)
	v_mul_f32_e32 v43, v36, v82
	v_fma_f32 v3, v32, v79, -v3
	s_waitcnt vmcnt(12)
	v_fmac_f32_e32 v43, v37, v83
	v_add_f32_e32 v2, v2, v3
	v_mul_f32_e32 v3, v35, v80
	v_add_f32_e32 v42, v42, v43
	s_waitcnt vmcnt(11) lgkmcnt(0)
	v_mul_f32_e32 v43, v38, v84
	v_fma_f32 v3, v34, v81, -v3
	s_waitcnt vmcnt(10)
	v_fmac_f32_e32 v43, v39, v85
	v_add_f32_e32 v2, v2, v3
	v_mul_f32_e32 v3, v37, v82
	v_add_f32_e32 v46, v42, v43
	ds_read2_b64 v[42:45], v1 offset0:125 offset1:126
	v_fma_f32 v3, v36, v83, -v3
	v_add_f32_e32 v2, v2, v3
	v_mul_f32_e32 v3, v39, v84
	s_waitcnt vmcnt(9)
	v_mul_f32_e32 v47, v40, v86
	v_fma_f32 v3, v38, v85, -v3
	s_waitcnt vmcnt(8)
	v_fmac_f32_e32 v47, v41, v87
	v_add_f32_e32 v2, v2, v3
	v_mul_f32_e32 v3, v41, v86
	v_add_f32_e32 v96, v46, v47
	ds_read_b64 v[46:47], v1 offset:1016
	v_fma_f32 v3, v40, v87, -v3
	v_add_f32_e32 v2, v2, v3
	s_waitcnt vmcnt(6) lgkmcnt(1)
	v_mul_f32_e32 v3, v43, v89
	v_mul_f32_e32 v97, v42, v89
	v_fma_f32 v3, v42, v88, -v3
	v_fmac_f32_e32 v97, v43, v88
	v_add_f32_e32 v2, v2, v3
	s_waitcnt vmcnt(3)
	v_mul_f32_e32 v3, v45, v92
	v_add_f32_e32 v96, v96, v97
	v_mul_f32_e32 v97, v44, v92
	s_waitcnt vmcnt(2)
	v_fma_f32 v3, v44, v93, -v3
	v_fmac_f32_e32 v97, v45, v93
	v_add_f32_e32 v2, v2, v3
	s_waitcnt vmcnt(0) lgkmcnt(0)
	v_mul_f32_e32 v3, v47, v95
	v_add_f32_e32 v96, v96, v97
	v_mul_f32_e32 v97, v46, v95
	v_fma_f32 v3, v46, v94, -v3
	v_fmac_f32_e32 v97, v47, v94
	v_add_f32_e32 v2, v2, v3
	v_add_f32_e32 v96, v96, v97
	v_sub_f32_e32 v2, v90, v2
	v_sub_f32_e32 v3, v91, v96
	buffer_store_dword v2, off, s[0:3], 0 offset:320
	buffer_store_dword v3, off, s[0:3], 0 offset:324
	s_and_saveexec_b64 s[4:5], vcc
	s_cbranch_execz .LBB63_319
; %bb.318:
	buffer_load_dword v2, off, s[0:3], 0 offset:312
	buffer_load_dword v3, off, s[0:3], 0 offset:316
	s_waitcnt vmcnt(0)
	ds_write_b64 v249, v[2:3]
	buffer_store_dword v1, off, s[0:3], 0 offset:312
	buffer_store_dword v1, off, s[0:3], 0 offset:316
.LBB63_319:
	s_or_b64 exec, exec, s[4:5]
	s_waitcnt lgkmcnt(0)
	; wave barrier
	buffer_load_dword v50, off, s[0:3], 0 offset:324
	buffer_load_dword v51, off, s[0:3], 0 offset:332
	;; [unrolled: 1-line block ×48, first 2 shown]
	ds_read_b128 v[2:5], v1 offset:832
	ds_read_b128 v[6:9], v1 offset:848
	buffer_load_dword v98, off, s[0:3], 0 offset:504
	buffer_load_dword v99, off, s[0:3], 0 offset:508
	ds_read_b128 v[10:13], v1 offset:864
	ds_read_b128 v[14:17], v1 offset:880
	ds_read_b128 v[18:21], v1 offset:896
	ds_read_b128 v[22:25], v1 offset:912
	ds_read_b128 v[26:29], v1 offset:928
	v_cmp_lt_u32_e32 vcc, 38, v0
	s_waitcnt vmcnt(49) lgkmcnt(6)
	v_mul_f32_e32 v30, v2, v50
	s_waitcnt vmcnt(48)
	v_mul_f32_e32 v31, v4, v51
	s_waitcnt vmcnt(47) lgkmcnt(5)
	v_mul_f32_e32 v32, v6, v52
	s_waitcnt vmcnt(46)
	v_mul_f32_e32 v33, v8, v53
	;; [unrolled: 4-line block ×6, first 2 shown]
	s_waitcnt vmcnt(37)
	v_fmac_f32_e32 v30, v3, v62
	v_mul_f32_e32 v3, v3, v50
	v_fma_f32 v2, v2, v62, -v3
	v_mul_f32_e32 v3, v5, v51
	v_add_f32_e32 v2, 0, v2
	s_waitcnt vmcnt(36)
	v_fma_f32 v3, v4, v63, -v3
	v_add_f32_e32 v2, v2, v3
	v_mul_f32_e32 v3, v7, v52
	s_waitcnt vmcnt(35)
	v_fma_f32 v3, v6, v64, -v3
	v_fmac_f32_e32 v31, v5, v63
	v_add_f32_e32 v30, 0, v30
	v_add_f32_e32 v2, v2, v3
	v_mul_f32_e32 v3, v9, v53
	v_fmac_f32_e32 v32, v7, v64
	v_add_f32_e32 v30, v30, v31
	s_waitcnt vmcnt(34)
	v_fma_f32 v3, v8, v65, -v3
	v_fmac_f32_e32 v33, v9, v65
	v_add_f32_e32 v30, v30, v32
	v_add_f32_e32 v2, v2, v3
	v_mul_f32_e32 v3, v11, v54
	s_waitcnt vmcnt(33)
	v_fmac_f32_e32 v34, v11, v66
	v_add_f32_e32 v30, v30, v33
	v_fma_f32 v3, v10, v66, -v3
	s_waitcnt vmcnt(32)
	v_fmac_f32_e32 v35, v13, v67
	v_add_f32_e32 v30, v30, v34
	v_add_f32_e32 v2, v2, v3
	v_mul_f32_e32 v3, v13, v55
	s_waitcnt vmcnt(31)
	v_fmac_f32_e32 v36, v15, v68
	v_add_f32_e32 v30, v30, v35
	v_fma_f32 v3, v12, v67, -v3
	s_waitcnt vmcnt(30)
	;; [unrolled: 9-line block ×3, first 2 shown]
	v_fmac_f32_e32 v39, v21, v71
	v_add_f32_e32 v30, v30, v38
	v_add_f32_e32 v2, v2, v3
	v_mul_f32_e32 v3, v17, v57
	s_waitcnt vmcnt(27)
	v_fmac_f32_e32 v40, v23, v72
	v_add_f32_e32 v30, v30, v39
	v_fma_f32 v3, v16, v69, -v3
	v_add_f32_e32 v30, v30, v40
	s_waitcnt vmcnt(26)
	v_fmac_f32_e32 v41, v25, v73
	v_add_f32_e32 v2, v2, v3
	v_mul_f32_e32 v3, v19, v58
	v_add_f32_e32 v34, v30, v41
	ds_read_b128 v[30:33], v1 offset:944
	v_fma_f32 v3, v18, v70, -v3
	s_waitcnt vmcnt(25) lgkmcnt(1)
	v_mul_f32_e32 v35, v26, v74
	v_add_f32_e32 v2, v2, v3
	v_mul_f32_e32 v3, v21, v59
	s_waitcnt vmcnt(24)
	v_fmac_f32_e32 v35, v27, v75
	v_fma_f32 v3, v20, v71, -v3
	v_add_f32_e32 v34, v34, v35
	s_waitcnt vmcnt(23)
	v_mul_f32_e32 v35, v28, v76
	v_add_f32_e32 v2, v2, v3
	v_mul_f32_e32 v3, v23, v60
	s_waitcnt vmcnt(22)
	v_fmac_f32_e32 v35, v29, v77
	v_fma_f32 v3, v22, v72, -v3
	v_add_f32_e32 v34, v34, v35
	s_waitcnt vmcnt(21) lgkmcnt(0)
	v_mul_f32_e32 v35, v30, v78
	v_add_f32_e32 v2, v2, v3
	v_mul_f32_e32 v3, v25, v61
	s_waitcnt vmcnt(20)
	v_fmac_f32_e32 v35, v31, v79
	v_fma_f32 v3, v24, v73, -v3
	v_add_f32_e32 v38, v34, v35
	ds_read_b128 v[34:37], v1 offset:960
	v_add_f32_e32 v2, v2, v3
	v_mul_f32_e32 v3, v27, v74
	v_fma_f32 v3, v26, v75, -v3
	s_waitcnt vmcnt(19)
	v_mul_f32_e32 v39, v32, v80
	v_add_f32_e32 v2, v2, v3
	v_mul_f32_e32 v3, v29, v76
	s_waitcnt vmcnt(18)
	v_fmac_f32_e32 v39, v33, v81
	v_fma_f32 v3, v28, v77, -v3
	v_add_f32_e32 v42, v38, v39
	ds_read_b128 v[38:41], v1 offset:976
	v_add_f32_e32 v2, v2, v3
	v_mul_f32_e32 v3, v31, v78
	s_waitcnt vmcnt(17) lgkmcnt(1)
	v_mul_f32_e32 v43, v34, v82
	v_fma_f32 v3, v30, v79, -v3
	s_waitcnt vmcnt(16)
	v_fmac_f32_e32 v43, v35, v83
	v_add_f32_e32 v2, v2, v3
	v_mul_f32_e32 v3, v33, v80
	v_add_f32_e32 v42, v42, v43
	s_waitcnt vmcnt(15)
	v_mul_f32_e32 v43, v36, v84
	v_fma_f32 v3, v32, v81, -v3
	s_waitcnt vmcnt(14)
	v_fmac_f32_e32 v43, v37, v85
	v_add_f32_e32 v2, v2, v3
	v_mul_f32_e32 v3, v35, v82
	v_add_f32_e32 v42, v42, v43
	s_waitcnt vmcnt(13) lgkmcnt(0)
	v_mul_f32_e32 v43, v38, v86
	v_fma_f32 v3, v34, v83, -v3
	s_waitcnt vmcnt(12)
	v_fmac_f32_e32 v43, v39, v87
	v_add_f32_e32 v2, v2, v3
	v_mul_f32_e32 v3, v37, v84
	v_add_f32_e32 v46, v42, v43
	ds_read_b128 v[42:45], v1 offset:992
	v_fma_f32 v3, v36, v85, -v3
	v_add_f32_e32 v2, v2, v3
	v_mul_f32_e32 v3, v39, v86
	s_waitcnt vmcnt(11)
	v_mul_f32_e32 v47, v40, v88
	v_fma_f32 v3, v38, v87, -v3
	s_waitcnt vmcnt(10)
	v_fmac_f32_e32 v47, v41, v89
	v_add_f32_e32 v2, v2, v3
	v_mul_f32_e32 v3, v41, v88
	v_add_f32_e32 v100, v46, v47
	ds_read_b128 v[46:49], v1 offset:1008
	v_fma_f32 v3, v40, v89, -v3
	v_add_f32_e32 v2, v2, v3
	s_waitcnt vmcnt(7) lgkmcnt(1)
	v_mul_f32_e32 v3, v43, v92
	v_mul_f32_e32 v1, v42, v92
	s_waitcnt vmcnt(6)
	v_fma_f32 v3, v42, v93, -v3
	v_fmac_f32_e32 v1, v43, v93
	v_add_f32_e32 v2, v2, v3
	s_waitcnt vmcnt(4)
	v_mul_f32_e32 v3, v45, v95
	v_add_f32_e32 v1, v100, v1
	v_mul_f32_e32 v100, v44, v95
	v_fma_f32 v3, v44, v94, -v3
	v_fmac_f32_e32 v100, v45, v94
	v_add_f32_e32 v2, v2, v3
	s_waitcnt vmcnt(2) lgkmcnt(0)
	v_mul_f32_e32 v3, v47, v97
	v_add_f32_e32 v1, v1, v100
	v_mul_f32_e32 v100, v46, v97
	v_fma_f32 v3, v46, v96, -v3
	v_fmac_f32_e32 v100, v47, v96
	v_add_f32_e32 v2, v2, v3
	s_waitcnt vmcnt(0)
	v_mul_f32_e32 v3, v49, v99
	v_add_f32_e32 v1, v1, v100
	v_mul_f32_e32 v100, v48, v99
	v_fma_f32 v3, v48, v98, -v3
	v_fmac_f32_e32 v100, v49, v98
	v_add_f32_e32 v2, v2, v3
	v_add_f32_e32 v1, v1, v100
	v_sub_f32_e32 v2, v90, v2
	v_sub_f32_e32 v1, v91, v1
	buffer_store_dword v2, off, s[0:3], 0 offset:312
	buffer_store_dword v1, off, s[0:3], 0 offset:316
	s_and_saveexec_b64 s[4:5], vcc
	s_cbranch_execz .LBB63_321
; %bb.320:
	buffer_load_dword v1, off, s[0:3], 0 offset:304
	buffer_load_dword v2, off, s[0:3], 0 offset:308
	v_mov_b32_e32 v3, 0
	buffer_store_dword v3, off, s[0:3], 0 offset:304
	buffer_store_dword v3, off, s[0:3], 0 offset:308
	s_waitcnt vmcnt(2)
	ds_write_b64 v249, v[1:2]
.LBB63_321:
	s_or_b64 exec, exec, s[4:5]
	s_waitcnt lgkmcnt(0)
	; wave barrier
	buffer_load_dword v52, off, s[0:3], 0 offset:316
	buffer_load_dword v53, off, s[0:3], 0 offset:324
	;; [unrolled: 1-line block ×52, first 2 shown]
	v_mov_b32_e32 v1, 0
	ds_read2_b64 v[2:5], v1 offset0:103 offset1:104
	ds_read2_b64 v[6:9], v1 offset0:105 offset1:106
	;; [unrolled: 1-line block ×6, first 2 shown]
	v_cmp_lt_u32_e32 vcc, 37, v0
	s_waitcnt vmcnt(51) lgkmcnt(5)
	v_mul_f32_e32 v26, v2, v52
	s_waitcnt vmcnt(50)
	v_mul_f32_e32 v27, v4, v53
	s_waitcnt vmcnt(49) lgkmcnt(4)
	v_mul_f32_e32 v28, v6, v54
	s_waitcnt vmcnt(48)
	v_mul_f32_e32 v29, v8, v55
	;; [unrolled: 4-line block ×5, first 2 shown]
	s_waitcnt vmcnt(41) lgkmcnt(0)
	v_mul_f32_e32 v36, v22, v62
	s_waitcnt vmcnt(40)
	v_fmac_f32_e32 v26, v3, v63
	v_mul_f32_e32 v3, v3, v52
	s_waitcnt vmcnt(39)
	v_fmac_f32_e32 v27, v5, v64
	v_add_f32_e32 v26, 0, v26
	v_fma_f32 v2, v2, v63, -v3
	v_mul_f32_e32 v3, v5, v53
	s_waitcnt vmcnt(38)
	v_fmac_f32_e32 v28, v7, v65
	v_add_f32_e32 v26, v26, v27
	v_add_f32_e32 v2, 0, v2
	v_fma_f32 v3, v4, v64, -v3
	s_waitcnt vmcnt(37)
	v_fmac_f32_e32 v29, v9, v66
	v_add_f32_e32 v26, v26, v28
	v_add_f32_e32 v2, v2, v3
	v_mul_f32_e32 v3, v7, v54
	s_waitcnt vmcnt(36)
	v_fmac_f32_e32 v30, v11, v67
	v_add_f32_e32 v26, v26, v29
	v_fma_f32 v3, v6, v65, -v3
	s_waitcnt vmcnt(35)
	v_fmac_f32_e32 v31, v13, v68
	v_add_f32_e32 v26, v26, v30
	v_add_f32_e32 v2, v2, v3
	v_mul_f32_e32 v3, v9, v55
	s_waitcnt vmcnt(34)
	v_fmac_f32_e32 v32, v15, v69
	;; [unrolled: 9-line block ×3, first 2 shown]
	v_add_f32_e32 v26, v26, v33
	v_fma_f32 v3, v10, v67, -v3
	s_waitcnt vmcnt(31)
	v_fmac_f32_e32 v35, v21, v72
	v_add_f32_e32 v26, v26, v34
	v_add_f32_e32 v2, v2, v3
	v_mul_f32_e32 v3, v13, v57
	v_add_f32_e32 v26, v26, v35
	s_waitcnt vmcnt(30)
	v_fmac_f32_e32 v36, v23, v73
	v_fma_f32 v3, v12, v68, -v3
	v_add_f32_e32 v30, v26, v36
	ds_read2_b64 v[26:29], v1 offset0:115 offset1:116
	v_add_f32_e32 v2, v2, v3
	v_mul_f32_e32 v3, v15, v58
	v_fma_f32 v3, v14, v69, -v3
	s_waitcnt vmcnt(29)
	v_mul_f32_e32 v31, v24, v74
	v_add_f32_e32 v2, v2, v3
	v_mul_f32_e32 v3, v17, v59
	s_waitcnt vmcnt(28)
	v_fmac_f32_e32 v31, v25, v75
	v_fma_f32 v3, v16, v70, -v3
	v_add_f32_e32 v34, v30, v31
	ds_read2_b64 v[30:33], v1 offset0:117 offset1:118
	v_add_f32_e32 v2, v2, v3
	v_mul_f32_e32 v3, v19, v60
	s_waitcnt vmcnt(27) lgkmcnt(1)
	v_mul_f32_e32 v35, v26, v76
	v_fma_f32 v3, v18, v71, -v3
	s_waitcnt vmcnt(26)
	v_fmac_f32_e32 v35, v27, v77
	v_add_f32_e32 v2, v2, v3
	v_mul_f32_e32 v3, v21, v61
	v_add_f32_e32 v34, v34, v35
	s_waitcnt vmcnt(25)
	v_mul_f32_e32 v35, v28, v78
	v_fma_f32 v3, v20, v72, -v3
	s_waitcnt vmcnt(24)
	v_fmac_f32_e32 v35, v29, v79
	v_add_f32_e32 v2, v2, v3
	v_mul_f32_e32 v3, v23, v62
	v_add_f32_e32 v34, v34, v35
	s_waitcnt vmcnt(23) lgkmcnt(0)
	v_mul_f32_e32 v35, v30, v80
	v_fma_f32 v3, v22, v73, -v3
	s_waitcnt vmcnt(22)
	v_fmac_f32_e32 v35, v31, v81
	v_add_f32_e32 v2, v2, v3
	v_mul_f32_e32 v3, v25, v74
	v_add_f32_e32 v38, v34, v35
	ds_read2_b64 v[34:37], v1 offset0:119 offset1:120
	v_fma_f32 v3, v24, v75, -v3
	v_add_f32_e32 v2, v2, v3
	v_mul_f32_e32 v3, v27, v76
	s_waitcnt vmcnt(21)
	v_mul_f32_e32 v39, v32, v82
	v_fma_f32 v3, v26, v77, -v3
	s_waitcnt vmcnt(20)
	v_fmac_f32_e32 v39, v33, v83
	v_add_f32_e32 v2, v2, v3
	v_mul_f32_e32 v3, v29, v78
	v_add_f32_e32 v42, v38, v39
	ds_read2_b64 v[38:41], v1 offset0:121 offset1:122
	v_fma_f32 v3, v28, v79, -v3
	s_waitcnt vmcnt(19) lgkmcnt(1)
	v_mul_f32_e32 v43, v34, v84
	v_add_f32_e32 v2, v2, v3
	v_mul_f32_e32 v3, v31, v80
	s_waitcnt vmcnt(18)
	v_fmac_f32_e32 v43, v35, v85
	v_fma_f32 v3, v30, v81, -v3
	v_add_f32_e32 v42, v42, v43
	s_waitcnt vmcnt(17)
	v_mul_f32_e32 v43, v36, v86
	v_add_f32_e32 v2, v2, v3
	v_mul_f32_e32 v3, v33, v82
	s_waitcnt vmcnt(16)
	v_fmac_f32_e32 v43, v37, v87
	v_fma_f32 v3, v32, v83, -v3
	v_add_f32_e32 v42, v42, v43
	s_waitcnt vmcnt(14) lgkmcnt(0)
	v_mul_f32_e32 v43, v38, v89
	v_add_f32_e32 v2, v2, v3
	v_mul_f32_e32 v3, v35, v84
	v_fmac_f32_e32 v43, v39, v88
	v_fma_f32 v3, v34, v85, -v3
	v_add_f32_e32 v46, v42, v43
	ds_read2_b64 v[42:45], v1 offset0:123 offset1:124
	v_add_f32_e32 v2, v2, v3
	v_mul_f32_e32 v3, v37, v86
	v_fma_f32 v3, v36, v87, -v3
	v_add_f32_e32 v2, v2, v3
	v_mul_f32_e32 v3, v39, v89
	s_waitcnt vmcnt(11)
	v_mul_f32_e32 v47, v40, v92
	v_fma_f32 v3, v38, v88, -v3
	s_waitcnt vmcnt(10)
	v_fmac_f32_e32 v47, v41, v93
	v_add_f32_e32 v2, v2, v3
	v_mul_f32_e32 v3, v41, v92
	v_add_f32_e32 v50, v46, v47
	ds_read2_b64 v[46:49], v1 offset0:125 offset1:126
	s_waitcnt vmcnt(8) lgkmcnt(1)
	v_mul_f32_e32 v51, v42, v95
	v_fma_f32 v3, v40, v93, -v3
	v_fmac_f32_e32 v51, v43, v94
	v_add_f32_e32 v2, v2, v3
	v_mul_f32_e32 v3, v43, v95
	v_add_f32_e32 v50, v50, v51
	s_waitcnt vmcnt(6)
	v_mul_f32_e32 v51, v44, v97
	v_fma_f32 v3, v42, v94, -v3
	v_fmac_f32_e32 v51, v45, v96
	v_add_f32_e32 v2, v2, v3
	v_mul_f32_e32 v3, v45, v97
	v_add_f32_e32 v104, v50, v51
	ds_read_b64 v[50:51], v1 offset:1016
	v_fma_f32 v3, v44, v96, -v3
	v_add_f32_e32 v2, v2, v3
	s_waitcnt vmcnt(4) lgkmcnt(1)
	v_mul_f32_e32 v3, v47, v99
	v_mul_f32_e32 v105, v46, v99
	v_fma_f32 v3, v46, v98, -v3
	v_fmac_f32_e32 v105, v47, v98
	v_add_f32_e32 v2, v2, v3
	s_waitcnt vmcnt(2)
	v_mul_f32_e32 v3, v49, v101
	v_add_f32_e32 v104, v104, v105
	v_mul_f32_e32 v105, v48, v101
	v_fma_f32 v3, v48, v100, -v3
	v_fmac_f32_e32 v105, v49, v100
	v_add_f32_e32 v2, v2, v3
	s_waitcnt vmcnt(0) lgkmcnt(0)
	v_mul_f32_e32 v3, v51, v103
	v_add_f32_e32 v104, v104, v105
	v_mul_f32_e32 v105, v50, v103
	v_fma_f32 v3, v50, v102, -v3
	v_fmac_f32_e32 v105, v51, v102
	v_add_f32_e32 v2, v2, v3
	v_add_f32_e32 v104, v104, v105
	v_sub_f32_e32 v2, v90, v2
	v_sub_f32_e32 v3, v91, v104
	buffer_store_dword v2, off, s[0:3], 0 offset:304
	buffer_store_dword v3, off, s[0:3], 0 offset:308
	s_and_saveexec_b64 s[4:5], vcc
	s_cbranch_execz .LBB63_323
; %bb.322:
	buffer_load_dword v2, off, s[0:3], 0 offset:296
	buffer_load_dword v3, off, s[0:3], 0 offset:300
	s_waitcnt vmcnt(0)
	ds_write_b64 v249, v[2:3]
	buffer_store_dword v1, off, s[0:3], 0 offset:296
	buffer_store_dword v1, off, s[0:3], 0 offset:300
.LBB63_323:
	s_or_b64 exec, exec, s[4:5]
	s_waitcnt lgkmcnt(0)
	; wave barrier
	buffer_load_dword v54, off, s[0:3], 0 offset:308
	buffer_load_dword v55, off, s[0:3], 0 offset:316
	;; [unrolled: 1-line block ×42, first 2 shown]
	ds_read_b128 v[2:5], v1 offset:816
	ds_read_b128 v[6:9], v1 offset:832
	;; [unrolled: 1-line block ×4, first 2 shown]
	buffer_load_dword v96, off, s[0:3], 0 offset:468
	buffer_load_dword v97, off, s[0:3], 0 offset:464
	;; [unrolled: 1-line block ×6, first 2 shown]
	ds_read_b128 v[18:21], v1 offset:880
	ds_read_b128 v[22:25], v1 offset:896
	buffer_load_dword v102, off, s[0:3], 0 offset:488
	buffer_load_dword v103, off, s[0:3], 0 offset:492
	;; [unrolled: 1-line block ×6, first 2 shown]
	v_cmp_lt_u32_e32 vcc, 36, v0
	s_waitcnt vmcnt(53) lgkmcnt(5)
	v_mul_f32_e32 v26, v2, v54
	s_waitcnt vmcnt(52)
	v_mul_f32_e32 v27, v4, v55
	s_waitcnt vmcnt(51) lgkmcnt(4)
	v_mul_f32_e32 v28, v6, v56
	s_waitcnt vmcnt(50)
	v_mul_f32_e32 v29, v8, v57
	;; [unrolled: 4-line block ×5, first 2 shown]
	s_waitcnt vmcnt(43)
	v_fmac_f32_e32 v26, v3, v64
	v_mul_f32_e32 v3, v3, v54
	s_waitcnt vmcnt(42)
	v_fmac_f32_e32 v27, v5, v65
	v_add_f32_e32 v26, 0, v26
	v_fma_f32 v2, v2, v64, -v3
	v_mul_f32_e32 v3, v5, v55
	s_waitcnt vmcnt(41)
	v_fmac_f32_e32 v28, v7, v66
	v_add_f32_e32 v26, v26, v27
	v_add_f32_e32 v2, 0, v2
	v_fma_f32 v3, v4, v65, -v3
	s_waitcnt vmcnt(40)
	v_fmac_f32_e32 v29, v9, v67
	v_add_f32_e32 v26, v26, v28
	v_add_f32_e32 v2, v2, v3
	v_mul_f32_e32 v3, v7, v56
	s_waitcnt vmcnt(39)
	v_fmac_f32_e32 v30, v11, v68
	v_add_f32_e32 v26, v26, v29
	v_fma_f32 v3, v6, v66, -v3
	s_waitcnt vmcnt(38)
	v_fmac_f32_e32 v31, v13, v69
	v_add_f32_e32 v26, v26, v30
	v_add_f32_e32 v2, v2, v3
	v_mul_f32_e32 v3, v9, v57
	s_waitcnt vmcnt(37)
	v_fmac_f32_e32 v32, v15, v70
	;; [unrolled: 9-line block ×3, first 2 shown]
	v_add_f32_e32 v26, v26, v33
	v_fma_f32 v3, v10, v68, -v3
	s_waitcnt vmcnt(34)
	v_fmac_f32_e32 v35, v21, v73
	v_add_f32_e32 v26, v26, v34
	s_waitcnt vmcnt(33) lgkmcnt(0)
	v_mul_f32_e32 v27, v22, v74
	v_add_f32_e32 v2, v2, v3
	v_mul_f32_e32 v3, v13, v59
	v_add_f32_e32 v26, v26, v35
	s_waitcnt vmcnt(32)
	v_fmac_f32_e32 v27, v23, v75
	v_fma_f32 v3, v12, v69, -v3
	v_add_f32_e32 v30, v26, v27
	ds_read_b128 v[26:29], v1 offset:912
	v_add_f32_e32 v2, v2, v3
	v_mul_f32_e32 v3, v15, v60
	v_fma_f32 v3, v14, v70, -v3
	s_waitcnt vmcnt(31)
	v_mul_f32_e32 v31, v24, v76
	v_add_f32_e32 v2, v2, v3
	v_mul_f32_e32 v3, v17, v61
	s_waitcnt vmcnt(30)
	v_fmac_f32_e32 v31, v25, v77
	v_fma_f32 v3, v16, v71, -v3
	v_add_f32_e32 v34, v30, v31
	ds_read_b128 v[30:33], v1 offset:928
	v_add_f32_e32 v2, v2, v3
	v_mul_f32_e32 v3, v19, v62
	s_waitcnt vmcnt(29) lgkmcnt(1)
	v_mul_f32_e32 v35, v26, v78
	v_fma_f32 v3, v18, v72, -v3
	s_waitcnt vmcnt(28)
	v_fmac_f32_e32 v35, v27, v79
	v_add_f32_e32 v2, v2, v3
	v_mul_f32_e32 v3, v21, v63
	v_add_f32_e32 v34, v34, v35
	s_waitcnt vmcnt(27)
	v_mul_f32_e32 v35, v28, v80
	v_fma_f32 v3, v20, v73, -v3
	s_waitcnt vmcnt(26)
	v_fmac_f32_e32 v35, v29, v81
	v_add_f32_e32 v2, v2, v3
	v_mul_f32_e32 v3, v23, v74
	v_add_f32_e32 v34, v34, v35
	s_waitcnt vmcnt(25) lgkmcnt(0)
	v_mul_f32_e32 v35, v30, v82
	v_fma_f32 v3, v22, v75, -v3
	s_waitcnt vmcnt(24)
	v_fmac_f32_e32 v35, v31, v83
	v_add_f32_e32 v2, v2, v3
	v_mul_f32_e32 v3, v25, v76
	v_add_f32_e32 v38, v34, v35
	ds_read_b128 v[34:37], v1 offset:944
	v_fma_f32 v3, v24, v77, -v3
	v_add_f32_e32 v2, v2, v3
	v_mul_f32_e32 v3, v27, v78
	s_waitcnt vmcnt(23)
	v_mul_f32_e32 v39, v32, v84
	v_fma_f32 v3, v26, v79, -v3
	s_waitcnt vmcnt(22)
	v_fmac_f32_e32 v39, v33, v85
	v_add_f32_e32 v2, v2, v3
	v_mul_f32_e32 v3, v29, v80
	v_add_f32_e32 v42, v38, v39
	ds_read_b128 v[38:41], v1 offset:960
	v_fma_f32 v3, v28, v81, -v3
	s_waitcnt vmcnt(21) lgkmcnt(1)
	v_mul_f32_e32 v43, v34, v86
	v_add_f32_e32 v2, v2, v3
	v_mul_f32_e32 v3, v31, v82
	s_waitcnt vmcnt(20)
	v_fmac_f32_e32 v43, v35, v87
	v_fma_f32 v3, v30, v83, -v3
	v_add_f32_e32 v42, v42, v43
	s_waitcnt vmcnt(18)
	v_mul_f32_e32 v43, v36, v89
	v_add_f32_e32 v2, v2, v3
	v_mul_f32_e32 v3, v33, v84
	v_fmac_f32_e32 v43, v37, v88
	v_fma_f32 v3, v32, v85, -v3
	v_add_f32_e32 v42, v42, v43
	s_waitcnt vmcnt(15) lgkmcnt(0)
	v_mul_f32_e32 v43, v38, v92
	v_add_f32_e32 v2, v2, v3
	v_mul_f32_e32 v3, v35, v86
	s_waitcnt vmcnt(14)
	v_fmac_f32_e32 v43, v39, v93
	v_fma_f32 v3, v34, v87, -v3
	v_add_f32_e32 v46, v42, v43
	ds_read_b128 v[42:45], v1 offset:976
	v_add_f32_e32 v2, v2, v3
	v_mul_f32_e32 v3, v37, v89
	v_fma_f32 v3, v36, v88, -v3
	v_add_f32_e32 v2, v2, v3
	v_mul_f32_e32 v3, v39, v92
	s_waitcnt vmcnt(12)
	v_mul_f32_e32 v47, v40, v95
	v_fma_f32 v3, v38, v93, -v3
	v_fmac_f32_e32 v47, v41, v94
	v_add_f32_e32 v2, v2, v3
	v_mul_f32_e32 v3, v41, v95
	v_add_f32_e32 v50, v46, v47
	ds_read_b128 v[46:49], v1 offset:992
	s_waitcnt vmcnt(11) lgkmcnt(1)
	v_mul_f32_e32 v51, v42, v96
	v_fma_f32 v3, v40, v94, -v3
	s_waitcnt vmcnt(10)
	v_fmac_f32_e32 v51, v43, v97
	v_add_f32_e32 v2, v2, v3
	v_mul_f32_e32 v3, v43, v96
	v_add_f32_e32 v50, v50, v51
	s_waitcnt vmcnt(8)
	v_mul_f32_e32 v51, v44, v99
	v_fma_f32 v3, v42, v97, -v3
	v_fmac_f32_e32 v51, v45, v98
	v_add_f32_e32 v2, v2, v3
	v_mul_f32_e32 v3, v45, v99
	v_add_f32_e32 v108, v50, v51
	ds_read_b128 v[50:53], v1 offset:1008
	v_fma_f32 v3, v44, v98, -v3
	v_add_f32_e32 v2, v2, v3
	s_waitcnt vmcnt(6) lgkmcnt(1)
	v_mul_f32_e32 v3, v47, v101
	v_mul_f32_e32 v109, v46, v101
	v_fma_f32 v3, v46, v100, -v3
	v_fmac_f32_e32 v109, v47, v100
	v_add_f32_e32 v2, v2, v3
	s_waitcnt vmcnt(4)
	v_mul_f32_e32 v3, v49, v103
	v_add_f32_e32 v1, v108, v109
	v_mul_f32_e32 v108, v48, v103
	v_fma_f32 v3, v48, v102, -v3
	v_fmac_f32_e32 v108, v49, v102
	v_add_f32_e32 v2, v2, v3
	s_waitcnt vmcnt(2) lgkmcnt(0)
	v_mul_f32_e32 v3, v51, v105
	v_add_f32_e32 v1, v1, v108
	v_mul_f32_e32 v108, v50, v105
	v_fma_f32 v3, v50, v104, -v3
	v_fmac_f32_e32 v108, v51, v104
	v_add_f32_e32 v2, v2, v3
	s_waitcnt vmcnt(0)
	v_mul_f32_e32 v3, v53, v107
	v_add_f32_e32 v1, v1, v108
	v_mul_f32_e32 v108, v52, v107
	v_fma_f32 v3, v52, v106, -v3
	v_fmac_f32_e32 v108, v53, v106
	v_add_f32_e32 v2, v2, v3
	v_add_f32_e32 v1, v1, v108
	v_sub_f32_e32 v2, v90, v2
	v_sub_f32_e32 v1, v91, v1
	buffer_store_dword v2, off, s[0:3], 0 offset:296
	buffer_store_dword v1, off, s[0:3], 0 offset:300
	s_and_saveexec_b64 s[4:5], vcc
	s_cbranch_execz .LBB63_325
; %bb.324:
	buffer_load_dword v1, off, s[0:3], 0 offset:288
	buffer_load_dword v2, off, s[0:3], 0 offset:292
	v_mov_b32_e32 v3, 0
	buffer_store_dword v3, off, s[0:3], 0 offset:288
	buffer_store_dword v3, off, s[0:3], 0 offset:292
	s_waitcnt vmcnt(2)
	ds_write_b64 v249, v[1:2]
.LBB63_325:
	s_or_b64 exec, exec, s[4:5]
	s_waitcnt lgkmcnt(0)
	; wave barrier
	buffer_load_dword v56, off, s[0:3], 0 offset:300
	buffer_load_dword v57, off, s[0:3], 0 offset:308
	;; [unrolled: 1-line block ×56, first 2 shown]
	v_mov_b32_e32 v1, 0
	ds_read2_b64 v[2:5], v1 offset0:101 offset1:102
	ds_read2_b64 v[6:9], v1 offset0:103 offset1:104
	;; [unrolled: 1-line block ×6, first 2 shown]
	v_cmp_lt_u32_e32 vcc, 35, v0
	s_waitcnt vmcnt(55) lgkmcnt(5)
	v_mul_f32_e32 v26, v2, v56
	s_waitcnt vmcnt(54)
	v_mul_f32_e32 v27, v4, v57
	s_waitcnt vmcnt(53) lgkmcnt(4)
	v_mul_f32_e32 v28, v6, v58
	s_waitcnt vmcnt(52)
	v_mul_f32_e32 v29, v8, v59
	;; [unrolled: 4-line block ×4, first 2 shown]
	s_waitcnt vmcnt(47) lgkmcnt(1)
	v_mul_f32_e32 v34, v18, v64
	s_waitcnt vmcnt(46)
	v_fmac_f32_e32 v26, v3, v65
	s_waitcnt vmcnt(45)
	v_fmac_f32_e32 v27, v5, v66
	v_add_f32_e32 v26, 0, v26
	s_waitcnt vmcnt(44)
	v_fmac_f32_e32 v28, v7, v67
	v_add_f32_e32 v26, v26, v27
	;; [unrolled: 3-line block ×3, first 2 shown]
	v_mul_f32_e32 v3, v3, v56
	s_waitcnt vmcnt(42)
	v_fmac_f32_e32 v30, v11, v69
	v_add_f32_e32 v26, v26, v29
	v_fma_f32 v2, v2, v65, -v3
	v_mul_f32_e32 v3, v5, v57
	s_waitcnt vmcnt(41)
	v_fmac_f32_e32 v31, v13, v70
	v_add_f32_e32 v26, v26, v30
	v_add_f32_e32 v2, 0, v2
	v_fma_f32 v3, v4, v66, -v3
	s_waitcnt vmcnt(40)
	v_fmac_f32_e32 v32, v15, v71
	v_add_f32_e32 v26, v26, v31
	v_add_f32_e32 v2, v2, v3
	v_mul_f32_e32 v3, v7, v58
	s_waitcnt vmcnt(39)
	v_fmac_f32_e32 v33, v17, v72
	v_add_f32_e32 v26, v26, v32
	v_fma_f32 v3, v6, v67, -v3
	v_add_f32_e32 v26, v26, v33
	s_waitcnt vmcnt(38)
	v_fmac_f32_e32 v34, v19, v73
	s_waitcnt vmcnt(37)
	v_mul_f32_e32 v27, v20, v74
	v_add_f32_e32 v2, v2, v3
	v_mul_f32_e32 v3, v9, v59
	v_add_f32_e32 v26, v26, v34
	s_waitcnt vmcnt(36)
	v_fmac_f32_e32 v27, v21, v75
	v_fma_f32 v3, v8, v68, -v3
	v_add_f32_e32 v26, v26, v27
	s_waitcnt vmcnt(35) lgkmcnt(0)
	v_mul_f32_e32 v27, v22, v76
	v_add_f32_e32 v2, v2, v3
	v_mul_f32_e32 v3, v11, v60
	s_waitcnt vmcnt(34)
	v_fmac_f32_e32 v27, v23, v77
	v_fma_f32 v3, v10, v69, -v3
	v_add_f32_e32 v30, v26, v27
	ds_read2_b64 v[26:29], v1 offset0:113 offset1:114
	v_add_f32_e32 v2, v2, v3
	v_mul_f32_e32 v3, v13, v61
	v_fma_f32 v3, v12, v70, -v3
	s_waitcnt vmcnt(33)
	v_mul_f32_e32 v31, v24, v78
	v_add_f32_e32 v2, v2, v3
	v_mul_f32_e32 v3, v15, v62
	s_waitcnt vmcnt(32)
	v_fmac_f32_e32 v31, v25, v79
	v_fma_f32 v3, v14, v71, -v3
	v_add_f32_e32 v34, v30, v31
	ds_read2_b64 v[30:33], v1 offset0:115 offset1:116
	v_add_f32_e32 v2, v2, v3
	v_mul_f32_e32 v3, v17, v63
	s_waitcnt vmcnt(31) lgkmcnt(1)
	v_mul_f32_e32 v35, v26, v80
	v_fma_f32 v3, v16, v72, -v3
	s_waitcnt vmcnt(30)
	v_fmac_f32_e32 v35, v27, v81
	v_add_f32_e32 v2, v2, v3
	v_mul_f32_e32 v3, v19, v64
	v_add_f32_e32 v34, v34, v35
	s_waitcnt vmcnt(29)
	v_mul_f32_e32 v35, v28, v82
	v_fma_f32 v3, v18, v73, -v3
	s_waitcnt vmcnt(28)
	v_fmac_f32_e32 v35, v29, v83
	v_add_f32_e32 v2, v2, v3
	v_mul_f32_e32 v3, v21, v74
	v_add_f32_e32 v34, v34, v35
	s_waitcnt vmcnt(27) lgkmcnt(0)
	v_mul_f32_e32 v35, v30, v84
	v_fma_f32 v3, v20, v75, -v3
	s_waitcnt vmcnt(26)
	v_fmac_f32_e32 v35, v31, v85
	v_add_f32_e32 v2, v2, v3
	v_mul_f32_e32 v3, v23, v76
	v_add_f32_e32 v38, v34, v35
	ds_read2_b64 v[34:37], v1 offset0:117 offset1:118
	v_fma_f32 v3, v22, v77, -v3
	v_add_f32_e32 v2, v2, v3
	v_mul_f32_e32 v3, v25, v78
	s_waitcnt vmcnt(24)
	v_mul_f32_e32 v39, v32, v87
	v_fma_f32 v3, v24, v79, -v3
	v_fmac_f32_e32 v39, v33, v86
	v_add_f32_e32 v2, v2, v3
	v_mul_f32_e32 v3, v27, v80
	v_add_f32_e32 v42, v38, v39
	ds_read2_b64 v[38:41], v1 offset0:119 offset1:120
	v_fma_f32 v3, v26, v81, -v3
	s_waitcnt vmcnt(21) lgkmcnt(1)
	v_mul_f32_e32 v43, v34, v90
	v_add_f32_e32 v2, v2, v3
	v_mul_f32_e32 v3, v29, v82
	s_waitcnt vmcnt(20)
	v_fmac_f32_e32 v43, v35, v91
	v_fma_f32 v3, v28, v83, -v3
	v_add_f32_e32 v42, v42, v43
	s_waitcnt vmcnt(18)
	v_mul_f32_e32 v43, v36, v93
	v_add_f32_e32 v2, v2, v3
	v_mul_f32_e32 v3, v31, v84
	v_fmac_f32_e32 v43, v37, v92
	v_fma_f32 v3, v30, v85, -v3
	v_add_f32_e32 v42, v42, v43
	s_waitcnt vmcnt(16) lgkmcnt(0)
	v_mul_f32_e32 v43, v38, v95
	v_add_f32_e32 v2, v2, v3
	v_mul_f32_e32 v3, v33, v87
	v_fmac_f32_e32 v43, v39, v94
	v_fma_f32 v3, v32, v86, -v3
	v_add_f32_e32 v46, v42, v43
	ds_read2_b64 v[42:45], v1 offset0:121 offset1:122
	v_add_f32_e32 v2, v2, v3
	v_mul_f32_e32 v3, v35, v90
	v_fma_f32 v3, v34, v91, -v3
	s_waitcnt vmcnt(14)
	v_mul_f32_e32 v47, v40, v97
	v_add_f32_e32 v2, v2, v3
	v_mul_f32_e32 v3, v37, v93
	v_fmac_f32_e32 v47, v41, v96
	v_fma_f32 v3, v36, v92, -v3
	v_add_f32_e32 v50, v46, v47
	ds_read2_b64 v[46:49], v1 offset0:123 offset1:124
	v_add_f32_e32 v2, v2, v3
	v_mul_f32_e32 v3, v39, v95
	s_waitcnt vmcnt(12) lgkmcnt(1)
	v_mul_f32_e32 v51, v42, v99
	v_fma_f32 v3, v38, v94, -v3
	v_fmac_f32_e32 v51, v43, v98
	v_add_f32_e32 v2, v2, v3
	v_mul_f32_e32 v3, v41, v97
	v_add_f32_e32 v50, v50, v51
	s_waitcnt vmcnt(10)
	v_mul_f32_e32 v51, v44, v101
	v_fma_f32 v3, v40, v96, -v3
	v_fmac_f32_e32 v51, v45, v100
	v_add_f32_e32 v2, v2, v3
	v_mul_f32_e32 v3, v43, v99
	v_add_f32_e32 v50, v50, v51
	s_waitcnt vmcnt(8) lgkmcnt(0)
	v_mul_f32_e32 v51, v46, v103
	v_fma_f32 v3, v42, v98, -v3
	v_fmac_f32_e32 v51, v47, v102
	v_add_f32_e32 v2, v2, v3
	v_mul_f32_e32 v3, v45, v101
	v_add_f32_e32 v54, v50, v51
	ds_read2_b64 v[50:53], v1 offset0:125 offset1:126
	v_fma_f32 v3, v44, v100, -v3
	v_add_f32_e32 v2, v2, v3
	v_mul_f32_e32 v3, v47, v103
	s_waitcnt vmcnt(6)
	v_mul_f32_e32 v55, v48, v105
	v_fma_f32 v3, v46, v102, -v3
	v_fmac_f32_e32 v55, v49, v104
	v_add_f32_e32 v2, v2, v3
	v_mul_f32_e32 v3, v49, v105
	v_add_f32_e32 v112, v54, v55
	ds_read_b64 v[54:55], v1 offset:1016
	v_fma_f32 v3, v48, v104, -v3
	v_add_f32_e32 v2, v2, v3
	s_waitcnt vmcnt(4) lgkmcnt(1)
	v_mul_f32_e32 v3, v51, v107
	v_mul_f32_e32 v113, v50, v107
	v_fma_f32 v3, v50, v106, -v3
	v_fmac_f32_e32 v113, v51, v106
	v_add_f32_e32 v2, v2, v3
	s_waitcnt vmcnt(2)
	v_mul_f32_e32 v3, v53, v109
	v_add_f32_e32 v112, v112, v113
	v_mul_f32_e32 v113, v52, v109
	v_fma_f32 v3, v52, v108, -v3
	v_fmac_f32_e32 v113, v53, v108
	v_add_f32_e32 v2, v2, v3
	s_waitcnt vmcnt(0) lgkmcnt(0)
	v_mul_f32_e32 v3, v55, v111
	v_add_f32_e32 v112, v112, v113
	v_mul_f32_e32 v113, v54, v111
	v_fma_f32 v3, v54, v110, -v3
	v_fmac_f32_e32 v113, v55, v110
	v_add_f32_e32 v2, v2, v3
	v_add_f32_e32 v112, v112, v113
	v_sub_f32_e32 v2, v88, v2
	v_sub_f32_e32 v3, v89, v112
	buffer_store_dword v2, off, s[0:3], 0 offset:288
	buffer_store_dword v3, off, s[0:3], 0 offset:292
	s_and_saveexec_b64 s[4:5], vcc
	s_cbranch_execz .LBB63_327
; %bb.326:
	buffer_load_dword v2, off, s[0:3], 0 offset:280
	buffer_load_dword v3, off, s[0:3], 0 offset:284
	s_waitcnt vmcnt(0)
	ds_write_b64 v249, v[2:3]
	buffer_store_dword v1, off, s[0:3], 0 offset:280
	buffer_store_dword v1, off, s[0:3], 0 offset:284
.LBB63_327:
	s_or_b64 exec, exec, s[4:5]
	s_waitcnt lgkmcnt(0)
	; wave barrier
	buffer_load_dword v58, off, s[0:3], 0 offset:292
	buffer_load_dword v59, off, s[0:3], 0 offset:300
	;; [unrolled: 1-line block ×34, first 2 shown]
	ds_read_b128 v[2:5], v1 offset:800
	ds_read_b128 v[6:9], v1 offset:816
	buffer_load_dword v92, off, s[0:3], 0 offset:420
	buffer_load_dword v93, off, s[0:3], 0 offset:416
	;; [unrolled: 1-line block ×6, first 2 shown]
	ds_read_b128 v[10:13], v1 offset:832
	ds_read_b128 v[14:17], v1 offset:848
	;; [unrolled: 1-line block ×4, first 2 shown]
	buffer_load_dword v98, off, s[0:3], 0 offset:444
	buffer_load_dword v99, off, s[0:3], 0 offset:440
	;; [unrolled: 1-line block ×18, first 2 shown]
	v_cmp_lt_u32_e32 vcc, 34, v0
	s_waitcnt vmcnt(57) lgkmcnt(5)
	v_mul_f32_e32 v26, v2, v58
	s_waitcnt vmcnt(56)
	v_mul_f32_e32 v27, v4, v59
	s_waitcnt vmcnt(55) lgkmcnt(4)
	v_mul_f32_e32 v28, v6, v60
	s_waitcnt vmcnt(54)
	v_mul_f32_e32 v29, v8, v61
	s_waitcnt vmcnt(53) lgkmcnt(3)
	v_mul_f32_e32 v30, v10, v62
	s_waitcnt vmcnt(52)
	v_mul_f32_e32 v31, v12, v63
	s_waitcnt vmcnt(51) lgkmcnt(2)
	v_mul_f32_e32 v32, v14, v64
	s_waitcnt vmcnt(50)
	v_mul_f32_e32 v33, v16, v65
	s_waitcnt vmcnt(49)
	v_fmac_f32_e32 v26, v3, v66
	s_waitcnt vmcnt(48)
	v_fmac_f32_e32 v27, v5, v67
	v_add_f32_e32 v26, 0, v26
	s_waitcnt vmcnt(47)
	v_fmac_f32_e32 v28, v7, v68
	v_add_f32_e32 v26, v26, v27
	;; [unrolled: 3-line block ×4, first 2 shown]
	v_mul_f32_e32 v3, v3, v58
	s_waitcnt vmcnt(44)
	v_fmac_f32_e32 v31, v13, v71
	v_add_f32_e32 v26, v26, v30
	v_fma_f32 v2, v2, v66, -v3
	v_mul_f32_e32 v3, v5, v59
	s_waitcnt vmcnt(43)
	v_fmac_f32_e32 v32, v15, v72
	v_add_f32_e32 v26, v26, v31
	v_add_f32_e32 v2, 0, v2
	v_fma_f32 v3, v4, v67, -v3
	s_waitcnt vmcnt(42)
	v_fmac_f32_e32 v33, v17, v73
	v_add_f32_e32 v26, v26, v32
	s_waitcnt vmcnt(41) lgkmcnt(1)
	v_mul_f32_e32 v27, v18, v74
	v_add_f32_e32 v2, v2, v3
	v_mul_f32_e32 v3, v7, v60
	v_add_f32_e32 v26, v26, v33
	s_waitcnt vmcnt(40)
	v_fmac_f32_e32 v27, v19, v75
	v_fma_f32 v3, v6, v68, -v3
	v_add_f32_e32 v26, v26, v27
	s_waitcnt vmcnt(39)
	v_mul_f32_e32 v27, v20, v76
	v_add_f32_e32 v2, v2, v3
	v_mul_f32_e32 v3, v9, v61
	s_waitcnt vmcnt(38)
	v_fmac_f32_e32 v27, v21, v77
	v_fma_f32 v3, v8, v69, -v3
	v_add_f32_e32 v26, v26, v27
	s_waitcnt vmcnt(37) lgkmcnt(0)
	v_mul_f32_e32 v27, v22, v78
	v_add_f32_e32 v2, v2, v3
	v_mul_f32_e32 v3, v11, v62
	s_waitcnt vmcnt(36)
	v_fmac_f32_e32 v27, v23, v79
	v_fma_f32 v3, v10, v70, -v3
	v_add_f32_e32 v30, v26, v27
	ds_read_b128 v[26:29], v1 offset:896
	v_add_f32_e32 v2, v2, v3
	v_mul_f32_e32 v3, v13, v63
	v_fma_f32 v3, v12, v71, -v3
	s_waitcnt vmcnt(35)
	v_mul_f32_e32 v31, v24, v80
	v_add_f32_e32 v2, v2, v3
	v_mul_f32_e32 v3, v15, v64
	s_waitcnt vmcnt(34)
	v_fmac_f32_e32 v31, v25, v81
	v_fma_f32 v3, v14, v72, -v3
	v_add_f32_e32 v34, v30, v31
	ds_read_b128 v[30:33], v1 offset:912
	v_add_f32_e32 v2, v2, v3
	v_mul_f32_e32 v3, v17, v65
	s_waitcnt vmcnt(33) lgkmcnt(1)
	v_mul_f32_e32 v35, v26, v82
	v_fma_f32 v3, v16, v73, -v3
	s_waitcnt vmcnt(32)
	v_fmac_f32_e32 v35, v27, v83
	v_add_f32_e32 v2, v2, v3
	v_mul_f32_e32 v3, v19, v74
	v_add_f32_e32 v34, v34, v35
	s_waitcnt vmcnt(31)
	v_mul_f32_e32 v35, v28, v84
	v_fma_f32 v3, v18, v75, -v3
	s_waitcnt vmcnt(30)
	v_fmac_f32_e32 v35, v29, v85
	v_add_f32_e32 v2, v2, v3
	v_mul_f32_e32 v3, v21, v76
	v_add_f32_e32 v34, v34, v35
	s_waitcnt vmcnt(29) lgkmcnt(0)
	v_mul_f32_e32 v35, v30, v86
	v_fma_f32 v3, v20, v77, -v3
	s_waitcnt vmcnt(28)
	v_fmac_f32_e32 v35, v31, v87
	v_add_f32_e32 v2, v2, v3
	v_mul_f32_e32 v3, v23, v78
	v_add_f32_e32 v38, v34, v35
	ds_read_b128 v[34:37], v1 offset:928
	v_fma_f32 v3, v22, v79, -v3
	v_add_f32_e32 v2, v2, v3
	v_mul_f32_e32 v3, v25, v80
	s_waitcnt vmcnt(25)
	v_mul_f32_e32 v39, v32, v90
	v_fma_f32 v3, v24, v81, -v3
	s_waitcnt vmcnt(24)
	v_fmac_f32_e32 v39, v33, v91
	v_add_f32_e32 v2, v2, v3
	v_mul_f32_e32 v3, v27, v82
	v_add_f32_e32 v42, v38, v39
	ds_read_b128 v[38:41], v1 offset:944
	v_fma_f32 v3, v26, v83, -v3
	s_waitcnt vmcnt(23) lgkmcnt(1)
	v_mul_f32_e32 v43, v34, v92
	v_add_f32_e32 v2, v2, v3
	v_mul_f32_e32 v3, v29, v84
	s_waitcnt vmcnt(22)
	v_fmac_f32_e32 v43, v35, v93
	v_fma_f32 v3, v28, v85, -v3
	v_add_f32_e32 v42, v42, v43
	s_waitcnt vmcnt(20)
	v_mul_f32_e32 v43, v36, v95
	v_add_f32_e32 v2, v2, v3
	v_mul_f32_e32 v3, v31, v86
	v_fmac_f32_e32 v43, v37, v94
	v_fma_f32 v3, v30, v87, -v3
	v_add_f32_e32 v42, v42, v43
	s_waitcnt vmcnt(18) lgkmcnt(0)
	v_mul_f32_e32 v43, v38, v97
	v_add_f32_e32 v2, v2, v3
	v_mul_f32_e32 v3, v33, v90
	v_fmac_f32_e32 v43, v39, v96
	v_fma_f32 v3, v32, v91, -v3
	v_add_f32_e32 v46, v42, v43
	ds_read_b128 v[42:45], v1 offset:960
	v_add_f32_e32 v2, v2, v3
	v_mul_f32_e32 v3, v35, v92
	v_fma_f32 v3, v34, v93, -v3
	s_waitcnt vmcnt(17)
	v_mul_f32_e32 v47, v40, v98
	v_add_f32_e32 v2, v2, v3
	v_mul_f32_e32 v3, v37, v95
	s_waitcnt vmcnt(16)
	v_fmac_f32_e32 v47, v41, v99
	v_fma_f32 v3, v36, v94, -v3
	v_add_f32_e32 v50, v46, v47
	ds_read_b128 v[46:49], v1 offset:976
	v_add_f32_e32 v2, v2, v3
	v_mul_f32_e32 v3, v39, v97
	s_waitcnt vmcnt(14) lgkmcnt(1)
	v_mul_f32_e32 v51, v42, v101
	v_fma_f32 v3, v38, v96, -v3
	v_fmac_f32_e32 v51, v43, v100
	v_add_f32_e32 v2, v2, v3
	v_mul_f32_e32 v3, v41, v98
	v_add_f32_e32 v50, v50, v51
	s_waitcnt vmcnt(12)
	v_mul_f32_e32 v51, v44, v103
	v_fma_f32 v3, v40, v99, -v3
	v_fmac_f32_e32 v51, v45, v102
	v_add_f32_e32 v2, v2, v3
	v_mul_f32_e32 v3, v43, v101
	v_add_f32_e32 v50, v50, v51
	s_waitcnt vmcnt(10) lgkmcnt(0)
	v_mul_f32_e32 v51, v46, v105
	v_fma_f32 v3, v42, v100, -v3
	v_fmac_f32_e32 v51, v47, v104
	v_add_f32_e32 v2, v2, v3
	v_mul_f32_e32 v3, v45, v103
	v_add_f32_e32 v54, v50, v51
	ds_read_b128 v[50:53], v1 offset:992
	v_fma_f32 v3, v44, v102, -v3
	v_add_f32_e32 v2, v2, v3
	v_mul_f32_e32 v3, v47, v105
	s_waitcnt vmcnt(8)
	v_mul_f32_e32 v55, v48, v107
	v_fma_f32 v3, v46, v104, -v3
	v_fmac_f32_e32 v55, v49, v106
	v_add_f32_e32 v2, v2, v3
	v_mul_f32_e32 v3, v49, v107
	v_add_f32_e32 v116, v54, v55
	ds_read_b128 v[54:57], v1 offset:1008
	v_fma_f32 v3, v48, v106, -v3
	v_add_f32_e32 v2, v2, v3
	s_waitcnt vmcnt(6) lgkmcnt(1)
	v_mul_f32_e32 v3, v51, v109
	v_mul_f32_e32 v1, v50, v109
	v_fma_f32 v3, v50, v108, -v3
	v_fmac_f32_e32 v1, v51, v108
	v_add_f32_e32 v2, v2, v3
	s_waitcnt vmcnt(4)
	v_mul_f32_e32 v3, v53, v111
	v_add_f32_e32 v1, v116, v1
	v_mul_f32_e32 v116, v52, v111
	v_fma_f32 v3, v52, v110, -v3
	v_fmac_f32_e32 v116, v53, v110
	v_add_f32_e32 v2, v2, v3
	s_waitcnt vmcnt(2) lgkmcnt(0)
	v_mul_f32_e32 v3, v55, v113
	v_add_f32_e32 v1, v1, v116
	v_mul_f32_e32 v116, v54, v113
	v_fma_f32 v3, v54, v112, -v3
	v_fmac_f32_e32 v116, v55, v112
	v_add_f32_e32 v2, v2, v3
	s_waitcnt vmcnt(0)
	v_mul_f32_e32 v3, v57, v115
	v_add_f32_e32 v1, v1, v116
	v_mul_f32_e32 v116, v56, v115
	v_fma_f32 v3, v56, v114, -v3
	v_fmac_f32_e32 v116, v57, v114
	v_add_f32_e32 v2, v2, v3
	v_add_f32_e32 v1, v1, v116
	v_sub_f32_e32 v2, v88, v2
	v_sub_f32_e32 v1, v89, v1
	buffer_store_dword v2, off, s[0:3], 0 offset:280
	buffer_store_dword v1, off, s[0:3], 0 offset:284
	s_and_saveexec_b64 s[4:5], vcc
	s_cbranch_execz .LBB63_329
; %bb.328:
	buffer_load_dword v1, off, s[0:3], 0 offset:272
	buffer_load_dword v2, off, s[0:3], 0 offset:276
	v_mov_b32_e32 v3, 0
	buffer_store_dword v3, off, s[0:3], 0 offset:272
	buffer_store_dword v3, off, s[0:3], 0 offset:276
	s_waitcnt vmcnt(2)
	ds_write_b64 v249, v[1:2]
.LBB63_329:
	s_or_b64 exec, exec, s[4:5]
	s_waitcnt lgkmcnt(0)
	; wave barrier
	buffer_load_dword v60, off, s[0:3], 0 offset:284
	buffer_load_dword v61, off, s[0:3], 0 offset:292
	;; [unrolled: 1-line block ×60, first 2 shown]
	v_mov_b32_e32 v1, 0
	ds_read2_b64 v[2:5], v1 offset0:99 offset1:100
	ds_read2_b64 v[6:9], v1 offset0:101 offset1:102
	;; [unrolled: 1-line block ×5, first 2 shown]
	v_cmp_lt_u32_e32 vcc, 33, v0
	s_waitcnt vmcnt(59) lgkmcnt(4)
	v_mul_f32_e32 v22, v2, v60
	s_waitcnt vmcnt(58)
	v_mul_f32_e32 v23, v4, v61
	s_waitcnt vmcnt(57) lgkmcnt(3)
	v_mul_f32_e32 v24, v6, v62
	s_waitcnt vmcnt(56)
	v_mul_f32_e32 v25, v8, v63
	;; [unrolled: 4-line block ×3, first 2 shown]
	s_waitcnt vmcnt(53) lgkmcnt(1)
	v_mul_f32_e32 v28, v14, v66
	s_waitcnt vmcnt(52)
	v_fmac_f32_e32 v22, v3, v67
	s_waitcnt vmcnt(51)
	v_fmac_f32_e32 v23, v5, v68
	v_add_f32_e32 v22, 0, v22
	s_waitcnt vmcnt(50)
	v_fmac_f32_e32 v24, v7, v69
	v_add_f32_e32 v22, v22, v23
	;; [unrolled: 3-line block ×6, first 2 shown]
	s_waitcnt vmcnt(45)
	v_mul_f32_e32 v23, v16, v74
	v_add_f32_e32 v22, v22, v28
	s_waitcnt vmcnt(44)
	v_fmac_f32_e32 v23, v17, v75
	v_mul_f32_e32 v3, v3, v60
	v_add_f32_e32 v26, v22, v23
	ds_read2_b64 v[22:25], v1 offset0:109 offset1:110
	v_fma_f32 v2, v2, v67, -v3
	v_mul_f32_e32 v3, v5, v61
	s_waitcnt vmcnt(43) lgkmcnt(1)
	v_mul_f32_e32 v27, v18, v76
	v_add_f32_e32 v2, 0, v2
	v_fma_f32 v3, v4, v68, -v3
	s_waitcnt vmcnt(42)
	v_fmac_f32_e32 v27, v19, v77
	v_add_f32_e32 v2, v2, v3
	v_mul_f32_e32 v3, v7, v62
	v_add_f32_e32 v26, v26, v27
	s_waitcnt vmcnt(41)
	v_mul_f32_e32 v27, v20, v78
	v_fma_f32 v3, v6, v69, -v3
	s_waitcnt vmcnt(40)
	v_fmac_f32_e32 v27, v21, v79
	v_add_f32_e32 v2, v2, v3
	v_mul_f32_e32 v3, v9, v63
	v_add_f32_e32 v26, v26, v27
	s_waitcnt vmcnt(39) lgkmcnt(0)
	v_mul_f32_e32 v27, v22, v80
	v_fma_f32 v3, v8, v70, -v3
	s_waitcnt vmcnt(38)
	v_fmac_f32_e32 v27, v23, v81
	v_add_f32_e32 v2, v2, v3
	v_mul_f32_e32 v3, v11, v64
	v_add_f32_e32 v30, v26, v27
	ds_read2_b64 v[26:29], v1 offset0:111 offset1:112
	v_fma_f32 v3, v10, v71, -v3
	v_add_f32_e32 v2, v2, v3
	v_mul_f32_e32 v3, v13, v65
	s_waitcnt vmcnt(37)
	v_mul_f32_e32 v31, v24, v82
	v_fma_f32 v3, v12, v72, -v3
	s_waitcnt vmcnt(36)
	v_fmac_f32_e32 v31, v25, v83
	v_add_f32_e32 v2, v2, v3
	v_mul_f32_e32 v3, v15, v66
	v_add_f32_e32 v34, v30, v31
	ds_read2_b64 v[30:33], v1 offset0:113 offset1:114
	v_fma_f32 v3, v14, v73, -v3
	s_waitcnt vmcnt(34) lgkmcnt(1)
	v_mul_f32_e32 v35, v26, v85
	v_add_f32_e32 v2, v2, v3
	v_mul_f32_e32 v3, v17, v74
	v_fmac_f32_e32 v35, v27, v84
	v_fma_f32 v3, v16, v75, -v3
	v_add_f32_e32 v34, v34, v35
	s_waitcnt vmcnt(31)
	v_mul_f32_e32 v35, v28, v88
	v_add_f32_e32 v2, v2, v3
	v_mul_f32_e32 v3, v19, v76
	s_waitcnt vmcnt(30)
	v_fmac_f32_e32 v35, v29, v89
	v_fma_f32 v3, v18, v77, -v3
	v_add_f32_e32 v34, v34, v35
	s_waitcnt vmcnt(28) lgkmcnt(0)
	v_mul_f32_e32 v35, v30, v91
	v_add_f32_e32 v2, v2, v3
	v_mul_f32_e32 v3, v21, v78
	v_fmac_f32_e32 v35, v31, v90
	v_fma_f32 v3, v20, v79, -v3
	v_add_f32_e32 v38, v34, v35
	ds_read2_b64 v[34:37], v1 offset0:115 offset1:116
	v_add_f32_e32 v2, v2, v3
	v_mul_f32_e32 v3, v23, v80
	v_fma_f32 v3, v22, v81, -v3
	s_waitcnt vmcnt(26)
	v_mul_f32_e32 v39, v32, v93
	v_add_f32_e32 v2, v2, v3
	v_mul_f32_e32 v3, v25, v82
	v_fmac_f32_e32 v39, v33, v92
	v_fma_f32 v3, v24, v83, -v3
	v_add_f32_e32 v42, v38, v39
	ds_read2_b64 v[38:41], v1 offset0:117 offset1:118
	v_add_f32_e32 v2, v2, v3
	v_mul_f32_e32 v3, v27, v85
	s_waitcnt vmcnt(24) lgkmcnt(1)
	v_mul_f32_e32 v43, v34, v95
	v_fma_f32 v3, v26, v84, -v3
	v_fmac_f32_e32 v43, v35, v94
	v_add_f32_e32 v2, v2, v3
	v_mul_f32_e32 v3, v29, v88
	v_add_f32_e32 v42, v42, v43
	s_waitcnt vmcnt(22)
	v_mul_f32_e32 v43, v36, v97
	v_fma_f32 v3, v28, v89, -v3
	v_fmac_f32_e32 v43, v37, v96
	v_add_f32_e32 v2, v2, v3
	v_mul_f32_e32 v3, v31, v91
	v_add_f32_e32 v42, v42, v43
	s_waitcnt vmcnt(20) lgkmcnt(0)
	v_mul_f32_e32 v43, v38, v99
	v_fma_f32 v3, v30, v90, -v3
	v_fmac_f32_e32 v43, v39, v98
	v_add_f32_e32 v2, v2, v3
	v_mul_f32_e32 v3, v33, v93
	v_add_f32_e32 v46, v42, v43
	ds_read2_b64 v[42:45], v1 offset0:119 offset1:120
	v_fma_f32 v3, v32, v92, -v3
	v_add_f32_e32 v2, v2, v3
	v_mul_f32_e32 v3, v35, v95
	s_waitcnt vmcnt(18)
	v_mul_f32_e32 v47, v40, v101
	v_fma_f32 v3, v34, v94, -v3
	v_fmac_f32_e32 v47, v41, v100
	v_add_f32_e32 v2, v2, v3
	v_mul_f32_e32 v3, v37, v97
	v_add_f32_e32 v50, v46, v47
	ds_read2_b64 v[46:49], v1 offset0:121 offset1:122
	v_fma_f32 v3, v36, v96, -v3
	s_waitcnt vmcnt(16) lgkmcnt(1)
	v_mul_f32_e32 v51, v42, v103
	v_add_f32_e32 v2, v2, v3
	v_mul_f32_e32 v3, v39, v99
	v_fmac_f32_e32 v51, v43, v102
	v_fma_f32 v3, v38, v98, -v3
	v_add_f32_e32 v50, v50, v51
	s_waitcnt vmcnt(14)
	v_mul_f32_e32 v51, v44, v105
	v_add_f32_e32 v2, v2, v3
	v_mul_f32_e32 v3, v41, v101
	v_fmac_f32_e32 v51, v45, v104
	v_fma_f32 v3, v40, v100, -v3
	v_add_f32_e32 v50, v50, v51
	s_waitcnt vmcnt(12) lgkmcnt(0)
	v_mul_f32_e32 v51, v46, v107
	v_add_f32_e32 v2, v2, v3
	v_mul_f32_e32 v3, v43, v103
	v_fmac_f32_e32 v51, v47, v106
	v_fma_f32 v3, v42, v102, -v3
	v_add_f32_e32 v54, v50, v51
	ds_read2_b64 v[50:53], v1 offset0:123 offset1:124
	v_add_f32_e32 v2, v2, v3
	v_mul_f32_e32 v3, v45, v105
	v_fma_f32 v3, v44, v104, -v3
	v_add_f32_e32 v2, v2, v3
	v_mul_f32_e32 v3, v47, v107
	s_waitcnt vmcnt(10)
	v_mul_f32_e32 v55, v48, v109
	v_fma_f32 v3, v46, v106, -v3
	v_fmac_f32_e32 v55, v49, v108
	v_add_f32_e32 v2, v2, v3
	v_mul_f32_e32 v3, v49, v109
	v_add_f32_e32 v58, v54, v55
	ds_read2_b64 v[54:57], v1 offset0:125 offset1:126
	s_waitcnt vmcnt(8) lgkmcnt(1)
	v_mul_f32_e32 v59, v50, v111
	v_fma_f32 v3, v48, v108, -v3
	v_fmac_f32_e32 v59, v51, v110
	v_add_f32_e32 v2, v2, v3
	v_mul_f32_e32 v3, v51, v111
	v_add_f32_e32 v58, v58, v59
	s_waitcnt vmcnt(6)
	v_mul_f32_e32 v59, v52, v113
	v_fma_f32 v3, v50, v110, -v3
	v_fmac_f32_e32 v59, v53, v112
	v_add_f32_e32 v2, v2, v3
	v_mul_f32_e32 v3, v53, v113
	v_add_f32_e32 v120, v58, v59
	ds_read_b64 v[58:59], v1 offset:1016
	v_fma_f32 v3, v52, v112, -v3
	v_add_f32_e32 v2, v2, v3
	s_waitcnt vmcnt(4) lgkmcnt(1)
	v_mul_f32_e32 v3, v55, v115
	v_mul_f32_e32 v121, v54, v115
	v_fma_f32 v3, v54, v114, -v3
	v_fmac_f32_e32 v121, v55, v114
	v_add_f32_e32 v2, v2, v3
	s_waitcnt vmcnt(2)
	v_mul_f32_e32 v3, v57, v117
	v_add_f32_e32 v120, v120, v121
	v_mul_f32_e32 v121, v56, v117
	v_fma_f32 v3, v56, v116, -v3
	v_fmac_f32_e32 v121, v57, v116
	v_add_f32_e32 v2, v2, v3
	s_waitcnt vmcnt(0) lgkmcnt(0)
	v_mul_f32_e32 v3, v59, v119
	v_add_f32_e32 v120, v120, v121
	v_mul_f32_e32 v121, v58, v119
	v_fma_f32 v3, v58, v118, -v3
	v_fmac_f32_e32 v121, v59, v118
	v_add_f32_e32 v2, v2, v3
	v_add_f32_e32 v120, v120, v121
	v_sub_f32_e32 v2, v86, v2
	v_sub_f32_e32 v3, v87, v120
	buffer_store_dword v2, off, s[0:3], 0 offset:272
	buffer_store_dword v3, off, s[0:3], 0 offset:276
	s_and_saveexec_b64 s[4:5], vcc
	s_cbranch_execz .LBB63_331
; %bb.330:
	buffer_load_dword v2, off, s[0:3], 0 offset:264
	buffer_load_dword v3, off, s[0:3], 0 offset:268
	s_waitcnt vmcnt(0)
	ds_write_b64 v249, v[2:3]
	buffer_store_dword v1, off, s[0:3], 0 offset:264
	buffer_store_dword v1, off, s[0:3], 0 offset:268
.LBB63_331:
	s_or_b64 exec, exec, s[4:5]
	s_waitcnt lgkmcnt(0)
	; wave barrier
	buffer_load_dword v62, off, s[0:3], 0 offset:276
	buffer_load_dword v63, off, s[0:3], 0 offset:284
	;; [unrolled: 1-line block ×32, first 2 shown]
	ds_read_b128 v[2:5], v1 offset:784
	ds_read_b128 v[6:9], v1 offset:800
	;; [unrolled: 1-line block ×4, first 2 shown]
	buffer_load_dword v94, off, s[0:3], 0 offset:396
	buffer_load_dword v95, off, s[0:3], 0 offset:392
	;; [unrolled: 1-line block ×30, first 2 shown]
	v_cmp_lt_u32_e32 vcc, 32, v0
	s_waitcnt vmcnt(61) lgkmcnt(3)
	v_mul_f32_e32 v18, v2, v62
	s_waitcnt vmcnt(60)
	v_mul_f32_e32 v19, v4, v63
	s_waitcnt vmcnt(59) lgkmcnt(2)
	v_mul_f32_e32 v20, v6, v64
	s_waitcnt vmcnt(58)
	v_mul_f32_e32 v21, v8, v65
	;; [unrolled: 4-line block ×3, first 2 shown]
	s_waitcnt vmcnt(55) lgkmcnt(0)
	v_mul_f32_e32 v24, v14, v68
	s_waitcnt vmcnt(54)
	v_fmac_f32_e32 v18, v3, v69
	s_waitcnt vmcnt(53)
	v_fmac_f32_e32 v19, v5, v70
	v_add_f32_e32 v18, 0, v18
	s_waitcnt vmcnt(52)
	v_fmac_f32_e32 v20, v7, v71
	v_add_f32_e32 v18, v18, v19
	;; [unrolled: 3-line block ×6, first 2 shown]
	v_add_f32_e32 v22, v18, v24
	ds_read_b128 v[18:21], v1 offset:848
	s_waitcnt vmcnt(47)
	v_mul_f32_e32 v23, v16, v76
	s_waitcnt vmcnt(46)
	v_fmac_f32_e32 v23, v17, v77
	v_mul_f32_e32 v3, v3, v62
	v_add_f32_e32 v26, v22, v23
	ds_read_b128 v[22:25], v1 offset:864
	v_fma_f32 v2, v2, v69, -v3
	v_mul_f32_e32 v3, v5, v63
	s_waitcnt vmcnt(45) lgkmcnt(1)
	v_mul_f32_e32 v27, v18, v78
	v_add_f32_e32 v2, 0, v2
	v_fma_f32 v3, v4, v70, -v3
	s_waitcnt vmcnt(44)
	v_fmac_f32_e32 v27, v19, v79
	v_add_f32_e32 v2, v2, v3
	v_mul_f32_e32 v3, v7, v64
	v_add_f32_e32 v26, v26, v27
	s_waitcnt vmcnt(43)
	v_mul_f32_e32 v27, v20, v80
	v_fma_f32 v3, v6, v71, -v3
	s_waitcnt vmcnt(42)
	v_fmac_f32_e32 v27, v21, v81
	v_add_f32_e32 v2, v2, v3
	v_mul_f32_e32 v3, v9, v65
	v_add_f32_e32 v26, v26, v27
	s_waitcnt vmcnt(41) lgkmcnt(0)
	v_mul_f32_e32 v27, v22, v82
	v_fma_f32 v3, v8, v72, -v3
	s_waitcnt vmcnt(40)
	v_fmac_f32_e32 v27, v23, v83
	v_add_f32_e32 v2, v2, v3
	v_mul_f32_e32 v3, v11, v66
	v_add_f32_e32 v30, v26, v27
	ds_read_b128 v[26:29], v1 offset:880
	v_fma_f32 v3, v10, v73, -v3
	v_add_f32_e32 v2, v2, v3
	v_mul_f32_e32 v3, v13, v67
	s_waitcnt vmcnt(39)
	v_mul_f32_e32 v31, v24, v84
	v_fma_f32 v3, v12, v74, -v3
	s_waitcnt vmcnt(38)
	v_fmac_f32_e32 v31, v25, v85
	v_add_f32_e32 v2, v2, v3
	v_mul_f32_e32 v3, v15, v68
	v_add_f32_e32 v34, v30, v31
	ds_read_b128 v[30:33], v1 offset:896
	v_fma_f32 v3, v14, v75, -v3
	s_waitcnt vmcnt(35) lgkmcnt(1)
	v_mul_f32_e32 v35, v26, v88
	v_add_f32_e32 v2, v2, v3
	v_mul_f32_e32 v3, v17, v76
	s_waitcnt vmcnt(34)
	v_fmac_f32_e32 v35, v27, v89
	v_fma_f32 v3, v16, v77, -v3
	v_add_f32_e32 v34, v34, v35
	s_waitcnt vmcnt(32)
	v_mul_f32_e32 v35, v28, v91
	v_add_f32_e32 v2, v2, v3
	v_mul_f32_e32 v3, v19, v78
	v_fmac_f32_e32 v35, v29, v90
	v_fma_f32 v3, v18, v79, -v3
	v_add_f32_e32 v34, v34, v35
	s_waitcnt vmcnt(30) lgkmcnt(0)
	v_mul_f32_e32 v35, v30, v93
	v_add_f32_e32 v2, v2, v3
	v_mul_f32_e32 v3, v21, v80
	v_fmac_f32_e32 v35, v31, v92
	v_fma_f32 v3, v20, v81, -v3
	v_add_f32_e32 v38, v34, v35
	ds_read_b128 v[34:37], v1 offset:912
	v_add_f32_e32 v2, v2, v3
	v_mul_f32_e32 v3, v23, v82
	v_fma_f32 v3, v22, v83, -v3
	s_waitcnt vmcnt(29)
	v_mul_f32_e32 v39, v32, v94
	v_add_f32_e32 v2, v2, v3
	v_mul_f32_e32 v3, v25, v84
	s_waitcnt vmcnt(28)
	v_fmac_f32_e32 v39, v33, v95
	v_fma_f32 v3, v24, v85, -v3
	v_add_f32_e32 v42, v38, v39
	ds_read_b128 v[38:41], v1 offset:928
	v_add_f32_e32 v2, v2, v3
	v_mul_f32_e32 v3, v27, v88
	s_waitcnt vmcnt(26) lgkmcnt(1)
	v_mul_f32_e32 v43, v34, v97
	v_fma_f32 v3, v26, v89, -v3
	v_fmac_f32_e32 v43, v35, v96
	v_add_f32_e32 v2, v2, v3
	v_mul_f32_e32 v3, v29, v91
	v_add_f32_e32 v42, v42, v43
	s_waitcnt vmcnt(24)
	v_mul_f32_e32 v43, v36, v99
	v_fma_f32 v3, v28, v90, -v3
	v_fmac_f32_e32 v43, v37, v98
	v_add_f32_e32 v2, v2, v3
	v_mul_f32_e32 v3, v31, v93
	v_add_f32_e32 v42, v42, v43
	s_waitcnt vmcnt(22) lgkmcnt(0)
	v_mul_f32_e32 v43, v38, v101
	v_fma_f32 v3, v30, v92, -v3
	v_fmac_f32_e32 v43, v39, v100
	v_add_f32_e32 v2, v2, v3
	v_mul_f32_e32 v3, v33, v94
	v_add_f32_e32 v46, v42, v43
	ds_read_b128 v[42:45], v1 offset:944
	v_fma_f32 v3, v32, v95, -v3
	v_add_f32_e32 v2, v2, v3
	v_mul_f32_e32 v3, v35, v97
	s_waitcnt vmcnt(20)
	v_mul_f32_e32 v47, v40, v103
	v_fma_f32 v3, v34, v96, -v3
	v_fmac_f32_e32 v47, v41, v102
	v_add_f32_e32 v2, v2, v3
	v_mul_f32_e32 v3, v37, v99
	v_add_f32_e32 v50, v46, v47
	ds_read_b128 v[46:49], v1 offset:960
	v_fma_f32 v3, v36, v98, -v3
	s_waitcnt vmcnt(18) lgkmcnt(1)
	v_mul_f32_e32 v51, v42, v105
	v_add_f32_e32 v2, v2, v3
	v_mul_f32_e32 v3, v39, v101
	v_fmac_f32_e32 v51, v43, v104
	v_fma_f32 v3, v38, v100, -v3
	v_add_f32_e32 v50, v50, v51
	s_waitcnt vmcnt(16)
	v_mul_f32_e32 v51, v44, v107
	v_add_f32_e32 v2, v2, v3
	v_mul_f32_e32 v3, v41, v103
	v_fmac_f32_e32 v51, v45, v106
	v_fma_f32 v3, v40, v102, -v3
	v_add_f32_e32 v50, v50, v51
	s_waitcnt vmcnt(14) lgkmcnt(0)
	v_mul_f32_e32 v51, v46, v109
	v_add_f32_e32 v2, v2, v3
	v_mul_f32_e32 v3, v43, v105
	v_fmac_f32_e32 v51, v47, v108
	v_fma_f32 v3, v42, v104, -v3
	v_add_f32_e32 v54, v50, v51
	ds_read_b128 v[50:53], v1 offset:976
	v_add_f32_e32 v2, v2, v3
	v_mul_f32_e32 v3, v45, v107
	v_fma_f32 v3, v44, v106, -v3
	v_add_f32_e32 v2, v2, v3
	v_mul_f32_e32 v3, v47, v109
	s_waitcnt vmcnt(12)
	v_mul_f32_e32 v55, v48, v111
	v_fma_f32 v3, v46, v108, -v3
	v_fmac_f32_e32 v55, v49, v110
	v_add_f32_e32 v2, v2, v3
	v_mul_f32_e32 v3, v49, v111
	v_add_f32_e32 v58, v54, v55
	ds_read_b128 v[54:57], v1 offset:992
	s_waitcnt vmcnt(10) lgkmcnt(1)
	v_mul_f32_e32 v59, v50, v113
	v_fma_f32 v3, v48, v110, -v3
	v_fmac_f32_e32 v59, v51, v112
	v_add_f32_e32 v2, v2, v3
	v_mul_f32_e32 v3, v51, v113
	v_add_f32_e32 v58, v58, v59
	s_waitcnt vmcnt(8)
	v_mul_f32_e32 v59, v52, v115
	v_fma_f32 v3, v50, v112, -v3
	v_fmac_f32_e32 v59, v53, v114
	v_add_f32_e32 v2, v2, v3
	v_mul_f32_e32 v3, v53, v115
	v_add_f32_e32 v124, v58, v59
	ds_read_b128 v[58:61], v1 offset:1008
	v_fma_f32 v3, v52, v114, -v3
	v_add_f32_e32 v2, v2, v3
	s_waitcnt vmcnt(6) lgkmcnt(1)
	v_mul_f32_e32 v3, v55, v117
	v_mul_f32_e32 v125, v54, v117
	v_fma_f32 v3, v54, v116, -v3
	v_fmac_f32_e32 v125, v55, v116
	v_add_f32_e32 v2, v2, v3
	s_waitcnt vmcnt(4)
	v_mul_f32_e32 v3, v57, v119
	v_add_f32_e32 v1, v124, v125
	v_mul_f32_e32 v124, v56, v119
	v_fma_f32 v3, v56, v118, -v3
	v_fmac_f32_e32 v124, v57, v118
	v_add_f32_e32 v2, v2, v3
	s_waitcnt vmcnt(2) lgkmcnt(0)
	v_mul_f32_e32 v3, v59, v121
	v_add_f32_e32 v1, v1, v124
	v_mul_f32_e32 v124, v58, v121
	v_fma_f32 v3, v58, v120, -v3
	v_fmac_f32_e32 v124, v59, v120
	v_add_f32_e32 v2, v2, v3
	s_waitcnt vmcnt(0)
	v_mul_f32_e32 v3, v61, v123
	v_add_f32_e32 v1, v1, v124
	v_mul_f32_e32 v124, v60, v123
	v_fma_f32 v3, v60, v122, -v3
	v_fmac_f32_e32 v124, v61, v122
	v_add_f32_e32 v2, v2, v3
	v_add_f32_e32 v1, v1, v124
	v_sub_f32_e32 v2, v86, v2
	v_sub_f32_e32 v1, v87, v1
	buffer_store_dword v2, off, s[0:3], 0 offset:264
	buffer_store_dword v1, off, s[0:3], 0 offset:268
	s_and_saveexec_b64 s[4:5], vcc
	s_cbranch_execz .LBB63_333
; %bb.332:
	buffer_load_dword v1, off, s[0:3], 0 offset:256
	buffer_load_dword v2, off, s[0:3], 0 offset:260
	v_mov_b32_e32 v3, 0
	buffer_store_dword v3, off, s[0:3], 0 offset:256
	buffer_store_dword v3, off, s[0:3], 0 offset:260
	s_waitcnt vmcnt(2)
	ds_write_b64 v249, v[1:2]
.LBB63_333:
	s_or_b64 exec, exec, s[4:5]
	s_waitcnt lgkmcnt(0)
	; wave barrier
	buffer_load_dword v64, off, s[0:3], 0 offset:268
	buffer_load_dword v65, off, s[0:3], 0 offset:276
	;; [unrolled: 1-line block ×56, first 2 shown]
	v_mov_b32_e32 v1, 0
	ds_read2_b64 v[2:5], v1 offset0:97 offset1:98
	buffer_load_dword v120, off, s[0:3], 0 offset:480
	buffer_load_dword v121, off, s[0:3], 0 offset:484
	ds_read2_b64 v[6:9], v1 offset0:99 offset1:100
	ds_read2_b64 v[10:13], v1 offset0:101 offset1:102
	;; [unrolled: 1-line block ×3, first 2 shown]
	buffer_load_dword v122, off, s[0:3], 0 offset:488
	buffer_load_dword v123, off, s[0:3], 0 offset:492
	;; [unrolled: 1-line block ×6, first 2 shown]
	v_cmp_lt_u32_e32 vcc, 31, v0
	s_waitcnt vmcnt(62) lgkmcnt(3)
	v_mul_f32_e32 v18, v2, v64
	v_mul_f32_e32 v19, v4, v65
	s_waitcnt vmcnt(61) lgkmcnt(2)
	v_mul_f32_e32 v20, v6, v66
	s_waitcnt vmcnt(60)
	v_mul_f32_e32 v21, v8, v67
	s_waitcnt vmcnt(59) lgkmcnt(1)
	v_mul_f32_e32 v22, v10, v68
	s_waitcnt vmcnt(58)
	;; [unrolled: 4-line block ×3, first 2 shown]
	v_mul_f32_e32 v25, v16, v71
	s_waitcnt vmcnt(55)
	v_fmac_f32_e32 v20, v7, v72
	s_waitcnt vmcnt(54)
	v_fmac_f32_e32 v19, v5, v73
	;; [unrolled: 2-line block ×3, first 2 shown]
	v_add_f32_e32 v18, 0, v18
	v_add_f32_e32 v18, v18, v19
	;; [unrolled: 1-line block ×3, first 2 shown]
	s_waitcnt vmcnt(49)
	v_fmac_f32_e32 v21, v9, v78
	v_fmac_f32_e32 v22, v11, v77
	v_add_f32_e32 v18, v18, v21
	v_fmac_f32_e32 v23, v13, v76
	v_add_f32_e32 v18, v18, v22
	v_add_f32_e32 v22, v18, v23
	ds_read2_b64 v[18:21], v1 offset0:105 offset1:106
	v_fmac_f32_e32 v24, v15, v75
	v_add_f32_e32 v22, v22, v24
	s_waitcnt vmcnt(44)
	v_fmac_f32_e32 v25, v17, v83
	v_add_f32_e32 v26, v22, v25
	ds_read2_b64 v[22:25], v1 offset0:107 offset1:108
	s_waitcnt vmcnt(43) lgkmcnt(1)
	v_mul_f32_e32 v27, v18, v84
	v_mul_f32_e32 v3, v3, v64
	v_fmac_f32_e32 v27, v19, v82
	v_fma_f32 v2, v2, v74, -v3
	v_mul_f32_e32 v3, v5, v65
	v_add_f32_e32 v26, v26, v27
	s_waitcnt vmcnt(42)
	v_mul_f32_e32 v27, v20, v85
	v_add_f32_e32 v2, 0, v2
	v_fma_f32 v3, v4, v73, -v3
	v_fmac_f32_e32 v27, v21, v81
	v_add_f32_e32 v2, v2, v3
	v_mul_f32_e32 v3, v7, v66
	v_add_f32_e32 v26, v26, v27
	s_waitcnt lgkmcnt(0)
	v_mul_f32_e32 v27, v22, v80
	v_fma_f32 v3, v6, v72, -v3
	v_fmac_f32_e32 v27, v23, v79
	v_add_f32_e32 v2, v2, v3
	v_mul_f32_e32 v3, v9, v67
	v_add_f32_e32 v30, v26, v27
	ds_read2_b64 v[26:29], v1 offset0:109 offset1:110
	v_fma_f32 v3, v8, v78, -v3
	v_add_f32_e32 v2, v2, v3
	v_mul_f32_e32 v3, v11, v68
	s_waitcnt vmcnt(41)
	v_mul_f32_e32 v31, v24, v86
	v_fma_f32 v3, v10, v77, -v3
	s_waitcnt vmcnt(34)
	v_fmac_f32_e32 v31, v25, v93
	v_add_f32_e32 v2, v2, v3
	v_mul_f32_e32 v3, v13, v69
	v_add_f32_e32 v34, v30, v31
	ds_read2_b64 v[30:33], v1 offset0:111 offset1:112
	v_fma_f32 v3, v12, v76, -v3
	s_waitcnt lgkmcnt(1)
	v_mul_f32_e32 v35, v26, v88
	v_add_f32_e32 v2, v2, v3
	v_mul_f32_e32 v3, v15, v70
	v_fmac_f32_e32 v35, v27, v87
	v_fma_f32 v3, v14, v75, -v3
	v_add_f32_e32 v34, v34, v35
	v_mul_f32_e32 v35, v28, v90
	v_add_f32_e32 v2, v2, v3
	v_mul_f32_e32 v3, v17, v71
	v_fmac_f32_e32 v35, v29, v89
	v_fma_f32 v3, v16, v83, -v3
	v_add_f32_e32 v34, v34, v35
	s_waitcnt lgkmcnt(0)
	v_mul_f32_e32 v35, v30, v92
	v_add_f32_e32 v2, v2, v3
	v_mul_f32_e32 v3, v19, v84
	v_fmac_f32_e32 v35, v31, v91
	v_fma_f32 v3, v18, v82, -v3
	v_add_f32_e32 v38, v34, v35
	ds_read2_b64 v[34:37], v1 offset0:113 offset1:114
	v_add_f32_e32 v2, v2, v3
	v_mul_f32_e32 v3, v21, v85
	v_fma_f32 v3, v20, v81, -v3
	s_waitcnt vmcnt(30)
	v_mul_f32_e32 v39, v32, v97
	v_add_f32_e32 v2, v2, v3
	v_mul_f32_e32 v3, v23, v80
	v_fmac_f32_e32 v39, v33, v96
	v_fma_f32 v3, v22, v79, -v3
	v_add_f32_e32 v42, v38, v39
	ds_read2_b64 v[38:41], v1 offset0:115 offset1:116
	v_add_f32_e32 v2, v2, v3
	v_mul_f32_e32 v3, v25, v86
	s_waitcnt vmcnt(28) lgkmcnt(1)
	v_mul_f32_e32 v43, v34, v99
	v_fma_f32 v3, v24, v93, -v3
	v_fmac_f32_e32 v43, v35, v98
	v_add_f32_e32 v2, v2, v3
	v_mul_f32_e32 v3, v27, v88
	v_add_f32_e32 v42, v42, v43
	s_waitcnt vmcnt(26)
	v_mul_f32_e32 v43, v36, v101
	v_fma_f32 v3, v26, v87, -v3
	v_fmac_f32_e32 v43, v37, v100
	v_add_f32_e32 v2, v2, v3
	v_mul_f32_e32 v3, v29, v90
	v_add_f32_e32 v42, v42, v43
	s_waitcnt vmcnt(24) lgkmcnt(0)
	v_mul_f32_e32 v43, v38, v103
	v_fma_f32 v3, v28, v89, -v3
	v_fmac_f32_e32 v43, v39, v102
	v_add_f32_e32 v2, v2, v3
	v_mul_f32_e32 v3, v31, v92
	v_add_f32_e32 v46, v42, v43
	ds_read2_b64 v[42:45], v1 offset0:117 offset1:118
	v_fma_f32 v3, v30, v91, -v3
	v_add_f32_e32 v2, v2, v3
	v_mul_f32_e32 v3, v33, v97
	s_waitcnt vmcnt(22)
	v_mul_f32_e32 v47, v40, v105
	v_fma_f32 v3, v32, v96, -v3
	v_fmac_f32_e32 v47, v41, v104
	v_add_f32_e32 v2, v2, v3
	v_mul_f32_e32 v3, v35, v99
	v_add_f32_e32 v50, v46, v47
	ds_read2_b64 v[46:49], v1 offset0:119 offset1:120
	v_fma_f32 v3, v34, v98, -v3
	s_waitcnt vmcnt(20) lgkmcnt(1)
	v_mul_f32_e32 v51, v42, v107
	v_add_f32_e32 v2, v2, v3
	v_mul_f32_e32 v3, v37, v101
	v_fmac_f32_e32 v51, v43, v106
	v_fma_f32 v3, v36, v100, -v3
	v_add_f32_e32 v50, v50, v51
	s_waitcnt vmcnt(18)
	v_mul_f32_e32 v51, v44, v109
	v_add_f32_e32 v2, v2, v3
	v_mul_f32_e32 v3, v39, v103
	v_fmac_f32_e32 v51, v45, v108
	v_fma_f32 v3, v38, v102, -v3
	v_add_f32_e32 v50, v50, v51
	s_waitcnt vmcnt(16) lgkmcnt(0)
	v_mul_f32_e32 v51, v46, v111
	v_add_f32_e32 v2, v2, v3
	v_mul_f32_e32 v3, v41, v105
	v_fmac_f32_e32 v51, v47, v110
	v_fma_f32 v3, v40, v104, -v3
	v_add_f32_e32 v54, v50, v51
	ds_read2_b64 v[50:53], v1 offset0:121 offset1:122
	v_add_f32_e32 v2, v2, v3
	v_mul_f32_e32 v3, v43, v107
	v_fma_f32 v3, v42, v106, -v3
	s_waitcnt vmcnt(14)
	v_mul_f32_e32 v55, v48, v113
	v_add_f32_e32 v2, v2, v3
	v_mul_f32_e32 v3, v45, v109
	v_fmac_f32_e32 v55, v49, v112
	v_fma_f32 v3, v44, v108, -v3
	v_add_f32_e32 v58, v54, v55
	ds_read2_b64 v[54:57], v1 offset0:123 offset1:124
	v_add_f32_e32 v2, v2, v3
	v_mul_f32_e32 v3, v47, v111
	s_waitcnt vmcnt(12) lgkmcnt(1)
	v_mul_f32_e32 v59, v50, v115
	v_fma_f32 v3, v46, v110, -v3
	v_fmac_f32_e32 v59, v51, v114
	v_add_f32_e32 v2, v2, v3
	v_mul_f32_e32 v3, v49, v113
	v_add_f32_e32 v58, v58, v59
	s_waitcnt vmcnt(10)
	v_mul_f32_e32 v59, v52, v117
	v_fma_f32 v3, v48, v112, -v3
	v_fmac_f32_e32 v59, v53, v116
	v_add_f32_e32 v2, v2, v3
	v_mul_f32_e32 v3, v51, v115
	v_add_f32_e32 v58, v58, v59
	s_waitcnt vmcnt(8) lgkmcnt(0)
	v_mul_f32_e32 v59, v54, v119
	v_fma_f32 v3, v50, v114, -v3
	v_fmac_f32_e32 v59, v55, v118
	v_add_f32_e32 v2, v2, v3
	v_mul_f32_e32 v3, v53, v117
	v_add_f32_e32 v62, v58, v59
	ds_read2_b64 v[58:61], v1 offset0:125 offset1:126
	v_fma_f32 v3, v52, v116, -v3
	v_add_f32_e32 v2, v2, v3
	v_mul_f32_e32 v3, v55, v119
	s_waitcnt vmcnt(6)
	v_mul_f32_e32 v63, v56, v121
	v_fma_f32 v3, v54, v118, -v3
	v_fmac_f32_e32 v63, v57, v120
	v_add_f32_e32 v2, v2, v3
	v_mul_f32_e32 v3, v57, v121
	v_add_f32_e32 v128, v62, v63
	ds_read_b64 v[62:63], v1 offset:1016
	v_fma_f32 v3, v56, v120, -v3
	v_add_f32_e32 v2, v2, v3
	s_waitcnt vmcnt(4) lgkmcnt(1)
	v_mul_f32_e32 v3, v59, v123
	v_mul_f32_e32 v129, v58, v123
	v_fma_f32 v3, v58, v122, -v3
	v_fmac_f32_e32 v129, v59, v122
	v_add_f32_e32 v2, v2, v3
	s_waitcnt vmcnt(3)
	v_mul_f32_e32 v3, v61, v124
	v_add_f32_e32 v128, v128, v129
	v_mul_f32_e32 v129, v60, v124
	s_waitcnt vmcnt(0)
	v_fma_f32 v3, v60, v127, -v3
	v_fmac_f32_e32 v129, v61, v127
	v_add_f32_e32 v2, v2, v3
	s_waitcnt lgkmcnt(0)
	v_mul_f32_e32 v3, v63, v126
	v_add_f32_e32 v128, v128, v129
	v_mul_f32_e32 v129, v62, v126
	v_fma_f32 v3, v62, v125, -v3
	v_fmac_f32_e32 v129, v63, v125
	v_add_f32_e32 v2, v2, v3
	v_add_f32_e32 v128, v128, v129
	v_sub_f32_e32 v2, v94, v2
	v_sub_f32_e32 v3, v95, v128
	buffer_store_dword v2, off, s[0:3], 0 offset:256
	buffer_store_dword v3, off, s[0:3], 0 offset:260
	s_and_saveexec_b64 s[4:5], vcc
	s_cbranch_execz .LBB63_335
; %bb.334:
	buffer_load_dword v2, off, s[0:3], 0 offset:248
	buffer_load_dword v3, off, s[0:3], 0 offset:252
	s_waitcnt vmcnt(0)
	ds_write_b64 v249, v[2:3]
	buffer_store_dword v1, off, s[0:3], 0 offset:248
	buffer_store_dword v1, off, s[0:3], 0 offset:252
.LBB63_335:
	s_or_b64 exec, exec, s[4:5]
	s_waitcnt lgkmcnt(0)
	; wave barrier
	buffer_load_dword v66, off, s[0:3], 0 offset:316
	buffer_load_dword v67, off, s[0:3], 0 offset:260
	;; [unrolled: 1-line block ×32, first 2 shown]
	ds_read_b128 v[2:5], v1 offset:768
	ds_read_b128 v[6:9], v1 offset:784
	;; [unrolled: 1-line block ×4, first 2 shown]
	buffer_load_dword v98, off, s[0:3], 0 offset:376
	buffer_load_dword v99, off, s[0:3], 0 offset:380
	;; [unrolled: 1-line block ×32, first 2 shown]
	v_cmp_lt_u32_e32 vcc, 30, v0
	s_waitcnt vmcnt(62) lgkmcnt(0)
	v_mul_f32_e32 v25, v16, v66
	v_mul_f32_e32 v18, v2, v67
	s_waitcnt vmcnt(61)
	v_mul_f32_e32 v19, v4, v68
	s_waitcnt vmcnt(60)
	;; [unrolled: 2-line block ×3, first 2 shown]
	v_fmac_f32_e32 v20, v7, v70
	s_waitcnt vmcnt(58)
	v_fmac_f32_e32 v19, v5, v71
	s_waitcnt vmcnt(57)
	v_fmac_f32_e32 v18, v3, v72
	v_add_f32_e32 v18, 0, v18
	s_waitcnt vmcnt(56)
	v_mul_f32_e32 v21, v8, v73
	v_add_f32_e32 v18, v18, v19
	s_waitcnt vmcnt(55)
	v_mul_f32_e32 v22, v10, v74
	;; [unrolled: 3-line block ×3, first 2 shown]
	s_waitcnt vmcnt(50)
	v_fmac_f32_e32 v22, v11, v79
	s_waitcnt vmcnt(49)
	v_fmac_f32_e32 v21, v9, v80
	v_add_f32_e32 v18, v18, v21
	v_mul_f32_e32 v24, v14, v76
	v_fmac_f32_e32 v23, v13, v78
	v_add_f32_e32 v18, v18, v22
	v_fmac_f32_e32 v24, v15, v77
	v_add_f32_e32 v18, v18, v23
	s_waitcnt vmcnt(44)
	v_fmac_f32_e32 v25, v17, v85
	v_add_f32_e32 v22, v18, v24
	ds_read_b128 v[18:21], v1 offset:832
	v_add_f32_e32 v26, v22, v25
	ds_read_b128 v[22:25], v1 offset:848
	buffer_load_dword v130, off, s[0:3], 0 offset:504
	buffer_load_dword v131, off, s[0:3], 0 offset:508
	v_mul_f32_e32 v3, v3, v67
	s_waitcnt vmcnt(45) lgkmcnt(1)
	v_mul_f32_e32 v27, v18, v86
	v_fmac_f32_e32 v27, v19, v84
	v_fma_f32 v2, v2, v72, -v3
	v_mul_f32_e32 v3, v5, v68
	v_add_f32_e32 v26, v26, v27
	v_mul_f32_e32 v27, v20, v82
	v_add_f32_e32 v2, 0, v2
	v_fma_f32 v3, v4, v71, -v3
	v_fmac_f32_e32 v27, v21, v81
	v_add_f32_e32 v2, v2, v3
	v_mul_f32_e32 v3, v7, v69
	v_add_f32_e32 v26, v26, v27
	s_waitcnt vmcnt(44) lgkmcnt(0)
	v_mul_f32_e32 v27, v22, v87
	v_fma_f32 v3, v6, v70, -v3
	v_fmac_f32_e32 v27, v23, v83
	v_add_f32_e32 v2, v2, v3
	v_mul_f32_e32 v3, v9, v73
	v_add_f32_e32 v30, v26, v27
	ds_read_b128 v[26:29], v1 offset:864
	v_fma_f32 v3, v8, v80, -v3
	v_add_f32_e32 v2, v2, v3
	v_mul_f32_e32 v3, v11, v74
	s_waitcnt vmcnt(40)
	v_mul_f32_e32 v31, v24, v91
	v_fma_f32 v3, v10, v79, -v3
	v_fmac_f32_e32 v31, v25, v90
	v_add_f32_e32 v2, v2, v3
	v_mul_f32_e32 v3, v13, v75
	v_add_f32_e32 v34, v30, v31
	ds_read_b128 v[30:33], v1 offset:880
	v_fma_f32 v3, v12, v78, -v3
	s_waitcnt vmcnt(39) lgkmcnt(1)
	v_mul_f32_e32 v35, v26, v92
	v_add_f32_e32 v2, v2, v3
	v_mul_f32_e32 v3, v15, v76
	s_waitcnt vmcnt(34)
	v_fmac_f32_e32 v35, v27, v97
	v_fma_f32 v3, v14, v77, -v3
	v_add_f32_e32 v34, v34, v35
	v_mul_f32_e32 v35, v28, v94
	v_add_f32_e32 v2, v2, v3
	v_mul_f32_e32 v3, v17, v66
	v_fmac_f32_e32 v35, v29, v93
	v_fma_f32 v3, v16, v85, -v3
	v_add_f32_e32 v34, v34, v35
	s_waitcnt lgkmcnt(0)
	v_mul_f32_e32 v35, v30, v96
	v_add_f32_e32 v2, v2, v3
	v_mul_f32_e32 v3, v19, v86
	v_fmac_f32_e32 v35, v31, v95
	v_fma_f32 v3, v18, v84, -v3
	v_add_f32_e32 v38, v34, v35
	ds_read_b128 v[34:37], v1 offset:896
	v_add_f32_e32 v2, v2, v3
	v_mul_f32_e32 v3, v21, v82
	v_fma_f32 v3, v20, v81, -v3
	s_waitcnt vmcnt(32)
	v_mul_f32_e32 v39, v32, v99
	v_add_f32_e32 v2, v2, v3
	v_mul_f32_e32 v3, v23, v87
	v_fmac_f32_e32 v39, v33, v98
	v_fma_f32 v3, v22, v83, -v3
	v_add_f32_e32 v42, v38, v39
	ds_read_b128 v[38:41], v1 offset:912
	v_add_f32_e32 v2, v2, v3
	v_mul_f32_e32 v3, v25, v91
	s_waitcnt vmcnt(30) lgkmcnt(1)
	v_mul_f32_e32 v43, v34, v101
	v_fma_f32 v3, v24, v90, -v3
	v_fmac_f32_e32 v43, v35, v100
	v_add_f32_e32 v2, v2, v3
	v_mul_f32_e32 v3, v27, v92
	v_add_f32_e32 v42, v42, v43
	s_waitcnt vmcnt(28)
	v_mul_f32_e32 v43, v36, v103
	v_fma_f32 v3, v26, v97, -v3
	v_fmac_f32_e32 v43, v37, v102
	v_add_f32_e32 v2, v2, v3
	v_mul_f32_e32 v3, v29, v94
	v_add_f32_e32 v42, v42, v43
	s_waitcnt vmcnt(26) lgkmcnt(0)
	v_mul_f32_e32 v43, v38, v105
	v_fma_f32 v3, v28, v93, -v3
	v_fmac_f32_e32 v43, v39, v104
	v_add_f32_e32 v2, v2, v3
	v_mul_f32_e32 v3, v31, v96
	v_add_f32_e32 v46, v42, v43
	ds_read_b128 v[42:45], v1 offset:928
	v_fma_f32 v3, v30, v95, -v3
	v_add_f32_e32 v2, v2, v3
	v_mul_f32_e32 v3, v33, v99
	s_waitcnt vmcnt(24)
	v_mul_f32_e32 v47, v40, v107
	v_fma_f32 v3, v32, v98, -v3
	v_fmac_f32_e32 v47, v41, v106
	v_add_f32_e32 v2, v2, v3
	v_mul_f32_e32 v3, v35, v101
	v_add_f32_e32 v50, v46, v47
	ds_read_b128 v[46:49], v1 offset:944
	v_fma_f32 v3, v34, v100, -v3
	s_waitcnt vmcnt(22) lgkmcnt(1)
	v_mul_f32_e32 v51, v42, v109
	v_add_f32_e32 v2, v2, v3
	v_mul_f32_e32 v3, v37, v103
	v_fmac_f32_e32 v51, v43, v108
	v_fma_f32 v3, v36, v102, -v3
	v_add_f32_e32 v50, v50, v51
	s_waitcnt vmcnt(20)
	v_mul_f32_e32 v51, v44, v111
	v_add_f32_e32 v2, v2, v3
	v_mul_f32_e32 v3, v39, v105
	v_fmac_f32_e32 v51, v45, v110
	v_fma_f32 v3, v38, v104, -v3
	v_add_f32_e32 v50, v50, v51
	s_waitcnt vmcnt(18) lgkmcnt(0)
	v_mul_f32_e32 v51, v46, v113
	v_add_f32_e32 v2, v2, v3
	v_mul_f32_e32 v3, v41, v107
	v_fmac_f32_e32 v51, v47, v112
	v_fma_f32 v3, v40, v106, -v3
	v_add_f32_e32 v54, v50, v51
	ds_read_b128 v[50:53], v1 offset:960
	v_add_f32_e32 v2, v2, v3
	v_mul_f32_e32 v3, v43, v109
	v_fma_f32 v3, v42, v108, -v3
	s_waitcnt vmcnt(16)
	v_mul_f32_e32 v55, v48, v115
	v_add_f32_e32 v2, v2, v3
	v_mul_f32_e32 v3, v45, v111
	v_fmac_f32_e32 v55, v49, v114
	v_fma_f32 v3, v44, v110, -v3
	v_add_f32_e32 v58, v54, v55
	ds_read_b128 v[54:57], v1 offset:976
	v_add_f32_e32 v2, v2, v3
	v_mul_f32_e32 v3, v47, v113
	s_waitcnt vmcnt(14) lgkmcnt(1)
	v_mul_f32_e32 v59, v50, v117
	v_fma_f32 v3, v46, v112, -v3
	v_fmac_f32_e32 v59, v51, v116
	v_add_f32_e32 v2, v2, v3
	v_mul_f32_e32 v3, v49, v115
	v_add_f32_e32 v58, v58, v59
	s_waitcnt vmcnt(12)
	v_mul_f32_e32 v59, v52, v119
	v_fma_f32 v3, v48, v114, -v3
	v_fmac_f32_e32 v59, v53, v118
	v_add_f32_e32 v2, v2, v3
	v_mul_f32_e32 v3, v51, v117
	v_add_f32_e32 v58, v58, v59
	s_waitcnt vmcnt(10) lgkmcnt(0)
	v_mul_f32_e32 v59, v54, v121
	v_fma_f32 v3, v50, v116, -v3
	v_fmac_f32_e32 v59, v55, v120
	v_add_f32_e32 v2, v2, v3
	v_mul_f32_e32 v3, v53, v119
	v_add_f32_e32 v62, v58, v59
	ds_read_b128 v[58:61], v1 offset:992
	v_fma_f32 v3, v52, v118, -v3
	v_add_f32_e32 v2, v2, v3
	v_mul_f32_e32 v3, v55, v121
	s_waitcnt vmcnt(8)
	v_mul_f32_e32 v63, v56, v123
	v_fma_f32 v3, v54, v120, -v3
	v_fmac_f32_e32 v63, v57, v122
	v_add_f32_e32 v2, v2, v3
	v_mul_f32_e32 v3, v57, v123
	v_add_f32_e32 v132, v62, v63
	ds_read_b128 v[62:65], v1 offset:1008
	v_fma_f32 v3, v56, v122, -v3
	v_add_f32_e32 v2, v2, v3
	s_waitcnt vmcnt(6) lgkmcnt(1)
	v_mul_f32_e32 v3, v59, v125
	v_mul_f32_e32 v1, v58, v125
	v_fma_f32 v3, v58, v124, -v3
	v_fmac_f32_e32 v1, v59, v124
	v_add_f32_e32 v2, v2, v3
	s_waitcnt vmcnt(5)
	v_mul_f32_e32 v3, v61, v126
	v_add_f32_e32 v1, v132, v1
	v_mul_f32_e32 v132, v60, v126
	s_waitcnt vmcnt(2)
	v_fma_f32 v3, v60, v129, -v3
	v_fmac_f32_e32 v132, v61, v129
	v_add_f32_e32 v2, v2, v3
	s_waitcnt lgkmcnt(0)
	v_mul_f32_e32 v3, v63, v128
	v_add_f32_e32 v1, v1, v132
	v_mul_f32_e32 v132, v62, v128
	v_fma_f32 v3, v62, v127, -v3
	v_fmac_f32_e32 v132, v63, v127
	v_add_f32_e32 v2, v2, v3
	s_waitcnt vmcnt(0)
	v_mul_f32_e32 v3, v65, v131
	v_add_f32_e32 v1, v1, v132
	v_mul_f32_e32 v132, v64, v131
	v_fma_f32 v3, v64, v130, -v3
	v_fmac_f32_e32 v132, v65, v130
	v_add_f32_e32 v2, v2, v3
	v_add_f32_e32 v1, v1, v132
	v_sub_f32_e32 v2, v88, v2
	v_sub_f32_e32 v1, v89, v1
	buffer_store_dword v2, off, s[0:3], 0 offset:248
	buffer_store_dword v1, off, s[0:3], 0 offset:252
	s_and_saveexec_b64 s[4:5], vcc
	s_cbranch_execz .LBB63_337
; %bb.336:
	buffer_load_dword v1, off, s[0:3], 0 offset:240
	buffer_load_dword v2, off, s[0:3], 0 offset:244
	v_mov_b32_e32 v3, 0
	buffer_store_dword v3, off, s[0:3], 0 offset:240
	buffer_store_dword v3, off, s[0:3], 0 offset:244
	s_waitcnt vmcnt(2)
	ds_write_b64 v249, v[1:2]
.LBB63_337:
	s_or_b64 exec, exec, s[4:5]
	s_waitcnt lgkmcnt(0)
	; wave barrier
	buffer_load_dword v68, off, s[0:3], 0 offset:308
	buffer_load_dword v69, off, s[0:3], 0 offset:252
	;; [unrolled: 1-line block ×58, first 2 shown]
	v_mov_b32_e32 v1, 0
	ds_read2_b64 v[2:5], v1 offset0:95 offset1:96
	ds_read2_b64 v[6:9], v1 offset0:97 offset1:98
	;; [unrolled: 1-line block ×5, first 2 shown]
	buffer_load_dword v126, off, s[0:3], 0 offset:472
	buffer_load_dword v127, off, s[0:3], 0 offset:476
	;; [unrolled: 1-line block ×6, first 2 shown]
	v_cmp_lt_u32_e32 vcc, 29, v0
	s_waitcnt vmcnt(62) lgkmcnt(1)
	v_mul_f32_e32 v29, v16, v68
	v_mul_f32_e32 v22, v2, v69
	s_waitcnt vmcnt(61)
	v_mul_f32_e32 v23, v4, v70
	s_waitcnt vmcnt(60)
	v_mul_f32_e32 v24, v6, v71
	s_waitcnt vmcnt(59)
	v_fmac_f32_e32 v24, v7, v72
	s_waitcnt vmcnt(58)
	v_fmac_f32_e32 v23, v5, v73
	s_waitcnt vmcnt(57)
	v_fmac_f32_e32 v22, v3, v74
	v_add_f32_e32 v22, 0, v22
	s_waitcnt vmcnt(56)
	v_mul_f32_e32 v25, v8, v75
	v_add_f32_e32 v22, v22, v23
	s_waitcnt vmcnt(55)
	v_mul_f32_e32 v26, v10, v76
	;; [unrolled: 3-line block ×3, first 2 shown]
	s_waitcnt vmcnt(50)
	v_fmac_f32_e32 v26, v11, v81
	s_waitcnt vmcnt(49)
	v_fmac_f32_e32 v25, v9, v82
	v_add_f32_e32 v22, v22, v25
	v_mul_f32_e32 v28, v14, v78
	v_fmac_f32_e32 v27, v13, v80
	v_add_f32_e32 v22, v22, v26
	v_fmac_f32_e32 v28, v15, v79
	v_add_f32_e32 v22, v22, v27
	s_waitcnt vmcnt(44)
	v_fmac_f32_e32 v29, v17, v87
	v_add_f32_e32 v22, v22, v28
	v_add_f32_e32 v26, v22, v29
	ds_read2_b64 v[22:25], v1 offset0:105 offset1:106
	buffer_load_dword v132, off, s[0:3], 0 offset:500
	buffer_load_dword v133, off, s[0:3], 0 offset:504
	buffer_load_dword v134, off, s[0:3], 0 offset:508
	buffer_load_dword v135, off, s[0:3], 0 offset:496
	s_waitcnt vmcnt(47) lgkmcnt(1)
	v_mul_f32_e32 v27, v18, v88
	v_fmac_f32_e32 v27, v19, v86
	v_mul_f32_e32 v3, v3, v69
	v_add_f32_e32 v26, v26, v27
	s_waitcnt vmcnt(46)
	v_mul_f32_e32 v27, v20, v89
	v_fma_f32 v2, v2, v74, -v3
	v_mul_f32_e32 v3, v5, v70
	v_fmac_f32_e32 v27, v21, v85
	v_add_f32_e32 v2, 0, v2
	v_fma_f32 v3, v4, v73, -v3
	v_add_f32_e32 v26, v26, v27
	s_waitcnt lgkmcnt(0)
	v_mul_f32_e32 v27, v22, v84
	v_add_f32_e32 v2, v2, v3
	v_mul_f32_e32 v3, v7, v71
	v_fmac_f32_e32 v27, v23, v83
	v_fma_f32 v3, v6, v72, -v3
	v_add_f32_e32 v30, v26, v27
	ds_read2_b64 v[26:29], v1 offset0:107 offset1:108
	v_add_f32_e32 v2, v2, v3
	v_mul_f32_e32 v3, v9, v75
	v_fma_f32 v3, v8, v82, -v3
	s_waitcnt vmcnt(42)
	v_mul_f32_e32 v31, v24, v93
	v_add_f32_e32 v2, v2, v3
	v_mul_f32_e32 v3, v11, v76
	v_fmac_f32_e32 v31, v25, v92
	v_fma_f32 v3, v10, v81, -v3
	v_add_f32_e32 v34, v30, v31
	ds_read2_b64 v[30:33], v1 offset0:109 offset1:110
	v_add_f32_e32 v2, v2, v3
	v_mul_f32_e32 v3, v13, v77
	s_waitcnt vmcnt(40) lgkmcnt(1)
	v_mul_f32_e32 v35, v26, v95
	v_fma_f32 v3, v12, v80, -v3
	v_fmac_f32_e32 v35, v27, v94
	v_add_f32_e32 v2, v2, v3
	v_mul_f32_e32 v3, v15, v78
	v_add_f32_e32 v34, v34, v35
	s_waitcnt vmcnt(38)
	v_mul_f32_e32 v35, v28, v97
	v_fma_f32 v3, v14, v79, -v3
	v_fmac_f32_e32 v35, v29, v96
	v_add_f32_e32 v2, v2, v3
	v_mul_f32_e32 v3, v17, v68
	v_add_f32_e32 v34, v34, v35
	s_waitcnt vmcnt(36) lgkmcnt(0)
	v_mul_f32_e32 v35, v30, v99
	v_fma_f32 v3, v16, v87, -v3
	v_fmac_f32_e32 v35, v31, v98
	v_add_f32_e32 v2, v2, v3
	v_mul_f32_e32 v3, v19, v88
	v_add_f32_e32 v38, v34, v35
	ds_read2_b64 v[34:37], v1 offset0:111 offset1:112
	v_fma_f32 v3, v18, v86, -v3
	v_add_f32_e32 v2, v2, v3
	v_mul_f32_e32 v3, v21, v89
	s_waitcnt vmcnt(34)
	v_mul_f32_e32 v39, v32, v101
	v_fma_f32 v3, v20, v85, -v3
	v_fmac_f32_e32 v39, v33, v100
	v_add_f32_e32 v2, v2, v3
	v_mul_f32_e32 v3, v23, v84
	v_add_f32_e32 v42, v38, v39
	ds_read2_b64 v[38:41], v1 offset0:113 offset1:114
	v_fma_f32 v3, v22, v83, -v3
	s_waitcnt vmcnt(32) lgkmcnt(1)
	v_mul_f32_e32 v43, v34, v103
	v_add_f32_e32 v2, v2, v3
	v_mul_f32_e32 v3, v25, v93
	v_fmac_f32_e32 v43, v35, v102
	v_fma_f32 v3, v24, v92, -v3
	v_add_f32_e32 v42, v42, v43
	s_waitcnt vmcnt(30)
	v_mul_f32_e32 v43, v36, v105
	v_add_f32_e32 v2, v2, v3
	v_mul_f32_e32 v3, v27, v95
	v_fmac_f32_e32 v43, v37, v104
	v_fma_f32 v3, v26, v94, -v3
	v_add_f32_e32 v42, v42, v43
	s_waitcnt vmcnt(28) lgkmcnt(0)
	v_mul_f32_e32 v43, v38, v107
	v_add_f32_e32 v2, v2, v3
	v_mul_f32_e32 v3, v29, v97
	v_fmac_f32_e32 v43, v39, v106
	v_fma_f32 v3, v28, v96, -v3
	v_add_f32_e32 v46, v42, v43
	ds_read2_b64 v[42:45], v1 offset0:115 offset1:116
	v_add_f32_e32 v2, v2, v3
	v_mul_f32_e32 v3, v31, v99
	v_fma_f32 v3, v30, v98, -v3
	s_waitcnt vmcnt(26)
	v_mul_f32_e32 v47, v40, v109
	v_add_f32_e32 v2, v2, v3
	v_mul_f32_e32 v3, v33, v101
	v_fmac_f32_e32 v47, v41, v108
	v_fma_f32 v3, v32, v100, -v3
	v_add_f32_e32 v50, v46, v47
	ds_read2_b64 v[46:49], v1 offset0:117 offset1:118
	v_add_f32_e32 v2, v2, v3
	v_mul_f32_e32 v3, v35, v103
	s_waitcnt vmcnt(24) lgkmcnt(1)
	v_mul_f32_e32 v51, v42, v111
	v_fma_f32 v3, v34, v102, -v3
	v_fmac_f32_e32 v51, v43, v110
	v_add_f32_e32 v2, v2, v3
	v_mul_f32_e32 v3, v37, v105
	v_add_f32_e32 v50, v50, v51
	s_waitcnt vmcnt(22)
	v_mul_f32_e32 v51, v44, v113
	v_fma_f32 v3, v36, v104, -v3
	v_fmac_f32_e32 v51, v45, v112
	v_add_f32_e32 v2, v2, v3
	v_mul_f32_e32 v3, v39, v107
	v_add_f32_e32 v50, v50, v51
	s_waitcnt vmcnt(20) lgkmcnt(0)
	v_mul_f32_e32 v51, v46, v115
	v_fma_f32 v3, v38, v106, -v3
	v_fmac_f32_e32 v51, v47, v114
	v_add_f32_e32 v2, v2, v3
	v_mul_f32_e32 v3, v41, v109
	v_add_f32_e32 v54, v50, v51
	ds_read2_b64 v[50:53], v1 offset0:119 offset1:120
	v_fma_f32 v3, v40, v108, -v3
	v_add_f32_e32 v2, v2, v3
	v_mul_f32_e32 v3, v43, v111
	s_waitcnt vmcnt(18)
	v_mul_f32_e32 v55, v48, v117
	v_fma_f32 v3, v42, v110, -v3
	v_fmac_f32_e32 v55, v49, v116
	v_add_f32_e32 v2, v2, v3
	v_mul_f32_e32 v3, v45, v113
	v_add_f32_e32 v58, v54, v55
	ds_read2_b64 v[54:57], v1 offset0:121 offset1:122
	v_fma_f32 v3, v44, v112, -v3
	s_waitcnt vmcnt(16) lgkmcnt(1)
	v_mul_f32_e32 v59, v50, v119
	v_add_f32_e32 v2, v2, v3
	v_mul_f32_e32 v3, v47, v115
	v_fmac_f32_e32 v59, v51, v118
	v_fma_f32 v3, v46, v114, -v3
	v_add_f32_e32 v58, v58, v59
	s_waitcnt vmcnt(14)
	v_mul_f32_e32 v59, v52, v121
	v_add_f32_e32 v2, v2, v3
	v_mul_f32_e32 v3, v49, v117
	v_fmac_f32_e32 v59, v53, v120
	v_fma_f32 v3, v48, v116, -v3
	v_add_f32_e32 v58, v58, v59
	s_waitcnt vmcnt(12) lgkmcnt(0)
	v_mul_f32_e32 v59, v54, v123
	v_add_f32_e32 v2, v2, v3
	v_mul_f32_e32 v3, v51, v119
	v_fmac_f32_e32 v59, v55, v122
	v_fma_f32 v3, v50, v118, -v3
	v_add_f32_e32 v62, v58, v59
	ds_read2_b64 v[58:61], v1 offset0:123 offset1:124
	v_add_f32_e32 v2, v2, v3
	v_mul_f32_e32 v3, v53, v121
	v_fma_f32 v3, v52, v120, -v3
	v_add_f32_e32 v2, v2, v3
	v_mul_f32_e32 v3, v55, v123
	s_waitcnt vmcnt(10)
	v_mul_f32_e32 v63, v56, v125
	v_fma_f32 v3, v54, v122, -v3
	v_fmac_f32_e32 v63, v57, v124
	v_add_f32_e32 v2, v2, v3
	v_mul_f32_e32 v3, v57, v125
	v_add_f32_e32 v66, v62, v63
	ds_read2_b64 v[62:65], v1 offset0:125 offset1:126
	s_waitcnt vmcnt(8) lgkmcnt(1)
	v_mul_f32_e32 v67, v58, v127
	v_fma_f32 v3, v56, v124, -v3
	v_fmac_f32_e32 v67, v59, v126
	v_add_f32_e32 v2, v2, v3
	v_mul_f32_e32 v3, v59, v127
	v_add_f32_e32 v66, v66, v67
	s_waitcnt vmcnt(7)
	v_mul_f32_e32 v67, v60, v128
	v_fma_f32 v3, v58, v126, -v3
	s_waitcnt vmcnt(4)
	v_fmac_f32_e32 v67, v61, v131
	v_add_f32_e32 v2, v2, v3
	v_mul_f32_e32 v3, v61, v128
	v_add_f32_e32 v136, v66, v67
	ds_read_b64 v[66:67], v1 offset:1016
	v_fma_f32 v3, v60, v131, -v3
	v_add_f32_e32 v2, v2, v3
	s_waitcnt lgkmcnt(1)
	v_mul_f32_e32 v3, v63, v130
	v_mul_f32_e32 v137, v62, v130
	v_fma_f32 v3, v62, v129, -v3
	v_fmac_f32_e32 v137, v63, v129
	v_add_f32_e32 v2, v2, v3
	s_waitcnt vmcnt(3)
	v_mul_f32_e32 v3, v65, v132
	v_add_f32_e32 v136, v136, v137
	v_mul_f32_e32 v137, v64, v132
	s_waitcnt vmcnt(0)
	v_fma_f32 v3, v64, v135, -v3
	v_fmac_f32_e32 v137, v65, v135
	v_add_f32_e32 v2, v2, v3
	s_waitcnt lgkmcnt(0)
	v_mul_f32_e32 v3, v67, v134
	v_add_f32_e32 v136, v136, v137
	v_mul_f32_e32 v137, v66, v134
	v_fma_f32 v3, v66, v133, -v3
	v_fmac_f32_e32 v137, v67, v133
	v_add_f32_e32 v2, v2, v3
	v_add_f32_e32 v136, v136, v137
	v_sub_f32_e32 v2, v90, v2
	v_sub_f32_e32 v3, v91, v136
	buffer_store_dword v2, off, s[0:3], 0 offset:240
	buffer_store_dword v3, off, s[0:3], 0 offset:244
	s_and_saveexec_b64 s[4:5], vcc
	s_cbranch_execz .LBB63_339
; %bb.338:
	buffer_load_dword v2, off, s[0:3], 0 offset:232
	buffer_load_dword v3, off, s[0:3], 0 offset:236
	s_waitcnt vmcnt(0)
	ds_write_b64 v249, v[2:3]
	buffer_store_dword v1, off, s[0:3], 0 offset:232
	buffer_store_dword v1, off, s[0:3], 0 offset:236
.LBB63_339:
	s_or_b64 exec, exec, s[4:5]
	s_waitcnt lgkmcnt(0)
	; wave barrier
	buffer_load_dword v70, off, s[0:3], 0 offset:244
	buffer_load_dword v71, off, s[0:3], 0 offset:252
	buffer_load_dword v72, off, s[0:3], 0 offset:260
	buffer_load_dword v73, off, s[0:3], 0 offset:268
	buffer_load_dword v74, off, s[0:3], 0 offset:276
	buffer_load_dword v75, off, s[0:3], 0 offset:284
	buffer_load_dword v76, off, s[0:3], 0 offset:292
	buffer_load_dword v77, off, s[0:3], 0 offset:300
	buffer_load_dword v78, off, s[0:3], 0 offset:256
	buffer_load_dword v79, off, s[0:3], 0 offset:248
	buffer_load_dword v80, off, s[0:3], 0 offset:240
	buffer_load_dword v81, off, s[0:3], 0 offset:288
	buffer_load_dword v82, off, s[0:3], 0 offset:280
	buffer_load_dword v83, off, s[0:3], 0 offset:272
	buffer_load_dword v84, off, s[0:3], 0 offset:264
	buffer_load_dword v85, off, s[0:3], 0 offset:320
	buffer_load_dword v86, off, s[0:3], 0 offset:312
	buffer_load_dword v87, off, s[0:3], 0 offset:304
	buffer_load_dword v88, off, s[0:3], 0 offset:296
	buffer_load_dword v89, off, s[0:3], 0 offset:308
	buffer_load_dword v90, off, s[0:3], 0 offset:316
	buffer_load_dword v91, off, s[0:3], 0 offset:324
	buffer_load_dword v92, off, s[0:3], 0 offset:232
	buffer_load_dword v93, off, s[0:3], 0 offset:236
	buffer_load_dword v94, off, s[0:3], 0 offset:332
	buffer_load_dword v95, off, s[0:3], 0 offset:336
	buffer_load_dword v96, off, s[0:3], 0 offset:340
	buffer_load_dword v97, off, s[0:3], 0 offset:344
	buffer_load_dword v98, off, s[0:3], 0 offset:348
	buffer_load_dword v99, off, s[0:3], 0 offset:352
	buffer_load_dword v100, off, s[0:3], 0 offset:356
	buffer_load_dword v101, off, s[0:3], 0 offset:328
	ds_read_b128 v[2:5], v1 offset:752
	ds_read_b128 v[6:9], v1 offset:768
	;; [unrolled: 1-line block ×6, first 2 shown]
	buffer_load_dword v102, off, s[0:3], 0 offset:360
	buffer_load_dword v103, off, s[0:3], 0 offset:364
	;; [unrolled: 1-line block ×38, first 2 shown]
	v_cmp_lt_u32_e32 vcc, 28, v0
	s_waitcnt vmcnt(62) lgkmcnt(5)
	v_mul_f32_e32 v26, v2, v70
	v_mul_f32_e32 v27, v4, v71
	s_waitcnt lgkmcnt(4)
	v_mul_f32_e32 v28, v6, v72
	v_mul_f32_e32 v29, v8, v73
	s_waitcnt lgkmcnt(3)
	;; [unrolled: 3-line block ×3, first 2 shown]
	v_mul_f32_e32 v32, v14, v76
	v_mul_f32_e32 v33, v16, v77
	s_waitcnt vmcnt(61)
	v_fmac_f32_e32 v28, v7, v78
	s_waitcnt vmcnt(60)
	v_fmac_f32_e32 v27, v5, v79
	;; [unrolled: 2-line block ×3, first 2 shown]
	v_add_f32_e32 v26, 0, v26
	v_add_f32_e32 v26, v26, v27
	;; [unrolled: 1-line block ×3, first 2 shown]
	s_waitcnt vmcnt(55)
	v_fmac_f32_e32 v29, v9, v84
	v_fmac_f32_e32 v30, v11, v83
	v_add_f32_e32 v26, v26, v29
	v_fmac_f32_e32 v31, v13, v82
	v_add_f32_e32 v26, v26, v30
	;; [unrolled: 2-line block ×3, first 2 shown]
	s_waitcnt vmcnt(51)
	v_fmac_f32_e32 v33, v17, v88
	v_add_f32_e32 v26, v26, v32
	s_waitcnt vmcnt(50) lgkmcnt(1)
	v_mul_f32_e32 v27, v18, v89
	v_add_f32_e32 v26, v26, v33
	v_fmac_f32_e32 v27, v19, v87
	v_mul_f32_e32 v3, v3, v70
	v_add_f32_e32 v26, v26, v27
	s_waitcnt vmcnt(49)
	v_mul_f32_e32 v27, v20, v90
	v_fma_f32 v2, v2, v80, -v3
	v_mul_f32_e32 v3, v5, v71
	v_fmac_f32_e32 v27, v21, v86
	v_add_f32_e32 v2, 0, v2
	v_fma_f32 v3, v4, v79, -v3
	v_add_f32_e32 v26, v26, v27
	s_waitcnt vmcnt(48) lgkmcnt(0)
	v_mul_f32_e32 v27, v22, v91
	v_add_f32_e32 v2, v2, v3
	v_mul_f32_e32 v3, v7, v72
	v_fmac_f32_e32 v27, v23, v85
	v_fma_f32 v3, v6, v78, -v3
	v_add_f32_e32 v30, v26, v27
	ds_read_b128 v[26:29], v1 offset:848
	v_add_f32_e32 v2, v2, v3
	v_mul_f32_e32 v3, v9, v73
	v_fma_f32 v3, v8, v84, -v3
	s_waitcnt vmcnt(45)
	v_mul_f32_e32 v31, v24, v94
	v_add_f32_e32 v2, v2, v3
	v_mul_f32_e32 v3, v11, v74
	s_waitcnt vmcnt(38)
	v_fmac_f32_e32 v31, v25, v101
	v_fma_f32 v3, v10, v83, -v3
	v_add_f32_e32 v34, v30, v31
	ds_read_b128 v[30:33], v1 offset:864
	v_add_f32_e32 v2, v2, v3
	v_mul_f32_e32 v3, v13, v75
	s_waitcnt lgkmcnt(1)
	v_mul_f32_e32 v35, v26, v96
	v_fma_f32 v3, v12, v82, -v3
	v_fmac_f32_e32 v35, v27, v95
	v_add_f32_e32 v2, v2, v3
	v_mul_f32_e32 v3, v15, v76
	v_add_f32_e32 v34, v34, v35
	v_mul_f32_e32 v35, v28, v98
	v_fma_f32 v3, v14, v81, -v3
	v_fmac_f32_e32 v35, v29, v97
	v_add_f32_e32 v2, v2, v3
	v_mul_f32_e32 v3, v17, v77
	v_add_f32_e32 v34, v34, v35
	s_waitcnt lgkmcnt(0)
	v_mul_f32_e32 v35, v30, v100
	v_fma_f32 v3, v16, v88, -v3
	v_fmac_f32_e32 v35, v31, v99
	v_add_f32_e32 v2, v2, v3
	v_mul_f32_e32 v3, v19, v89
	v_add_f32_e32 v38, v34, v35
	ds_read_b128 v[34:37], v1 offset:880
	v_fma_f32 v3, v18, v87, -v3
	v_add_f32_e32 v2, v2, v3
	v_mul_f32_e32 v3, v21, v90
	s_waitcnt vmcnt(36)
	v_mul_f32_e32 v39, v32, v103
	v_fma_f32 v3, v20, v86, -v3
	v_fmac_f32_e32 v39, v33, v102
	v_add_f32_e32 v2, v2, v3
	v_mul_f32_e32 v3, v23, v91
	v_add_f32_e32 v42, v38, v39
	ds_read_b128 v[38:41], v1 offset:896
	v_fma_f32 v3, v22, v85, -v3
	s_waitcnt vmcnt(34) lgkmcnt(1)
	v_mul_f32_e32 v43, v34, v105
	v_add_f32_e32 v2, v2, v3
	v_mul_f32_e32 v3, v25, v94
	v_fmac_f32_e32 v43, v35, v104
	v_fma_f32 v3, v24, v101, -v3
	v_add_f32_e32 v42, v42, v43
	s_waitcnt vmcnt(32)
	v_mul_f32_e32 v43, v36, v107
	v_add_f32_e32 v2, v2, v3
	v_mul_f32_e32 v3, v27, v96
	v_fmac_f32_e32 v43, v37, v106
	v_fma_f32 v3, v26, v95, -v3
	v_add_f32_e32 v42, v42, v43
	s_waitcnt vmcnt(30) lgkmcnt(0)
	v_mul_f32_e32 v43, v38, v109
	v_add_f32_e32 v2, v2, v3
	v_mul_f32_e32 v3, v29, v98
	v_fmac_f32_e32 v43, v39, v108
	v_fma_f32 v3, v28, v97, -v3
	v_add_f32_e32 v46, v42, v43
	ds_read_b128 v[42:45], v1 offset:912
	v_add_f32_e32 v2, v2, v3
	v_mul_f32_e32 v3, v31, v100
	v_fma_f32 v3, v30, v99, -v3
	s_waitcnt vmcnt(28)
	v_mul_f32_e32 v47, v40, v111
	v_add_f32_e32 v2, v2, v3
	v_mul_f32_e32 v3, v33, v103
	v_fmac_f32_e32 v47, v41, v110
	v_fma_f32 v3, v32, v102, -v3
	v_add_f32_e32 v50, v46, v47
	ds_read_b128 v[46:49], v1 offset:928
	v_add_f32_e32 v2, v2, v3
	v_mul_f32_e32 v3, v35, v105
	s_waitcnt vmcnt(26) lgkmcnt(1)
	v_mul_f32_e32 v51, v42, v113
	v_fma_f32 v3, v34, v104, -v3
	v_fmac_f32_e32 v51, v43, v112
	v_add_f32_e32 v2, v2, v3
	v_mul_f32_e32 v3, v37, v107
	v_add_f32_e32 v50, v50, v51
	s_waitcnt vmcnt(24)
	v_mul_f32_e32 v51, v44, v115
	v_fma_f32 v3, v36, v106, -v3
	v_fmac_f32_e32 v51, v45, v114
	v_add_f32_e32 v2, v2, v3
	v_mul_f32_e32 v3, v39, v109
	v_add_f32_e32 v50, v50, v51
	s_waitcnt vmcnt(22) lgkmcnt(0)
	v_mul_f32_e32 v51, v46, v117
	v_fma_f32 v3, v38, v108, -v3
	v_fmac_f32_e32 v51, v47, v116
	v_add_f32_e32 v2, v2, v3
	v_mul_f32_e32 v3, v41, v111
	v_add_f32_e32 v54, v50, v51
	ds_read_b128 v[50:53], v1 offset:944
	v_fma_f32 v3, v40, v110, -v3
	v_add_f32_e32 v2, v2, v3
	v_mul_f32_e32 v3, v43, v113
	s_waitcnt vmcnt(20)
	v_mul_f32_e32 v55, v48, v119
	v_fma_f32 v3, v42, v112, -v3
	v_fmac_f32_e32 v55, v49, v118
	v_add_f32_e32 v2, v2, v3
	v_mul_f32_e32 v3, v45, v115
	v_add_f32_e32 v58, v54, v55
	ds_read_b128 v[54:57], v1 offset:960
	v_fma_f32 v3, v44, v114, -v3
	s_waitcnt vmcnt(18) lgkmcnt(1)
	v_mul_f32_e32 v59, v50, v121
	v_add_f32_e32 v2, v2, v3
	v_mul_f32_e32 v3, v47, v117
	v_fmac_f32_e32 v59, v51, v120
	v_fma_f32 v3, v46, v116, -v3
	v_add_f32_e32 v58, v58, v59
	s_waitcnt vmcnt(16)
	v_mul_f32_e32 v59, v52, v123
	v_add_f32_e32 v2, v2, v3
	v_mul_f32_e32 v3, v49, v119
	v_fmac_f32_e32 v59, v53, v122
	v_fma_f32 v3, v48, v118, -v3
	v_add_f32_e32 v58, v58, v59
	s_waitcnt vmcnt(14) lgkmcnt(0)
	v_mul_f32_e32 v59, v54, v125
	v_add_f32_e32 v2, v2, v3
	v_mul_f32_e32 v3, v51, v121
	v_fmac_f32_e32 v59, v55, v124
	v_fma_f32 v3, v50, v120, -v3
	v_add_f32_e32 v62, v58, v59
	ds_read_b128 v[58:61], v1 offset:976
	v_add_f32_e32 v2, v2, v3
	v_mul_f32_e32 v3, v53, v123
	v_fma_f32 v3, v52, v122, -v3
	v_add_f32_e32 v2, v2, v3
	v_mul_f32_e32 v3, v55, v125
	s_waitcnt vmcnt(12)
	v_mul_f32_e32 v63, v56, v127
	v_fma_f32 v3, v54, v124, -v3
	v_fmac_f32_e32 v63, v57, v126
	v_add_f32_e32 v2, v2, v3
	v_mul_f32_e32 v3, v57, v127
	v_add_f32_e32 v66, v62, v63
	ds_read_b128 v[62:65], v1 offset:992
	s_waitcnt vmcnt(10) lgkmcnt(1)
	v_mul_f32_e32 v67, v58, v129
	v_fma_f32 v3, v56, v126, -v3
	v_fmac_f32_e32 v67, v59, v128
	v_add_f32_e32 v2, v2, v3
	v_mul_f32_e32 v3, v59, v129
	v_add_f32_e32 v66, v66, v67
	s_waitcnt vmcnt(9)
	v_mul_f32_e32 v67, v60, v130
	v_fma_f32 v3, v58, v128, -v3
	s_waitcnt vmcnt(6)
	v_fmac_f32_e32 v67, v61, v133
	v_add_f32_e32 v2, v2, v3
	v_mul_f32_e32 v3, v61, v130
	v_add_f32_e32 v140, v66, v67
	ds_read_b128 v[66:69], v1 offset:1008
	v_fma_f32 v3, v60, v133, -v3
	v_add_f32_e32 v2, v2, v3
	s_waitcnt lgkmcnt(1)
	v_mul_f32_e32 v3, v63, v132
	v_mul_f32_e32 v141, v62, v132
	v_fma_f32 v3, v62, v131, -v3
	v_fmac_f32_e32 v141, v63, v131
	v_add_f32_e32 v2, v2, v3
	s_waitcnt vmcnt(4)
	v_mul_f32_e32 v3, v65, v135
	v_add_f32_e32 v1, v140, v141
	v_mul_f32_e32 v140, v64, v135
	v_fma_f32 v3, v64, v134, -v3
	v_fmac_f32_e32 v140, v65, v134
	v_add_f32_e32 v2, v2, v3
	s_waitcnt vmcnt(3) lgkmcnt(0)
	v_mul_f32_e32 v3, v67, v136
	v_add_f32_e32 v1, v1, v140
	v_mul_f32_e32 v140, v66, v136
	s_waitcnt vmcnt(0)
	v_fma_f32 v3, v66, v139, -v3
	v_fmac_f32_e32 v140, v67, v139
	v_add_f32_e32 v2, v2, v3
	v_mul_f32_e32 v3, v69, v138
	v_add_f32_e32 v1, v1, v140
	v_mul_f32_e32 v140, v68, v138
	v_fma_f32 v3, v68, v137, -v3
	v_fmac_f32_e32 v140, v69, v137
	v_add_f32_e32 v2, v2, v3
	v_add_f32_e32 v1, v1, v140
	v_sub_f32_e32 v2, v92, v2
	v_sub_f32_e32 v1, v93, v1
	buffer_store_dword v2, off, s[0:3], 0 offset:232
	buffer_store_dword v1, off, s[0:3], 0 offset:236
	s_and_saveexec_b64 s[4:5], vcc
	s_cbranch_execz .LBB63_341
; %bb.340:
	buffer_load_dword v1, off, s[0:3], 0 offset:224
	buffer_load_dword v2, off, s[0:3], 0 offset:228
	v_mov_b32_e32 v3, 0
	buffer_store_dword v3, off, s[0:3], 0 offset:224
	buffer_store_dword v3, off, s[0:3], 0 offset:228
	s_waitcnt vmcnt(2)
	ds_write_b64 v249, v[1:2]
.LBB63_341:
	s_or_b64 exec, exec, s[4:5]
	s_waitcnt lgkmcnt(0)
	; wave barrier
	buffer_load_dword v72, off, s[0:3], 0 offset:236
	buffer_load_dword v73, off, s[0:3], 0 offset:244
	;; [unrolled: 1-line block ×56, first 2 shown]
	v_mov_b32_e32 v1, 0
	ds_read2_b64 v[2:5], v1 offset0:93 offset1:94
	ds_read2_b64 v[6:9], v1 offset0:95 offset1:96
	;; [unrolled: 1-line block ×6, first 2 shown]
	buffer_load_dword v128, off, s[0:3], 0 offset:448
	buffer_load_dword v129, off, s[0:3], 0 offset:452
	;; [unrolled: 1-line block ×16, first 2 shown]
	v_cmp_lt_u32_e32 vcc, 27, v0
	s_waitcnt vmcnt(62) lgkmcnt(5)
	v_mul_f32_e32 v26, v2, v72
	v_mul_f32_e32 v27, v4, v73
	s_waitcnt lgkmcnt(4)
	v_mul_f32_e32 v28, v6, v74
	v_mul_f32_e32 v29, v8, v75
	s_waitcnt lgkmcnt(3)
	;; [unrolled: 3-line block ×4, first 2 shown]
	v_mul_f32_e32 v34, v18, v80
	v_fmac_f32_e32 v28, v7, v81
	s_waitcnt vmcnt(61)
	v_fmac_f32_e32 v27, v5, v82
	s_waitcnt vmcnt(60)
	v_fmac_f32_e32 v26, v3, v83
	v_add_f32_e32 v26, 0, v26
	v_add_f32_e32 v26, v26, v27
	;; [unrolled: 1-line block ×3, first 2 shown]
	s_waitcnt vmcnt(56)
	v_fmac_f32_e32 v29, v9, v87
	v_fmac_f32_e32 v30, v11, v86
	v_add_f32_e32 v26, v26, v29
	v_fmac_f32_e32 v31, v13, v85
	v_add_f32_e32 v26, v26, v30
	;; [unrolled: 2-line block ×3, first 2 shown]
	s_waitcnt vmcnt(52)
	v_fmac_f32_e32 v33, v17, v91
	v_add_f32_e32 v26, v26, v32
	v_add_f32_e32 v26, v26, v33
	v_fmac_f32_e32 v34, v19, v90
	s_waitcnt vmcnt(51)
	v_mul_f32_e32 v27, v20, v92
	v_add_f32_e32 v26, v26, v34
	v_fmac_f32_e32 v27, v21, v89
	v_mul_f32_e32 v3, v3, v72
	v_add_f32_e32 v26, v26, v27
	s_waitcnt vmcnt(50) lgkmcnt(0)
	v_mul_f32_e32 v27, v22, v93
	v_fma_f32 v2, v2, v83, -v3
	v_mul_f32_e32 v3, v5, v73
	v_fmac_f32_e32 v27, v23, v88
	v_add_f32_e32 v2, 0, v2
	v_fma_f32 v3, v4, v82, -v3
	v_add_f32_e32 v30, v26, v27
	ds_read2_b64 v[26:29], v1 offset0:105 offset1:106
	v_add_f32_e32 v2, v2, v3
	v_mul_f32_e32 v3, v7, v74
	v_fma_f32 v3, v6, v81, -v3
	s_waitcnt vmcnt(46)
	v_mul_f32_e32 v31, v24, v97
	v_add_f32_e32 v2, v2, v3
	v_mul_f32_e32 v3, v9, v75
	v_fmac_f32_e32 v31, v25, v96
	v_fma_f32 v3, v8, v87, -v3
	v_add_f32_e32 v34, v30, v31
	ds_read2_b64 v[30:33], v1 offset0:107 offset1:108
	v_add_f32_e32 v2, v2, v3
	v_mul_f32_e32 v3, v11, v76
	s_waitcnt vmcnt(44) lgkmcnt(1)
	v_mul_f32_e32 v35, v26, v99
	v_fma_f32 v3, v10, v86, -v3
	v_fmac_f32_e32 v35, v27, v98
	v_add_f32_e32 v2, v2, v3
	v_mul_f32_e32 v3, v13, v77
	v_add_f32_e32 v34, v34, v35
	s_waitcnt vmcnt(42)
	v_mul_f32_e32 v35, v28, v101
	v_fma_f32 v3, v12, v85, -v3
	v_fmac_f32_e32 v35, v29, v100
	v_add_f32_e32 v2, v2, v3
	v_mul_f32_e32 v3, v15, v78
	v_add_f32_e32 v34, v34, v35
	s_waitcnt vmcnt(40) lgkmcnt(0)
	v_mul_f32_e32 v35, v30, v103
	v_fma_f32 v3, v14, v84, -v3
	v_fmac_f32_e32 v35, v31, v102
	v_add_f32_e32 v2, v2, v3
	v_mul_f32_e32 v3, v17, v79
	v_add_f32_e32 v38, v34, v35
	ds_read2_b64 v[34:37], v1 offset0:109 offset1:110
	v_fma_f32 v3, v16, v91, -v3
	v_add_f32_e32 v2, v2, v3
	v_mul_f32_e32 v3, v19, v80
	s_waitcnt vmcnt(38)
	v_mul_f32_e32 v39, v32, v105
	v_fma_f32 v3, v18, v90, -v3
	v_fmac_f32_e32 v39, v33, v104
	v_add_f32_e32 v2, v2, v3
	v_mul_f32_e32 v3, v21, v92
	v_add_f32_e32 v42, v38, v39
	ds_read2_b64 v[38:41], v1 offset0:111 offset1:112
	v_fma_f32 v3, v20, v89, -v3
	s_waitcnt vmcnt(36) lgkmcnt(1)
	v_mul_f32_e32 v43, v34, v107
	v_add_f32_e32 v2, v2, v3
	v_mul_f32_e32 v3, v23, v93
	v_fmac_f32_e32 v43, v35, v106
	v_fma_f32 v3, v22, v88, -v3
	v_add_f32_e32 v42, v42, v43
	s_waitcnt vmcnt(34)
	v_mul_f32_e32 v43, v36, v109
	v_add_f32_e32 v2, v2, v3
	v_mul_f32_e32 v3, v25, v97
	v_fmac_f32_e32 v43, v37, v108
	v_fma_f32 v3, v24, v96, -v3
	v_add_f32_e32 v42, v42, v43
	s_waitcnt vmcnt(32) lgkmcnt(0)
	v_mul_f32_e32 v43, v38, v111
	v_add_f32_e32 v2, v2, v3
	v_mul_f32_e32 v3, v27, v99
	v_fmac_f32_e32 v43, v39, v110
	v_fma_f32 v3, v26, v98, -v3
	v_add_f32_e32 v46, v42, v43
	ds_read2_b64 v[42:45], v1 offset0:113 offset1:114
	v_add_f32_e32 v2, v2, v3
	v_mul_f32_e32 v3, v29, v101
	v_fma_f32 v3, v28, v100, -v3
	s_waitcnt vmcnt(30)
	v_mul_f32_e32 v47, v40, v113
	v_add_f32_e32 v2, v2, v3
	v_mul_f32_e32 v3, v31, v103
	v_fmac_f32_e32 v47, v41, v112
	v_fma_f32 v3, v30, v102, -v3
	v_add_f32_e32 v50, v46, v47
	ds_read2_b64 v[46:49], v1 offset0:115 offset1:116
	v_add_f32_e32 v2, v2, v3
	v_mul_f32_e32 v3, v33, v105
	s_waitcnt vmcnt(28) lgkmcnt(1)
	v_mul_f32_e32 v51, v42, v115
	v_fma_f32 v3, v32, v104, -v3
	v_fmac_f32_e32 v51, v43, v114
	v_add_f32_e32 v2, v2, v3
	v_mul_f32_e32 v3, v35, v107
	v_add_f32_e32 v50, v50, v51
	s_waitcnt vmcnt(26)
	v_mul_f32_e32 v51, v44, v117
	v_fma_f32 v3, v34, v106, -v3
	v_fmac_f32_e32 v51, v45, v116
	v_add_f32_e32 v2, v2, v3
	v_mul_f32_e32 v3, v37, v109
	v_add_f32_e32 v50, v50, v51
	s_waitcnt vmcnt(24) lgkmcnt(0)
	v_mul_f32_e32 v51, v46, v119
	v_fma_f32 v3, v36, v108, -v3
	v_fmac_f32_e32 v51, v47, v118
	v_add_f32_e32 v2, v2, v3
	v_mul_f32_e32 v3, v39, v111
	v_add_f32_e32 v54, v50, v51
	ds_read2_b64 v[50:53], v1 offset0:117 offset1:118
	v_fma_f32 v3, v38, v110, -v3
	v_add_f32_e32 v2, v2, v3
	v_mul_f32_e32 v3, v41, v113
	s_waitcnt vmcnt(22)
	v_mul_f32_e32 v55, v48, v121
	v_fma_f32 v3, v40, v112, -v3
	v_fmac_f32_e32 v55, v49, v120
	v_add_f32_e32 v2, v2, v3
	v_mul_f32_e32 v3, v43, v115
	v_add_f32_e32 v58, v54, v55
	ds_read2_b64 v[54:57], v1 offset0:119 offset1:120
	v_fma_f32 v3, v42, v114, -v3
	s_waitcnt vmcnt(20) lgkmcnt(1)
	v_mul_f32_e32 v59, v50, v123
	v_add_f32_e32 v2, v2, v3
	v_mul_f32_e32 v3, v45, v117
	v_fmac_f32_e32 v59, v51, v122
	v_fma_f32 v3, v44, v116, -v3
	v_add_f32_e32 v58, v58, v59
	s_waitcnt vmcnt(18)
	v_mul_f32_e32 v59, v52, v125
	v_add_f32_e32 v2, v2, v3
	v_mul_f32_e32 v3, v47, v119
	v_fmac_f32_e32 v59, v53, v124
	v_fma_f32 v3, v46, v118, -v3
	v_add_f32_e32 v58, v58, v59
	s_waitcnt vmcnt(16) lgkmcnt(0)
	v_mul_f32_e32 v59, v54, v127
	v_add_f32_e32 v2, v2, v3
	v_mul_f32_e32 v3, v49, v121
	v_fmac_f32_e32 v59, v55, v126
	v_fma_f32 v3, v48, v120, -v3
	v_add_f32_e32 v62, v58, v59
	ds_read2_b64 v[58:61], v1 offset0:121 offset1:122
	v_add_f32_e32 v2, v2, v3
	v_mul_f32_e32 v3, v51, v123
	v_fma_f32 v3, v50, v122, -v3
	s_waitcnt vmcnt(14)
	v_mul_f32_e32 v63, v56, v129
	v_add_f32_e32 v2, v2, v3
	v_mul_f32_e32 v3, v53, v125
	v_fmac_f32_e32 v63, v57, v128
	v_fma_f32 v3, v52, v124, -v3
	v_add_f32_e32 v66, v62, v63
	ds_read2_b64 v[62:65], v1 offset0:123 offset1:124
	v_add_f32_e32 v2, v2, v3
	v_mul_f32_e32 v3, v55, v127
	s_waitcnt vmcnt(12) lgkmcnt(1)
	v_mul_f32_e32 v67, v58, v131
	v_fma_f32 v3, v54, v126, -v3
	v_fmac_f32_e32 v67, v59, v130
	v_add_f32_e32 v2, v2, v3
	v_mul_f32_e32 v3, v57, v129
	v_add_f32_e32 v66, v66, v67
	s_waitcnt vmcnt(11)
	v_mul_f32_e32 v67, v60, v132
	v_fma_f32 v3, v56, v128, -v3
	s_waitcnt vmcnt(8)
	v_fmac_f32_e32 v67, v61, v135
	v_add_f32_e32 v2, v2, v3
	v_mul_f32_e32 v3, v59, v131
	v_add_f32_e32 v66, v66, v67
	s_waitcnt lgkmcnt(0)
	v_mul_f32_e32 v67, v62, v134
	v_fma_f32 v3, v58, v130, -v3
	v_fmac_f32_e32 v67, v63, v133
	v_add_f32_e32 v2, v2, v3
	v_mul_f32_e32 v3, v61, v132
	v_add_f32_e32 v70, v66, v67
	ds_read2_b64 v[66:69], v1 offset0:125 offset1:126
	v_fma_f32 v3, v60, v135, -v3
	v_add_f32_e32 v2, v2, v3
	v_mul_f32_e32 v3, v63, v134
	s_waitcnt vmcnt(6)
	v_mul_f32_e32 v71, v64, v137
	v_fma_f32 v3, v62, v133, -v3
	v_fmac_f32_e32 v71, v65, v136
	v_add_f32_e32 v2, v2, v3
	v_mul_f32_e32 v3, v65, v137
	v_add_f32_e32 v144, v70, v71
	ds_read_b64 v[70:71], v1 offset:1016
	v_fma_f32 v3, v64, v136, -v3
	v_add_f32_e32 v2, v2, v3
	s_waitcnt vmcnt(4) lgkmcnt(1)
	v_mul_f32_e32 v3, v67, v139
	v_mul_f32_e32 v145, v66, v139
	v_fma_f32 v3, v66, v138, -v3
	v_fmac_f32_e32 v145, v67, v138
	v_add_f32_e32 v2, v2, v3
	s_waitcnt vmcnt(3)
	v_mul_f32_e32 v3, v69, v140
	v_add_f32_e32 v144, v144, v145
	v_mul_f32_e32 v145, v68, v140
	s_waitcnt vmcnt(0)
	v_fma_f32 v3, v68, v143, -v3
	v_fmac_f32_e32 v145, v69, v143
	v_add_f32_e32 v2, v2, v3
	s_waitcnt lgkmcnt(0)
	v_mul_f32_e32 v3, v71, v142
	v_add_f32_e32 v144, v144, v145
	v_mul_f32_e32 v145, v70, v142
	v_fma_f32 v3, v70, v141, -v3
	v_fmac_f32_e32 v145, v71, v141
	v_add_f32_e32 v2, v2, v3
	v_add_f32_e32 v144, v144, v145
	v_sub_f32_e32 v2, v94, v2
	v_sub_f32_e32 v3, v95, v144
	buffer_store_dword v2, off, s[0:3], 0 offset:224
	buffer_store_dword v3, off, s[0:3], 0 offset:228
	s_and_saveexec_b64 s[4:5], vcc
	s_cbranch_execz .LBB63_343
; %bb.342:
	buffer_load_dword v2, off, s[0:3], 0 offset:216
	buffer_load_dword v3, off, s[0:3], 0 offset:220
	s_waitcnt vmcnt(0)
	ds_write_b64 v249, v[2:3]
	buffer_store_dword v1, off, s[0:3], 0 offset:216
	buffer_store_dword v1, off, s[0:3], 0 offset:220
.LBB63_343:
	s_or_b64 exec, exec, s[4:5]
	s_waitcnt lgkmcnt(0)
	; wave barrier
	buffer_load_dword v74, off, s[0:3], 0 offset:228
	buffer_load_dword v75, off, s[0:3], 0 offset:236
	;; [unrolled: 1-line block ×26, first 2 shown]
	ds_read_b128 v[2:5], v1 offset:736
	ds_read_b128 v[6:9], v1 offset:752
	;; [unrolled: 1-line block ×6, first 2 shown]
	buffer_load_dword v100, off, s[0:3], 0 offset:320
	buffer_load_dword v101, off, s[0:3], 0 offset:324
	;; [unrolled: 1-line block ×46, first 2 shown]
	v_cmp_lt_u32_e32 vcc, 26, v0
	s_waitcnt vmcnt(62) lgkmcnt(5)
	v_mul_f32_e32 v26, v2, v74
	v_mul_f32_e32 v27, v4, v75
	s_waitcnt lgkmcnt(4)
	v_mul_f32_e32 v28, v6, v76
	v_mul_f32_e32 v29, v8, v77
	s_waitcnt lgkmcnt(3)
	;; [unrolled: 3-line block ×4, first 2 shown]
	v_mul_f32_e32 v34, v18, v82
	v_fmac_f32_e32 v28, v7, v83
	s_waitcnt vmcnt(61)
	v_fmac_f32_e32 v27, v5, v84
	s_waitcnt vmcnt(60)
	v_fmac_f32_e32 v26, v3, v85
	v_add_f32_e32 v26, 0, v26
	v_add_f32_e32 v26, v26, v27
	;; [unrolled: 1-line block ×3, first 2 shown]
	s_waitcnt vmcnt(56)
	v_fmac_f32_e32 v29, v9, v89
	v_fmac_f32_e32 v30, v11, v88
	v_add_f32_e32 v26, v26, v29
	v_fmac_f32_e32 v31, v13, v87
	v_add_f32_e32 v26, v26, v30
	;; [unrolled: 2-line block ×3, first 2 shown]
	s_waitcnt vmcnt(52)
	v_fmac_f32_e32 v33, v17, v93
	v_add_f32_e32 v26, v26, v32
	v_fmac_f32_e32 v34, v19, v92
	v_add_f32_e32 v26, v26, v33
	s_waitcnt vmcnt(51)
	v_mul_f32_e32 v27, v20, v94
	v_add_f32_e32 v26, v26, v34
	v_fmac_f32_e32 v27, v21, v91
	v_add_f32_e32 v26, v26, v27
	s_waitcnt vmcnt(50) lgkmcnt(0)
	v_mul_f32_e32 v27, v22, v95
	v_fmac_f32_e32 v27, v23, v90
	s_waitcnt vmcnt(46)
	v_mul_f32_e32 v31, v24, v99
	v_add_f32_e32 v30, v26, v27
	v_fmac_f32_e32 v31, v25, v98
	ds_read_b128 v[26:29], v1 offset:832
	v_add_f32_e32 v34, v30, v31
	ds_read_b128 v[30:33], v1 offset:848
	buffer_load_dword v146, off, s[0:3], 0 offset:504
	buffer_load_dword v147, off, s[0:3], 0 offset:508
	v_mul_f32_e32 v3, v3, v74
	v_fma_f32 v2, v2, v85, -v3
	v_mul_f32_e32 v3, v5, v75
	v_add_f32_e32 v2, 0, v2
	v_fma_f32 v3, v4, v84, -v3
	v_add_f32_e32 v2, v2, v3
	v_mul_f32_e32 v3, v7, v76
	v_fma_f32 v3, v6, v83, -v3
	v_add_f32_e32 v2, v2, v3
	v_mul_f32_e32 v3, v9, v77
	;; [unrolled: 3-line block ×3, first 2 shown]
	s_waitcnt vmcnt(46) lgkmcnt(1)
	v_mul_f32_e32 v35, v26, v101
	v_fma_f32 v3, v10, v88, -v3
	v_fmac_f32_e32 v35, v27, v100
	v_add_f32_e32 v2, v2, v3
	v_mul_f32_e32 v3, v13, v79
	v_add_f32_e32 v34, v34, v35
	s_waitcnt vmcnt(44)
	v_mul_f32_e32 v35, v28, v103
	v_fma_f32 v3, v12, v87, -v3
	v_fmac_f32_e32 v35, v29, v102
	v_add_f32_e32 v2, v2, v3
	v_mul_f32_e32 v3, v15, v80
	v_add_f32_e32 v34, v34, v35
	s_waitcnt vmcnt(42) lgkmcnt(0)
	v_mul_f32_e32 v35, v30, v105
	v_fma_f32 v3, v14, v86, -v3
	v_fmac_f32_e32 v35, v31, v104
	v_add_f32_e32 v2, v2, v3
	v_mul_f32_e32 v3, v17, v81
	v_add_f32_e32 v38, v34, v35
	ds_read_b128 v[34:37], v1 offset:864
	v_fma_f32 v3, v16, v93, -v3
	v_add_f32_e32 v2, v2, v3
	v_mul_f32_e32 v3, v19, v82
	s_waitcnt vmcnt(40)
	v_mul_f32_e32 v39, v32, v107
	v_fma_f32 v3, v18, v92, -v3
	v_fmac_f32_e32 v39, v33, v106
	v_add_f32_e32 v2, v2, v3
	v_mul_f32_e32 v3, v21, v94
	v_add_f32_e32 v42, v38, v39
	ds_read_b128 v[38:41], v1 offset:880
	v_fma_f32 v3, v20, v91, -v3
	s_waitcnt vmcnt(38) lgkmcnt(1)
	v_mul_f32_e32 v43, v34, v109
	v_add_f32_e32 v2, v2, v3
	v_mul_f32_e32 v3, v23, v95
	v_fmac_f32_e32 v43, v35, v108
	v_fma_f32 v3, v22, v90, -v3
	v_add_f32_e32 v42, v42, v43
	s_waitcnt vmcnt(36)
	v_mul_f32_e32 v43, v36, v111
	v_add_f32_e32 v2, v2, v3
	v_mul_f32_e32 v3, v25, v99
	v_fmac_f32_e32 v43, v37, v110
	v_fma_f32 v3, v24, v98, -v3
	v_add_f32_e32 v42, v42, v43
	s_waitcnt vmcnt(34) lgkmcnt(0)
	v_mul_f32_e32 v43, v38, v113
	v_add_f32_e32 v2, v2, v3
	v_mul_f32_e32 v3, v27, v101
	v_fmac_f32_e32 v43, v39, v112
	v_fma_f32 v3, v26, v100, -v3
	v_add_f32_e32 v46, v42, v43
	ds_read_b128 v[42:45], v1 offset:896
	v_add_f32_e32 v2, v2, v3
	v_mul_f32_e32 v3, v29, v103
	v_fma_f32 v3, v28, v102, -v3
	s_waitcnt vmcnt(32)
	v_mul_f32_e32 v47, v40, v115
	v_add_f32_e32 v2, v2, v3
	v_mul_f32_e32 v3, v31, v105
	v_fmac_f32_e32 v47, v41, v114
	v_fma_f32 v3, v30, v104, -v3
	v_add_f32_e32 v50, v46, v47
	ds_read_b128 v[46:49], v1 offset:912
	v_add_f32_e32 v2, v2, v3
	v_mul_f32_e32 v3, v33, v107
	s_waitcnt vmcnt(30) lgkmcnt(1)
	v_mul_f32_e32 v51, v42, v117
	v_fma_f32 v3, v32, v106, -v3
	v_fmac_f32_e32 v51, v43, v116
	v_add_f32_e32 v2, v2, v3
	v_mul_f32_e32 v3, v35, v109
	v_add_f32_e32 v50, v50, v51
	s_waitcnt vmcnt(28)
	v_mul_f32_e32 v51, v44, v119
	v_fma_f32 v3, v34, v108, -v3
	v_fmac_f32_e32 v51, v45, v118
	v_add_f32_e32 v2, v2, v3
	v_mul_f32_e32 v3, v37, v111
	v_add_f32_e32 v50, v50, v51
	s_waitcnt vmcnt(26) lgkmcnt(0)
	v_mul_f32_e32 v51, v46, v121
	v_fma_f32 v3, v36, v110, -v3
	v_fmac_f32_e32 v51, v47, v120
	v_add_f32_e32 v2, v2, v3
	v_mul_f32_e32 v3, v39, v113
	v_add_f32_e32 v54, v50, v51
	ds_read_b128 v[50:53], v1 offset:928
	v_fma_f32 v3, v38, v112, -v3
	v_add_f32_e32 v2, v2, v3
	v_mul_f32_e32 v3, v41, v115
	s_waitcnt vmcnt(24)
	v_mul_f32_e32 v55, v48, v123
	v_fma_f32 v3, v40, v114, -v3
	v_fmac_f32_e32 v55, v49, v122
	v_add_f32_e32 v2, v2, v3
	v_mul_f32_e32 v3, v43, v117
	v_add_f32_e32 v58, v54, v55
	ds_read_b128 v[54:57], v1 offset:944
	v_fma_f32 v3, v42, v116, -v3
	s_waitcnt vmcnt(22) lgkmcnt(1)
	v_mul_f32_e32 v59, v50, v125
	v_add_f32_e32 v2, v2, v3
	v_mul_f32_e32 v3, v45, v119
	v_fmac_f32_e32 v59, v51, v124
	v_fma_f32 v3, v44, v118, -v3
	v_add_f32_e32 v58, v58, v59
	s_waitcnt vmcnt(20)
	v_mul_f32_e32 v59, v52, v127
	v_add_f32_e32 v2, v2, v3
	v_mul_f32_e32 v3, v47, v121
	v_fmac_f32_e32 v59, v53, v126
	v_fma_f32 v3, v46, v120, -v3
	v_add_f32_e32 v58, v58, v59
	s_waitcnt vmcnt(18) lgkmcnt(0)
	v_mul_f32_e32 v59, v54, v129
	v_add_f32_e32 v2, v2, v3
	v_mul_f32_e32 v3, v49, v123
	v_fmac_f32_e32 v59, v55, v128
	v_fma_f32 v3, v48, v122, -v3
	v_add_f32_e32 v62, v58, v59
	ds_read_b128 v[58:61], v1 offset:960
	v_add_f32_e32 v2, v2, v3
	v_mul_f32_e32 v3, v51, v125
	v_fma_f32 v3, v50, v124, -v3
	s_waitcnt vmcnt(16)
	v_mul_f32_e32 v63, v56, v131
	v_add_f32_e32 v2, v2, v3
	v_mul_f32_e32 v3, v53, v127
	v_fmac_f32_e32 v63, v57, v130
	v_fma_f32 v3, v52, v126, -v3
	v_add_f32_e32 v66, v62, v63
	ds_read_b128 v[62:65], v1 offset:976
	v_add_f32_e32 v2, v2, v3
	v_mul_f32_e32 v3, v55, v129
	s_waitcnt vmcnt(14) lgkmcnt(1)
	v_mul_f32_e32 v67, v58, v133
	v_fma_f32 v3, v54, v128, -v3
	v_fmac_f32_e32 v67, v59, v132
	v_add_f32_e32 v2, v2, v3
	v_mul_f32_e32 v3, v57, v131
	v_add_f32_e32 v66, v66, v67
	s_waitcnt vmcnt(13)
	v_mul_f32_e32 v67, v60, v134
	v_fma_f32 v3, v56, v130, -v3
	s_waitcnt vmcnt(10)
	v_fmac_f32_e32 v67, v61, v137
	v_add_f32_e32 v2, v2, v3
	v_mul_f32_e32 v3, v59, v133
	v_add_f32_e32 v66, v66, v67
	s_waitcnt lgkmcnt(0)
	v_mul_f32_e32 v67, v62, v136
	v_fma_f32 v3, v58, v132, -v3
	v_fmac_f32_e32 v67, v63, v135
	v_add_f32_e32 v2, v2, v3
	v_mul_f32_e32 v3, v61, v134
	v_add_f32_e32 v70, v66, v67
	ds_read_b128 v[66:69], v1 offset:992
	v_fma_f32 v3, v60, v137, -v3
	v_add_f32_e32 v2, v2, v3
	v_mul_f32_e32 v3, v63, v136
	s_waitcnt vmcnt(8)
	v_mul_f32_e32 v71, v64, v139
	v_fma_f32 v3, v62, v135, -v3
	v_fmac_f32_e32 v71, v65, v138
	v_add_f32_e32 v2, v2, v3
	v_mul_f32_e32 v3, v65, v139
	v_add_f32_e32 v148, v70, v71
	ds_read_b128 v[70:73], v1 offset:1008
	v_fma_f32 v3, v64, v138, -v3
	v_add_f32_e32 v2, v2, v3
	s_waitcnt vmcnt(6) lgkmcnt(1)
	v_mul_f32_e32 v3, v67, v141
	v_mul_f32_e32 v1, v66, v141
	v_fma_f32 v3, v66, v140, -v3
	v_fmac_f32_e32 v1, v67, v140
	v_add_f32_e32 v2, v2, v3
	s_waitcnt vmcnt(5)
	v_mul_f32_e32 v3, v69, v142
	v_add_f32_e32 v1, v148, v1
	v_mul_f32_e32 v148, v68, v142
	s_waitcnt vmcnt(2)
	v_fma_f32 v3, v68, v145, -v3
	v_fmac_f32_e32 v148, v69, v145
	v_add_f32_e32 v2, v2, v3
	s_waitcnt lgkmcnt(0)
	v_mul_f32_e32 v3, v71, v144
	v_add_f32_e32 v1, v1, v148
	v_mul_f32_e32 v148, v70, v144
	v_fma_f32 v3, v70, v143, -v3
	v_fmac_f32_e32 v148, v71, v143
	v_add_f32_e32 v2, v2, v3
	s_waitcnt vmcnt(0)
	v_mul_f32_e32 v3, v73, v147
	v_add_f32_e32 v1, v1, v148
	v_mul_f32_e32 v148, v72, v147
	v_fma_f32 v3, v72, v146, -v3
	v_fmac_f32_e32 v148, v73, v146
	v_add_f32_e32 v2, v2, v3
	v_add_f32_e32 v1, v1, v148
	v_sub_f32_e32 v2, v96, v2
	v_sub_f32_e32 v1, v97, v1
	buffer_store_dword v2, off, s[0:3], 0 offset:216
	buffer_store_dword v1, off, s[0:3], 0 offset:220
	s_and_saveexec_b64 s[4:5], vcc
	s_cbranch_execz .LBB63_345
; %bb.344:
	buffer_load_dword v1, off, s[0:3], 0 offset:208
	buffer_load_dword v2, off, s[0:3], 0 offset:212
	v_mov_b32_e32 v3, 0
	buffer_store_dword v3, off, s[0:3], 0 offset:208
	buffer_store_dword v3, off, s[0:3], 0 offset:212
	s_waitcnt vmcnt(2)
	ds_write_b64 v249, v[1:2]
.LBB63_345:
	s_or_b64 exec, exec, s[4:5]
	s_waitcnt lgkmcnt(0)
	; wave barrier
	buffer_load_dword v76, off, s[0:3], 0 offset:220
	buffer_load_dword v77, off, s[0:3], 0 offset:228
	;; [unrolled: 1-line block ×50, first 2 shown]
	v_mov_b32_e32 v1, 0
	ds_read2_b64 v[2:5], v1 offset0:91 offset1:92
	ds_read2_b64 v[6:9], v1 offset0:93 offset1:94
	;; [unrolled: 1-line block ×6, first 2 shown]
	buffer_load_dword v126, off, s[0:3], 0 offset:408
	buffer_load_dword v127, off, s[0:3], 0 offset:412
	buffer_load_dword v128, off, s[0:3], 0 offset:420
	buffer_load_dword v129, off, s[0:3], 0 offset:424
	buffer_load_dword v130, off, s[0:3], 0 offset:428
	buffer_load_dword v131, off, s[0:3], 0 offset:416
	buffer_load_dword v132, off, s[0:3], 0 offset:432
	buffer_load_dword v133, off, s[0:3], 0 offset:436
	buffer_load_dword v134, off, s[0:3], 0 offset:440
	buffer_load_dword v135, off, s[0:3], 0 offset:444
	buffer_load_dword v136, off, s[0:3], 0 offset:452
	buffer_load_dword v137, off, s[0:3], 0 offset:456
	buffer_load_dword v138, off, s[0:3], 0 offset:460
	buffer_load_dword v139, off, s[0:3], 0 offset:448
	buffer_load_dword v140, off, s[0:3], 0 offset:464
	buffer_load_dword v141, off, s[0:3], 0 offset:468
	v_cmp_lt_u32_e32 vcc, 25, v0
	s_waitcnt vmcnt(62) lgkmcnt(5)
	v_mul_f32_e32 v26, v2, v76
	v_mul_f32_e32 v27, v4, v77
	s_waitcnt lgkmcnt(4)
	v_mul_f32_e32 v28, v6, v78
	v_mul_f32_e32 v29, v8, v79
	s_waitcnt vmcnt(61) lgkmcnt(3)
	v_mul_f32_e32 v30, v10, v80
	s_waitcnt vmcnt(60)
	v_mul_f32_e32 v31, v12, v81
	s_waitcnt vmcnt(59) lgkmcnt(2)
	v_mul_f32_e32 v32, v14, v82
	s_waitcnt vmcnt(58)
	;; [unrolled: 4-line block ×3, first 2 shown]
	v_fmac_f32_e32 v28, v7, v85
	s_waitcnt vmcnt(55)
	v_fmac_f32_e32 v27, v5, v86
	s_waitcnt vmcnt(54)
	v_fmac_f32_e32 v26, v3, v87
	v_add_f32_e32 v26, 0, v26
	v_add_f32_e32 v26, v26, v27
	;; [unrolled: 1-line block ×3, first 2 shown]
	s_waitcnt vmcnt(50)
	v_fmac_f32_e32 v29, v9, v91
	v_fmac_f32_e32 v30, v11, v90
	v_add_f32_e32 v26, v26, v29
	v_fmac_f32_e32 v31, v13, v89
	v_add_f32_e32 v26, v26, v30
	;; [unrolled: 2-line block ×3, first 2 shown]
	s_waitcnt vmcnt(46)
	v_fmac_f32_e32 v33, v17, v95
	v_add_f32_e32 v26, v26, v32
	v_fmac_f32_e32 v34, v19, v94
	v_add_f32_e32 v26, v26, v33
	s_waitcnt vmcnt(45)
	v_mul_f32_e32 v27, v20, v96
	v_add_f32_e32 v26, v26, v34
	v_fmac_f32_e32 v27, v21, v93
	v_add_f32_e32 v26, v26, v27
	s_waitcnt vmcnt(44) lgkmcnt(0)
	v_mul_f32_e32 v27, v22, v97
	v_fmac_f32_e32 v27, v23, v92
	v_add_f32_e32 v30, v26, v27
	ds_read2_b64 v[26:29], v1 offset0:103 offset1:104
	buffer_load_dword v142, off, s[0:3], 0 offset:472
	buffer_load_dword v143, off, s[0:3], 0 offset:476
	;; [unrolled: 1-line block ×6, first 2 shown]
	s_waitcnt vmcnt(49)
	v_mul_f32_e32 v31, v24, v98
	s_waitcnt vmcnt(42)
	v_fmac_f32_e32 v31, v25, v105
	v_add_f32_e32 v34, v30, v31
	ds_read2_b64 v[30:33], v1 offset0:105 offset1:106
	buffer_load_dword v148, off, s[0:3], 0 offset:500
	buffer_load_dword v149, off, s[0:3], 0 offset:504
	;; [unrolled: 1-line block ×4, first 2 shown]
	v_mul_f32_e32 v3, v3, v76
	v_fma_f32 v2, v2, v87, -v3
	v_mul_f32_e32 v3, v5, v77
	v_add_f32_e32 v2, 0, v2
	v_fma_f32 v3, v4, v86, -v3
	v_add_f32_e32 v2, v2, v3
	v_mul_f32_e32 v3, v7, v78
	v_fma_f32 v3, v6, v85, -v3
	v_add_f32_e32 v2, v2, v3
	v_mul_f32_e32 v3, v9, v79
	v_fma_f32 v3, v8, v91, -v3
	s_waitcnt lgkmcnt(1)
	v_mul_f32_e32 v35, v26, v100
	v_add_f32_e32 v2, v2, v3
	v_mul_f32_e32 v3, v11, v80
	v_fmac_f32_e32 v35, v27, v99
	v_fma_f32 v3, v10, v90, -v3
	v_add_f32_e32 v34, v34, v35
	v_mul_f32_e32 v35, v28, v102
	v_add_f32_e32 v2, v2, v3
	v_mul_f32_e32 v3, v13, v81
	v_fmac_f32_e32 v35, v29, v101
	v_fma_f32 v3, v12, v89, -v3
	v_add_f32_e32 v34, v34, v35
	s_waitcnt lgkmcnt(0)
	v_mul_f32_e32 v35, v30, v104
	v_add_f32_e32 v2, v2, v3
	v_mul_f32_e32 v3, v15, v82
	v_fmac_f32_e32 v35, v31, v103
	v_fma_f32 v3, v14, v88, -v3
	v_add_f32_e32 v38, v34, v35
	ds_read2_b64 v[34:37], v1 offset0:107 offset1:108
	v_add_f32_e32 v2, v2, v3
	v_mul_f32_e32 v3, v17, v83
	v_fma_f32 v3, v16, v95, -v3
	s_waitcnt vmcnt(42)
	v_mul_f32_e32 v39, v32, v109
	v_add_f32_e32 v2, v2, v3
	v_mul_f32_e32 v3, v19, v84
	v_fmac_f32_e32 v39, v33, v108
	v_fma_f32 v3, v18, v94, -v3
	v_add_f32_e32 v42, v38, v39
	ds_read2_b64 v[38:41], v1 offset0:109 offset1:110
	v_add_f32_e32 v2, v2, v3
	v_mul_f32_e32 v3, v21, v96
	s_waitcnt vmcnt(40) lgkmcnt(1)
	v_mul_f32_e32 v43, v34, v111
	v_fma_f32 v3, v20, v93, -v3
	v_fmac_f32_e32 v43, v35, v110
	v_add_f32_e32 v2, v2, v3
	v_mul_f32_e32 v3, v23, v97
	v_add_f32_e32 v42, v42, v43
	s_waitcnt vmcnt(38)
	v_mul_f32_e32 v43, v36, v113
	v_fma_f32 v3, v22, v92, -v3
	v_fmac_f32_e32 v43, v37, v112
	v_add_f32_e32 v2, v2, v3
	v_mul_f32_e32 v3, v25, v98
	v_add_f32_e32 v42, v42, v43
	s_waitcnt vmcnt(36) lgkmcnt(0)
	v_mul_f32_e32 v43, v38, v115
	v_fma_f32 v3, v24, v105, -v3
	v_fmac_f32_e32 v43, v39, v114
	v_add_f32_e32 v2, v2, v3
	v_mul_f32_e32 v3, v27, v100
	v_add_f32_e32 v46, v42, v43
	ds_read2_b64 v[42:45], v1 offset0:111 offset1:112
	v_fma_f32 v3, v26, v99, -v3
	v_add_f32_e32 v2, v2, v3
	v_mul_f32_e32 v3, v29, v102
	s_waitcnt vmcnt(34)
	v_mul_f32_e32 v47, v40, v117
	v_fma_f32 v3, v28, v101, -v3
	v_fmac_f32_e32 v47, v41, v116
	v_add_f32_e32 v2, v2, v3
	v_mul_f32_e32 v3, v31, v104
	v_add_f32_e32 v50, v46, v47
	ds_read2_b64 v[46:49], v1 offset0:113 offset1:114
	v_fma_f32 v3, v30, v103, -v3
	s_waitcnt vmcnt(32) lgkmcnt(1)
	v_mul_f32_e32 v51, v42, v119
	v_add_f32_e32 v2, v2, v3
	v_mul_f32_e32 v3, v33, v109
	v_fmac_f32_e32 v51, v43, v118
	v_fma_f32 v3, v32, v108, -v3
	v_add_f32_e32 v50, v50, v51
	s_waitcnt vmcnt(30)
	v_mul_f32_e32 v51, v44, v121
	v_add_f32_e32 v2, v2, v3
	v_mul_f32_e32 v3, v35, v111
	v_fmac_f32_e32 v51, v45, v120
	v_fma_f32 v3, v34, v110, -v3
	v_add_f32_e32 v50, v50, v51
	s_waitcnt vmcnt(28) lgkmcnt(0)
	v_mul_f32_e32 v51, v46, v123
	v_add_f32_e32 v2, v2, v3
	v_mul_f32_e32 v3, v37, v113
	v_fmac_f32_e32 v51, v47, v122
	v_fma_f32 v3, v36, v112, -v3
	v_add_f32_e32 v54, v50, v51
	ds_read2_b64 v[50:53], v1 offset0:115 offset1:116
	v_add_f32_e32 v2, v2, v3
	v_mul_f32_e32 v3, v39, v115
	v_fma_f32 v3, v38, v114, -v3
	s_waitcnt vmcnt(26)
	v_mul_f32_e32 v55, v48, v125
	v_add_f32_e32 v2, v2, v3
	v_mul_f32_e32 v3, v41, v117
	v_fmac_f32_e32 v55, v49, v124
	v_fma_f32 v3, v40, v116, -v3
	v_add_f32_e32 v58, v54, v55
	ds_read2_b64 v[54:57], v1 offset0:117 offset1:118
	v_add_f32_e32 v2, v2, v3
	v_mul_f32_e32 v3, v43, v119
	s_waitcnt vmcnt(24) lgkmcnt(1)
	v_mul_f32_e32 v59, v50, v127
	v_fma_f32 v3, v42, v118, -v3
	v_fmac_f32_e32 v59, v51, v126
	v_add_f32_e32 v2, v2, v3
	v_mul_f32_e32 v3, v45, v121
	v_add_f32_e32 v58, v58, v59
	s_waitcnt vmcnt(23)
	v_mul_f32_e32 v59, v52, v128
	v_fma_f32 v3, v44, v120, -v3
	s_waitcnt vmcnt(20)
	v_fmac_f32_e32 v59, v53, v131
	v_add_f32_e32 v2, v2, v3
	v_mul_f32_e32 v3, v47, v123
	v_add_f32_e32 v58, v58, v59
	s_waitcnt lgkmcnt(0)
	v_mul_f32_e32 v59, v54, v130
	v_fma_f32 v3, v46, v122, -v3
	v_fmac_f32_e32 v59, v55, v129
	v_add_f32_e32 v2, v2, v3
	v_mul_f32_e32 v3, v49, v125
	v_add_f32_e32 v62, v58, v59
	ds_read2_b64 v[58:61], v1 offset0:119 offset1:120
	v_fma_f32 v3, v48, v124, -v3
	v_add_f32_e32 v2, v2, v3
	v_mul_f32_e32 v3, v51, v127
	s_waitcnt vmcnt(18)
	v_mul_f32_e32 v63, v56, v133
	v_fma_f32 v3, v50, v126, -v3
	v_fmac_f32_e32 v63, v57, v132
	v_add_f32_e32 v2, v2, v3
	v_mul_f32_e32 v3, v53, v128
	v_add_f32_e32 v66, v62, v63
	ds_read2_b64 v[62:65], v1 offset0:121 offset1:122
	v_fma_f32 v3, v52, v131, -v3
	s_waitcnt vmcnt(16) lgkmcnt(1)
	v_mul_f32_e32 v67, v58, v135
	v_add_f32_e32 v2, v2, v3
	v_mul_f32_e32 v3, v55, v130
	v_fmac_f32_e32 v67, v59, v134
	v_fma_f32 v3, v54, v129, -v3
	v_add_f32_e32 v66, v66, v67
	s_waitcnt vmcnt(15)
	v_mul_f32_e32 v67, v60, v136
	v_add_f32_e32 v2, v2, v3
	v_mul_f32_e32 v3, v57, v133
	s_waitcnt vmcnt(12)
	v_fmac_f32_e32 v67, v61, v139
	v_fma_f32 v3, v56, v132, -v3
	v_add_f32_e32 v66, v66, v67
	s_waitcnt lgkmcnt(0)
	v_mul_f32_e32 v67, v62, v138
	v_add_f32_e32 v2, v2, v3
	v_mul_f32_e32 v3, v59, v135
	v_fmac_f32_e32 v67, v63, v137
	v_fma_f32 v3, v58, v134, -v3
	v_add_f32_e32 v70, v66, v67
	ds_read2_b64 v[66:69], v1 offset0:123 offset1:124
	v_add_f32_e32 v2, v2, v3
	v_mul_f32_e32 v3, v61, v136
	v_fma_f32 v3, v60, v139, -v3
	v_add_f32_e32 v2, v2, v3
	v_mul_f32_e32 v3, v63, v138
	s_waitcnt vmcnt(10)
	v_mul_f32_e32 v71, v64, v141
	v_fma_f32 v3, v62, v137, -v3
	v_fmac_f32_e32 v71, v65, v140
	v_add_f32_e32 v2, v2, v3
	v_mul_f32_e32 v3, v65, v141
	v_add_f32_e32 v74, v70, v71
	ds_read2_b64 v[70:73], v1 offset0:125 offset1:126
	s_waitcnt vmcnt(8) lgkmcnt(1)
	v_mul_f32_e32 v75, v66, v143
	v_fma_f32 v3, v64, v140, -v3
	v_fmac_f32_e32 v75, v67, v142
	v_add_f32_e32 v2, v2, v3
	v_mul_f32_e32 v3, v67, v143
	v_add_f32_e32 v74, v74, v75
	s_waitcnt vmcnt(7)
	v_mul_f32_e32 v75, v68, v144
	v_fma_f32 v3, v66, v142, -v3
	s_waitcnt vmcnt(4)
	v_fmac_f32_e32 v75, v69, v147
	v_add_f32_e32 v2, v2, v3
	v_mul_f32_e32 v3, v69, v144
	v_add_f32_e32 v152, v74, v75
	ds_read_b64 v[74:75], v1 offset:1016
	v_fma_f32 v3, v68, v147, -v3
	v_add_f32_e32 v2, v2, v3
	s_waitcnt lgkmcnt(1)
	v_mul_f32_e32 v3, v71, v146
	v_mul_f32_e32 v153, v70, v146
	v_fma_f32 v3, v70, v145, -v3
	v_fmac_f32_e32 v153, v71, v145
	v_add_f32_e32 v2, v2, v3
	s_waitcnt vmcnt(3)
	v_mul_f32_e32 v3, v73, v148
	v_add_f32_e32 v152, v152, v153
	v_mul_f32_e32 v153, v72, v148
	s_waitcnt vmcnt(0)
	v_fma_f32 v3, v72, v151, -v3
	v_fmac_f32_e32 v153, v73, v151
	v_add_f32_e32 v2, v2, v3
	s_waitcnt lgkmcnt(0)
	v_mul_f32_e32 v3, v75, v150
	v_add_f32_e32 v152, v152, v153
	v_mul_f32_e32 v153, v74, v150
	v_fma_f32 v3, v74, v149, -v3
	v_fmac_f32_e32 v153, v75, v149
	v_add_f32_e32 v2, v2, v3
	v_add_f32_e32 v152, v152, v153
	v_sub_f32_e32 v2, v106, v2
	v_sub_f32_e32 v3, v107, v152
	buffer_store_dword v2, off, s[0:3], 0 offset:208
	buffer_store_dword v3, off, s[0:3], 0 offset:212
	s_and_saveexec_b64 s[4:5], vcc
	s_cbranch_execz .LBB63_347
; %bb.346:
	buffer_load_dword v2, off, s[0:3], 0 offset:200
	buffer_load_dword v3, off, s[0:3], 0 offset:204
	s_waitcnt vmcnt(0)
	ds_write_b64 v249, v[2:3]
	buffer_store_dword v1, off, s[0:3], 0 offset:200
	buffer_store_dword v1, off, s[0:3], 0 offset:204
.LBB63_347:
	s_or_b64 exec, exec, s[4:5]
	s_waitcnt lgkmcnt(0)
	; wave barrier
	buffer_load_dword v78, off, s[0:3], 0 offset:212
	buffer_load_dword v79, off, s[0:3], 0 offset:220
	;; [unrolled: 1-line block ×32, first 2 shown]
	ds_read_b128 v[2:5], v1 offset:720
	ds_read_b128 v[6:9], v1 offset:736
	;; [unrolled: 1-line block ×6, first 2 shown]
	buffer_load_dword v110, off, s[0:3], 0 offset:328
	buffer_load_dword v111, off, s[0:3], 0 offset:332
	buffer_load_dword v112, off, s[0:3], 0 offset:336
	buffer_load_dword v113, off, s[0:3], 0 offset:340
	buffer_load_dword v114, off, s[0:3], 0 offset:344
	buffer_load_dword v115, off, s[0:3], 0 offset:348
	buffer_load_dword v116, off, s[0:3], 0 offset:352
	buffer_load_dword v117, off, s[0:3], 0 offset:356
	buffer_load_dword v118, off, s[0:3], 0 offset:360
	buffer_load_dword v119, off, s[0:3], 0 offset:364
	buffer_load_dword v120, off, s[0:3], 0 offset:368
	buffer_load_dword v121, off, s[0:3], 0 offset:372
	buffer_load_dword v122, off, s[0:3], 0 offset:376
	buffer_load_dword v123, off, s[0:3], 0 offset:380
	buffer_load_dword v124, off, s[0:3], 0 offset:384
	buffer_load_dword v125, off, s[0:3], 0 offset:388
	buffer_load_dword v126, off, s[0:3], 0 offset:392
	buffer_load_dword v127, off, s[0:3], 0 offset:396
	buffer_load_dword v128, off, s[0:3], 0 offset:400
	buffer_load_dword v129, off, s[0:3], 0 offset:404
	buffer_load_dword v130, off, s[0:3], 0 offset:412
	buffer_load_dword v131, off, s[0:3], 0 offset:416
	buffer_load_dword v132, off, s[0:3], 0 offset:420
	buffer_load_dword v133, off, s[0:3], 0 offset:408
	buffer_load_dword v134, off, s[0:3], 0 offset:424
	buffer_load_dword v135, off, s[0:3], 0 offset:428
	buffer_load_dword v136, off, s[0:3], 0 offset:432
	buffer_load_dword v137, off, s[0:3], 0 offset:436
	buffer_load_dword v138, off, s[0:3], 0 offset:444
	buffer_load_dword v139, off, s[0:3], 0 offset:448
	buffer_load_dword v140, off, s[0:3], 0 offset:452
	buffer_load_dword v141, off, s[0:3], 0 offset:440
	v_cmp_lt_u32_e32 vcc, 24, v0
	s_waitcnt vmcnt(62) lgkmcnt(5)
	v_mul_f32_e32 v26, v2, v78
	v_mul_f32_e32 v27, v4, v79
	s_waitcnt vmcnt(61) lgkmcnt(4)
	v_mul_f32_e32 v28, v6, v80
	s_waitcnt vmcnt(60)
	v_mul_f32_e32 v29, v8, v81
	s_waitcnt vmcnt(59) lgkmcnt(3)
	v_mul_f32_e32 v30, v10, v82
	s_waitcnt vmcnt(58)
	;; [unrolled: 4-line block ×4, first 2 shown]
	v_mul_f32_e32 v35, v20, v87
	s_waitcnt vmcnt(53)
	v_fmac_f32_e32 v28, v7, v88
	s_waitcnt vmcnt(52)
	v_fmac_f32_e32 v27, v5, v89
	;; [unrolled: 2-line block ×3, first 2 shown]
	v_add_f32_e32 v26, 0, v26
	v_add_f32_e32 v26, v26, v27
	;; [unrolled: 1-line block ×3, first 2 shown]
	s_waitcnt vmcnt(47)
	v_fmac_f32_e32 v29, v9, v94
	v_fmac_f32_e32 v30, v11, v93
	v_add_f32_e32 v26, v26, v29
	v_fmac_f32_e32 v31, v13, v92
	v_add_f32_e32 v26, v26, v30
	;; [unrolled: 2-line block ×3, first 2 shown]
	s_waitcnt vmcnt(43)
	v_fmac_f32_e32 v33, v17, v98
	v_add_f32_e32 v26, v26, v32
	v_fmac_f32_e32 v34, v19, v97
	v_add_f32_e32 v26, v26, v33
	;; [unrolled: 2-line block ×3, first 2 shown]
	s_waitcnt vmcnt(42) lgkmcnt(0)
	v_mul_f32_e32 v27, v22, v99
	v_add_f32_e32 v26, v26, v35
	v_fmac_f32_e32 v27, v23, v95
	v_add_f32_e32 v30, v26, v27
	ds_read_b128 v[26:29], v1 offset:816
	buffer_load_dword v142, off, s[0:3], 0 offset:456
	buffer_load_dword v143, off, s[0:3], 0 offset:460
	s_waitcnt vmcnt(43)
	v_mul_f32_e32 v31, v24, v100
	s_waitcnt vmcnt(37)
	v_fmac_f32_e32 v31, v25, v106
	v_add_f32_e32 v34, v30, v31
	ds_read_b128 v[30:33], v1 offset:832
	buffer_load_dword v144, off, s[0:3], 0 offset:464
	buffer_load_dword v145, off, s[0:3], 0 offset:468
	;; [unrolled: 1-line block ×12, first 2 shown]
	v_mul_f32_e32 v3, v3, v78
	v_fma_f32 v2, v2, v90, -v3
	v_mul_f32_e32 v3, v5, v79
	v_add_f32_e32 v2, 0, v2
	v_fma_f32 v3, v4, v89, -v3
	v_add_f32_e32 v2, v2, v3
	v_mul_f32_e32 v3, v7, v80
	v_fma_f32 v3, v6, v88, -v3
	v_add_f32_e32 v2, v2, v3
	v_mul_f32_e32 v3, v9, v81
	v_fma_f32 v3, v8, v94, -v3
	s_waitcnt vmcnt(48) lgkmcnt(1)
	v_mul_f32_e32 v35, v26, v107
	v_add_f32_e32 v2, v2, v3
	v_mul_f32_e32 v3, v11, v82
	v_fmac_f32_e32 v35, v27, v105
	v_fma_f32 v3, v10, v93, -v3
	v_add_f32_e32 v34, v34, v35
	v_mul_f32_e32 v35, v28, v102
	v_add_f32_e32 v2, v2, v3
	v_mul_f32_e32 v3, v13, v83
	v_fmac_f32_e32 v35, v29, v101
	v_fma_f32 v3, v12, v92, -v3
	v_add_f32_e32 v34, v34, v35
	s_waitcnt lgkmcnt(0)
	v_mul_f32_e32 v35, v30, v104
	v_add_f32_e32 v2, v2, v3
	v_mul_f32_e32 v3, v15, v84
	v_fmac_f32_e32 v35, v31, v103
	v_fma_f32 v3, v14, v91, -v3
	v_add_f32_e32 v38, v34, v35
	ds_read_b128 v[34:37], v1 offset:848
	v_add_f32_e32 v2, v2, v3
	v_mul_f32_e32 v3, v17, v85
	v_fma_f32 v3, v16, v98, -v3
	s_waitcnt vmcnt(44)
	v_mul_f32_e32 v39, v32, v111
	v_add_f32_e32 v2, v2, v3
	v_mul_f32_e32 v3, v19, v86
	v_fmac_f32_e32 v39, v33, v110
	v_fma_f32 v3, v18, v97, -v3
	v_add_f32_e32 v42, v38, v39
	ds_read_b128 v[38:41], v1 offset:864
	v_add_f32_e32 v2, v2, v3
	v_mul_f32_e32 v3, v21, v87
	s_waitcnt vmcnt(42) lgkmcnt(1)
	v_mul_f32_e32 v43, v34, v113
	v_fma_f32 v3, v20, v96, -v3
	v_fmac_f32_e32 v43, v35, v112
	v_add_f32_e32 v2, v2, v3
	v_mul_f32_e32 v3, v23, v99
	v_add_f32_e32 v42, v42, v43
	s_waitcnt vmcnt(40)
	v_mul_f32_e32 v43, v36, v115
	v_fma_f32 v3, v22, v95, -v3
	v_fmac_f32_e32 v43, v37, v114
	v_add_f32_e32 v2, v2, v3
	v_mul_f32_e32 v3, v25, v100
	v_add_f32_e32 v42, v42, v43
	s_waitcnt vmcnt(38) lgkmcnt(0)
	v_mul_f32_e32 v43, v38, v117
	v_fma_f32 v3, v24, v106, -v3
	v_fmac_f32_e32 v43, v39, v116
	v_add_f32_e32 v2, v2, v3
	v_mul_f32_e32 v3, v27, v107
	v_add_f32_e32 v46, v42, v43
	ds_read_b128 v[42:45], v1 offset:880
	v_fma_f32 v3, v26, v105, -v3
	v_add_f32_e32 v2, v2, v3
	v_mul_f32_e32 v3, v29, v102
	s_waitcnt vmcnt(36)
	v_mul_f32_e32 v47, v40, v119
	v_fma_f32 v3, v28, v101, -v3
	v_fmac_f32_e32 v47, v41, v118
	v_add_f32_e32 v2, v2, v3
	v_mul_f32_e32 v3, v31, v104
	v_add_f32_e32 v50, v46, v47
	ds_read_b128 v[46:49], v1 offset:896
	v_fma_f32 v3, v30, v103, -v3
	s_waitcnt vmcnt(34) lgkmcnt(1)
	v_mul_f32_e32 v51, v42, v121
	v_add_f32_e32 v2, v2, v3
	v_mul_f32_e32 v3, v33, v111
	v_fmac_f32_e32 v51, v43, v120
	v_fma_f32 v3, v32, v110, -v3
	v_add_f32_e32 v50, v50, v51
	s_waitcnt vmcnt(32)
	v_mul_f32_e32 v51, v44, v123
	v_add_f32_e32 v2, v2, v3
	v_mul_f32_e32 v3, v35, v113
	v_fmac_f32_e32 v51, v45, v122
	v_fma_f32 v3, v34, v112, -v3
	v_add_f32_e32 v50, v50, v51
	s_waitcnt vmcnt(30) lgkmcnt(0)
	v_mul_f32_e32 v51, v46, v125
	v_add_f32_e32 v2, v2, v3
	v_mul_f32_e32 v3, v37, v115
	v_fmac_f32_e32 v51, v47, v124
	v_fma_f32 v3, v36, v114, -v3
	v_add_f32_e32 v54, v50, v51
	ds_read_b128 v[50:53], v1 offset:912
	v_add_f32_e32 v2, v2, v3
	v_mul_f32_e32 v3, v39, v117
	v_fma_f32 v3, v38, v116, -v3
	s_waitcnt vmcnt(28)
	v_mul_f32_e32 v55, v48, v127
	v_add_f32_e32 v2, v2, v3
	v_mul_f32_e32 v3, v41, v119
	v_fmac_f32_e32 v55, v49, v126
	v_fma_f32 v3, v40, v118, -v3
	v_add_f32_e32 v58, v54, v55
	ds_read_b128 v[54:57], v1 offset:928
	v_add_f32_e32 v2, v2, v3
	v_mul_f32_e32 v3, v43, v121
	s_waitcnt vmcnt(26) lgkmcnt(1)
	v_mul_f32_e32 v59, v50, v129
	v_fma_f32 v3, v42, v120, -v3
	v_fmac_f32_e32 v59, v51, v128
	v_add_f32_e32 v2, v2, v3
	v_mul_f32_e32 v3, v45, v123
	v_add_f32_e32 v58, v58, v59
	s_waitcnt vmcnt(25)
	v_mul_f32_e32 v59, v52, v130
	v_fma_f32 v3, v44, v122, -v3
	s_waitcnt vmcnt(22)
	v_fmac_f32_e32 v59, v53, v133
	v_add_f32_e32 v2, v2, v3
	v_mul_f32_e32 v3, v47, v125
	v_add_f32_e32 v58, v58, v59
	s_waitcnt lgkmcnt(0)
	v_mul_f32_e32 v59, v54, v132
	v_fma_f32 v3, v46, v124, -v3
	v_fmac_f32_e32 v59, v55, v131
	v_add_f32_e32 v2, v2, v3
	v_mul_f32_e32 v3, v49, v127
	v_add_f32_e32 v62, v58, v59
	ds_read_b128 v[58:61], v1 offset:944
	v_fma_f32 v3, v48, v126, -v3
	v_add_f32_e32 v2, v2, v3
	v_mul_f32_e32 v3, v51, v129
	s_waitcnt vmcnt(20)
	v_mul_f32_e32 v63, v56, v135
	v_fma_f32 v3, v50, v128, -v3
	v_fmac_f32_e32 v63, v57, v134
	v_add_f32_e32 v2, v2, v3
	v_mul_f32_e32 v3, v53, v130
	v_add_f32_e32 v66, v62, v63
	ds_read_b128 v[62:65], v1 offset:960
	v_fma_f32 v3, v52, v133, -v3
	s_waitcnt vmcnt(18) lgkmcnt(1)
	v_mul_f32_e32 v67, v58, v137
	v_add_f32_e32 v2, v2, v3
	v_mul_f32_e32 v3, v55, v132
	v_fmac_f32_e32 v67, v59, v136
	v_fma_f32 v3, v54, v131, -v3
	v_add_f32_e32 v66, v66, v67
	s_waitcnt vmcnt(17)
	v_mul_f32_e32 v67, v60, v138
	v_add_f32_e32 v2, v2, v3
	v_mul_f32_e32 v3, v57, v135
	s_waitcnt vmcnt(14)
	v_fmac_f32_e32 v67, v61, v141
	v_fma_f32 v3, v56, v134, -v3
	v_add_f32_e32 v66, v66, v67
	s_waitcnt lgkmcnt(0)
	v_mul_f32_e32 v67, v62, v140
	v_add_f32_e32 v2, v2, v3
	v_mul_f32_e32 v3, v59, v137
	v_fmac_f32_e32 v67, v63, v139
	v_fma_f32 v3, v58, v136, -v3
	v_add_f32_e32 v70, v66, v67
	ds_read_b128 v[66:69], v1 offset:976
	v_add_f32_e32 v2, v2, v3
	v_mul_f32_e32 v3, v61, v138
	v_fma_f32 v3, v60, v141, -v3
	v_add_f32_e32 v2, v2, v3
	v_mul_f32_e32 v3, v63, v140
	s_waitcnt vmcnt(12)
	v_mul_f32_e32 v71, v64, v143
	v_fma_f32 v3, v62, v139, -v3
	v_fmac_f32_e32 v71, v65, v142
	v_add_f32_e32 v2, v2, v3
	v_mul_f32_e32 v3, v65, v143
	v_add_f32_e32 v74, v70, v71
	ds_read_b128 v[70:73], v1 offset:992
	s_waitcnt vmcnt(10) lgkmcnt(1)
	v_mul_f32_e32 v75, v66, v145
	v_fma_f32 v3, v64, v142, -v3
	v_fmac_f32_e32 v75, v67, v144
	v_add_f32_e32 v2, v2, v3
	v_mul_f32_e32 v3, v67, v145
	v_add_f32_e32 v74, v74, v75
	s_waitcnt vmcnt(9)
	v_mul_f32_e32 v75, v68, v146
	v_fma_f32 v3, v66, v144, -v3
	s_waitcnt vmcnt(6)
	v_fmac_f32_e32 v75, v69, v149
	v_add_f32_e32 v2, v2, v3
	v_mul_f32_e32 v3, v69, v146
	v_add_f32_e32 v156, v74, v75
	ds_read_b128 v[74:77], v1 offset:1008
	v_fma_f32 v3, v68, v149, -v3
	v_add_f32_e32 v2, v2, v3
	s_waitcnt lgkmcnt(1)
	v_mul_f32_e32 v3, v71, v148
	v_mul_f32_e32 v157, v70, v148
	v_fma_f32 v3, v70, v147, -v3
	v_fmac_f32_e32 v157, v71, v147
	v_add_f32_e32 v2, v2, v3
	s_waitcnt vmcnt(4)
	v_mul_f32_e32 v3, v73, v151
	v_add_f32_e32 v1, v156, v157
	v_mul_f32_e32 v156, v72, v151
	v_fma_f32 v3, v72, v150, -v3
	v_fmac_f32_e32 v156, v73, v150
	v_add_f32_e32 v2, v2, v3
	s_waitcnt vmcnt(3) lgkmcnt(0)
	v_mul_f32_e32 v3, v75, v152
	v_add_f32_e32 v1, v1, v156
	v_mul_f32_e32 v156, v74, v152
	s_waitcnt vmcnt(0)
	v_fma_f32 v3, v74, v155, -v3
	v_fmac_f32_e32 v156, v75, v155
	v_add_f32_e32 v2, v2, v3
	v_mul_f32_e32 v3, v77, v154
	v_add_f32_e32 v1, v1, v156
	v_mul_f32_e32 v156, v76, v154
	v_fma_f32 v3, v76, v153, -v3
	v_fmac_f32_e32 v156, v77, v153
	v_add_f32_e32 v2, v2, v3
	v_add_f32_e32 v1, v1, v156
	v_sub_f32_e32 v2, v108, v2
	v_sub_f32_e32 v1, v109, v1
	buffer_store_dword v2, off, s[0:3], 0 offset:200
	buffer_store_dword v1, off, s[0:3], 0 offset:204
	s_and_saveexec_b64 s[4:5], vcc
	s_cbranch_execz .LBB63_349
; %bb.348:
	buffer_load_dword v1, off, s[0:3], 0 offset:192
	buffer_load_dword v2, off, s[0:3], 0 offset:196
	v_mov_b32_e32 v3, 0
	buffer_store_dword v3, off, s[0:3], 0 offset:192
	buffer_store_dword v3, off, s[0:3], 0 offset:196
	s_waitcnt vmcnt(2)
	ds_write_b64 v249, v[1:2]
.LBB63_349:
	s_or_b64 exec, exec, s[4:5]
	s_waitcnt lgkmcnt(0)
	; wave barrier
	buffer_load_dword v80, off, s[0:3], 0 offset:204
	buffer_load_dword v81, off, s[0:3], 0 offset:212
	;; [unrolled: 1-line block ×50, first 2 shown]
	v_mov_b32_e32 v1, 0
	ds_read2_b64 v[2:5], v1 offset0:89 offset1:90
	ds_read2_b64 v[6:9], v1 offset0:91 offset1:92
	;; [unrolled: 1-line block ×6, first 2 shown]
	buffer_load_dword v130, off, s[0:3], 0 offset:392
	buffer_load_dword v131, off, s[0:3], 0 offset:396
	;; [unrolled: 1-line block ×8, first 2 shown]
	v_cmp_lt_u32_e32 vcc, 23, v0
	s_waitcnt vmcnt(57) lgkmcnt(5)
	v_mul_f32_e32 v26, v2, v80
	s_waitcnt vmcnt(56)
	v_mul_f32_e32 v27, v4, v81
	s_waitcnt vmcnt(55) lgkmcnt(4)
	v_mul_f32_e32 v28, v6, v82
	s_waitcnt vmcnt(54)
	v_mul_f32_e32 v29, v8, v83
	;; [unrolled: 4-line block ×5, first 2 shown]
	s_waitcnt vmcnt(47) lgkmcnt(0)
	v_mul_f32_e32 v36, v22, v90
	s_waitcnt vmcnt(46)
	v_fmac_f32_e32 v28, v7, v91
	s_waitcnt vmcnt(45)
	v_fmac_f32_e32 v27, v5, v92
	s_waitcnt vmcnt(44)
	v_fmac_f32_e32 v26, v3, v93
	v_add_f32_e32 v26, 0, v26
	v_add_f32_e32 v26, v26, v27
	;; [unrolled: 1-line block ×3, first 2 shown]
	s_waitcnt vmcnt(40)
	v_fmac_f32_e32 v29, v9, v97
	v_fmac_f32_e32 v30, v11, v96
	v_add_f32_e32 v26, v26, v29
	v_fmac_f32_e32 v31, v13, v95
	v_add_f32_e32 v26, v26, v30
	;; [unrolled: 2-line block ×3, first 2 shown]
	s_waitcnt vmcnt(36)
	v_fmac_f32_e32 v33, v17, v101
	v_add_f32_e32 v26, v26, v32
	v_fmac_f32_e32 v34, v19, v100
	v_add_f32_e32 v26, v26, v33
	;; [unrolled: 2-line block ×3, first 2 shown]
	v_add_f32_e32 v26, v26, v35
	v_fmac_f32_e32 v36, v23, v98
	v_add_f32_e32 v30, v26, v36
	ds_read2_b64 v[26:29], v1 offset0:101 offset1:102
	buffer_load_dword v138, off, s[0:3], 0 offset:424
	buffer_load_dword v139, off, s[0:3], 0 offset:428
	;; [unrolled: 1-line block ×6, first 2 shown]
	s_waitcnt vmcnt(41)
	v_mul_f32_e32 v31, v24, v102
	s_waitcnt vmcnt(34)
	v_fmac_f32_e32 v31, v25, v109
	v_add_f32_e32 v34, v30, v31
	ds_read2_b64 v[30:33], v1 offset0:103 offset1:104
	buffer_load_dword v144, off, s[0:3], 0 offset:448
	buffer_load_dword v145, off, s[0:3], 0 offset:452
	;; [unrolled: 1-line block ×16, first 2 shown]
	v_mul_f32_e32 v3, v3, v80
	v_fma_f32 v2, v2, v93, -v3
	v_mul_f32_e32 v3, v5, v81
	v_add_f32_e32 v2, 0, v2
	v_fma_f32 v3, v4, v92, -v3
	v_add_f32_e32 v2, v2, v3
	v_mul_f32_e32 v3, v7, v82
	v_fma_f32 v3, v6, v91, -v3
	s_waitcnt lgkmcnt(1)
	v_mul_f32_e32 v35, v26, v104
	v_add_f32_e32 v2, v2, v3
	v_mul_f32_e32 v3, v9, v83
	v_fmac_f32_e32 v35, v27, v103
	v_fma_f32 v3, v8, v97, -v3
	v_add_f32_e32 v34, v34, v35
	v_mul_f32_e32 v35, v28, v106
	v_add_f32_e32 v2, v2, v3
	v_mul_f32_e32 v3, v11, v84
	v_fmac_f32_e32 v35, v29, v105
	v_fma_f32 v3, v10, v96, -v3
	v_add_f32_e32 v34, v34, v35
	s_waitcnt lgkmcnt(0)
	v_mul_f32_e32 v35, v30, v108
	v_add_f32_e32 v2, v2, v3
	v_mul_f32_e32 v3, v13, v85
	v_fmac_f32_e32 v35, v31, v107
	v_fma_f32 v3, v12, v95, -v3
	v_add_f32_e32 v38, v34, v35
	ds_read2_b64 v[34:37], v1 offset0:105 offset1:106
	v_add_f32_e32 v2, v2, v3
	v_mul_f32_e32 v3, v15, v86
	v_fma_f32 v3, v14, v94, -v3
	s_waitcnt vmcnt(46)
	v_mul_f32_e32 v39, v32, v113
	v_add_f32_e32 v2, v2, v3
	v_mul_f32_e32 v3, v17, v87
	v_fmac_f32_e32 v39, v33, v112
	v_fma_f32 v3, v16, v101, -v3
	v_add_f32_e32 v42, v38, v39
	ds_read2_b64 v[38:41], v1 offset0:107 offset1:108
	v_add_f32_e32 v2, v2, v3
	v_mul_f32_e32 v3, v19, v88
	s_waitcnt vmcnt(44) lgkmcnt(1)
	v_mul_f32_e32 v43, v34, v115
	v_fma_f32 v3, v18, v100, -v3
	v_fmac_f32_e32 v43, v35, v114
	v_add_f32_e32 v2, v2, v3
	v_mul_f32_e32 v3, v21, v89
	v_add_f32_e32 v42, v42, v43
	s_waitcnt vmcnt(42)
	v_mul_f32_e32 v43, v36, v117
	v_fma_f32 v3, v20, v99, -v3
	v_fmac_f32_e32 v43, v37, v116
	v_add_f32_e32 v2, v2, v3
	v_mul_f32_e32 v3, v23, v90
	v_add_f32_e32 v42, v42, v43
	s_waitcnt vmcnt(40) lgkmcnt(0)
	v_mul_f32_e32 v43, v38, v119
	v_fma_f32 v3, v22, v98, -v3
	v_fmac_f32_e32 v43, v39, v118
	v_add_f32_e32 v2, v2, v3
	v_mul_f32_e32 v3, v25, v102
	v_add_f32_e32 v46, v42, v43
	ds_read2_b64 v[42:45], v1 offset0:109 offset1:110
	v_fma_f32 v3, v24, v109, -v3
	v_add_f32_e32 v2, v2, v3
	v_mul_f32_e32 v3, v27, v104
	s_waitcnt vmcnt(38)
	v_mul_f32_e32 v47, v40, v121
	v_fma_f32 v3, v26, v103, -v3
	v_fmac_f32_e32 v47, v41, v120
	v_add_f32_e32 v2, v2, v3
	v_mul_f32_e32 v3, v29, v106
	v_add_f32_e32 v50, v46, v47
	ds_read2_b64 v[46:49], v1 offset0:111 offset1:112
	v_fma_f32 v3, v28, v105, -v3
	s_waitcnt vmcnt(36) lgkmcnt(1)
	v_mul_f32_e32 v51, v42, v123
	v_add_f32_e32 v2, v2, v3
	v_mul_f32_e32 v3, v31, v108
	v_fmac_f32_e32 v51, v43, v122
	v_fma_f32 v3, v30, v107, -v3
	v_add_f32_e32 v50, v50, v51
	s_waitcnt vmcnt(34)
	v_mul_f32_e32 v51, v44, v125
	v_add_f32_e32 v2, v2, v3
	v_mul_f32_e32 v3, v33, v113
	v_fmac_f32_e32 v51, v45, v124
	v_fma_f32 v3, v32, v112, -v3
	v_add_f32_e32 v50, v50, v51
	s_waitcnt vmcnt(32) lgkmcnt(0)
	v_mul_f32_e32 v51, v46, v127
	v_add_f32_e32 v2, v2, v3
	v_mul_f32_e32 v3, v35, v115
	v_fmac_f32_e32 v51, v47, v126
	v_fma_f32 v3, v34, v114, -v3
	v_add_f32_e32 v54, v50, v51
	ds_read2_b64 v[50:53], v1 offset0:113 offset1:114
	v_add_f32_e32 v2, v2, v3
	v_mul_f32_e32 v3, v37, v117
	v_fma_f32 v3, v36, v116, -v3
	s_waitcnt vmcnt(30)
	v_mul_f32_e32 v55, v48, v129
	v_add_f32_e32 v2, v2, v3
	v_mul_f32_e32 v3, v39, v119
	v_fmac_f32_e32 v55, v49, v128
	v_fma_f32 v3, v38, v118, -v3
	v_add_f32_e32 v58, v54, v55
	ds_read2_b64 v[54:57], v1 offset0:115 offset1:116
	v_add_f32_e32 v2, v2, v3
	v_mul_f32_e32 v3, v41, v121
	s_waitcnt vmcnt(28) lgkmcnt(1)
	v_mul_f32_e32 v59, v50, v131
	v_fma_f32 v3, v40, v120, -v3
	v_fmac_f32_e32 v59, v51, v130
	v_add_f32_e32 v2, v2, v3
	v_mul_f32_e32 v3, v43, v123
	v_add_f32_e32 v58, v58, v59
	s_waitcnt vmcnt(27)
	v_mul_f32_e32 v59, v52, v132
	v_fma_f32 v3, v42, v122, -v3
	s_waitcnt vmcnt(24)
	v_fmac_f32_e32 v59, v53, v135
	v_add_f32_e32 v2, v2, v3
	v_mul_f32_e32 v3, v45, v125
	v_add_f32_e32 v58, v58, v59
	s_waitcnt lgkmcnt(0)
	v_mul_f32_e32 v59, v54, v134
	v_fma_f32 v3, v44, v124, -v3
	v_fmac_f32_e32 v59, v55, v133
	v_add_f32_e32 v2, v2, v3
	v_mul_f32_e32 v3, v47, v127
	v_add_f32_e32 v62, v58, v59
	ds_read2_b64 v[58:61], v1 offset0:117 offset1:118
	v_fma_f32 v3, v46, v126, -v3
	v_add_f32_e32 v2, v2, v3
	v_mul_f32_e32 v3, v49, v129
	s_waitcnt vmcnt(22)
	v_mul_f32_e32 v63, v56, v137
	v_fma_f32 v3, v48, v128, -v3
	v_fmac_f32_e32 v63, v57, v136
	v_add_f32_e32 v2, v2, v3
	v_mul_f32_e32 v3, v51, v131
	v_add_f32_e32 v66, v62, v63
	ds_read2_b64 v[62:65], v1 offset0:119 offset1:120
	v_fma_f32 v3, v50, v130, -v3
	s_waitcnt vmcnt(20) lgkmcnt(1)
	v_mul_f32_e32 v67, v58, v139
	v_add_f32_e32 v2, v2, v3
	v_mul_f32_e32 v3, v53, v132
	v_fmac_f32_e32 v67, v59, v138
	v_fma_f32 v3, v52, v135, -v3
	v_add_f32_e32 v66, v66, v67
	s_waitcnt vmcnt(19)
	v_mul_f32_e32 v67, v60, v140
	v_add_f32_e32 v2, v2, v3
	v_mul_f32_e32 v3, v55, v134
	s_waitcnt vmcnt(16)
	v_fmac_f32_e32 v67, v61, v143
	v_fma_f32 v3, v54, v133, -v3
	v_add_f32_e32 v66, v66, v67
	s_waitcnt lgkmcnt(0)
	v_mul_f32_e32 v67, v62, v142
	v_add_f32_e32 v2, v2, v3
	v_mul_f32_e32 v3, v57, v137
	v_fmac_f32_e32 v67, v63, v141
	v_fma_f32 v3, v56, v136, -v3
	v_add_f32_e32 v70, v66, v67
	ds_read2_b64 v[66:69], v1 offset0:121 offset1:122
	v_add_f32_e32 v2, v2, v3
	v_mul_f32_e32 v3, v59, v139
	v_fma_f32 v3, v58, v138, -v3
	s_waitcnt vmcnt(14)
	v_mul_f32_e32 v71, v64, v145
	v_add_f32_e32 v2, v2, v3
	v_mul_f32_e32 v3, v61, v140
	v_fmac_f32_e32 v71, v65, v144
	v_fma_f32 v3, v60, v143, -v3
	v_add_f32_e32 v74, v70, v71
	ds_read2_b64 v[70:73], v1 offset0:123 offset1:124
	v_add_f32_e32 v2, v2, v3
	v_mul_f32_e32 v3, v63, v142
	s_waitcnt vmcnt(12) lgkmcnt(1)
	v_mul_f32_e32 v75, v66, v147
	v_fma_f32 v3, v62, v141, -v3
	v_fmac_f32_e32 v75, v67, v146
	v_add_f32_e32 v2, v2, v3
	v_mul_f32_e32 v3, v65, v145
	v_add_f32_e32 v74, v74, v75
	s_waitcnt vmcnt(11)
	v_mul_f32_e32 v75, v68, v148
	v_fma_f32 v3, v64, v144, -v3
	s_waitcnt vmcnt(8)
	v_fmac_f32_e32 v75, v69, v151
	v_add_f32_e32 v2, v2, v3
	v_mul_f32_e32 v3, v67, v147
	v_add_f32_e32 v74, v74, v75
	s_waitcnt lgkmcnt(0)
	v_mul_f32_e32 v75, v70, v150
	v_fma_f32 v3, v66, v146, -v3
	v_fmac_f32_e32 v75, v71, v149
	v_add_f32_e32 v2, v2, v3
	v_mul_f32_e32 v3, v69, v148
	v_add_f32_e32 v78, v74, v75
	ds_read2_b64 v[74:77], v1 offset0:125 offset1:126
	v_fma_f32 v3, v68, v151, -v3
	v_add_f32_e32 v2, v2, v3
	v_mul_f32_e32 v3, v71, v150
	s_waitcnt vmcnt(6)
	v_mul_f32_e32 v79, v72, v153
	v_fma_f32 v3, v70, v149, -v3
	v_fmac_f32_e32 v79, v73, v152
	v_add_f32_e32 v2, v2, v3
	v_mul_f32_e32 v3, v73, v153
	v_add_f32_e32 v160, v78, v79
	ds_read_b64 v[78:79], v1 offset:1016
	v_fma_f32 v3, v72, v152, -v3
	v_add_f32_e32 v2, v2, v3
	s_waitcnt vmcnt(4) lgkmcnt(1)
	v_mul_f32_e32 v3, v75, v155
	v_mul_f32_e32 v161, v74, v155
	v_fma_f32 v3, v74, v154, -v3
	v_fmac_f32_e32 v161, v75, v154
	v_add_f32_e32 v2, v2, v3
	s_waitcnt vmcnt(3)
	v_mul_f32_e32 v3, v77, v156
	v_add_f32_e32 v160, v160, v161
	v_mul_f32_e32 v161, v76, v156
	s_waitcnt vmcnt(0)
	v_fma_f32 v3, v76, v159, -v3
	v_fmac_f32_e32 v161, v77, v159
	v_add_f32_e32 v2, v2, v3
	s_waitcnt lgkmcnt(0)
	v_mul_f32_e32 v3, v79, v158
	v_add_f32_e32 v160, v160, v161
	v_mul_f32_e32 v161, v78, v158
	v_fma_f32 v3, v78, v157, -v3
	v_fmac_f32_e32 v161, v79, v157
	v_add_f32_e32 v2, v2, v3
	v_add_f32_e32 v160, v160, v161
	v_sub_f32_e32 v2, v110, v2
	v_sub_f32_e32 v3, v111, v160
	buffer_store_dword v2, off, s[0:3], 0 offset:192
	buffer_store_dword v3, off, s[0:3], 0 offset:196
	s_and_saveexec_b64 s[4:5], vcc
	s_cbranch_execz .LBB63_351
; %bb.350:
	buffer_load_dword v2, off, s[0:3], 0 offset:184
	buffer_load_dword v3, off, s[0:3], 0 offset:188
	s_waitcnt vmcnt(0)
	ds_write_b64 v249, v[2:3]
	buffer_store_dword v1, off, s[0:3], 0 offset:184
	buffer_store_dword v1, off, s[0:3], 0 offset:188
.LBB63_351:
	s_or_b64 exec, exec, s[4:5]
	s_waitcnt lgkmcnt(0)
	; wave barrier
	buffer_load_dword v82, off, s[0:3], 0 offset:196
	buffer_load_dword v83, off, s[0:3], 0 offset:204
	;; [unrolled: 1-line block ×32, first 2 shown]
	ds_read_b128 v[2:5], v1 offset:704
	ds_read_b128 v[6:9], v1 offset:720
	;; [unrolled: 1-line block ×6, first 2 shown]
	buffer_load_dword v114, off, s[0:3], 0 offset:312
	buffer_load_dword v115, off, s[0:3], 0 offset:316
	;; [unrolled: 1-line block ×26, first 2 shown]
	v_cmp_lt_u32_e32 vcc, 22, v0
	s_waitcnt vmcnt(57) lgkmcnt(5)
	v_mul_f32_e32 v26, v2, v82
	s_waitcnt vmcnt(56)
	v_mul_f32_e32 v27, v4, v83
	s_waitcnt vmcnt(55) lgkmcnt(4)
	v_mul_f32_e32 v28, v6, v84
	s_waitcnt vmcnt(54)
	v_mul_f32_e32 v29, v8, v85
	;; [unrolled: 4-line block ×5, first 2 shown]
	s_waitcnt vmcnt(47) lgkmcnt(0)
	v_mul_f32_e32 v36, v22, v92
	s_waitcnt vmcnt(46)
	v_fmac_f32_e32 v28, v7, v93
	s_waitcnt vmcnt(45)
	v_fmac_f32_e32 v27, v5, v94
	;; [unrolled: 2-line block ×3, first 2 shown]
	v_add_f32_e32 v26, 0, v26
	v_add_f32_e32 v26, v26, v27
	;; [unrolled: 1-line block ×3, first 2 shown]
	s_waitcnt vmcnt(40)
	v_fmac_f32_e32 v29, v9, v99
	v_fmac_f32_e32 v30, v11, v98
	v_add_f32_e32 v26, v26, v29
	v_fmac_f32_e32 v31, v13, v97
	v_add_f32_e32 v26, v26, v30
	;; [unrolled: 2-line block ×3, first 2 shown]
	s_waitcnt vmcnt(36)
	v_fmac_f32_e32 v33, v17, v103
	v_add_f32_e32 v26, v26, v32
	v_fmac_f32_e32 v34, v19, v102
	v_add_f32_e32 v26, v26, v33
	;; [unrolled: 2-line block ×4, first 2 shown]
	v_add_f32_e32 v30, v26, v36
	ds_read_b128 v[26:29], v1 offset:800
	buffer_load_dword v140, off, s[0:3], 0 offset:416
	buffer_load_dword v141, off, s[0:3], 0 offset:420
	;; [unrolled: 1-line block ×6, first 2 shown]
	s_waitcnt vmcnt(41)
	v_mul_f32_e32 v31, v24, v104
	s_waitcnt vmcnt(35)
	v_fmac_f32_e32 v31, v25, v110
	v_add_f32_e32 v34, v30, v31
	ds_read_b128 v[30:33], v1 offset:816
	buffer_load_dword v146, off, s[0:3], 0 offset:440
	buffer_load_dword v147, off, s[0:3], 0 offset:444
	;; [unrolled: 1-line block ×10, first 2 shown]
	s_waitcnt vmcnt(44) lgkmcnt(1)
	v_mul_f32_e32 v35, v26, v111
	v_fmac_f32_e32 v35, v27, v109
	v_add_f32_e32 v34, v34, v35
	v_mul_f32_e32 v35, v28, v106
	v_fmac_f32_e32 v35, v29, v105
	v_add_f32_e32 v34, v34, v35
	s_waitcnt lgkmcnt(0)
	v_mul_f32_e32 v35, v30, v108
	buffer_load_dword v156, off, s[0:3], 0 offset:480
	buffer_load_dword v157, off, s[0:3], 0 offset:484
	;; [unrolled: 1-line block ×6, first 2 shown]
	v_fmac_f32_e32 v35, v31, v107
	s_waitcnt vmcnt(46)
	v_mul_f32_e32 v39, v32, v115
	v_add_f32_e32 v38, v34, v35
	v_fmac_f32_e32 v39, v33, v114
	ds_read_b128 v[34:37], v1 offset:832
	v_add_f32_e32 v42, v38, v39
	ds_read_b128 v[38:41], v1 offset:848
	buffer_load_dword v162, off, s[0:3], 0 offset:504
	buffer_load_dword v163, off, s[0:3], 0 offset:508
	v_mul_f32_e32 v3, v3, v82
	v_fma_f32 v2, v2, v95, -v3
	v_mul_f32_e32 v3, v5, v83
	v_add_f32_e32 v2, 0, v2
	v_fma_f32 v3, v4, v94, -v3
	v_add_f32_e32 v2, v2, v3
	v_mul_f32_e32 v3, v7, v84
	v_fma_f32 v3, v6, v93, -v3
	v_add_f32_e32 v2, v2, v3
	v_mul_f32_e32 v3, v9, v85
	;; [unrolled: 3-line block ×7, first 2 shown]
	s_waitcnt vmcnt(46) lgkmcnt(1)
	v_mul_f32_e32 v43, v34, v117
	v_fma_f32 v3, v18, v102, -v3
	v_fmac_f32_e32 v43, v35, v116
	v_add_f32_e32 v2, v2, v3
	v_mul_f32_e32 v3, v21, v91
	v_add_f32_e32 v42, v42, v43
	s_waitcnt vmcnt(44)
	v_mul_f32_e32 v43, v36, v119
	v_fma_f32 v3, v20, v101, -v3
	v_fmac_f32_e32 v43, v37, v118
	v_add_f32_e32 v2, v2, v3
	v_mul_f32_e32 v3, v23, v92
	v_add_f32_e32 v42, v42, v43
	s_waitcnt vmcnt(42) lgkmcnt(0)
	v_mul_f32_e32 v43, v38, v121
	v_fma_f32 v3, v22, v100, -v3
	v_fmac_f32_e32 v43, v39, v120
	v_add_f32_e32 v2, v2, v3
	v_mul_f32_e32 v3, v25, v104
	v_add_f32_e32 v46, v42, v43
	ds_read_b128 v[42:45], v1 offset:864
	v_fma_f32 v3, v24, v110, -v3
	v_add_f32_e32 v2, v2, v3
	v_mul_f32_e32 v3, v27, v111
	s_waitcnt vmcnt(40)
	v_mul_f32_e32 v47, v40, v123
	v_fma_f32 v3, v26, v109, -v3
	v_fmac_f32_e32 v47, v41, v122
	v_add_f32_e32 v2, v2, v3
	v_mul_f32_e32 v3, v29, v106
	v_add_f32_e32 v50, v46, v47
	ds_read_b128 v[46:49], v1 offset:880
	v_fma_f32 v3, v28, v105, -v3
	s_waitcnt vmcnt(38) lgkmcnt(1)
	v_mul_f32_e32 v51, v42, v125
	v_add_f32_e32 v2, v2, v3
	v_mul_f32_e32 v3, v31, v108
	v_fmac_f32_e32 v51, v43, v124
	v_fma_f32 v3, v30, v107, -v3
	v_add_f32_e32 v50, v50, v51
	s_waitcnt vmcnt(36)
	v_mul_f32_e32 v51, v44, v127
	v_add_f32_e32 v2, v2, v3
	v_mul_f32_e32 v3, v33, v115
	v_fmac_f32_e32 v51, v45, v126
	v_fma_f32 v3, v32, v114, -v3
	v_add_f32_e32 v50, v50, v51
	s_waitcnt vmcnt(34) lgkmcnt(0)
	v_mul_f32_e32 v51, v46, v129
	v_add_f32_e32 v2, v2, v3
	v_mul_f32_e32 v3, v35, v117
	v_fmac_f32_e32 v51, v47, v128
	v_fma_f32 v3, v34, v116, -v3
	v_add_f32_e32 v54, v50, v51
	ds_read_b128 v[50:53], v1 offset:896
	v_add_f32_e32 v2, v2, v3
	v_mul_f32_e32 v3, v37, v119
	v_fma_f32 v3, v36, v118, -v3
	s_waitcnt vmcnt(32)
	v_mul_f32_e32 v55, v48, v131
	v_add_f32_e32 v2, v2, v3
	v_mul_f32_e32 v3, v39, v121
	v_fmac_f32_e32 v55, v49, v130
	v_fma_f32 v3, v38, v120, -v3
	v_add_f32_e32 v58, v54, v55
	ds_read_b128 v[54:57], v1 offset:912
	v_add_f32_e32 v2, v2, v3
	v_mul_f32_e32 v3, v41, v123
	s_waitcnt vmcnt(30) lgkmcnt(1)
	v_mul_f32_e32 v59, v50, v133
	v_fma_f32 v3, v40, v122, -v3
	v_fmac_f32_e32 v59, v51, v132
	v_add_f32_e32 v2, v2, v3
	v_mul_f32_e32 v3, v43, v125
	v_add_f32_e32 v58, v58, v59
	s_waitcnt vmcnt(29)
	v_mul_f32_e32 v59, v52, v134
	v_fma_f32 v3, v42, v124, -v3
	s_waitcnt vmcnt(26)
	v_fmac_f32_e32 v59, v53, v137
	v_add_f32_e32 v2, v2, v3
	v_mul_f32_e32 v3, v45, v127
	v_add_f32_e32 v58, v58, v59
	s_waitcnt lgkmcnt(0)
	v_mul_f32_e32 v59, v54, v136
	v_fma_f32 v3, v44, v126, -v3
	v_fmac_f32_e32 v59, v55, v135
	v_add_f32_e32 v2, v2, v3
	v_mul_f32_e32 v3, v47, v129
	v_add_f32_e32 v62, v58, v59
	ds_read_b128 v[58:61], v1 offset:928
	v_fma_f32 v3, v46, v128, -v3
	v_add_f32_e32 v2, v2, v3
	v_mul_f32_e32 v3, v49, v131
	s_waitcnt vmcnt(24)
	v_mul_f32_e32 v63, v56, v139
	v_fma_f32 v3, v48, v130, -v3
	v_fmac_f32_e32 v63, v57, v138
	v_add_f32_e32 v2, v2, v3
	v_mul_f32_e32 v3, v51, v133
	v_add_f32_e32 v66, v62, v63
	ds_read_b128 v[62:65], v1 offset:944
	v_fma_f32 v3, v50, v132, -v3
	s_waitcnt vmcnt(22) lgkmcnt(1)
	v_mul_f32_e32 v67, v58, v141
	v_add_f32_e32 v2, v2, v3
	v_mul_f32_e32 v3, v53, v134
	v_fmac_f32_e32 v67, v59, v140
	v_fma_f32 v3, v52, v137, -v3
	v_add_f32_e32 v66, v66, v67
	s_waitcnt vmcnt(21)
	v_mul_f32_e32 v67, v60, v142
	v_add_f32_e32 v2, v2, v3
	v_mul_f32_e32 v3, v55, v136
	s_waitcnt vmcnt(18)
	v_fmac_f32_e32 v67, v61, v145
	v_fma_f32 v3, v54, v135, -v3
	v_add_f32_e32 v66, v66, v67
	s_waitcnt lgkmcnt(0)
	v_mul_f32_e32 v67, v62, v144
	v_add_f32_e32 v2, v2, v3
	v_mul_f32_e32 v3, v57, v139
	v_fmac_f32_e32 v67, v63, v143
	v_fma_f32 v3, v56, v138, -v3
	v_add_f32_e32 v70, v66, v67
	ds_read_b128 v[66:69], v1 offset:960
	v_add_f32_e32 v2, v2, v3
	v_mul_f32_e32 v3, v59, v141
	v_fma_f32 v3, v58, v140, -v3
	s_waitcnt vmcnt(16)
	v_mul_f32_e32 v71, v64, v147
	v_add_f32_e32 v2, v2, v3
	v_mul_f32_e32 v3, v61, v142
	v_fmac_f32_e32 v71, v65, v146
	v_fma_f32 v3, v60, v145, -v3
	v_add_f32_e32 v74, v70, v71
	ds_read_b128 v[70:73], v1 offset:976
	v_add_f32_e32 v2, v2, v3
	v_mul_f32_e32 v3, v63, v144
	s_waitcnt vmcnt(14) lgkmcnt(1)
	v_mul_f32_e32 v75, v66, v149
	v_fma_f32 v3, v62, v143, -v3
	v_fmac_f32_e32 v75, v67, v148
	v_add_f32_e32 v2, v2, v3
	v_mul_f32_e32 v3, v65, v147
	v_add_f32_e32 v74, v74, v75
	s_waitcnt vmcnt(13)
	v_mul_f32_e32 v75, v68, v150
	v_fma_f32 v3, v64, v146, -v3
	s_waitcnt vmcnt(10)
	v_fmac_f32_e32 v75, v69, v153
	v_add_f32_e32 v2, v2, v3
	v_mul_f32_e32 v3, v67, v149
	v_add_f32_e32 v74, v74, v75
	s_waitcnt lgkmcnt(0)
	v_mul_f32_e32 v75, v70, v152
	v_fma_f32 v3, v66, v148, -v3
	v_fmac_f32_e32 v75, v71, v151
	v_add_f32_e32 v2, v2, v3
	v_mul_f32_e32 v3, v69, v150
	v_add_f32_e32 v78, v74, v75
	ds_read_b128 v[74:77], v1 offset:992
	v_fma_f32 v3, v68, v153, -v3
	v_add_f32_e32 v2, v2, v3
	v_mul_f32_e32 v3, v71, v152
	s_waitcnt vmcnt(8)
	v_mul_f32_e32 v79, v72, v155
	v_fma_f32 v3, v70, v151, -v3
	v_fmac_f32_e32 v79, v73, v154
	v_add_f32_e32 v2, v2, v3
	v_mul_f32_e32 v3, v73, v155
	v_add_f32_e32 v164, v78, v79
	ds_read_b128 v[78:81], v1 offset:1008
	v_fma_f32 v3, v72, v154, -v3
	v_add_f32_e32 v2, v2, v3
	s_waitcnt vmcnt(6) lgkmcnt(1)
	v_mul_f32_e32 v3, v75, v157
	v_mul_f32_e32 v1, v74, v157
	v_fma_f32 v3, v74, v156, -v3
	v_fmac_f32_e32 v1, v75, v156
	v_add_f32_e32 v2, v2, v3
	s_waitcnt vmcnt(5)
	v_mul_f32_e32 v3, v77, v158
	v_add_f32_e32 v1, v164, v1
	v_mul_f32_e32 v164, v76, v158
	s_waitcnt vmcnt(2)
	v_fma_f32 v3, v76, v161, -v3
	v_fmac_f32_e32 v164, v77, v161
	v_add_f32_e32 v2, v2, v3
	s_waitcnt lgkmcnt(0)
	v_mul_f32_e32 v3, v79, v160
	v_add_f32_e32 v1, v1, v164
	v_mul_f32_e32 v164, v78, v160
	v_fma_f32 v3, v78, v159, -v3
	v_fmac_f32_e32 v164, v79, v159
	v_add_f32_e32 v2, v2, v3
	s_waitcnt vmcnt(0)
	v_mul_f32_e32 v3, v81, v163
	v_add_f32_e32 v1, v1, v164
	v_mul_f32_e32 v164, v80, v163
	v_fma_f32 v3, v80, v162, -v3
	v_fmac_f32_e32 v164, v81, v162
	v_add_f32_e32 v2, v2, v3
	v_add_f32_e32 v1, v1, v164
	v_sub_f32_e32 v2, v112, v2
	v_sub_f32_e32 v1, v113, v1
	buffer_store_dword v2, off, s[0:3], 0 offset:184
	buffer_store_dword v1, off, s[0:3], 0 offset:188
	s_and_saveexec_b64 s[4:5], vcc
	s_cbranch_execz .LBB63_353
; %bb.352:
	buffer_load_dword v1, off, s[0:3], 0 offset:176
	buffer_load_dword v2, off, s[0:3], 0 offset:180
	v_mov_b32_e32 v3, 0
	buffer_store_dword v3, off, s[0:3], 0 offset:176
	buffer_store_dword v3, off, s[0:3], 0 offset:180
	s_waitcnt vmcnt(2)
	ds_write_b64 v249, v[1:2]
.LBB63_353:
	s_or_b64 exec, exec, s[4:5]
	s_waitcnt lgkmcnt(0)
	; wave barrier
	buffer_load_dword v10, off, s[0:3], 0 offset:188
	buffer_load_dword v9, off, s[0:3], 0 offset:196
	;; [unrolled: 1-line block ×50, first 2 shown]
	v_mov_b32_e32 v1, 0
	ds_read2_b64 v[11:14], v1 offset0:87 offset1:88
	ds_read2_b64 v[15:18], v1 offset0:89 offset1:90
	;; [unrolled: 1-line block ×6, first 2 shown]
	buffer_load_dword v134, off, s[0:3], 0 offset:376
	buffer_load_dword v135, off, s[0:3], 0 offset:380
	;; [unrolled: 1-line block ×6, first 2 shown]
	v_cmp_lt_u32_e32 vcc, 21, v0
	s_waitcnt vmcnt(55) lgkmcnt(5)
	v_mul_f32_e32 v35, v11, v10
	s_waitcnt vmcnt(54)
	v_mul_f32_e32 v36, v13, v9
	s_waitcnt vmcnt(53) lgkmcnt(4)
	v_mul_f32_e32 v37, v15, v8
	s_waitcnt vmcnt(52)
	v_mul_f32_e32 v38, v17, v7
	s_waitcnt vmcnt(51) lgkmcnt(3)
	v_mul_f32_e32 v39, v19, v6
	s_waitcnt vmcnt(50)
	v_mul_f32_e32 v40, v21, v3
	s_waitcnt vmcnt(49) lgkmcnt(2)
	v_mul_f32_e32 v41, v23, v2
	s_waitcnt vmcnt(48)
	v_mul_f32_e32 v42, v25, v93
	s_waitcnt vmcnt(47) lgkmcnt(1)
	v_mul_f32_e32 v43, v27, v94
	s_waitcnt vmcnt(46)
	v_mul_f32_e32 v44, v29, v95
	s_waitcnt vmcnt(45) lgkmcnt(0)
	v_mul_f32_e32 v45, v31, v96
	s_waitcnt vmcnt(44)
	v_fmac_f32_e32 v37, v16, v97
	s_waitcnt vmcnt(43)
	v_fmac_f32_e32 v36, v14, v98
	;; [unrolled: 2-line block ×3, first 2 shown]
	v_add_f32_e32 v35, 0, v35
	v_add_f32_e32 v35, v35, v36
	;; [unrolled: 1-line block ×3, first 2 shown]
	s_waitcnt vmcnt(38)
	v_fmac_f32_e32 v38, v18, v103
	v_fmac_f32_e32 v39, v20, v102
	v_add_f32_e32 v35, v35, v38
	v_fmac_f32_e32 v40, v22, v101
	v_add_f32_e32 v35, v35, v39
	;; [unrolled: 2-line block ×3, first 2 shown]
	s_waitcnt vmcnt(34)
	v_fmac_f32_e32 v42, v26, v107
	v_add_f32_e32 v35, v35, v41
	v_fmac_f32_e32 v43, v28, v106
	v_add_f32_e32 v35, v35, v42
	;; [unrolled: 2-line block ×4, first 2 shown]
	v_add_f32_e32 v39, v35, v45
	ds_read2_b64 v[35:38], v1 offset0:99 offset1:100
	buffer_load_dword v140, off, s[0:3], 0 offset:400
	buffer_load_dword v141, off, s[0:3], 0 offset:404
	s_waitcnt vmcnt(35)
	v_mul_f32_e32 v40, v33, v108
	s_waitcnt vmcnt(29)
	v_fmac_f32_e32 v40, v34, v114
	v_add_f32_e32 v43, v39, v40
	ds_read2_b64 v[39:42], v1 offset0:101 offset1:102
	buffer_load_dword v142, off, s[0:3], 0 offset:408
	buffer_load_dword v143, off, s[0:3], 0 offset:412
	;; [unrolled: 1-line block ×14, first 2 shown]
	s_waitcnt vmcnt(42) lgkmcnt(1)
	v_mul_f32_e32 v44, v35, v115
	v_fmac_f32_e32 v44, v36, v113
	buffer_load_dword v156, off, s[0:3], 0 offset:464
	buffer_load_dword v157, off, s[0:3], 0 offset:468
	v_add_f32_e32 v43, v43, v44
	v_mul_f32_e32 v44, v37, v110
	v_fmac_f32_e32 v44, v38, v109
	v_add_f32_e32 v43, v43, v44
	s_waitcnt lgkmcnt(0)
	v_mul_f32_e32 v44, v39, v112
	v_fmac_f32_e32 v44, v40, v111
	v_add_f32_e32 v47, v43, v44
	ds_read2_b64 v[43:46], v1 offset0:103 offset1:104
	buffer_load_dword v158, off, s[0:3], 0 offset:472
	buffer_load_dword v159, off, s[0:3], 0 offset:476
	;; [unrolled: 1-line block ×6, first 2 shown]
	s_waitcnt vmcnt(46)
	v_mul_f32_e32 v48, v41, v117
	v_fmac_f32_e32 v48, v42, v116
	v_add_f32_e32 v51, v47, v48
	ds_read2_b64 v[47:50], v1 offset0:105 offset1:106
	buffer_load_dword v164, off, s[0:3], 0 offset:500
	buffer_load_dword v165, off, s[0:3], 0 offset:504
	;; [unrolled: 1-line block ×4, first 2 shown]
	v_mul_f32_e32 v10, v12, v10
	v_fma_f32 v10, v11, v99, -v10
	v_mul_f32_e32 v9, v14, v9
	v_add_f32_e32 v10, 0, v10
	v_fma_f32 v9, v13, v98, -v9
	v_mul_f32_e32 v8, v16, v8
	v_add_f32_e32 v9, v10, v9
	;; [unrolled: 3-line block ×6, first 2 shown]
	v_fma_f32 v2, v23, v100, -v2
	v_add_f32_e32 v2, v3, v2
	v_mul_f32_e32 v3, v26, v93
	v_fma_f32 v3, v25, v107, -v3
	s_waitcnt vmcnt(48) lgkmcnt(1)
	v_mul_f32_e32 v52, v43, v119
	v_add_f32_e32 v2, v2, v3
	v_mul_f32_e32 v3, v28, v94
	v_fmac_f32_e32 v52, v44, v118
	v_fma_f32 v3, v27, v106, -v3
	v_add_f32_e32 v51, v51, v52
	s_waitcnt vmcnt(46)
	v_mul_f32_e32 v52, v45, v121
	v_add_f32_e32 v2, v2, v3
	v_mul_f32_e32 v3, v30, v95
	v_fmac_f32_e32 v52, v46, v120
	v_fma_f32 v3, v29, v105, -v3
	v_add_f32_e32 v51, v51, v52
	s_waitcnt vmcnt(44) lgkmcnt(0)
	v_mul_f32_e32 v52, v47, v123
	v_add_f32_e32 v2, v2, v3
	v_mul_f32_e32 v3, v32, v96
	v_fmac_f32_e32 v52, v48, v122
	v_fma_f32 v3, v31, v104, -v3
	v_add_f32_e32 v55, v51, v52
	ds_read2_b64 v[51:54], v1 offset0:107 offset1:108
	v_add_f32_e32 v2, v2, v3
	v_mul_f32_e32 v3, v34, v108
	v_fma_f32 v3, v33, v114, -v3
	s_waitcnt vmcnt(42)
	v_mul_f32_e32 v56, v49, v125
	v_add_f32_e32 v2, v2, v3
	v_mul_f32_e32 v3, v36, v115
	v_fmac_f32_e32 v56, v50, v124
	v_fma_f32 v3, v35, v113, -v3
	v_add_f32_e32 v59, v55, v56
	ds_read2_b64 v[55:58], v1 offset0:109 offset1:110
	v_add_f32_e32 v2, v2, v3
	v_mul_f32_e32 v3, v38, v110
	s_waitcnt vmcnt(40) lgkmcnt(1)
	v_mul_f32_e32 v60, v51, v127
	v_fma_f32 v3, v37, v109, -v3
	v_fmac_f32_e32 v60, v52, v126
	v_add_f32_e32 v2, v2, v3
	v_mul_f32_e32 v3, v40, v112
	v_add_f32_e32 v59, v59, v60
	s_waitcnt vmcnt(38)
	v_mul_f32_e32 v60, v53, v129
	v_fma_f32 v3, v39, v111, -v3
	v_fmac_f32_e32 v60, v54, v128
	v_add_f32_e32 v2, v2, v3
	v_mul_f32_e32 v3, v42, v117
	v_add_f32_e32 v59, v59, v60
	s_waitcnt vmcnt(36) lgkmcnt(0)
	v_mul_f32_e32 v60, v55, v131
	v_fma_f32 v3, v41, v116, -v3
	v_fmac_f32_e32 v60, v56, v130
	v_add_f32_e32 v2, v2, v3
	v_mul_f32_e32 v3, v44, v119
	v_add_f32_e32 v63, v59, v60
	ds_read2_b64 v[59:62], v1 offset0:111 offset1:112
	v_fma_f32 v3, v43, v118, -v3
	v_add_f32_e32 v2, v2, v3
	v_mul_f32_e32 v3, v46, v121
	s_waitcnt vmcnt(34)
	v_mul_f32_e32 v64, v57, v133
	v_fma_f32 v3, v45, v120, -v3
	v_fmac_f32_e32 v64, v58, v132
	v_add_f32_e32 v2, v2, v3
	v_mul_f32_e32 v3, v48, v123
	v_add_f32_e32 v67, v63, v64
	ds_read2_b64 v[63:66], v1 offset0:113 offset1:114
	v_fma_f32 v3, v47, v122, -v3
	s_waitcnt vmcnt(32) lgkmcnt(1)
	v_mul_f32_e32 v68, v59, v135
	v_add_f32_e32 v2, v2, v3
	v_mul_f32_e32 v3, v50, v125
	v_fmac_f32_e32 v68, v60, v134
	v_fma_f32 v3, v49, v124, -v3
	v_add_f32_e32 v67, v67, v68
	s_waitcnt vmcnt(31)
	v_mul_f32_e32 v68, v61, v136
	v_add_f32_e32 v2, v2, v3
	v_mul_f32_e32 v3, v52, v127
	s_waitcnt vmcnt(28)
	v_fmac_f32_e32 v68, v62, v139
	v_fma_f32 v3, v51, v126, -v3
	v_add_f32_e32 v67, v67, v68
	s_waitcnt lgkmcnt(0)
	v_mul_f32_e32 v68, v63, v138
	v_add_f32_e32 v2, v2, v3
	v_mul_f32_e32 v3, v54, v129
	v_fmac_f32_e32 v68, v64, v137
	v_fma_f32 v3, v53, v128, -v3
	v_add_f32_e32 v71, v67, v68
	ds_read2_b64 v[67:70], v1 offset0:115 offset1:116
	v_add_f32_e32 v2, v2, v3
	v_mul_f32_e32 v3, v56, v131
	v_fma_f32 v3, v55, v130, -v3
	s_waitcnt vmcnt(26)
	v_mul_f32_e32 v72, v65, v141
	v_add_f32_e32 v2, v2, v3
	v_mul_f32_e32 v3, v58, v133
	v_fmac_f32_e32 v72, v66, v140
	v_fma_f32 v3, v57, v132, -v3
	v_add_f32_e32 v75, v71, v72
	ds_read2_b64 v[71:74], v1 offset0:117 offset1:118
	v_add_f32_e32 v2, v2, v3
	v_mul_f32_e32 v3, v60, v135
	s_waitcnt vmcnt(24) lgkmcnt(1)
	v_mul_f32_e32 v76, v67, v143
	v_fma_f32 v3, v59, v134, -v3
	v_fmac_f32_e32 v76, v68, v142
	v_add_f32_e32 v2, v2, v3
	v_mul_f32_e32 v3, v62, v136
	v_add_f32_e32 v75, v75, v76
	s_waitcnt vmcnt(23)
	v_mul_f32_e32 v76, v69, v144
	v_fma_f32 v3, v61, v139, -v3
	s_waitcnt vmcnt(20)
	v_fmac_f32_e32 v76, v70, v147
	v_add_f32_e32 v2, v2, v3
	v_mul_f32_e32 v3, v64, v138
	v_add_f32_e32 v75, v75, v76
	s_waitcnt lgkmcnt(0)
	v_mul_f32_e32 v76, v71, v146
	v_fma_f32 v3, v63, v137, -v3
	v_fmac_f32_e32 v76, v72, v145
	v_add_f32_e32 v2, v2, v3
	v_mul_f32_e32 v3, v66, v141
	v_add_f32_e32 v79, v75, v76
	ds_read2_b64 v[75:78], v1 offset0:119 offset1:120
	v_fma_f32 v3, v65, v140, -v3
	v_add_f32_e32 v2, v2, v3
	v_mul_f32_e32 v3, v68, v143
	s_waitcnt vmcnt(18)
	v_mul_f32_e32 v80, v73, v149
	v_fma_f32 v3, v67, v142, -v3
	v_fmac_f32_e32 v80, v74, v148
	v_add_f32_e32 v2, v2, v3
	v_mul_f32_e32 v3, v70, v144
	v_add_f32_e32 v83, v79, v80
	ds_read2_b64 v[79:82], v1 offset0:121 offset1:122
	v_fma_f32 v3, v69, v147, -v3
	s_waitcnt vmcnt(16) lgkmcnt(1)
	v_mul_f32_e32 v84, v75, v151
	v_add_f32_e32 v2, v2, v3
	v_mul_f32_e32 v3, v72, v146
	v_fmac_f32_e32 v84, v76, v150
	v_fma_f32 v3, v71, v145, -v3
	v_add_f32_e32 v83, v83, v84
	s_waitcnt vmcnt(15)
	v_mul_f32_e32 v84, v77, v152
	v_add_f32_e32 v2, v2, v3
	v_mul_f32_e32 v3, v74, v149
	s_waitcnt vmcnt(12)
	v_fmac_f32_e32 v84, v78, v155
	v_fma_f32 v3, v73, v148, -v3
	v_add_f32_e32 v83, v83, v84
	s_waitcnt lgkmcnt(0)
	v_mul_f32_e32 v84, v79, v154
	v_add_f32_e32 v2, v2, v3
	v_mul_f32_e32 v3, v76, v151
	v_fmac_f32_e32 v84, v80, v153
	v_fma_f32 v3, v75, v150, -v3
	v_add_f32_e32 v87, v83, v84
	ds_read2_b64 v[83:86], v1 offset0:123 offset1:124
	v_add_f32_e32 v2, v2, v3
	v_mul_f32_e32 v3, v78, v152
	v_fma_f32 v3, v77, v155, -v3
	v_add_f32_e32 v2, v2, v3
	v_mul_f32_e32 v3, v80, v154
	s_waitcnt vmcnt(10)
	v_mul_f32_e32 v88, v81, v157
	v_fma_f32 v3, v79, v153, -v3
	v_fmac_f32_e32 v88, v82, v156
	v_add_f32_e32 v2, v2, v3
	v_mul_f32_e32 v3, v82, v157
	v_add_f32_e32 v91, v87, v88
	ds_read2_b64 v[87:90], v1 offset0:125 offset1:126
	s_waitcnt vmcnt(8) lgkmcnt(1)
	v_mul_f32_e32 v92, v83, v159
	v_fma_f32 v3, v81, v156, -v3
	v_fmac_f32_e32 v92, v84, v158
	v_add_f32_e32 v2, v2, v3
	v_mul_f32_e32 v3, v84, v159
	v_add_f32_e32 v91, v91, v92
	s_waitcnt vmcnt(7)
	v_mul_f32_e32 v92, v85, v160
	v_fma_f32 v3, v83, v158, -v3
	s_waitcnt vmcnt(4)
	v_fmac_f32_e32 v92, v86, v163
	v_add_f32_e32 v2, v2, v3
	v_mul_f32_e32 v3, v86, v160
	v_add_f32_e32 v168, v91, v92
	ds_read_b64 v[91:92], v1 offset:1016
	v_fma_f32 v3, v85, v163, -v3
	v_add_f32_e32 v2, v2, v3
	s_waitcnt lgkmcnt(1)
	v_mul_f32_e32 v3, v88, v162
	v_mul_f32_e32 v169, v87, v162
	v_fma_f32 v3, v87, v161, -v3
	v_fmac_f32_e32 v169, v88, v161
	v_add_f32_e32 v2, v2, v3
	s_waitcnt vmcnt(3)
	v_mul_f32_e32 v3, v90, v164
	v_add_f32_e32 v168, v168, v169
	v_mul_f32_e32 v169, v89, v164
	s_waitcnt vmcnt(0)
	v_fma_f32 v3, v89, v167, -v3
	v_fmac_f32_e32 v169, v90, v167
	v_add_f32_e32 v2, v2, v3
	s_waitcnt lgkmcnt(0)
	v_mul_f32_e32 v3, v92, v166
	v_add_f32_e32 v168, v168, v169
	v_mul_f32_e32 v169, v91, v166
	v_fma_f32 v3, v91, v165, -v3
	v_fmac_f32_e32 v169, v92, v165
	v_add_f32_e32 v2, v2, v3
	v_add_f32_e32 v168, v168, v169
	v_sub_f32_e32 v2, v4, v2
	v_sub_f32_e32 v3, v5, v168
	buffer_store_dword v2, off, s[0:3], 0 offset:176
	buffer_store_dword v3, off, s[0:3], 0 offset:180
	s_and_saveexec_b64 s[4:5], vcc
	s_cbranch_execz .LBB63_355
; %bb.354:
	buffer_load_dword v2, off, s[0:3], 0 offset:168
	buffer_load_dword v3, off, s[0:3], 0 offset:172
	s_waitcnt vmcnt(0)
	ds_write_b64 v249, v[2:3]
	buffer_store_dword v1, off, s[0:3], 0 offset:168
	buffer_store_dword v1, off, s[0:3], 0 offset:172
.LBB63_355:
	s_or_b64 exec, exec, s[4:5]
	s_waitcnt lgkmcnt(0)
	; wave barrier
	buffer_load_dword v86, off, s[0:3], 0 offset:180
	buffer_load_dword v87, off, s[0:3], 0 offset:188
	;; [unrolled: 1-line block ×32, first 2 shown]
	ds_read_b128 v[2:5], v1 offset:688
	ds_read_b128 v[6:9], v1 offset:704
	;; [unrolled: 1-line block ×6, first 2 shown]
	buffer_load_dword v118, off, s[0:3], 0 offset:296
	buffer_load_dword v119, off, s[0:3], 0 offset:300
	;; [unrolled: 1-line block ×18, first 2 shown]
	v_cmp_lt_u32_e32 vcc, 20, v0
	s_waitcnt vmcnt(49) lgkmcnt(5)
	v_mul_f32_e32 v26, v2, v86
	s_waitcnt vmcnt(48)
	v_mul_f32_e32 v27, v4, v87
	s_waitcnt vmcnt(47) lgkmcnt(4)
	v_mul_f32_e32 v28, v6, v88
	s_waitcnt vmcnt(46)
	v_mul_f32_e32 v29, v8, v89
	;; [unrolled: 4-line block ×6, first 2 shown]
	s_waitcnt vmcnt(37)
	v_fmac_f32_e32 v28, v7, v98
	s_waitcnt vmcnt(36)
	v_fmac_f32_e32 v27, v5, v99
	;; [unrolled: 2-line block ×3, first 2 shown]
	v_add_f32_e32 v26, 0, v26
	v_add_f32_e32 v26, v26, v27
	;; [unrolled: 1-line block ×3, first 2 shown]
	s_waitcnt vmcnt(31)
	v_fmac_f32_e32 v29, v9, v104
	v_fmac_f32_e32 v30, v11, v103
	v_add_f32_e32 v26, v26, v29
	v_fmac_f32_e32 v31, v13, v102
	v_add_f32_e32 v26, v26, v30
	;; [unrolled: 2-line block ×3, first 2 shown]
	s_waitcnt vmcnt(27)
	v_fmac_f32_e32 v33, v17, v108
	v_add_f32_e32 v26, v26, v32
	v_fmac_f32_e32 v34, v19, v107
	v_add_f32_e32 v26, v26, v33
	;; [unrolled: 2-line block ×3, first 2 shown]
	v_add_f32_e32 v30, v26, v35
	ds_read_b128 v[26:29], v1 offset:784
	buffer_load_dword v136, off, s[0:3], 0 offset:368
	buffer_load_dword v137, off, s[0:3], 0 offset:372
	;; [unrolled: 1-line block ×6, first 2 shown]
	v_fmac_f32_e32 v36, v23, v105
	s_waitcnt vmcnt(27)
	v_fmac_f32_e32 v37, v25, v114
	v_add_f32_e32 v30, v30, v36
	v_add_f32_e32 v34, v30, v37
	ds_read_b128 v[30:33], v1 offset:800
	buffer_load_dword v142, off, s[0:3], 0 offset:392
	buffer_load_dword v143, off, s[0:3], 0 offset:396
	;; [unrolled: 1-line block ×10, first 2 shown]
	s_waitcnt vmcnt(36) lgkmcnt(1)
	v_mul_f32_e32 v35, v26, v115
	buffer_load_dword v152, off, s[0:3], 0 offset:432
	buffer_load_dword v153, off, s[0:3], 0 offset:436
	;; [unrolled: 1-line block ×6, first 2 shown]
	v_fmac_f32_e32 v35, v27, v113
	v_add_f32_e32 v34, v34, v35
	v_mul_f32_e32 v35, v28, v110
	v_fmac_f32_e32 v35, v29, v109
	v_add_f32_e32 v34, v34, v35
	s_waitcnt lgkmcnt(0)
	v_mul_f32_e32 v35, v30, v112
	v_fmac_f32_e32 v35, v31, v111
	v_add_f32_e32 v38, v34, v35
	ds_read_b128 v[34:37], v1 offset:816
	buffer_load_dword v158, off, s[0:3], 0 offset:456
	buffer_load_dword v159, off, s[0:3], 0 offset:460
	s_waitcnt vmcnt(40)
	v_mul_f32_e32 v39, v32, v119
	v_fmac_f32_e32 v39, v33, v118
	v_add_f32_e32 v42, v38, v39
	ds_read_b128 v[38:41], v1 offset:832
	buffer_load_dword v160, off, s[0:3], 0 offset:464
	buffer_load_dword v161, off, s[0:3], 0 offset:468
	;; [unrolled: 1-line block ×12, first 2 shown]
	v_mul_f32_e32 v3, v3, v86
	v_fma_f32 v2, v2, v100, -v3
	v_mul_f32_e32 v3, v5, v87
	v_add_f32_e32 v2, 0, v2
	v_fma_f32 v3, v4, v99, -v3
	v_add_f32_e32 v2, v2, v3
	v_mul_f32_e32 v3, v7, v88
	v_fma_f32 v3, v6, v98, -v3
	v_add_f32_e32 v2, v2, v3
	v_mul_f32_e32 v3, v9, v89
	v_fma_f32 v3, v8, v104, -v3
	v_add_f32_e32 v2, v2, v3
	v_mul_f32_e32 v3, v11, v90
	v_fma_f32 v3, v10, v103, -v3
	v_add_f32_e32 v2, v2, v3
	v_mul_f32_e32 v3, v13, v91
	v_fma_f32 v3, v12, v102, -v3
	v_add_f32_e32 v2, v2, v3
	v_mul_f32_e32 v3, v15, v92
	v_fma_f32 v3, v14, v101, -v3
	v_add_f32_e32 v2, v2, v3
	v_mul_f32_e32 v3, v17, v93
	v_fma_f32 v3, v16, v108, -v3
	s_waitcnt vmcnt(50) lgkmcnt(1)
	v_mul_f32_e32 v43, v34, v121
	v_add_f32_e32 v2, v2, v3
	v_mul_f32_e32 v3, v19, v94
	v_fmac_f32_e32 v43, v35, v120
	v_fma_f32 v3, v18, v107, -v3
	v_add_f32_e32 v42, v42, v43
	s_waitcnt vmcnt(48)
	v_mul_f32_e32 v43, v36, v123
	v_add_f32_e32 v2, v2, v3
	v_mul_f32_e32 v3, v21, v95
	v_fmac_f32_e32 v43, v37, v122
	v_fma_f32 v3, v20, v106, -v3
	v_add_f32_e32 v42, v42, v43
	s_waitcnt vmcnt(46) lgkmcnt(0)
	v_mul_f32_e32 v43, v38, v125
	v_add_f32_e32 v2, v2, v3
	v_mul_f32_e32 v3, v23, v96
	v_fmac_f32_e32 v43, v39, v124
	v_fma_f32 v3, v22, v105, -v3
	v_add_f32_e32 v46, v42, v43
	ds_read_b128 v[42:45], v1 offset:848
	v_add_f32_e32 v2, v2, v3
	v_mul_f32_e32 v3, v25, v97
	v_fma_f32 v3, v24, v114, -v3
	s_waitcnt vmcnt(44)
	v_mul_f32_e32 v47, v40, v127
	v_add_f32_e32 v2, v2, v3
	v_mul_f32_e32 v3, v27, v115
	v_fmac_f32_e32 v47, v41, v126
	v_fma_f32 v3, v26, v113, -v3
	v_add_f32_e32 v50, v46, v47
	ds_read_b128 v[46:49], v1 offset:864
	v_add_f32_e32 v2, v2, v3
	v_mul_f32_e32 v3, v29, v110
	s_waitcnt vmcnt(42) lgkmcnt(1)
	v_mul_f32_e32 v51, v42, v129
	v_fma_f32 v3, v28, v109, -v3
	v_fmac_f32_e32 v51, v43, v128
	v_add_f32_e32 v2, v2, v3
	v_mul_f32_e32 v3, v31, v112
	v_add_f32_e32 v50, v50, v51
	s_waitcnt vmcnt(40)
	v_mul_f32_e32 v51, v44, v131
	v_fma_f32 v3, v30, v111, -v3
	v_fmac_f32_e32 v51, v45, v130
	v_add_f32_e32 v2, v2, v3
	v_mul_f32_e32 v3, v33, v119
	v_add_f32_e32 v50, v50, v51
	s_waitcnt vmcnt(38) lgkmcnt(0)
	v_mul_f32_e32 v51, v46, v133
	v_fma_f32 v3, v32, v118, -v3
	v_fmac_f32_e32 v51, v47, v132
	v_add_f32_e32 v2, v2, v3
	v_mul_f32_e32 v3, v35, v121
	v_add_f32_e32 v54, v50, v51
	ds_read_b128 v[50:53], v1 offset:880
	v_fma_f32 v3, v34, v120, -v3
	v_add_f32_e32 v2, v2, v3
	v_mul_f32_e32 v3, v37, v123
	s_waitcnt vmcnt(36)
	v_mul_f32_e32 v55, v48, v135
	v_fma_f32 v3, v36, v122, -v3
	v_fmac_f32_e32 v55, v49, v134
	v_add_f32_e32 v2, v2, v3
	v_mul_f32_e32 v3, v39, v125
	v_add_f32_e32 v58, v54, v55
	ds_read_b128 v[54:57], v1 offset:896
	v_fma_f32 v3, v38, v124, -v3
	s_waitcnt vmcnt(34) lgkmcnt(1)
	v_mul_f32_e32 v59, v50, v137
	v_add_f32_e32 v2, v2, v3
	v_mul_f32_e32 v3, v41, v127
	v_fmac_f32_e32 v59, v51, v136
	v_fma_f32 v3, v40, v126, -v3
	v_add_f32_e32 v58, v58, v59
	s_waitcnt vmcnt(33)
	v_mul_f32_e32 v59, v52, v138
	v_add_f32_e32 v2, v2, v3
	v_mul_f32_e32 v3, v43, v129
	s_waitcnt vmcnt(30)
	v_fmac_f32_e32 v59, v53, v141
	v_fma_f32 v3, v42, v128, -v3
	v_add_f32_e32 v58, v58, v59
	s_waitcnt lgkmcnt(0)
	v_mul_f32_e32 v59, v54, v140
	v_add_f32_e32 v2, v2, v3
	v_mul_f32_e32 v3, v45, v131
	v_fmac_f32_e32 v59, v55, v139
	v_fma_f32 v3, v44, v130, -v3
	v_add_f32_e32 v62, v58, v59
	ds_read_b128 v[58:61], v1 offset:912
	v_add_f32_e32 v2, v2, v3
	v_mul_f32_e32 v3, v47, v133
	v_fma_f32 v3, v46, v132, -v3
	s_waitcnt vmcnt(28)
	v_mul_f32_e32 v63, v56, v143
	v_add_f32_e32 v2, v2, v3
	v_mul_f32_e32 v3, v49, v135
	v_fmac_f32_e32 v63, v57, v142
	v_fma_f32 v3, v48, v134, -v3
	v_add_f32_e32 v66, v62, v63
	ds_read_b128 v[62:65], v1 offset:928
	v_add_f32_e32 v2, v2, v3
	v_mul_f32_e32 v3, v51, v137
	s_waitcnt vmcnt(26) lgkmcnt(1)
	v_mul_f32_e32 v67, v58, v145
	v_fma_f32 v3, v50, v136, -v3
	v_fmac_f32_e32 v67, v59, v144
	v_add_f32_e32 v2, v2, v3
	v_mul_f32_e32 v3, v53, v138
	v_add_f32_e32 v66, v66, v67
	s_waitcnt vmcnt(25)
	v_mul_f32_e32 v67, v60, v146
	v_fma_f32 v3, v52, v141, -v3
	s_waitcnt vmcnt(22)
	v_fmac_f32_e32 v67, v61, v149
	v_add_f32_e32 v2, v2, v3
	v_mul_f32_e32 v3, v55, v140
	v_add_f32_e32 v66, v66, v67
	s_waitcnt lgkmcnt(0)
	v_mul_f32_e32 v67, v62, v148
	v_fma_f32 v3, v54, v139, -v3
	v_fmac_f32_e32 v67, v63, v147
	v_add_f32_e32 v2, v2, v3
	v_mul_f32_e32 v3, v57, v143
	v_add_f32_e32 v70, v66, v67
	ds_read_b128 v[66:69], v1 offset:944
	v_fma_f32 v3, v56, v142, -v3
	v_add_f32_e32 v2, v2, v3
	v_mul_f32_e32 v3, v59, v145
	s_waitcnt vmcnt(20)
	v_mul_f32_e32 v71, v64, v151
	v_fma_f32 v3, v58, v144, -v3
	v_fmac_f32_e32 v71, v65, v150
	v_add_f32_e32 v2, v2, v3
	v_mul_f32_e32 v3, v61, v146
	v_add_f32_e32 v74, v70, v71
	ds_read_b128 v[70:73], v1 offset:960
	v_fma_f32 v3, v60, v149, -v3
	s_waitcnt vmcnt(18) lgkmcnt(1)
	v_mul_f32_e32 v75, v66, v153
	v_add_f32_e32 v2, v2, v3
	v_mul_f32_e32 v3, v63, v148
	v_fmac_f32_e32 v75, v67, v152
	v_fma_f32 v3, v62, v147, -v3
	v_add_f32_e32 v74, v74, v75
	s_waitcnt vmcnt(17)
	v_mul_f32_e32 v75, v68, v154
	v_add_f32_e32 v2, v2, v3
	v_mul_f32_e32 v3, v65, v151
	s_waitcnt vmcnt(14)
	v_fmac_f32_e32 v75, v69, v157
	v_fma_f32 v3, v64, v150, -v3
	v_add_f32_e32 v74, v74, v75
	s_waitcnt lgkmcnt(0)
	v_mul_f32_e32 v75, v70, v156
	v_add_f32_e32 v2, v2, v3
	v_mul_f32_e32 v3, v67, v153
	v_fmac_f32_e32 v75, v71, v155
	v_fma_f32 v3, v66, v152, -v3
	v_add_f32_e32 v78, v74, v75
	ds_read_b128 v[74:77], v1 offset:976
	v_add_f32_e32 v2, v2, v3
	v_mul_f32_e32 v3, v69, v154
	v_fma_f32 v3, v68, v157, -v3
	v_add_f32_e32 v2, v2, v3
	v_mul_f32_e32 v3, v71, v156
	s_waitcnt vmcnt(12)
	v_mul_f32_e32 v79, v72, v159
	v_fma_f32 v3, v70, v155, -v3
	v_fmac_f32_e32 v79, v73, v158
	v_add_f32_e32 v2, v2, v3
	v_mul_f32_e32 v3, v73, v159
	v_add_f32_e32 v82, v78, v79
	ds_read_b128 v[78:81], v1 offset:992
	s_waitcnt vmcnt(10) lgkmcnt(1)
	v_mul_f32_e32 v83, v74, v161
	v_fma_f32 v3, v72, v158, -v3
	v_fmac_f32_e32 v83, v75, v160
	v_add_f32_e32 v2, v2, v3
	v_mul_f32_e32 v3, v75, v161
	v_add_f32_e32 v82, v82, v83
	s_waitcnt vmcnt(9)
	v_mul_f32_e32 v83, v76, v162
	v_fma_f32 v3, v74, v160, -v3
	s_waitcnt vmcnt(6)
	v_fmac_f32_e32 v83, v77, v165
	v_add_f32_e32 v2, v2, v3
	v_mul_f32_e32 v3, v77, v162
	v_add_f32_e32 v172, v82, v83
	ds_read_b128 v[82:85], v1 offset:1008
	v_fma_f32 v3, v76, v165, -v3
	v_add_f32_e32 v2, v2, v3
	s_waitcnt lgkmcnt(1)
	v_mul_f32_e32 v3, v79, v164
	v_mul_f32_e32 v173, v78, v164
	v_fma_f32 v3, v78, v163, -v3
	v_fmac_f32_e32 v173, v79, v163
	v_add_f32_e32 v2, v2, v3
	s_waitcnt vmcnt(4)
	v_mul_f32_e32 v3, v81, v167
	v_add_f32_e32 v1, v172, v173
	v_mul_f32_e32 v172, v80, v167
	v_fma_f32 v3, v80, v166, -v3
	v_fmac_f32_e32 v172, v81, v166
	v_add_f32_e32 v2, v2, v3
	s_waitcnt vmcnt(3) lgkmcnt(0)
	v_mul_f32_e32 v3, v83, v168
	v_add_f32_e32 v1, v1, v172
	v_mul_f32_e32 v172, v82, v168
	s_waitcnt vmcnt(0)
	v_fma_f32 v3, v82, v171, -v3
	v_fmac_f32_e32 v172, v83, v171
	v_add_f32_e32 v2, v2, v3
	v_mul_f32_e32 v3, v85, v170
	v_add_f32_e32 v1, v1, v172
	v_mul_f32_e32 v172, v84, v170
	v_fma_f32 v3, v84, v169, -v3
	v_fmac_f32_e32 v172, v85, v169
	v_add_f32_e32 v2, v2, v3
	v_add_f32_e32 v1, v1, v172
	v_sub_f32_e32 v2, v116, v2
	v_sub_f32_e32 v1, v117, v1
	buffer_store_dword v2, off, s[0:3], 0 offset:168
	buffer_store_dword v1, off, s[0:3], 0 offset:172
	s_and_saveexec_b64 s[4:5], vcc
	s_cbranch_execz .LBB63_357
; %bb.356:
	buffer_load_dword v1, off, s[0:3], 0 offset:160
	buffer_load_dword v2, off, s[0:3], 0 offset:164
	v_mov_b32_e32 v3, 0
	buffer_store_dword v3, off, s[0:3], 0 offset:160
	buffer_store_dword v3, off, s[0:3], 0 offset:164
	s_waitcnt vmcnt(2)
	ds_write_b64 v249, v[1:2]
.LBB63_357:
	s_or_b64 exec, exec, s[4:5]
	s_waitcnt lgkmcnt(0)
	; wave barrier
	buffer_load_dword v10, off, s[0:3], 0 offset:172
	buffer_load_dword v9, off, s[0:3], 0 offset:180
	;; [unrolled: 1-line block ×48, first 2 shown]
	v_mov_b32_e32 v1, 0
	ds_read2_b64 v[16:19], v1 offset0:85 offset1:86
	ds_read2_b64 v[20:23], v1 offset0:87 offset1:88
	;; [unrolled: 1-line block ×6, first 2 shown]
	buffer_load_dword v136, off, s[0:3], 0 offset:352
	buffer_load_dword v137, off, s[0:3], 0 offset:356
	v_cmp_lt_u32_e32 vcc, 19, v0
	s_waitcnt vmcnt(49) lgkmcnt(5)
	v_mul_f32_e32 v40, v16, v10
	s_waitcnt vmcnt(48)
	v_mul_f32_e32 v41, v18, v9
	s_waitcnt vmcnt(47) lgkmcnt(4)
	v_mul_f32_e32 v42, v20, v8
	s_waitcnt vmcnt(46)
	v_mul_f32_e32 v43, v22, v7
	s_waitcnt vmcnt(45) lgkmcnt(3)
	v_mul_f32_e32 v44, v24, v6
	s_waitcnt vmcnt(44)
	v_mul_f32_e32 v45, v26, v5
	s_waitcnt vmcnt(43) lgkmcnt(2)
	v_mul_f32_e32 v46, v28, v4
	s_waitcnt vmcnt(42)
	v_mul_f32_e32 v47, v30, v11
	s_waitcnt vmcnt(41) lgkmcnt(1)
	v_mul_f32_e32 v48, v32, v12
	s_waitcnt vmcnt(40)
	v_mul_f32_e32 v49, v34, v13
	s_waitcnt vmcnt(39) lgkmcnt(0)
	v_mul_f32_e32 v50, v36, v14
	s_waitcnt vmcnt(38)
	v_mul_f32_e32 v51, v38, v15
	s_waitcnt vmcnt(37)
	v_fmac_f32_e32 v42, v21, v102
	s_waitcnt vmcnt(36)
	v_fmac_f32_e32 v41, v19, v103
	;; [unrolled: 2-line block ×3, first 2 shown]
	v_add_f32_e32 v40, 0, v40
	v_add_f32_e32 v40, v40, v41
	v_add_f32_e32 v40, v40, v42
	s_waitcnt vmcnt(31)
	v_fmac_f32_e32 v43, v23, v108
	v_fmac_f32_e32 v44, v25, v107
	v_add_f32_e32 v40, v40, v43
	v_fmac_f32_e32 v45, v27, v106
	v_add_f32_e32 v40, v40, v44
	;; [unrolled: 2-line block ×3, first 2 shown]
	s_waitcnt vmcnt(27)
	v_fmac_f32_e32 v47, v31, v112
	v_add_f32_e32 v40, v40, v46
	v_fmac_f32_e32 v48, v33, v111
	v_add_f32_e32 v40, v40, v47
	;; [unrolled: 2-line block ×4, first 2 shown]
	v_add_f32_e32 v44, v40, v50
	ds_read2_b64 v[40:43], v1 offset0:97 offset1:98
	buffer_load_dword v138, off, s[0:3], 0 offset:360
	buffer_load_dword v139, off, s[0:3], 0 offset:364
	;; [unrolled: 1-line block ×6, first 2 shown]
	s_waitcnt vmcnt(28)
	v_fmac_f32_e32 v51, v39, v117
	v_add_f32_e32 v48, v44, v51
	ds_read2_b64 v[44:47], v1 offset0:99 offset1:100
	buffer_load_dword v144, off, s[0:3], 0 offset:384
	buffer_load_dword v145, off, s[0:3], 0 offset:388
	;; [unrolled: 1-line block ×8, first 2 shown]
	s_waitcnt vmcnt(35) lgkmcnt(1)
	v_mul_f32_e32 v49, v40, v118
	buffer_load_dword v152, off, s[0:3], 0 offset:416
	buffer_load_dword v153, off, s[0:3], 0 offset:420
	v_fmac_f32_e32 v49, v41, v116
	v_add_f32_e32 v48, v48, v49
	s_waitcnt vmcnt(36)
	v_mul_f32_e32 v49, v42, v119
	v_fmac_f32_e32 v49, v43, v115
	v_add_f32_e32 v48, v48, v49
	s_waitcnt lgkmcnt(0)
	v_mul_f32_e32 v49, v44, v114
	v_fmac_f32_e32 v49, v45, v113
	v_add_f32_e32 v52, v48, v49
	ds_read2_b64 v[48:51], v1 offset0:101 offset1:102
	buffer_load_dword v154, off, s[0:3], 0 offset:424
	buffer_load_dword v155, off, s[0:3], 0 offset:428
	buffer_load_dword v156, off, s[0:3], 0 offset:436
	buffer_load_dword v157, off, s[0:3], 0 offset:440
	buffer_load_dword v158, off, s[0:3], 0 offset:444
	buffer_load_dword v159, off, s[0:3], 0 offset:432
	s_waitcnt vmcnt(38)
	v_mul_f32_e32 v53, v46, v121
	v_fmac_f32_e32 v53, v47, v120
	v_add_f32_e32 v56, v52, v53
	ds_read2_b64 v[52:55], v1 offset0:103 offset1:104
	buffer_load_dword v160, off, s[0:3], 0 offset:448
	buffer_load_dword v161, off, s[0:3], 0 offset:452
	;; [unrolled: 1-line block ×16, first 2 shown]
	v_mul_f32_e32 v10, v17, v10
	v_fma_f32 v10, v16, v104, -v10
	v_mul_f32_e32 v9, v19, v9
	v_add_f32_e32 v10, 0, v10
	v_fma_f32 v9, v18, v103, -v9
	v_mul_f32_e32 v8, v21, v8
	v_add_f32_e32 v9, v10, v9
	;; [unrolled: 3-line block ×6, first 2 shown]
	v_fma_f32 v4, v28, v105, -v4
	s_waitcnt vmcnt(52) lgkmcnt(1)
	v_mul_f32_e32 v57, v48, v123
	v_add_f32_e32 v4, v5, v4
	v_mul_f32_e32 v5, v31, v11
	v_fmac_f32_e32 v57, v49, v122
	v_fma_f32 v5, v30, v112, -v5
	v_add_f32_e32 v56, v56, v57
	s_waitcnt vmcnt(50)
	v_mul_f32_e32 v57, v50, v125
	v_add_f32_e32 v4, v4, v5
	v_mul_f32_e32 v5, v33, v12
	v_fmac_f32_e32 v57, v51, v124
	v_fma_f32 v5, v32, v111, -v5
	v_add_f32_e32 v56, v56, v57
	s_waitcnt vmcnt(48) lgkmcnt(0)
	v_mul_f32_e32 v57, v52, v127
	v_add_f32_e32 v4, v4, v5
	v_mul_f32_e32 v5, v35, v13
	v_fmac_f32_e32 v57, v53, v126
	v_fma_f32 v5, v34, v110, -v5
	v_add_f32_e32 v60, v56, v57
	ds_read2_b64 v[56:59], v1 offset0:105 offset1:106
	v_add_f32_e32 v4, v4, v5
	v_mul_f32_e32 v5, v37, v14
	v_fma_f32 v5, v36, v109, -v5
	s_waitcnt vmcnt(46)
	v_mul_f32_e32 v61, v54, v129
	v_add_f32_e32 v4, v4, v5
	v_mul_f32_e32 v5, v39, v15
	v_fmac_f32_e32 v61, v55, v128
	v_fma_f32 v5, v38, v117, -v5
	v_add_f32_e32 v64, v60, v61
	ds_read2_b64 v[60:63], v1 offset0:107 offset1:108
	v_add_f32_e32 v4, v4, v5
	v_mul_f32_e32 v5, v41, v118
	s_waitcnt vmcnt(44) lgkmcnt(1)
	v_mul_f32_e32 v65, v56, v131
	v_fma_f32 v5, v40, v116, -v5
	v_fmac_f32_e32 v65, v57, v130
	v_add_f32_e32 v4, v4, v5
	v_mul_f32_e32 v5, v43, v119
	v_add_f32_e32 v64, v64, v65
	s_waitcnt vmcnt(42)
	v_mul_f32_e32 v65, v58, v133
	v_fma_f32 v5, v42, v115, -v5
	v_fmac_f32_e32 v65, v59, v132
	v_add_f32_e32 v4, v4, v5
	v_mul_f32_e32 v5, v45, v114
	v_add_f32_e32 v64, v64, v65
	s_waitcnt vmcnt(40) lgkmcnt(0)
	v_mul_f32_e32 v65, v60, v135
	v_fma_f32 v5, v44, v113, -v5
	v_fmac_f32_e32 v65, v61, v134
	v_add_f32_e32 v4, v4, v5
	v_mul_f32_e32 v5, v47, v121
	v_add_f32_e32 v68, v64, v65
	ds_read2_b64 v[64:67], v1 offset0:109 offset1:110
	v_fma_f32 v5, v46, v120, -v5
	v_add_f32_e32 v4, v4, v5
	v_mul_f32_e32 v5, v49, v123
	s_waitcnt vmcnt(38)
	v_mul_f32_e32 v69, v62, v137
	v_fma_f32 v5, v48, v122, -v5
	v_fmac_f32_e32 v69, v63, v136
	v_add_f32_e32 v4, v4, v5
	v_mul_f32_e32 v5, v51, v125
	v_add_f32_e32 v72, v68, v69
	ds_read2_b64 v[68:71], v1 offset0:111 offset1:112
	v_fma_f32 v5, v50, v124, -v5
	s_waitcnt vmcnt(36) lgkmcnt(1)
	v_mul_f32_e32 v73, v64, v139
	v_add_f32_e32 v4, v4, v5
	v_mul_f32_e32 v5, v53, v127
	v_fmac_f32_e32 v73, v65, v138
	v_fma_f32 v5, v52, v126, -v5
	v_add_f32_e32 v72, v72, v73
	s_waitcnt vmcnt(35)
	v_mul_f32_e32 v73, v66, v140
	v_add_f32_e32 v4, v4, v5
	v_mul_f32_e32 v5, v55, v129
	s_waitcnt vmcnt(32)
	v_fmac_f32_e32 v73, v67, v143
	v_fma_f32 v5, v54, v128, -v5
	v_add_f32_e32 v72, v72, v73
	s_waitcnt lgkmcnt(0)
	v_mul_f32_e32 v73, v68, v142
	v_add_f32_e32 v4, v4, v5
	v_mul_f32_e32 v5, v57, v131
	v_fmac_f32_e32 v73, v69, v141
	v_fma_f32 v5, v56, v130, -v5
	v_add_f32_e32 v76, v72, v73
	ds_read2_b64 v[72:75], v1 offset0:113 offset1:114
	v_add_f32_e32 v4, v4, v5
	v_mul_f32_e32 v5, v59, v133
	v_fma_f32 v5, v58, v132, -v5
	s_waitcnt vmcnt(30)
	v_mul_f32_e32 v77, v70, v145
	v_add_f32_e32 v4, v4, v5
	v_mul_f32_e32 v5, v61, v135
	v_fmac_f32_e32 v77, v71, v144
	v_fma_f32 v5, v60, v134, -v5
	v_add_f32_e32 v80, v76, v77
	ds_read2_b64 v[76:79], v1 offset0:115 offset1:116
	v_add_f32_e32 v4, v4, v5
	v_mul_f32_e32 v5, v63, v137
	s_waitcnt vmcnt(28) lgkmcnt(1)
	v_mul_f32_e32 v81, v72, v147
	v_fma_f32 v5, v62, v136, -v5
	v_fmac_f32_e32 v81, v73, v146
	v_add_f32_e32 v4, v4, v5
	v_mul_f32_e32 v5, v65, v139
	v_add_f32_e32 v80, v80, v81
	s_waitcnt vmcnt(27)
	v_mul_f32_e32 v81, v74, v148
	v_fma_f32 v5, v64, v138, -v5
	s_waitcnt vmcnt(24)
	v_fmac_f32_e32 v81, v75, v151
	v_add_f32_e32 v4, v4, v5
	v_mul_f32_e32 v5, v67, v140
	v_add_f32_e32 v80, v80, v81
	s_waitcnt lgkmcnt(0)
	v_mul_f32_e32 v81, v76, v150
	v_fma_f32 v5, v66, v143, -v5
	v_fmac_f32_e32 v81, v77, v149
	v_add_f32_e32 v4, v4, v5
	v_mul_f32_e32 v5, v69, v142
	v_add_f32_e32 v84, v80, v81
	ds_read2_b64 v[80:83], v1 offset0:117 offset1:118
	v_fma_f32 v5, v68, v141, -v5
	v_add_f32_e32 v4, v4, v5
	v_mul_f32_e32 v5, v71, v145
	s_waitcnt vmcnt(22)
	v_mul_f32_e32 v85, v78, v153
	v_fma_f32 v5, v70, v144, -v5
	v_fmac_f32_e32 v85, v79, v152
	v_add_f32_e32 v4, v4, v5
	v_mul_f32_e32 v5, v73, v147
	v_add_f32_e32 v88, v84, v85
	ds_read2_b64 v[84:87], v1 offset0:119 offset1:120
	v_fma_f32 v5, v72, v146, -v5
	s_waitcnt vmcnt(20) lgkmcnt(1)
	v_mul_f32_e32 v89, v80, v155
	v_add_f32_e32 v4, v4, v5
	v_mul_f32_e32 v5, v75, v148
	v_fmac_f32_e32 v89, v81, v154
	v_fma_f32 v5, v74, v151, -v5
	v_add_f32_e32 v88, v88, v89
	s_waitcnt vmcnt(19)
	v_mul_f32_e32 v89, v82, v156
	v_add_f32_e32 v4, v4, v5
	v_mul_f32_e32 v5, v77, v150
	s_waitcnt vmcnt(16)
	v_fmac_f32_e32 v89, v83, v159
	v_fma_f32 v5, v76, v149, -v5
	v_add_f32_e32 v88, v88, v89
	s_waitcnt lgkmcnt(0)
	v_mul_f32_e32 v89, v84, v158
	v_add_f32_e32 v4, v4, v5
	v_mul_f32_e32 v5, v79, v153
	v_fmac_f32_e32 v89, v85, v157
	v_fma_f32 v5, v78, v152, -v5
	v_add_f32_e32 v92, v88, v89
	ds_read2_b64 v[88:91], v1 offset0:121 offset1:122
	v_add_f32_e32 v4, v4, v5
	v_mul_f32_e32 v5, v81, v155
	v_fma_f32 v5, v80, v154, -v5
	s_waitcnt vmcnt(14)
	v_mul_f32_e32 v93, v86, v161
	v_add_f32_e32 v4, v4, v5
	v_mul_f32_e32 v5, v83, v156
	v_fmac_f32_e32 v93, v87, v160
	v_fma_f32 v5, v82, v159, -v5
	v_add_f32_e32 v96, v92, v93
	ds_read2_b64 v[92:95], v1 offset0:123 offset1:124
	v_add_f32_e32 v4, v4, v5
	v_mul_f32_e32 v5, v85, v158
	s_waitcnt vmcnt(12) lgkmcnt(1)
	v_mul_f32_e32 v97, v88, v163
	v_fma_f32 v5, v84, v157, -v5
	v_fmac_f32_e32 v97, v89, v162
	v_add_f32_e32 v4, v4, v5
	v_mul_f32_e32 v5, v87, v161
	v_add_f32_e32 v96, v96, v97
	s_waitcnt vmcnt(11)
	v_mul_f32_e32 v97, v90, v164
	v_fma_f32 v5, v86, v160, -v5
	s_waitcnt vmcnt(8)
	v_fmac_f32_e32 v97, v91, v167
	v_add_f32_e32 v4, v4, v5
	v_mul_f32_e32 v5, v89, v163
	v_add_f32_e32 v96, v96, v97
	s_waitcnt lgkmcnt(0)
	v_mul_f32_e32 v97, v92, v166
	v_fma_f32 v5, v88, v162, -v5
	v_fmac_f32_e32 v97, v93, v165
	v_add_f32_e32 v4, v4, v5
	v_mul_f32_e32 v5, v91, v164
	v_add_f32_e32 v100, v96, v97
	ds_read2_b64 v[96:99], v1 offset0:125 offset1:126
	v_fma_f32 v5, v90, v167, -v5
	v_add_f32_e32 v4, v4, v5
	v_mul_f32_e32 v5, v93, v166
	s_waitcnt vmcnt(6)
	v_mul_f32_e32 v101, v94, v169
	v_fma_f32 v5, v92, v165, -v5
	v_fmac_f32_e32 v101, v95, v168
	v_add_f32_e32 v4, v4, v5
	v_mul_f32_e32 v5, v95, v169
	v_add_f32_e32 v176, v100, v101
	ds_read_b64 v[100:101], v1 offset:1016
	v_fma_f32 v5, v94, v168, -v5
	v_add_f32_e32 v4, v4, v5
	s_waitcnt vmcnt(4) lgkmcnt(1)
	v_mul_f32_e32 v5, v97, v171
	v_mul_f32_e32 v177, v96, v171
	v_fma_f32 v5, v96, v170, -v5
	v_fmac_f32_e32 v177, v97, v170
	v_add_f32_e32 v4, v4, v5
	s_waitcnt vmcnt(3)
	v_mul_f32_e32 v5, v99, v172
	v_add_f32_e32 v176, v176, v177
	v_mul_f32_e32 v177, v98, v172
	s_waitcnt vmcnt(0)
	v_fma_f32 v5, v98, v175, -v5
	v_fmac_f32_e32 v177, v99, v175
	v_add_f32_e32 v4, v4, v5
	s_waitcnt lgkmcnt(0)
	v_mul_f32_e32 v5, v101, v174
	v_add_f32_e32 v176, v176, v177
	v_mul_f32_e32 v177, v100, v174
	v_fma_f32 v5, v100, v173, -v5
	v_fmac_f32_e32 v177, v101, v173
	v_add_f32_e32 v4, v4, v5
	v_add_f32_e32 v176, v176, v177
	v_sub_f32_e32 v2, v2, v4
	v_sub_f32_e32 v3, v3, v176
	buffer_store_dword v2, off, s[0:3], 0 offset:160
	buffer_store_dword v3, off, s[0:3], 0 offset:164
	s_and_saveexec_b64 s[4:5], vcc
	s_cbranch_execz .LBB63_359
; %bb.358:
	buffer_load_dword v2, off, s[0:3], 0 offset:152
	buffer_load_dword v3, off, s[0:3], 0 offset:156
	s_waitcnt vmcnt(0)
	ds_write_b64 v249, v[2:3]
	buffer_store_dword v1, off, s[0:3], 0 offset:152
	buffer_store_dword v1, off, s[0:3], 0 offset:156
.LBB63_359:
	s_or_b64 exec, exec, s[4:5]
	s_waitcnt lgkmcnt(0)
	; wave barrier
	buffer_load_dword v10, off, s[0:3], 0 offset:164
	buffer_load_dword v9, off, s[0:3], 0 offset:172
	;; [unrolled: 1-line block ×32, first 2 shown]
	ds_read_b128 v[16:19], v1 offset:672
	ds_read_b128 v[20:23], v1 offset:688
	;; [unrolled: 1-line block ×4, first 2 shown]
	buffer_load_dword v122, off, s[0:3], 0 offset:280
	buffer_load_dword v123, off, s[0:3], 0 offset:284
	ds_read_b128 v[32:35], v1 offset:736
	ds_read_b128 v[36:39], v1 offset:752
	;; [unrolled: 1-line block ×3, first 2 shown]
	buffer_load_dword v124, off, s[0:3], 0 offset:288
	buffer_load_dword v125, off, s[0:3], 0 offset:292
	;; [unrolled: 1-line block ×16, first 2 shown]
	v_cmp_lt_u32_e32 vcc, 18, v0
	s_waitcnt vmcnt(49) lgkmcnt(6)
	v_mul_f32_e32 v44, v16, v10
	s_waitcnt vmcnt(48)
	v_mul_f32_e32 v45, v18, v9
	s_waitcnt vmcnt(47) lgkmcnt(5)
	v_mul_f32_e32 v46, v20, v8
	s_waitcnt vmcnt(46)
	v_mul_f32_e32 v47, v22, v7
	;; [unrolled: 4-line block ×6, first 2 shown]
	s_waitcnt vmcnt(37)
	v_fmac_f32_e32 v46, v21, v104
	s_waitcnt vmcnt(36)
	v_fmac_f32_e32 v45, v19, v105
	;; [unrolled: 2-line block ×3, first 2 shown]
	v_add_f32_e32 v44, 0, v44
	v_add_f32_e32 v44, v44, v45
	;; [unrolled: 1-line block ×3, first 2 shown]
	s_waitcnt vmcnt(31)
	v_fmac_f32_e32 v47, v23, v110
	v_fmac_f32_e32 v48, v25, v109
	v_add_f32_e32 v44, v44, v47
	v_fmac_f32_e32 v49, v27, v108
	v_add_f32_e32 v44, v44, v48
	;; [unrolled: 2-line block ×3, first 2 shown]
	s_waitcnt vmcnt(27)
	v_fmac_f32_e32 v51, v31, v114
	v_add_f32_e32 v44, v44, v50
	v_fmac_f32_e32 v52, v33, v113
	v_add_f32_e32 v44, v44, v51
	;; [unrolled: 2-line block ×4, first 2 shown]
	s_waitcnt vmcnt(23)
	v_fmac_f32_e32 v55, v39, v118
	v_add_f32_e32 v44, v44, v54
	v_add_f32_e32 v48, v44, v55
	ds_read_b128 v[44:47], v1 offset:784
	buffer_load_dword v140, off, s[0:3], 0 offset:352
	buffer_load_dword v141, off, s[0:3], 0 offset:356
	;; [unrolled: 1-line block ×14, first 2 shown]
	s_waitcnt vmcnt(36) lgkmcnt(1)
	v_mul_f32_e32 v49, v40, v119
	buffer_load_dword v154, off, s[0:3], 0 offset:408
	buffer_load_dword v155, off, s[0:3], 0 offset:412
	v_fmac_f32_e32 v49, v41, v117
	v_add_f32_e32 v48, v48, v49
	s_waitcnt vmcnt(37)
	v_mul_f32_e32 v49, v42, v120
	v_fmac_f32_e32 v49, v43, v116
	v_add_f32_e32 v48, v48, v49
	s_waitcnt vmcnt(36) lgkmcnt(0)
	v_mul_f32_e32 v49, v44, v121
	v_fmac_f32_e32 v49, v45, v115
	v_add_f32_e32 v52, v48, v49
	ds_read_b128 v[48:51], v1 offset:800
	buffer_load_dword v156, off, s[0:3], 0 offset:416
	buffer_load_dword v157, off, s[0:3], 0 offset:420
	;; [unrolled: 1-line block ×6, first 2 shown]
	s_waitcnt vmcnt(38)
	v_mul_f32_e32 v53, v46, v123
	v_fmac_f32_e32 v53, v47, v122
	v_add_f32_e32 v56, v52, v53
	ds_read_b128 v[52:55], v1 offset:816
	buffer_load_dword v162, off, s[0:3], 0 offset:440
	buffer_load_dword v163, off, s[0:3], 0 offset:444
	;; [unrolled: 1-line block ×10, first 2 shown]
	s_waitcnt vmcnt(46) lgkmcnt(1)
	v_mul_f32_e32 v57, v48, v125
	v_fmac_f32_e32 v57, v49, v124
	v_add_f32_e32 v56, v56, v57
	s_waitcnt vmcnt(44)
	v_mul_f32_e32 v57, v50, v127
	v_fmac_f32_e32 v57, v51, v126
	v_add_f32_e32 v56, v56, v57
	s_waitcnt vmcnt(42) lgkmcnt(0)
	v_mul_f32_e32 v57, v52, v129
	buffer_load_dword v172, off, s[0:3], 0 offset:480
	buffer_load_dword v173, off, s[0:3], 0 offset:484
	;; [unrolled: 1-line block ×6, first 2 shown]
	v_fmac_f32_e32 v57, v53, v128
	s_waitcnt vmcnt(46)
	v_mul_f32_e32 v61, v54, v131
	v_add_f32_e32 v60, v56, v57
	v_fmac_f32_e32 v61, v55, v130
	ds_read_b128 v[56:59], v1 offset:832
	v_add_f32_e32 v64, v60, v61
	ds_read_b128 v[60:63], v1 offset:848
	buffer_load_dword v178, off, s[0:3], 0 offset:504
	buffer_load_dword v179, off, s[0:3], 0 offset:508
	v_mul_f32_e32 v10, v17, v10
	v_fma_f32 v10, v16, v106, -v10
	v_mul_f32_e32 v9, v19, v9
	v_add_f32_e32 v10, 0, v10
	v_fma_f32 v9, v18, v105, -v9
	v_mul_f32_e32 v8, v21, v8
	v_add_f32_e32 v9, v10, v9
	;; [unrolled: 3-line block ×6, first 2 shown]
	v_fma_f32 v4, v28, v107, -v4
	v_add_f32_e32 v4, v5, v4
	v_mul_f32_e32 v5, v31, v11
	v_fma_f32 v5, v30, v114, -v5
	v_add_f32_e32 v4, v4, v5
	v_mul_f32_e32 v5, v33, v12
	;; [unrolled: 3-line block ×6, first 2 shown]
	s_waitcnt vmcnt(46) lgkmcnt(1)
	v_mul_f32_e32 v65, v56, v133
	v_fma_f32 v5, v40, v117, -v5
	v_fmac_f32_e32 v65, v57, v132
	v_add_f32_e32 v4, v4, v5
	v_mul_f32_e32 v5, v43, v120
	v_add_f32_e32 v64, v64, v65
	s_waitcnt vmcnt(44)
	v_mul_f32_e32 v65, v58, v135
	v_fma_f32 v5, v42, v116, -v5
	v_fmac_f32_e32 v65, v59, v134
	v_add_f32_e32 v4, v4, v5
	v_mul_f32_e32 v5, v45, v121
	v_add_f32_e32 v64, v64, v65
	s_waitcnt vmcnt(42) lgkmcnt(0)
	v_mul_f32_e32 v65, v60, v137
	v_fma_f32 v5, v44, v115, -v5
	v_fmac_f32_e32 v65, v61, v136
	v_add_f32_e32 v4, v4, v5
	v_mul_f32_e32 v5, v47, v123
	v_add_f32_e32 v68, v64, v65
	ds_read_b128 v[64:67], v1 offset:864
	v_fma_f32 v5, v46, v122, -v5
	v_add_f32_e32 v4, v4, v5
	v_mul_f32_e32 v5, v49, v125
	s_waitcnt vmcnt(40)
	v_mul_f32_e32 v69, v62, v139
	v_fma_f32 v5, v48, v124, -v5
	v_fmac_f32_e32 v69, v63, v138
	v_add_f32_e32 v4, v4, v5
	v_mul_f32_e32 v5, v51, v127
	v_add_f32_e32 v72, v68, v69
	ds_read_b128 v[68:71], v1 offset:880
	v_fma_f32 v5, v50, v126, -v5
	s_waitcnt vmcnt(38) lgkmcnt(1)
	v_mul_f32_e32 v73, v64, v141
	v_add_f32_e32 v4, v4, v5
	v_mul_f32_e32 v5, v53, v129
	v_fmac_f32_e32 v73, v65, v140
	v_fma_f32 v5, v52, v128, -v5
	v_add_f32_e32 v72, v72, v73
	s_waitcnt vmcnt(37)
	v_mul_f32_e32 v73, v66, v142
	v_add_f32_e32 v4, v4, v5
	v_mul_f32_e32 v5, v55, v131
	s_waitcnt vmcnt(34)
	v_fmac_f32_e32 v73, v67, v145
	v_fma_f32 v5, v54, v130, -v5
	v_add_f32_e32 v72, v72, v73
	s_waitcnt lgkmcnt(0)
	v_mul_f32_e32 v73, v68, v144
	v_add_f32_e32 v4, v4, v5
	v_mul_f32_e32 v5, v57, v133
	v_fmac_f32_e32 v73, v69, v143
	v_fma_f32 v5, v56, v132, -v5
	v_add_f32_e32 v76, v72, v73
	ds_read_b128 v[72:75], v1 offset:896
	v_add_f32_e32 v4, v4, v5
	v_mul_f32_e32 v5, v59, v135
	v_fma_f32 v5, v58, v134, -v5
	s_waitcnt vmcnt(32)
	v_mul_f32_e32 v77, v70, v147
	v_add_f32_e32 v4, v4, v5
	v_mul_f32_e32 v5, v61, v137
	v_fmac_f32_e32 v77, v71, v146
	v_fma_f32 v5, v60, v136, -v5
	v_add_f32_e32 v80, v76, v77
	ds_read_b128 v[76:79], v1 offset:912
	v_add_f32_e32 v4, v4, v5
	v_mul_f32_e32 v5, v63, v139
	s_waitcnt vmcnt(30) lgkmcnt(1)
	v_mul_f32_e32 v81, v72, v149
	v_fma_f32 v5, v62, v138, -v5
	v_fmac_f32_e32 v81, v73, v148
	v_add_f32_e32 v4, v4, v5
	v_mul_f32_e32 v5, v65, v141
	v_add_f32_e32 v80, v80, v81
	s_waitcnt vmcnt(29)
	v_mul_f32_e32 v81, v74, v150
	v_fma_f32 v5, v64, v140, -v5
	s_waitcnt vmcnt(26)
	v_fmac_f32_e32 v81, v75, v153
	v_add_f32_e32 v4, v4, v5
	v_mul_f32_e32 v5, v67, v142
	v_add_f32_e32 v80, v80, v81
	s_waitcnt lgkmcnt(0)
	v_mul_f32_e32 v81, v76, v152
	v_fma_f32 v5, v66, v145, -v5
	v_fmac_f32_e32 v81, v77, v151
	v_add_f32_e32 v4, v4, v5
	v_mul_f32_e32 v5, v69, v144
	v_add_f32_e32 v84, v80, v81
	ds_read_b128 v[80:83], v1 offset:928
	v_fma_f32 v5, v68, v143, -v5
	v_add_f32_e32 v4, v4, v5
	v_mul_f32_e32 v5, v71, v147
	s_waitcnt vmcnt(24)
	v_mul_f32_e32 v85, v78, v155
	v_fma_f32 v5, v70, v146, -v5
	v_fmac_f32_e32 v85, v79, v154
	v_add_f32_e32 v4, v4, v5
	v_mul_f32_e32 v5, v73, v149
	v_add_f32_e32 v88, v84, v85
	ds_read_b128 v[84:87], v1 offset:944
	v_fma_f32 v5, v72, v148, -v5
	s_waitcnt vmcnt(22) lgkmcnt(1)
	v_mul_f32_e32 v89, v80, v157
	v_add_f32_e32 v4, v4, v5
	v_mul_f32_e32 v5, v75, v150
	v_fmac_f32_e32 v89, v81, v156
	v_fma_f32 v5, v74, v153, -v5
	v_add_f32_e32 v88, v88, v89
	s_waitcnt vmcnt(21)
	v_mul_f32_e32 v89, v82, v158
	v_add_f32_e32 v4, v4, v5
	v_mul_f32_e32 v5, v77, v152
	s_waitcnt vmcnt(18)
	v_fmac_f32_e32 v89, v83, v161
	v_fma_f32 v5, v76, v151, -v5
	v_add_f32_e32 v88, v88, v89
	s_waitcnt lgkmcnt(0)
	v_mul_f32_e32 v89, v84, v160
	v_add_f32_e32 v4, v4, v5
	v_mul_f32_e32 v5, v79, v155
	v_fmac_f32_e32 v89, v85, v159
	v_fma_f32 v5, v78, v154, -v5
	v_add_f32_e32 v92, v88, v89
	ds_read_b128 v[88:91], v1 offset:960
	v_add_f32_e32 v4, v4, v5
	v_mul_f32_e32 v5, v81, v157
	v_fma_f32 v5, v80, v156, -v5
	s_waitcnt vmcnt(16)
	v_mul_f32_e32 v93, v86, v163
	v_add_f32_e32 v4, v4, v5
	v_mul_f32_e32 v5, v83, v158
	v_fmac_f32_e32 v93, v87, v162
	v_fma_f32 v5, v82, v161, -v5
	v_add_f32_e32 v96, v92, v93
	ds_read_b128 v[92:95], v1 offset:976
	v_add_f32_e32 v4, v4, v5
	v_mul_f32_e32 v5, v85, v160
	s_waitcnt vmcnt(14) lgkmcnt(1)
	v_mul_f32_e32 v97, v88, v165
	v_fma_f32 v5, v84, v159, -v5
	v_fmac_f32_e32 v97, v89, v164
	v_add_f32_e32 v4, v4, v5
	v_mul_f32_e32 v5, v87, v163
	v_add_f32_e32 v96, v96, v97
	s_waitcnt vmcnt(13)
	v_mul_f32_e32 v97, v90, v166
	v_fma_f32 v5, v86, v162, -v5
	s_waitcnt vmcnt(10)
	v_fmac_f32_e32 v97, v91, v169
	v_add_f32_e32 v4, v4, v5
	v_mul_f32_e32 v5, v89, v165
	v_add_f32_e32 v96, v96, v97
	s_waitcnt lgkmcnt(0)
	v_mul_f32_e32 v97, v92, v168
	v_fma_f32 v5, v88, v164, -v5
	v_fmac_f32_e32 v97, v93, v167
	v_add_f32_e32 v4, v4, v5
	v_mul_f32_e32 v5, v91, v166
	v_add_f32_e32 v100, v96, v97
	ds_read_b128 v[96:99], v1 offset:992
	v_fma_f32 v5, v90, v169, -v5
	v_add_f32_e32 v4, v4, v5
	v_mul_f32_e32 v5, v93, v168
	s_waitcnt vmcnt(8)
	v_mul_f32_e32 v101, v94, v171
	v_fma_f32 v5, v92, v167, -v5
	v_fmac_f32_e32 v101, v95, v170
	v_add_f32_e32 v4, v4, v5
	v_mul_f32_e32 v5, v95, v171
	v_add_f32_e32 v180, v100, v101
	ds_read_b128 v[100:103], v1 offset:1008
	v_fma_f32 v5, v94, v170, -v5
	v_add_f32_e32 v4, v4, v5
	s_waitcnt vmcnt(6) lgkmcnt(1)
	v_mul_f32_e32 v5, v97, v173
	v_mul_f32_e32 v1, v96, v173
	v_fma_f32 v5, v96, v172, -v5
	v_fmac_f32_e32 v1, v97, v172
	v_add_f32_e32 v4, v4, v5
	s_waitcnt vmcnt(5)
	v_mul_f32_e32 v5, v99, v174
	v_add_f32_e32 v1, v180, v1
	v_mul_f32_e32 v180, v98, v174
	s_waitcnt vmcnt(2)
	v_fma_f32 v5, v98, v177, -v5
	v_fmac_f32_e32 v180, v99, v177
	v_add_f32_e32 v4, v4, v5
	s_waitcnt lgkmcnt(0)
	v_mul_f32_e32 v5, v101, v176
	v_add_f32_e32 v1, v1, v180
	v_mul_f32_e32 v180, v100, v176
	v_fma_f32 v5, v100, v175, -v5
	v_fmac_f32_e32 v180, v101, v175
	v_add_f32_e32 v4, v4, v5
	s_waitcnt vmcnt(0)
	v_mul_f32_e32 v5, v103, v179
	v_add_f32_e32 v1, v1, v180
	v_mul_f32_e32 v180, v102, v179
	v_fma_f32 v5, v102, v178, -v5
	v_fmac_f32_e32 v180, v103, v178
	v_add_f32_e32 v4, v4, v5
	v_add_f32_e32 v1, v1, v180
	v_sub_f32_e32 v2, v2, v4
	v_sub_f32_e32 v1, v3, v1
	buffer_store_dword v2, off, s[0:3], 0 offset:152
	buffer_store_dword v1, off, s[0:3], 0 offset:156
	s_and_saveexec_b64 s[4:5], vcc
	s_cbranch_execz .LBB63_361
; %bb.360:
	buffer_load_dword v1, off, s[0:3], 0 offset:144
	buffer_load_dword v2, off, s[0:3], 0 offset:148
	v_mov_b32_e32 v3, 0
	buffer_store_dword v3, off, s[0:3], 0 offset:144
	buffer_store_dword v3, off, s[0:3], 0 offset:148
	s_waitcnt vmcnt(2)
	ds_write_b64 v249, v[1:2]
.LBB63_361:
	s_or_b64 exec, exec, s[4:5]
	s_waitcnt lgkmcnt(0)
	; wave barrier
	buffer_load_dword v94, off, s[0:3], 0 offset:156
	buffer_load_dword v95, off, s[0:3], 0 offset:164
	;; [unrolled: 1-line block ×48, first 2 shown]
	v_mov_b32_e32 v1, 0
	ds_read2_b64 v[4:7], v1 offset0:83 offset1:84
	ds_read2_b64 v[8:11], v1 offset0:85 offset1:86
	;; [unrolled: 1-line block ×7, first 2 shown]
	v_cmp_lt_u32_e32 vcc, 17, v0
	s_waitcnt vmcnt(47) lgkmcnt(6)
	v_mul_f32_e32 v32, v4, v94
	s_waitcnt vmcnt(46)
	v_mul_f32_e32 v33, v6, v95
	s_waitcnt vmcnt(45) lgkmcnt(5)
	v_mul_f32_e32 v34, v8, v96
	s_waitcnt vmcnt(44)
	v_mul_f32_e32 v35, v10, v97
	;; [unrolled: 4-line block ×6, first 2 shown]
	s_waitcnt vmcnt(35)
	v_fmac_f32_e32 v34, v9, v106
	s_waitcnt vmcnt(34)
	v_fmac_f32_e32 v33, v7, v107
	;; [unrolled: 2-line block ×3, first 2 shown]
	v_add_f32_e32 v32, 0, v32
	v_add_f32_e32 v32, v32, v33
	;; [unrolled: 1-line block ×3, first 2 shown]
	s_waitcnt vmcnt(29)
	v_fmac_f32_e32 v35, v11, v112
	v_fmac_f32_e32 v36, v13, v111
	v_add_f32_e32 v32, v32, v35
	v_fmac_f32_e32 v37, v15, v110
	v_add_f32_e32 v32, v32, v36
	;; [unrolled: 2-line block ×3, first 2 shown]
	s_waitcnt vmcnt(25)
	v_fmac_f32_e32 v39, v19, v116
	v_add_f32_e32 v32, v32, v38
	v_fmac_f32_e32 v40, v21, v115
	v_add_f32_e32 v32, v32, v39
	;; [unrolled: 2-line block ×4, first 2 shown]
	s_waitcnt vmcnt(21)
	v_fmac_f32_e32 v43, v27, v120
	v_add_f32_e32 v32, v32, v42
	v_add_f32_e32 v36, v32, v43
	ds_read2_b64 v[32:35], v1 offset0:97 offset1:98
	buffer_load_dword v140, off, s[0:3], 0 offset:336
	buffer_load_dword v141, off, s[0:3], 0 offset:340
	;; [unrolled: 1-line block ×10, first 2 shown]
	s_waitcnt vmcnt(30) lgkmcnt(1)
	v_mul_f32_e32 v37, v28, v121
	v_fmac_f32_e32 v37, v29, v119
	buffer_load_dword v150, off, s[0:3], 0 offset:376
	buffer_load_dword v151, off, s[0:3], 0 offset:380
	;; [unrolled: 1-line block ×6, first 2 shown]
	v_add_f32_e32 v36, v36, v37
	s_waitcnt vmcnt(35)
	v_mul_f32_e32 v37, v30, v122
	v_fmac_f32_e32 v37, v31, v118
	v_add_f32_e32 v36, v36, v37
	s_waitcnt vmcnt(34) lgkmcnt(0)
	v_mul_f32_e32 v37, v32, v123
	v_fmac_f32_e32 v37, v33, v117
	v_add_f32_e32 v40, v36, v37
	ds_read2_b64 v[36:39], v1 offset0:99 offset1:100
	buffer_load_dword v156, off, s[0:3], 0 offset:400
	buffer_load_dword v157, off, s[0:3], 0 offset:404
	s_waitcnt vmcnt(32)
	v_mul_f32_e32 v41, v34, v125
	v_fmac_f32_e32 v41, v35, v124
	v_add_f32_e32 v44, v40, v41
	ds_read2_b64 v[40:43], v1 offset0:101 offset1:102
	buffer_load_dword v158, off, s[0:3], 0 offset:408
	buffer_load_dword v159, off, s[0:3], 0 offset:412
	;; [unrolled: 1-line block ×14, first 2 shown]
	s_waitcnt vmcnt(44) lgkmcnt(1)
	v_mul_f32_e32 v45, v36, v127
	v_fmac_f32_e32 v45, v37, v126
	buffer_load_dword v172, off, s[0:3], 0 offset:464
	buffer_load_dword v173, off, s[0:3], 0 offset:468
	v_add_f32_e32 v44, v44, v45
	s_waitcnt vmcnt(44)
	v_mul_f32_e32 v45, v38, v129
	v_fmac_f32_e32 v45, v39, v128
	v_add_f32_e32 v44, v44, v45
	s_waitcnt vmcnt(42) lgkmcnt(0)
	v_mul_f32_e32 v45, v40, v131
	v_fmac_f32_e32 v45, v41, v130
	v_mul_f32_e32 v5, v5, v94
	v_add_f32_e32 v48, v44, v45
	ds_read2_b64 v[44:47], v1 offset0:103 offset1:104
	buffer_load_dword v174, off, s[0:3], 0 offset:472
	buffer_load_dword v175, off, s[0:3], 0 offset:476
	;; [unrolled: 1-line block ×6, first 2 shown]
	v_fma_f32 v4, v4, v108, -v5
	v_mul_f32_e32 v5, v7, v95
	v_add_f32_e32 v4, 0, v4
	v_fma_f32 v5, v6, v107, -v5
	v_add_f32_e32 v4, v4, v5
	v_mul_f32_e32 v5, v9, v96
	s_waitcnt vmcnt(46)
	v_mul_f32_e32 v49, v42, v133
	v_fma_f32 v5, v8, v106, -v5
	v_fmac_f32_e32 v49, v43, v132
	v_add_f32_e32 v4, v4, v5
	v_mul_f32_e32 v5, v11, v97
	v_add_f32_e32 v52, v48, v49
	ds_read2_b64 v[48:51], v1 offset0:105 offset1:106
	buffer_load_dword v180, off, s[0:3], 0 offset:500
	buffer_load_dword v181, off, s[0:3], 0 offset:504
	buffer_load_dword v182, off, s[0:3], 0 offset:508
	buffer_load_dword v183, off, s[0:3], 0 offset:496
	v_fma_f32 v5, v10, v112, -v5
	v_add_f32_e32 v4, v4, v5
	v_mul_f32_e32 v5, v13, v98
	v_fma_f32 v5, v12, v111, -v5
	v_add_f32_e32 v4, v4, v5
	v_mul_f32_e32 v5, v15, v99
	;; [unrolled: 3-line block ×8, first 2 shown]
	v_fma_f32 v5, v26, v120, -v5
	s_waitcnt vmcnt(48) lgkmcnt(1)
	v_mul_f32_e32 v53, v44, v135
	v_add_f32_e32 v4, v4, v5
	v_mul_f32_e32 v5, v29, v121
	v_fmac_f32_e32 v53, v45, v134
	v_fma_f32 v5, v28, v119, -v5
	v_add_f32_e32 v52, v52, v53
	s_waitcnt vmcnt(46)
	v_mul_f32_e32 v53, v46, v137
	v_add_f32_e32 v4, v4, v5
	v_mul_f32_e32 v5, v31, v122
	v_fmac_f32_e32 v53, v47, v136
	v_fma_f32 v5, v30, v118, -v5
	v_add_f32_e32 v52, v52, v53
	s_waitcnt vmcnt(44) lgkmcnt(0)
	v_mul_f32_e32 v53, v48, v139
	v_add_f32_e32 v4, v4, v5
	v_mul_f32_e32 v5, v33, v123
	v_fmac_f32_e32 v53, v49, v138
	v_fma_f32 v5, v32, v117, -v5
	v_add_f32_e32 v56, v52, v53
	ds_read2_b64 v[52:55], v1 offset0:107 offset1:108
	v_add_f32_e32 v4, v4, v5
	v_mul_f32_e32 v5, v35, v125
	v_fma_f32 v5, v34, v124, -v5
	s_waitcnt vmcnt(42)
	v_mul_f32_e32 v57, v50, v141
	v_add_f32_e32 v4, v4, v5
	v_mul_f32_e32 v5, v37, v127
	v_fmac_f32_e32 v57, v51, v140
	v_fma_f32 v5, v36, v126, -v5
	v_add_f32_e32 v60, v56, v57
	ds_read2_b64 v[56:59], v1 offset0:109 offset1:110
	v_add_f32_e32 v4, v4, v5
	v_mul_f32_e32 v5, v39, v129
	s_waitcnt vmcnt(40) lgkmcnt(1)
	v_mul_f32_e32 v61, v52, v143
	v_fma_f32 v5, v38, v128, -v5
	v_fmac_f32_e32 v61, v53, v142
	v_add_f32_e32 v4, v4, v5
	v_mul_f32_e32 v5, v41, v131
	v_add_f32_e32 v60, v60, v61
	s_waitcnt vmcnt(39)
	v_mul_f32_e32 v61, v54, v144
	v_fma_f32 v5, v40, v130, -v5
	s_waitcnt vmcnt(36)
	v_fmac_f32_e32 v61, v55, v147
	v_add_f32_e32 v4, v4, v5
	v_mul_f32_e32 v5, v43, v133
	v_add_f32_e32 v60, v60, v61
	s_waitcnt lgkmcnt(0)
	v_mul_f32_e32 v61, v56, v146
	v_fma_f32 v5, v42, v132, -v5
	v_fmac_f32_e32 v61, v57, v145
	v_add_f32_e32 v4, v4, v5
	v_mul_f32_e32 v5, v45, v135
	v_add_f32_e32 v64, v60, v61
	ds_read2_b64 v[60:63], v1 offset0:111 offset1:112
	v_fma_f32 v5, v44, v134, -v5
	v_add_f32_e32 v4, v4, v5
	v_mul_f32_e32 v5, v47, v137
	s_waitcnt vmcnt(34)
	v_mul_f32_e32 v65, v58, v149
	v_fma_f32 v5, v46, v136, -v5
	v_fmac_f32_e32 v65, v59, v148
	v_add_f32_e32 v4, v4, v5
	v_mul_f32_e32 v5, v49, v139
	v_add_f32_e32 v68, v64, v65
	ds_read2_b64 v[64:67], v1 offset0:113 offset1:114
	v_fma_f32 v5, v48, v138, -v5
	s_waitcnt vmcnt(32) lgkmcnt(1)
	v_mul_f32_e32 v69, v60, v151
	v_add_f32_e32 v4, v4, v5
	v_mul_f32_e32 v5, v51, v141
	v_fmac_f32_e32 v69, v61, v150
	v_fma_f32 v5, v50, v140, -v5
	v_add_f32_e32 v68, v68, v69
	s_waitcnt vmcnt(31)
	v_mul_f32_e32 v69, v62, v152
	v_add_f32_e32 v4, v4, v5
	v_mul_f32_e32 v5, v53, v143
	s_waitcnt vmcnt(28)
	v_fmac_f32_e32 v69, v63, v155
	v_fma_f32 v5, v52, v142, -v5
	v_add_f32_e32 v68, v68, v69
	s_waitcnt lgkmcnt(0)
	v_mul_f32_e32 v69, v64, v154
	v_add_f32_e32 v4, v4, v5
	v_mul_f32_e32 v5, v55, v144
	v_fmac_f32_e32 v69, v65, v153
	v_fma_f32 v5, v54, v147, -v5
	v_add_f32_e32 v72, v68, v69
	ds_read2_b64 v[68:71], v1 offset0:115 offset1:116
	v_add_f32_e32 v4, v4, v5
	v_mul_f32_e32 v5, v57, v146
	v_fma_f32 v5, v56, v145, -v5
	s_waitcnt vmcnt(26)
	v_mul_f32_e32 v73, v66, v157
	v_add_f32_e32 v4, v4, v5
	v_mul_f32_e32 v5, v59, v149
	v_fmac_f32_e32 v73, v67, v156
	v_fma_f32 v5, v58, v148, -v5
	v_add_f32_e32 v76, v72, v73
	ds_read2_b64 v[72:75], v1 offset0:117 offset1:118
	v_add_f32_e32 v4, v4, v5
	v_mul_f32_e32 v5, v61, v151
	s_waitcnt vmcnt(24) lgkmcnt(1)
	v_mul_f32_e32 v77, v68, v159
	v_fma_f32 v5, v60, v150, -v5
	v_fmac_f32_e32 v77, v69, v158
	v_add_f32_e32 v4, v4, v5
	v_mul_f32_e32 v5, v63, v152
	v_add_f32_e32 v76, v76, v77
	s_waitcnt vmcnt(23)
	v_mul_f32_e32 v77, v70, v160
	v_fma_f32 v5, v62, v155, -v5
	s_waitcnt vmcnt(20)
	v_fmac_f32_e32 v77, v71, v163
	v_add_f32_e32 v4, v4, v5
	v_mul_f32_e32 v5, v65, v154
	v_add_f32_e32 v76, v76, v77
	s_waitcnt lgkmcnt(0)
	v_mul_f32_e32 v77, v72, v162
	v_fma_f32 v5, v64, v153, -v5
	v_fmac_f32_e32 v77, v73, v161
	v_add_f32_e32 v4, v4, v5
	v_mul_f32_e32 v5, v67, v157
	v_add_f32_e32 v80, v76, v77
	ds_read2_b64 v[76:79], v1 offset0:119 offset1:120
	v_fma_f32 v5, v66, v156, -v5
	v_add_f32_e32 v4, v4, v5
	v_mul_f32_e32 v5, v69, v159
	s_waitcnt vmcnt(18)
	v_mul_f32_e32 v81, v74, v165
	v_fma_f32 v5, v68, v158, -v5
	v_fmac_f32_e32 v81, v75, v164
	v_add_f32_e32 v4, v4, v5
	v_mul_f32_e32 v5, v71, v160
	v_add_f32_e32 v84, v80, v81
	ds_read2_b64 v[80:83], v1 offset0:121 offset1:122
	v_fma_f32 v5, v70, v163, -v5
	s_waitcnt vmcnt(16) lgkmcnt(1)
	v_mul_f32_e32 v85, v76, v167
	v_add_f32_e32 v4, v4, v5
	v_mul_f32_e32 v5, v73, v162
	v_fmac_f32_e32 v85, v77, v166
	v_fma_f32 v5, v72, v161, -v5
	v_add_f32_e32 v84, v84, v85
	s_waitcnt vmcnt(15)
	v_mul_f32_e32 v85, v78, v168
	v_add_f32_e32 v4, v4, v5
	v_mul_f32_e32 v5, v75, v165
	s_waitcnt vmcnt(12)
	v_fmac_f32_e32 v85, v79, v171
	v_fma_f32 v5, v74, v164, -v5
	v_add_f32_e32 v84, v84, v85
	s_waitcnt lgkmcnt(0)
	v_mul_f32_e32 v85, v80, v170
	v_add_f32_e32 v4, v4, v5
	v_mul_f32_e32 v5, v77, v167
	v_fmac_f32_e32 v85, v81, v169
	v_fma_f32 v5, v76, v166, -v5
	v_add_f32_e32 v88, v84, v85
	ds_read2_b64 v[84:87], v1 offset0:123 offset1:124
	v_add_f32_e32 v4, v4, v5
	v_mul_f32_e32 v5, v79, v168
	v_fma_f32 v5, v78, v171, -v5
	v_add_f32_e32 v4, v4, v5
	v_mul_f32_e32 v5, v81, v170
	s_waitcnt vmcnt(10)
	v_mul_f32_e32 v89, v82, v173
	v_fma_f32 v5, v80, v169, -v5
	v_fmac_f32_e32 v89, v83, v172
	v_add_f32_e32 v4, v4, v5
	v_mul_f32_e32 v5, v83, v173
	v_add_f32_e32 v92, v88, v89
	ds_read2_b64 v[88:91], v1 offset0:125 offset1:126
	s_waitcnt vmcnt(8) lgkmcnt(1)
	v_mul_f32_e32 v93, v84, v175
	v_fma_f32 v5, v82, v172, -v5
	v_fmac_f32_e32 v93, v85, v174
	v_add_f32_e32 v4, v4, v5
	v_mul_f32_e32 v5, v85, v175
	v_add_f32_e32 v92, v92, v93
	s_waitcnt vmcnt(7)
	v_mul_f32_e32 v93, v86, v176
	v_fma_f32 v5, v84, v174, -v5
	s_waitcnt vmcnt(4)
	v_fmac_f32_e32 v93, v87, v179
	v_add_f32_e32 v4, v4, v5
	v_mul_f32_e32 v5, v87, v176
	v_add_f32_e32 v184, v92, v93
	ds_read_b64 v[92:93], v1 offset:1016
	v_fma_f32 v5, v86, v179, -v5
	v_add_f32_e32 v4, v4, v5
	s_waitcnt lgkmcnt(1)
	v_mul_f32_e32 v5, v89, v178
	v_mul_f32_e32 v185, v88, v178
	v_fma_f32 v5, v88, v177, -v5
	v_fmac_f32_e32 v185, v89, v177
	v_add_f32_e32 v4, v4, v5
	s_waitcnt vmcnt(3)
	v_mul_f32_e32 v5, v91, v180
	v_add_f32_e32 v184, v184, v185
	v_mul_f32_e32 v185, v90, v180
	s_waitcnt vmcnt(0)
	v_fma_f32 v5, v90, v183, -v5
	v_fmac_f32_e32 v185, v91, v183
	v_add_f32_e32 v4, v4, v5
	s_waitcnt lgkmcnt(0)
	v_mul_f32_e32 v5, v93, v182
	v_add_f32_e32 v184, v184, v185
	v_mul_f32_e32 v185, v92, v182
	v_fma_f32 v5, v92, v181, -v5
	v_fmac_f32_e32 v185, v93, v181
	v_add_f32_e32 v4, v4, v5
	v_add_f32_e32 v184, v184, v185
	v_sub_f32_e32 v2, v2, v4
	v_sub_f32_e32 v3, v3, v184
	buffer_store_dword v2, off, s[0:3], 0 offset:144
	buffer_store_dword v3, off, s[0:3], 0 offset:148
	s_and_saveexec_b64 s[4:5], vcc
	s_cbranch_execz .LBB63_363
; %bb.362:
	buffer_load_dword v2, off, s[0:3], 0 offset:136
	buffer_load_dword v3, off, s[0:3], 0 offset:140
	s_waitcnt vmcnt(0)
	ds_write_b64 v249, v[2:3]
	buffer_store_dword v1, off, s[0:3], 0 offset:136
	buffer_store_dword v1, off, s[0:3], 0 offset:140
.LBB63_363:
	s_or_b64 exec, exec, s[4:5]
	s_waitcnt lgkmcnt(0)
	; wave barrier
	buffer_load_dword v10, off, s[0:3], 0 offset:148
	buffer_load_dword v9, off, s[0:3], 0 offset:156
	buffer_load_dword v8, off, s[0:3], 0 offset:164
	buffer_load_dword v7, off, s[0:3], 0 offset:172
	buffer_load_dword v6, off, s[0:3], 0 offset:180
	buffer_load_dword v5, off, s[0:3], 0 offset:188
	buffer_load_dword v4, off, s[0:3], 0 offset:196
	buffer_load_dword v103, off, s[0:3], 0 offset:204
	buffer_load_dword v104, off, s[0:3], 0 offset:212
	buffer_load_dword v105, off, s[0:3], 0 offset:220
	buffer_load_dword v106, off, s[0:3], 0 offset:228
	buffer_load_dword v107, off, s[0:3], 0 offset:236
	buffer_load_dword v108, off, s[0:3], 0 offset:160
	buffer_load_dword v109, off, s[0:3], 0 offset:152
	buffer_load_dword v110, off, s[0:3], 0 offset:144
	buffer_load_dword v111, off, s[0:3], 0 offset:192
	buffer_load_dword v112, off, s[0:3], 0 offset:184
	buffer_load_dword v113, off, s[0:3], 0 offset:176
	buffer_load_dword v114, off, s[0:3], 0 offset:168
	buffer_load_dword v115, off, s[0:3], 0 offset:224
	buffer_load_dword v116, off, s[0:3], 0 offset:216
	buffer_load_dword v117, off, s[0:3], 0 offset:208
	buffer_load_dword v118, off, s[0:3], 0 offset:200
	buffer_load_dword v119, off, s[0:3], 0 offset:256
	buffer_load_dword v120, off, s[0:3], 0 offset:248
	buffer_load_dword v121, off, s[0:3], 0 offset:240
	buffer_load_dword v122, off, s[0:3], 0 offset:232
	buffer_load_dword v123, off, s[0:3], 0 offset:244
	buffer_load_dword v124, off, s[0:3], 0 offset:252
	buffer_load_dword v125, off, s[0:3], 0 offset:260
	buffer_load_dword v126, off, s[0:3], 0 offset:268
	buffer_load_dword v2, off, s[0:3], 0 offset:136
	buffer_load_dword v3, off, s[0:3], 0 offset:140
	ds_read_b128 v[11:14], v1 offset:656
	ds_read_b128 v[15:18], v1 offset:672
	;; [unrolled: 1-line block ×6, first 2 shown]
	buffer_load_dword v127, off, s[0:3], 0 offset:264
	buffer_load_dword v128, off, s[0:3], 0 offset:276
	;; [unrolled: 1-line block ×7, first 2 shown]
	ds_read_b128 v[35:38], v1 offset:752
	ds_read_b128 v[39:42], v1 offset:768
	buffer_load_dword v134, off, s[0:3], 0 offset:296
	buffer_load_dword v135, off, s[0:3], 0 offset:300
	;; [unrolled: 1-line block ×18, first 2 shown]
	v_cmp_lt_u32_e32 vcc, 16, v0
	s_waitcnt vmcnt(57) lgkmcnt(7)
	v_mul_f32_e32 v43, v11, v10
	s_waitcnt vmcnt(56)
	v_mul_f32_e32 v44, v13, v9
	s_waitcnt vmcnt(55) lgkmcnt(6)
	v_mul_f32_e32 v45, v15, v8
	s_waitcnt vmcnt(54)
	v_mul_f32_e32 v46, v17, v7
	;; [unrolled: 4-line block ×6, first 2 shown]
	s_waitcnt vmcnt(45)
	v_fmac_f32_e32 v45, v16, v108
	s_waitcnt vmcnt(44)
	v_fmac_f32_e32 v44, v14, v109
	;; [unrolled: 2-line block ×3, first 2 shown]
	v_add_f32_e32 v43, 0, v43
	v_add_f32_e32 v43, v43, v44
	;; [unrolled: 1-line block ×3, first 2 shown]
	s_waitcnt vmcnt(39)
	v_fmac_f32_e32 v46, v18, v114
	v_fmac_f32_e32 v47, v20, v113
	v_add_f32_e32 v43, v43, v46
	v_fmac_f32_e32 v48, v22, v112
	v_add_f32_e32 v43, v43, v47
	;; [unrolled: 2-line block ×3, first 2 shown]
	s_waitcnt vmcnt(35)
	v_fmac_f32_e32 v50, v26, v118
	v_add_f32_e32 v43, v43, v49
	v_fmac_f32_e32 v51, v28, v117
	v_add_f32_e32 v43, v43, v50
	;; [unrolled: 2-line block ×4, first 2 shown]
	s_waitcnt vmcnt(31)
	v_fmac_f32_e32 v54, v34, v122
	v_add_f32_e32 v43, v43, v53
	s_waitcnt vmcnt(30) lgkmcnt(1)
	v_mul_f32_e32 v44, v35, v123
	v_add_f32_e32 v43, v43, v54
	v_fmac_f32_e32 v44, v36, v121
	v_add_f32_e32 v43, v43, v44
	s_waitcnt vmcnt(29)
	v_mul_f32_e32 v44, v37, v124
	v_fmac_f32_e32 v44, v38, v120
	v_add_f32_e32 v43, v43, v44
	s_waitcnt vmcnt(28) lgkmcnt(0)
	v_mul_f32_e32 v44, v39, v125
	v_fmac_f32_e32 v44, v40, v119
	v_add_f32_e32 v47, v43, v44
	ds_read_b128 v[43:46], v1 offset:784
	buffer_load_dword v152, off, s[0:3], 0 offset:368
	buffer_load_dword v153, off, s[0:3], 0 offset:372
	;; [unrolled: 1-line block ×6, first 2 shown]
	s_waitcnt vmcnt(33)
	v_mul_f32_e32 v48, v41, v126
	s_waitcnt vmcnt(30)
	v_fmac_f32_e32 v48, v42, v127
	v_add_f32_e32 v51, v47, v48
	ds_read_b128 v[47:50], v1 offset:800
	buffer_load_dword v158, off, s[0:3], 0 offset:392
	buffer_load_dword v159, off, s[0:3], 0 offset:396
	;; [unrolled: 1-line block ×10, first 2 shown]
	s_waitcnt vmcnt(39) lgkmcnt(1)
	v_mul_f32_e32 v52, v43, v128
	buffer_load_dword v168, off, s[0:3], 0 offset:432
	buffer_load_dword v169, off, s[0:3], 0 offset:436
	buffer_load_dword v170, off, s[0:3], 0 offset:444
	buffer_load_dword v171, off, s[0:3], 0 offset:448
	buffer_load_dword v172, off, s[0:3], 0 offset:452
	buffer_load_dword v173, off, s[0:3], 0 offset:440
	s_waitcnt vmcnt(40)
	v_fmac_f32_e32 v52, v44, v133
	v_add_f32_e32 v51, v51, v52
	v_mul_f32_e32 v52, v45, v130
	v_fmac_f32_e32 v52, v46, v129
	v_add_f32_e32 v51, v51, v52
	s_waitcnt lgkmcnt(0)
	v_mul_f32_e32 v52, v47, v132
	v_fmac_f32_e32 v52, v48, v131
	v_add_f32_e32 v55, v51, v52
	ds_read_b128 v[51:54], v1 offset:816
	buffer_load_dword v174, off, s[0:3], 0 offset:456
	buffer_load_dword v175, off, s[0:3], 0 offset:460
	s_waitcnt vmcnt(40)
	v_mul_f32_e32 v56, v49, v135
	v_fmac_f32_e32 v56, v50, v134
	v_add_f32_e32 v59, v55, v56
	ds_read_b128 v[55:58], v1 offset:832
	buffer_load_dword v176, off, s[0:3], 0 offset:464
	buffer_load_dword v177, off, s[0:3], 0 offset:468
	;; [unrolled: 1-line block ×6, first 2 shown]
	v_mul_f32_e32 v10, v12, v10
	v_fma_f32 v10, v11, v110, -v10
	v_mul_f32_e32 v9, v14, v9
	v_add_f32_e32 v10, 0, v10
	v_fma_f32 v9, v13, v109, -v9
	v_mul_f32_e32 v8, v16, v8
	buffer_load_dword v182, off, s[0:3], 0 offset:488
	buffer_load_dword v183, off, s[0:3], 0 offset:492
	;; [unrolled: 1-line block ×6, first 2 shown]
	v_add_f32_e32 v9, v10, v9
	v_fma_f32 v8, v15, v108, -v8
	v_mul_f32_e32 v7, v18, v7
	v_add_f32_e32 v8, v9, v8
	v_fma_f32 v7, v17, v114, -v7
	v_mul_f32_e32 v6, v20, v6
	;; [unrolled: 3-line block ×4, first 2 shown]
	v_add_f32_e32 v5, v6, v5
	v_fma_f32 v4, v23, v111, -v4
	v_add_f32_e32 v4, v5, v4
	v_mul_f32_e32 v5, v26, v103
	v_fma_f32 v5, v25, v118, -v5
	v_add_f32_e32 v4, v4, v5
	v_mul_f32_e32 v5, v28, v104
	;; [unrolled: 3-line block ×5, first 2 shown]
	v_fma_f32 v5, v33, v122, -v5
	s_waitcnt vmcnt(50) lgkmcnt(1)
	v_mul_f32_e32 v60, v51, v137
	v_add_f32_e32 v4, v4, v5
	v_mul_f32_e32 v5, v36, v123
	v_fmac_f32_e32 v60, v52, v136
	v_fma_f32 v5, v35, v121, -v5
	v_add_f32_e32 v59, v59, v60
	s_waitcnt vmcnt(48)
	v_mul_f32_e32 v60, v53, v139
	v_add_f32_e32 v4, v4, v5
	v_mul_f32_e32 v5, v38, v124
	v_fmac_f32_e32 v60, v54, v138
	v_fma_f32 v5, v37, v120, -v5
	v_add_f32_e32 v59, v59, v60
	s_waitcnt vmcnt(46) lgkmcnt(0)
	v_mul_f32_e32 v60, v55, v141
	v_add_f32_e32 v4, v4, v5
	v_mul_f32_e32 v5, v40, v125
	v_fmac_f32_e32 v60, v56, v140
	v_fma_f32 v5, v39, v119, -v5
	v_add_f32_e32 v63, v59, v60
	ds_read_b128 v[59:62], v1 offset:848
	v_add_f32_e32 v4, v4, v5
	v_mul_f32_e32 v5, v42, v126
	v_fma_f32 v5, v41, v127, -v5
	s_waitcnt vmcnt(44)
	v_mul_f32_e32 v64, v57, v143
	v_add_f32_e32 v4, v4, v5
	v_mul_f32_e32 v5, v44, v128
	v_fmac_f32_e32 v64, v58, v142
	v_fma_f32 v5, v43, v133, -v5
	v_add_f32_e32 v67, v63, v64
	ds_read_b128 v[63:66], v1 offset:864
	v_add_f32_e32 v4, v4, v5
	v_mul_f32_e32 v5, v46, v130
	s_waitcnt vmcnt(42) lgkmcnt(1)
	v_mul_f32_e32 v68, v59, v145
	v_fma_f32 v5, v45, v129, -v5
	v_fmac_f32_e32 v68, v60, v144
	v_add_f32_e32 v4, v4, v5
	v_mul_f32_e32 v5, v48, v132
	v_add_f32_e32 v67, v67, v68
	s_waitcnt vmcnt(41)
	v_mul_f32_e32 v68, v61, v146
	v_fma_f32 v5, v47, v131, -v5
	s_waitcnt vmcnt(38)
	v_fmac_f32_e32 v68, v62, v149
	v_add_f32_e32 v4, v4, v5
	v_mul_f32_e32 v5, v50, v135
	v_add_f32_e32 v67, v67, v68
	s_waitcnt lgkmcnt(0)
	v_mul_f32_e32 v68, v63, v148
	v_fma_f32 v5, v49, v134, -v5
	v_fmac_f32_e32 v68, v64, v147
	v_add_f32_e32 v4, v4, v5
	v_mul_f32_e32 v5, v52, v137
	v_add_f32_e32 v71, v67, v68
	ds_read_b128 v[67:70], v1 offset:880
	v_fma_f32 v5, v51, v136, -v5
	v_add_f32_e32 v4, v4, v5
	v_mul_f32_e32 v5, v54, v139
	s_waitcnt vmcnt(36)
	v_mul_f32_e32 v72, v65, v151
	v_fma_f32 v5, v53, v138, -v5
	v_fmac_f32_e32 v72, v66, v150
	v_add_f32_e32 v4, v4, v5
	v_mul_f32_e32 v5, v56, v141
	v_add_f32_e32 v75, v71, v72
	ds_read_b128 v[71:74], v1 offset:896
	v_fma_f32 v5, v55, v140, -v5
	s_waitcnt vmcnt(34) lgkmcnt(1)
	v_mul_f32_e32 v76, v67, v153
	v_add_f32_e32 v4, v4, v5
	v_mul_f32_e32 v5, v58, v143
	v_fmac_f32_e32 v76, v68, v152
	v_fma_f32 v5, v57, v142, -v5
	v_add_f32_e32 v75, v75, v76
	s_waitcnt vmcnt(33)
	v_mul_f32_e32 v76, v69, v154
	v_add_f32_e32 v4, v4, v5
	v_mul_f32_e32 v5, v60, v145
	s_waitcnt vmcnt(30)
	v_fmac_f32_e32 v76, v70, v157
	v_fma_f32 v5, v59, v144, -v5
	v_add_f32_e32 v75, v75, v76
	s_waitcnt lgkmcnt(0)
	v_mul_f32_e32 v76, v71, v156
	v_add_f32_e32 v4, v4, v5
	v_mul_f32_e32 v5, v62, v146
	v_fmac_f32_e32 v76, v72, v155
	v_fma_f32 v5, v61, v149, -v5
	v_add_f32_e32 v79, v75, v76
	ds_read_b128 v[75:78], v1 offset:912
	v_add_f32_e32 v4, v4, v5
	v_mul_f32_e32 v5, v64, v148
	v_fma_f32 v5, v63, v147, -v5
	s_waitcnt vmcnt(28)
	v_mul_f32_e32 v80, v73, v159
	v_add_f32_e32 v4, v4, v5
	v_mul_f32_e32 v5, v66, v151
	v_fmac_f32_e32 v80, v74, v158
	v_fma_f32 v5, v65, v150, -v5
	v_add_f32_e32 v83, v79, v80
	ds_read_b128 v[79:82], v1 offset:928
	v_add_f32_e32 v4, v4, v5
	v_mul_f32_e32 v5, v68, v153
	s_waitcnt vmcnt(26) lgkmcnt(1)
	v_mul_f32_e32 v84, v75, v161
	v_fma_f32 v5, v67, v152, -v5
	v_fmac_f32_e32 v84, v76, v160
	v_add_f32_e32 v4, v4, v5
	v_mul_f32_e32 v5, v70, v154
	v_add_f32_e32 v83, v83, v84
	s_waitcnt vmcnt(25)
	v_mul_f32_e32 v84, v77, v162
	v_fma_f32 v5, v69, v157, -v5
	s_waitcnt vmcnt(22)
	v_fmac_f32_e32 v84, v78, v165
	v_add_f32_e32 v4, v4, v5
	v_mul_f32_e32 v5, v72, v156
	v_add_f32_e32 v83, v83, v84
	s_waitcnt lgkmcnt(0)
	v_mul_f32_e32 v84, v79, v164
	v_fma_f32 v5, v71, v155, -v5
	v_fmac_f32_e32 v84, v80, v163
	v_add_f32_e32 v4, v4, v5
	v_mul_f32_e32 v5, v74, v159
	v_add_f32_e32 v87, v83, v84
	ds_read_b128 v[83:86], v1 offset:944
	v_fma_f32 v5, v73, v158, -v5
	v_add_f32_e32 v4, v4, v5
	v_mul_f32_e32 v5, v76, v161
	s_waitcnt vmcnt(20)
	v_mul_f32_e32 v88, v81, v167
	v_fma_f32 v5, v75, v160, -v5
	v_fmac_f32_e32 v88, v82, v166
	v_add_f32_e32 v4, v4, v5
	v_mul_f32_e32 v5, v78, v162
	v_add_f32_e32 v91, v87, v88
	ds_read_b128 v[87:90], v1 offset:960
	v_fma_f32 v5, v77, v165, -v5
	s_waitcnt vmcnt(18) lgkmcnt(1)
	v_mul_f32_e32 v92, v83, v169
	v_add_f32_e32 v4, v4, v5
	v_mul_f32_e32 v5, v80, v164
	v_fmac_f32_e32 v92, v84, v168
	v_fma_f32 v5, v79, v163, -v5
	v_add_f32_e32 v91, v91, v92
	s_waitcnt vmcnt(17)
	v_mul_f32_e32 v92, v85, v170
	v_add_f32_e32 v4, v4, v5
	v_mul_f32_e32 v5, v82, v167
	s_waitcnt vmcnt(14)
	v_fmac_f32_e32 v92, v86, v173
	v_fma_f32 v5, v81, v166, -v5
	v_add_f32_e32 v91, v91, v92
	s_waitcnt lgkmcnt(0)
	v_mul_f32_e32 v92, v87, v172
	v_add_f32_e32 v4, v4, v5
	v_mul_f32_e32 v5, v84, v169
	v_fmac_f32_e32 v92, v88, v171
	v_fma_f32 v5, v83, v168, -v5
	v_add_f32_e32 v95, v91, v92
	ds_read_b128 v[91:94], v1 offset:976
	v_add_f32_e32 v4, v4, v5
	v_mul_f32_e32 v5, v86, v170
	v_fma_f32 v5, v85, v173, -v5
	v_add_f32_e32 v4, v4, v5
	v_mul_f32_e32 v5, v88, v172
	s_waitcnt vmcnt(12)
	v_mul_f32_e32 v96, v89, v175
	v_fma_f32 v5, v87, v171, -v5
	v_fmac_f32_e32 v96, v90, v174
	v_add_f32_e32 v4, v4, v5
	v_mul_f32_e32 v5, v90, v175
	v_add_f32_e32 v99, v95, v96
	ds_read_b128 v[95:98], v1 offset:992
	s_waitcnt vmcnt(10) lgkmcnt(1)
	v_mul_f32_e32 v100, v91, v177
	v_fma_f32 v5, v89, v174, -v5
	v_fmac_f32_e32 v100, v92, v176
	v_add_f32_e32 v4, v4, v5
	v_mul_f32_e32 v5, v92, v177
	v_add_f32_e32 v99, v99, v100
	s_waitcnt vmcnt(9)
	v_mul_f32_e32 v100, v93, v178
	v_fma_f32 v5, v91, v176, -v5
	s_waitcnt vmcnt(6)
	v_fmac_f32_e32 v100, v94, v181
	v_add_f32_e32 v4, v4, v5
	v_mul_f32_e32 v5, v94, v178
	v_add_f32_e32 v188, v99, v100
	ds_read_b128 v[99:102], v1 offset:1008
	v_fma_f32 v5, v93, v181, -v5
	v_add_f32_e32 v4, v4, v5
	s_waitcnt lgkmcnt(1)
	v_mul_f32_e32 v5, v96, v180
	v_mul_f32_e32 v189, v95, v180
	v_fma_f32 v5, v95, v179, -v5
	v_fmac_f32_e32 v189, v96, v179
	v_add_f32_e32 v4, v4, v5
	s_waitcnt vmcnt(4)
	v_mul_f32_e32 v5, v98, v183
	v_add_f32_e32 v1, v188, v189
	v_mul_f32_e32 v188, v97, v183
	v_fma_f32 v5, v97, v182, -v5
	v_fmac_f32_e32 v188, v98, v182
	v_add_f32_e32 v4, v4, v5
	s_waitcnt vmcnt(3) lgkmcnt(0)
	v_mul_f32_e32 v5, v100, v184
	v_add_f32_e32 v1, v1, v188
	v_mul_f32_e32 v188, v99, v184
	s_waitcnt vmcnt(0)
	v_fma_f32 v5, v99, v187, -v5
	v_fmac_f32_e32 v188, v100, v187
	v_add_f32_e32 v4, v4, v5
	v_mul_f32_e32 v5, v102, v186
	v_add_f32_e32 v1, v1, v188
	v_mul_f32_e32 v188, v101, v186
	v_fma_f32 v5, v101, v185, -v5
	v_fmac_f32_e32 v188, v102, v185
	v_add_f32_e32 v4, v4, v5
	v_add_f32_e32 v1, v1, v188
	v_sub_f32_e32 v2, v2, v4
	v_sub_f32_e32 v1, v3, v1
	buffer_store_dword v2, off, s[0:3], 0 offset:136
	buffer_store_dword v1, off, s[0:3], 0 offset:140
	s_and_saveexec_b64 s[4:5], vcc
	s_cbranch_execz .LBB63_365
; %bb.364:
	buffer_load_dword v1, off, s[0:3], 0 offset:128
	buffer_load_dword v2, off, s[0:3], 0 offset:132
	v_mov_b32_e32 v3, 0
	buffer_store_dword v3, off, s[0:3], 0 offset:128
	buffer_store_dword v3, off, s[0:3], 0 offset:132
	s_waitcnt vmcnt(2)
	ds_write_b64 v249, v[1:2]
.LBB63_365:
	s_or_b64 exec, exec, s[4:5]
	s_waitcnt lgkmcnt(0)
	; wave barrier
	buffer_load_dword v8, off, s[0:3], 0 offset:140
	buffer_load_dword v7, off, s[0:3], 0 offset:148
	;; [unrolled: 1-line block ×48, first 2 shown]
	v_mov_b32_e32 v1, 0
	ds_read2_b64 v[11:14], v1 offset0:81 offset1:82
	ds_read2_b64 v[15:18], v1 offset0:83 offset1:84
	;; [unrolled: 1-line block ×7, first 2 shown]
	v_cmp_lt_u32_e32 vcc, 15, v0
	s_waitcnt vmcnt(47) lgkmcnt(6)
	v_mul_f32_e32 v39, v11, v8
	s_waitcnt vmcnt(46)
	v_mul_f32_e32 v40, v13, v7
	s_waitcnt vmcnt(45) lgkmcnt(5)
	v_mul_f32_e32 v41, v15, v6
	s_waitcnt vmcnt(44)
	v_mul_f32_e32 v42, v17, v5
	;; [unrolled: 4-line block ×6, first 2 shown]
	s_waitcnt vmcnt(35)
	v_fmac_f32_e32 v41, v16, v110
	s_waitcnt vmcnt(34)
	v_fmac_f32_e32 v40, v14, v111
	;; [unrolled: 2-line block ×3, first 2 shown]
	v_add_f32_e32 v39, 0, v39
	v_add_f32_e32 v39, v39, v40
	;; [unrolled: 1-line block ×3, first 2 shown]
	s_waitcnt vmcnt(29)
	v_fmac_f32_e32 v42, v18, v116
	v_fmac_f32_e32 v43, v20, v115
	v_add_f32_e32 v39, v39, v42
	v_fmac_f32_e32 v44, v22, v114
	v_add_f32_e32 v39, v39, v43
	;; [unrolled: 2-line block ×3, first 2 shown]
	s_waitcnt vmcnt(25)
	v_fmac_f32_e32 v46, v26, v120
	v_add_f32_e32 v39, v39, v45
	v_fmac_f32_e32 v47, v28, v119
	v_add_f32_e32 v39, v39, v46
	;; [unrolled: 2-line block ×4, first 2 shown]
	s_waitcnt vmcnt(21)
	v_fmac_f32_e32 v50, v34, v124
	v_add_f32_e32 v39, v39, v49
	v_add_f32_e32 v43, v39, v50
	ds_read2_b64 v[39:42], v1 offset0:95 offset1:96
	buffer_load_dword v144, off, s[0:3], 0 offset:320
	buffer_load_dword v145, off, s[0:3], 0 offset:324
	;; [unrolled: 1-line block ×8, first 2 shown]
	s_waitcnt vmcnt(28) lgkmcnt(1)
	v_mul_f32_e32 v44, v35, v125
	buffer_load_dword v152, off, s[0:3], 0 offset:352
	buffer_load_dword v153, off, s[0:3], 0 offset:356
	v_fmac_f32_e32 v44, v36, v123
	v_add_f32_e32 v43, v43, v44
	s_waitcnt vmcnt(29)
	v_mul_f32_e32 v44, v37, v126
	v_fmac_f32_e32 v44, v38, v122
	v_add_f32_e32 v43, v43, v44
	s_waitcnt vmcnt(28) lgkmcnt(0)
	v_mul_f32_e32 v44, v39, v127
	v_fmac_f32_e32 v44, v40, v121
	v_add_f32_e32 v47, v43, v44
	ds_read2_b64 v[43:46], v1 offset0:97 offset1:98
	buffer_load_dword v154, off, s[0:3], 0 offset:360
	buffer_load_dword v155, off, s[0:3], 0 offset:364
	;; [unrolled: 1-line block ×6, first 2 shown]
	s_waitcnt vmcnt(33)
	v_mul_f32_e32 v48, v41, v128
	s_waitcnt vmcnt(26)
	v_fmac_f32_e32 v48, v42, v135
	v_add_f32_e32 v51, v47, v48
	ds_read2_b64 v[47:50], v1 offset0:99 offset1:100
	buffer_load_dword v160, off, s[0:3], 0 offset:384
	buffer_load_dword v161, off, s[0:3], 0 offset:388
	;; [unrolled: 1-line block ×8, first 2 shown]
	s_waitcnt lgkmcnt(1)
	v_mul_f32_e32 v52, v43, v130
	buffer_load_dword v168, off, s[0:3], 0 offset:416
	buffer_load_dword v169, off, s[0:3], 0 offset:420
	v_fmac_f32_e32 v52, v44, v129
	v_add_f32_e32 v51, v51, v52
	v_mul_f32_e32 v52, v45, v132
	v_fmac_f32_e32 v52, v46, v131
	v_add_f32_e32 v51, v51, v52
	s_waitcnt lgkmcnt(0)
	v_mul_f32_e32 v52, v47, v134
	v_fmac_f32_e32 v52, v48, v133
	v_add_f32_e32 v55, v51, v52
	ds_read2_b64 v[51:54], v1 offset0:101 offset1:102
	buffer_load_dword v170, off, s[0:3], 0 offset:424
	buffer_load_dword v171, off, s[0:3], 0 offset:428
	;; [unrolled: 1-line block ×6, first 2 shown]
	s_waitcnt vmcnt(38)
	v_mul_f32_e32 v56, v49, v137
	v_fmac_f32_e32 v56, v50, v136
	v_add_f32_e32 v59, v55, v56
	ds_read2_b64 v[55:58], v1 offset0:103 offset1:104
	buffer_load_dword v176, off, s[0:3], 0 offset:448
	buffer_load_dword v177, off, s[0:3], 0 offset:452
	;; [unrolled: 1-line block ×10, first 2 shown]
	v_mul_f32_e32 v8, v12, v8
	v_fma_f32 v8, v11, v112, -v8
	v_mul_f32_e32 v7, v14, v7
	v_add_f32_e32 v8, 0, v8
	v_fma_f32 v7, v13, v111, -v7
	v_mul_f32_e32 v6, v16, v6
	v_add_f32_e32 v7, v8, v7
	;; [unrolled: 3-line block ×3, first 2 shown]
	v_fma_f32 v5, v17, v116, -v5
	v_mul_f32_e32 v4, v20, v4
	buffer_load_dword v186, off, s[0:3], 0 offset:488
	buffer_load_dword v187, off, s[0:3], 0 offset:492
	;; [unrolled: 1-line block ×6, first 2 shown]
	v_add_f32_e32 v5, v6, v5
	v_fma_f32 v4, v19, v115, -v4
	v_mul_f32_e32 v3, v22, v3
	v_add_f32_e32 v4, v5, v4
	v_fma_f32 v3, v21, v114, -v3
	v_mul_f32_e32 v2, v24, v2
	v_add_f32_e32 v3, v4, v3
	v_fma_f32 v2, v23, v113, -v2
	v_add_f32_e32 v2, v3, v2
	v_mul_f32_e32 v3, v26, v105
	v_fma_f32 v3, v25, v120, -v3
	v_add_f32_e32 v2, v2, v3
	v_mul_f32_e32 v3, v28, v106
	;; [unrolled: 3-line block ×4, first 2 shown]
	v_fma_f32 v3, v31, v117, -v3
	s_waitcnt vmcnt(52) lgkmcnt(1)
	v_mul_f32_e32 v60, v51, v139
	v_add_f32_e32 v2, v2, v3
	v_mul_f32_e32 v3, v34, v109
	v_fmac_f32_e32 v60, v52, v138
	v_fma_f32 v3, v33, v124, -v3
	v_add_f32_e32 v59, v59, v60
	s_waitcnt vmcnt(50)
	v_mul_f32_e32 v60, v53, v141
	v_add_f32_e32 v2, v2, v3
	v_mul_f32_e32 v3, v36, v125
	v_fmac_f32_e32 v60, v54, v140
	v_fma_f32 v3, v35, v123, -v3
	v_add_f32_e32 v59, v59, v60
	s_waitcnt vmcnt(48) lgkmcnt(0)
	v_mul_f32_e32 v60, v55, v143
	v_add_f32_e32 v2, v2, v3
	v_mul_f32_e32 v3, v38, v126
	v_fmac_f32_e32 v60, v56, v142
	v_fma_f32 v3, v37, v122, -v3
	v_add_f32_e32 v63, v59, v60
	ds_read2_b64 v[59:62], v1 offset0:105 offset1:106
	v_add_f32_e32 v2, v2, v3
	v_mul_f32_e32 v3, v40, v127
	v_fma_f32 v3, v39, v121, -v3
	s_waitcnt vmcnt(46)
	v_mul_f32_e32 v64, v57, v145
	v_add_f32_e32 v2, v2, v3
	v_mul_f32_e32 v3, v42, v128
	v_fmac_f32_e32 v64, v58, v144
	v_fma_f32 v3, v41, v135, -v3
	v_add_f32_e32 v67, v63, v64
	ds_read2_b64 v[63:66], v1 offset0:107 offset1:108
	v_add_f32_e32 v2, v2, v3
	v_mul_f32_e32 v3, v44, v130
	s_waitcnt vmcnt(44) lgkmcnt(1)
	v_mul_f32_e32 v68, v59, v147
	v_fma_f32 v3, v43, v129, -v3
	v_fmac_f32_e32 v68, v60, v146
	v_add_f32_e32 v2, v2, v3
	v_mul_f32_e32 v3, v46, v132
	v_add_f32_e32 v67, v67, v68
	s_waitcnt vmcnt(43)
	v_mul_f32_e32 v68, v61, v148
	v_fma_f32 v3, v45, v131, -v3
	s_waitcnt vmcnt(40)
	v_fmac_f32_e32 v68, v62, v151
	v_add_f32_e32 v2, v2, v3
	v_mul_f32_e32 v3, v48, v134
	v_add_f32_e32 v67, v67, v68
	s_waitcnt lgkmcnt(0)
	v_mul_f32_e32 v68, v63, v150
	v_fma_f32 v3, v47, v133, -v3
	v_fmac_f32_e32 v68, v64, v149
	v_add_f32_e32 v2, v2, v3
	v_mul_f32_e32 v3, v50, v137
	v_add_f32_e32 v71, v67, v68
	ds_read2_b64 v[67:70], v1 offset0:109 offset1:110
	v_fma_f32 v3, v49, v136, -v3
	v_add_f32_e32 v2, v2, v3
	v_mul_f32_e32 v3, v52, v139
	s_waitcnt vmcnt(38)
	v_mul_f32_e32 v72, v65, v153
	v_fma_f32 v3, v51, v138, -v3
	v_fmac_f32_e32 v72, v66, v152
	v_add_f32_e32 v2, v2, v3
	v_mul_f32_e32 v3, v54, v141
	v_add_f32_e32 v75, v71, v72
	ds_read2_b64 v[71:74], v1 offset0:111 offset1:112
	v_fma_f32 v3, v53, v140, -v3
	s_waitcnt vmcnt(36) lgkmcnt(1)
	v_mul_f32_e32 v76, v67, v155
	v_add_f32_e32 v2, v2, v3
	v_mul_f32_e32 v3, v56, v143
	v_fmac_f32_e32 v76, v68, v154
	v_fma_f32 v3, v55, v142, -v3
	v_add_f32_e32 v75, v75, v76
	s_waitcnt vmcnt(35)
	v_mul_f32_e32 v76, v69, v156
	v_add_f32_e32 v2, v2, v3
	v_mul_f32_e32 v3, v58, v145
	s_waitcnt vmcnt(32)
	v_fmac_f32_e32 v76, v70, v159
	v_fma_f32 v3, v57, v144, -v3
	v_add_f32_e32 v75, v75, v76
	s_waitcnt lgkmcnt(0)
	v_mul_f32_e32 v76, v71, v158
	v_add_f32_e32 v2, v2, v3
	v_mul_f32_e32 v3, v60, v147
	v_fmac_f32_e32 v76, v72, v157
	v_fma_f32 v3, v59, v146, -v3
	v_add_f32_e32 v79, v75, v76
	ds_read2_b64 v[75:78], v1 offset0:113 offset1:114
	v_add_f32_e32 v2, v2, v3
	v_mul_f32_e32 v3, v62, v148
	v_fma_f32 v3, v61, v151, -v3
	s_waitcnt vmcnt(30)
	v_mul_f32_e32 v80, v73, v161
	v_add_f32_e32 v2, v2, v3
	v_mul_f32_e32 v3, v64, v150
	v_fmac_f32_e32 v80, v74, v160
	v_fma_f32 v3, v63, v149, -v3
	v_add_f32_e32 v83, v79, v80
	ds_read2_b64 v[79:82], v1 offset0:115 offset1:116
	v_add_f32_e32 v2, v2, v3
	v_mul_f32_e32 v3, v66, v153
	s_waitcnt vmcnt(28) lgkmcnt(1)
	v_mul_f32_e32 v84, v75, v163
	v_fma_f32 v3, v65, v152, -v3
	v_fmac_f32_e32 v84, v76, v162
	v_add_f32_e32 v2, v2, v3
	v_mul_f32_e32 v3, v68, v155
	v_add_f32_e32 v83, v83, v84
	s_waitcnt vmcnt(27)
	v_mul_f32_e32 v84, v77, v164
	v_fma_f32 v3, v67, v154, -v3
	s_waitcnt vmcnt(24)
	v_fmac_f32_e32 v84, v78, v167
	v_add_f32_e32 v2, v2, v3
	v_mul_f32_e32 v3, v70, v156
	v_add_f32_e32 v83, v83, v84
	s_waitcnt lgkmcnt(0)
	v_mul_f32_e32 v84, v79, v166
	v_fma_f32 v3, v69, v159, -v3
	v_fmac_f32_e32 v84, v80, v165
	v_add_f32_e32 v2, v2, v3
	v_mul_f32_e32 v3, v72, v158
	v_add_f32_e32 v87, v83, v84
	ds_read2_b64 v[83:86], v1 offset0:117 offset1:118
	v_fma_f32 v3, v71, v157, -v3
	v_add_f32_e32 v2, v2, v3
	v_mul_f32_e32 v3, v74, v161
	s_waitcnt vmcnt(22)
	v_mul_f32_e32 v88, v81, v169
	v_fma_f32 v3, v73, v160, -v3
	v_fmac_f32_e32 v88, v82, v168
	v_add_f32_e32 v2, v2, v3
	v_mul_f32_e32 v3, v76, v163
	v_add_f32_e32 v91, v87, v88
	ds_read2_b64 v[87:90], v1 offset0:119 offset1:120
	v_fma_f32 v3, v75, v162, -v3
	s_waitcnt vmcnt(20) lgkmcnt(1)
	v_mul_f32_e32 v92, v83, v171
	v_add_f32_e32 v2, v2, v3
	v_mul_f32_e32 v3, v78, v164
	v_fmac_f32_e32 v92, v84, v170
	v_fma_f32 v3, v77, v167, -v3
	v_add_f32_e32 v91, v91, v92
	s_waitcnt vmcnt(19)
	v_mul_f32_e32 v92, v85, v172
	v_add_f32_e32 v2, v2, v3
	v_mul_f32_e32 v3, v80, v166
	s_waitcnt vmcnt(16)
	v_fmac_f32_e32 v92, v86, v175
	v_fma_f32 v3, v79, v165, -v3
	v_add_f32_e32 v91, v91, v92
	s_waitcnt lgkmcnt(0)
	v_mul_f32_e32 v92, v87, v174
	v_add_f32_e32 v2, v2, v3
	v_mul_f32_e32 v3, v82, v169
	v_fmac_f32_e32 v92, v88, v173
	v_fma_f32 v3, v81, v168, -v3
	v_add_f32_e32 v95, v91, v92
	ds_read2_b64 v[91:94], v1 offset0:121 offset1:122
	v_add_f32_e32 v2, v2, v3
	v_mul_f32_e32 v3, v84, v171
	v_fma_f32 v3, v83, v170, -v3
	s_waitcnt vmcnt(14)
	v_mul_f32_e32 v96, v89, v177
	v_add_f32_e32 v2, v2, v3
	v_mul_f32_e32 v3, v86, v172
	v_fmac_f32_e32 v96, v90, v176
	v_fma_f32 v3, v85, v175, -v3
	v_add_f32_e32 v99, v95, v96
	ds_read2_b64 v[95:98], v1 offset0:123 offset1:124
	v_add_f32_e32 v2, v2, v3
	v_mul_f32_e32 v3, v88, v174
	s_waitcnt vmcnt(12) lgkmcnt(1)
	v_mul_f32_e32 v100, v91, v179
	v_fma_f32 v3, v87, v173, -v3
	v_fmac_f32_e32 v100, v92, v178
	v_add_f32_e32 v2, v2, v3
	v_mul_f32_e32 v3, v90, v177
	v_add_f32_e32 v99, v99, v100
	s_waitcnt vmcnt(11)
	v_mul_f32_e32 v100, v93, v180
	v_fma_f32 v3, v89, v176, -v3
	s_waitcnt vmcnt(8)
	v_fmac_f32_e32 v100, v94, v183
	v_add_f32_e32 v2, v2, v3
	v_mul_f32_e32 v3, v92, v179
	v_add_f32_e32 v99, v99, v100
	s_waitcnt lgkmcnt(0)
	v_mul_f32_e32 v100, v95, v182
	v_fma_f32 v3, v91, v178, -v3
	v_fmac_f32_e32 v100, v96, v181
	v_add_f32_e32 v2, v2, v3
	v_mul_f32_e32 v3, v94, v180
	v_add_f32_e32 v103, v99, v100
	ds_read2_b64 v[99:102], v1 offset0:125 offset1:126
	v_fma_f32 v3, v93, v183, -v3
	v_add_f32_e32 v2, v2, v3
	v_mul_f32_e32 v3, v96, v182
	s_waitcnt vmcnt(6)
	v_mul_f32_e32 v104, v97, v185
	v_fma_f32 v3, v95, v181, -v3
	v_fmac_f32_e32 v104, v98, v184
	v_add_f32_e32 v2, v2, v3
	v_mul_f32_e32 v3, v98, v185
	v_add_f32_e32 v192, v103, v104
	ds_read_b64 v[103:104], v1 offset:1016
	v_fma_f32 v3, v97, v184, -v3
	v_add_f32_e32 v2, v2, v3
	s_waitcnt vmcnt(4) lgkmcnt(1)
	v_mul_f32_e32 v3, v100, v187
	v_mul_f32_e32 v193, v99, v187
	v_fma_f32 v3, v99, v186, -v3
	v_fmac_f32_e32 v193, v100, v186
	v_add_f32_e32 v2, v2, v3
	s_waitcnt vmcnt(3)
	v_mul_f32_e32 v3, v102, v188
	v_add_f32_e32 v192, v192, v193
	v_mul_f32_e32 v193, v101, v188
	s_waitcnt vmcnt(0)
	v_fma_f32 v3, v101, v191, -v3
	v_fmac_f32_e32 v193, v102, v191
	v_add_f32_e32 v2, v2, v3
	s_waitcnt lgkmcnt(0)
	v_mul_f32_e32 v3, v104, v190
	v_add_f32_e32 v192, v192, v193
	v_mul_f32_e32 v193, v103, v190
	v_fma_f32 v3, v103, v189, -v3
	v_fmac_f32_e32 v193, v104, v189
	v_add_f32_e32 v2, v2, v3
	v_add_f32_e32 v192, v192, v193
	v_sub_f32_e32 v2, v9, v2
	v_sub_f32_e32 v3, v10, v192
	buffer_store_dword v2, off, s[0:3], 0 offset:128
	buffer_store_dword v3, off, s[0:3], 0 offset:132
	s_and_saveexec_b64 s[4:5], vcc
	s_cbranch_execz .LBB63_367
; %bb.366:
	buffer_load_dword v2, off, s[0:3], 0 offset:120
	buffer_load_dword v3, off, s[0:3], 0 offset:124
	s_waitcnt vmcnt(0)
	ds_write_b64 v249, v[2:3]
	buffer_store_dword v1, off, s[0:3], 0 offset:120
	buffer_store_dword v1, off, s[0:3], 0 offset:124
.LBB63_367:
	s_or_b64 exec, exec, s[4:5]
	s_waitcnt lgkmcnt(0)
	; wave barrier
	buffer_load_dword v8, off, s[0:3], 0 offset:132
	buffer_load_dword v7, off, s[0:3], 0 offset:140
	;; [unrolled: 1-line block ×40, first 2 shown]
	ds_read_b128 v[39:42], v1 offset:640
	ds_read_b128 v[43:46], v1 offset:656
	;; [unrolled: 1-line block ×7, first 2 shown]
	buffer_load_dword v138, off, s[0:3], 0 offset:280
	buffer_load_dword v139, off, s[0:3], 0 offset:284
	buffer_load_dword v140, off, s[0:3], 0 offset:288
	buffer_load_dword v141, off, s[0:3], 0 offset:292
	buffer_load_dword v142, off, s[0:3], 0 offset:296
	buffer_load_dword v143, off, s[0:3], 0 offset:300
	buffer_load_dword v144, off, s[0:3], 0 offset:304
	buffer_load_dword v145, off, s[0:3], 0 offset:308
	buffer_load_dword v146, off, s[0:3], 0 offset:312
	buffer_load_dword v147, off, s[0:3], 0 offset:316
	v_cmp_lt_u32_e32 vcc, 14, v0
	s_waitcnt vmcnt(49) lgkmcnt(6)
	v_mul_f32_e32 v67, v39, v8
	s_waitcnt vmcnt(48)
	v_mul_f32_e32 v68, v41, v7
	s_waitcnt vmcnt(47) lgkmcnt(5)
	v_mul_f32_e32 v69, v43, v6
	s_waitcnt vmcnt(46)
	v_mul_f32_e32 v70, v45, v5
	;; [unrolled: 4-line block ×6, first 2 shown]
	s_waitcnt vmcnt(37)
	v_fmac_f32_e32 v69, v44, v21
	s_waitcnt vmcnt(36)
	v_fmac_f32_e32 v68, v42, v24
	;; [unrolled: 2-line block ×3, first 2 shown]
	v_add_f32_e32 v67, 0, v67
	v_add_f32_e32 v67, v67, v68
	;; [unrolled: 1-line block ×3, first 2 shown]
	s_waitcnt vmcnt(31)
	v_fmac_f32_e32 v70, v46, v26
	v_fmac_f32_e32 v71, v48, v23
	v_add_f32_e32 v67, v67, v70
	v_fmac_f32_e32 v72, v50, v20
	v_add_f32_e32 v67, v67, v71
	;; [unrolled: 2-line block ×3, first 2 shown]
	s_waitcnt vmcnt(27)
	v_fmac_f32_e32 v74, v54, v22
	v_add_f32_e32 v67, v67, v73
	v_fmac_f32_e32 v75, v56, v19
	v_add_f32_e32 v67, v67, v74
	v_fmac_f32_e32 v76, v58, v17
	v_add_f32_e32 v67, v67, v75
	v_fmac_f32_e32 v77, v60, v16
	v_add_f32_e32 v67, v67, v76
	s_waitcnt vmcnt(23)
	v_fmac_f32_e32 v78, v62, v34
	v_add_f32_e32 v67, v67, v77
	v_add_f32_e32 v71, v67, v78
	ds_read_b128 v[67:70], v1 offset:752
	s_waitcnt vmcnt(22) lgkmcnt(1)
	v_mul_f32_e32 v72, v63, v33
	v_fmac_f32_e32 v72, v64, v30
	buffer_load_dword v148, off, s[0:3], 0 offset:320
	buffer_load_dword v149, off, s[0:3], 0 offset:324
	;; [unrolled: 1-line block ×6, first 2 shown]
	v_add_f32_e32 v71, v71, v72
	s_waitcnt vmcnt(27)
	v_mul_f32_e32 v72, v65, v31
	v_fmac_f32_e32 v72, v66, v28
	v_add_f32_e32 v71, v71, v72
	s_waitcnt vmcnt(26) lgkmcnt(0)
	v_mul_f32_e32 v72, v67, v29
	v_fmac_f32_e32 v72, v68, v25
	v_add_f32_e32 v75, v71, v72
	ds_read_b128 v[71:74], v1 offset:768
	buffer_load_dword v154, off, s[0:3], 0 offset:344
	buffer_load_dword v155, off, s[0:3], 0 offset:348
	s_waitcnt vmcnt(27)
	v_mul_f32_e32 v76, v69, v32
	s_waitcnt vmcnt(20)
	v_fmac_f32_e32 v76, v70, v137
	v_add_f32_e32 v79, v75, v76
	ds_read_b128 v[75:78], v1 offset:784
	buffer_load_dword v156, off, s[0:3], 0 offset:352
	buffer_load_dword v157, off, s[0:3], 0 offset:356
	;; [unrolled: 1-line block ×14, first 2 shown]
	s_waitcnt lgkmcnt(1)
	v_mul_f32_e32 v80, v71, v36
	buffer_load_dword v170, off, s[0:3], 0 offset:408
	buffer_load_dword v171, off, s[0:3], 0 offset:412
	v_fmac_f32_e32 v80, v72, v35
	v_add_f32_e32 v79, v79, v80
	v_mul_f32_e32 v80, v73, v38
	v_fmac_f32_e32 v80, v74, v37
	v_add_f32_e32 v79, v79, v80
	s_waitcnt lgkmcnt(0)
	v_mul_f32_e32 v80, v75, v136
	v_fmac_f32_e32 v80, v76, v135
	v_add_f32_e32 v83, v79, v80
	ds_read_b128 v[79:82], v1 offset:800
	buffer_load_dword v172, off, s[0:3], 0 offset:416
	buffer_load_dword v173, off, s[0:3], 0 offset:420
	buffer_load_dword v174, off, s[0:3], 0 offset:428
	buffer_load_dword v175, off, s[0:3], 0 offset:432
	buffer_load_dword v176, off, s[0:3], 0 offset:436
	buffer_load_dword v177, off, s[0:3], 0 offset:424
	s_waitcnt vmcnt(38)
	v_mul_f32_e32 v84, v77, v139
	v_fmac_f32_e32 v84, v78, v138
	v_add_f32_e32 v87, v83, v84
	ds_read_b128 v[83:86], v1 offset:816
	buffer_load_dword v178, off, s[0:3], 0 offset:440
	buffer_load_dword v179, off, s[0:3], 0 offset:444
	;; [unrolled: 1-line block ×10, first 2 shown]
	v_mul_f32_e32 v8, v40, v8
	s_waitcnt vmcnt(46) lgkmcnt(1)
	v_mul_f32_e32 v88, v79, v141
	v_fma_f32 v8, v39, v27, -v8
	v_mul_f32_e32 v7, v42, v7
	v_fmac_f32_e32 v88, v80, v140
	v_add_f32_e32 v8, 0, v8
	v_fma_f32 v7, v41, v24, -v7
	v_mul_f32_e32 v6, v44, v6
	v_add_f32_e32 v87, v87, v88
	s_waitcnt vmcnt(44)
	v_mul_f32_e32 v88, v81, v143
	v_add_f32_e32 v7, v8, v7
	v_fma_f32 v6, v43, v21, -v6
	v_mul_f32_e32 v5, v46, v5
	v_fmac_f32_e32 v88, v82, v142
	v_add_f32_e32 v6, v7, v6
	v_fma_f32 v5, v45, v26, -v5
	v_mul_f32_e32 v4, v48, v4
	v_add_f32_e32 v87, v87, v88
	s_waitcnt vmcnt(42) lgkmcnt(0)
	v_mul_f32_e32 v88, v83, v145
	buffer_load_dword v188, off, s[0:3], 0 offset:480
	buffer_load_dword v189, off, s[0:3], 0 offset:484
	;; [unrolled: 1-line block ×6, first 2 shown]
	v_add_f32_e32 v5, v6, v5
	v_fma_f32 v4, v47, v23, -v4
	v_mul_f32_e32 v3, v50, v3
	v_fmac_f32_e32 v88, v84, v144
	s_waitcnt vmcnt(46)
	v_mul_f32_e32 v92, v85, v147
	v_add_f32_e32 v4, v5, v4
	v_fma_f32 v3, v49, v20, -v3
	v_mul_f32_e32 v2, v52, v2
	v_add_f32_e32 v91, v87, v88
	v_fmac_f32_e32 v92, v86, v146
	v_add_f32_e32 v3, v4, v3
	v_fma_f32 v2, v51, v18, -v2
	ds_read_b128 v[87:90], v1 offset:832
	v_add_f32_e32 v95, v91, v92
	ds_read_b128 v[91:94], v1 offset:848
	buffer_load_dword v194, off, s[0:3], 0 offset:504
	buffer_load_dword v195, off, s[0:3], 0 offset:508
	v_add_f32_e32 v2, v3, v2
	v_mul_f32_e32 v3, v54, v11
	v_fma_f32 v3, v53, v22, -v3
	v_add_f32_e32 v2, v2, v3
	v_mul_f32_e32 v3, v56, v12
	v_fma_f32 v3, v55, v19, -v3
	;; [unrolled: 3-line block ×9, first 2 shown]
	v_add_f32_e32 v2, v2, v3
	v_mul_f32_e32 v3, v72, v36
	s_waitcnt vmcnt(46) lgkmcnt(1)
	v_mul_f32_e32 v96, v87, v149
	v_fma_f32 v3, v71, v35, -v3
	v_fmac_f32_e32 v96, v88, v148
	v_add_f32_e32 v2, v2, v3
	v_mul_f32_e32 v3, v74, v38
	v_add_f32_e32 v95, v95, v96
	s_waitcnt vmcnt(45)
	v_mul_f32_e32 v96, v89, v150
	v_fma_f32 v3, v73, v37, -v3
	s_waitcnt vmcnt(42)
	v_fmac_f32_e32 v96, v90, v153
	v_add_f32_e32 v2, v2, v3
	v_mul_f32_e32 v3, v76, v136
	v_add_f32_e32 v95, v95, v96
	s_waitcnt lgkmcnt(0)
	v_mul_f32_e32 v96, v91, v152
	v_fma_f32 v3, v75, v135, -v3
	v_fmac_f32_e32 v96, v92, v151
	v_add_f32_e32 v2, v2, v3
	v_mul_f32_e32 v3, v78, v139
	v_add_f32_e32 v99, v95, v96
	ds_read_b128 v[95:98], v1 offset:864
	v_fma_f32 v3, v77, v138, -v3
	v_add_f32_e32 v2, v2, v3
	v_mul_f32_e32 v3, v80, v141
	s_waitcnt vmcnt(40)
	v_mul_f32_e32 v100, v93, v155
	v_fma_f32 v3, v79, v140, -v3
	v_fmac_f32_e32 v100, v94, v154
	v_add_f32_e32 v2, v2, v3
	v_mul_f32_e32 v3, v82, v143
	v_add_f32_e32 v103, v99, v100
	ds_read_b128 v[99:102], v1 offset:880
	v_fma_f32 v3, v81, v142, -v3
	s_waitcnt vmcnt(38) lgkmcnt(1)
	v_mul_f32_e32 v104, v95, v157
	v_add_f32_e32 v2, v2, v3
	v_mul_f32_e32 v3, v84, v145
	v_fmac_f32_e32 v104, v96, v156
	v_fma_f32 v3, v83, v144, -v3
	v_add_f32_e32 v103, v103, v104
	s_waitcnt vmcnt(37)
	v_mul_f32_e32 v104, v97, v158
	v_add_f32_e32 v2, v2, v3
	v_mul_f32_e32 v3, v86, v147
	s_waitcnt vmcnt(34)
	v_fmac_f32_e32 v104, v98, v161
	v_fma_f32 v3, v85, v146, -v3
	v_add_f32_e32 v103, v103, v104
	s_waitcnt lgkmcnt(0)
	v_mul_f32_e32 v104, v99, v160
	v_add_f32_e32 v2, v2, v3
	v_mul_f32_e32 v3, v88, v149
	v_fmac_f32_e32 v104, v100, v159
	v_fma_f32 v3, v87, v148, -v3
	v_add_f32_e32 v107, v103, v104
	ds_read_b128 v[103:106], v1 offset:896
	v_add_f32_e32 v2, v2, v3
	v_mul_f32_e32 v3, v90, v150
	v_fma_f32 v3, v89, v153, -v3
	s_waitcnt vmcnt(32)
	v_mul_f32_e32 v108, v101, v163
	v_add_f32_e32 v2, v2, v3
	v_mul_f32_e32 v3, v92, v152
	v_fmac_f32_e32 v108, v102, v162
	v_fma_f32 v3, v91, v151, -v3
	v_add_f32_e32 v111, v107, v108
	ds_read_b128 v[107:110], v1 offset:912
	v_add_f32_e32 v2, v2, v3
	v_mul_f32_e32 v3, v94, v155
	s_waitcnt vmcnt(30) lgkmcnt(1)
	v_mul_f32_e32 v112, v103, v165
	v_fma_f32 v3, v93, v154, -v3
	v_fmac_f32_e32 v112, v104, v164
	v_add_f32_e32 v2, v2, v3
	v_mul_f32_e32 v3, v96, v157
	v_add_f32_e32 v111, v111, v112
	s_waitcnt vmcnt(29)
	v_mul_f32_e32 v112, v105, v166
	v_fma_f32 v3, v95, v156, -v3
	s_waitcnt vmcnt(26)
	v_fmac_f32_e32 v112, v106, v169
	v_add_f32_e32 v2, v2, v3
	v_mul_f32_e32 v3, v98, v158
	v_add_f32_e32 v111, v111, v112
	s_waitcnt lgkmcnt(0)
	v_mul_f32_e32 v112, v107, v168
	v_fma_f32 v3, v97, v161, -v3
	v_fmac_f32_e32 v112, v108, v167
	v_add_f32_e32 v2, v2, v3
	v_mul_f32_e32 v3, v100, v160
	v_add_f32_e32 v115, v111, v112
	ds_read_b128 v[111:114], v1 offset:928
	v_fma_f32 v3, v99, v159, -v3
	v_add_f32_e32 v2, v2, v3
	v_mul_f32_e32 v3, v102, v163
	s_waitcnt vmcnt(24)
	v_mul_f32_e32 v116, v109, v171
	v_fma_f32 v3, v101, v162, -v3
	v_fmac_f32_e32 v116, v110, v170
	v_add_f32_e32 v2, v2, v3
	v_mul_f32_e32 v3, v104, v165
	v_add_f32_e32 v119, v115, v116
	ds_read_b128 v[115:118], v1 offset:944
	v_fma_f32 v3, v103, v164, -v3
	s_waitcnt vmcnt(22) lgkmcnt(1)
	v_mul_f32_e32 v120, v111, v173
	v_add_f32_e32 v2, v2, v3
	v_mul_f32_e32 v3, v106, v166
	v_fmac_f32_e32 v120, v112, v172
	v_fma_f32 v3, v105, v169, -v3
	v_add_f32_e32 v119, v119, v120
	s_waitcnt vmcnt(21)
	v_mul_f32_e32 v120, v113, v174
	v_add_f32_e32 v2, v2, v3
	v_mul_f32_e32 v3, v108, v168
	s_waitcnt vmcnt(18)
	v_fmac_f32_e32 v120, v114, v177
	v_fma_f32 v3, v107, v167, -v3
	v_add_f32_e32 v119, v119, v120
	s_waitcnt lgkmcnt(0)
	v_mul_f32_e32 v120, v115, v176
	v_add_f32_e32 v2, v2, v3
	v_mul_f32_e32 v3, v110, v171
	v_fmac_f32_e32 v120, v116, v175
	v_fma_f32 v3, v109, v170, -v3
	v_add_f32_e32 v123, v119, v120
	ds_read_b128 v[119:122], v1 offset:960
	v_add_f32_e32 v2, v2, v3
	v_mul_f32_e32 v3, v112, v173
	v_fma_f32 v3, v111, v172, -v3
	s_waitcnt vmcnt(16)
	v_mul_f32_e32 v124, v117, v179
	v_add_f32_e32 v2, v2, v3
	v_mul_f32_e32 v3, v114, v174
	v_fmac_f32_e32 v124, v118, v178
	v_fma_f32 v3, v113, v177, -v3
	v_add_f32_e32 v127, v123, v124
	ds_read_b128 v[123:126], v1 offset:976
	v_add_f32_e32 v2, v2, v3
	v_mul_f32_e32 v3, v116, v176
	s_waitcnt vmcnt(14) lgkmcnt(1)
	v_mul_f32_e32 v128, v119, v181
	v_fma_f32 v3, v115, v175, -v3
	v_fmac_f32_e32 v128, v120, v180
	v_add_f32_e32 v2, v2, v3
	v_mul_f32_e32 v3, v118, v179
	v_add_f32_e32 v127, v127, v128
	s_waitcnt vmcnt(13)
	v_mul_f32_e32 v128, v121, v182
	v_fma_f32 v3, v117, v178, -v3
	s_waitcnt vmcnt(10)
	v_fmac_f32_e32 v128, v122, v185
	v_add_f32_e32 v2, v2, v3
	v_mul_f32_e32 v3, v120, v181
	v_add_f32_e32 v127, v127, v128
	s_waitcnt lgkmcnt(0)
	v_mul_f32_e32 v128, v123, v184
	v_fma_f32 v3, v119, v180, -v3
	v_fmac_f32_e32 v128, v124, v183
	v_add_f32_e32 v2, v2, v3
	v_mul_f32_e32 v3, v122, v182
	v_add_f32_e32 v131, v127, v128
	ds_read_b128 v[127:130], v1 offset:992
	v_fma_f32 v3, v121, v185, -v3
	v_add_f32_e32 v2, v2, v3
	v_mul_f32_e32 v3, v124, v184
	s_waitcnt vmcnt(8)
	v_mul_f32_e32 v132, v125, v187
	v_fma_f32 v3, v123, v183, -v3
	v_fmac_f32_e32 v132, v126, v186
	v_add_f32_e32 v2, v2, v3
	v_mul_f32_e32 v3, v126, v187
	v_add_f32_e32 v196, v131, v132
	ds_read_b128 v[131:134], v1 offset:1008
	v_fma_f32 v3, v125, v186, -v3
	v_add_f32_e32 v2, v2, v3
	s_waitcnt vmcnt(6) lgkmcnt(1)
	v_mul_f32_e32 v3, v128, v189
	v_mul_f32_e32 v1, v127, v189
	v_fma_f32 v3, v127, v188, -v3
	v_fmac_f32_e32 v1, v128, v188
	v_add_f32_e32 v2, v2, v3
	s_waitcnt vmcnt(5)
	v_mul_f32_e32 v3, v130, v190
	v_add_f32_e32 v1, v196, v1
	v_mul_f32_e32 v196, v129, v190
	s_waitcnt vmcnt(2)
	v_fma_f32 v3, v129, v193, -v3
	v_fmac_f32_e32 v196, v130, v193
	v_add_f32_e32 v2, v2, v3
	s_waitcnt lgkmcnt(0)
	v_mul_f32_e32 v3, v132, v192
	v_add_f32_e32 v1, v1, v196
	v_mul_f32_e32 v196, v131, v192
	v_fma_f32 v3, v131, v191, -v3
	v_fmac_f32_e32 v196, v132, v191
	v_add_f32_e32 v2, v2, v3
	s_waitcnt vmcnt(0)
	v_mul_f32_e32 v3, v134, v195
	v_add_f32_e32 v1, v1, v196
	v_mul_f32_e32 v196, v133, v195
	v_fma_f32 v3, v133, v194, -v3
	v_fmac_f32_e32 v196, v134, v194
	v_add_f32_e32 v2, v2, v3
	v_add_f32_e32 v1, v1, v196
	v_sub_f32_e32 v2, v9, v2
	v_sub_f32_e32 v1, v10, v1
	buffer_store_dword v2, off, s[0:3], 0 offset:120
	buffer_store_dword v1, off, s[0:3], 0 offset:124
	s_and_saveexec_b64 s[4:5], vcc
	s_cbranch_execz .LBB63_369
; %bb.368:
	buffer_load_dword v1, off, s[0:3], 0 offset:112
	buffer_load_dword v2, off, s[0:3], 0 offset:116
	v_mov_b32_e32 v3, 0
	buffer_store_dword v3, off, s[0:3], 0 offset:112
	buffer_store_dword v3, off, s[0:3], 0 offset:116
	s_waitcnt vmcnt(2)
	ds_write_b64 v249, v[1:2]
.LBB63_369:
	s_or_b64 exec, exec, s[4:5]
	s_waitcnt lgkmcnt(0)
	; wave barrier
	buffer_load_dword v8, off, s[0:3], 0 offset:124
	buffer_load_dword v7, off, s[0:3], 0 offset:132
	;; [unrolled: 1-line block ×50, first 2 shown]
	v_mov_b32_e32 v1, 0
	ds_read2_b64 v[15:18], v1 offset0:79 offset1:80
	ds_read2_b64 v[19:22], v1 offset0:81 offset1:82
	;; [unrolled: 1-line block ×7, first 2 shown]
	v_cmp_lt_u32_e32 vcc, 13, v0
	s_waitcnt vmcnt(49) lgkmcnt(6)
	v_mul_f32_e32 v43, v15, v8
	s_waitcnt vmcnt(48)
	v_mul_f32_e32 v44, v17, v7
	s_waitcnt vmcnt(47) lgkmcnt(5)
	v_mul_f32_e32 v45, v19, v6
	s_waitcnt vmcnt(46)
	v_mul_f32_e32 v46, v21, v5
	;; [unrolled: 4-line block ×5, first 2 shown]
	s_waitcnt vmcnt(39) lgkmcnt(1)
	v_mul_f32_e32 v53, v35, v14
	s_waitcnt vmcnt(38)
	v_fmac_f32_e32 v45, v20, v113
	s_waitcnt vmcnt(37)
	v_fmac_f32_e32 v44, v18, v114
	;; [unrolled: 2-line block ×3, first 2 shown]
	v_add_f32_e32 v43, 0, v43
	v_add_f32_e32 v43, v43, v44
	;; [unrolled: 1-line block ×3, first 2 shown]
	s_waitcnt vmcnt(32)
	v_fmac_f32_e32 v46, v22, v119
	v_fmac_f32_e32 v47, v24, v118
	v_add_f32_e32 v43, v43, v46
	v_fmac_f32_e32 v48, v26, v117
	v_add_f32_e32 v43, v43, v47
	;; [unrolled: 2-line block ×3, first 2 shown]
	s_waitcnt vmcnt(28)
	v_fmac_f32_e32 v50, v30, v123
	v_add_f32_e32 v43, v43, v49
	v_fmac_f32_e32 v51, v32, v122
	v_add_f32_e32 v43, v43, v50
	;; [unrolled: 2-line block ×4, first 2 shown]
	s_waitcnt vmcnt(27)
	v_mul_f32_e32 v44, v37, v124
	v_add_f32_e32 v43, v43, v53
	s_waitcnt vmcnt(23)
	v_fmac_f32_e32 v44, v38, v128
	v_add_f32_e32 v47, v43, v44
	ds_read2_b64 v[43:46], v1 offset0:93 offset1:94
	s_waitcnt vmcnt(22) lgkmcnt(1)
	v_mul_f32_e32 v48, v39, v129
	v_fmac_f32_e32 v48, v40, v127
	v_add_f32_e32 v47, v47, v48
	s_waitcnt vmcnt(21)
	v_mul_f32_e32 v48, v41, v130
	buffer_load_dword v150, off, s[0:3], 0 offset:312
	buffer_load_dword v151, off, s[0:3], 0 offset:316
	v_fmac_f32_e32 v48, v42, v126
	v_add_f32_e32 v47, v47, v48
	s_waitcnt vmcnt(22) lgkmcnt(0)
	v_mul_f32_e32 v48, v43, v131
	v_fmac_f32_e32 v48, v44, v125
	v_add_f32_e32 v51, v47, v48
	ds_read2_b64 v[47:50], v1 offset0:95 offset1:96
	buffer_load_dword v152, off, s[0:3], 0 offset:324
	buffer_load_dword v153, off, s[0:3], 0 offset:328
	;; [unrolled: 1-line block ×4, first 2 shown]
	s_waitcnt vmcnt(25)
	v_mul_f32_e32 v52, v45, v132
	s_waitcnt vmcnt(19)
	v_fmac_f32_e32 v52, v46, v138
	v_add_f32_e32 v55, v51, v52
	ds_read2_b64 v[51:54], v1 offset0:97 offset1:98
	buffer_load_dword v156, off, s[0:3], 0 offset:336
	buffer_load_dword v157, off, s[0:3], 0 offset:340
	;; [unrolled: 1-line block ×10, first 2 shown]
	s_waitcnt vmcnt(28) lgkmcnt(1)
	v_mul_f32_e32 v56, v47, v139
	v_fmac_f32_e32 v56, v48, v137
	buffer_load_dword v166, off, s[0:3], 0 offset:376
	buffer_load_dword v167, off, s[0:3], 0 offset:380
	;; [unrolled: 1-line block ×6, first 2 shown]
	v_add_f32_e32 v55, v55, v56
	v_mul_f32_e32 v56, v49, v134
	v_fmac_f32_e32 v56, v50, v133
	v_add_f32_e32 v55, v55, v56
	s_waitcnt lgkmcnt(0)
	v_mul_f32_e32 v56, v51, v136
	v_fmac_f32_e32 v56, v52, v135
	v_add_f32_e32 v59, v55, v56
	ds_read2_b64 v[55:58], v1 offset0:99 offset1:100
	buffer_load_dword v172, off, s[0:3], 0 offset:400
	buffer_load_dword v173, off, s[0:3], 0 offset:404
	s_waitcnt vmcnt(32)
	v_mul_f32_e32 v60, v53, v141
	v_fmac_f32_e32 v60, v54, v140
	v_add_f32_e32 v63, v59, v60
	ds_read2_b64 v[59:62], v1 offset0:101 offset1:102
	buffer_load_dword v174, off, s[0:3], 0 offset:408
	buffer_load_dword v175, off, s[0:3], 0 offset:412
	;; [unrolled: 1-line block ×14, first 2 shown]
	s_waitcnt vmcnt(44) lgkmcnt(1)
	v_mul_f32_e32 v64, v55, v143
	v_fmac_f32_e32 v64, v56, v142
	buffer_load_dword v188, off, s[0:3], 0 offset:464
	buffer_load_dword v189, off, s[0:3], 0 offset:468
	v_add_f32_e32 v63, v63, v64
	s_waitcnt vmcnt(44)
	v_mul_f32_e32 v64, v57, v145
	v_mul_f32_e32 v8, v16, v8
	v_fmac_f32_e32 v64, v58, v144
	v_fma_f32 v8, v15, v115, -v8
	v_mul_f32_e32 v7, v18, v7
	v_add_f32_e32 v63, v63, v64
	s_waitcnt vmcnt(42) lgkmcnt(0)
	v_mul_f32_e32 v64, v59, v147
	v_add_f32_e32 v8, 0, v8
	v_fma_f32 v7, v17, v114, -v7
	v_mul_f32_e32 v6, v20, v6
	v_fmac_f32_e32 v64, v60, v146
	v_add_f32_e32 v7, v8, v7
	v_fma_f32 v6, v19, v113, -v6
	v_mul_f32_e32 v5, v22, v5
	v_add_f32_e32 v67, v63, v64
	ds_read2_b64 v[63:66], v1 offset0:103 offset1:104
	buffer_load_dword v190, off, s[0:3], 0 offset:472
	buffer_load_dword v191, off, s[0:3], 0 offset:476
	;; [unrolled: 1-line block ×6, first 2 shown]
	v_add_f32_e32 v6, v7, v6
	v_fma_f32 v5, v21, v119, -v5
	v_mul_f32_e32 v4, v24, v4
	v_add_f32_e32 v5, v6, v5
	v_fma_f32 v4, v23, v118, -v4
	v_mul_f32_e32 v3, v26, v3
	;; [unrolled: 3-line block ×3, first 2 shown]
	s_waitcnt vmcnt(46)
	v_mul_f32_e32 v68, v61, v149
	v_add_f32_e32 v3, v4, v3
	v_fma_f32 v2, v27, v116, -v2
	v_fmac_f32_e32 v68, v62, v148
	v_add_f32_e32 v2, v3, v2
	v_mul_f32_e32 v3, v30, v11
	v_add_f32_e32 v71, v67, v68
	ds_read2_b64 v[67:70], v1 offset0:105 offset1:106
	buffer_load_dword v196, off, s[0:3], 0 offset:500
	buffer_load_dword v197, off, s[0:3], 0 offset:504
	;; [unrolled: 1-line block ×4, first 2 shown]
	v_fma_f32 v3, v29, v123, -v3
	v_add_f32_e32 v2, v2, v3
	v_mul_f32_e32 v3, v32, v12
	v_fma_f32 v3, v31, v122, -v3
	v_add_f32_e32 v2, v2, v3
	v_mul_f32_e32 v3, v34, v13
	;; [unrolled: 3-line block ×8, first 2 shown]
	v_fma_f32 v3, v45, v138, -v3
	s_waitcnt vmcnt(48) lgkmcnt(1)
	v_mul_f32_e32 v72, v63, v151
	v_add_f32_e32 v2, v2, v3
	v_mul_f32_e32 v3, v48, v139
	v_fmac_f32_e32 v72, v64, v150
	v_fma_f32 v3, v47, v137, -v3
	v_add_f32_e32 v71, v71, v72
	s_waitcnt vmcnt(47)
	v_mul_f32_e32 v72, v65, v152
	v_add_f32_e32 v2, v2, v3
	v_mul_f32_e32 v3, v50, v134
	s_waitcnt vmcnt(44)
	v_fmac_f32_e32 v72, v66, v155
	v_fma_f32 v3, v49, v133, -v3
	v_add_f32_e32 v71, v71, v72
	s_waitcnt lgkmcnt(0)
	v_mul_f32_e32 v72, v67, v154
	v_add_f32_e32 v2, v2, v3
	v_mul_f32_e32 v3, v52, v136
	v_fmac_f32_e32 v72, v68, v153
	v_fma_f32 v3, v51, v135, -v3
	v_add_f32_e32 v75, v71, v72
	ds_read2_b64 v[71:74], v1 offset0:107 offset1:108
	v_add_f32_e32 v2, v2, v3
	v_mul_f32_e32 v3, v54, v141
	v_fma_f32 v3, v53, v140, -v3
	s_waitcnt vmcnt(42)
	v_mul_f32_e32 v76, v69, v157
	v_add_f32_e32 v2, v2, v3
	v_mul_f32_e32 v3, v56, v143
	v_fmac_f32_e32 v76, v70, v156
	v_fma_f32 v3, v55, v142, -v3
	v_add_f32_e32 v79, v75, v76
	ds_read2_b64 v[75:78], v1 offset0:109 offset1:110
	v_add_f32_e32 v2, v2, v3
	v_mul_f32_e32 v3, v58, v145
	s_waitcnt vmcnt(40) lgkmcnt(1)
	v_mul_f32_e32 v80, v71, v159
	v_fma_f32 v3, v57, v144, -v3
	v_fmac_f32_e32 v80, v72, v158
	v_add_f32_e32 v2, v2, v3
	v_mul_f32_e32 v3, v60, v147
	v_add_f32_e32 v79, v79, v80
	s_waitcnt vmcnt(39)
	v_mul_f32_e32 v80, v73, v160
	v_fma_f32 v3, v59, v146, -v3
	s_waitcnt vmcnt(36)
	v_fmac_f32_e32 v80, v74, v163
	v_add_f32_e32 v2, v2, v3
	v_mul_f32_e32 v3, v62, v149
	v_add_f32_e32 v79, v79, v80
	s_waitcnt lgkmcnt(0)
	v_mul_f32_e32 v80, v75, v162
	v_fma_f32 v3, v61, v148, -v3
	v_fmac_f32_e32 v80, v76, v161
	v_add_f32_e32 v2, v2, v3
	v_mul_f32_e32 v3, v64, v151
	v_add_f32_e32 v83, v79, v80
	ds_read2_b64 v[79:82], v1 offset0:111 offset1:112
	v_fma_f32 v3, v63, v150, -v3
	v_add_f32_e32 v2, v2, v3
	v_mul_f32_e32 v3, v66, v152
	s_waitcnt vmcnt(34)
	v_mul_f32_e32 v84, v77, v165
	v_fma_f32 v3, v65, v155, -v3
	v_fmac_f32_e32 v84, v78, v164
	v_add_f32_e32 v2, v2, v3
	v_mul_f32_e32 v3, v68, v154
	v_add_f32_e32 v87, v83, v84
	ds_read2_b64 v[83:86], v1 offset0:113 offset1:114
	v_fma_f32 v3, v67, v153, -v3
	s_waitcnt vmcnt(32) lgkmcnt(1)
	v_mul_f32_e32 v88, v79, v167
	v_add_f32_e32 v2, v2, v3
	v_mul_f32_e32 v3, v70, v157
	v_fmac_f32_e32 v88, v80, v166
	v_fma_f32 v3, v69, v156, -v3
	v_add_f32_e32 v87, v87, v88
	s_waitcnt vmcnt(31)
	v_mul_f32_e32 v88, v81, v168
	v_add_f32_e32 v2, v2, v3
	v_mul_f32_e32 v3, v72, v159
	s_waitcnt vmcnt(28)
	v_fmac_f32_e32 v88, v82, v171
	v_fma_f32 v3, v71, v158, -v3
	v_add_f32_e32 v87, v87, v88
	s_waitcnt lgkmcnt(0)
	v_mul_f32_e32 v88, v83, v170
	v_add_f32_e32 v2, v2, v3
	v_mul_f32_e32 v3, v74, v160
	v_fmac_f32_e32 v88, v84, v169
	v_fma_f32 v3, v73, v163, -v3
	v_add_f32_e32 v91, v87, v88
	ds_read2_b64 v[87:90], v1 offset0:115 offset1:116
	v_add_f32_e32 v2, v2, v3
	v_mul_f32_e32 v3, v76, v162
	v_fma_f32 v3, v75, v161, -v3
	s_waitcnt vmcnt(26)
	v_mul_f32_e32 v92, v85, v173
	v_add_f32_e32 v2, v2, v3
	v_mul_f32_e32 v3, v78, v165
	v_fmac_f32_e32 v92, v86, v172
	v_fma_f32 v3, v77, v164, -v3
	v_add_f32_e32 v95, v91, v92
	ds_read2_b64 v[91:94], v1 offset0:117 offset1:118
	v_add_f32_e32 v2, v2, v3
	v_mul_f32_e32 v3, v80, v167
	s_waitcnt vmcnt(24) lgkmcnt(1)
	v_mul_f32_e32 v96, v87, v175
	v_fma_f32 v3, v79, v166, -v3
	v_fmac_f32_e32 v96, v88, v174
	v_add_f32_e32 v2, v2, v3
	v_mul_f32_e32 v3, v82, v168
	v_add_f32_e32 v95, v95, v96
	s_waitcnt vmcnt(23)
	v_mul_f32_e32 v96, v89, v176
	v_fma_f32 v3, v81, v171, -v3
	s_waitcnt vmcnt(20)
	v_fmac_f32_e32 v96, v90, v179
	v_add_f32_e32 v2, v2, v3
	v_mul_f32_e32 v3, v84, v170
	v_add_f32_e32 v95, v95, v96
	s_waitcnt lgkmcnt(0)
	v_mul_f32_e32 v96, v91, v178
	v_fma_f32 v3, v83, v169, -v3
	v_fmac_f32_e32 v96, v92, v177
	v_add_f32_e32 v2, v2, v3
	v_mul_f32_e32 v3, v86, v173
	v_add_f32_e32 v99, v95, v96
	ds_read2_b64 v[95:98], v1 offset0:119 offset1:120
	v_fma_f32 v3, v85, v172, -v3
	v_add_f32_e32 v2, v2, v3
	v_mul_f32_e32 v3, v88, v175
	s_waitcnt vmcnt(18)
	v_mul_f32_e32 v100, v93, v181
	v_fma_f32 v3, v87, v174, -v3
	v_fmac_f32_e32 v100, v94, v180
	v_add_f32_e32 v2, v2, v3
	v_mul_f32_e32 v3, v90, v176
	v_add_f32_e32 v103, v99, v100
	ds_read2_b64 v[99:102], v1 offset0:121 offset1:122
	v_fma_f32 v3, v89, v179, -v3
	s_waitcnt vmcnt(16) lgkmcnt(1)
	v_mul_f32_e32 v104, v95, v183
	v_add_f32_e32 v2, v2, v3
	v_mul_f32_e32 v3, v92, v178
	v_fmac_f32_e32 v104, v96, v182
	v_fma_f32 v3, v91, v177, -v3
	v_add_f32_e32 v103, v103, v104
	s_waitcnt vmcnt(15)
	v_mul_f32_e32 v104, v97, v184
	v_add_f32_e32 v2, v2, v3
	v_mul_f32_e32 v3, v94, v181
	s_waitcnt vmcnt(12)
	v_fmac_f32_e32 v104, v98, v187
	v_fma_f32 v3, v93, v180, -v3
	v_add_f32_e32 v103, v103, v104
	s_waitcnt lgkmcnt(0)
	v_mul_f32_e32 v104, v99, v186
	v_add_f32_e32 v2, v2, v3
	v_mul_f32_e32 v3, v96, v183
	v_fmac_f32_e32 v104, v100, v185
	v_fma_f32 v3, v95, v182, -v3
	v_add_f32_e32 v107, v103, v104
	ds_read2_b64 v[103:106], v1 offset0:123 offset1:124
	v_add_f32_e32 v2, v2, v3
	v_mul_f32_e32 v3, v98, v184
	v_fma_f32 v3, v97, v187, -v3
	v_add_f32_e32 v2, v2, v3
	v_mul_f32_e32 v3, v100, v186
	s_waitcnt vmcnt(10)
	v_mul_f32_e32 v108, v101, v189
	v_fma_f32 v3, v99, v185, -v3
	v_fmac_f32_e32 v108, v102, v188
	v_add_f32_e32 v2, v2, v3
	v_mul_f32_e32 v3, v102, v189
	v_add_f32_e32 v111, v107, v108
	ds_read2_b64 v[107:110], v1 offset0:125 offset1:126
	s_waitcnt vmcnt(8) lgkmcnt(1)
	v_mul_f32_e32 v112, v103, v191
	v_fma_f32 v3, v101, v188, -v3
	v_fmac_f32_e32 v112, v104, v190
	v_add_f32_e32 v2, v2, v3
	v_mul_f32_e32 v3, v104, v191
	v_add_f32_e32 v111, v111, v112
	s_waitcnt vmcnt(7)
	v_mul_f32_e32 v112, v105, v192
	v_fma_f32 v3, v103, v190, -v3
	s_waitcnt vmcnt(4)
	v_fmac_f32_e32 v112, v106, v195
	v_add_f32_e32 v2, v2, v3
	v_mul_f32_e32 v3, v106, v192
	v_add_f32_e32 v200, v111, v112
	ds_read_b64 v[111:112], v1 offset:1016
	v_fma_f32 v3, v105, v195, -v3
	v_add_f32_e32 v2, v2, v3
	s_waitcnt lgkmcnt(1)
	v_mul_f32_e32 v3, v108, v194
	v_mul_f32_e32 v201, v107, v194
	v_fma_f32 v3, v107, v193, -v3
	v_fmac_f32_e32 v201, v108, v193
	v_add_f32_e32 v2, v2, v3
	s_waitcnt vmcnt(3)
	v_mul_f32_e32 v3, v110, v196
	v_add_f32_e32 v200, v200, v201
	v_mul_f32_e32 v201, v109, v196
	s_waitcnt vmcnt(0)
	v_fma_f32 v3, v109, v199, -v3
	v_fmac_f32_e32 v201, v110, v199
	v_add_f32_e32 v2, v2, v3
	s_waitcnt lgkmcnt(0)
	v_mul_f32_e32 v3, v112, v198
	v_add_f32_e32 v200, v200, v201
	v_mul_f32_e32 v201, v111, v198
	v_fma_f32 v3, v111, v197, -v3
	v_fmac_f32_e32 v201, v112, v197
	v_add_f32_e32 v2, v2, v3
	v_add_f32_e32 v200, v200, v201
	v_sub_f32_e32 v2, v9, v2
	v_sub_f32_e32 v3, v10, v200
	buffer_store_dword v2, off, s[0:3], 0 offset:112
	buffer_store_dword v3, off, s[0:3], 0 offset:116
	s_and_saveexec_b64 s[4:5], vcc
	s_cbranch_execz .LBB63_371
; %bb.370:
	buffer_load_dword v2, off, s[0:3], 0 offset:104
	buffer_load_dword v3, off, s[0:3], 0 offset:108
	s_waitcnt vmcnt(0)
	ds_write_b64 v249, v[2:3]
	buffer_store_dword v1, off, s[0:3], 0 offset:104
	buffer_store_dword v1, off, s[0:3], 0 offset:108
.LBB63_371:
	s_or_b64 exec, exec, s[4:5]
	s_waitcnt lgkmcnt(0)
	; wave barrier
	buffer_load_dword v8, off, s[0:3], 0 offset:116
	buffer_load_dword v7, off, s[0:3], 0 offset:124
	;; [unrolled: 1-line block ×40, first 2 shown]
	ds_read_b128 v[16:19], v1 offset:624
	ds_read_b128 v[20:23], v1 offset:640
	;; [unrolled: 1-line block ×7, first 2 shown]
	buffer_load_dword v142, off, s[0:3], 0 offset:264
	buffer_load_dword v143, off, s[0:3], 0 offset:268
	;; [unrolled: 1-line block ×11, first 2 shown]
	v_cmp_lt_u32_e32 vcc, 12, v0
	s_waitcnt vmcnt(50) lgkmcnt(6)
	v_mul_f32_e32 v44, v16, v8
	s_waitcnt vmcnt(49)
	v_mul_f32_e32 v45, v18, v7
	s_waitcnt vmcnt(48) lgkmcnt(5)
	v_mul_f32_e32 v46, v20, v6
	s_waitcnt vmcnt(47)
	v_mul_f32_e32 v47, v22, v5
	;; [unrolled: 4-line block ×6, first 2 shown]
	s_waitcnt vmcnt(38)
	v_fmac_f32_e32 v46, v21, v116
	s_waitcnt vmcnt(37)
	v_fmac_f32_e32 v45, v19, v117
	;; [unrolled: 2-line block ×3, first 2 shown]
	v_add_f32_e32 v44, 0, v44
	v_add_f32_e32 v44, v44, v45
	;; [unrolled: 1-line block ×3, first 2 shown]
	s_waitcnt vmcnt(32)
	v_fmac_f32_e32 v47, v23, v122
	v_fmac_f32_e32 v48, v25, v121
	v_add_f32_e32 v44, v44, v47
	v_fmac_f32_e32 v49, v27, v120
	v_add_f32_e32 v44, v44, v48
	;; [unrolled: 2-line block ×3, first 2 shown]
	s_waitcnt vmcnt(28)
	v_fmac_f32_e32 v51, v31, v126
	v_add_f32_e32 v44, v44, v50
	v_fmac_f32_e32 v52, v33, v125
	v_add_f32_e32 v44, v44, v51
	;; [unrolled: 2-line block ×4, first 2 shown]
	v_add_f32_e32 v44, v44, v54
	s_waitcnt vmcnt(24)
	v_fmac_f32_e32 v55, v39, v130
	v_add_f32_e32 v48, v44, v55
	ds_read_b128 v[44:47], v1 offset:736
	s_waitcnt vmcnt(23) lgkmcnt(1)
	v_mul_f32_e32 v49, v40, v131
	v_fmac_f32_e32 v49, v41, v129
	v_add_f32_e32 v48, v48, v49
	s_waitcnt vmcnt(22)
	v_mul_f32_e32 v49, v42, v132
	v_fmac_f32_e32 v49, v43, v128
	v_add_f32_e32 v48, v48, v49
	s_waitcnt vmcnt(21) lgkmcnt(0)
	v_mul_f32_e32 v49, v44, v133
	buffer_load_dword v153, off, s[0:3], 0 offset:304
	buffer_load_dword v154, off, s[0:3], 0 offset:312
	;; [unrolled: 1-line block ×3, first 2 shown]
	v_fmac_f32_e32 v49, v45, v127
	v_add_f32_e32 v52, v48, v49
	ds_read_b128 v[48:51], v1 offset:752
	buffer_load_dword v156, off, s[0:3], 0 offset:320
	buffer_load_dword v157, off, s[0:3], 0 offset:324
	s_waitcnt vmcnt(25)
	v_mul_f32_e32 v53, v46, v134
	s_waitcnt vmcnt(19)
	v_fmac_f32_e32 v53, v47, v140
	v_add_f32_e32 v56, v52, v53
	ds_read_b128 v[52:55], v1 offset:768
	buffer_load_dword v158, off, s[0:3], 0 offset:328
	buffer_load_dword v159, off, s[0:3], 0 offset:332
	;; [unrolled: 1-line block ×8, first 2 shown]
	s_waitcnt vmcnt(26) lgkmcnt(1)
	v_mul_f32_e32 v57, v48, v141
	buffer_load_dword v166, off, s[0:3], 0 offset:360
	buffer_load_dword v167, off, s[0:3], 0 offset:364
	v_fmac_f32_e32 v57, v49, v139
	v_add_f32_e32 v56, v56, v57
	v_mul_f32_e32 v57, v50, v136
	v_fmac_f32_e32 v57, v51, v135
	v_add_f32_e32 v56, v56, v57
	s_waitcnt lgkmcnt(0)
	v_mul_f32_e32 v57, v52, v138
	v_fmac_f32_e32 v57, v53, v137
	v_add_f32_e32 v60, v56, v57
	ds_read_b128 v[56:59], v1 offset:784
	buffer_load_dword v168, off, s[0:3], 0 offset:368
	buffer_load_dword v169, off, s[0:3], 0 offset:372
	;; [unrolled: 1-line block ×6, first 2 shown]
	s_waitcnt vmcnt(30)
	v_mul_f32_e32 v61, v54, v143
	v_fmac_f32_e32 v61, v55, v142
	v_add_f32_e32 v64, v60, v61
	ds_read_b128 v[60:63], v1 offset:800
	buffer_load_dword v174, off, s[0:3], 0 offset:392
	buffer_load_dword v175, off, s[0:3], 0 offset:396
	;; [unrolled: 1-line block ×10, first 2 shown]
	s_waitcnt vmcnt(38) lgkmcnt(1)
	v_mul_f32_e32 v65, v56, v145
	buffer_load_dword v184, off, s[0:3], 0 offset:432
	buffer_load_dword v185, off, s[0:3], 0 offset:436
	;; [unrolled: 1-line block ×6, first 2 shown]
	v_fmac_f32_e32 v65, v57, v144
	v_add_f32_e32 v64, v64, v65
	s_waitcnt vmcnt(42)
	v_mul_f32_e32 v65, v58, v147
	v_fmac_f32_e32 v65, v59, v146
	v_add_f32_e32 v64, v64, v65
	s_waitcnt vmcnt(40) lgkmcnt(0)
	v_mul_f32_e32 v65, v60, v149
	v_fmac_f32_e32 v65, v61, v148
	v_add_f32_e32 v68, v64, v65
	ds_read_b128 v[64:67], v1 offset:816
	buffer_load_dword v190, off, s[0:3], 0 offset:456
	buffer_load_dword v191, off, s[0:3], 0 offset:460
	v_mul_f32_e32 v8, v17, v8
	v_fma_f32 v8, v16, v118, -v8
	v_mul_f32_e32 v7, v19, v7
	s_waitcnt vmcnt(40)
	v_mul_f32_e32 v69, v62, v151
	v_add_f32_e32 v8, 0, v8
	v_fma_f32 v7, v18, v117, -v7
	v_mul_f32_e32 v6, v21, v6
	v_fmac_f32_e32 v69, v63, v150
	v_add_f32_e32 v7, v8, v7
	v_fma_f32 v6, v20, v116, -v6
	v_mul_f32_e32 v5, v23, v5
	v_add_f32_e32 v72, v68, v69
	ds_read_b128 v[68:71], v1 offset:832
	buffer_load_dword v192, off, s[0:3], 0 offset:464
	buffer_load_dword v193, off, s[0:3], 0 offset:468
	buffer_load_dword v194, off, s[0:3], 0 offset:476
	buffer_load_dword v195, off, s[0:3], 0 offset:480
	buffer_load_dword v196, off, s[0:3], 0 offset:484
	buffer_load_dword v197, off, s[0:3], 0 offset:472
	v_add_f32_e32 v6, v7, v6
	v_fma_f32 v5, v22, v122, -v5
	v_mul_f32_e32 v4, v25, v4
	v_add_f32_e32 v5, v6, v5
	v_fma_f32 v4, v24, v121, -v4
	v_mul_f32_e32 v3, v27, v3
	;; [unrolled: 3-line block ×3, first 2 shown]
	v_add_f32_e32 v3, v4, v3
	v_fma_f32 v2, v28, v119, -v2
	v_add_f32_e32 v2, v3, v2
	v_mul_f32_e32 v3, v31, v11
	v_fma_f32 v3, v30, v126, -v3
	v_add_f32_e32 v2, v2, v3
	v_mul_f32_e32 v3, v33, v12
	buffer_load_dword v198, off, s[0:3], 0 offset:488
	buffer_load_dword v199, off, s[0:3], 0 offset:492
	;; [unrolled: 1-line block ×6, first 2 shown]
	v_fma_f32 v3, v32, v125, -v3
	v_add_f32_e32 v2, v2, v3
	v_mul_f32_e32 v3, v35, v13
	v_fma_f32 v3, v34, v124, -v3
	v_add_f32_e32 v2, v2, v3
	v_mul_f32_e32 v3, v37, v14
	;; [unrolled: 3-line block ×7, first 2 shown]
	v_fma_f32 v3, v46, v140, -v3
	s_waitcnt vmcnt(51) lgkmcnt(1)
	v_mul_f32_e32 v73, v64, v152
	v_add_f32_e32 v2, v2, v3
	v_mul_f32_e32 v3, v49, v141
	s_waitcnt vmcnt(50)
	v_fmac_f32_e32 v73, v65, v153
	v_fma_f32 v3, v48, v139, -v3
	v_add_f32_e32 v72, v72, v73
	s_waitcnt vmcnt(48)
	v_mul_f32_e32 v73, v66, v155
	v_add_f32_e32 v2, v2, v3
	v_mul_f32_e32 v3, v51, v136
	v_fmac_f32_e32 v73, v67, v154
	v_fma_f32 v3, v50, v135, -v3
	v_add_f32_e32 v72, v72, v73
	s_waitcnt vmcnt(46) lgkmcnt(0)
	v_mul_f32_e32 v73, v68, v157
	v_add_f32_e32 v2, v2, v3
	v_mul_f32_e32 v3, v53, v138
	v_fmac_f32_e32 v73, v69, v156
	v_fma_f32 v3, v52, v137, -v3
	v_add_f32_e32 v76, v72, v73
	ds_read_b128 v[72:75], v1 offset:848
	v_add_f32_e32 v2, v2, v3
	v_mul_f32_e32 v3, v55, v143
	v_fma_f32 v3, v54, v142, -v3
	s_waitcnt vmcnt(44)
	v_mul_f32_e32 v77, v70, v159
	v_add_f32_e32 v2, v2, v3
	v_mul_f32_e32 v3, v57, v145
	v_fmac_f32_e32 v77, v71, v158
	v_fma_f32 v3, v56, v144, -v3
	v_add_f32_e32 v80, v76, v77
	ds_read_b128 v[76:79], v1 offset:864
	v_add_f32_e32 v2, v2, v3
	v_mul_f32_e32 v3, v59, v147
	s_waitcnt vmcnt(42) lgkmcnt(1)
	v_mul_f32_e32 v81, v72, v161
	v_fma_f32 v3, v58, v146, -v3
	v_fmac_f32_e32 v81, v73, v160
	v_add_f32_e32 v2, v2, v3
	v_mul_f32_e32 v3, v61, v149
	v_add_f32_e32 v80, v80, v81
	s_waitcnt vmcnt(41)
	v_mul_f32_e32 v81, v74, v162
	v_fma_f32 v3, v60, v148, -v3
	s_waitcnt vmcnt(38)
	v_fmac_f32_e32 v81, v75, v165
	v_add_f32_e32 v2, v2, v3
	v_mul_f32_e32 v3, v63, v151
	v_add_f32_e32 v80, v80, v81
	s_waitcnt lgkmcnt(0)
	v_mul_f32_e32 v81, v76, v164
	v_fma_f32 v3, v62, v150, -v3
	v_fmac_f32_e32 v81, v77, v163
	v_add_f32_e32 v2, v2, v3
	v_mul_f32_e32 v3, v65, v152
	v_add_f32_e32 v84, v80, v81
	ds_read_b128 v[80:83], v1 offset:880
	v_fma_f32 v3, v64, v153, -v3
	v_add_f32_e32 v2, v2, v3
	v_mul_f32_e32 v3, v67, v155
	s_waitcnt vmcnt(36)
	v_mul_f32_e32 v85, v78, v167
	v_fma_f32 v3, v66, v154, -v3
	v_fmac_f32_e32 v85, v79, v166
	v_add_f32_e32 v2, v2, v3
	v_mul_f32_e32 v3, v69, v157
	v_add_f32_e32 v88, v84, v85
	ds_read_b128 v[84:87], v1 offset:896
	v_fma_f32 v3, v68, v156, -v3
	s_waitcnt vmcnt(34) lgkmcnt(1)
	v_mul_f32_e32 v89, v80, v169
	v_add_f32_e32 v2, v2, v3
	v_mul_f32_e32 v3, v71, v159
	v_fmac_f32_e32 v89, v81, v168
	v_fma_f32 v3, v70, v158, -v3
	v_add_f32_e32 v88, v88, v89
	s_waitcnt vmcnt(33)
	v_mul_f32_e32 v89, v82, v170
	v_add_f32_e32 v2, v2, v3
	v_mul_f32_e32 v3, v73, v161
	s_waitcnt vmcnt(30)
	v_fmac_f32_e32 v89, v83, v173
	v_fma_f32 v3, v72, v160, -v3
	v_add_f32_e32 v88, v88, v89
	s_waitcnt lgkmcnt(0)
	v_mul_f32_e32 v89, v84, v172
	v_add_f32_e32 v2, v2, v3
	v_mul_f32_e32 v3, v75, v162
	v_fmac_f32_e32 v89, v85, v171
	v_fma_f32 v3, v74, v165, -v3
	v_add_f32_e32 v92, v88, v89
	ds_read_b128 v[88:91], v1 offset:912
	v_add_f32_e32 v2, v2, v3
	v_mul_f32_e32 v3, v77, v164
	v_fma_f32 v3, v76, v163, -v3
	s_waitcnt vmcnt(28)
	v_mul_f32_e32 v93, v86, v175
	v_add_f32_e32 v2, v2, v3
	v_mul_f32_e32 v3, v79, v167
	v_fmac_f32_e32 v93, v87, v174
	v_fma_f32 v3, v78, v166, -v3
	v_add_f32_e32 v96, v92, v93
	ds_read_b128 v[92:95], v1 offset:928
	v_add_f32_e32 v2, v2, v3
	v_mul_f32_e32 v3, v81, v169
	s_waitcnt vmcnt(26) lgkmcnt(1)
	v_mul_f32_e32 v97, v88, v177
	v_fma_f32 v3, v80, v168, -v3
	v_fmac_f32_e32 v97, v89, v176
	v_add_f32_e32 v2, v2, v3
	v_mul_f32_e32 v3, v83, v170
	v_add_f32_e32 v96, v96, v97
	s_waitcnt vmcnt(25)
	v_mul_f32_e32 v97, v90, v178
	v_fma_f32 v3, v82, v173, -v3
	s_waitcnt vmcnt(22)
	v_fmac_f32_e32 v97, v91, v181
	v_add_f32_e32 v2, v2, v3
	v_mul_f32_e32 v3, v85, v172
	v_add_f32_e32 v96, v96, v97
	s_waitcnt lgkmcnt(0)
	v_mul_f32_e32 v97, v92, v180
	v_fma_f32 v3, v84, v171, -v3
	v_fmac_f32_e32 v97, v93, v179
	v_add_f32_e32 v2, v2, v3
	v_mul_f32_e32 v3, v87, v175
	v_add_f32_e32 v100, v96, v97
	ds_read_b128 v[96:99], v1 offset:944
	v_fma_f32 v3, v86, v174, -v3
	v_add_f32_e32 v2, v2, v3
	v_mul_f32_e32 v3, v89, v177
	s_waitcnt vmcnt(20)
	v_mul_f32_e32 v101, v94, v183
	v_fma_f32 v3, v88, v176, -v3
	v_fmac_f32_e32 v101, v95, v182
	v_add_f32_e32 v2, v2, v3
	v_mul_f32_e32 v3, v91, v178
	v_add_f32_e32 v104, v100, v101
	ds_read_b128 v[100:103], v1 offset:960
	v_fma_f32 v3, v90, v181, -v3
	s_waitcnt vmcnt(18) lgkmcnt(1)
	v_mul_f32_e32 v105, v96, v185
	v_add_f32_e32 v2, v2, v3
	v_mul_f32_e32 v3, v93, v180
	v_fmac_f32_e32 v105, v97, v184
	v_fma_f32 v3, v92, v179, -v3
	v_add_f32_e32 v104, v104, v105
	s_waitcnt vmcnt(17)
	v_mul_f32_e32 v105, v98, v186
	v_add_f32_e32 v2, v2, v3
	v_mul_f32_e32 v3, v95, v183
	s_waitcnt vmcnt(14)
	v_fmac_f32_e32 v105, v99, v189
	v_fma_f32 v3, v94, v182, -v3
	v_add_f32_e32 v104, v104, v105
	s_waitcnt lgkmcnt(0)
	v_mul_f32_e32 v105, v100, v188
	v_add_f32_e32 v2, v2, v3
	v_mul_f32_e32 v3, v97, v185
	v_fmac_f32_e32 v105, v101, v187
	v_fma_f32 v3, v96, v184, -v3
	v_add_f32_e32 v108, v104, v105
	ds_read_b128 v[104:107], v1 offset:976
	v_add_f32_e32 v2, v2, v3
	v_mul_f32_e32 v3, v99, v186
	v_fma_f32 v3, v98, v189, -v3
	v_add_f32_e32 v2, v2, v3
	v_mul_f32_e32 v3, v101, v188
	s_waitcnt vmcnt(12)
	v_mul_f32_e32 v109, v102, v191
	v_fma_f32 v3, v100, v187, -v3
	v_fmac_f32_e32 v109, v103, v190
	v_add_f32_e32 v2, v2, v3
	v_mul_f32_e32 v3, v103, v191
	v_add_f32_e32 v112, v108, v109
	ds_read_b128 v[108:111], v1 offset:992
	s_waitcnt vmcnt(10) lgkmcnt(1)
	v_mul_f32_e32 v113, v104, v193
	v_fma_f32 v3, v102, v190, -v3
	v_fmac_f32_e32 v113, v105, v192
	v_add_f32_e32 v2, v2, v3
	v_mul_f32_e32 v3, v105, v193
	v_add_f32_e32 v112, v112, v113
	s_waitcnt vmcnt(9)
	v_mul_f32_e32 v113, v106, v194
	v_fma_f32 v3, v104, v192, -v3
	s_waitcnt vmcnt(6)
	v_fmac_f32_e32 v113, v107, v197
	v_add_f32_e32 v2, v2, v3
	v_mul_f32_e32 v3, v107, v194
	v_add_f32_e32 v204, v112, v113
	ds_read_b128 v[112:115], v1 offset:1008
	v_fma_f32 v3, v106, v197, -v3
	v_add_f32_e32 v2, v2, v3
	s_waitcnt lgkmcnt(1)
	v_mul_f32_e32 v3, v109, v196
	v_mul_f32_e32 v205, v108, v196
	v_fma_f32 v3, v108, v195, -v3
	v_fmac_f32_e32 v205, v109, v195
	v_add_f32_e32 v2, v2, v3
	s_waitcnt vmcnt(4)
	v_mul_f32_e32 v3, v111, v199
	v_add_f32_e32 v1, v204, v205
	v_mul_f32_e32 v204, v110, v199
	v_fma_f32 v3, v110, v198, -v3
	v_fmac_f32_e32 v204, v111, v198
	v_add_f32_e32 v2, v2, v3
	s_waitcnt vmcnt(3) lgkmcnt(0)
	v_mul_f32_e32 v3, v113, v200
	v_add_f32_e32 v1, v1, v204
	v_mul_f32_e32 v204, v112, v200
	s_waitcnt vmcnt(0)
	v_fma_f32 v3, v112, v203, -v3
	v_fmac_f32_e32 v204, v113, v203
	v_add_f32_e32 v2, v2, v3
	v_mul_f32_e32 v3, v115, v202
	v_add_f32_e32 v1, v1, v204
	v_mul_f32_e32 v204, v114, v202
	v_fma_f32 v3, v114, v201, -v3
	v_fmac_f32_e32 v204, v115, v201
	v_add_f32_e32 v2, v2, v3
	v_add_f32_e32 v1, v1, v204
	v_sub_f32_e32 v2, v9, v2
	v_sub_f32_e32 v1, v10, v1
	buffer_store_dword v2, off, s[0:3], 0 offset:104
	buffer_store_dword v1, off, s[0:3], 0 offset:108
	s_and_saveexec_b64 s[4:5], vcc
	s_cbranch_execz .LBB63_373
; %bb.372:
	buffer_load_dword v1, off, s[0:3], 0 offset:96
	buffer_load_dword v2, off, s[0:3], 0 offset:100
	v_mov_b32_e32 v3, 0
	buffer_store_dword v3, off, s[0:3], 0 offset:96
	buffer_store_dword v3, off, s[0:3], 0 offset:100
	s_waitcnt vmcnt(2)
	ds_write_b64 v249, v[1:2]
.LBB63_373:
	s_or_b64 exec, exec, s[4:5]
	s_waitcnt lgkmcnt(0)
	; wave barrier
	buffer_load_dword v10, off, s[0:3], 0 offset:108
	buffer_load_dword v9, off, s[0:3], 0 offset:116
	;; [unrolled: 1-line block ×50, first 2 shown]
	v_mov_b32_e32 v1, 0
	ds_read2_b64 v[17:20], v1 offset0:77 offset1:78
	ds_read2_b64 v[21:24], v1 offset0:79 offset1:80
	;; [unrolled: 1-line block ×6, first 2 shown]
	v_cmp_lt_u32_e32 vcc, 11, v0
	s_waitcnt vmcnt(49) lgkmcnt(5)
	v_mul_f32_e32 v41, v17, v10
	s_waitcnt vmcnt(48)
	v_mul_f32_e32 v42, v19, v9
	s_waitcnt vmcnt(47) lgkmcnt(4)
	v_mul_f32_e32 v43, v21, v6
	s_waitcnt vmcnt(46)
	v_mul_f32_e32 v44, v23, v5
	;; [unrolled: 4-line block ×6, first 2 shown]
	s_waitcnt vmcnt(37)
	v_fmac_f32_e32 v43, v22, v119
	s_waitcnt vmcnt(36)
	v_fmac_f32_e32 v42, v20, v120
	;; [unrolled: 2-line block ×3, first 2 shown]
	v_add_f32_e32 v41, 0, v41
	v_add_f32_e32 v41, v41, v42
	;; [unrolled: 1-line block ×3, first 2 shown]
	s_waitcnt vmcnt(31)
	v_fmac_f32_e32 v44, v24, v125
	v_fmac_f32_e32 v45, v26, v124
	v_add_f32_e32 v41, v41, v44
	v_fmac_f32_e32 v46, v28, v123
	v_add_f32_e32 v41, v41, v45
	;; [unrolled: 2-line block ×3, first 2 shown]
	s_waitcnt vmcnt(27)
	v_fmac_f32_e32 v48, v32, v128
	v_add_f32_e32 v41, v41, v47
	v_fmac_f32_e32 v49, v34, v127
	v_add_f32_e32 v41, v41, v48
	;; [unrolled: 2-line block ×4, first 2 shown]
	v_add_f32_e32 v45, v41, v51
	ds_read2_b64 v[41:44], v1 offset0:89 offset1:90
	s_waitcnt vmcnt(23)
	v_fmac_f32_e32 v52, v40, v132
	v_add_f32_e32 v49, v45, v52
	buffer_load_dword v154, off, s[0:3], 0 offset:296
	buffer_load_dword v155, off, s[0:3], 0 offset:300
	ds_read2_b64 v[45:48], v1 offset0:91 offset1:92
	s_waitcnt vmcnt(24) lgkmcnt(1)
	v_mul_f32_e32 v50, v41, v133
	v_fmac_f32_e32 v50, v42, v131
	v_add_f32_e32 v49, v49, v50
	s_waitcnt vmcnt(23)
	v_mul_f32_e32 v50, v43, v134
	v_fmac_f32_e32 v50, v44, v130
	buffer_load_dword v156, off, s[0:3], 0 offset:308
	buffer_load_dword v157, off, s[0:3], 0 offset:304
	;; [unrolled: 1-line block ×4, first 2 shown]
	v_add_f32_e32 v49, v49, v50
	s_waitcnt vmcnt(26) lgkmcnt(0)
	v_mul_f32_e32 v50, v45, v135
	v_fmac_f32_e32 v50, v46, v129
	s_waitcnt vmcnt(25)
	v_mul_f32_e32 v54, v47, v136
	v_add_f32_e32 v53, v49, v50
	s_waitcnt vmcnt(18)
	v_fmac_f32_e32 v54, v48, v143
	ds_read2_b64 v[49:52], v1 offset0:93 offset1:94
	v_add_f32_e32 v57, v53, v54
	ds_read2_b64 v[53:56], v1 offset0:95 offset1:96
	buffer_load_dword v160, off, s[0:3], 0 offset:320
	buffer_load_dword v161, off, s[0:3], 0 offset:324
	;; [unrolled: 1-line block ×8, first 2 shown]
	s_waitcnt lgkmcnt(1)
	v_mul_f32_e32 v58, v49, v138
	buffer_load_dword v168, off, s[0:3], 0 offset:352
	buffer_load_dword v169, off, s[0:3], 0 offset:356
	v_fmac_f32_e32 v58, v50, v137
	v_add_f32_e32 v57, v57, v58
	v_mul_f32_e32 v58, v51, v140
	v_fmac_f32_e32 v58, v52, v139
	v_add_f32_e32 v57, v57, v58
	s_waitcnt lgkmcnt(0)
	v_mul_f32_e32 v58, v53, v142
	v_fmac_f32_e32 v58, v54, v141
	v_add_f32_e32 v61, v57, v58
	ds_read2_b64 v[57:60], v1 offset0:97 offset1:98
	buffer_load_dword v170, off, s[0:3], 0 offset:360
	buffer_load_dword v171, off, s[0:3], 0 offset:364
	;; [unrolled: 1-line block ×6, first 2 shown]
	s_waitcnt vmcnt(30)
	v_mul_f32_e32 v62, v55, v145
	v_fmac_f32_e32 v62, v56, v144
	v_add_f32_e32 v65, v61, v62
	ds_read2_b64 v[61:64], v1 offset0:99 offset1:100
	buffer_load_dword v176, off, s[0:3], 0 offset:384
	buffer_load_dword v177, off, s[0:3], 0 offset:388
	;; [unrolled: 1-line block ×8, first 2 shown]
	s_waitcnt vmcnt(36) lgkmcnt(1)
	v_mul_f32_e32 v66, v57, v147
	buffer_load_dword v184, off, s[0:3], 0 offset:416
	buffer_load_dword v185, off, s[0:3], 0 offset:420
	v_fmac_f32_e32 v66, v58, v146
	v_add_f32_e32 v65, v65, v66
	s_waitcnt vmcnt(36)
	v_mul_f32_e32 v66, v59, v149
	v_fmac_f32_e32 v66, v60, v148
	v_add_f32_e32 v65, v65, v66
	s_waitcnt vmcnt(34) lgkmcnt(0)
	v_mul_f32_e32 v66, v61, v151
	v_fmac_f32_e32 v66, v62, v150
	v_add_f32_e32 v69, v65, v66
	ds_read2_b64 v[65:68], v1 offset0:101 offset1:102
	buffer_load_dword v186, off, s[0:3], 0 offset:424
	buffer_load_dword v187, off, s[0:3], 0 offset:428
	;; [unrolled: 1-line block ×6, first 2 shown]
	s_waitcnt vmcnt(38)
	v_mul_f32_e32 v70, v63, v153
	v_fmac_f32_e32 v70, v64, v152
	v_add_f32_e32 v73, v69, v70
	ds_read2_b64 v[69:72], v1 offset0:103 offset1:104
	buffer_load_dword v192, off, s[0:3], 0 offset:448
	buffer_load_dword v193, off, s[0:3], 0 offset:452
	v_mul_f32_e32 v10, v18, v10
	v_fma_f32 v10, v17, v121, -v10
	v_mul_f32_e32 v9, v20, v9
	buffer_load_dword v194, off, s[0:3], 0 offset:456
	buffer_load_dword v195, off, s[0:3], 0 offset:460
	;; [unrolled: 1-line block ×6, first 2 shown]
	v_add_f32_e32 v10, 0, v10
	v_fma_f32 v9, v19, v120, -v9
	v_mul_f32_e32 v6, v22, v6
	v_add_f32_e32 v9, v10, v9
	v_fma_f32 v6, v21, v119, -v6
	v_mul_f32_e32 v5, v24, v5
	;; [unrolled: 3-line block ×5, first 2 shown]
	buffer_load_dword v200, off, s[0:3], 0 offset:480
	buffer_load_dword v201, off, s[0:3], 0 offset:484
	v_add_f32_e32 v3, v4, v3
	v_fma_f32 v2, v29, v122, -v2
	v_add_f32_e32 v2, v3, v2
	v_mul_f32_e32 v3, v32, v11
	v_fma_f32 v3, v31, v128, -v3
	v_add_f32_e32 v2, v2, v3
	v_mul_f32_e32 v3, v34, v12
	;; [unrolled: 3-line block ×3, first 2 shown]
	buffer_load_dword v202, off, s[0:3], 0 offset:488
	buffer_load_dword v203, off, s[0:3], 0 offset:492
	;; [unrolled: 1-line block ×6, first 2 shown]
	v_fma_f32 v3, v35, v126, -v3
	v_add_f32_e32 v2, v2, v3
	v_mul_f32_e32 v3, v38, v14
	v_fma_f32 v3, v37, v16, -v3
	v_add_f32_e32 v2, v2, v3
	v_mul_f32_e32 v3, v40, v15
	;; [unrolled: 3-line block ×5, first 2 shown]
	v_fma_f32 v3, v45, v129, -v3
	s_waitcnt vmcnt(52) lgkmcnt(1)
	v_mul_f32_e32 v74, v65, v155
	v_add_f32_e32 v2, v2, v3
	v_mul_f32_e32 v3, v48, v136
	v_fmac_f32_e32 v74, v66, v154
	v_fma_f32 v3, v47, v143, -v3
	v_add_f32_e32 v73, v73, v74
	s_waitcnt vmcnt(51)
	v_mul_f32_e32 v74, v67, v156
	v_add_f32_e32 v2, v2, v3
	v_mul_f32_e32 v3, v50, v138
	s_waitcnt vmcnt(50)
	v_fmac_f32_e32 v74, v68, v157
	v_fma_f32 v3, v49, v137, -v3
	v_add_f32_e32 v73, v73, v74
	s_waitcnt vmcnt(48) lgkmcnt(0)
	v_mul_f32_e32 v74, v69, v159
	v_add_f32_e32 v2, v2, v3
	v_mul_f32_e32 v3, v52, v140
	v_fmac_f32_e32 v74, v70, v158
	v_fma_f32 v3, v51, v139, -v3
	v_add_f32_e32 v77, v73, v74
	ds_read2_b64 v[73:76], v1 offset0:105 offset1:106
	v_add_f32_e32 v2, v2, v3
	v_mul_f32_e32 v3, v54, v142
	v_fma_f32 v3, v53, v141, -v3
	s_waitcnt vmcnt(46)
	v_mul_f32_e32 v78, v71, v161
	v_add_f32_e32 v2, v2, v3
	v_mul_f32_e32 v3, v56, v145
	v_fmac_f32_e32 v78, v72, v160
	v_fma_f32 v3, v55, v144, -v3
	v_add_f32_e32 v81, v77, v78
	ds_read2_b64 v[77:80], v1 offset0:107 offset1:108
	v_add_f32_e32 v2, v2, v3
	v_mul_f32_e32 v3, v58, v147
	s_waitcnt vmcnt(44) lgkmcnt(1)
	v_mul_f32_e32 v82, v73, v163
	v_fma_f32 v3, v57, v146, -v3
	v_fmac_f32_e32 v82, v74, v162
	v_add_f32_e32 v2, v2, v3
	v_mul_f32_e32 v3, v60, v149
	v_add_f32_e32 v81, v81, v82
	s_waitcnt vmcnt(43)
	v_mul_f32_e32 v82, v75, v164
	v_fma_f32 v3, v59, v148, -v3
	s_waitcnt vmcnt(40)
	v_fmac_f32_e32 v82, v76, v167
	v_add_f32_e32 v2, v2, v3
	v_mul_f32_e32 v3, v62, v151
	v_add_f32_e32 v81, v81, v82
	s_waitcnt lgkmcnt(0)
	v_mul_f32_e32 v82, v77, v166
	v_fma_f32 v3, v61, v150, -v3
	v_fmac_f32_e32 v82, v78, v165
	v_add_f32_e32 v2, v2, v3
	v_mul_f32_e32 v3, v64, v153
	v_add_f32_e32 v85, v81, v82
	ds_read2_b64 v[81:84], v1 offset0:109 offset1:110
	v_fma_f32 v3, v63, v152, -v3
	v_add_f32_e32 v2, v2, v3
	v_mul_f32_e32 v3, v66, v155
	s_waitcnt vmcnt(38)
	v_mul_f32_e32 v86, v79, v169
	v_fma_f32 v3, v65, v154, -v3
	v_fmac_f32_e32 v86, v80, v168
	v_add_f32_e32 v2, v2, v3
	v_mul_f32_e32 v3, v68, v156
	v_add_f32_e32 v89, v85, v86
	ds_read2_b64 v[85:88], v1 offset0:111 offset1:112
	v_fma_f32 v3, v67, v157, -v3
	s_waitcnt vmcnt(36) lgkmcnt(1)
	v_mul_f32_e32 v90, v81, v171
	v_add_f32_e32 v2, v2, v3
	v_mul_f32_e32 v3, v70, v159
	v_fmac_f32_e32 v90, v82, v170
	v_fma_f32 v3, v69, v158, -v3
	v_add_f32_e32 v89, v89, v90
	s_waitcnt vmcnt(35)
	v_mul_f32_e32 v90, v83, v172
	v_add_f32_e32 v2, v2, v3
	v_mul_f32_e32 v3, v72, v161
	s_waitcnt vmcnt(32)
	v_fmac_f32_e32 v90, v84, v175
	v_fma_f32 v3, v71, v160, -v3
	v_add_f32_e32 v89, v89, v90
	s_waitcnt lgkmcnt(0)
	v_mul_f32_e32 v90, v85, v174
	v_add_f32_e32 v2, v2, v3
	v_mul_f32_e32 v3, v74, v163
	v_fmac_f32_e32 v90, v86, v173
	v_fma_f32 v3, v73, v162, -v3
	v_add_f32_e32 v93, v89, v90
	ds_read2_b64 v[89:92], v1 offset0:113 offset1:114
	v_add_f32_e32 v2, v2, v3
	v_mul_f32_e32 v3, v76, v164
	v_fma_f32 v3, v75, v167, -v3
	s_waitcnt vmcnt(30)
	v_mul_f32_e32 v94, v87, v177
	v_add_f32_e32 v2, v2, v3
	v_mul_f32_e32 v3, v78, v166
	v_fmac_f32_e32 v94, v88, v176
	v_fma_f32 v3, v77, v165, -v3
	v_add_f32_e32 v97, v93, v94
	ds_read2_b64 v[93:96], v1 offset0:115 offset1:116
	v_add_f32_e32 v2, v2, v3
	v_mul_f32_e32 v3, v80, v169
	s_waitcnt vmcnt(28) lgkmcnt(1)
	v_mul_f32_e32 v98, v89, v179
	v_fma_f32 v3, v79, v168, -v3
	v_fmac_f32_e32 v98, v90, v178
	v_add_f32_e32 v2, v2, v3
	v_mul_f32_e32 v3, v82, v171
	v_add_f32_e32 v97, v97, v98
	s_waitcnt vmcnt(27)
	v_mul_f32_e32 v98, v91, v180
	v_fma_f32 v3, v81, v170, -v3
	s_waitcnt vmcnt(24)
	v_fmac_f32_e32 v98, v92, v183
	v_add_f32_e32 v2, v2, v3
	v_mul_f32_e32 v3, v84, v172
	v_add_f32_e32 v97, v97, v98
	s_waitcnt lgkmcnt(0)
	v_mul_f32_e32 v98, v93, v182
	v_fma_f32 v3, v83, v175, -v3
	v_fmac_f32_e32 v98, v94, v181
	v_add_f32_e32 v2, v2, v3
	v_mul_f32_e32 v3, v86, v174
	v_add_f32_e32 v101, v97, v98
	ds_read2_b64 v[97:100], v1 offset0:117 offset1:118
	v_fma_f32 v3, v85, v173, -v3
	v_add_f32_e32 v2, v2, v3
	v_mul_f32_e32 v3, v88, v177
	s_waitcnt vmcnt(22)
	v_mul_f32_e32 v102, v95, v185
	v_fma_f32 v3, v87, v176, -v3
	v_fmac_f32_e32 v102, v96, v184
	v_add_f32_e32 v2, v2, v3
	v_mul_f32_e32 v3, v90, v179
	v_add_f32_e32 v105, v101, v102
	ds_read2_b64 v[101:104], v1 offset0:119 offset1:120
	v_fma_f32 v3, v89, v178, -v3
	s_waitcnt vmcnt(20) lgkmcnt(1)
	v_mul_f32_e32 v106, v97, v187
	v_add_f32_e32 v2, v2, v3
	v_mul_f32_e32 v3, v92, v180
	v_fmac_f32_e32 v106, v98, v186
	v_fma_f32 v3, v91, v183, -v3
	v_add_f32_e32 v105, v105, v106
	s_waitcnt vmcnt(19)
	v_mul_f32_e32 v106, v99, v188
	v_add_f32_e32 v2, v2, v3
	v_mul_f32_e32 v3, v94, v182
	s_waitcnt vmcnt(16)
	v_fmac_f32_e32 v106, v100, v191
	v_fma_f32 v3, v93, v181, -v3
	v_add_f32_e32 v105, v105, v106
	s_waitcnt lgkmcnt(0)
	v_mul_f32_e32 v106, v101, v190
	v_add_f32_e32 v2, v2, v3
	v_mul_f32_e32 v3, v96, v185
	v_fmac_f32_e32 v106, v102, v189
	v_fma_f32 v3, v95, v184, -v3
	v_add_f32_e32 v109, v105, v106
	ds_read2_b64 v[105:108], v1 offset0:121 offset1:122
	v_add_f32_e32 v2, v2, v3
	v_mul_f32_e32 v3, v98, v187
	v_fma_f32 v3, v97, v186, -v3
	s_waitcnt vmcnt(14)
	v_mul_f32_e32 v110, v103, v193
	v_add_f32_e32 v2, v2, v3
	v_mul_f32_e32 v3, v100, v188
	v_fmac_f32_e32 v110, v104, v192
	v_fma_f32 v3, v99, v191, -v3
	v_add_f32_e32 v113, v109, v110
	ds_read2_b64 v[109:112], v1 offset0:123 offset1:124
	v_add_f32_e32 v2, v2, v3
	v_mul_f32_e32 v3, v102, v190
	s_waitcnt vmcnt(12) lgkmcnt(1)
	v_mul_f32_e32 v114, v105, v195
	v_fma_f32 v3, v101, v189, -v3
	v_fmac_f32_e32 v114, v106, v194
	v_add_f32_e32 v2, v2, v3
	v_mul_f32_e32 v3, v104, v193
	v_add_f32_e32 v113, v113, v114
	s_waitcnt vmcnt(11)
	v_mul_f32_e32 v114, v107, v196
	v_fma_f32 v3, v103, v192, -v3
	s_waitcnt vmcnt(8)
	v_fmac_f32_e32 v114, v108, v199
	v_add_f32_e32 v2, v2, v3
	v_mul_f32_e32 v3, v106, v195
	v_add_f32_e32 v113, v113, v114
	s_waitcnt lgkmcnt(0)
	v_mul_f32_e32 v114, v109, v198
	v_fma_f32 v3, v105, v194, -v3
	v_fmac_f32_e32 v114, v110, v197
	v_add_f32_e32 v2, v2, v3
	v_mul_f32_e32 v3, v108, v196
	v_add_f32_e32 v117, v113, v114
	ds_read2_b64 v[113:116], v1 offset0:125 offset1:126
	v_fma_f32 v3, v107, v199, -v3
	v_add_f32_e32 v2, v2, v3
	v_mul_f32_e32 v3, v110, v198
	s_waitcnt vmcnt(6)
	v_mul_f32_e32 v118, v111, v201
	v_fma_f32 v3, v109, v197, -v3
	v_fmac_f32_e32 v118, v112, v200
	v_add_f32_e32 v2, v2, v3
	v_mul_f32_e32 v3, v112, v201
	v_add_f32_e32 v208, v117, v118
	ds_read_b64 v[117:118], v1 offset:1016
	v_fma_f32 v3, v111, v200, -v3
	v_add_f32_e32 v2, v2, v3
	s_waitcnt vmcnt(4) lgkmcnt(1)
	v_mul_f32_e32 v3, v114, v203
	v_mul_f32_e32 v209, v113, v203
	v_fma_f32 v3, v113, v202, -v3
	v_fmac_f32_e32 v209, v114, v202
	v_add_f32_e32 v2, v2, v3
	s_waitcnt vmcnt(3)
	v_mul_f32_e32 v3, v116, v204
	v_add_f32_e32 v208, v208, v209
	v_mul_f32_e32 v209, v115, v204
	s_waitcnt vmcnt(0)
	v_fma_f32 v3, v115, v207, -v3
	v_fmac_f32_e32 v209, v116, v207
	v_add_f32_e32 v2, v2, v3
	s_waitcnt lgkmcnt(0)
	v_mul_f32_e32 v3, v118, v206
	v_add_f32_e32 v208, v208, v209
	v_mul_f32_e32 v209, v117, v206
	v_fma_f32 v3, v117, v205, -v3
	v_fmac_f32_e32 v209, v118, v205
	v_add_f32_e32 v2, v2, v3
	v_add_f32_e32 v208, v208, v209
	v_sub_f32_e32 v2, v7, v2
	v_sub_f32_e32 v3, v8, v208
	buffer_store_dword v2, off, s[0:3], 0 offset:96
	buffer_store_dword v3, off, s[0:3], 0 offset:100
	s_and_saveexec_b64 s[4:5], vcc
	s_cbranch_execz .LBB63_375
; %bb.374:
	buffer_load_dword v2, off, s[0:3], 0 offset:88
	buffer_load_dword v3, off, s[0:3], 0 offset:92
	s_waitcnt vmcnt(0)
	ds_write_b64 v249, v[2:3]
	buffer_store_dword v1, off, s[0:3], 0 offset:88
	buffer_store_dword v1, off, s[0:3], 0 offset:92
.LBB63_375:
	s_or_b64 exec, exec, s[4:5]
	s_waitcnt lgkmcnt(0)
	; wave barrier
	buffer_load_dword v10, off, s[0:3], 0 offset:100
	buffer_load_dword v7, off, s[0:3], 0 offset:108
	;; [unrolled: 1-line block ×40, first 2 shown]
	ds_read_b128 v[25:28], v1 offset:608
	ds_read_b128 v[29:32], v1 offset:624
	;; [unrolled: 1-line block ×6, first 2 shown]
	buffer_load_dword v146, off, s[0:3], 0 offset:248
	buffer_load_dword v147, off, s[0:3], 0 offset:252
	;; [unrolled: 1-line block ×12, first 2 shown]
	v_cmp_lt_u32_e32 vcc, 10, v0
	s_waitcnt vmcnt(51) lgkmcnt(5)
	v_mul_f32_e32 v49, v25, v10
	s_waitcnt vmcnt(50)
	v_mul_f32_e32 v50, v27, v7
	s_waitcnt vmcnt(49) lgkmcnt(4)
	v_mul_f32_e32 v51, v29, v6
	s_waitcnt vmcnt(48)
	v_mul_f32_e32 v52, v31, v5
	;; [unrolled: 4-line block ×5, first 2 shown]
	s_waitcnt vmcnt(41) lgkmcnt(0)
	v_mul_f32_e32 v59, v45, v14
	s_waitcnt vmcnt(40)
	v_fmac_f32_e32 v51, v30, v21
	s_waitcnt vmcnt(39)
	v_fmac_f32_e32 v50, v28, v24
	;; [unrolled: 2-line block ×3, first 2 shown]
	v_add_f32_e32 v49, 0, v49
	v_add_f32_e32 v49, v49, v50
	;; [unrolled: 1-line block ×3, first 2 shown]
	s_waitcnt vmcnt(34)
	v_fmac_f32_e32 v52, v32, v130
	v_fmac_f32_e32 v53, v34, v23
	v_add_f32_e32 v49, v49, v52
	v_fmac_f32_e32 v54, v36, v20
	v_add_f32_e32 v49, v49, v53
	;; [unrolled: 2-line block ×3, first 2 shown]
	s_waitcnt vmcnt(30)
	v_fmac_f32_e32 v56, v40, v22
	v_add_f32_e32 v49, v49, v55
	v_fmac_f32_e32 v57, v42, v19
	v_add_f32_e32 v49, v49, v56
	;; [unrolled: 2-line block ×4, first 2 shown]
	v_add_f32_e32 v53, v49, v59
	ds_read_b128 v[49:52], v1 offset:704
	s_waitcnt vmcnt(29)
	v_mul_f32_e32 v54, v47, v18
	s_waitcnt vmcnt(25)
	v_fmac_f32_e32 v54, v48, v134
	v_add_f32_e32 v57, v53, v54
	ds_read_b128 v[53:56], v1 offset:720
	s_waitcnt vmcnt(24) lgkmcnt(1)
	v_mul_f32_e32 v58, v49, v135
	v_fmac_f32_e32 v58, v50, v133
	v_add_f32_e32 v57, v57, v58
	s_waitcnt vmcnt(23)
	v_mul_f32_e32 v58, v51, v136
	buffer_load_dword v158, off, s[0:3], 0 offset:296
	buffer_load_dword v159, off, s[0:3], 0 offset:300
	v_fmac_f32_e32 v58, v52, v132
	v_add_f32_e32 v57, v57, v58
	s_waitcnt vmcnt(24) lgkmcnt(0)
	v_mul_f32_e32 v58, v53, v137
	buffer_load_dword v160, off, s[0:3], 0 offset:304
	buffer_load_dword v161, off, s[0:3], 0 offset:308
	v_fmac_f32_e32 v58, v54, v131
	v_add_f32_e32 v61, v57, v58
	ds_read_b128 v[57:60], v1 offset:736
	buffer_load_dword v162, off, s[0:3], 0 offset:312
	buffer_load_dword v163, off, s[0:3], 0 offset:316
	s_waitcnt vmcnt(27)
	v_mul_f32_e32 v62, v55, v138
	s_waitcnt vmcnt(21)
	v_fmac_f32_e32 v62, v56, v144
	v_add_f32_e32 v65, v61, v62
	ds_read_b128 v[61:64], v1 offset:752
	s_waitcnt vmcnt(20) lgkmcnt(1)
	v_mul_f32_e32 v66, v57, v145
	v_fmac_f32_e32 v66, v58, v143
	buffer_load_dword v164, off, s[0:3], 0 offset:320
	buffer_load_dword v165, off, s[0:3], 0 offset:324
	;; [unrolled: 1-line block ×6, first 2 shown]
	v_add_f32_e32 v65, v65, v66
	v_mul_f32_e32 v66, v59, v140
	v_fmac_f32_e32 v66, v60, v139
	v_add_f32_e32 v65, v65, v66
	s_waitcnt lgkmcnt(0)
	v_mul_f32_e32 v66, v61, v142
	v_fmac_f32_e32 v66, v62, v141
	v_add_f32_e32 v69, v65, v66
	ds_read_b128 v[65:68], v1 offset:768
	buffer_load_dword v170, off, s[0:3], 0 offset:344
	buffer_load_dword v171, off, s[0:3], 0 offset:348
	s_waitcnt vmcnt(24)
	v_mul_f32_e32 v70, v63, v147
	v_fmac_f32_e32 v70, v64, v146
	v_add_f32_e32 v73, v69, v70
	ds_read_b128 v[69:72], v1 offset:784
	buffer_load_dword v172, off, s[0:3], 0 offset:352
	buffer_load_dword v173, off, s[0:3], 0 offset:356
	;; [unrolled: 1-line block ×14, first 2 shown]
	s_waitcnt vmcnt(36) lgkmcnt(1)
	v_mul_f32_e32 v74, v65, v149
	buffer_load_dword v186, off, s[0:3], 0 offset:408
	buffer_load_dword v187, off, s[0:3], 0 offset:412
	v_fmac_f32_e32 v74, v66, v148
	v_add_f32_e32 v73, v73, v74
	s_waitcnt vmcnt(36)
	v_mul_f32_e32 v74, v67, v151
	v_fmac_f32_e32 v74, v68, v150
	v_add_f32_e32 v73, v73, v74
	s_waitcnt vmcnt(34) lgkmcnt(0)
	v_mul_f32_e32 v74, v69, v153
	v_fmac_f32_e32 v74, v70, v152
	v_add_f32_e32 v77, v73, v74
	ds_read_b128 v[73:76], v1 offset:800
	buffer_load_dword v188, off, s[0:3], 0 offset:416
	buffer_load_dword v189, off, s[0:3], 0 offset:420
	;; [unrolled: 1-line block ×6, first 2 shown]
	s_waitcnt vmcnt(38)
	v_mul_f32_e32 v78, v71, v155
	v_fmac_f32_e32 v78, v72, v154
	v_add_f32_e32 v81, v77, v78
	ds_read_b128 v[77:80], v1 offset:816
	buffer_load_dword v194, off, s[0:3], 0 offset:440
	buffer_load_dword v195, off, s[0:3], 0 offset:444
	v_mul_f32_e32 v10, v26, v10
	v_fma_f32 v10, v25, v129, -v10
	v_mul_f32_e32 v7, v28, v7
	buffer_load_dword v196, off, s[0:3], 0 offset:448
	buffer_load_dword v197, off, s[0:3], 0 offset:452
	;; [unrolled: 1-line block ×6, first 2 shown]
	v_add_f32_e32 v10, 0, v10
	v_fma_f32 v7, v27, v24, -v7
	v_mul_f32_e32 v6, v30, v6
	v_add_f32_e32 v7, v10, v7
	v_fma_f32 v6, v29, v21, -v6
	v_mul_f32_e32 v5, v32, v5
	;; [unrolled: 3-line block ×5, first 2 shown]
	buffer_load_dword v202, off, s[0:3], 0 offset:472
	buffer_load_dword v203, off, s[0:3], 0 offset:476
	v_add_f32_e32 v3, v4, v3
	v_fma_f32 v2, v37, v17, -v2
	v_add_f32_e32 v2, v3, v2
	v_mul_f32_e32 v3, v40, v11
	s_waitcnt vmcnt(46) lgkmcnt(1)
	v_mul_f32_e32 v82, v73, v157
	v_fma_f32 v3, v39, v22, -v3
	v_fmac_f32_e32 v82, v74, v156
	v_add_f32_e32 v2, v2, v3
	v_mul_f32_e32 v3, v42, v12
	v_add_f32_e32 v81, v81, v82
	v_fma_f32 v3, v41, v19, -v3
	s_waitcnt vmcnt(44)
	v_mul_f32_e32 v82, v75, v159
	v_fmac_f32_e32 v82, v76, v158
	v_add_f32_e32 v2, v2, v3
	v_mul_f32_e32 v3, v44, v13
	v_add_f32_e32 v81, v81, v82
	s_waitcnt vmcnt(42) lgkmcnt(0)
	v_mul_f32_e32 v82, v77, v161
	buffer_load_dword v204, off, s[0:3], 0 offset:480
	buffer_load_dword v205, off, s[0:3], 0 offset:484
	;; [unrolled: 1-line block ×6, first 2 shown]
	v_fma_f32 v3, v43, v16, -v3
	v_fmac_f32_e32 v82, v78, v160
	s_waitcnt vmcnt(46)
	v_mul_f32_e32 v86, v79, v163
	v_add_f32_e32 v2, v2, v3
	v_mul_f32_e32 v3, v46, v14
	v_add_f32_e32 v85, v81, v82
	v_fmac_f32_e32 v86, v80, v162
	v_fma_f32 v3, v45, v15, -v3
	ds_read_b128 v[81:84], v1 offset:832
	v_add_f32_e32 v89, v85, v86
	ds_read_b128 v[85:88], v1 offset:848
	buffer_load_dword v210, off, s[0:3], 0 offset:504
	buffer_load_dword v211, off, s[0:3], 0 offset:508
	v_add_f32_e32 v2, v2, v3
	v_mul_f32_e32 v3, v48, v18
	v_fma_f32 v3, v47, v134, -v3
	v_add_f32_e32 v2, v2, v3
	v_mul_f32_e32 v3, v50, v135
	v_fma_f32 v3, v49, v133, -v3
	;; [unrolled: 3-line block ×9, first 2 shown]
	v_add_f32_e32 v2, v2, v3
	v_mul_f32_e32 v3, v66, v149
	s_waitcnt vmcnt(46) lgkmcnt(1)
	v_mul_f32_e32 v90, v81, v165
	v_fma_f32 v3, v65, v148, -v3
	v_fmac_f32_e32 v90, v82, v164
	v_add_f32_e32 v2, v2, v3
	v_mul_f32_e32 v3, v68, v151
	v_add_f32_e32 v89, v89, v90
	s_waitcnt vmcnt(45)
	v_mul_f32_e32 v90, v83, v166
	v_fma_f32 v3, v67, v150, -v3
	s_waitcnt vmcnt(42)
	v_fmac_f32_e32 v90, v84, v169
	v_add_f32_e32 v2, v2, v3
	v_mul_f32_e32 v3, v70, v153
	v_add_f32_e32 v89, v89, v90
	s_waitcnt lgkmcnt(0)
	v_mul_f32_e32 v90, v85, v168
	v_fma_f32 v3, v69, v152, -v3
	v_fmac_f32_e32 v90, v86, v167
	v_add_f32_e32 v2, v2, v3
	v_mul_f32_e32 v3, v72, v155
	v_add_f32_e32 v93, v89, v90
	ds_read_b128 v[89:92], v1 offset:864
	v_fma_f32 v3, v71, v154, -v3
	v_add_f32_e32 v2, v2, v3
	v_mul_f32_e32 v3, v74, v157
	s_waitcnt vmcnt(40)
	v_mul_f32_e32 v94, v87, v171
	v_fma_f32 v3, v73, v156, -v3
	v_fmac_f32_e32 v94, v88, v170
	v_add_f32_e32 v2, v2, v3
	v_mul_f32_e32 v3, v76, v159
	v_add_f32_e32 v97, v93, v94
	ds_read_b128 v[93:96], v1 offset:880
	v_fma_f32 v3, v75, v158, -v3
	s_waitcnt vmcnt(38) lgkmcnt(1)
	v_mul_f32_e32 v98, v89, v173
	v_add_f32_e32 v2, v2, v3
	v_mul_f32_e32 v3, v78, v161
	v_fmac_f32_e32 v98, v90, v172
	v_fma_f32 v3, v77, v160, -v3
	v_add_f32_e32 v97, v97, v98
	s_waitcnt vmcnt(37)
	v_mul_f32_e32 v98, v91, v174
	v_add_f32_e32 v2, v2, v3
	v_mul_f32_e32 v3, v80, v163
	s_waitcnt vmcnt(34)
	v_fmac_f32_e32 v98, v92, v177
	v_fma_f32 v3, v79, v162, -v3
	v_add_f32_e32 v97, v97, v98
	s_waitcnt lgkmcnt(0)
	v_mul_f32_e32 v98, v93, v176
	v_add_f32_e32 v2, v2, v3
	v_mul_f32_e32 v3, v82, v165
	v_fmac_f32_e32 v98, v94, v175
	v_fma_f32 v3, v81, v164, -v3
	v_add_f32_e32 v101, v97, v98
	ds_read_b128 v[97:100], v1 offset:896
	v_add_f32_e32 v2, v2, v3
	v_mul_f32_e32 v3, v84, v166
	v_fma_f32 v3, v83, v169, -v3
	s_waitcnt vmcnt(32)
	v_mul_f32_e32 v102, v95, v179
	v_add_f32_e32 v2, v2, v3
	v_mul_f32_e32 v3, v86, v168
	v_fmac_f32_e32 v102, v96, v178
	v_fma_f32 v3, v85, v167, -v3
	v_add_f32_e32 v105, v101, v102
	ds_read_b128 v[101:104], v1 offset:912
	v_add_f32_e32 v2, v2, v3
	v_mul_f32_e32 v3, v88, v171
	s_waitcnt vmcnt(30) lgkmcnt(1)
	v_mul_f32_e32 v106, v97, v181
	v_fma_f32 v3, v87, v170, -v3
	v_fmac_f32_e32 v106, v98, v180
	v_add_f32_e32 v2, v2, v3
	v_mul_f32_e32 v3, v90, v173
	v_add_f32_e32 v105, v105, v106
	s_waitcnt vmcnt(29)
	v_mul_f32_e32 v106, v99, v182
	v_fma_f32 v3, v89, v172, -v3
	s_waitcnt vmcnt(26)
	v_fmac_f32_e32 v106, v100, v185
	v_add_f32_e32 v2, v2, v3
	v_mul_f32_e32 v3, v92, v174
	v_add_f32_e32 v105, v105, v106
	s_waitcnt lgkmcnt(0)
	v_mul_f32_e32 v106, v101, v184
	v_fma_f32 v3, v91, v177, -v3
	v_fmac_f32_e32 v106, v102, v183
	v_add_f32_e32 v2, v2, v3
	v_mul_f32_e32 v3, v94, v176
	v_add_f32_e32 v109, v105, v106
	ds_read_b128 v[105:108], v1 offset:928
	v_fma_f32 v3, v93, v175, -v3
	v_add_f32_e32 v2, v2, v3
	v_mul_f32_e32 v3, v96, v179
	s_waitcnt vmcnt(24)
	v_mul_f32_e32 v110, v103, v187
	v_fma_f32 v3, v95, v178, -v3
	v_fmac_f32_e32 v110, v104, v186
	v_add_f32_e32 v2, v2, v3
	v_mul_f32_e32 v3, v98, v181
	v_add_f32_e32 v113, v109, v110
	ds_read_b128 v[109:112], v1 offset:944
	v_fma_f32 v3, v97, v180, -v3
	s_waitcnt vmcnt(22) lgkmcnt(1)
	v_mul_f32_e32 v114, v105, v189
	v_add_f32_e32 v2, v2, v3
	v_mul_f32_e32 v3, v100, v182
	v_fmac_f32_e32 v114, v106, v188
	v_fma_f32 v3, v99, v185, -v3
	v_add_f32_e32 v113, v113, v114
	s_waitcnt vmcnt(21)
	v_mul_f32_e32 v114, v107, v190
	v_add_f32_e32 v2, v2, v3
	v_mul_f32_e32 v3, v102, v184
	s_waitcnt vmcnt(18)
	v_fmac_f32_e32 v114, v108, v193
	v_fma_f32 v3, v101, v183, -v3
	v_add_f32_e32 v113, v113, v114
	s_waitcnt lgkmcnt(0)
	v_mul_f32_e32 v114, v109, v192
	v_add_f32_e32 v2, v2, v3
	v_mul_f32_e32 v3, v104, v187
	v_fmac_f32_e32 v114, v110, v191
	v_fma_f32 v3, v103, v186, -v3
	v_add_f32_e32 v117, v113, v114
	ds_read_b128 v[113:116], v1 offset:960
	v_add_f32_e32 v2, v2, v3
	v_mul_f32_e32 v3, v106, v189
	v_fma_f32 v3, v105, v188, -v3
	s_waitcnt vmcnt(16)
	v_mul_f32_e32 v118, v111, v195
	v_add_f32_e32 v2, v2, v3
	v_mul_f32_e32 v3, v108, v190
	v_fmac_f32_e32 v118, v112, v194
	v_fma_f32 v3, v107, v193, -v3
	v_add_f32_e32 v121, v117, v118
	ds_read_b128 v[117:120], v1 offset:976
	v_add_f32_e32 v2, v2, v3
	v_mul_f32_e32 v3, v110, v192
	s_waitcnt vmcnt(14) lgkmcnt(1)
	v_mul_f32_e32 v122, v113, v197
	v_fma_f32 v3, v109, v191, -v3
	v_fmac_f32_e32 v122, v114, v196
	v_add_f32_e32 v2, v2, v3
	v_mul_f32_e32 v3, v112, v195
	v_add_f32_e32 v121, v121, v122
	s_waitcnt vmcnt(13)
	v_mul_f32_e32 v122, v115, v198
	v_fma_f32 v3, v111, v194, -v3
	s_waitcnt vmcnt(10)
	v_fmac_f32_e32 v122, v116, v201
	v_add_f32_e32 v2, v2, v3
	v_mul_f32_e32 v3, v114, v197
	v_add_f32_e32 v121, v121, v122
	s_waitcnt lgkmcnt(0)
	v_mul_f32_e32 v122, v117, v200
	v_fma_f32 v3, v113, v196, -v3
	v_fmac_f32_e32 v122, v118, v199
	v_add_f32_e32 v2, v2, v3
	v_mul_f32_e32 v3, v116, v198
	v_add_f32_e32 v125, v121, v122
	ds_read_b128 v[121:124], v1 offset:992
	v_fma_f32 v3, v115, v201, -v3
	v_add_f32_e32 v2, v2, v3
	v_mul_f32_e32 v3, v118, v200
	s_waitcnt vmcnt(8)
	v_mul_f32_e32 v126, v119, v203
	v_fma_f32 v3, v117, v199, -v3
	v_fmac_f32_e32 v126, v120, v202
	v_add_f32_e32 v2, v2, v3
	v_mul_f32_e32 v3, v120, v203
	v_add_f32_e32 v212, v125, v126
	ds_read_b128 v[125:128], v1 offset:1008
	v_fma_f32 v3, v119, v202, -v3
	v_add_f32_e32 v2, v2, v3
	s_waitcnt vmcnt(6) lgkmcnt(1)
	v_mul_f32_e32 v3, v122, v205
	v_mul_f32_e32 v1, v121, v205
	v_fma_f32 v3, v121, v204, -v3
	v_fmac_f32_e32 v1, v122, v204
	v_add_f32_e32 v2, v2, v3
	s_waitcnt vmcnt(5)
	v_mul_f32_e32 v3, v124, v206
	v_add_f32_e32 v1, v212, v1
	v_mul_f32_e32 v212, v123, v206
	s_waitcnt vmcnt(2)
	v_fma_f32 v3, v123, v209, -v3
	v_fmac_f32_e32 v212, v124, v209
	v_add_f32_e32 v2, v2, v3
	s_waitcnt lgkmcnt(0)
	v_mul_f32_e32 v3, v126, v208
	v_add_f32_e32 v1, v1, v212
	v_mul_f32_e32 v212, v125, v208
	v_fma_f32 v3, v125, v207, -v3
	v_fmac_f32_e32 v212, v126, v207
	v_add_f32_e32 v2, v2, v3
	s_waitcnt vmcnt(0)
	v_mul_f32_e32 v3, v128, v211
	v_add_f32_e32 v1, v1, v212
	v_mul_f32_e32 v212, v127, v211
	v_fma_f32 v3, v127, v210, -v3
	v_fmac_f32_e32 v212, v128, v210
	v_add_f32_e32 v2, v2, v3
	v_add_f32_e32 v1, v1, v212
	v_sub_f32_e32 v2, v8, v2
	v_sub_f32_e32 v1, v9, v1
	buffer_store_dword v2, off, s[0:3], 0 offset:88
	buffer_store_dword v1, off, s[0:3], 0 offset:92
	s_and_saveexec_b64 s[4:5], vcc
	s_cbranch_execz .LBB63_377
; %bb.376:
	buffer_load_dword v1, off, s[0:3], 0 offset:80
	buffer_load_dword v2, off, s[0:3], 0 offset:84
	v_mov_b32_e32 v3, 0
	buffer_store_dword v3, off, s[0:3], 0 offset:80
	buffer_store_dword v3, off, s[0:3], 0 offset:84
	s_waitcnt vmcnt(2)
	ds_write_b64 v249, v[1:2]
.LBB63_377:
	s_or_b64 exec, exec, s[4:5]
	s_waitcnt lgkmcnt(0)
	; wave barrier
	buffer_load_dword v10, off, s[0:3], 0 offset:92
	buffer_load_dword v9, off, s[0:3], 0 offset:100
	;; [unrolled: 1-line block ×51, first 2 shown]
	v_mov_b32_e32 v1, 0
	ds_read2_b64 v[38:41], v1 offset0:75 offset1:76
	ds_read2_b64 v[42:45], v1 offset0:77 offset1:78
	;; [unrolled: 1-line block ×6, first 2 shown]
	v_cmp_lt_u32_e32 vcc, 9, v0
	s_waitcnt vmcnt(50) lgkmcnt(5)
	v_mul_f32_e32 v62, v38, v10
	s_waitcnt vmcnt(49)
	v_mul_f32_e32 v63, v40, v9
	s_waitcnt vmcnt(48) lgkmcnt(4)
	v_mul_f32_e32 v64, v42, v8
	s_waitcnt vmcnt(47)
	v_mul_f32_e32 v65, v44, v7
	s_waitcnt vmcnt(46) lgkmcnt(3)
	v_mul_f32_e32 v66, v46, v6
	s_waitcnt vmcnt(45)
	v_mul_f32_e32 v67, v48, v5
	s_waitcnt vmcnt(44) lgkmcnt(2)
	v_mul_f32_e32 v68, v50, v4
	s_waitcnt vmcnt(43)
	v_mul_f32_e32 v69, v52, v11
	s_waitcnt vmcnt(42) lgkmcnt(1)
	v_mul_f32_e32 v70, v54, v12
	s_waitcnt vmcnt(41)
	v_mul_f32_e32 v71, v56, v13
	s_waitcnt vmcnt(40) lgkmcnt(0)
	v_mul_f32_e32 v72, v58, v14
	s_waitcnt vmcnt(39)
	v_fmac_f32_e32 v64, v43, v21
	s_waitcnt vmcnt(38)
	v_fmac_f32_e32 v63, v41, v24
	;; [unrolled: 2-line block ×3, first 2 shown]
	v_add_f32_e32 v62, 0, v62
	v_add_f32_e32 v62, v62, v63
	;; [unrolled: 1-line block ×3, first 2 shown]
	s_waitcnt vmcnt(33)
	v_fmac_f32_e32 v65, v45, v25
	v_fmac_f32_e32 v66, v47, v23
	v_add_f32_e32 v62, v62, v65
	v_fmac_f32_e32 v67, v49, v20
	v_add_f32_e32 v62, v62, v66
	;; [unrolled: 2-line block ×3, first 2 shown]
	s_waitcnt vmcnt(29)
	v_fmac_f32_e32 v69, v53, v22
	v_add_f32_e32 v62, v62, v68
	v_fmac_f32_e32 v70, v55, v19
	v_add_f32_e32 v62, v62, v69
	;; [unrolled: 2-line block ×4, first 2 shown]
	s_waitcnt vmcnt(28)
	v_mul_f32_e32 v63, v60, v18
	v_add_f32_e32 v62, v62, v72
	s_waitcnt vmcnt(24)
	v_fmac_f32_e32 v63, v61, v33
	v_add_f32_e32 v70, v62, v63
	ds_read2_b64 v[62:65], v1 offset0:87 offset1:88
	ds_read2_b64 v[66:69], v1 offset0:89 offset1:90
	buffer_load_dword v159, off, s[0:3], 0 offset:280
	buffer_load_dword v160, off, s[0:3], 0 offset:288
	;; [unrolled: 1-line block ×5, first 2 shown]
	v_mul_f32_e32 v10, v39, v10
	s_waitcnt vmcnt(28) lgkmcnt(1)
	v_mul_f32_e32 v71, v62, v32
	v_fmac_f32_e32 v71, v63, v30
	v_add_f32_e32 v70, v70, v71
	s_waitcnt vmcnt(27)
	v_mul_f32_e32 v71, v64, v31
	v_fmac_f32_e32 v71, v65, v28
	v_add_f32_e32 v70, v70, v71
	s_waitcnt vmcnt(26) lgkmcnt(0)
	v_mul_f32_e32 v71, v66, v29
	v_fmac_f32_e32 v71, v67, v27
	v_add_f32_e32 v74, v70, v71
	ds_read2_b64 v[70:73], v1 offset0:91 offset1:92
	buffer_load_dword v164, off, s[0:3], 0 offset:304
	buffer_load_dword v165, off, s[0:3], 0 offset:308
	s_waitcnt vmcnt(27)
	v_mul_f32_e32 v75, v68, v34
	s_waitcnt vmcnt(20)
	v_fmac_f32_e32 v75, v69, v147
	v_add_f32_e32 v78, v74, v75
	ds_read2_b64 v[74:77], v1 offset0:93 offset1:94
	s_waitcnt lgkmcnt(1)
	v_mul_f32_e32 v79, v70, v36
	v_fmac_f32_e32 v79, v71, v35
	v_add_f32_e32 v78, v78, v79
	v_mul_f32_e32 v79, v72, v144
	buffer_load_dword v166, off, s[0:3], 0 offset:312
	buffer_load_dword v167, off, s[0:3], 0 offset:316
	v_fmac_f32_e32 v79, v73, v37
	v_add_f32_e32 v78, v78, v79
	s_waitcnt lgkmcnt(0)
	v_mul_f32_e32 v79, v74, v146
	v_fmac_f32_e32 v79, v75, v145
	v_add_f32_e32 v82, v78, v79
	ds_read2_b64 v[78:81], v1 offset0:95 offset1:96
	buffer_load_dword v168, off, s[0:3], 0 offset:324
	buffer_load_dword v169, off, s[0:3], 0 offset:328
	buffer_load_dword v170, off, s[0:3], 0 offset:332
	buffer_load_dword v171, off, s[0:3], 0 offset:320
	s_waitcnt vmcnt(22)
	v_mul_f32_e32 v83, v76, v149
	v_fmac_f32_e32 v83, v77, v148
	v_add_f32_e32 v86, v82, v83
	ds_read2_b64 v[82:85], v1 offset0:97 offset1:98
	buffer_load_dword v172, off, s[0:3], 0 offset:336
	buffer_load_dword v173, off, s[0:3], 0 offset:340
	;; [unrolled: 1-line block ×10, first 2 shown]
	s_waitcnt vmcnt(30) lgkmcnt(1)
	v_mul_f32_e32 v87, v78, v151
	v_fmac_f32_e32 v87, v79, v150
	buffer_load_dword v182, off, s[0:3], 0 offset:376
	buffer_load_dword v183, off, s[0:3], 0 offset:380
	;; [unrolled: 1-line block ×6, first 2 shown]
	v_add_f32_e32 v86, v86, v87
	s_waitcnt vmcnt(34)
	v_mul_f32_e32 v87, v80, v153
	v_fmac_f32_e32 v87, v81, v152
	v_add_f32_e32 v86, v86, v87
	s_waitcnt vmcnt(32) lgkmcnt(0)
	v_mul_f32_e32 v87, v82, v155
	v_fmac_f32_e32 v87, v83, v154
	v_add_f32_e32 v90, v86, v87
	ds_read2_b64 v[86:89], v1 offset0:99 offset1:100
	buffer_load_dword v188, off, s[0:3], 0 offset:400
	buffer_load_dword v189, off, s[0:3], 0 offset:404
	s_waitcnt vmcnt(32)
	v_mul_f32_e32 v91, v84, v157
	v_fmac_f32_e32 v91, v85, v156
	v_add_f32_e32 v94, v90, v91
	ds_read2_b64 v[90:93], v1 offset0:101 offset1:102
	buffer_load_dword v190, off, s[0:3], 0 offset:408
	buffer_load_dword v191, off, s[0:3], 0 offset:412
	buffer_load_dword v192, off, s[0:3], 0 offset:420
	buffer_load_dword v193, off, s[0:3], 0 offset:424
	buffer_load_dword v194, off, s[0:3], 0 offset:428
	buffer_load_dword v195, off, s[0:3], 0 offset:416
	buffer_load_dword v196, off, s[0:3], 0 offset:432
	buffer_load_dword v197, off, s[0:3], 0 offset:436
	buffer_load_dword v198, off, s[0:3], 0 offset:440
	buffer_load_dword v199, off, s[0:3], 0 offset:444
	buffer_load_dword v200, off, s[0:3], 0 offset:452
	buffer_load_dword v201, off, s[0:3], 0 offset:456
	buffer_load_dword v202, off, s[0:3], 0 offset:460
	buffer_load_dword v203, off, s[0:3], 0 offset:448
	v_fma_f32 v10, v38, v26, -v10
	v_mul_f32_e32 v9, v41, v9
	v_add_f32_e32 v10, 0, v10
	v_fma_f32 v9, v40, v24, -v9
	v_mul_f32_e32 v8, v43, v8
	v_add_f32_e32 v9, v10, v9
	;; [unrolled: 3-line block ×4, first 2 shown]
	v_fma_f32 v6, v46, v23, -v6
	v_mul_f32_e32 v5, v49, v5
	s_waitcnt vmcnt(45) lgkmcnt(1)
	v_mul_f32_e32 v95, v86, v158
	v_add_f32_e32 v6, v7, v6
	v_fma_f32 v5, v48, v20, -v5
	v_mul_f32_e32 v4, v51, v4
	buffer_load_dword v204, off, s[0:3], 0 offset:464
	buffer_load_dword v205, off, s[0:3], 0 offset:468
	v_add_f32_e32 v5, v6, v5
	v_fma_f32 v4, v50, v17, -v4
	v_add_f32_e32 v4, v5, v4
	s_waitcnt vmcnt(46)
	v_fmac_f32_e32 v95, v87, v159
	v_add_f32_e32 v94, v94, v95
	s_waitcnt vmcnt(44)
	v_mul_f32_e32 v95, v88, v161
	v_mul_f32_e32 v5, v53, v11
	v_fmac_f32_e32 v95, v89, v160
	v_fma_f32 v5, v52, v22, -v5
	v_add_f32_e32 v94, v94, v95
	s_waitcnt vmcnt(42) lgkmcnt(0)
	v_mul_f32_e32 v95, v90, v163
	v_add_f32_e32 v4, v4, v5
	v_mul_f32_e32 v5, v55, v12
	v_fmac_f32_e32 v95, v91, v162
	v_fma_f32 v5, v54, v19, -v5
	v_add_f32_e32 v98, v94, v95
	ds_read2_b64 v[94:97], v1 offset0:103 offset1:104
	buffer_load_dword v206, off, s[0:3], 0 offset:472
	buffer_load_dword v207, off, s[0:3], 0 offset:476
	;; [unrolled: 1-line block ×6, first 2 shown]
	v_add_f32_e32 v4, v4, v5
	v_mul_f32_e32 v5, v57, v13
	v_fma_f32 v5, v56, v16, -v5
	v_add_f32_e32 v4, v4, v5
	v_mul_f32_e32 v5, v59, v14
	s_waitcnt vmcnt(46)
	v_mul_f32_e32 v99, v92, v165
	v_fma_f32 v5, v58, v15, -v5
	v_fmac_f32_e32 v99, v93, v164
	v_add_f32_e32 v4, v4, v5
	v_mul_f32_e32 v5, v61, v18
	v_add_f32_e32 v102, v98, v99
	ds_read2_b64 v[98:101], v1 offset0:105 offset1:106
	buffer_load_dword v212, off, s[0:3], 0 offset:500
	buffer_load_dword v213, off, s[0:3], 0 offset:504
	;; [unrolled: 1-line block ×4, first 2 shown]
	v_fma_f32 v5, v60, v33, -v5
	v_add_f32_e32 v4, v4, v5
	v_mul_f32_e32 v5, v63, v32
	v_fma_f32 v5, v62, v30, -v5
	v_add_f32_e32 v4, v4, v5
	v_mul_f32_e32 v5, v65, v31
	;; [unrolled: 3-line block ×8, first 2 shown]
	v_fma_f32 v5, v76, v148, -v5
	s_waitcnt vmcnt(48) lgkmcnt(1)
	v_mul_f32_e32 v103, v94, v167
	v_add_f32_e32 v4, v4, v5
	v_mul_f32_e32 v5, v79, v151
	v_fmac_f32_e32 v103, v95, v166
	v_fma_f32 v5, v78, v150, -v5
	v_add_f32_e32 v102, v102, v103
	s_waitcnt vmcnt(47)
	v_mul_f32_e32 v103, v96, v168
	v_add_f32_e32 v4, v4, v5
	v_mul_f32_e32 v5, v81, v153
	s_waitcnt vmcnt(44)
	v_fmac_f32_e32 v103, v97, v171
	v_fma_f32 v5, v80, v152, -v5
	v_add_f32_e32 v102, v102, v103
	s_waitcnt lgkmcnt(0)
	v_mul_f32_e32 v103, v98, v170
	v_add_f32_e32 v4, v4, v5
	v_mul_f32_e32 v5, v83, v155
	v_fmac_f32_e32 v103, v99, v169
	v_fma_f32 v5, v82, v154, -v5
	v_add_f32_e32 v106, v102, v103
	ds_read2_b64 v[102:105], v1 offset0:107 offset1:108
	v_add_f32_e32 v4, v4, v5
	v_mul_f32_e32 v5, v85, v157
	v_fma_f32 v5, v84, v156, -v5
	s_waitcnt vmcnt(42)
	v_mul_f32_e32 v107, v100, v173
	v_add_f32_e32 v4, v4, v5
	v_mul_f32_e32 v5, v87, v158
	v_fmac_f32_e32 v107, v101, v172
	v_fma_f32 v5, v86, v159, -v5
	v_add_f32_e32 v110, v106, v107
	ds_read2_b64 v[106:109], v1 offset0:109 offset1:110
	v_add_f32_e32 v4, v4, v5
	v_mul_f32_e32 v5, v89, v161
	s_waitcnt vmcnt(40) lgkmcnt(1)
	v_mul_f32_e32 v111, v102, v175
	v_fma_f32 v5, v88, v160, -v5
	v_fmac_f32_e32 v111, v103, v174
	v_add_f32_e32 v4, v4, v5
	v_mul_f32_e32 v5, v91, v163
	v_add_f32_e32 v110, v110, v111
	s_waitcnt vmcnt(39)
	v_mul_f32_e32 v111, v104, v176
	v_fma_f32 v5, v90, v162, -v5
	s_waitcnt vmcnt(36)
	v_fmac_f32_e32 v111, v105, v179
	v_add_f32_e32 v4, v4, v5
	v_mul_f32_e32 v5, v93, v165
	v_add_f32_e32 v110, v110, v111
	s_waitcnt lgkmcnt(0)
	v_mul_f32_e32 v111, v106, v178
	v_fma_f32 v5, v92, v164, -v5
	v_fmac_f32_e32 v111, v107, v177
	v_add_f32_e32 v4, v4, v5
	v_mul_f32_e32 v5, v95, v167
	v_add_f32_e32 v114, v110, v111
	ds_read2_b64 v[110:113], v1 offset0:111 offset1:112
	v_fma_f32 v5, v94, v166, -v5
	v_add_f32_e32 v4, v4, v5
	v_mul_f32_e32 v5, v97, v168
	s_waitcnt vmcnt(34)
	v_mul_f32_e32 v115, v108, v181
	v_fma_f32 v5, v96, v171, -v5
	v_fmac_f32_e32 v115, v109, v180
	v_add_f32_e32 v4, v4, v5
	v_mul_f32_e32 v5, v99, v170
	v_add_f32_e32 v118, v114, v115
	ds_read2_b64 v[114:117], v1 offset0:113 offset1:114
	v_fma_f32 v5, v98, v169, -v5
	s_waitcnt vmcnt(32) lgkmcnt(1)
	v_mul_f32_e32 v119, v110, v183
	v_add_f32_e32 v4, v4, v5
	v_mul_f32_e32 v5, v101, v173
	v_fmac_f32_e32 v119, v111, v182
	v_fma_f32 v5, v100, v172, -v5
	v_add_f32_e32 v118, v118, v119
	s_waitcnt vmcnt(31)
	v_mul_f32_e32 v119, v112, v184
	v_add_f32_e32 v4, v4, v5
	v_mul_f32_e32 v5, v103, v175
	s_waitcnt vmcnt(28)
	v_fmac_f32_e32 v119, v113, v187
	v_fma_f32 v5, v102, v174, -v5
	v_add_f32_e32 v118, v118, v119
	s_waitcnt lgkmcnt(0)
	v_mul_f32_e32 v119, v114, v186
	v_add_f32_e32 v4, v4, v5
	v_mul_f32_e32 v5, v105, v176
	v_fmac_f32_e32 v119, v115, v185
	v_fma_f32 v5, v104, v179, -v5
	v_add_f32_e32 v122, v118, v119
	ds_read2_b64 v[118:121], v1 offset0:115 offset1:116
	v_add_f32_e32 v4, v4, v5
	v_mul_f32_e32 v5, v107, v178
	v_fma_f32 v5, v106, v177, -v5
	s_waitcnt vmcnt(26)
	v_mul_f32_e32 v123, v116, v189
	v_add_f32_e32 v4, v4, v5
	v_mul_f32_e32 v5, v109, v181
	v_fmac_f32_e32 v123, v117, v188
	v_fma_f32 v5, v108, v180, -v5
	v_add_f32_e32 v126, v122, v123
	ds_read2_b64 v[122:125], v1 offset0:117 offset1:118
	v_add_f32_e32 v4, v4, v5
	v_mul_f32_e32 v5, v111, v183
	s_waitcnt vmcnt(24) lgkmcnt(1)
	v_mul_f32_e32 v127, v118, v191
	v_fma_f32 v5, v110, v182, -v5
	v_fmac_f32_e32 v127, v119, v190
	v_add_f32_e32 v4, v4, v5
	v_mul_f32_e32 v5, v113, v184
	v_add_f32_e32 v126, v126, v127
	s_waitcnt vmcnt(23)
	v_mul_f32_e32 v127, v120, v192
	v_fma_f32 v5, v112, v187, -v5
	s_waitcnt vmcnt(20)
	v_fmac_f32_e32 v127, v121, v195
	v_add_f32_e32 v4, v4, v5
	v_mul_f32_e32 v5, v115, v186
	v_add_f32_e32 v126, v126, v127
	s_waitcnt lgkmcnt(0)
	v_mul_f32_e32 v127, v122, v194
	v_fma_f32 v5, v114, v185, -v5
	v_fmac_f32_e32 v127, v123, v193
	v_add_f32_e32 v4, v4, v5
	v_mul_f32_e32 v5, v117, v189
	v_add_f32_e32 v130, v126, v127
	ds_read2_b64 v[126:129], v1 offset0:119 offset1:120
	v_fma_f32 v5, v116, v188, -v5
	v_add_f32_e32 v4, v4, v5
	v_mul_f32_e32 v5, v119, v191
	s_waitcnt vmcnt(18)
	v_mul_f32_e32 v131, v124, v197
	v_fma_f32 v5, v118, v190, -v5
	v_fmac_f32_e32 v131, v125, v196
	v_add_f32_e32 v4, v4, v5
	v_mul_f32_e32 v5, v121, v192
	v_add_f32_e32 v134, v130, v131
	ds_read2_b64 v[130:133], v1 offset0:121 offset1:122
	v_fma_f32 v5, v120, v195, -v5
	s_waitcnt vmcnt(16) lgkmcnt(1)
	v_mul_f32_e32 v135, v126, v199
	v_add_f32_e32 v4, v4, v5
	v_mul_f32_e32 v5, v123, v194
	v_fmac_f32_e32 v135, v127, v198
	v_fma_f32 v5, v122, v193, -v5
	v_add_f32_e32 v134, v134, v135
	s_waitcnt vmcnt(15)
	v_mul_f32_e32 v135, v128, v200
	v_add_f32_e32 v4, v4, v5
	v_mul_f32_e32 v5, v125, v197
	s_waitcnt vmcnt(12)
	v_fmac_f32_e32 v135, v129, v203
	v_fma_f32 v5, v124, v196, -v5
	v_add_f32_e32 v134, v134, v135
	s_waitcnt lgkmcnt(0)
	v_mul_f32_e32 v135, v130, v202
	v_add_f32_e32 v4, v4, v5
	v_mul_f32_e32 v5, v127, v199
	v_fmac_f32_e32 v135, v131, v201
	v_fma_f32 v5, v126, v198, -v5
	v_add_f32_e32 v138, v134, v135
	ds_read2_b64 v[134:137], v1 offset0:123 offset1:124
	v_add_f32_e32 v4, v4, v5
	v_mul_f32_e32 v5, v129, v200
	v_fma_f32 v5, v128, v203, -v5
	v_add_f32_e32 v4, v4, v5
	v_mul_f32_e32 v5, v131, v202
	s_waitcnt vmcnt(10)
	v_mul_f32_e32 v139, v132, v205
	v_fma_f32 v5, v130, v201, -v5
	v_fmac_f32_e32 v139, v133, v204
	v_add_f32_e32 v4, v4, v5
	v_mul_f32_e32 v5, v133, v205
	v_add_f32_e32 v142, v138, v139
	ds_read2_b64 v[138:141], v1 offset0:125 offset1:126
	s_waitcnt vmcnt(8) lgkmcnt(1)
	v_mul_f32_e32 v143, v134, v207
	v_fma_f32 v5, v132, v204, -v5
	v_fmac_f32_e32 v143, v135, v206
	v_add_f32_e32 v4, v4, v5
	v_mul_f32_e32 v5, v135, v207
	v_add_f32_e32 v142, v142, v143
	s_waitcnt vmcnt(7)
	v_mul_f32_e32 v143, v136, v208
	v_fma_f32 v5, v134, v206, -v5
	s_waitcnt vmcnt(4)
	v_fmac_f32_e32 v143, v137, v211
	v_add_f32_e32 v4, v4, v5
	v_mul_f32_e32 v5, v137, v208
	v_add_f32_e32 v216, v142, v143
	ds_read_b64 v[142:143], v1 offset:1016
	v_fma_f32 v5, v136, v211, -v5
	v_add_f32_e32 v4, v4, v5
	s_waitcnt lgkmcnt(1)
	v_mul_f32_e32 v5, v139, v210
	v_mul_f32_e32 v217, v138, v210
	v_fma_f32 v5, v138, v209, -v5
	v_fmac_f32_e32 v217, v139, v209
	v_add_f32_e32 v4, v4, v5
	s_waitcnt vmcnt(3)
	v_mul_f32_e32 v5, v141, v212
	v_add_f32_e32 v216, v216, v217
	v_mul_f32_e32 v217, v140, v212
	s_waitcnt vmcnt(0)
	v_fma_f32 v5, v140, v215, -v5
	v_fmac_f32_e32 v217, v141, v215
	v_add_f32_e32 v4, v4, v5
	s_waitcnt lgkmcnt(0)
	v_mul_f32_e32 v5, v143, v214
	v_add_f32_e32 v216, v216, v217
	v_mul_f32_e32 v217, v142, v214
	v_fma_f32 v5, v142, v213, -v5
	v_fmac_f32_e32 v217, v143, v213
	v_add_f32_e32 v4, v4, v5
	v_add_f32_e32 v216, v216, v217
	v_sub_f32_e32 v2, v2, v4
	v_sub_f32_e32 v3, v3, v216
	buffer_store_dword v2, off, s[0:3], 0 offset:80
	buffer_store_dword v3, off, s[0:3], 0 offset:84
	s_and_saveexec_b64 s[4:5], vcc
	s_cbranch_execz .LBB63_379
; %bb.378:
	buffer_load_dword v2, off, s[0:3], 0 offset:72
	buffer_load_dword v3, off, s[0:3], 0 offset:76
	s_waitcnt vmcnt(0)
	ds_write_b64 v249, v[2:3]
	buffer_store_dword v1, off, s[0:3], 0 offset:72
	buffer_store_dword v1, off, s[0:3], 0 offset:76
.LBB63_379:
	s_or_b64 exec, exec, s[4:5]
	s_waitcnt lgkmcnt(0)
	; wave barrier
	buffer_load_dword v10, off, s[0:3], 0 offset:84
	buffer_load_dword v9, off, s[0:3], 0 offset:92
	;; [unrolled: 1-line block ×40, first 2 shown]
	ds_read_b128 v[35:38], v1 offset:592
	ds_read_b128 v[39:42], v1 offset:608
	;; [unrolled: 1-line block ×6, first 2 shown]
	buffer_load_dword v150, off, s[0:3], 0 offset:232
	buffer_load_dword v151, off, s[0:3], 0 offset:236
	;; [unrolled: 1-line block ×12, first 2 shown]
	v_cmp_lt_u32_e32 vcc, 8, v0
	s_waitcnt vmcnt(51) lgkmcnt(5)
	v_mul_f32_e32 v59, v35, v10
	s_waitcnt vmcnt(50)
	v_mul_f32_e32 v60, v37, v9
	s_waitcnt vmcnt(49) lgkmcnt(4)
	v_mul_f32_e32 v61, v39, v8
	s_waitcnt vmcnt(48)
	v_mul_f32_e32 v62, v41, v7
	;; [unrolled: 4-line block ×5, first 2 shown]
	s_waitcnt vmcnt(41) lgkmcnt(0)
	v_mul_f32_e32 v69, v55, v14
	s_waitcnt vmcnt(40)
	v_fmac_f32_e32 v61, v40, v21
	s_waitcnt vmcnt(39)
	v_fmac_f32_e32 v60, v38, v24
	s_waitcnt vmcnt(38)
	v_fmac_f32_e32 v59, v36, v26
	v_add_f32_e32 v59, 0, v59
	v_add_f32_e32 v59, v59, v60
	;; [unrolled: 1-line block ×3, first 2 shown]
	s_waitcnt vmcnt(34)
	v_fmac_f32_e32 v62, v42, v25
	v_fmac_f32_e32 v63, v44, v23
	v_add_f32_e32 v59, v59, v62
	v_fmac_f32_e32 v64, v46, v20
	v_add_f32_e32 v59, v59, v63
	;; [unrolled: 2-line block ×3, first 2 shown]
	s_waitcnt vmcnt(30)
	v_fmac_f32_e32 v66, v50, v22
	v_add_f32_e32 v59, v59, v65
	v_fmac_f32_e32 v67, v52, v19
	v_add_f32_e32 v59, v59, v66
	;; [unrolled: 2-line block ×4, first 2 shown]
	s_waitcnt vmcnt(29)
	v_mul_f32_e32 v64, v57, v18
	v_add_f32_e32 v63, v59, v69
	s_waitcnt vmcnt(25)
	v_fmac_f32_e32 v64, v58, v33
	ds_read_b128 v[59:62], v1 offset:688
	v_add_f32_e32 v67, v63, v64
	ds_read_b128 v[63:66], v1 offset:704
	buffer_load_dword v162, off, s[0:3], 0 offset:284
	buffer_load_dword v163, off, s[0:3], 0 offset:280
	;; [unrolled: 1-line block ×6, first 2 shown]
	s_waitcnt vmcnt(30) lgkmcnt(1)
	v_mul_f32_e32 v68, v59, v32
	v_fmac_f32_e32 v68, v60, v30
	v_add_f32_e32 v67, v67, v68
	s_waitcnt vmcnt(29)
	v_mul_f32_e32 v68, v61, v31
	v_fmac_f32_e32 v68, v62, v28
	v_add_f32_e32 v67, v67, v68
	s_waitcnt vmcnt(28) lgkmcnt(0)
	v_mul_f32_e32 v68, v63, v29
	v_fmac_f32_e32 v68, v64, v27
	v_add_f32_e32 v71, v67, v68
	ds_read_b128 v[67:70], v1 offset:720
	s_waitcnt vmcnt(27)
	v_mul_f32_e32 v72, v65, v34
	s_waitcnt vmcnt(21)
	v_fmac_f32_e32 v72, v66, v148
	v_add_f32_e32 v75, v71, v72
	ds_read_b128 v[71:74], v1 offset:736
	s_waitcnt vmcnt(20) lgkmcnt(1)
	v_mul_f32_e32 v76, v67, v149
	v_fmac_f32_e32 v76, v68, v147
	buffer_load_dword v168, off, s[0:3], 0 offset:308
	v_add_f32_e32 v75, v75, v76
	v_mul_f32_e32 v76, v69, v144
	v_fmac_f32_e32 v76, v70, v143
	v_add_f32_e32 v75, v75, v76
	s_waitcnt lgkmcnt(0)
	v_mul_f32_e32 v76, v71, v146
	buffer_load_dword v169, off, s[0:3], 0 offset:304
	buffer_load_dword v170, off, s[0:3], 0 offset:312
	;; [unrolled: 1-line block ×3, first 2 shown]
	v_fmac_f32_e32 v76, v72, v145
	v_add_f32_e32 v79, v75, v76
	ds_read_b128 v[75:78], v1 offset:752
	buffer_load_dword v172, off, s[0:3], 0 offset:320
	buffer_load_dword v173, off, s[0:3], 0 offset:324
	s_waitcnt vmcnt(22)
	v_mul_f32_e32 v80, v73, v151
	v_fmac_f32_e32 v80, v74, v150
	v_add_f32_e32 v83, v79, v80
	ds_read_b128 v[79:82], v1 offset:768
	buffer_load_dword v174, off, s[0:3], 0 offset:328
	buffer_load_dword v175, off, s[0:3], 0 offset:332
	;; [unrolled: 1-line block ×8, first 2 shown]
	s_waitcnt vmcnt(28) lgkmcnt(1)
	v_mul_f32_e32 v84, v75, v153
	buffer_load_dword v182, off, s[0:3], 0 offset:360
	buffer_load_dword v183, off, s[0:3], 0 offset:364
	v_fmac_f32_e32 v84, v76, v152
	v_add_f32_e32 v83, v83, v84
	s_waitcnt vmcnt(28)
	v_mul_f32_e32 v84, v77, v155
	v_fmac_f32_e32 v84, v78, v154
	v_add_f32_e32 v83, v83, v84
	s_waitcnt vmcnt(26) lgkmcnt(0)
	v_mul_f32_e32 v84, v79, v157
	v_fmac_f32_e32 v84, v80, v156
	v_add_f32_e32 v87, v83, v84
	ds_read_b128 v[83:86], v1 offset:784
	buffer_load_dword v184, off, s[0:3], 0 offset:368
	buffer_load_dword v185, off, s[0:3], 0 offset:372
	buffer_load_dword v186, off, s[0:3], 0 offset:380
	buffer_load_dword v187, off, s[0:3], 0 offset:384
	buffer_load_dword v188, off, s[0:3], 0 offset:388
	buffer_load_dword v189, off, s[0:3], 0 offset:376
	s_waitcnt vmcnt(30)
	v_mul_f32_e32 v88, v81, v159
	v_fmac_f32_e32 v88, v82, v158
	v_add_f32_e32 v91, v87, v88
	ds_read_b128 v[87:90], v1 offset:800
	buffer_load_dword v190, off, s[0:3], 0 offset:392
	buffer_load_dword v191, off, s[0:3], 0 offset:396
	;; [unrolled: 1-line block ×10, first 2 shown]
	v_mul_f32_e32 v10, v36, v10
	s_waitcnt vmcnt(38) lgkmcnt(1)
	v_mul_f32_e32 v92, v83, v161
	buffer_load_dword v200, off, s[0:3], 0 offset:432
	buffer_load_dword v201, off, s[0:3], 0 offset:436
	;; [unrolled: 1-line block ×6, first 2 shown]
	v_fma_f32 v10, v35, v26, -v10
	v_mul_f32_e32 v9, v38, v9
	v_fmac_f32_e32 v92, v84, v160
	v_add_f32_e32 v10, 0, v10
	v_fma_f32 v9, v37, v24, -v9
	v_mul_f32_e32 v8, v40, v8
	v_add_f32_e32 v91, v91, v92
	v_add_f32_e32 v9, v10, v9
	v_fma_f32 v8, v39, v21, -v8
	v_mul_f32_e32 v7, v42, v7
	v_add_f32_e32 v8, v9, v8
	v_fma_f32 v7, v41, v25, -v7
	v_mul_f32_e32 v6, v44, v6
	v_add_f32_e32 v7, v8, v7
	v_fma_f32 v6, v43, v23, -v6
	v_mul_f32_e32 v3, v46, v3
	v_add_f32_e32 v6, v7, v6
	v_fma_f32 v3, v45, v20, -v3
	v_mul_f32_e32 v2, v48, v2
	v_add_f32_e32 v3, v6, v3
	s_waitcnt vmcnt(43)
	v_mul_f32_e32 v92, v85, v162
	s_waitcnt vmcnt(42)
	v_fmac_f32_e32 v92, v86, v163
	v_add_f32_e32 v91, v91, v92
	s_waitcnt vmcnt(40) lgkmcnt(0)
	v_mul_f32_e32 v92, v87, v165
	v_fmac_f32_e32 v92, v88, v164
	v_add_f32_e32 v95, v91, v92
	ds_read_b128 v[91:94], v1 offset:816
	buffer_load_dword v206, off, s[0:3], 0 offset:456
	buffer_load_dword v207, off, s[0:3], 0 offset:460
	v_fma_f32 v2, v47, v17, -v2
	v_add_f32_e32 v2, v3, v2
	v_mul_f32_e32 v3, v50, v11
	v_fma_f32 v3, v49, v22, -v3
	s_waitcnt vmcnt(40)
	v_mul_f32_e32 v96, v89, v167
	v_add_f32_e32 v2, v2, v3
	v_mul_f32_e32 v3, v52, v12
	v_fmac_f32_e32 v96, v90, v166
	v_fma_f32 v3, v51, v19, -v3
	v_add_f32_e32 v99, v95, v96
	ds_read_b128 v[95:98], v1 offset:832
	buffer_load_dword v208, off, s[0:3], 0 offset:464
	buffer_load_dword v209, off, s[0:3], 0 offset:468
	;; [unrolled: 1-line block ×6, first 2 shown]
	v_add_f32_e32 v2, v2, v3
	v_mul_f32_e32 v3, v54, v13
	v_fma_f32 v3, v53, v16, -v3
	v_add_f32_e32 v2, v2, v3
	v_mul_f32_e32 v3, v56, v14
	v_fma_f32 v3, v55, v15, -v3
	v_add_f32_e32 v2, v2, v3
	v_mul_f32_e32 v3, v58, v18
	v_fma_f32 v3, v57, v33, -v3
	v_add_f32_e32 v2, v2, v3
	v_mul_f32_e32 v3, v60, v32
	buffer_load_dword v214, off, s[0:3], 0 offset:488
	buffer_load_dword v215, off, s[0:3], 0 offset:492
	;; [unrolled: 1-line block ×6, first 2 shown]
	v_fma_f32 v3, v59, v30, -v3
	v_add_f32_e32 v2, v2, v3
	v_mul_f32_e32 v3, v62, v31
	v_fma_f32 v3, v61, v28, -v3
	v_add_f32_e32 v2, v2, v3
	v_mul_f32_e32 v3, v64, v29
	;; [unrolled: 3-line block ×7, first 2 shown]
	v_fma_f32 v3, v73, v150, -v3
	s_waitcnt vmcnt(51) lgkmcnt(1)
	v_mul_f32_e32 v100, v91, v168
	v_add_f32_e32 v2, v2, v3
	v_mul_f32_e32 v3, v76, v153
	s_waitcnt vmcnt(50)
	v_fmac_f32_e32 v100, v92, v169
	v_fma_f32 v3, v75, v152, -v3
	v_add_f32_e32 v99, v99, v100
	s_waitcnt vmcnt(48)
	v_mul_f32_e32 v100, v93, v171
	v_add_f32_e32 v2, v2, v3
	v_mul_f32_e32 v3, v78, v155
	v_fmac_f32_e32 v100, v94, v170
	v_fma_f32 v3, v77, v154, -v3
	v_add_f32_e32 v99, v99, v100
	s_waitcnt vmcnt(46) lgkmcnt(0)
	v_mul_f32_e32 v100, v95, v173
	v_add_f32_e32 v2, v2, v3
	v_mul_f32_e32 v3, v80, v157
	v_fmac_f32_e32 v100, v96, v172
	v_fma_f32 v3, v79, v156, -v3
	v_add_f32_e32 v103, v99, v100
	ds_read_b128 v[99:102], v1 offset:848
	v_add_f32_e32 v2, v2, v3
	v_mul_f32_e32 v3, v82, v159
	v_fma_f32 v3, v81, v158, -v3
	s_waitcnt vmcnt(44)
	v_mul_f32_e32 v104, v97, v175
	v_add_f32_e32 v2, v2, v3
	v_mul_f32_e32 v3, v84, v161
	v_fmac_f32_e32 v104, v98, v174
	v_fma_f32 v3, v83, v160, -v3
	v_add_f32_e32 v107, v103, v104
	ds_read_b128 v[103:106], v1 offset:864
	v_add_f32_e32 v2, v2, v3
	v_mul_f32_e32 v3, v86, v162
	s_waitcnt vmcnt(42) lgkmcnt(1)
	v_mul_f32_e32 v108, v99, v177
	v_fma_f32 v3, v85, v163, -v3
	v_fmac_f32_e32 v108, v100, v176
	v_add_f32_e32 v2, v2, v3
	v_mul_f32_e32 v3, v88, v165
	v_add_f32_e32 v107, v107, v108
	s_waitcnt vmcnt(41)
	v_mul_f32_e32 v108, v101, v178
	v_fma_f32 v3, v87, v164, -v3
	s_waitcnt vmcnt(38)
	v_fmac_f32_e32 v108, v102, v181
	v_add_f32_e32 v2, v2, v3
	v_mul_f32_e32 v3, v90, v167
	v_add_f32_e32 v107, v107, v108
	s_waitcnt lgkmcnt(0)
	v_mul_f32_e32 v108, v103, v180
	v_fma_f32 v3, v89, v166, -v3
	v_fmac_f32_e32 v108, v104, v179
	v_add_f32_e32 v2, v2, v3
	v_mul_f32_e32 v3, v92, v168
	v_add_f32_e32 v111, v107, v108
	ds_read_b128 v[107:110], v1 offset:880
	v_fma_f32 v3, v91, v169, -v3
	v_add_f32_e32 v2, v2, v3
	v_mul_f32_e32 v3, v94, v171
	s_waitcnt vmcnt(36)
	v_mul_f32_e32 v112, v105, v183
	v_fma_f32 v3, v93, v170, -v3
	v_fmac_f32_e32 v112, v106, v182
	v_add_f32_e32 v2, v2, v3
	v_mul_f32_e32 v3, v96, v173
	v_add_f32_e32 v115, v111, v112
	ds_read_b128 v[111:114], v1 offset:896
	v_fma_f32 v3, v95, v172, -v3
	s_waitcnt vmcnt(34) lgkmcnt(1)
	v_mul_f32_e32 v116, v107, v185
	v_add_f32_e32 v2, v2, v3
	v_mul_f32_e32 v3, v98, v175
	v_fmac_f32_e32 v116, v108, v184
	v_fma_f32 v3, v97, v174, -v3
	v_add_f32_e32 v115, v115, v116
	s_waitcnt vmcnt(33)
	v_mul_f32_e32 v116, v109, v186
	v_add_f32_e32 v2, v2, v3
	v_mul_f32_e32 v3, v100, v177
	s_waitcnt vmcnt(30)
	v_fmac_f32_e32 v116, v110, v189
	v_fma_f32 v3, v99, v176, -v3
	v_add_f32_e32 v115, v115, v116
	s_waitcnt lgkmcnt(0)
	v_mul_f32_e32 v116, v111, v188
	v_add_f32_e32 v2, v2, v3
	v_mul_f32_e32 v3, v102, v178
	v_fmac_f32_e32 v116, v112, v187
	v_fma_f32 v3, v101, v181, -v3
	v_add_f32_e32 v119, v115, v116
	ds_read_b128 v[115:118], v1 offset:912
	v_add_f32_e32 v2, v2, v3
	v_mul_f32_e32 v3, v104, v180
	v_fma_f32 v3, v103, v179, -v3
	s_waitcnt vmcnt(28)
	v_mul_f32_e32 v120, v113, v191
	v_add_f32_e32 v2, v2, v3
	v_mul_f32_e32 v3, v106, v183
	v_fmac_f32_e32 v120, v114, v190
	v_fma_f32 v3, v105, v182, -v3
	v_add_f32_e32 v123, v119, v120
	ds_read_b128 v[119:122], v1 offset:928
	v_add_f32_e32 v2, v2, v3
	v_mul_f32_e32 v3, v108, v185
	s_waitcnt vmcnt(26) lgkmcnt(1)
	v_mul_f32_e32 v124, v115, v193
	v_fma_f32 v3, v107, v184, -v3
	v_fmac_f32_e32 v124, v116, v192
	v_add_f32_e32 v2, v2, v3
	v_mul_f32_e32 v3, v110, v186
	v_add_f32_e32 v123, v123, v124
	s_waitcnt vmcnt(25)
	v_mul_f32_e32 v124, v117, v194
	v_fma_f32 v3, v109, v189, -v3
	s_waitcnt vmcnt(22)
	v_fmac_f32_e32 v124, v118, v197
	v_add_f32_e32 v2, v2, v3
	v_mul_f32_e32 v3, v112, v188
	v_add_f32_e32 v123, v123, v124
	s_waitcnt lgkmcnt(0)
	v_mul_f32_e32 v124, v119, v196
	v_fma_f32 v3, v111, v187, -v3
	v_fmac_f32_e32 v124, v120, v195
	v_add_f32_e32 v2, v2, v3
	v_mul_f32_e32 v3, v114, v191
	v_add_f32_e32 v127, v123, v124
	ds_read_b128 v[123:126], v1 offset:944
	v_fma_f32 v3, v113, v190, -v3
	v_add_f32_e32 v2, v2, v3
	v_mul_f32_e32 v3, v116, v193
	s_waitcnt vmcnt(20)
	v_mul_f32_e32 v128, v121, v199
	v_fma_f32 v3, v115, v192, -v3
	v_fmac_f32_e32 v128, v122, v198
	v_add_f32_e32 v2, v2, v3
	v_mul_f32_e32 v3, v118, v194
	v_add_f32_e32 v131, v127, v128
	ds_read_b128 v[127:130], v1 offset:960
	v_fma_f32 v3, v117, v197, -v3
	s_waitcnt vmcnt(18) lgkmcnt(1)
	v_mul_f32_e32 v132, v123, v201
	v_add_f32_e32 v2, v2, v3
	v_mul_f32_e32 v3, v120, v196
	v_fmac_f32_e32 v132, v124, v200
	v_fma_f32 v3, v119, v195, -v3
	v_add_f32_e32 v131, v131, v132
	s_waitcnt vmcnt(17)
	v_mul_f32_e32 v132, v125, v202
	v_add_f32_e32 v2, v2, v3
	v_mul_f32_e32 v3, v122, v199
	s_waitcnt vmcnt(14)
	v_fmac_f32_e32 v132, v126, v205
	v_fma_f32 v3, v121, v198, -v3
	v_add_f32_e32 v131, v131, v132
	s_waitcnt lgkmcnt(0)
	v_mul_f32_e32 v132, v127, v204
	v_add_f32_e32 v2, v2, v3
	v_mul_f32_e32 v3, v124, v201
	v_fmac_f32_e32 v132, v128, v203
	v_fma_f32 v3, v123, v200, -v3
	v_add_f32_e32 v135, v131, v132
	ds_read_b128 v[131:134], v1 offset:976
	v_add_f32_e32 v2, v2, v3
	v_mul_f32_e32 v3, v126, v202
	v_fma_f32 v3, v125, v205, -v3
	v_add_f32_e32 v2, v2, v3
	v_mul_f32_e32 v3, v128, v204
	s_waitcnt vmcnt(12)
	v_mul_f32_e32 v136, v129, v207
	v_fma_f32 v3, v127, v203, -v3
	v_fmac_f32_e32 v136, v130, v206
	v_add_f32_e32 v2, v2, v3
	v_mul_f32_e32 v3, v130, v207
	v_add_f32_e32 v139, v135, v136
	ds_read_b128 v[135:138], v1 offset:992
	s_waitcnt vmcnt(10) lgkmcnt(1)
	v_mul_f32_e32 v140, v131, v209
	v_fma_f32 v3, v129, v206, -v3
	v_fmac_f32_e32 v140, v132, v208
	v_add_f32_e32 v2, v2, v3
	v_mul_f32_e32 v3, v132, v209
	v_add_f32_e32 v139, v139, v140
	s_waitcnt vmcnt(9)
	v_mul_f32_e32 v140, v133, v210
	v_fma_f32 v3, v131, v208, -v3
	s_waitcnt vmcnt(6)
	v_fmac_f32_e32 v140, v134, v213
	v_add_f32_e32 v2, v2, v3
	v_mul_f32_e32 v3, v134, v210
	v_add_f32_e32 v220, v139, v140
	ds_read_b128 v[139:142], v1 offset:1008
	v_fma_f32 v3, v133, v213, -v3
	v_add_f32_e32 v2, v2, v3
	s_waitcnt lgkmcnt(1)
	v_mul_f32_e32 v3, v136, v212
	v_mul_f32_e32 v221, v135, v212
	v_fma_f32 v3, v135, v211, -v3
	v_fmac_f32_e32 v221, v136, v211
	v_add_f32_e32 v2, v2, v3
	s_waitcnt vmcnt(4)
	v_mul_f32_e32 v3, v138, v215
	v_add_f32_e32 v1, v220, v221
	v_mul_f32_e32 v220, v137, v215
	v_fma_f32 v3, v137, v214, -v3
	v_fmac_f32_e32 v220, v138, v214
	v_add_f32_e32 v2, v2, v3
	s_waitcnt vmcnt(3) lgkmcnt(0)
	v_mul_f32_e32 v3, v140, v216
	v_add_f32_e32 v1, v1, v220
	v_mul_f32_e32 v220, v139, v216
	s_waitcnt vmcnt(0)
	v_fma_f32 v3, v139, v219, -v3
	v_fmac_f32_e32 v220, v140, v219
	v_add_f32_e32 v2, v2, v3
	v_mul_f32_e32 v3, v142, v218
	v_add_f32_e32 v1, v1, v220
	v_mul_f32_e32 v220, v141, v218
	v_fma_f32 v3, v141, v217, -v3
	v_fmac_f32_e32 v220, v142, v217
	v_add_f32_e32 v2, v2, v3
	v_add_f32_e32 v1, v1, v220
	v_sub_f32_e32 v2, v4, v2
	v_sub_f32_e32 v1, v5, v1
	buffer_store_dword v2, off, s[0:3], 0 offset:72
	buffer_store_dword v1, off, s[0:3], 0 offset:76
	s_and_saveexec_b64 s[4:5], vcc
	s_cbranch_execz .LBB63_381
; %bb.380:
	buffer_load_dword v1, off, s[0:3], 0 offset:64
	buffer_load_dword v2, off, s[0:3], 0 offset:68
	v_mov_b32_e32 v3, 0
	buffer_store_dword v3, off, s[0:3], 0 offset:64
	buffer_store_dword v3, off, s[0:3], 0 offset:68
	s_waitcnt vmcnt(2)
	ds_write_b64 v249, v[1:2]
.LBB63_381:
	s_or_b64 exec, exec, s[4:5]
	s_waitcnt lgkmcnt(0)
	; wave barrier
	buffer_load_dword v10, off, s[0:3], 0 offset:76
	buffer_load_dword v9, off, s[0:3], 0 offset:84
	;; [unrolled: 1-line block ×52, first 2 shown]
	v_mov_b32_e32 v1, 0
	ds_read2_b64 v[41:44], v1 offset0:73 offset1:74
	ds_read2_b64 v[45:48], v1 offset0:75 offset1:76
	;; [unrolled: 1-line block ×6, first 2 shown]
	buffer_load_dword v164, off, s[0:3], 0 offset:272
	buffer_load_dword v165, off, s[0:3], 0 offset:276
	v_cmp_lt_u32_e32 vcc, 7, v0
	s_waitcnt vmcnt(53) lgkmcnt(5)
	v_mul_f32_e32 v65, v41, v10
	s_waitcnt vmcnt(52)
	v_mul_f32_e32 v66, v43, v9
	s_waitcnt vmcnt(51) lgkmcnt(4)
	v_mul_f32_e32 v67, v45, v8
	s_waitcnt vmcnt(50)
	v_mul_f32_e32 v68, v47, v7
	;; [unrolled: 4-line block ×5, first 2 shown]
	s_waitcnt vmcnt(43) lgkmcnt(0)
	v_mul_f32_e32 v75, v61, v14
	s_waitcnt vmcnt(42)
	v_fmac_f32_e32 v67, v46, v21
	s_waitcnt vmcnt(41)
	v_fmac_f32_e32 v66, v44, v24
	;; [unrolled: 2-line block ×3, first 2 shown]
	v_add_f32_e32 v65, 0, v65
	v_add_f32_e32 v65, v65, v66
	;; [unrolled: 1-line block ×3, first 2 shown]
	s_waitcnt vmcnt(36)
	v_fmac_f32_e32 v68, v48, v25
	v_fmac_f32_e32 v69, v50, v23
	v_add_f32_e32 v65, v65, v68
	v_fmac_f32_e32 v70, v52, v20
	v_add_f32_e32 v65, v65, v69
	v_fmac_f32_e32 v71, v54, v17
	v_add_f32_e32 v65, v65, v70
	s_waitcnt vmcnt(32)
	v_fmac_f32_e32 v72, v56, v22
	v_add_f32_e32 v65, v65, v71
	v_fmac_f32_e32 v73, v58, v19
	v_add_f32_e32 v65, v65, v72
	;; [unrolled: 2-line block ×3, first 2 shown]
	v_add_f32_e32 v65, v65, v74
	v_fmac_f32_e32 v75, v62, v15
	v_add_f32_e32 v69, v65, v75
	ds_read2_b64 v[65:68], v1 offset0:85 offset1:86
	buffer_load_dword v166, off, s[0:3], 0 offset:280
	buffer_load_dword v167, off, s[0:3], 0 offset:284
	s_waitcnt vmcnt(33)
	v_mul_f32_e32 v70, v63, v18
	s_waitcnt vmcnt(28)
	v_fmac_f32_e32 v70, v64, v34
	v_add_f32_e32 v73, v69, v70
	ds_read2_b64 v[69:72], v1 offset0:87 offset1:88
	buffer_load_dword v168, off, s[0:3], 0 offset:288
	buffer_load_dword v169, off, s[0:3], 0 offset:292
	s_waitcnt vmcnt(29) lgkmcnt(1)
	v_mul_f32_e32 v74, v65, v32
	v_fmac_f32_e32 v74, v66, v30
	v_add_f32_e32 v73, v73, v74
	s_waitcnt vmcnt(28)
	v_mul_f32_e32 v74, v67, v31
	v_fmac_f32_e32 v74, v68, v29
	v_add_f32_e32 v73, v73, v74
	s_waitcnt lgkmcnt(0)
	v_mul_f32_e32 v74, v69, v28
	v_fmac_f32_e32 v74, v70, v27
	v_add_f32_e32 v77, v73, v74
	ds_read2_b64 v[73:76], v1 offset0:89 offset1:90
	s_waitcnt vmcnt(27)
	v_mul_f32_e32 v78, v71, v33
	s_waitcnt vmcnt(20)
	v_fmac_f32_e32 v78, v72, v151
	v_add_f32_e32 v81, v77, v78
	buffer_load_dword v170, off, s[0:3], 0 offset:296
	buffer_load_dword v171, off, s[0:3], 0 offset:300
	ds_read2_b64 v[77:80], v1 offset0:91 offset1:92
	s_waitcnt lgkmcnt(1)
	v_mul_f32_e32 v82, v73, v36
	v_fmac_f32_e32 v82, v74, v35
	v_add_f32_e32 v81, v81, v82
	v_mul_f32_e32 v82, v75, v38
	v_fmac_f32_e32 v82, v76, v37
	buffer_load_dword v172, off, s[0:3], 0 offset:308
	buffer_load_dword v173, off, s[0:3], 0 offset:304
	;; [unrolled: 1-line block ×4, first 2 shown]
	v_add_f32_e32 v81, v81, v82
	s_waitcnt lgkmcnt(0)
	v_mul_f32_e32 v82, v77, v40
	v_fmac_f32_e32 v82, v78, v39
	s_waitcnt vmcnt(22)
	v_mul_f32_e32 v86, v79, v153
	v_add_f32_e32 v85, v81, v82
	v_fmac_f32_e32 v86, v80, v152
	ds_read2_b64 v[81:84], v1 offset0:93 offset1:94
	v_add_f32_e32 v89, v85, v86
	ds_read2_b64 v[85:88], v1 offset0:95 offset1:96
	buffer_load_dword v176, off, s[0:3], 0 offset:320
	buffer_load_dword v177, off, s[0:3], 0 offset:324
	;; [unrolled: 1-line block ×8, first 2 shown]
	s_waitcnt vmcnt(28) lgkmcnt(1)
	v_mul_f32_e32 v90, v81, v155
	buffer_load_dword v184, off, s[0:3], 0 offset:352
	buffer_load_dword v185, off, s[0:3], 0 offset:356
	v_fmac_f32_e32 v90, v82, v154
	v_add_f32_e32 v89, v89, v90
	s_waitcnt vmcnt(28)
	v_mul_f32_e32 v90, v83, v157
	v_fmac_f32_e32 v90, v84, v156
	v_add_f32_e32 v89, v89, v90
	s_waitcnt vmcnt(26) lgkmcnt(0)
	v_mul_f32_e32 v90, v85, v159
	v_fmac_f32_e32 v90, v86, v158
	v_add_f32_e32 v93, v89, v90
	ds_read2_b64 v[89:92], v1 offset0:97 offset1:98
	buffer_load_dword v186, off, s[0:3], 0 offset:360
	buffer_load_dword v187, off, s[0:3], 0 offset:364
	;; [unrolled: 1-line block ×6, first 2 shown]
	s_waitcnt vmcnt(30)
	v_mul_f32_e32 v94, v87, v161
	v_fmac_f32_e32 v94, v88, v160
	v_add_f32_e32 v97, v93, v94
	ds_read2_b64 v[93:96], v1 offset0:99 offset1:100
	buffer_load_dword v192, off, s[0:3], 0 offset:384
	buffer_load_dword v193, off, s[0:3], 0 offset:388
	;; [unrolled: 1-line block ×8, first 2 shown]
	s_waitcnt vmcnt(36) lgkmcnt(1)
	v_mul_f32_e32 v98, v89, v163
	buffer_load_dword v200, off, s[0:3], 0 offset:416
	buffer_load_dword v201, off, s[0:3], 0 offset:420
	v_fmac_f32_e32 v98, v90, v162
	v_add_f32_e32 v97, v97, v98
	s_waitcnt vmcnt(36)
	v_mul_f32_e32 v98, v91, v165
	v_fmac_f32_e32 v98, v92, v164
	v_add_f32_e32 v97, v97, v98
	v_mul_f32_e32 v10, v42, v10
	v_fma_f32 v10, v41, v26, -v10
	v_mul_f32_e32 v9, v44, v9
	v_add_f32_e32 v10, 0, v10
	v_fma_f32 v9, v43, v24, -v9
	v_mul_f32_e32 v8, v46, v8
	v_add_f32_e32 v9, v10, v9
	;; [unrolled: 3-line block ×5, first 2 shown]
	v_fma_f32 v5, v51, v20, -v5
	s_waitcnt vmcnt(34) lgkmcnt(0)
	v_mul_f32_e32 v98, v93, v167
	v_fmac_f32_e32 v98, v94, v166
	v_add_f32_e32 v101, v97, v98
	ds_read2_b64 v[97:100], v1 offset0:101 offset1:102
	buffer_load_dword v202, off, s[0:3], 0 offset:424
	buffer_load_dword v203, off, s[0:3], 0 offset:428
	;; [unrolled: 1-line block ×6, first 2 shown]
	s_waitcnt vmcnt(38)
	v_mul_f32_e32 v102, v95, v169
	v_fmac_f32_e32 v102, v96, v168
	v_add_f32_e32 v105, v101, v102
	ds_read2_b64 v[101:104], v1 offset0:103 offset1:104
	buffer_load_dword v208, off, s[0:3], 0 offset:448
	buffer_load_dword v209, off, s[0:3], 0 offset:452
	v_mul_f32_e32 v4, v54, v4
	v_add_f32_e32 v5, v6, v5
	v_fma_f32 v4, v53, v17, -v4
	v_add_f32_e32 v4, v5, v4
	v_mul_f32_e32 v5, v56, v11
	v_fma_f32 v5, v55, v22, -v5
	buffer_load_dword v210, off, s[0:3], 0 offset:456
	buffer_load_dword v211, off, s[0:3], 0 offset:460
	;; [unrolled: 1-line block ×6, first 2 shown]
	v_add_f32_e32 v4, v4, v5
	v_mul_f32_e32 v5, v58, v12
	v_fma_f32 v5, v57, v19, -v5
	v_add_f32_e32 v4, v4, v5
	v_mul_f32_e32 v5, v60, v13
	v_fma_f32 v5, v59, v16, -v5
	v_add_f32_e32 v4, v4, v5
	v_mul_f32_e32 v5, v62, v14
	buffer_load_dword v216, off, s[0:3], 0 offset:480
	buffer_load_dword v217, off, s[0:3], 0 offset:484
	v_fma_f32 v5, v61, v15, -v5
	v_add_f32_e32 v4, v4, v5
	v_mul_f32_e32 v5, v64, v18
	v_fma_f32 v5, v63, v34, -v5
	v_add_f32_e32 v4, v4, v5
	v_mul_f32_e32 v5, v66, v32
	;; [unrolled: 3-line block ×3, first 2 shown]
	buffer_load_dword v218, off, s[0:3], 0 offset:488
	buffer_load_dword v219, off, s[0:3], 0 offset:492
	;; [unrolled: 1-line block ×6, first 2 shown]
	v_fma_f32 v5, v67, v29, -v5
	v_add_f32_e32 v4, v4, v5
	v_mul_f32_e32 v5, v70, v28
	v_fma_f32 v5, v69, v27, -v5
	v_add_f32_e32 v4, v4, v5
	v_mul_f32_e32 v5, v72, v33
	v_fma_f32 v5, v71, v151, -v5
	v_add_f32_e32 v4, v4, v5
	v_mul_f32_e32 v5, v74, v36
	v_fma_f32 v5, v73, v35, -v5
	v_add_f32_e32 v4, v4, v5
	v_mul_f32_e32 v5, v76, v38
	v_fma_f32 v5, v75, v37, -v5
	v_add_f32_e32 v4, v4, v5
	v_mul_f32_e32 v5, v78, v40
	v_fma_f32 v5, v77, v39, -v5
	s_waitcnt vmcnt(52) lgkmcnt(1)
	v_mul_f32_e32 v106, v97, v171
	v_add_f32_e32 v4, v4, v5
	v_mul_f32_e32 v5, v80, v153
	v_fmac_f32_e32 v106, v98, v170
	v_fma_f32 v5, v79, v152, -v5
	v_add_f32_e32 v105, v105, v106
	s_waitcnt vmcnt(51)
	v_mul_f32_e32 v106, v99, v172
	v_add_f32_e32 v4, v4, v5
	v_mul_f32_e32 v5, v82, v155
	s_waitcnt vmcnt(50)
	v_fmac_f32_e32 v106, v100, v173
	v_fma_f32 v5, v81, v154, -v5
	v_add_f32_e32 v105, v105, v106
	s_waitcnt vmcnt(48) lgkmcnt(0)
	v_mul_f32_e32 v106, v101, v175
	v_add_f32_e32 v4, v4, v5
	v_mul_f32_e32 v5, v84, v157
	v_fmac_f32_e32 v106, v102, v174
	v_fma_f32 v5, v83, v156, -v5
	v_add_f32_e32 v109, v105, v106
	ds_read2_b64 v[105:108], v1 offset0:105 offset1:106
	v_add_f32_e32 v4, v4, v5
	v_mul_f32_e32 v5, v86, v159
	v_fma_f32 v5, v85, v158, -v5
	s_waitcnt vmcnt(46)
	v_mul_f32_e32 v110, v103, v177
	v_add_f32_e32 v4, v4, v5
	v_mul_f32_e32 v5, v88, v161
	v_fmac_f32_e32 v110, v104, v176
	v_fma_f32 v5, v87, v160, -v5
	v_add_f32_e32 v113, v109, v110
	ds_read2_b64 v[109:112], v1 offset0:107 offset1:108
	v_add_f32_e32 v4, v4, v5
	v_mul_f32_e32 v5, v90, v163
	s_waitcnt vmcnt(44) lgkmcnt(1)
	v_mul_f32_e32 v114, v105, v179
	v_fma_f32 v5, v89, v162, -v5
	v_fmac_f32_e32 v114, v106, v178
	v_add_f32_e32 v4, v4, v5
	v_mul_f32_e32 v5, v92, v165
	v_add_f32_e32 v113, v113, v114
	s_waitcnt vmcnt(43)
	v_mul_f32_e32 v114, v107, v180
	v_fma_f32 v5, v91, v164, -v5
	s_waitcnt vmcnt(40)
	v_fmac_f32_e32 v114, v108, v183
	v_add_f32_e32 v4, v4, v5
	v_mul_f32_e32 v5, v94, v167
	v_add_f32_e32 v113, v113, v114
	s_waitcnt lgkmcnt(0)
	v_mul_f32_e32 v114, v109, v182
	v_fma_f32 v5, v93, v166, -v5
	v_fmac_f32_e32 v114, v110, v181
	v_add_f32_e32 v4, v4, v5
	v_mul_f32_e32 v5, v96, v169
	v_add_f32_e32 v117, v113, v114
	ds_read2_b64 v[113:116], v1 offset0:109 offset1:110
	v_fma_f32 v5, v95, v168, -v5
	v_add_f32_e32 v4, v4, v5
	v_mul_f32_e32 v5, v98, v171
	s_waitcnt vmcnt(38)
	v_mul_f32_e32 v118, v111, v185
	v_fma_f32 v5, v97, v170, -v5
	v_fmac_f32_e32 v118, v112, v184
	v_add_f32_e32 v4, v4, v5
	v_mul_f32_e32 v5, v100, v172
	v_add_f32_e32 v121, v117, v118
	ds_read2_b64 v[117:120], v1 offset0:111 offset1:112
	v_fma_f32 v5, v99, v173, -v5
	s_waitcnt vmcnt(36) lgkmcnt(1)
	v_mul_f32_e32 v122, v113, v187
	v_add_f32_e32 v4, v4, v5
	v_mul_f32_e32 v5, v102, v175
	v_fmac_f32_e32 v122, v114, v186
	v_fma_f32 v5, v101, v174, -v5
	v_add_f32_e32 v121, v121, v122
	s_waitcnt vmcnt(35)
	v_mul_f32_e32 v122, v115, v188
	v_add_f32_e32 v4, v4, v5
	v_mul_f32_e32 v5, v104, v177
	s_waitcnt vmcnt(32)
	v_fmac_f32_e32 v122, v116, v191
	v_fma_f32 v5, v103, v176, -v5
	v_add_f32_e32 v121, v121, v122
	s_waitcnt lgkmcnt(0)
	v_mul_f32_e32 v122, v117, v190
	v_add_f32_e32 v4, v4, v5
	v_mul_f32_e32 v5, v106, v179
	v_fmac_f32_e32 v122, v118, v189
	v_fma_f32 v5, v105, v178, -v5
	v_add_f32_e32 v125, v121, v122
	ds_read2_b64 v[121:124], v1 offset0:113 offset1:114
	v_add_f32_e32 v4, v4, v5
	v_mul_f32_e32 v5, v108, v180
	v_fma_f32 v5, v107, v183, -v5
	s_waitcnt vmcnt(30)
	v_mul_f32_e32 v126, v119, v193
	v_add_f32_e32 v4, v4, v5
	v_mul_f32_e32 v5, v110, v182
	v_fmac_f32_e32 v126, v120, v192
	v_fma_f32 v5, v109, v181, -v5
	v_add_f32_e32 v129, v125, v126
	ds_read2_b64 v[125:128], v1 offset0:115 offset1:116
	v_add_f32_e32 v4, v4, v5
	v_mul_f32_e32 v5, v112, v185
	s_waitcnt vmcnt(28) lgkmcnt(1)
	v_mul_f32_e32 v130, v121, v195
	v_fma_f32 v5, v111, v184, -v5
	v_fmac_f32_e32 v130, v122, v194
	v_add_f32_e32 v4, v4, v5
	v_mul_f32_e32 v5, v114, v187
	v_add_f32_e32 v129, v129, v130
	s_waitcnt vmcnt(27)
	v_mul_f32_e32 v130, v123, v196
	v_fma_f32 v5, v113, v186, -v5
	s_waitcnt vmcnt(24)
	v_fmac_f32_e32 v130, v124, v199
	v_add_f32_e32 v4, v4, v5
	v_mul_f32_e32 v5, v116, v188
	v_add_f32_e32 v129, v129, v130
	s_waitcnt lgkmcnt(0)
	v_mul_f32_e32 v130, v125, v198
	v_fma_f32 v5, v115, v191, -v5
	v_fmac_f32_e32 v130, v126, v197
	v_add_f32_e32 v4, v4, v5
	v_mul_f32_e32 v5, v118, v190
	v_add_f32_e32 v133, v129, v130
	ds_read2_b64 v[129:132], v1 offset0:117 offset1:118
	v_fma_f32 v5, v117, v189, -v5
	v_add_f32_e32 v4, v4, v5
	v_mul_f32_e32 v5, v120, v193
	s_waitcnt vmcnt(22)
	v_mul_f32_e32 v134, v127, v201
	v_fma_f32 v5, v119, v192, -v5
	v_fmac_f32_e32 v134, v128, v200
	v_add_f32_e32 v4, v4, v5
	v_mul_f32_e32 v5, v122, v195
	v_add_f32_e32 v137, v133, v134
	ds_read2_b64 v[133:136], v1 offset0:119 offset1:120
	v_fma_f32 v5, v121, v194, -v5
	s_waitcnt vmcnt(20) lgkmcnt(1)
	v_mul_f32_e32 v138, v129, v203
	v_add_f32_e32 v4, v4, v5
	v_mul_f32_e32 v5, v124, v196
	v_fmac_f32_e32 v138, v130, v202
	v_fma_f32 v5, v123, v199, -v5
	v_add_f32_e32 v137, v137, v138
	s_waitcnt vmcnt(19)
	v_mul_f32_e32 v138, v131, v204
	v_add_f32_e32 v4, v4, v5
	v_mul_f32_e32 v5, v126, v198
	s_waitcnt vmcnt(16)
	v_fmac_f32_e32 v138, v132, v207
	v_fma_f32 v5, v125, v197, -v5
	v_add_f32_e32 v137, v137, v138
	s_waitcnt lgkmcnt(0)
	v_mul_f32_e32 v138, v133, v206
	v_add_f32_e32 v4, v4, v5
	v_mul_f32_e32 v5, v128, v201
	v_fmac_f32_e32 v138, v134, v205
	v_fma_f32 v5, v127, v200, -v5
	v_add_f32_e32 v141, v137, v138
	ds_read2_b64 v[137:140], v1 offset0:121 offset1:122
	v_add_f32_e32 v4, v4, v5
	v_mul_f32_e32 v5, v130, v203
	v_fma_f32 v5, v129, v202, -v5
	s_waitcnt vmcnt(14)
	v_mul_f32_e32 v142, v135, v209
	v_add_f32_e32 v4, v4, v5
	v_mul_f32_e32 v5, v132, v204
	v_fmac_f32_e32 v142, v136, v208
	v_fma_f32 v5, v131, v207, -v5
	v_add_f32_e32 v145, v141, v142
	ds_read2_b64 v[141:144], v1 offset0:123 offset1:124
	v_add_f32_e32 v4, v4, v5
	v_mul_f32_e32 v5, v134, v206
	s_waitcnt vmcnt(12) lgkmcnt(1)
	v_mul_f32_e32 v146, v137, v211
	v_fma_f32 v5, v133, v205, -v5
	v_fmac_f32_e32 v146, v138, v210
	v_add_f32_e32 v4, v4, v5
	v_mul_f32_e32 v5, v136, v209
	v_add_f32_e32 v145, v145, v146
	s_waitcnt vmcnt(11)
	v_mul_f32_e32 v146, v139, v212
	v_fma_f32 v5, v135, v208, -v5
	s_waitcnt vmcnt(8)
	v_fmac_f32_e32 v146, v140, v215
	v_add_f32_e32 v4, v4, v5
	v_mul_f32_e32 v5, v138, v211
	v_add_f32_e32 v145, v145, v146
	s_waitcnt lgkmcnt(0)
	v_mul_f32_e32 v146, v141, v214
	v_fma_f32 v5, v137, v210, -v5
	v_fmac_f32_e32 v146, v142, v213
	v_add_f32_e32 v4, v4, v5
	v_mul_f32_e32 v5, v140, v212
	v_add_f32_e32 v149, v145, v146
	ds_read2_b64 v[145:148], v1 offset0:125 offset1:126
	v_fma_f32 v5, v139, v215, -v5
	v_add_f32_e32 v4, v4, v5
	v_mul_f32_e32 v5, v142, v214
	s_waitcnt vmcnt(6)
	v_mul_f32_e32 v150, v143, v217
	v_fma_f32 v5, v141, v213, -v5
	v_fmac_f32_e32 v150, v144, v216
	v_add_f32_e32 v4, v4, v5
	v_mul_f32_e32 v5, v144, v217
	v_add_f32_e32 v224, v149, v150
	ds_read_b64 v[149:150], v1 offset:1016
	v_fma_f32 v5, v143, v216, -v5
	v_add_f32_e32 v4, v4, v5
	s_waitcnt vmcnt(4) lgkmcnt(1)
	v_mul_f32_e32 v5, v146, v219
	v_mul_f32_e32 v225, v145, v219
	v_fma_f32 v5, v145, v218, -v5
	v_fmac_f32_e32 v225, v146, v218
	v_add_f32_e32 v4, v4, v5
	s_waitcnt vmcnt(3)
	v_mul_f32_e32 v5, v148, v220
	v_add_f32_e32 v224, v224, v225
	v_mul_f32_e32 v225, v147, v220
	s_waitcnt vmcnt(0)
	v_fma_f32 v5, v147, v223, -v5
	v_fmac_f32_e32 v225, v148, v223
	v_add_f32_e32 v4, v4, v5
	s_waitcnt lgkmcnt(0)
	v_mul_f32_e32 v5, v150, v222
	v_add_f32_e32 v224, v224, v225
	v_mul_f32_e32 v225, v149, v222
	v_fma_f32 v5, v149, v221, -v5
	v_fmac_f32_e32 v225, v150, v221
	v_add_f32_e32 v4, v4, v5
	v_add_f32_e32 v224, v224, v225
	v_sub_f32_e32 v2, v2, v4
	v_sub_f32_e32 v3, v3, v224
	buffer_store_dword v2, off, s[0:3], 0 offset:64
	buffer_store_dword v3, off, s[0:3], 0 offset:68
	s_and_saveexec_b64 s[4:5], vcc
	s_cbranch_execz .LBB63_383
; %bb.382:
	buffer_load_dword v2, off, s[0:3], 0 offset:56
	buffer_load_dword v3, off, s[0:3], 0 offset:60
	s_waitcnt vmcnt(0)
	ds_write_b64 v249, v[2:3]
	buffer_store_dword v1, off, s[0:3], 0 offset:56
	buffer_store_dword v1, off, s[0:3], 0 offset:60
.LBB63_383:
	s_or_b64 exec, exec, s[4:5]
	s_waitcnt lgkmcnt(0)
	; wave barrier
	buffer_load_dword v10, off, s[0:3], 0 offset:68
	buffer_load_dword v9, off, s[0:3], 0 offset:76
	;; [unrolled: 1-line block ×40, first 2 shown]
	ds_read_b128 v[41:44], v1 offset:576
	ds_read_b128 v[45:48], v1 offset:592
	;; [unrolled: 1-line block ×6, first 2 shown]
	buffer_load_dword v154, off, s[0:3], 0 offset:216
	buffer_load_dword v155, off, s[0:3], 0 offset:220
	;; [unrolled: 1-line block ×16, first 2 shown]
	v_cmp_lt_u32_e32 vcc, 6, v0
	s_waitcnt vmcnt(55) lgkmcnt(5)
	v_mul_f32_e32 v65, v41, v10
	s_waitcnt vmcnt(54)
	v_mul_f32_e32 v66, v43, v9
	s_waitcnt vmcnt(53) lgkmcnt(4)
	v_mul_f32_e32 v67, v45, v8
	s_waitcnt vmcnt(52)
	v_mul_f32_e32 v68, v47, v7
	;; [unrolled: 4-line block ×5, first 2 shown]
	s_waitcnt vmcnt(45)
	v_fmac_f32_e32 v67, v46, v17
	s_waitcnt vmcnt(44)
	v_fmac_f32_e32 v66, v44, v21
	;; [unrolled: 2-line block ×3, first 2 shown]
	v_add_f32_e32 v65, 0, v65
	v_add_f32_e32 v65, v65, v66
	;; [unrolled: 1-line block ×3, first 2 shown]
	s_waitcnt vmcnt(39)
	v_fmac_f32_e32 v68, v48, v24
	v_fmac_f32_e32 v69, v50, v20
	v_add_f32_e32 v65, v65, v68
	v_fmac_f32_e32 v70, v52, v16
	v_add_f32_e32 v65, v65, v69
	;; [unrolled: 2-line block ×3, first 2 shown]
	s_waitcnt vmcnt(35)
	v_fmac_f32_e32 v72, v56, v26
	v_add_f32_e32 v65, v65, v71
	v_fmac_f32_e32 v73, v58, v22
	v_add_f32_e32 v65, v65, v72
	;; [unrolled: 2-line block ×3, first 2 shown]
	s_waitcnt vmcnt(34) lgkmcnt(0)
	v_mul_f32_e32 v66, v61, v19
	v_add_f32_e32 v65, v65, v74
	v_fmac_f32_e32 v66, v62, v15
	v_add_f32_e32 v69, v65, v66
	ds_read_b128 v[65:68], v1 offset:672
	s_waitcnt vmcnt(33)
	v_mul_f32_e32 v70, v63, v23
	s_waitcnt vmcnt(29)
	v_fmac_f32_e32 v70, v64, v33
	v_add_f32_e32 v73, v69, v70
	ds_read_b128 v[69:72], v1 offset:688
	buffer_load_dword v170, off, s[0:3], 0 offset:280
	buffer_load_dword v171, off, s[0:3], 0 offset:284
	s_waitcnt vmcnt(30) lgkmcnt(1)
	v_mul_f32_e32 v74, v65, v32
	v_fmac_f32_e32 v74, v66, v30
	v_add_f32_e32 v73, v73, v74
	s_waitcnt vmcnt(29)
	v_mul_f32_e32 v74, v67, v31
	v_fmac_f32_e32 v74, v68, v28
	v_add_f32_e32 v73, v73, v74
	s_waitcnt vmcnt(28) lgkmcnt(0)
	v_mul_f32_e32 v74, v69, v29
	v_fmac_f32_e32 v74, v70, v27
	v_add_f32_e32 v77, v73, v74
	buffer_load_dword v172, off, s[0:3], 0 offset:288
	buffer_load_dword v173, off, s[0:3], 0 offset:292
	ds_read_b128 v[73:76], v1 offset:704
	s_waitcnt vmcnt(29)
	v_mul_f32_e32 v78, v71, v34
	s_waitcnt vmcnt(22)
	v_fmac_f32_e32 v78, v72, v153
	v_add_f32_e32 v81, v77, v78
	ds_read_b128 v[77:80], v1 offset:720
	s_waitcnt lgkmcnt(1)
	v_mul_f32_e32 v82, v73, v36
	v_fmac_f32_e32 v82, v74, v35
	v_add_f32_e32 v81, v81, v82
	v_mul_f32_e32 v82, v75, v38
	buffer_load_dword v174, off, s[0:3], 0 offset:296
	buffer_load_dword v175, off, s[0:3], 0 offset:300
	v_fmac_f32_e32 v82, v76, v37
	v_add_f32_e32 v81, v81, v82
	s_waitcnt lgkmcnt(0)
	v_mul_f32_e32 v82, v77, v40
	buffer_load_dword v176, off, s[0:3], 0 offset:304
	buffer_load_dword v177, off, s[0:3], 0 offset:308
	v_fmac_f32_e32 v82, v78, v39
	v_add_f32_e32 v85, v81, v82
	ds_read_b128 v[81:84], v1 offset:736
	buffer_load_dword v178, off, s[0:3], 0 offset:312
	buffer_load_dword v179, off, s[0:3], 0 offset:316
	s_waitcnt vmcnt(24)
	v_mul_f32_e32 v86, v79, v155
	v_fmac_f32_e32 v86, v80, v154
	v_add_f32_e32 v89, v85, v86
	ds_read_b128 v[85:88], v1 offset:752
	s_waitcnt vmcnt(22) lgkmcnt(1)
	v_mul_f32_e32 v90, v81, v157
	v_fmac_f32_e32 v90, v82, v156
	buffer_load_dword v180, off, s[0:3], 0 offset:320
	buffer_load_dword v181, off, s[0:3], 0 offset:324
	;; [unrolled: 1-line block ×6, first 2 shown]
	v_add_f32_e32 v89, v89, v90
	s_waitcnt vmcnt(26)
	v_mul_f32_e32 v90, v83, v159
	v_fmac_f32_e32 v90, v84, v158
	v_add_f32_e32 v89, v89, v90
	s_waitcnt vmcnt(24) lgkmcnt(0)
	v_mul_f32_e32 v90, v85, v161
	v_fmac_f32_e32 v90, v86, v160
	v_add_f32_e32 v93, v89, v90
	ds_read_b128 v[89:92], v1 offset:768
	buffer_load_dword v186, off, s[0:3], 0 offset:344
	buffer_load_dword v187, off, s[0:3], 0 offset:348
	s_waitcnt vmcnt(24)
	v_mul_f32_e32 v94, v87, v163
	v_fmac_f32_e32 v94, v88, v162
	v_add_f32_e32 v97, v93, v94
	ds_read_b128 v[93:96], v1 offset:784
	buffer_load_dword v188, off, s[0:3], 0 offset:352
	buffer_load_dword v189, off, s[0:3], 0 offset:356
	;; [unrolled: 1-line block ×14, first 2 shown]
	s_waitcnt vmcnt(36) lgkmcnt(1)
	v_mul_f32_e32 v98, v89, v165
	buffer_load_dword v202, off, s[0:3], 0 offset:408
	buffer_load_dword v203, off, s[0:3], 0 offset:412
	v_fmac_f32_e32 v98, v90, v164
	v_add_f32_e32 v97, v97, v98
	s_waitcnt vmcnt(36)
	v_mul_f32_e32 v98, v91, v167
	v_fmac_f32_e32 v98, v92, v166
	v_add_f32_e32 v97, v97, v98
	s_waitcnt vmcnt(34) lgkmcnt(0)
	v_mul_f32_e32 v98, v93, v169
	v_fmac_f32_e32 v98, v94, v168
	v_add_f32_e32 v101, v97, v98
	ds_read_b128 v[97:100], v1 offset:800
	buffer_load_dword v204, off, s[0:3], 0 offset:416
	buffer_load_dword v205, off, s[0:3], 0 offset:420
	;; [unrolled: 1-line block ×6, first 2 shown]
	v_mul_f32_e32 v10, v42, v10
	v_fma_f32 v10, v41, v25, -v10
	v_mul_f32_e32 v9, v44, v9
	v_add_f32_e32 v10, 0, v10
	v_fma_f32 v9, v43, v21, -v9
	v_mul_f32_e32 v8, v46, v8
	v_add_f32_e32 v9, v10, v9
	;; [unrolled: 3-line block ×5, first 2 shown]
	s_waitcnt vmcnt(38)
	v_mul_f32_e32 v102, v95, v171
	v_fmac_f32_e32 v102, v96, v170
	v_add_f32_e32 v105, v101, v102
	ds_read_b128 v[101:104], v1 offset:816
	buffer_load_dword v210, off, s[0:3], 0 offset:440
	buffer_load_dword v211, off, s[0:3], 0 offset:444
	v_fma_f32 v5, v51, v16, -v5
	v_mul_f32_e32 v4, v54, v4
	v_add_f32_e32 v5, v6, v5
	v_fma_f32 v4, v53, v14, -v4
	v_add_f32_e32 v4, v5, v4
	v_mul_f32_e32 v5, v56, v11
	v_fma_f32 v5, v55, v26, -v5
	buffer_load_dword v212, off, s[0:3], 0 offset:448
	buffer_load_dword v213, off, s[0:3], 0 offset:452
	;; [unrolled: 1-line block ×6, first 2 shown]
	v_add_f32_e32 v4, v4, v5
	v_mul_f32_e32 v5, v58, v12
	v_fma_f32 v5, v57, v22, -v5
	v_add_f32_e32 v4, v4, v5
	v_mul_f32_e32 v5, v60, v13
	v_fma_f32 v5, v59, v18, -v5
	v_add_f32_e32 v4, v4, v5
	v_mul_f32_e32 v5, v62, v19
	buffer_load_dword v218, off, s[0:3], 0 offset:472
	buffer_load_dword v219, off, s[0:3], 0 offset:476
	v_fma_f32 v5, v61, v15, -v5
	v_add_f32_e32 v4, v4, v5
	v_mul_f32_e32 v5, v64, v23
	s_waitcnt vmcnt(46) lgkmcnt(1)
	v_mul_f32_e32 v106, v97, v173
	v_fma_f32 v5, v63, v33, -v5
	v_fmac_f32_e32 v106, v98, v172
	v_add_f32_e32 v4, v4, v5
	v_mul_f32_e32 v5, v66, v32
	v_add_f32_e32 v105, v105, v106
	s_waitcnt vmcnt(44)
	v_mul_f32_e32 v106, v99, v175
	v_fma_f32 v5, v65, v30, -v5
	v_fmac_f32_e32 v106, v100, v174
	v_add_f32_e32 v4, v4, v5
	v_mul_f32_e32 v5, v68, v31
	v_add_f32_e32 v105, v105, v106
	s_waitcnt vmcnt(42) lgkmcnt(0)
	v_mul_f32_e32 v106, v101, v177
	buffer_load_dword v220, off, s[0:3], 0 offset:480
	buffer_load_dword v221, off, s[0:3], 0 offset:484
	;; [unrolled: 1-line block ×6, first 2 shown]
	v_fma_f32 v5, v67, v28, -v5
	v_fmac_f32_e32 v106, v102, v176
	s_waitcnt vmcnt(46)
	v_mul_f32_e32 v110, v103, v179
	v_add_f32_e32 v4, v4, v5
	v_mul_f32_e32 v5, v70, v29
	v_add_f32_e32 v109, v105, v106
	v_fmac_f32_e32 v110, v104, v178
	v_fma_f32 v5, v69, v27, -v5
	ds_read_b128 v[105:108], v1 offset:832
	v_add_f32_e32 v113, v109, v110
	ds_read_b128 v[109:112], v1 offset:848
	buffer_load_dword v226, off, s[0:3], 0 offset:504
	buffer_load_dword v227, off, s[0:3], 0 offset:508
	v_add_f32_e32 v4, v4, v5
	v_mul_f32_e32 v5, v72, v34
	v_fma_f32 v5, v71, v153, -v5
	v_add_f32_e32 v4, v4, v5
	v_mul_f32_e32 v5, v74, v36
	v_fma_f32 v5, v73, v35, -v5
	;; [unrolled: 3-line block ×9, first 2 shown]
	v_add_f32_e32 v4, v4, v5
	v_mul_f32_e32 v5, v90, v165
	s_waitcnt vmcnt(46) lgkmcnt(1)
	v_mul_f32_e32 v114, v105, v181
	v_fma_f32 v5, v89, v164, -v5
	v_fmac_f32_e32 v114, v106, v180
	v_add_f32_e32 v4, v4, v5
	v_mul_f32_e32 v5, v92, v167
	v_add_f32_e32 v113, v113, v114
	s_waitcnt vmcnt(45)
	v_mul_f32_e32 v114, v107, v182
	v_fma_f32 v5, v91, v166, -v5
	s_waitcnt vmcnt(42)
	v_fmac_f32_e32 v114, v108, v185
	v_add_f32_e32 v4, v4, v5
	v_mul_f32_e32 v5, v94, v169
	v_add_f32_e32 v113, v113, v114
	s_waitcnt lgkmcnt(0)
	v_mul_f32_e32 v114, v109, v184
	v_fma_f32 v5, v93, v168, -v5
	v_fmac_f32_e32 v114, v110, v183
	v_add_f32_e32 v4, v4, v5
	v_mul_f32_e32 v5, v96, v171
	v_add_f32_e32 v117, v113, v114
	ds_read_b128 v[113:116], v1 offset:864
	v_fma_f32 v5, v95, v170, -v5
	v_add_f32_e32 v4, v4, v5
	v_mul_f32_e32 v5, v98, v173
	s_waitcnt vmcnt(40)
	v_mul_f32_e32 v118, v111, v187
	v_fma_f32 v5, v97, v172, -v5
	v_fmac_f32_e32 v118, v112, v186
	v_add_f32_e32 v4, v4, v5
	v_mul_f32_e32 v5, v100, v175
	v_add_f32_e32 v121, v117, v118
	ds_read_b128 v[117:120], v1 offset:880
	v_fma_f32 v5, v99, v174, -v5
	s_waitcnt vmcnt(38) lgkmcnt(1)
	v_mul_f32_e32 v122, v113, v189
	v_add_f32_e32 v4, v4, v5
	v_mul_f32_e32 v5, v102, v177
	v_fmac_f32_e32 v122, v114, v188
	v_fma_f32 v5, v101, v176, -v5
	v_add_f32_e32 v121, v121, v122
	s_waitcnt vmcnt(37)
	v_mul_f32_e32 v122, v115, v190
	v_add_f32_e32 v4, v4, v5
	v_mul_f32_e32 v5, v104, v179
	s_waitcnt vmcnt(34)
	v_fmac_f32_e32 v122, v116, v193
	v_fma_f32 v5, v103, v178, -v5
	v_add_f32_e32 v121, v121, v122
	s_waitcnt lgkmcnt(0)
	v_mul_f32_e32 v122, v117, v192
	v_add_f32_e32 v4, v4, v5
	v_mul_f32_e32 v5, v106, v181
	v_fmac_f32_e32 v122, v118, v191
	v_fma_f32 v5, v105, v180, -v5
	v_add_f32_e32 v125, v121, v122
	ds_read_b128 v[121:124], v1 offset:896
	v_add_f32_e32 v4, v4, v5
	v_mul_f32_e32 v5, v108, v182
	v_fma_f32 v5, v107, v185, -v5
	s_waitcnt vmcnt(32)
	v_mul_f32_e32 v126, v119, v195
	v_add_f32_e32 v4, v4, v5
	v_mul_f32_e32 v5, v110, v184
	v_fmac_f32_e32 v126, v120, v194
	v_fma_f32 v5, v109, v183, -v5
	v_add_f32_e32 v129, v125, v126
	ds_read_b128 v[125:128], v1 offset:912
	v_add_f32_e32 v4, v4, v5
	v_mul_f32_e32 v5, v112, v187
	s_waitcnt vmcnt(30) lgkmcnt(1)
	v_mul_f32_e32 v130, v121, v197
	v_fma_f32 v5, v111, v186, -v5
	v_fmac_f32_e32 v130, v122, v196
	v_add_f32_e32 v4, v4, v5
	v_mul_f32_e32 v5, v114, v189
	v_add_f32_e32 v129, v129, v130
	s_waitcnt vmcnt(29)
	v_mul_f32_e32 v130, v123, v198
	v_fma_f32 v5, v113, v188, -v5
	s_waitcnt vmcnt(26)
	v_fmac_f32_e32 v130, v124, v201
	v_add_f32_e32 v4, v4, v5
	v_mul_f32_e32 v5, v116, v190
	v_add_f32_e32 v129, v129, v130
	s_waitcnt lgkmcnt(0)
	v_mul_f32_e32 v130, v125, v200
	v_fma_f32 v5, v115, v193, -v5
	v_fmac_f32_e32 v130, v126, v199
	v_add_f32_e32 v4, v4, v5
	v_mul_f32_e32 v5, v118, v192
	v_add_f32_e32 v133, v129, v130
	ds_read_b128 v[129:132], v1 offset:928
	v_fma_f32 v5, v117, v191, -v5
	v_add_f32_e32 v4, v4, v5
	v_mul_f32_e32 v5, v120, v195
	s_waitcnt vmcnt(24)
	v_mul_f32_e32 v134, v127, v203
	v_fma_f32 v5, v119, v194, -v5
	v_fmac_f32_e32 v134, v128, v202
	v_add_f32_e32 v4, v4, v5
	v_mul_f32_e32 v5, v122, v197
	v_add_f32_e32 v137, v133, v134
	ds_read_b128 v[133:136], v1 offset:944
	v_fma_f32 v5, v121, v196, -v5
	s_waitcnt vmcnt(22) lgkmcnt(1)
	v_mul_f32_e32 v138, v129, v205
	v_add_f32_e32 v4, v4, v5
	v_mul_f32_e32 v5, v124, v198
	v_fmac_f32_e32 v138, v130, v204
	v_fma_f32 v5, v123, v201, -v5
	v_add_f32_e32 v137, v137, v138
	s_waitcnt vmcnt(21)
	v_mul_f32_e32 v138, v131, v206
	v_add_f32_e32 v4, v4, v5
	v_mul_f32_e32 v5, v126, v200
	s_waitcnt vmcnt(18)
	v_fmac_f32_e32 v138, v132, v209
	v_fma_f32 v5, v125, v199, -v5
	v_add_f32_e32 v137, v137, v138
	s_waitcnt lgkmcnt(0)
	v_mul_f32_e32 v138, v133, v208
	v_add_f32_e32 v4, v4, v5
	v_mul_f32_e32 v5, v128, v203
	v_fmac_f32_e32 v138, v134, v207
	v_fma_f32 v5, v127, v202, -v5
	v_add_f32_e32 v141, v137, v138
	ds_read_b128 v[137:140], v1 offset:960
	v_add_f32_e32 v4, v4, v5
	v_mul_f32_e32 v5, v130, v205
	v_fma_f32 v5, v129, v204, -v5
	s_waitcnt vmcnt(16)
	v_mul_f32_e32 v142, v135, v211
	v_add_f32_e32 v4, v4, v5
	v_mul_f32_e32 v5, v132, v206
	v_fmac_f32_e32 v142, v136, v210
	v_fma_f32 v5, v131, v209, -v5
	v_add_f32_e32 v145, v141, v142
	ds_read_b128 v[141:144], v1 offset:976
	v_add_f32_e32 v4, v4, v5
	v_mul_f32_e32 v5, v134, v208
	s_waitcnt vmcnt(14) lgkmcnt(1)
	v_mul_f32_e32 v146, v137, v213
	v_fma_f32 v5, v133, v207, -v5
	v_fmac_f32_e32 v146, v138, v212
	v_add_f32_e32 v4, v4, v5
	v_mul_f32_e32 v5, v136, v211
	v_add_f32_e32 v145, v145, v146
	s_waitcnt vmcnt(13)
	v_mul_f32_e32 v146, v139, v214
	v_fma_f32 v5, v135, v210, -v5
	s_waitcnt vmcnt(10)
	v_fmac_f32_e32 v146, v140, v217
	v_add_f32_e32 v4, v4, v5
	v_mul_f32_e32 v5, v138, v213
	v_add_f32_e32 v145, v145, v146
	s_waitcnt lgkmcnt(0)
	v_mul_f32_e32 v146, v141, v216
	v_fma_f32 v5, v137, v212, -v5
	v_fmac_f32_e32 v146, v142, v215
	v_add_f32_e32 v4, v4, v5
	v_mul_f32_e32 v5, v140, v214
	v_add_f32_e32 v149, v145, v146
	ds_read_b128 v[145:148], v1 offset:992
	v_fma_f32 v5, v139, v217, -v5
	v_add_f32_e32 v4, v4, v5
	v_mul_f32_e32 v5, v142, v216
	s_waitcnt vmcnt(8)
	v_mul_f32_e32 v150, v143, v219
	v_fma_f32 v5, v141, v215, -v5
	v_fmac_f32_e32 v150, v144, v218
	v_add_f32_e32 v4, v4, v5
	v_mul_f32_e32 v5, v144, v219
	v_add_f32_e32 v228, v149, v150
	ds_read_b128 v[149:152], v1 offset:1008
	v_fma_f32 v5, v143, v218, -v5
	v_add_f32_e32 v4, v4, v5
	s_waitcnt vmcnt(6) lgkmcnt(1)
	v_mul_f32_e32 v5, v146, v221
	v_mul_f32_e32 v1, v145, v221
	v_fma_f32 v5, v145, v220, -v5
	v_fmac_f32_e32 v1, v146, v220
	v_add_f32_e32 v4, v4, v5
	s_waitcnt vmcnt(5)
	v_mul_f32_e32 v5, v148, v222
	v_add_f32_e32 v1, v228, v1
	v_mul_f32_e32 v228, v147, v222
	s_waitcnt vmcnt(2)
	v_fma_f32 v5, v147, v225, -v5
	v_fmac_f32_e32 v228, v148, v225
	v_add_f32_e32 v4, v4, v5
	s_waitcnt lgkmcnt(0)
	v_mul_f32_e32 v5, v150, v224
	v_add_f32_e32 v1, v1, v228
	v_mul_f32_e32 v228, v149, v224
	v_fma_f32 v5, v149, v223, -v5
	v_fmac_f32_e32 v228, v150, v223
	v_add_f32_e32 v4, v4, v5
	s_waitcnt vmcnt(0)
	v_mul_f32_e32 v5, v152, v227
	v_add_f32_e32 v1, v1, v228
	v_mul_f32_e32 v228, v151, v227
	v_fma_f32 v5, v151, v226, -v5
	v_fmac_f32_e32 v228, v152, v226
	v_add_f32_e32 v4, v4, v5
	v_add_f32_e32 v1, v1, v228
	v_sub_f32_e32 v2, v2, v4
	v_sub_f32_e32 v1, v3, v1
	buffer_store_dword v2, off, s[0:3], 0 offset:56
	buffer_store_dword v1, off, s[0:3], 0 offset:60
	s_and_saveexec_b64 s[4:5], vcc
	s_cbranch_execz .LBB63_385
; %bb.384:
	buffer_load_dword v1, off, s[0:3], 0 offset:48
	buffer_load_dword v2, off, s[0:3], 0 offset:52
	v_mov_b32_e32 v3, 0
	buffer_store_dword v3, off, s[0:3], 0 offset:48
	buffer_store_dword v3, off, s[0:3], 0 offset:52
	s_waitcnt vmcnt(2)
	ds_write_b64 v249, v[1:2]
.LBB63_385:
	s_or_b64 exec, exec, s[4:5]
	s_waitcnt lgkmcnt(0)
	; wave barrier
	buffer_load_dword v9, off, s[0:3], 0 offset:60
	buffer_load_dword v8, off, s[0:3], 0 offset:68
	;; [unrolled: 1-line block ×52, first 2 shown]
	v_mov_b32_e32 v25, 0
	ds_read2_b64 v[54:57], v25 offset0:71 offset1:72
	ds_read2_b64 v[58:61], v25 offset0:73 offset1:74
	;; [unrolled: 1-line block ×6, first 2 shown]
	buffer_load_dword v168, off, s[0:3], 0 offset:260
	buffer_load_dword v169, off, s[0:3], 0 offset:256
	;; [unrolled: 1-line block ×4, first 2 shown]
	v_cmp_lt_u32_e32 vcc, 5, v0
	s_waitcnt vmcnt(55) lgkmcnt(5)
	v_mul_f32_e32 v78, v54, v9
	s_waitcnt vmcnt(54)
	v_mul_f32_e32 v79, v56, v8
	s_waitcnt vmcnt(53) lgkmcnt(4)
	v_mul_f32_e32 v80, v58, v7
	s_waitcnt vmcnt(52)
	v_mul_f32_e32 v81, v60, v6
	;; [unrolled: 4-line block ×3, first 2 shown]
	s_waitcnt vmcnt(49) lgkmcnt(2)
	v_mul_f32_e32 v84, v66, v3
	s_waitcnt vmcnt(48)
	v_fmac_f32_e32 v80, v59, v14
	s_waitcnt vmcnt(47)
	v_fmac_f32_e32 v79, v57, v16
	;; [unrolled: 2-line block ×3, first 2 shown]
	v_add_f32_e32 v78, 0, v78
	v_add_f32_e32 v78, v78, v79
	;; [unrolled: 1-line block ×3, first 2 shown]
	s_waitcnt vmcnt(45)
	v_mul_f32_e32 v85, v68, v12
	s_waitcnt vmcnt(41)
	v_fmac_f32_e32 v84, v67, v20
	s_waitcnt vmcnt(40)
	v_fmac_f32_e32 v83, v65, v22
	;; [unrolled: 2-line block ×4, first 2 shown]
	v_add_f32_e32 v78, v78, v81
	v_add_f32_e32 v78, v78, v82
	;; [unrolled: 1-line block ×3, first 2 shown]
	s_waitcnt lgkmcnt(1)
	v_mul_f32_e32 v86, v70, v11
	s_waitcnt vmcnt(34)
	v_fmac_f32_e32 v85, v69, v23
	v_add_f32_e32 v78, v78, v84
	v_mul_f32_e32 v87, v72, v10
	v_fmac_f32_e32 v86, v71, v21
	v_add_f32_e32 v78, v78, v85
	s_waitcnt lgkmcnt(0)
	v_mul_f32_e32 v88, v74, v13
	v_fmac_f32_e32 v87, v73, v17
	v_add_f32_e32 v78, v78, v86
	v_add_f32_e32 v78, v78, v87
	v_fmac_f32_e32 v88, v75, v15
	v_add_f32_e32 v82, v78, v88
	ds_read2_b64 v[78:81], v25 offset0:83 offset1:84
	buffer_load_dword v172, off, s[0:3], 0 offset:272
	buffer_load_dword v173, off, s[0:3], 0 offset:276
	s_waitcnt vmcnt(35)
	v_mul_f32_e32 v83, v76, v18
	s_waitcnt vmcnt(31)
	v_fmac_f32_e32 v83, v77, v33
	v_add_f32_e32 v86, v82, v83
	ds_read2_b64 v[82:85], v25 offset0:85 offset1:86
	s_waitcnt vmcnt(30) lgkmcnt(1)
	v_mul_f32_e32 v87, v78, v32
	v_fmac_f32_e32 v87, v79, v30
	v_add_f32_e32 v86, v86, v87
	s_waitcnt vmcnt(29)
	v_mul_f32_e32 v87, v80, v31
	v_fmac_f32_e32 v87, v81, v28
	v_add_f32_e32 v86, v86, v87
	s_waitcnt vmcnt(28) lgkmcnt(0)
	v_mul_f32_e32 v87, v82, v29
	v_fmac_f32_e32 v87, v83, v27
	v_add_f32_e32 v86, v86, v87
	s_waitcnt vmcnt(25)
	v_mul_f32_e32 v87, v84, v35
	s_waitcnt vmcnt(24)
	v_fmac_f32_e32 v87, v85, v34
	buffer_load_dword v174, off, s[0:3], 0 offset:284
	v_add_f32_e32 v94, v86, v87
	ds_read2_b64 v[86:89], v25 offset0:87 offset1:88
	ds_read2_b64 v[90:93], v25 offset0:89 offset1:90
	buffer_load_dword v175, off, s[0:3], 0 offset:280
	buffer_load_dword v176, off, s[0:3], 0 offset:288
	;; [unrolled: 1-line block ×5, first 2 shown]
	v_mul_f32_e32 v9, v55, v9
	s_waitcnt vmcnt(28) lgkmcnt(1)
	v_mul_f32_e32 v95, v86, v37
	v_fmac_f32_e32 v95, v87, v36
	v_add_f32_e32 v94, v94, v95
	s_waitcnt vmcnt(26)
	v_mul_f32_e32 v95, v88, v39
	v_fmac_f32_e32 v95, v89, v38
	v_add_f32_e32 v94, v94, v95
	s_waitcnt vmcnt(24) lgkmcnt(0)
	v_mul_f32_e32 v95, v90, v41
	v_fmac_f32_e32 v95, v91, v40
	v_add_f32_e32 v98, v94, v95
	ds_read2_b64 v[94:97], v25 offset0:91 offset1:92
	buffer_load_dword v180, off, s[0:3], 0 offset:304
	buffer_load_dword v181, off, s[0:3], 0 offset:308
	s_waitcnt vmcnt(24)
	v_mul_f32_e32 v99, v92, v43
	v_fmac_f32_e32 v99, v93, v42
	v_add_f32_e32 v102, v98, v99
	ds_read2_b64 v[98:101], v25 offset0:93 offset1:94
	s_waitcnt vmcnt(22) lgkmcnt(1)
	v_mul_f32_e32 v103, v94, v45
	v_fmac_f32_e32 v103, v95, v44
	v_add_f32_e32 v102, v102, v103
	s_waitcnt vmcnt(20)
	v_mul_f32_e32 v103, v96, v47
	buffer_load_dword v182, off, s[0:3], 0 offset:312
	buffer_load_dword v183, off, s[0:3], 0 offset:316
	v_fmac_f32_e32 v103, v97, v46
	v_add_f32_e32 v102, v102, v103
	s_waitcnt vmcnt(20) lgkmcnt(0)
	v_mul_f32_e32 v103, v98, v49
	v_fmac_f32_e32 v103, v99, v48
	v_add_f32_e32 v106, v102, v103
	ds_read2_b64 v[102:105], v25 offset0:95 offset1:96
	buffer_load_dword v184, off, s[0:3], 0 offset:324
	buffer_load_dword v185, off, s[0:3], 0 offset:328
	;; [unrolled: 1-line block ×4, first 2 shown]
	s_waitcnt vmcnt(22)
	v_mul_f32_e32 v107, v100, v51
	v_fmac_f32_e32 v107, v101, v50
	v_add_f32_e32 v110, v106, v107
	ds_read2_b64 v[106:109], v25 offset0:97 offset1:98
	buffer_load_dword v188, off, s[0:3], 0 offset:336
	buffer_load_dword v189, off, s[0:3], 0 offset:340
	;; [unrolled: 1-line block ×10, first 2 shown]
	s_waitcnt vmcnt(30) lgkmcnt(1)
	v_mul_f32_e32 v111, v102, v53
	v_fmac_f32_e32 v111, v103, v52
	buffer_load_dword v198, off, s[0:3], 0 offset:376
	buffer_load_dword v199, off, s[0:3], 0 offset:380
	;; [unrolled: 1-line block ×6, first 2 shown]
	v_add_f32_e32 v110, v110, v111
	s_waitcnt vmcnt(35)
	v_mul_f32_e32 v111, v104, v168
	s_waitcnt vmcnt(34)
	v_fmac_f32_e32 v111, v105, v169
	v_add_f32_e32 v110, v110, v111
	s_waitcnt vmcnt(32) lgkmcnt(0)
	v_mul_f32_e32 v111, v106, v171
	v_fmac_f32_e32 v111, v107, v170
	v_add_f32_e32 v114, v110, v111
	ds_read2_b64 v[110:113], v25 offset0:99 offset1:100
	buffer_load_dword v204, off, s[0:3], 0 offset:400
	buffer_load_dword v205, off, s[0:3], 0 offset:404
	v_fma_f32 v9, v54, v19, -v9
	v_mul_f32_e32 v8, v57, v8
	v_add_f32_e32 v9, 0, v9
	v_fma_f32 v8, v56, v16, -v8
	v_mul_f32_e32 v7, v59, v7
	v_add_f32_e32 v8, v9, v8
	;; [unrolled: 3-line block ×4, first 2 shown]
	s_waitcnt vmcnt(32)
	v_mul_f32_e32 v115, v108, v173
	v_fmac_f32_e32 v115, v109, v172
	v_add_f32_e32 v118, v114, v115
	ds_read2_b64 v[114:117], v25 offset0:101 offset1:102
	buffer_load_dword v206, off, s[0:3], 0 offset:408
	buffer_load_dword v207, off, s[0:3], 0 offset:412
	buffer_load_dword v208, off, s[0:3], 0 offset:420
	buffer_load_dword v209, off, s[0:3], 0 offset:424
	buffer_load_dword v210, off, s[0:3], 0 offset:428
	buffer_load_dword v211, off, s[0:3], 0 offset:416
	buffer_load_dword v212, off, s[0:3], 0 offset:432
	buffer_load_dword v213, off, s[0:3], 0 offset:436
	v_fma_f32 v5, v62, v24, -v5
	v_mul_f32_e32 v4, v65, v4
	v_add_f32_e32 v5, v6, v5
	v_fma_f32 v4, v64, v22, -v4
	v_mul_f32_e32 v3, v67, v3
	v_add_f32_e32 v4, v5, v4
	v_fma_f32 v3, v66, v20, -v3
	v_add_f32_e32 v3, v4, v3
	v_mul_f32_e32 v4, v69, v12
	buffer_load_dword v214, off, s[0:3], 0 offset:440
	buffer_load_dword v215, off, s[0:3], 0 offset:444
	;; [unrolled: 1-line block ×6, first 2 shown]
	v_fma_f32 v4, v68, v23, -v4
	v_add_f32_e32 v3, v3, v4
	v_mul_f32_e32 v4, v71, v11
	v_fma_f32 v4, v70, v21, -v4
	v_add_f32_e32 v3, v3, v4
	v_mul_f32_e32 v4, v73, v10
	v_fma_f32 v4, v72, v17, -v4
	s_waitcnt vmcnt(45) lgkmcnt(1)
	v_mul_f32_e32 v119, v110, v174
	v_add_f32_e32 v3, v3, v4
	v_mul_f32_e32 v4, v75, v13
	s_waitcnt vmcnt(44)
	v_fmac_f32_e32 v119, v111, v175
	buffer_load_dword v220, off, s[0:3], 0 offset:464
	buffer_load_dword v221, off, s[0:3], 0 offset:468
	v_fma_f32 v4, v74, v15, -v4
	v_add_f32_e32 v118, v118, v119
	s_waitcnt vmcnt(44)
	v_mul_f32_e32 v119, v112, v177
	v_add_f32_e32 v3, v3, v4
	v_mul_f32_e32 v4, v77, v18
	v_fmac_f32_e32 v119, v113, v176
	v_fma_f32 v4, v76, v33, -v4
	v_add_f32_e32 v118, v118, v119
	s_waitcnt vmcnt(42) lgkmcnt(0)
	v_mul_f32_e32 v119, v114, v179
	v_add_f32_e32 v3, v3, v4
	v_mul_f32_e32 v4, v79, v32
	v_fmac_f32_e32 v119, v115, v178
	v_fma_f32 v4, v78, v30, -v4
	v_add_f32_e32 v122, v118, v119
	ds_read2_b64 v[118:121], v25 offset0:103 offset1:104
	buffer_load_dword v222, off, s[0:3], 0 offset:472
	buffer_load_dword v223, off, s[0:3], 0 offset:476
	;; [unrolled: 1-line block ×6, first 2 shown]
	v_add_f32_e32 v3, v3, v4
	v_mul_f32_e32 v4, v81, v31
	v_fma_f32 v4, v80, v28, -v4
	v_add_f32_e32 v3, v3, v4
	v_mul_f32_e32 v4, v83, v29
	s_waitcnt vmcnt(46)
	v_mul_f32_e32 v123, v116, v181
	v_fma_f32 v4, v82, v27, -v4
	v_fmac_f32_e32 v123, v117, v180
	v_add_f32_e32 v3, v3, v4
	v_mul_f32_e32 v4, v85, v35
	v_add_f32_e32 v126, v122, v123
	ds_read2_b64 v[122:125], v25 offset0:105 offset1:106
	buffer_load_dword v228, off, s[0:3], 0 offset:500
	buffer_load_dword v229, off, s[0:3], 0 offset:504
	;; [unrolled: 1-line block ×4, first 2 shown]
	v_fma_f32 v4, v84, v34, -v4
	v_add_f32_e32 v3, v3, v4
	v_mul_f32_e32 v4, v87, v37
	v_fma_f32 v4, v86, v36, -v4
	v_add_f32_e32 v3, v3, v4
	v_mul_f32_e32 v4, v89, v39
	;; [unrolled: 3-line block ×8, first 2 shown]
	v_fma_f32 v4, v100, v50, -v4
	s_waitcnt vmcnt(48) lgkmcnt(1)
	v_mul_f32_e32 v127, v118, v183
	v_add_f32_e32 v3, v3, v4
	v_mul_f32_e32 v4, v103, v53
	v_fmac_f32_e32 v127, v119, v182
	v_fma_f32 v4, v102, v52, -v4
	v_add_f32_e32 v126, v126, v127
	s_waitcnt vmcnt(47)
	v_mul_f32_e32 v127, v120, v184
	v_add_f32_e32 v3, v3, v4
	v_mul_f32_e32 v4, v105, v168
	s_waitcnt vmcnt(44)
	v_fmac_f32_e32 v127, v121, v187
	v_fma_f32 v4, v104, v169, -v4
	v_add_f32_e32 v126, v126, v127
	s_waitcnt lgkmcnt(0)
	v_mul_f32_e32 v127, v122, v186
	v_add_f32_e32 v3, v3, v4
	v_mul_f32_e32 v4, v107, v171
	v_fmac_f32_e32 v127, v123, v185
	v_fma_f32 v4, v106, v170, -v4
	v_add_f32_e32 v130, v126, v127
	ds_read2_b64 v[126:129], v25 offset0:107 offset1:108
	v_add_f32_e32 v3, v3, v4
	v_mul_f32_e32 v4, v109, v173
	v_fma_f32 v4, v108, v172, -v4
	s_waitcnt vmcnt(42)
	v_mul_f32_e32 v131, v124, v189
	v_add_f32_e32 v3, v3, v4
	v_mul_f32_e32 v4, v111, v174
	v_fmac_f32_e32 v131, v125, v188
	v_fma_f32 v4, v110, v175, -v4
	v_add_f32_e32 v134, v130, v131
	ds_read2_b64 v[130:133], v25 offset0:109 offset1:110
	v_add_f32_e32 v3, v3, v4
	v_mul_f32_e32 v4, v113, v177
	s_waitcnt vmcnt(40) lgkmcnt(1)
	v_mul_f32_e32 v135, v126, v191
	v_fma_f32 v4, v112, v176, -v4
	v_fmac_f32_e32 v135, v127, v190
	v_add_f32_e32 v3, v3, v4
	v_mul_f32_e32 v4, v115, v179
	v_add_f32_e32 v134, v134, v135
	s_waitcnt vmcnt(39)
	v_mul_f32_e32 v135, v128, v192
	v_fma_f32 v4, v114, v178, -v4
	s_waitcnt vmcnt(36)
	v_fmac_f32_e32 v135, v129, v195
	v_add_f32_e32 v3, v3, v4
	v_mul_f32_e32 v4, v117, v181
	v_add_f32_e32 v134, v134, v135
	s_waitcnt lgkmcnt(0)
	v_mul_f32_e32 v135, v130, v194
	v_fma_f32 v4, v116, v180, -v4
	v_fmac_f32_e32 v135, v131, v193
	v_add_f32_e32 v3, v3, v4
	v_mul_f32_e32 v4, v119, v183
	v_add_f32_e32 v138, v134, v135
	ds_read2_b64 v[134:137], v25 offset0:111 offset1:112
	v_fma_f32 v4, v118, v182, -v4
	v_add_f32_e32 v3, v3, v4
	v_mul_f32_e32 v4, v121, v184
	s_waitcnt vmcnt(34)
	v_mul_f32_e32 v139, v132, v197
	v_fma_f32 v4, v120, v187, -v4
	v_fmac_f32_e32 v139, v133, v196
	v_add_f32_e32 v3, v3, v4
	v_mul_f32_e32 v4, v123, v186
	v_add_f32_e32 v142, v138, v139
	ds_read2_b64 v[138:141], v25 offset0:113 offset1:114
	v_fma_f32 v4, v122, v185, -v4
	s_waitcnt vmcnt(32) lgkmcnt(1)
	v_mul_f32_e32 v143, v134, v199
	v_add_f32_e32 v3, v3, v4
	v_mul_f32_e32 v4, v125, v189
	v_fmac_f32_e32 v143, v135, v198
	v_fma_f32 v4, v124, v188, -v4
	v_add_f32_e32 v142, v142, v143
	s_waitcnt vmcnt(31)
	v_mul_f32_e32 v143, v136, v200
	v_add_f32_e32 v3, v3, v4
	v_mul_f32_e32 v4, v127, v191
	s_waitcnt vmcnt(28)
	v_fmac_f32_e32 v143, v137, v203
	v_fma_f32 v4, v126, v190, -v4
	v_add_f32_e32 v142, v142, v143
	s_waitcnt lgkmcnt(0)
	v_mul_f32_e32 v143, v138, v202
	v_add_f32_e32 v3, v3, v4
	v_mul_f32_e32 v4, v129, v192
	v_fmac_f32_e32 v143, v139, v201
	v_fma_f32 v4, v128, v195, -v4
	v_add_f32_e32 v146, v142, v143
	ds_read2_b64 v[142:145], v25 offset0:115 offset1:116
	v_add_f32_e32 v3, v3, v4
	v_mul_f32_e32 v4, v131, v194
	v_fma_f32 v4, v130, v193, -v4
	s_waitcnt vmcnt(26)
	v_mul_f32_e32 v147, v140, v205
	v_add_f32_e32 v3, v3, v4
	v_mul_f32_e32 v4, v133, v197
	v_fmac_f32_e32 v147, v141, v204
	v_fma_f32 v4, v132, v196, -v4
	v_add_f32_e32 v150, v146, v147
	ds_read2_b64 v[146:149], v25 offset0:117 offset1:118
	v_add_f32_e32 v3, v3, v4
	v_mul_f32_e32 v4, v135, v199
	s_waitcnt vmcnt(24) lgkmcnt(1)
	v_mul_f32_e32 v151, v142, v207
	v_fma_f32 v4, v134, v198, -v4
	v_fmac_f32_e32 v151, v143, v206
	v_add_f32_e32 v3, v3, v4
	v_mul_f32_e32 v4, v137, v200
	v_add_f32_e32 v150, v150, v151
	s_waitcnt vmcnt(23)
	v_mul_f32_e32 v151, v144, v208
	v_fma_f32 v4, v136, v203, -v4
	s_waitcnt vmcnt(20)
	v_fmac_f32_e32 v151, v145, v211
	v_add_f32_e32 v3, v3, v4
	v_mul_f32_e32 v4, v139, v202
	v_add_f32_e32 v150, v150, v151
	s_waitcnt lgkmcnt(0)
	v_mul_f32_e32 v151, v146, v210
	v_fma_f32 v4, v138, v201, -v4
	v_fmac_f32_e32 v151, v147, v209
	v_add_f32_e32 v3, v3, v4
	v_mul_f32_e32 v4, v141, v205
	v_add_f32_e32 v154, v150, v151
	ds_read2_b64 v[150:153], v25 offset0:119 offset1:120
	v_fma_f32 v4, v140, v204, -v4
	v_add_f32_e32 v3, v3, v4
	v_mul_f32_e32 v4, v143, v207
	s_waitcnt vmcnt(18)
	v_mul_f32_e32 v155, v148, v213
	v_fma_f32 v4, v142, v206, -v4
	v_fmac_f32_e32 v155, v149, v212
	v_add_f32_e32 v3, v3, v4
	v_mul_f32_e32 v4, v145, v208
	v_add_f32_e32 v158, v154, v155
	ds_read2_b64 v[154:157], v25 offset0:121 offset1:122
	v_fma_f32 v4, v144, v211, -v4
	s_waitcnt vmcnt(16) lgkmcnt(1)
	v_mul_f32_e32 v159, v150, v215
	v_add_f32_e32 v3, v3, v4
	v_mul_f32_e32 v4, v147, v210
	v_fmac_f32_e32 v159, v151, v214
	v_fma_f32 v4, v146, v209, -v4
	v_add_f32_e32 v158, v158, v159
	s_waitcnt vmcnt(15)
	v_mul_f32_e32 v159, v152, v216
	v_add_f32_e32 v3, v3, v4
	v_mul_f32_e32 v4, v149, v213
	s_waitcnt vmcnt(12)
	v_fmac_f32_e32 v159, v153, v219
	v_fma_f32 v4, v148, v212, -v4
	v_add_f32_e32 v158, v158, v159
	s_waitcnt lgkmcnt(0)
	v_mul_f32_e32 v159, v154, v218
	v_add_f32_e32 v3, v3, v4
	v_mul_f32_e32 v4, v151, v215
	v_fmac_f32_e32 v159, v155, v217
	v_fma_f32 v4, v150, v214, -v4
	v_add_f32_e32 v162, v158, v159
	ds_read2_b64 v[158:161], v25 offset0:123 offset1:124
	v_add_f32_e32 v3, v3, v4
	v_mul_f32_e32 v4, v153, v216
	v_fma_f32 v4, v152, v219, -v4
	v_add_f32_e32 v3, v3, v4
	v_mul_f32_e32 v4, v155, v218
	s_waitcnt vmcnt(10)
	v_mul_f32_e32 v163, v156, v221
	v_fma_f32 v4, v154, v217, -v4
	v_fmac_f32_e32 v163, v157, v220
	v_add_f32_e32 v3, v3, v4
	v_mul_f32_e32 v4, v157, v221
	v_add_f32_e32 v166, v162, v163
	ds_read2_b64 v[162:165], v25 offset0:125 offset1:126
	s_waitcnt vmcnt(8) lgkmcnt(1)
	v_mul_f32_e32 v167, v158, v223
	v_fma_f32 v4, v156, v220, -v4
	v_fmac_f32_e32 v167, v159, v222
	v_add_f32_e32 v3, v3, v4
	v_mul_f32_e32 v4, v159, v223
	v_add_f32_e32 v166, v166, v167
	s_waitcnt vmcnt(7)
	v_mul_f32_e32 v167, v160, v224
	v_fma_f32 v4, v158, v222, -v4
	s_waitcnt vmcnt(4)
	v_fmac_f32_e32 v167, v161, v227
	v_add_f32_e32 v3, v3, v4
	v_mul_f32_e32 v4, v161, v224
	v_add_f32_e32 v232, v166, v167
	ds_read_b64 v[166:167], v25 offset:1016
	v_fma_f32 v4, v160, v227, -v4
	v_add_f32_e32 v3, v3, v4
	s_waitcnt lgkmcnt(1)
	v_mul_f32_e32 v4, v163, v226
	v_mul_f32_e32 v233, v162, v226
	v_fma_f32 v4, v162, v225, -v4
	v_fmac_f32_e32 v233, v163, v225
	v_add_f32_e32 v3, v3, v4
	s_waitcnt vmcnt(3)
	v_mul_f32_e32 v4, v165, v228
	v_add_f32_e32 v232, v232, v233
	v_mul_f32_e32 v233, v164, v228
	s_waitcnt vmcnt(0)
	v_fma_f32 v4, v164, v231, -v4
	v_fmac_f32_e32 v233, v165, v231
	v_add_f32_e32 v3, v3, v4
	s_waitcnt lgkmcnt(0)
	v_mul_f32_e32 v4, v167, v230
	v_add_f32_e32 v232, v232, v233
	v_mul_f32_e32 v233, v166, v230
	v_fma_f32 v4, v166, v229, -v4
	v_fmac_f32_e32 v233, v167, v229
	v_add_f32_e32 v3, v3, v4
	v_add_f32_e32 v232, v232, v233
	v_sub_f32_e32 v1, v1, v3
	v_sub_f32_e32 v2, v2, v232
	buffer_store_dword v1, off, s[0:3], 0 offset:48
	buffer_store_dword v2, off, s[0:3], 0 offset:52
	s_and_saveexec_b64 s[4:5], vcc
	s_cbranch_execz .LBB63_387
; %bb.386:
	buffer_load_dword v1, off, s[0:3], 0 offset:40
	buffer_load_dword v2, off, s[0:3], 0 offset:44
	s_waitcnt vmcnt(0)
	ds_write_b64 v249, v[1:2]
	buffer_store_dword v25, off, s[0:3], 0 offset:40
	buffer_store_dword v25, off, s[0:3], 0 offset:44
.LBB63_387:
	s_or_b64 exec, exec, s[4:5]
	s_waitcnt lgkmcnt(0)
	; wave barrier
	buffer_load_dword v34, off, s[0:3], 0 offset:52
	buffer_load_dword v33, off, s[0:3], 0 offset:60
	;; [unrolled: 1-line block ×34, first 2 shown]
	ds_read_b128 v[17:20], v25 offset:560
	ds_read_b128 v[9:12], v25 offset:576
	;; [unrolled: 1-line block ×4, first 2 shown]
	buffer_load_dword v60, off, s[0:3], 0 offset:180
	buffer_load_dword v61, off, s[0:3], 0 offset:184
	buffer_load_dword v62, off, s[0:3], 0 offset:188
	buffer_load_dword v63, off, s[0:3], 0 offset:192
	buffer_load_dword v64, off, s[0:3], 0 offset:196
	buffer_load_dword v66, off, s[0:3], 0 offset:176
	ds_read_b128 v[21:24], v25 offset:624
	ds_read_b128 v[13:16], v25 offset:640
	buffer_load_dword v65, off, s[0:3], 0 offset:200
	buffer_load_dword v67, off, s[0:3], 0 offset:204
	;; [unrolled: 1-line block ×16, first 2 shown]
	v_cmp_lt_u32_e32 vcc, 4, v0
	s_waitcnt vmcnt(55) lgkmcnt(5)
	v_mul_f32_e32 v79, v17, v34
	s_waitcnt vmcnt(54)
	v_mul_f32_e32 v80, v19, v33
	s_waitcnt vmcnt(53) lgkmcnt(4)
	v_mul_f32_e32 v81, v9, v32
	s_waitcnt vmcnt(52)
	v_mul_f32_e32 v82, v11, v31
	;; [unrolled: 4-line block ×4, first 2 shown]
	s_waitcnt vmcnt(47) lgkmcnt(1)
	v_mul_f32_e32 v87, v21, v36
	s_waitcnt vmcnt(46)
	v_fmac_f32_e32 v81, v10, v39
	s_waitcnt vmcnt(45)
	v_fmac_f32_e32 v80, v20, v42
	;; [unrolled: 2-line block ×3, first 2 shown]
	v_add_f32_e32 v79, 0, v79
	v_add_f32_e32 v79, v79, v80
	;; [unrolled: 1-line block ×3, first 2 shown]
	s_waitcnt vmcnt(40)
	v_fmac_f32_e32 v82, v12, v43
	v_fmac_f32_e32 v83, v6, v40
	v_add_f32_e32 v79, v79, v82
	v_fmac_f32_e32 v84, v8, v38
	v_add_f32_e32 v79, v79, v83
	;; [unrolled: 2-line block ×3, first 2 shown]
	s_waitcnt vmcnt(36)
	v_fmac_f32_e32 v86, v4, v50
	v_add_f32_e32 v79, v79, v85
	v_fmac_f32_e32 v87, v22, v47
	v_add_f32_e32 v79, v79, v86
	s_waitcnt vmcnt(35)
	v_mul_f32_e32 v80, v23, v48
	v_add_f32_e32 v79, v79, v87
	v_fmac_f32_e32 v80, v24, v44
	v_add_f32_e32 v79, v79, v80
	s_waitcnt vmcnt(34) lgkmcnt(0)
	v_mul_f32_e32 v80, v13, v46
	v_fmac_f32_e32 v80, v14, v41
	v_add_f32_e32 v83, v79, v80
	ds_read_b128 v[79:82], v25 offset:656
	buffer_load_dword v174, off, s[0:3], 0 offset:264
	buffer_load_dword v175, off, s[0:3], 0 offset:268
	s_waitcnt vmcnt(35)
	v_mul_f32_e32 v84, v15, v49
	s_waitcnt vmcnt(31)
	v_fmac_f32_e32 v84, v16, v57
	v_add_f32_e32 v87, v83, v84
	ds_read_b128 v[83:86], v25 offset:672
	s_waitcnt vmcnt(30) lgkmcnt(1)
	v_mul_f32_e32 v88, v79, v56
	v_fmac_f32_e32 v88, v80, v54
	v_add_f32_e32 v87, v87, v88
	s_waitcnt vmcnt(29)
	v_mul_f32_e32 v88, v81, v55
	v_fmac_f32_e32 v88, v82, v52
	buffer_load_dword v176, off, s[0:3], 0 offset:272
	buffer_load_dword v177, off, s[0:3], 0 offset:276
	v_add_f32_e32 v87, v87, v88
	s_waitcnt vmcnt(30) lgkmcnt(0)
	v_mul_f32_e32 v88, v83, v53
	v_fmac_f32_e32 v88, v84, v51
	s_waitcnt vmcnt(26)
	v_mul_f32_e32 v92, v85, v59
	v_add_f32_e32 v91, v87, v88
	v_fmac_f32_e32 v92, v86, v58
	ds_read_b128 v[87:90], v25 offset:688
	v_add_f32_e32 v95, v91, v92
	ds_read_b128 v[91:94], v25 offset:704
	buffer_load_dword v178, off, s[0:3], 0 offset:284
	buffer_load_dword v179, off, s[0:3], 0 offset:280
	;; [unrolled: 1-line block ×6, first 2 shown]
	s_waitcnt vmcnt(31) lgkmcnt(1)
	v_mul_f32_e32 v96, v87, v60
	s_waitcnt vmcnt(26)
	v_fmac_f32_e32 v96, v88, v66
	v_add_f32_e32 v95, v95, v96
	v_mul_f32_e32 v96, v89, v62
	v_fmac_f32_e32 v96, v90, v61
	v_add_f32_e32 v95, v95, v96
	s_waitcnt lgkmcnt(0)
	v_mul_f32_e32 v96, v91, v64
	v_fmac_f32_e32 v96, v92, v63
	v_add_f32_e32 v99, v95, v96
	ds_read_b128 v[95:98], v25 offset:720
	s_waitcnt vmcnt(24)
	v_mul_f32_e32 v100, v93, v67
	v_fmac_f32_e32 v100, v94, v65
	v_add_f32_e32 v103, v99, v100
	ds_read_b128 v[99:102], v25 offset:736
	s_waitcnt vmcnt(22) lgkmcnt(1)
	v_mul_f32_e32 v104, v95, v69
	v_fmac_f32_e32 v104, v96, v68
	buffer_load_dword v184, off, s[0:3], 0 offset:308
	v_add_f32_e32 v103, v103, v104
	s_waitcnt vmcnt(21)
	v_mul_f32_e32 v104, v97, v71
	v_fmac_f32_e32 v104, v98, v70
	v_add_f32_e32 v103, v103, v104
	s_waitcnt vmcnt(19) lgkmcnt(0)
	v_mul_f32_e32 v104, v99, v73
	buffer_load_dword v185, off, s[0:3], 0 offset:304
	buffer_load_dword v186, off, s[0:3], 0 offset:312
	;; [unrolled: 1-line block ×3, first 2 shown]
	v_fmac_f32_e32 v104, v100, v72
	v_add_f32_e32 v107, v103, v104
	ds_read_b128 v[103:106], v25 offset:752
	buffer_load_dword v188, off, s[0:3], 0 offset:320
	buffer_load_dword v189, off, s[0:3], 0 offset:324
	s_waitcnt vmcnt(22)
	v_mul_f32_e32 v108, v101, v75
	v_fmac_f32_e32 v108, v102, v74
	v_add_f32_e32 v111, v107, v108
	ds_read_b128 v[107:110], v25 offset:768
	buffer_load_dword v190, off, s[0:3], 0 offset:328
	buffer_load_dword v191, off, s[0:3], 0 offset:332
	;; [unrolled: 1-line block ×8, first 2 shown]
	s_waitcnt vmcnt(28) lgkmcnt(1)
	v_mul_f32_e32 v112, v103, v77
	buffer_load_dword v198, off, s[0:3], 0 offset:360
	buffer_load_dword v199, off, s[0:3], 0 offset:364
	v_fmac_f32_e32 v112, v104, v76
	v_add_f32_e32 v111, v111, v112
	s_waitcnt vmcnt(28)
	v_mul_f32_e32 v112, v105, v171
	v_fmac_f32_e32 v112, v106, v78
	v_add_f32_e32 v111, v111, v112
	s_waitcnt vmcnt(26) lgkmcnt(0)
	v_mul_f32_e32 v112, v107, v173
	v_fmac_f32_e32 v112, v108, v172
	v_add_f32_e32 v115, v111, v112
	ds_read_b128 v[111:114], v25 offset:784
	buffer_load_dword v200, off, s[0:3], 0 offset:368
	buffer_load_dword v201, off, s[0:3], 0 offset:372
	;; [unrolled: 1-line block ×6, first 2 shown]
	v_mul_f32_e32 v18, v18, v34
	v_fma_f32 v17, v17, v45, -v18
	v_mul_f32_e32 v18, v20, v33
	v_add_f32_e32 v17, 0, v17
	v_fma_f32 v18, v19, v42, -v18
	v_mul_f32_e32 v10, v10, v32
	v_add_f32_e32 v17, v17, v18
	;; [unrolled: 3-line block ×4, first 2 shown]
	s_waitcnt vmcnt(30)
	v_mul_f32_e32 v116, v109, v175
	v_fmac_f32_e32 v116, v110, v174
	v_add_f32_e32 v119, v115, v116
	ds_read_b128 v[115:118], v25 offset:800
	buffer_load_dword v206, off, s[0:3], 0 offset:392
	buffer_load_dword v207, off, s[0:3], 0 offset:396
	;; [unrolled: 1-line block ×10, first 2 shown]
	v_fma_f32 v5, v5, v40, -v6
	v_mul_f32_e32 v6, v8, v29
	v_add_f32_e32 v5, v9, v5
	v_fma_f32 v6, v7, v38, -v6
	v_mul_f32_e32 v2, v2, v28
	v_add_f32_e32 v5, v5, v6
	v_fma_f32 v1, v1, v37, -v2
	v_mul_f32_e32 v2, v4, v35
	s_waitcnt vmcnt(38) lgkmcnt(1)
	v_mul_f32_e32 v120, v111, v177
	buffer_load_dword v216, off, s[0:3], 0 offset:432
	buffer_load_dword v217, off, s[0:3], 0 offset:436
	buffer_load_dword v218, off, s[0:3], 0 offset:444
	buffer_load_dword v219, off, s[0:3], 0 offset:448
	buffer_load_dword v220, off, s[0:3], 0 offset:452
	buffer_load_dword v221, off, s[0:3], 0 offset:440
	v_add_f32_e32 v1, v5, v1
	v_fma_f32 v2, v3, v50, -v2
	v_fmac_f32_e32 v120, v112, v176
	v_add_f32_e32 v1, v1, v2
	v_mul_f32_e32 v2, v22, v36
	v_add_f32_e32 v119, v119, v120
	s_waitcnt vmcnt(43)
	v_mul_f32_e32 v120, v113, v178
	v_fma_f32 v2, v21, v47, -v2
	s_waitcnt vmcnt(42)
	v_fmac_f32_e32 v120, v114, v179
	v_add_f32_e32 v1, v1, v2
	v_mul_f32_e32 v2, v24, v48
	v_add_f32_e32 v119, v119, v120
	s_waitcnt vmcnt(40) lgkmcnt(0)
	v_mul_f32_e32 v120, v115, v181
	v_fma_f32 v2, v23, v44, -v2
	v_fmac_f32_e32 v120, v116, v180
	v_add_f32_e32 v1, v1, v2
	v_mul_f32_e32 v2, v14, v46
	v_add_f32_e32 v123, v119, v120
	ds_read_b128 v[119:122], v25 offset:816
	buffer_load_dword v222, off, s[0:3], 0 offset:456
	buffer_load_dword v223, off, s[0:3], 0 offset:460
	v_fma_f32 v2, v13, v41, -v2
	v_add_f32_e32 v1, v1, v2
	v_mul_f32_e32 v2, v16, v49
	v_fma_f32 v2, v15, v57, -v2
	s_waitcnt vmcnt(40)
	v_mul_f32_e32 v124, v117, v183
	v_add_f32_e32 v1, v1, v2
	v_mul_f32_e32 v2, v80, v56
	v_fmac_f32_e32 v124, v118, v182
	v_fma_f32 v2, v79, v54, -v2
	v_add_f32_e32 v127, v123, v124
	ds_read_b128 v[123:126], v25 offset:832
	buffer_load_dword v224, off, s[0:3], 0 offset:464
	buffer_load_dword v225, off, s[0:3], 0 offset:468
	;; [unrolled: 1-line block ×6, first 2 shown]
	v_add_f32_e32 v1, v1, v2
	v_mul_f32_e32 v2, v82, v55
	v_fma_f32 v2, v81, v52, -v2
	v_add_f32_e32 v1, v1, v2
	v_mul_f32_e32 v2, v84, v53
	v_fma_f32 v2, v83, v51, -v2
	;; [unrolled: 3-line block ×3, first 2 shown]
	v_add_f32_e32 v1, v1, v2
	v_mul_f32_e32 v2, v88, v60
	buffer_load_dword v230, off, s[0:3], 0 offset:488
	buffer_load_dword v231, off, s[0:3], 0 offset:492
	;; [unrolled: 1-line block ×6, first 2 shown]
	v_fma_f32 v2, v87, v66, -v2
	v_add_f32_e32 v1, v1, v2
	v_mul_f32_e32 v2, v90, v62
	v_fma_f32 v2, v89, v61, -v2
	v_add_f32_e32 v1, v1, v2
	v_mul_f32_e32 v2, v92, v64
	;; [unrolled: 3-line block ×7, first 2 shown]
	v_fma_f32 v2, v101, v74, -v2
	s_waitcnt vmcnt(51) lgkmcnt(1)
	v_mul_f32_e32 v128, v119, v184
	v_add_f32_e32 v1, v1, v2
	v_mul_f32_e32 v2, v104, v77
	s_waitcnt vmcnt(50)
	v_fmac_f32_e32 v128, v120, v185
	v_fma_f32 v2, v103, v76, -v2
	v_add_f32_e32 v127, v127, v128
	s_waitcnt vmcnt(48)
	v_mul_f32_e32 v128, v121, v187
	v_add_f32_e32 v1, v1, v2
	v_mul_f32_e32 v2, v106, v171
	v_fmac_f32_e32 v128, v122, v186
	v_fma_f32 v2, v105, v78, -v2
	v_add_f32_e32 v127, v127, v128
	s_waitcnt vmcnt(46) lgkmcnt(0)
	v_mul_f32_e32 v128, v123, v189
	v_add_f32_e32 v1, v1, v2
	v_mul_f32_e32 v2, v108, v173
	v_fmac_f32_e32 v128, v124, v188
	v_fma_f32 v2, v107, v172, -v2
	v_add_f32_e32 v131, v127, v128
	ds_read_b128 v[127:130], v25 offset:848
	v_add_f32_e32 v1, v1, v2
	v_mul_f32_e32 v2, v110, v175
	v_fma_f32 v2, v109, v174, -v2
	s_waitcnt vmcnt(44)
	v_mul_f32_e32 v132, v125, v191
	v_add_f32_e32 v1, v1, v2
	v_mul_f32_e32 v2, v112, v177
	v_fmac_f32_e32 v132, v126, v190
	v_fma_f32 v2, v111, v176, -v2
	v_add_f32_e32 v135, v131, v132
	ds_read_b128 v[131:134], v25 offset:864
	v_add_f32_e32 v1, v1, v2
	v_mul_f32_e32 v2, v114, v178
	s_waitcnt vmcnt(42) lgkmcnt(1)
	v_mul_f32_e32 v136, v127, v193
	v_fma_f32 v2, v113, v179, -v2
	v_fmac_f32_e32 v136, v128, v192
	v_add_f32_e32 v1, v1, v2
	v_mul_f32_e32 v2, v116, v181
	v_add_f32_e32 v135, v135, v136
	s_waitcnt vmcnt(41)
	v_mul_f32_e32 v136, v129, v194
	v_fma_f32 v2, v115, v180, -v2
	s_waitcnt vmcnt(38)
	v_fmac_f32_e32 v136, v130, v197
	v_add_f32_e32 v1, v1, v2
	v_mul_f32_e32 v2, v118, v183
	v_add_f32_e32 v135, v135, v136
	s_waitcnt lgkmcnt(0)
	v_mul_f32_e32 v136, v131, v196
	v_fma_f32 v2, v117, v182, -v2
	v_fmac_f32_e32 v136, v132, v195
	v_add_f32_e32 v1, v1, v2
	v_mul_f32_e32 v2, v120, v184
	v_add_f32_e32 v139, v135, v136
	ds_read_b128 v[135:138], v25 offset:880
	v_fma_f32 v2, v119, v185, -v2
	v_add_f32_e32 v1, v1, v2
	v_mul_f32_e32 v2, v122, v187
	s_waitcnt vmcnt(36)
	v_mul_f32_e32 v140, v133, v199
	v_fma_f32 v2, v121, v186, -v2
	v_fmac_f32_e32 v140, v134, v198
	v_add_f32_e32 v1, v1, v2
	v_mul_f32_e32 v2, v124, v189
	v_add_f32_e32 v143, v139, v140
	ds_read_b128 v[139:142], v25 offset:896
	v_fma_f32 v2, v123, v188, -v2
	s_waitcnt vmcnt(34) lgkmcnt(1)
	v_mul_f32_e32 v144, v135, v201
	v_add_f32_e32 v1, v1, v2
	v_mul_f32_e32 v2, v126, v191
	v_fmac_f32_e32 v144, v136, v200
	v_fma_f32 v2, v125, v190, -v2
	v_add_f32_e32 v143, v143, v144
	s_waitcnt vmcnt(33)
	v_mul_f32_e32 v144, v137, v202
	v_add_f32_e32 v1, v1, v2
	v_mul_f32_e32 v2, v128, v193
	s_waitcnt vmcnt(30)
	v_fmac_f32_e32 v144, v138, v205
	v_fma_f32 v2, v127, v192, -v2
	v_add_f32_e32 v143, v143, v144
	s_waitcnt lgkmcnt(0)
	v_mul_f32_e32 v144, v139, v204
	v_add_f32_e32 v1, v1, v2
	v_mul_f32_e32 v2, v130, v194
	v_fmac_f32_e32 v144, v140, v203
	v_fma_f32 v2, v129, v197, -v2
	v_add_f32_e32 v147, v143, v144
	ds_read_b128 v[143:146], v25 offset:912
	v_add_f32_e32 v1, v1, v2
	v_mul_f32_e32 v2, v132, v196
	v_fma_f32 v2, v131, v195, -v2
	s_waitcnt vmcnt(28)
	v_mul_f32_e32 v148, v141, v207
	v_add_f32_e32 v1, v1, v2
	v_mul_f32_e32 v2, v134, v199
	v_fmac_f32_e32 v148, v142, v206
	v_fma_f32 v2, v133, v198, -v2
	v_add_f32_e32 v151, v147, v148
	ds_read_b128 v[147:150], v25 offset:928
	v_add_f32_e32 v1, v1, v2
	v_mul_f32_e32 v2, v136, v201
	s_waitcnt vmcnt(26) lgkmcnt(1)
	v_mul_f32_e32 v152, v143, v209
	v_fma_f32 v2, v135, v200, -v2
	v_fmac_f32_e32 v152, v144, v208
	v_add_f32_e32 v1, v1, v2
	v_mul_f32_e32 v2, v138, v202
	v_add_f32_e32 v151, v151, v152
	s_waitcnt vmcnt(25)
	v_mul_f32_e32 v152, v145, v210
	v_fma_f32 v2, v137, v205, -v2
	s_waitcnt vmcnt(22)
	v_fmac_f32_e32 v152, v146, v213
	v_add_f32_e32 v1, v1, v2
	v_mul_f32_e32 v2, v140, v204
	v_add_f32_e32 v151, v151, v152
	s_waitcnt lgkmcnt(0)
	v_mul_f32_e32 v152, v147, v212
	v_fma_f32 v2, v139, v203, -v2
	v_fmac_f32_e32 v152, v148, v211
	v_add_f32_e32 v1, v1, v2
	v_mul_f32_e32 v2, v142, v207
	v_add_f32_e32 v155, v151, v152
	ds_read_b128 v[151:154], v25 offset:944
	v_fma_f32 v2, v141, v206, -v2
	v_add_f32_e32 v1, v1, v2
	v_mul_f32_e32 v2, v144, v209
	s_waitcnt vmcnt(20)
	v_mul_f32_e32 v156, v149, v215
	v_fma_f32 v2, v143, v208, -v2
	v_fmac_f32_e32 v156, v150, v214
	v_add_f32_e32 v1, v1, v2
	v_mul_f32_e32 v2, v146, v210
	v_add_f32_e32 v159, v155, v156
	ds_read_b128 v[155:158], v25 offset:960
	v_fma_f32 v2, v145, v213, -v2
	s_waitcnt vmcnt(18) lgkmcnt(1)
	v_mul_f32_e32 v160, v151, v217
	v_add_f32_e32 v1, v1, v2
	v_mul_f32_e32 v2, v148, v212
	v_fmac_f32_e32 v160, v152, v216
	v_fma_f32 v2, v147, v211, -v2
	v_add_f32_e32 v159, v159, v160
	s_waitcnt vmcnt(17)
	v_mul_f32_e32 v160, v153, v218
	v_add_f32_e32 v1, v1, v2
	v_mul_f32_e32 v2, v150, v215
	s_waitcnt vmcnt(14)
	v_fmac_f32_e32 v160, v154, v221
	v_fma_f32 v2, v149, v214, -v2
	v_add_f32_e32 v159, v159, v160
	s_waitcnt lgkmcnt(0)
	v_mul_f32_e32 v160, v155, v220
	v_add_f32_e32 v1, v1, v2
	v_mul_f32_e32 v2, v152, v217
	v_fmac_f32_e32 v160, v156, v219
	v_fma_f32 v2, v151, v216, -v2
	v_add_f32_e32 v163, v159, v160
	ds_read_b128 v[159:162], v25 offset:976
	v_add_f32_e32 v1, v1, v2
	v_mul_f32_e32 v2, v154, v218
	v_fma_f32 v2, v153, v221, -v2
	v_add_f32_e32 v1, v1, v2
	v_mul_f32_e32 v2, v156, v220
	s_waitcnt vmcnt(12)
	v_mul_f32_e32 v164, v157, v223
	v_fma_f32 v2, v155, v219, -v2
	v_fmac_f32_e32 v164, v158, v222
	v_add_f32_e32 v1, v1, v2
	v_mul_f32_e32 v2, v158, v223
	v_add_f32_e32 v167, v163, v164
	ds_read_b128 v[163:166], v25 offset:992
	s_waitcnt vmcnt(10) lgkmcnt(1)
	v_mul_f32_e32 v168, v159, v225
	v_fma_f32 v2, v157, v222, -v2
	v_fmac_f32_e32 v168, v160, v224
	v_add_f32_e32 v1, v1, v2
	v_mul_f32_e32 v2, v160, v225
	v_add_f32_e32 v167, v167, v168
	s_waitcnt vmcnt(9)
	v_mul_f32_e32 v168, v161, v226
	v_fma_f32 v2, v159, v224, -v2
	s_waitcnt vmcnt(6)
	v_fmac_f32_e32 v168, v162, v229
	v_add_f32_e32 v1, v1, v2
	v_mul_f32_e32 v2, v162, v226
	v_add_f32_e32 v236, v167, v168
	ds_read_b128 v[167:170], v25 offset:1008
	v_fma_f32 v2, v161, v229, -v2
	v_add_f32_e32 v1, v1, v2
	s_waitcnt lgkmcnt(1)
	v_mul_f32_e32 v2, v164, v228
	v_mul_f32_e32 v237, v163, v228
	v_fma_f32 v2, v163, v227, -v2
	v_fmac_f32_e32 v237, v164, v227
	v_add_f32_e32 v1, v1, v2
	s_waitcnt vmcnt(4)
	v_mul_f32_e32 v2, v166, v231
	v_add_f32_e32 v25, v236, v237
	v_mul_f32_e32 v236, v165, v231
	v_fma_f32 v2, v165, v230, -v2
	v_fmac_f32_e32 v236, v166, v230
	v_add_f32_e32 v1, v1, v2
	s_waitcnt vmcnt(3) lgkmcnt(0)
	v_mul_f32_e32 v2, v168, v232
	v_add_f32_e32 v25, v25, v236
	v_mul_f32_e32 v236, v167, v232
	s_waitcnt vmcnt(0)
	v_fma_f32 v2, v167, v235, -v2
	v_fmac_f32_e32 v236, v168, v235
	v_add_f32_e32 v1, v1, v2
	v_mul_f32_e32 v2, v170, v234
	v_add_f32_e32 v25, v25, v236
	v_mul_f32_e32 v236, v169, v234
	v_fma_f32 v2, v169, v233, -v2
	v_fmac_f32_e32 v236, v170, v233
	v_add_f32_e32 v1, v1, v2
	v_add_f32_e32 v25, v25, v236
	v_sub_f32_e32 v1, v26, v1
	v_sub_f32_e32 v2, v27, v25
	buffer_store_dword v1, off, s[0:3], 0 offset:40
	buffer_store_dword v2, off, s[0:3], 0 offset:44
	s_and_saveexec_b64 s[4:5], vcc
	s_cbranch_execz .LBB63_389
; %bb.388:
	buffer_load_dword v1, off, s[0:3], 0 offset:32
	buffer_load_dword v2, off, s[0:3], 0 offset:36
	v_mov_b32_e32 v3, 0
	buffer_store_dword v3, off, s[0:3], 0 offset:32
	buffer_store_dword v3, off, s[0:3], 0 offset:36
	s_waitcnt vmcnt(2)
	ds_write_b64 v249, v[1:2]
.LBB63_389:
	s_or_b64 exec, exec, s[4:5]
	s_waitcnt lgkmcnt(0)
	; wave barrier
	buffer_load_dword v9, off, s[0:3], 0 offset:44
	buffer_load_dword v8, off, s[0:3], 0 offset:52
	;; [unrolled: 1-line block ×56, first 2 shown]
	v_mov_b32_e32 v25, 0
	ds_read2_b64 v[58:61], v25 offset0:69 offset1:70
	ds_read2_b64 v[62:65], v25 offset0:71 offset1:72
	;; [unrolled: 1-line block ×6, first 2 shown]
	buffer_load_dword v176, off, s[0:3], 0 offset:256
	buffer_load_dword v177, off, s[0:3], 0 offset:260
	v_cmp_lt_u32_e32 vcc, 3, v0
	s_waitcnt vmcnt(57) lgkmcnt(5)
	v_mul_f32_e32 v82, v58, v9
	s_waitcnt vmcnt(56)
	v_mul_f32_e32 v83, v60, v8
	s_waitcnt vmcnt(55) lgkmcnt(4)
	v_mul_f32_e32 v84, v62, v7
	s_waitcnt vmcnt(54)
	v_mul_f32_e32 v85, v64, v6
	;; [unrolled: 4-line block ×4, first 2 shown]
	s_waitcnt vmcnt(49) lgkmcnt(1)
	v_mul_f32_e32 v90, v74, v11
	s_waitcnt vmcnt(48)
	v_fmac_f32_e32 v84, v63, v14
	s_waitcnt vmcnt(47)
	v_fmac_f32_e32 v83, v61, v17
	;; [unrolled: 2-line block ×3, first 2 shown]
	v_add_f32_e32 v82, 0, v82
	v_add_f32_e32 v82, v82, v83
	v_add_f32_e32 v82, v82, v84
	s_waitcnt vmcnt(42)
	v_fmac_f32_e32 v85, v65, v18
	v_fmac_f32_e32 v86, v67, v15
	v_add_f32_e32 v82, v82, v85
	v_fmac_f32_e32 v87, v69, v13
	v_add_f32_e32 v82, v82, v86
	;; [unrolled: 2-line block ×3, first 2 shown]
	s_waitcnt vmcnt(38)
	v_fmac_f32_e32 v89, v73, v26
	v_add_f32_e32 v82, v82, v88
	v_add_f32_e32 v82, v82, v89
	v_fmac_f32_e32 v90, v75, v22
	s_waitcnt vmcnt(37)
	v_mul_f32_e32 v83, v76, v23
	v_add_f32_e32 v82, v82, v90
	v_fmac_f32_e32 v83, v77, v19
	v_add_f32_e32 v82, v82, v83
	s_waitcnt vmcnt(36) lgkmcnt(0)
	v_mul_f32_e32 v83, v78, v21
	v_fmac_f32_e32 v83, v79, v16
	v_add_f32_e32 v86, v82, v83
	ds_read2_b64 v[82:85], v25 offset0:81 offset1:82
	s_waitcnt vmcnt(35)
	v_mul_f32_e32 v87, v80, v24
	s_waitcnt vmcnt(30)
	v_fmac_f32_e32 v87, v81, v34
	v_add_f32_e32 v90, v86, v87
	ds_read2_b64 v[86:89], v25 offset0:83 offset1:84
	s_waitcnt vmcnt(29) lgkmcnt(1)
	v_mul_f32_e32 v91, v82, v33
	v_fmac_f32_e32 v91, v83, v30
	buffer_load_dword v178, off, s[0:3], 0 offset:264
	buffer_load_dword v179, off, s[0:3], 0 offset:268
	v_add_f32_e32 v90, v90, v91
	s_waitcnt vmcnt(30)
	v_mul_f32_e32 v91, v84, v31
	v_fmac_f32_e32 v91, v85, v29
	v_add_f32_e32 v90, v90, v91
	s_waitcnt lgkmcnt(0)
	v_mul_f32_e32 v91, v86, v28
	buffer_load_dword v180, off, s[0:3], 0 offset:272
	buffer_load_dword v181, off, s[0:3], 0 offset:276
	v_fmac_f32_e32 v91, v87, v27
	v_add_f32_e32 v94, v90, v91
	ds_read2_b64 v[90:93], v25 offset0:85 offset1:86
	buffer_load_dword v182, off, s[0:3], 0 offset:280
	buffer_load_dword v183, off, s[0:3], 0 offset:284
	s_waitcnt vmcnt(30)
	v_mul_f32_e32 v95, v88, v35
	v_fmac_f32_e32 v95, v89, v32
	v_add_f32_e32 v98, v94, v95
	ds_read2_b64 v[94:97], v25 offset0:87 offset1:88
	buffer_load_dword v184, off, s[0:3], 0 offset:288
	buffer_load_dword v185, off, s[0:3], 0 offset:292
	s_waitcnt vmcnt(30) lgkmcnt(1)
	v_mul_f32_e32 v99, v90, v37
	v_fmac_f32_e32 v99, v91, v36
	v_add_f32_e32 v98, v98, v99
	s_waitcnt vmcnt(28)
	v_mul_f32_e32 v99, v92, v39
	v_fmac_f32_e32 v99, v93, v38
	v_add_f32_e32 v98, v98, v99
	s_waitcnt vmcnt(26) lgkmcnt(0)
	v_mul_f32_e32 v99, v94, v41
	v_fmac_f32_e32 v99, v95, v40
	v_add_f32_e32 v102, v98, v99
	ds_read2_b64 v[98:101], v25 offset0:89 offset1:90
	s_waitcnt vmcnt(24)
	v_mul_f32_e32 v103, v96, v43
	v_fmac_f32_e32 v103, v97, v42
	v_add_f32_e32 v106, v102, v103
	buffer_load_dword v186, off, s[0:3], 0 offset:296
	buffer_load_dword v187, off, s[0:3], 0 offset:300
	ds_read2_b64 v[102:105], v25 offset0:91 offset1:92
	s_waitcnt vmcnt(24) lgkmcnt(1)
	v_mul_f32_e32 v107, v98, v45
	v_fmac_f32_e32 v107, v99, v44
	v_add_f32_e32 v106, v106, v107
	s_waitcnt vmcnt(22)
	v_mul_f32_e32 v107, v100, v47
	v_fmac_f32_e32 v107, v101, v46
	buffer_load_dword v188, off, s[0:3], 0 offset:308
	buffer_load_dword v189, off, s[0:3], 0 offset:304
	;; [unrolled: 1-line block ×4, first 2 shown]
	v_add_f32_e32 v106, v106, v107
	s_waitcnt vmcnt(24) lgkmcnt(0)
	v_mul_f32_e32 v107, v102, v49
	v_fmac_f32_e32 v107, v103, v48
	s_waitcnt vmcnt(22)
	v_mul_f32_e32 v111, v104, v51
	v_add_f32_e32 v110, v106, v107
	v_fmac_f32_e32 v111, v105, v50
	ds_read2_b64 v[106:109], v25 offset0:93 offset1:94
	v_add_f32_e32 v114, v110, v111
	ds_read2_b64 v[110:113], v25 offset0:95 offset1:96
	buffer_load_dword v192, off, s[0:3], 0 offset:320
	buffer_load_dword v193, off, s[0:3], 0 offset:324
	;; [unrolled: 1-line block ×8, first 2 shown]
	s_waitcnt vmcnt(28) lgkmcnt(1)
	v_mul_f32_e32 v115, v106, v53
	buffer_load_dword v200, off, s[0:3], 0 offset:352
	buffer_load_dword v201, off, s[0:3], 0 offset:356
	v_fmac_f32_e32 v115, v107, v52
	v_add_f32_e32 v114, v114, v115
	s_waitcnt vmcnt(28)
	v_mul_f32_e32 v115, v108, v55
	v_fmac_f32_e32 v115, v109, v54
	v_add_f32_e32 v114, v114, v115
	s_waitcnt vmcnt(26) lgkmcnt(0)
	v_mul_f32_e32 v115, v110, v57
	v_fmac_f32_e32 v115, v111, v56
	v_add_f32_e32 v118, v114, v115
	ds_read2_b64 v[114:117], v25 offset0:97 offset1:98
	buffer_load_dword v202, off, s[0:3], 0 offset:360
	buffer_load_dword v203, off, s[0:3], 0 offset:364
	;; [unrolled: 1-line block ×6, first 2 shown]
	s_waitcnt vmcnt(30)
	v_mul_f32_e32 v119, v112, v177
	v_fmac_f32_e32 v119, v113, v176
	v_add_f32_e32 v122, v118, v119
	ds_read2_b64 v[118:121], v25 offset0:99 offset1:100
	buffer_load_dword v208, off, s[0:3], 0 offset:384
	buffer_load_dword v209, off, s[0:3], 0 offset:388
	;; [unrolled: 1-line block ×8, first 2 shown]
	v_mul_f32_e32 v9, v59, v9
	buffer_load_dword v216, off, s[0:3], 0 offset:416
	buffer_load_dword v217, off, s[0:3], 0 offset:420
	v_fma_f32 v9, v58, v20, -v9
	v_mul_f32_e32 v8, v61, v8
	v_add_f32_e32 v9, 0, v9
	v_fma_f32 v8, v60, v17, -v8
	v_mul_f32_e32 v7, v63, v7
	v_add_f32_e32 v8, v9, v8
	;; [unrolled: 3-line block ×4, first 2 shown]
	s_waitcnt vmcnt(38) lgkmcnt(1)
	v_mul_f32_e32 v123, v114, v179
	v_fmac_f32_e32 v123, v115, v178
	v_add_f32_e32 v122, v122, v123
	v_fma_f32 v5, v66, v15, -v5
	v_mul_f32_e32 v4, v69, v4
	v_add_f32_e32 v5, v6, v5
	s_waitcnt vmcnt(36)
	v_mul_f32_e32 v123, v116, v181
	v_fmac_f32_e32 v123, v117, v180
	v_add_f32_e32 v122, v122, v123
	v_fma_f32 v4, v68, v13, -v4
	s_waitcnt vmcnt(34) lgkmcnt(0)
	v_mul_f32_e32 v123, v118, v183
	v_fmac_f32_e32 v123, v119, v182
	v_mul_f32_e32 v3, v71, v3
	v_add_f32_e32 v126, v122, v123
	ds_read2_b64 v[122:125], v25 offset0:101 offset1:102
	buffer_load_dword v218, off, s[0:3], 0 offset:424
	buffer_load_dword v219, off, s[0:3], 0 offset:428
	;; [unrolled: 1-line block ×6, first 2 shown]
	v_add_f32_e32 v4, v5, v4
	v_fma_f32 v3, v70, v12, -v3
	v_add_f32_e32 v3, v4, v3
	v_mul_f32_e32 v4, v73, v10
	v_fma_f32 v4, v72, v26, -v4
	s_waitcnt vmcnt(38)
	v_mul_f32_e32 v127, v120, v185
	v_add_f32_e32 v3, v3, v4
	v_mul_f32_e32 v4, v75, v11
	v_fmac_f32_e32 v127, v121, v184
	v_fma_f32 v4, v74, v22, -v4
	v_add_f32_e32 v130, v126, v127
	ds_read2_b64 v[126:129], v25 offset0:103 offset1:104
	buffer_load_dword v224, off, s[0:3], 0 offset:448
	buffer_load_dword v225, off, s[0:3], 0 offset:452
	v_add_f32_e32 v3, v3, v4
	v_mul_f32_e32 v4, v77, v23
	v_fma_f32 v4, v76, v19, -v4
	v_add_f32_e32 v3, v3, v4
	v_mul_f32_e32 v4, v79, v21
	v_fma_f32 v4, v78, v16, -v4
	;; [unrolled: 3-line block ×3, first 2 shown]
	buffer_load_dword v226, off, s[0:3], 0 offset:456
	buffer_load_dword v227, off, s[0:3], 0 offset:460
	;; [unrolled: 1-line block ×6, first 2 shown]
	v_add_f32_e32 v3, v3, v4
	v_mul_f32_e32 v4, v83, v33
	v_fma_f32 v4, v82, v30, -v4
	v_add_f32_e32 v3, v3, v4
	v_mul_f32_e32 v4, v85, v31
	v_fma_f32 v4, v84, v29, -v4
	v_add_f32_e32 v3, v3, v4
	v_mul_f32_e32 v4, v87, v28
	buffer_load_dword v232, off, s[0:3], 0 offset:480
	buffer_load_dword v233, off, s[0:3], 0 offset:484
	v_fma_f32 v4, v86, v27, -v4
	v_add_f32_e32 v3, v3, v4
	v_mul_f32_e32 v4, v89, v35
	v_fma_f32 v4, v88, v32, -v4
	v_add_f32_e32 v3, v3, v4
	v_mul_f32_e32 v4, v91, v37
	;; [unrolled: 3-line block ×3, first 2 shown]
	buffer_load_dword v234, off, s[0:3], 0 offset:488
	buffer_load_dword v235, off, s[0:3], 0 offset:492
	;; [unrolled: 1-line block ×6, first 2 shown]
	v_fma_f32 v4, v92, v38, -v4
	v_add_f32_e32 v3, v3, v4
	v_mul_f32_e32 v4, v95, v41
	v_fma_f32 v4, v94, v40, -v4
	v_add_f32_e32 v3, v3, v4
	v_mul_f32_e32 v4, v97, v43
	;; [unrolled: 3-line block ×5, first 2 shown]
	v_fma_f32 v4, v102, v48, -v4
	s_waitcnt vmcnt(52) lgkmcnt(1)
	v_mul_f32_e32 v131, v122, v187
	v_add_f32_e32 v3, v3, v4
	v_mul_f32_e32 v4, v105, v51
	v_fmac_f32_e32 v131, v123, v186
	v_fma_f32 v4, v104, v50, -v4
	v_add_f32_e32 v130, v130, v131
	s_waitcnt vmcnt(51)
	v_mul_f32_e32 v131, v124, v188
	v_add_f32_e32 v3, v3, v4
	v_mul_f32_e32 v4, v107, v53
	s_waitcnt vmcnt(50)
	v_fmac_f32_e32 v131, v125, v189
	v_fma_f32 v4, v106, v52, -v4
	v_add_f32_e32 v130, v130, v131
	s_waitcnt vmcnt(48) lgkmcnt(0)
	v_mul_f32_e32 v131, v126, v191
	v_add_f32_e32 v3, v3, v4
	v_mul_f32_e32 v4, v109, v55
	v_fmac_f32_e32 v131, v127, v190
	v_fma_f32 v4, v108, v54, -v4
	v_add_f32_e32 v134, v130, v131
	ds_read2_b64 v[130:133], v25 offset0:105 offset1:106
	v_add_f32_e32 v3, v3, v4
	v_mul_f32_e32 v4, v111, v57
	v_fma_f32 v4, v110, v56, -v4
	s_waitcnt vmcnt(46)
	v_mul_f32_e32 v135, v128, v193
	v_add_f32_e32 v3, v3, v4
	v_mul_f32_e32 v4, v113, v177
	v_fmac_f32_e32 v135, v129, v192
	v_fma_f32 v4, v112, v176, -v4
	v_add_f32_e32 v138, v134, v135
	ds_read2_b64 v[134:137], v25 offset0:107 offset1:108
	v_add_f32_e32 v3, v3, v4
	v_mul_f32_e32 v4, v115, v179
	s_waitcnt vmcnt(44) lgkmcnt(1)
	v_mul_f32_e32 v139, v130, v195
	v_fma_f32 v4, v114, v178, -v4
	v_fmac_f32_e32 v139, v131, v194
	v_add_f32_e32 v3, v3, v4
	v_mul_f32_e32 v4, v117, v181
	v_add_f32_e32 v138, v138, v139
	s_waitcnt vmcnt(43)
	v_mul_f32_e32 v139, v132, v196
	v_fma_f32 v4, v116, v180, -v4
	s_waitcnt vmcnt(40)
	v_fmac_f32_e32 v139, v133, v199
	v_add_f32_e32 v3, v3, v4
	v_mul_f32_e32 v4, v119, v183
	v_add_f32_e32 v138, v138, v139
	s_waitcnt lgkmcnt(0)
	v_mul_f32_e32 v139, v134, v198
	v_fma_f32 v4, v118, v182, -v4
	v_fmac_f32_e32 v139, v135, v197
	v_add_f32_e32 v3, v3, v4
	v_mul_f32_e32 v4, v121, v185
	v_add_f32_e32 v142, v138, v139
	ds_read2_b64 v[138:141], v25 offset0:109 offset1:110
	v_fma_f32 v4, v120, v184, -v4
	v_add_f32_e32 v3, v3, v4
	v_mul_f32_e32 v4, v123, v187
	s_waitcnt vmcnt(38)
	v_mul_f32_e32 v143, v136, v201
	v_fma_f32 v4, v122, v186, -v4
	v_fmac_f32_e32 v143, v137, v200
	v_add_f32_e32 v3, v3, v4
	v_mul_f32_e32 v4, v125, v188
	v_add_f32_e32 v146, v142, v143
	ds_read2_b64 v[142:145], v25 offset0:111 offset1:112
	v_fma_f32 v4, v124, v189, -v4
	s_waitcnt vmcnt(36) lgkmcnt(1)
	v_mul_f32_e32 v147, v138, v203
	v_add_f32_e32 v3, v3, v4
	v_mul_f32_e32 v4, v127, v191
	v_fmac_f32_e32 v147, v139, v202
	v_fma_f32 v4, v126, v190, -v4
	v_add_f32_e32 v146, v146, v147
	s_waitcnt vmcnt(35)
	v_mul_f32_e32 v147, v140, v204
	v_add_f32_e32 v3, v3, v4
	v_mul_f32_e32 v4, v129, v193
	s_waitcnt vmcnt(32)
	v_fmac_f32_e32 v147, v141, v207
	v_fma_f32 v4, v128, v192, -v4
	v_add_f32_e32 v146, v146, v147
	s_waitcnt lgkmcnt(0)
	v_mul_f32_e32 v147, v142, v206
	v_add_f32_e32 v3, v3, v4
	v_mul_f32_e32 v4, v131, v195
	v_fmac_f32_e32 v147, v143, v205
	v_fma_f32 v4, v130, v194, -v4
	v_add_f32_e32 v150, v146, v147
	ds_read2_b64 v[146:149], v25 offset0:113 offset1:114
	v_add_f32_e32 v3, v3, v4
	v_mul_f32_e32 v4, v133, v196
	v_fma_f32 v4, v132, v199, -v4
	s_waitcnt vmcnt(30)
	v_mul_f32_e32 v151, v144, v209
	v_add_f32_e32 v3, v3, v4
	v_mul_f32_e32 v4, v135, v198
	v_fmac_f32_e32 v151, v145, v208
	v_fma_f32 v4, v134, v197, -v4
	v_add_f32_e32 v154, v150, v151
	ds_read2_b64 v[150:153], v25 offset0:115 offset1:116
	v_add_f32_e32 v3, v3, v4
	v_mul_f32_e32 v4, v137, v201
	s_waitcnt vmcnt(28) lgkmcnt(1)
	v_mul_f32_e32 v155, v146, v211
	v_fma_f32 v4, v136, v200, -v4
	v_fmac_f32_e32 v155, v147, v210
	v_add_f32_e32 v3, v3, v4
	v_mul_f32_e32 v4, v139, v203
	v_add_f32_e32 v154, v154, v155
	s_waitcnt vmcnt(27)
	v_mul_f32_e32 v155, v148, v212
	v_fma_f32 v4, v138, v202, -v4
	s_waitcnt vmcnt(24)
	v_fmac_f32_e32 v155, v149, v215
	v_add_f32_e32 v3, v3, v4
	v_mul_f32_e32 v4, v141, v204
	v_add_f32_e32 v154, v154, v155
	s_waitcnt lgkmcnt(0)
	v_mul_f32_e32 v155, v150, v214
	v_fma_f32 v4, v140, v207, -v4
	v_fmac_f32_e32 v155, v151, v213
	v_add_f32_e32 v3, v3, v4
	v_mul_f32_e32 v4, v143, v206
	v_add_f32_e32 v158, v154, v155
	ds_read2_b64 v[154:157], v25 offset0:117 offset1:118
	v_fma_f32 v4, v142, v205, -v4
	v_add_f32_e32 v3, v3, v4
	v_mul_f32_e32 v4, v145, v209
	s_waitcnt vmcnt(22)
	v_mul_f32_e32 v159, v152, v217
	v_fma_f32 v4, v144, v208, -v4
	v_fmac_f32_e32 v159, v153, v216
	v_add_f32_e32 v3, v3, v4
	v_mul_f32_e32 v4, v147, v211
	v_add_f32_e32 v162, v158, v159
	ds_read2_b64 v[158:161], v25 offset0:119 offset1:120
	v_fma_f32 v4, v146, v210, -v4
	s_waitcnt vmcnt(20) lgkmcnt(1)
	v_mul_f32_e32 v163, v154, v219
	v_add_f32_e32 v3, v3, v4
	v_mul_f32_e32 v4, v149, v212
	v_fmac_f32_e32 v163, v155, v218
	v_fma_f32 v4, v148, v215, -v4
	v_add_f32_e32 v162, v162, v163
	s_waitcnt vmcnt(19)
	v_mul_f32_e32 v163, v156, v220
	v_add_f32_e32 v3, v3, v4
	v_mul_f32_e32 v4, v151, v214
	s_waitcnt vmcnt(16)
	v_fmac_f32_e32 v163, v157, v223
	v_fma_f32 v4, v150, v213, -v4
	v_add_f32_e32 v162, v162, v163
	s_waitcnt lgkmcnt(0)
	v_mul_f32_e32 v163, v158, v222
	v_add_f32_e32 v3, v3, v4
	v_mul_f32_e32 v4, v153, v217
	v_fmac_f32_e32 v163, v159, v221
	v_fma_f32 v4, v152, v216, -v4
	v_add_f32_e32 v166, v162, v163
	ds_read2_b64 v[162:165], v25 offset0:121 offset1:122
	v_add_f32_e32 v3, v3, v4
	v_mul_f32_e32 v4, v155, v219
	v_fma_f32 v4, v154, v218, -v4
	s_waitcnt vmcnt(14)
	v_mul_f32_e32 v167, v160, v225
	v_add_f32_e32 v3, v3, v4
	v_mul_f32_e32 v4, v157, v220
	v_fmac_f32_e32 v167, v161, v224
	v_fma_f32 v4, v156, v223, -v4
	v_add_f32_e32 v170, v166, v167
	ds_read2_b64 v[166:169], v25 offset0:123 offset1:124
	v_add_f32_e32 v3, v3, v4
	v_mul_f32_e32 v4, v159, v222
	s_waitcnt vmcnt(12) lgkmcnt(1)
	v_mul_f32_e32 v171, v162, v227
	v_fma_f32 v4, v158, v221, -v4
	v_fmac_f32_e32 v171, v163, v226
	v_add_f32_e32 v3, v3, v4
	v_mul_f32_e32 v4, v161, v225
	v_add_f32_e32 v170, v170, v171
	s_waitcnt vmcnt(11)
	v_mul_f32_e32 v171, v164, v228
	v_fma_f32 v4, v160, v224, -v4
	s_waitcnt vmcnt(8)
	v_fmac_f32_e32 v171, v165, v231
	v_add_f32_e32 v3, v3, v4
	v_mul_f32_e32 v4, v163, v227
	v_add_f32_e32 v170, v170, v171
	s_waitcnt lgkmcnt(0)
	v_mul_f32_e32 v171, v166, v230
	v_fma_f32 v4, v162, v226, -v4
	v_fmac_f32_e32 v171, v167, v229
	v_add_f32_e32 v3, v3, v4
	v_mul_f32_e32 v4, v165, v228
	v_add_f32_e32 v174, v170, v171
	ds_read2_b64 v[170:173], v25 offset0:125 offset1:126
	v_fma_f32 v4, v164, v231, -v4
	v_add_f32_e32 v3, v3, v4
	v_mul_f32_e32 v4, v167, v230
	s_waitcnt vmcnt(6)
	v_mul_f32_e32 v175, v168, v233
	v_fma_f32 v4, v166, v229, -v4
	v_fmac_f32_e32 v175, v169, v232
	v_add_f32_e32 v3, v3, v4
	v_mul_f32_e32 v4, v169, v233
	v_add_f32_e32 v240, v174, v175
	ds_read_b64 v[174:175], v25 offset:1016
	v_fma_f32 v4, v168, v232, -v4
	v_add_f32_e32 v3, v3, v4
	s_waitcnt vmcnt(4) lgkmcnt(1)
	v_mul_f32_e32 v4, v171, v235
	v_mul_f32_e32 v250, v170, v235
	v_fma_f32 v4, v170, v234, -v4
	v_fmac_f32_e32 v250, v171, v234
	v_add_f32_e32 v3, v3, v4
	s_waitcnt vmcnt(3)
	v_mul_f32_e32 v4, v173, v236
	v_add_f32_e32 v240, v240, v250
	v_mul_f32_e32 v250, v172, v236
	s_waitcnt vmcnt(0)
	v_fma_f32 v4, v172, v239, -v4
	v_fmac_f32_e32 v250, v173, v239
	v_add_f32_e32 v3, v3, v4
	s_waitcnt lgkmcnt(0)
	v_mul_f32_e32 v4, v175, v238
	v_add_f32_e32 v240, v240, v250
	v_mul_f32_e32 v250, v174, v238
	v_fma_f32 v4, v174, v237, -v4
	v_fmac_f32_e32 v250, v175, v237
	v_add_f32_e32 v3, v3, v4
	v_add_f32_e32 v240, v240, v250
	v_sub_f32_e32 v1, v1, v3
	v_sub_f32_e32 v2, v2, v240
	buffer_store_dword v1, off, s[0:3], 0 offset:32
	buffer_store_dword v2, off, s[0:3], 0 offset:36
	s_and_saveexec_b64 s[4:5], vcc
	s_cbranch_execz .LBB63_391
; %bb.390:
	buffer_load_dword v1, off, s[0:3], 0 offset:24
	buffer_load_dword v2, off, s[0:3], 0 offset:28
	s_waitcnt vmcnt(0)
	ds_write_b64 v249, v[1:2]
	buffer_store_dword v25, off, s[0:3], 0 offset:24
	buffer_store_dword v25, off, s[0:3], 0 offset:28
.LBB63_391:
	s_or_b64 exec, exec, s[4:5]
	s_waitcnt lgkmcnt(0)
	; wave barrier
	buffer_load_dword v34, off, s[0:3], 0 offset:36
	buffer_load_dword v33, off, s[0:3], 0 offset:44
	;; [unrolled: 1-line block ×40, first 2 shown]
	ds_read_b128 v[21:24], v25 offset:544
	ds_read_b128 v[17:20], v25 offset:560
	;; [unrolled: 1-line block ×6, first 2 shown]
	buffer_load_dword v65, off, s[0:3], 0 offset:184
	buffer_load_dword v67, off, s[0:3], 0 offset:188
	;; [unrolled: 1-line block ×19, first 2 shown]
	v_cmp_lt_u32_e32 vcc, 2, v0
	s_waitcnt vmcnt(58) lgkmcnt(5)
	v_mul_f32_e32 v82, v21, v34
	s_waitcnt vmcnt(57)
	v_mul_f32_e32 v83, v23, v33
	s_waitcnt vmcnt(56) lgkmcnt(4)
	v_mul_f32_e32 v84, v17, v32
	s_waitcnt vmcnt(55)
	v_mul_f32_e32 v85, v19, v31
	;; [unrolled: 4-line block ×4, first 2 shown]
	s_waitcnt vmcnt(50) lgkmcnt(1)
	v_mul_f32_e32 v90, v5, v36
	s_waitcnt vmcnt(49)
	v_fmac_f32_e32 v84, v18, v39
	s_waitcnt vmcnt(48)
	v_fmac_f32_e32 v83, v24, v42
	;; [unrolled: 2-line block ×3, first 2 shown]
	v_add_f32_e32 v82, 0, v82
	v_add_f32_e32 v82, v82, v83
	v_add_f32_e32 v82, v82, v84
	s_waitcnt vmcnt(43)
	v_fmac_f32_e32 v85, v20, v43
	v_fmac_f32_e32 v86, v14, v40
	v_add_f32_e32 v82, v82, v85
	v_fmac_f32_e32 v87, v16, v38
	v_add_f32_e32 v82, v82, v86
	;; [unrolled: 2-line block ×3, first 2 shown]
	s_waitcnt vmcnt(39)
	v_fmac_f32_e32 v89, v12, v50
	v_add_f32_e32 v82, v82, v88
	v_fmac_f32_e32 v90, v6, v47
	v_add_f32_e32 v82, v82, v89
	s_waitcnt vmcnt(38)
	v_mul_f32_e32 v83, v7, v48
	v_add_f32_e32 v82, v82, v90
	v_fmac_f32_e32 v83, v8, v44
	v_add_f32_e32 v82, v82, v83
	s_waitcnt vmcnt(37) lgkmcnt(0)
	v_mul_f32_e32 v83, v1, v46
	v_fmac_f32_e32 v83, v2, v41
	v_add_f32_e32 v86, v82, v83
	ds_read_b128 v[82:85], v25 offset:640
	s_waitcnt vmcnt(36)
	v_mul_f32_e32 v87, v3, v49
	s_waitcnt vmcnt(30)
	v_fmac_f32_e32 v87, v4, v57
	v_add_f32_e32 v90, v86, v87
	ds_read_b128 v[86:89], v25 offset:656
	s_waitcnt vmcnt(29) lgkmcnt(1)
	v_mul_f32_e32 v91, v82, v56
	v_fmac_f32_e32 v91, v83, v55
	buffer_load_dword v181, off, s[0:3], 0 offset:256
	buffer_load_dword v182, off, s[0:3], 0 offset:264
	;; [unrolled: 1-line block ×3, first 2 shown]
	v_add_f32_e32 v90, v90, v91
	v_mul_f32_e32 v91, v84, v52
	v_fmac_f32_e32 v91, v85, v51
	buffer_load_dword v184, off, s[0:3], 0 offset:272
	buffer_load_dword v185, off, s[0:3], 0 offset:276
	v_add_f32_e32 v90, v90, v91
	s_waitcnt lgkmcnt(0)
	v_mul_f32_e32 v91, v86, v54
	v_fmac_f32_e32 v91, v87, v53
	v_add_f32_e32 v94, v90, v91
	ds_read_b128 v[90:93], v25 offset:672
	s_waitcnt vmcnt(31)
	v_mul_f32_e32 v95, v88, v58
	s_waitcnt vmcnt(24)
	v_fmac_f32_e32 v95, v89, v66
	v_add_f32_e32 v98, v94, v95
	ds_read_b128 v[94:97], v25 offset:688
	buffer_load_dword v186, off, s[0:3], 0 offset:280
	buffer_load_dword v187, off, s[0:3], 0 offset:284
	s_waitcnt lgkmcnt(1)
	v_mul_f32_e32 v99, v90, v60
	v_fmac_f32_e32 v99, v91, v59
	v_add_f32_e32 v98, v98, v99
	v_mul_f32_e32 v99, v92, v62
	v_fmac_f32_e32 v99, v93, v61
	v_add_f32_e32 v98, v98, v99
	s_waitcnt lgkmcnt(0)
	v_mul_f32_e32 v99, v94, v64
	v_fmac_f32_e32 v99, v95, v63
	v_add_f32_e32 v102, v98, v99
	buffer_load_dword v188, off, s[0:3], 0 offset:288
	buffer_load_dword v189, off, s[0:3], 0 offset:292
	ds_read_b128 v[98:101], v25 offset:704
	s_waitcnt vmcnt(26)
	v_mul_f32_e32 v103, v96, v67
	v_fmac_f32_e32 v103, v97, v65
	v_add_f32_e32 v106, v102, v103
	ds_read_b128 v[102:105], v25 offset:720
	s_waitcnt vmcnt(24) lgkmcnt(1)
	v_mul_f32_e32 v107, v98, v69
	v_fmac_f32_e32 v107, v99, v68
	v_add_f32_e32 v106, v106, v107
	s_waitcnt vmcnt(22)
	v_mul_f32_e32 v107, v100, v71
	buffer_load_dword v190, off, s[0:3], 0 offset:296
	buffer_load_dword v191, off, s[0:3], 0 offset:300
	v_fmac_f32_e32 v107, v101, v70
	v_add_f32_e32 v106, v106, v107
	s_waitcnt vmcnt(22) lgkmcnt(0)
	v_mul_f32_e32 v107, v102, v73
	buffer_load_dword v192, off, s[0:3], 0 offset:304
	buffer_load_dword v193, off, s[0:3], 0 offset:308
	v_fmac_f32_e32 v107, v103, v72
	v_add_f32_e32 v110, v106, v107
	ds_read_b128 v[106:109], v25 offset:736
	buffer_load_dword v194, off, s[0:3], 0 offset:312
	buffer_load_dword v195, off, s[0:3], 0 offset:316
	s_waitcnt vmcnt(24)
	v_mul_f32_e32 v111, v104, v75
	v_fmac_f32_e32 v111, v105, v74
	v_add_f32_e32 v114, v110, v111
	ds_read_b128 v[110:113], v25 offset:752
	s_waitcnt vmcnt(22) lgkmcnt(1)
	v_mul_f32_e32 v115, v106, v77
	v_fmac_f32_e32 v115, v107, v76
	buffer_load_dword v196, off, s[0:3], 0 offset:320
	buffer_load_dword v197, off, s[0:3], 0 offset:324
	;; [unrolled: 1-line block ×6, first 2 shown]
	v_add_f32_e32 v114, v114, v115
	s_waitcnt vmcnt(26)
	v_mul_f32_e32 v115, v108, v79
	v_fmac_f32_e32 v115, v109, v78
	v_add_f32_e32 v114, v114, v115
	s_waitcnt vmcnt(24) lgkmcnt(0)
	v_mul_f32_e32 v115, v110, v81
	v_fmac_f32_e32 v115, v111, v80
	v_add_f32_e32 v118, v114, v115
	ds_read_b128 v[114:117], v25 offset:768
	buffer_load_dword v202, off, s[0:3], 0 offset:344
	buffer_load_dword v203, off, s[0:3], 0 offset:348
	s_waitcnt vmcnt(24)
	v_mul_f32_e32 v119, v112, v179
	v_fmac_f32_e32 v119, v113, v178
	v_add_f32_e32 v122, v118, v119
	ds_read_b128 v[118:121], v25 offset:784
	buffer_load_dword v204, off, s[0:3], 0 offset:352
	buffer_load_dword v205, off, s[0:3], 0 offset:356
	;; [unrolled: 1-line block ×14, first 2 shown]
	s_waitcnt vmcnt(37) lgkmcnt(1)
	v_mul_f32_e32 v123, v114, v180
	buffer_load_dword v218, off, s[0:3], 0 offset:408
	buffer_load_dword v219, off, s[0:3], 0 offset:412
	v_mul_f32_e32 v22, v22, v34
	v_fma_f32 v21, v21, v45, -v22
	v_mul_f32_e32 v22, v24, v33
	v_add_f32_e32 v21, 0, v21
	v_fma_f32 v22, v23, v42, -v22
	v_mul_f32_e32 v18, v18, v32
	v_add_f32_e32 v21, v21, v22
	;; [unrolled: 3-line block ×3, first 2 shown]
	s_waitcnt vmcnt(38)
	v_fmac_f32_e32 v123, v115, v181
	v_add_f32_e32 v122, v122, v123
	s_waitcnt vmcnt(36)
	v_mul_f32_e32 v123, v116, v183
	v_fmac_f32_e32 v123, v117, v182
	v_add_f32_e32 v122, v122, v123
	v_fma_f32 v18, v19, v43, -v18
	s_waitcnt vmcnt(34) lgkmcnt(0)
	v_mul_f32_e32 v123, v118, v185
	v_fmac_f32_e32 v123, v119, v184
	v_add_f32_e32 v126, v122, v123
	ds_read_b128 v[122:125], v25 offset:800
	buffer_load_dword v220, off, s[0:3], 0 offset:416
	buffer_load_dword v221, off, s[0:3], 0 offset:420
	;; [unrolled: 1-line block ×6, first 2 shown]
	v_mul_f32_e32 v14, v14, v30
	v_add_f32_e32 v17, v17, v18
	v_fma_f32 v13, v13, v40, -v14
	v_mul_f32_e32 v14, v16, v29
	v_add_f32_e32 v13, v17, v13
	s_waitcnt vmcnt(38)
	v_mul_f32_e32 v127, v120, v187
	v_fmac_f32_e32 v127, v121, v186
	v_fma_f32 v14, v15, v38, -v14
	v_mul_f32_e32 v10, v10, v28
	v_add_f32_e32 v130, v126, v127
	ds_read_b128 v[126:129], v25 offset:816
	buffer_load_dword v226, off, s[0:3], 0 offset:440
	buffer_load_dword v227, off, s[0:3], 0 offset:444
	v_add_f32_e32 v13, v13, v14
	v_fma_f32 v9, v9, v37, -v10
	v_mul_f32_e32 v10, v12, v35
	v_add_f32_e32 v9, v13, v9
	v_fma_f32 v10, v11, v50, -v10
	v_mul_f32_e32 v6, v6, v36
	;; [unrolled: 3-line block ×5, first 2 shown]
	v_add_f32_e32 v1, v5, v1
	v_fma_f32 v2, v3, v57, -v2
	buffer_load_dword v228, off, s[0:3], 0 offset:448
	buffer_load_dword v229, off, s[0:3], 0 offset:452
	;; [unrolled: 1-line block ×6, first 2 shown]
	v_add_f32_e32 v1, v1, v2
	v_mul_f32_e32 v2, v83, v56
	v_fma_f32 v2, v82, v55, -v2
	v_add_f32_e32 v1, v1, v2
	v_mul_f32_e32 v2, v85, v52
	v_fma_f32 v2, v84, v51, -v2
	v_add_f32_e32 v1, v1, v2
	v_mul_f32_e32 v2, v87, v54
	buffer_load_dword v234, off, s[0:3], 0 offset:472
	buffer_load_dword v235, off, s[0:3], 0 offset:476
	v_fma_f32 v2, v86, v53, -v2
	v_add_f32_e32 v1, v1, v2
	v_mul_f32_e32 v2, v89, v58
	s_waitcnt vmcnt(46) lgkmcnt(1)
	v_mul_f32_e32 v131, v122, v189
	v_fma_f32 v2, v88, v66, -v2
	v_fmac_f32_e32 v131, v123, v188
	v_add_f32_e32 v1, v1, v2
	v_mul_f32_e32 v2, v91, v60
	v_add_f32_e32 v130, v130, v131
	s_waitcnt vmcnt(44)
	v_mul_f32_e32 v131, v124, v191
	v_fma_f32 v2, v90, v59, -v2
	v_fmac_f32_e32 v131, v125, v190
	v_add_f32_e32 v1, v1, v2
	v_mul_f32_e32 v2, v93, v62
	v_add_f32_e32 v130, v130, v131
	s_waitcnt vmcnt(42) lgkmcnt(0)
	v_mul_f32_e32 v131, v126, v193
	buffer_load_dword v236, off, s[0:3], 0 offset:480
	buffer_load_dword v237, off, s[0:3], 0 offset:484
	;; [unrolled: 1-line block ×6, first 2 shown]
	v_fma_f32 v2, v92, v61, -v2
	v_fmac_f32_e32 v131, v127, v192
	s_waitcnt vmcnt(46)
	v_mul_f32_e32 v135, v128, v195
	v_add_f32_e32 v1, v1, v2
	v_mul_f32_e32 v2, v95, v64
	v_add_f32_e32 v134, v130, v131
	v_fmac_f32_e32 v135, v129, v194
	v_fma_f32 v2, v94, v63, -v2
	ds_read_b128 v[130:133], v25 offset:832
	v_add_f32_e32 v138, v134, v135
	ds_read_b128 v[134:137], v25 offset:848
	buffer_load_dword v251, off, s[0:3], 0 offset:504
	buffer_load_dword v252, off, s[0:3], 0 offset:508
	v_add_f32_e32 v1, v1, v2
	v_mul_f32_e32 v2, v97, v67
	v_fma_f32 v2, v96, v65, -v2
	v_add_f32_e32 v1, v1, v2
	v_mul_f32_e32 v2, v99, v69
	v_fma_f32 v2, v98, v68, -v2
	;; [unrolled: 3-line block ×9, first 2 shown]
	v_add_f32_e32 v1, v1, v2
	v_mul_f32_e32 v2, v115, v180
	s_waitcnt vmcnt(46) lgkmcnt(1)
	v_mul_f32_e32 v139, v130, v197
	v_fma_f32 v2, v114, v181, -v2
	v_fmac_f32_e32 v139, v131, v196
	v_add_f32_e32 v1, v1, v2
	v_mul_f32_e32 v2, v117, v183
	v_add_f32_e32 v138, v138, v139
	s_waitcnt vmcnt(45)
	v_mul_f32_e32 v139, v132, v198
	v_fma_f32 v2, v116, v182, -v2
	s_waitcnt vmcnt(42)
	v_fmac_f32_e32 v139, v133, v201
	v_add_f32_e32 v1, v1, v2
	v_mul_f32_e32 v2, v119, v185
	v_add_f32_e32 v138, v138, v139
	s_waitcnt lgkmcnt(0)
	v_mul_f32_e32 v139, v134, v200
	v_fma_f32 v2, v118, v184, -v2
	v_fmac_f32_e32 v139, v135, v199
	v_add_f32_e32 v1, v1, v2
	v_mul_f32_e32 v2, v121, v187
	v_add_f32_e32 v142, v138, v139
	ds_read_b128 v[138:141], v25 offset:864
	v_fma_f32 v2, v120, v186, -v2
	v_add_f32_e32 v1, v1, v2
	v_mul_f32_e32 v2, v123, v189
	s_waitcnt vmcnt(40)
	v_mul_f32_e32 v143, v136, v203
	v_fma_f32 v2, v122, v188, -v2
	v_fmac_f32_e32 v143, v137, v202
	v_add_f32_e32 v1, v1, v2
	v_mul_f32_e32 v2, v125, v191
	v_add_f32_e32 v146, v142, v143
	ds_read_b128 v[142:145], v25 offset:880
	v_fma_f32 v2, v124, v190, -v2
	s_waitcnt vmcnt(38) lgkmcnt(1)
	v_mul_f32_e32 v147, v138, v205
	v_add_f32_e32 v1, v1, v2
	v_mul_f32_e32 v2, v127, v193
	v_fmac_f32_e32 v147, v139, v204
	v_fma_f32 v2, v126, v192, -v2
	v_add_f32_e32 v146, v146, v147
	s_waitcnt vmcnt(37)
	v_mul_f32_e32 v147, v140, v206
	v_add_f32_e32 v1, v1, v2
	v_mul_f32_e32 v2, v129, v195
	s_waitcnt vmcnt(34)
	v_fmac_f32_e32 v147, v141, v209
	v_fma_f32 v2, v128, v194, -v2
	v_add_f32_e32 v146, v146, v147
	s_waitcnt lgkmcnt(0)
	v_mul_f32_e32 v147, v142, v208
	v_add_f32_e32 v1, v1, v2
	v_mul_f32_e32 v2, v131, v197
	v_fmac_f32_e32 v147, v143, v207
	v_fma_f32 v2, v130, v196, -v2
	v_add_f32_e32 v150, v146, v147
	ds_read_b128 v[146:149], v25 offset:896
	v_add_f32_e32 v1, v1, v2
	v_mul_f32_e32 v2, v133, v198
	v_fma_f32 v2, v132, v201, -v2
	s_waitcnt vmcnt(32)
	v_mul_f32_e32 v151, v144, v211
	v_add_f32_e32 v1, v1, v2
	v_mul_f32_e32 v2, v135, v200
	v_fmac_f32_e32 v151, v145, v210
	v_fma_f32 v2, v134, v199, -v2
	v_add_f32_e32 v154, v150, v151
	ds_read_b128 v[150:153], v25 offset:912
	v_add_f32_e32 v1, v1, v2
	v_mul_f32_e32 v2, v137, v203
	s_waitcnt vmcnt(30) lgkmcnt(1)
	v_mul_f32_e32 v155, v146, v213
	v_fma_f32 v2, v136, v202, -v2
	v_fmac_f32_e32 v155, v147, v212
	v_add_f32_e32 v1, v1, v2
	v_mul_f32_e32 v2, v139, v205
	v_add_f32_e32 v154, v154, v155
	s_waitcnt vmcnt(29)
	v_mul_f32_e32 v155, v148, v214
	v_fma_f32 v2, v138, v204, -v2
	s_waitcnt vmcnt(26)
	v_fmac_f32_e32 v155, v149, v217
	v_add_f32_e32 v1, v1, v2
	v_mul_f32_e32 v2, v141, v206
	v_add_f32_e32 v154, v154, v155
	s_waitcnt lgkmcnt(0)
	v_mul_f32_e32 v155, v150, v216
	v_fma_f32 v2, v140, v209, -v2
	v_fmac_f32_e32 v155, v151, v215
	v_add_f32_e32 v1, v1, v2
	v_mul_f32_e32 v2, v143, v208
	v_add_f32_e32 v158, v154, v155
	ds_read_b128 v[154:157], v25 offset:928
	v_fma_f32 v2, v142, v207, -v2
	v_add_f32_e32 v1, v1, v2
	v_mul_f32_e32 v2, v145, v211
	s_waitcnt vmcnt(24)
	v_mul_f32_e32 v159, v152, v219
	v_fma_f32 v2, v144, v210, -v2
	v_fmac_f32_e32 v159, v153, v218
	v_add_f32_e32 v1, v1, v2
	v_mul_f32_e32 v2, v147, v213
	v_add_f32_e32 v162, v158, v159
	ds_read_b128 v[158:161], v25 offset:944
	v_fma_f32 v2, v146, v212, -v2
	s_waitcnt vmcnt(22) lgkmcnt(1)
	v_mul_f32_e32 v163, v154, v221
	v_add_f32_e32 v1, v1, v2
	v_mul_f32_e32 v2, v149, v214
	v_fmac_f32_e32 v163, v155, v220
	v_fma_f32 v2, v148, v217, -v2
	v_add_f32_e32 v162, v162, v163
	s_waitcnt vmcnt(21)
	v_mul_f32_e32 v163, v156, v222
	v_add_f32_e32 v1, v1, v2
	v_mul_f32_e32 v2, v151, v216
	s_waitcnt vmcnt(18)
	v_fmac_f32_e32 v163, v157, v225
	v_fma_f32 v2, v150, v215, -v2
	v_add_f32_e32 v162, v162, v163
	s_waitcnt lgkmcnt(0)
	v_mul_f32_e32 v163, v158, v224
	v_add_f32_e32 v1, v1, v2
	v_mul_f32_e32 v2, v153, v219
	v_fmac_f32_e32 v163, v159, v223
	v_fma_f32 v2, v152, v218, -v2
	v_add_f32_e32 v166, v162, v163
	ds_read_b128 v[162:165], v25 offset:960
	v_add_f32_e32 v1, v1, v2
	v_mul_f32_e32 v2, v155, v221
	v_fma_f32 v2, v154, v220, -v2
	s_waitcnt vmcnt(16)
	v_mul_f32_e32 v167, v160, v227
	v_add_f32_e32 v1, v1, v2
	v_mul_f32_e32 v2, v157, v222
	v_fmac_f32_e32 v167, v161, v226
	v_fma_f32 v2, v156, v225, -v2
	v_add_f32_e32 v170, v166, v167
	ds_read_b128 v[166:169], v25 offset:976
	v_add_f32_e32 v1, v1, v2
	v_mul_f32_e32 v2, v159, v224
	s_waitcnt vmcnt(14) lgkmcnt(1)
	v_mul_f32_e32 v171, v162, v229
	v_fma_f32 v2, v158, v223, -v2
	v_fmac_f32_e32 v171, v163, v228
	v_add_f32_e32 v1, v1, v2
	v_mul_f32_e32 v2, v161, v227
	v_add_f32_e32 v170, v170, v171
	s_waitcnt vmcnt(13)
	v_mul_f32_e32 v171, v164, v230
	v_fma_f32 v2, v160, v226, -v2
	s_waitcnt vmcnt(10)
	v_fmac_f32_e32 v171, v165, v233
	v_add_f32_e32 v1, v1, v2
	v_mul_f32_e32 v2, v163, v229
	v_add_f32_e32 v170, v170, v171
	s_waitcnt lgkmcnt(0)
	v_mul_f32_e32 v171, v166, v232
	v_fma_f32 v2, v162, v228, -v2
	v_fmac_f32_e32 v171, v167, v231
	v_add_f32_e32 v1, v1, v2
	v_mul_f32_e32 v2, v165, v230
	v_add_f32_e32 v174, v170, v171
	ds_read_b128 v[170:173], v25 offset:992
	v_fma_f32 v2, v164, v233, -v2
	v_add_f32_e32 v1, v1, v2
	v_mul_f32_e32 v2, v167, v232
	s_waitcnt vmcnt(8)
	v_mul_f32_e32 v175, v168, v235
	v_fma_f32 v2, v166, v231, -v2
	v_fmac_f32_e32 v175, v169, v234
	v_add_f32_e32 v1, v1, v2
	v_mul_f32_e32 v2, v169, v235
	v_add_f32_e32 v253, v174, v175
	ds_read_b128 v[174:177], v25 offset:1008
	v_fma_f32 v2, v168, v234, -v2
	v_add_f32_e32 v1, v1, v2
	s_waitcnt vmcnt(6) lgkmcnt(1)
	v_mul_f32_e32 v2, v171, v237
	v_mul_f32_e32 v25, v170, v237
	v_fma_f32 v2, v170, v236, -v2
	v_fmac_f32_e32 v25, v171, v236
	v_add_f32_e32 v1, v1, v2
	s_waitcnt vmcnt(5)
	v_mul_f32_e32 v2, v173, v238
	v_add_f32_e32 v25, v253, v25
	v_mul_f32_e32 v253, v172, v238
	s_waitcnt vmcnt(2)
	v_fma_f32 v2, v172, v250, -v2
	v_fmac_f32_e32 v253, v173, v250
	v_add_f32_e32 v1, v1, v2
	s_waitcnt lgkmcnt(0)
	v_mul_f32_e32 v2, v175, v240
	v_add_f32_e32 v25, v25, v253
	v_mul_f32_e32 v253, v174, v240
	v_fma_f32 v2, v174, v239, -v2
	v_fmac_f32_e32 v253, v175, v239
	v_add_f32_e32 v1, v1, v2
	s_waitcnt vmcnt(0)
	v_mul_f32_e32 v2, v177, v252
	v_add_f32_e32 v25, v25, v253
	v_mul_f32_e32 v253, v176, v252
	v_fma_f32 v2, v176, v251, -v2
	v_fmac_f32_e32 v253, v177, v251
	v_add_f32_e32 v1, v1, v2
	v_add_f32_e32 v25, v25, v253
	v_sub_f32_e32 v1, v26, v1
	v_sub_f32_e32 v2, v27, v25
	buffer_store_dword v1, off, s[0:3], 0 offset:24
	buffer_store_dword v2, off, s[0:3], 0 offset:28
	s_and_saveexec_b64 s[4:5], vcc
	s_cbranch_execz .LBB63_393
; %bb.392:
	buffer_load_dword v1, off, s[0:3], 0 offset:16
	buffer_load_dword v2, off, s[0:3], 0 offset:20
	v_mov_b32_e32 v3, 0
	buffer_store_dword v3, off, s[0:3], 0 offset:16
	buffer_store_dword v3, off, s[0:3], 0 offset:20
	s_waitcnt vmcnt(2)
	ds_write_b64 v249, v[1:2]
.LBB63_393:
	s_or_b64 exec, exec, s[4:5]
	s_waitcnt lgkmcnt(0)
	; wave barrier
	buffer_load_dword v21, off, s[0:3], 0 offset:28
	buffer_load_dword v20, off, s[0:3], 0 offset:36
	;; [unrolled: 1-line block ×56, first 2 shown]
	v_mov_b32_e32 v117, 0
	ds_read2_b64 v[73:76], v117 offset0:67 offset1:68
	ds_read2_b64 v[77:80], v117 offset0:69 offset1:70
	ds_read2_b64 v[81:84], v117 offset0:71 offset1:72
	ds_read2_b64 v[9:12], v117 offset0:73 offset1:74
	ds_read2_b64 v[5:8], v117 offset0:75 offset1:76
	ds_read2_b64 v[1:4], v117 offset0:77 offset1:78
	v_cmp_lt_u32_e32 vcc, 1, v0
	s_waitcnt vmcnt(55) lgkmcnt(5)
	v_mul_f32_e32 v69, v73, v21
	s_waitcnt vmcnt(54)
	v_mul_f32_e32 v70, v75, v20
	s_waitcnt vmcnt(53) lgkmcnt(4)
	v_mul_f32_e32 v71, v77, v19
	s_waitcnt vmcnt(52)
	v_mul_f32_e32 v72, v79, v18
	;; [unrolled: 4-line block ×4, first 2 shown]
	s_waitcnt vmcnt(47) lgkmcnt(1)
	v_mul_f32_e32 v89, v5, v23
	s_waitcnt vmcnt(46)
	v_fmac_f32_e32 v71, v78, v26
	s_waitcnt vmcnt(45)
	v_fmac_f32_e32 v70, v76, v39
	;; [unrolled: 2-line block ×3, first 2 shown]
	v_add_f32_e32 v69, 0, v69
	v_add_f32_e32 v69, v69, v70
	;; [unrolled: 1-line block ×3, first 2 shown]
	s_waitcnt vmcnt(40)
	v_fmac_f32_e32 v72, v80, v29
	v_fmac_f32_e32 v85, v82, v27
	v_add_f32_e32 v69, v69, v72
	v_fmac_f32_e32 v86, v84, v25
	v_add_f32_e32 v69, v69, v85
	;; [unrolled: 2-line block ×3, first 2 shown]
	s_waitcnt vmcnt(36)
	v_fmac_f32_e32 v88, v12, v35
	v_add_f32_e32 v69, v69, v87
	v_fmac_f32_e32 v89, v6, v32
	v_add_f32_e32 v69, v69, v88
	v_add_f32_e32 v71, v69, v89
	buffer_load_dword v69, off, s[0:3], 0 offset:240
	buffer_load_dword v70, off, s[0:3], 0 offset:244
	s_waitcnt vmcnt(37)
	v_mul_f32_e32 v72, v7, v33
	v_fmac_f32_e32 v72, v8, v30
	ds_read2_b64 v[85:88], v117 offset0:79 offset1:80
	v_add_f32_e32 v71, v71, v72
	s_waitcnt vmcnt(36) lgkmcnt(1)
	v_mul_f32_e32 v72, v1, v31
	v_fmac_f32_e32 v72, v2, v28
	s_waitcnt vmcnt(35)
	v_mul_f32_e32 v90, v3, v34
	v_add_f32_e32 v89, v71, v72
	buffer_load_dword v71, off, s[0:3], 0 offset:248
	buffer_load_dword v72, off, s[0:3], 0 offset:252
	s_waitcnt vmcnt(30)
	v_fmac_f32_e32 v90, v4, v46
	v_add_f32_e32 v93, v89, v90
	ds_read2_b64 v[89:92], v117 offset0:81 offset1:82
	s_waitcnt lgkmcnt(1)
	v_mul_f32_e32 v94, v85, v37
	v_fmac_f32_e32 v94, v86, v36
	v_add_f32_e32 v93, v93, v94
	v_mul_f32_e32 v94, v87, v40
	buffer_load_dword v178, off, s[0:3], 0 offset:260
	buffer_load_dword v179, off, s[0:3], 0 offset:256
	;; [unrolled: 1-line block ×4, first 2 shown]
	v_fmac_f32_e32 v94, v88, v38
	v_add_f32_e32 v93, v93, v94
	s_waitcnt lgkmcnt(0)
	v_mul_f32_e32 v94, v89, v43
	v_fmac_f32_e32 v94, v90, v41
	v_add_f32_e32 v97, v93, v94
	ds_read2_b64 v[93:96], v117 offset0:83 offset1:84
	s_waitcnt vmcnt(30)
	v_mul_f32_e32 v98, v91, v45
	buffer_load_dword v182, off, s[0:3], 0 offset:272
	buffer_load_dword v183, off, s[0:3], 0 offset:276
	v_fmac_f32_e32 v98, v92, v44
	v_add_f32_e32 v101, v97, v98
	ds_read2_b64 v[97:100], v117 offset0:85 offset1:86
	s_waitcnt vmcnt(30) lgkmcnt(1)
	v_mul_f32_e32 v102, v93, v48
	v_fmac_f32_e32 v102, v94, v47
	v_add_f32_e32 v101, v101, v102
	s_waitcnt vmcnt(28)
	v_mul_f32_e32 v102, v95, v50
	v_fmac_f32_e32 v102, v96, v49
	v_add_f32_e32 v101, v101, v102
	s_waitcnt vmcnt(26) lgkmcnt(0)
	v_mul_f32_e32 v102, v97, v52
	v_fmac_f32_e32 v102, v98, v51
	v_add_f32_e32 v101, v101, v102
	s_waitcnt vmcnt(24)
	v_mul_f32_e32 v102, v99, v54
	v_fmac_f32_e32 v102, v100, v53
	buffer_load_dword v184, off, s[0:3], 0 offset:284
	v_add_f32_e32 v109, v101, v102
	ds_read2_b64 v[101:104], v117 offset0:87 offset1:88
	ds_read2_b64 v[105:108], v117 offset0:89 offset1:90
	buffer_load_dword v185, off, s[0:3], 0 offset:280
	buffer_load_dword v186, off, s[0:3], 0 offset:288
	;; [unrolled: 1-line block ×5, first 2 shown]
	v_mul_f32_e32 v21, v74, v21
	s_waitcnt vmcnt(28) lgkmcnt(1)
	v_mul_f32_e32 v110, v101, v56
	v_fmac_f32_e32 v110, v102, v55
	v_add_f32_e32 v109, v109, v110
	s_waitcnt vmcnt(26)
	v_mul_f32_e32 v110, v103, v58
	v_fmac_f32_e32 v110, v104, v57
	v_add_f32_e32 v109, v109, v110
	s_waitcnt vmcnt(24) lgkmcnt(0)
	v_mul_f32_e32 v110, v105, v60
	v_fmac_f32_e32 v110, v106, v59
	v_add_f32_e32 v113, v109, v110
	ds_read2_b64 v[109:112], v117 offset0:91 offset1:92
	buffer_load_dword v190, off, s[0:3], 0 offset:304
	buffer_load_dword v191, off, s[0:3], 0 offset:308
	s_waitcnt vmcnt(24)
	v_mul_f32_e32 v114, v107, v62
	v_fmac_f32_e32 v114, v108, v61
	v_add_f32_e32 v118, v113, v114
	ds_read2_b64 v[113:116], v117 offset0:93 offset1:94
	s_waitcnt vmcnt(22) lgkmcnt(1)
	v_mul_f32_e32 v119, v109, v64
	v_fmac_f32_e32 v119, v110, v63
	v_add_f32_e32 v118, v118, v119
	s_waitcnt vmcnt(21)
	v_mul_f32_e32 v119, v111, v65
	buffer_load_dword v192, off, s[0:3], 0 offset:312
	buffer_load_dword v193, off, s[0:3], 0 offset:316
	s_waitcnt vmcnt(20)
	v_fmac_f32_e32 v119, v112, v68
	v_add_f32_e32 v118, v118, v119
	s_waitcnt lgkmcnt(0)
	v_mul_f32_e32 v119, v113, v67
	v_fmac_f32_e32 v119, v114, v66
	buffer_load_dword v194, off, s[0:3], 0 offset:324
	v_add_f32_e32 v122, v118, v119
	ds_read2_b64 v[118:121], v117 offset0:95 offset1:96
	buffer_load_dword v195, off, s[0:3], 0 offset:328
	buffer_load_dword v196, off, s[0:3], 0 offset:332
	;; [unrolled: 1-line block ×3, first 2 shown]
	v_fma_f32 v42, v73, v42, -v21
	v_mul_f32_e32 v20, v76, v20
	v_fma_f32 v39, v75, v39, -v20
	v_add_f32_e32 v42, 0, v42
	v_mul_f32_e32 v19, v78, v19
	v_add_f32_e32 v39, v42, v39
	s_waitcnt vmcnt(22)
	v_mul_f32_e32 v123, v115, v70
	v_fmac_f32_e32 v123, v116, v69
	v_add_f32_e32 v126, v122, v123
	ds_read2_b64 v[122:125], v117 offset0:97 offset1:98
	buffer_load_dword v198, off, s[0:3], 0 offset:336
	buffer_load_dword v199, off, s[0:3], 0 offset:340
	;; [unrolled: 1-line block ×16, first 2 shown]
	v_fma_f32 v19, v77, v26, -v19
	s_waitcnt vmcnt(36) lgkmcnt(1)
	v_mul_f32_e32 v127, v118, v72
	v_fmac_f32_e32 v127, v119, v71
	v_add_f32_e32 v126, v126, v127
	v_mul_f32_e32 v18, v80, v18
	v_add_f32_e32 v19, v39, v19
	s_waitcnt vmcnt(35)
	v_mul_f32_e32 v127, v120, v178
	s_waitcnt vmcnt(34)
	v_fmac_f32_e32 v127, v121, v179
	v_add_f32_e32 v126, v126, v127
	s_waitcnt vmcnt(32) lgkmcnt(0)
	v_mul_f32_e32 v127, v122, v181
	v_fmac_f32_e32 v127, v123, v180
	v_add_f32_e32 v130, v126, v127
	ds_read2_b64 v[126:129], v117 offset0:99 offset1:100
	buffer_load_dword v214, off, s[0:3], 0 offset:400
	buffer_load_dword v215, off, s[0:3], 0 offset:404
	v_fma_f32 v18, v79, v29, -v18
	v_mul_f32_e32 v17, v82, v17
	v_add_f32_e32 v18, v19, v18
	s_waitcnt vmcnt(32)
	v_mul_f32_e32 v131, v124, v183
	v_fmac_f32_e32 v131, v125, v182
	v_add_f32_e32 v134, v130, v131
	ds_read2_b64 v[130:133], v117 offset0:101 offset1:102
	buffer_load_dword v216, off, s[0:3], 0 offset:408
	buffer_load_dword v217, off, s[0:3], 0 offset:412
	;; [unrolled: 1-line block ×6, first 2 shown]
	v_fma_f32 v17, v81, v27, -v17
	v_mul_f32_e32 v16, v84, v16
	v_add_f32_e32 v17, v18, v17
	v_fma_f32 v16, v83, v25, -v16
	v_mul_f32_e32 v10, v10, v15
	buffer_load_dword v222, off, s[0:3], 0 offset:432
	buffer_load_dword v223, off, s[0:3], 0 offset:436
	v_add_f32_e32 v16, v17, v16
	v_fma_f32 v9, v9, v24, -v10
	v_mul_f32_e32 v10, v12, v22
	v_add_f32_e32 v9, v16, v9
	v_fma_f32 v10, v11, v35, -v10
	v_mul_f32_e32 v6, v6, v23
	v_add_f32_e32 v9, v9, v10
	v_fma_f32 v5, v5, v32, -v6
	v_mul_f32_e32 v6, v8, v33
	v_add_f32_e32 v5, v9, v5
	v_fma_f32 v6, v7, v30, -v6
	v_mul_f32_e32 v2, v2, v31
	v_add_f32_e32 v5, v5, v6
	v_fma_f32 v1, v1, v28, -v2
	v_mul_f32_e32 v2, v4, v34
	v_add_f32_e32 v1, v5, v1
	v_fma_f32 v2, v3, v46, -v2
	s_waitcnt vmcnt(39) lgkmcnt(1)
	v_mul_f32_e32 v135, v126, v184
	buffer_load_dword v224, off, s[0:3], 0 offset:440
	buffer_load_dword v225, off, s[0:3], 0 offset:444
	;; [unrolled: 1-line block ×6, first 2 shown]
	v_add_f32_e32 v1, v1, v2
	v_mul_f32_e32 v2, v86, v37
	s_waitcnt vmcnt(44)
	v_fmac_f32_e32 v135, v127, v185
	v_fma_f32 v2, v85, v36, -v2
	v_add_f32_e32 v134, v134, v135
	s_waitcnt vmcnt(42)
	v_mul_f32_e32 v135, v128, v187
	v_add_f32_e32 v1, v1, v2
	v_mul_f32_e32 v2, v88, v40
	v_fmac_f32_e32 v135, v129, v186
	v_fma_f32 v2, v87, v38, -v2
	v_add_f32_e32 v134, v134, v135
	s_waitcnt vmcnt(40) lgkmcnt(0)
	v_mul_f32_e32 v135, v130, v189
	v_add_f32_e32 v1, v1, v2
	v_mul_f32_e32 v2, v90, v43
	v_fmac_f32_e32 v135, v131, v188
	v_fma_f32 v2, v89, v41, -v2
	v_add_f32_e32 v138, v134, v135
	ds_read2_b64 v[134:137], v117 offset0:103 offset1:104
	buffer_load_dword v230, off, s[0:3], 0 offset:464
	buffer_load_dword v231, off, s[0:3], 0 offset:468
	v_add_f32_e32 v1, v1, v2
	v_mul_f32_e32 v2, v92, v45
	v_fma_f32 v2, v91, v44, -v2
	s_waitcnt vmcnt(40)
	v_mul_f32_e32 v139, v132, v191
	v_add_f32_e32 v1, v1, v2
	v_mul_f32_e32 v2, v94, v48
	v_fmac_f32_e32 v139, v133, v190
	v_fma_f32 v2, v93, v47, -v2
	v_add_f32_e32 v142, v138, v139
	ds_read2_b64 v[138:141], v117 offset0:105 offset1:106
	buffer_load_dword v232, off, s[0:3], 0 offset:472
	buffer_load_dword v233, off, s[0:3], 0 offset:476
	buffer_load_dword v234, off, s[0:3], 0 offset:484
	buffer_load_dword v235, off, s[0:3], 0 offset:488
	buffer_load_dword v236, off, s[0:3], 0 offset:492
	buffer_load_dword v237, off, s[0:3], 0 offset:480
	v_add_f32_e32 v1, v1, v2
	v_mul_f32_e32 v2, v96, v50
	v_fma_f32 v2, v95, v49, -v2
	v_add_f32_e32 v1, v1, v2
	v_mul_f32_e32 v2, v98, v52
	v_fma_f32 v2, v97, v51, -v2
	v_add_f32_e32 v1, v1, v2
	v_mul_f32_e32 v2, v100, v54
	buffer_load_dword v238, off, s[0:3], 0 offset:500
	buffer_load_dword v239, off, s[0:3], 0 offset:504
	;; [unrolled: 1-line block ×4, first 2 shown]
	v_fma_f32 v2, v99, v53, -v2
	v_add_f32_e32 v1, v1, v2
	v_mul_f32_e32 v2, v102, v56
	v_fma_f32 v2, v101, v55, -v2
	v_add_f32_e32 v1, v1, v2
	v_mul_f32_e32 v2, v104, v58
	;; [unrolled: 3-line block ×9, first 2 shown]
	s_waitcnt vmcnt(48) lgkmcnt(1)
	v_mul_f32_e32 v143, v134, v193
	v_fma_f32 v2, v118, v71, -v2
	v_fmac_f32_e32 v143, v135, v192
	v_add_f32_e32 v1, v1, v2
	v_mul_f32_e32 v2, v121, v178
	v_add_f32_e32 v142, v142, v143
	s_waitcnt vmcnt(47)
	v_mul_f32_e32 v143, v136, v194
	v_fma_f32 v2, v120, v179, -v2
	s_waitcnt vmcnt(44)
	v_fmac_f32_e32 v143, v137, v197
	v_add_f32_e32 v1, v1, v2
	v_mul_f32_e32 v2, v123, v181
	v_add_f32_e32 v142, v142, v143
	s_waitcnt lgkmcnt(0)
	v_mul_f32_e32 v143, v138, v196
	v_fma_f32 v2, v122, v180, -v2
	v_fmac_f32_e32 v143, v139, v195
	v_add_f32_e32 v1, v1, v2
	v_mul_f32_e32 v2, v125, v183
	v_add_f32_e32 v146, v142, v143
	ds_read2_b64 v[142:145], v117 offset0:107 offset1:108
	v_fma_f32 v2, v124, v182, -v2
	v_add_f32_e32 v1, v1, v2
	v_mul_f32_e32 v2, v127, v184
	s_waitcnt vmcnt(42)
	v_mul_f32_e32 v147, v140, v199
	v_fma_f32 v2, v126, v185, -v2
	v_fmac_f32_e32 v147, v141, v198
	v_add_f32_e32 v1, v1, v2
	v_mul_f32_e32 v2, v129, v187
	v_add_f32_e32 v150, v146, v147
	ds_read2_b64 v[146:149], v117 offset0:109 offset1:110
	v_fma_f32 v2, v128, v186, -v2
	s_waitcnt vmcnt(40) lgkmcnt(1)
	v_mul_f32_e32 v151, v142, v201
	v_add_f32_e32 v1, v1, v2
	v_mul_f32_e32 v2, v131, v189
	v_fmac_f32_e32 v151, v143, v200
	v_fma_f32 v2, v130, v188, -v2
	v_add_f32_e32 v150, v150, v151
	s_waitcnt vmcnt(39)
	v_mul_f32_e32 v151, v144, v202
	v_add_f32_e32 v1, v1, v2
	v_mul_f32_e32 v2, v133, v191
	s_waitcnt vmcnt(36)
	v_fmac_f32_e32 v151, v145, v205
	v_fma_f32 v2, v132, v190, -v2
	v_add_f32_e32 v150, v150, v151
	s_waitcnt lgkmcnt(0)
	v_mul_f32_e32 v151, v146, v204
	v_add_f32_e32 v1, v1, v2
	v_mul_f32_e32 v2, v135, v193
	v_fmac_f32_e32 v151, v147, v203
	v_fma_f32 v2, v134, v192, -v2
	v_add_f32_e32 v154, v150, v151
	ds_read2_b64 v[150:153], v117 offset0:111 offset1:112
	v_add_f32_e32 v1, v1, v2
	v_mul_f32_e32 v2, v137, v194
	v_fma_f32 v2, v136, v197, -v2
	s_waitcnt vmcnt(34)
	v_mul_f32_e32 v155, v148, v207
	v_add_f32_e32 v1, v1, v2
	v_mul_f32_e32 v2, v139, v196
	v_fmac_f32_e32 v155, v149, v206
	v_fma_f32 v2, v138, v195, -v2
	v_add_f32_e32 v158, v154, v155
	ds_read2_b64 v[154:157], v117 offset0:113 offset1:114
	v_add_f32_e32 v1, v1, v2
	v_mul_f32_e32 v2, v141, v199
	s_waitcnt vmcnt(32) lgkmcnt(1)
	v_mul_f32_e32 v159, v150, v209
	v_fma_f32 v2, v140, v198, -v2
	v_fmac_f32_e32 v159, v151, v208
	v_add_f32_e32 v1, v1, v2
	v_mul_f32_e32 v2, v143, v201
	v_add_f32_e32 v158, v158, v159
	s_waitcnt vmcnt(31)
	v_mul_f32_e32 v159, v152, v210
	v_fma_f32 v2, v142, v200, -v2
	s_waitcnt vmcnt(28)
	v_fmac_f32_e32 v159, v153, v213
	v_add_f32_e32 v1, v1, v2
	v_mul_f32_e32 v2, v145, v202
	v_add_f32_e32 v158, v158, v159
	s_waitcnt lgkmcnt(0)
	v_mul_f32_e32 v159, v154, v212
	v_fma_f32 v2, v144, v205, -v2
	v_fmac_f32_e32 v159, v155, v211
	v_add_f32_e32 v1, v1, v2
	v_mul_f32_e32 v2, v147, v204
	v_add_f32_e32 v162, v158, v159
	ds_read2_b64 v[158:161], v117 offset0:115 offset1:116
	v_fma_f32 v2, v146, v203, -v2
	v_add_f32_e32 v1, v1, v2
	v_mul_f32_e32 v2, v149, v207
	s_waitcnt vmcnt(26)
	v_mul_f32_e32 v163, v156, v215
	v_fma_f32 v2, v148, v206, -v2
	v_fmac_f32_e32 v163, v157, v214
	v_add_f32_e32 v1, v1, v2
	v_mul_f32_e32 v2, v151, v209
	v_add_f32_e32 v166, v162, v163
	ds_read2_b64 v[162:165], v117 offset0:117 offset1:118
	v_fma_f32 v2, v150, v208, -v2
	s_waitcnt vmcnt(24) lgkmcnt(1)
	v_mul_f32_e32 v167, v158, v217
	v_add_f32_e32 v1, v1, v2
	v_mul_f32_e32 v2, v153, v210
	v_fmac_f32_e32 v167, v159, v216
	v_fma_f32 v2, v152, v213, -v2
	v_add_f32_e32 v166, v166, v167
	s_waitcnt vmcnt(23)
	v_mul_f32_e32 v167, v160, v218
	v_add_f32_e32 v1, v1, v2
	v_mul_f32_e32 v2, v155, v212
	s_waitcnt vmcnt(20)
	v_fmac_f32_e32 v167, v161, v221
	v_fma_f32 v2, v154, v211, -v2
	v_add_f32_e32 v166, v166, v167
	s_waitcnt lgkmcnt(0)
	v_mul_f32_e32 v167, v162, v220
	v_add_f32_e32 v1, v1, v2
	v_mul_f32_e32 v2, v157, v215
	v_fmac_f32_e32 v167, v163, v219
	v_fma_f32 v2, v156, v214, -v2
	v_add_f32_e32 v170, v166, v167
	ds_read2_b64 v[166:169], v117 offset0:119 offset1:120
	v_add_f32_e32 v1, v1, v2
	v_mul_f32_e32 v2, v159, v217
	v_fma_f32 v2, v158, v216, -v2
	s_waitcnt vmcnt(18)
	v_mul_f32_e32 v171, v164, v223
	v_add_f32_e32 v1, v1, v2
	v_mul_f32_e32 v2, v161, v218
	v_fmac_f32_e32 v171, v165, v222
	v_fma_f32 v2, v160, v221, -v2
	v_add_f32_e32 v174, v170, v171
	ds_read2_b64 v[170:173], v117 offset0:121 offset1:122
	v_add_f32_e32 v1, v1, v2
	v_mul_f32_e32 v2, v163, v220
	s_waitcnt vmcnt(16) lgkmcnt(1)
	v_mul_f32_e32 v175, v166, v225
	v_fma_f32 v2, v162, v219, -v2
	v_fmac_f32_e32 v175, v167, v224
	v_add_f32_e32 v1, v1, v2
	v_mul_f32_e32 v2, v165, v223
	v_add_f32_e32 v174, v174, v175
	s_waitcnt vmcnt(15)
	v_mul_f32_e32 v175, v168, v226
	v_fma_f32 v2, v164, v222, -v2
	s_waitcnt vmcnt(12)
	v_fmac_f32_e32 v175, v169, v229
	v_add_f32_e32 v1, v1, v2
	v_mul_f32_e32 v2, v167, v225
	v_add_f32_e32 v174, v174, v175
	s_waitcnt lgkmcnt(0)
	v_mul_f32_e32 v175, v170, v228
	v_fma_f32 v2, v166, v224, -v2
	v_fmac_f32_e32 v175, v171, v227
	v_add_f32_e32 v1, v1, v2
	v_mul_f32_e32 v2, v169, v226
	v_add_f32_e32 v251, v174, v175
	ds_read2_b64 v[174:177], v117 offset0:123 offset1:124
	ds_read2_b64 v[73:76], v117 offset0:125 offset1:126
	v_fma_f32 v2, v168, v229, -v2
	v_add_f32_e32 v1, v1, v2
	v_mul_f32_e32 v2, v171, v228
	v_fma_f32 v2, v170, v227, -v2
	v_add_f32_e32 v1, v1, v2
	s_waitcnt vmcnt(10)
	v_mul_f32_e32 v2, v173, v231
	v_mul_f32_e32 v252, v172, v231
	v_fma_f32 v2, v172, v230, -v2
	v_fmac_f32_e32 v252, v173, v230
	s_waitcnt vmcnt(8) lgkmcnt(1)
	v_mul_f32_e32 v20, v174, v233
	v_add_f32_e32 v1, v1, v2
	v_mul_f32_e32 v2, v175, v233
	v_add_f32_e32 v251, v251, v252
	v_fmac_f32_e32 v20, v175, v232
	s_waitcnt vmcnt(7)
	v_mul_f32_e32 v21, v176, v234
	v_fma_f32 v2, v174, v232, -v2
	v_add_f32_e32 v20, v251, v20
	s_waitcnt vmcnt(4)
	v_fmac_f32_e32 v21, v177, v237
	v_add_f32_e32 v1, v1, v2
	v_mul_f32_e32 v2, v177, v234
	v_add_f32_e32 v251, v20, v21
	ds_read_b64 v[20:21], v117 offset:1016
	v_fma_f32 v2, v176, v237, -v2
	v_add_f32_e32 v1, v1, v2
	s_waitcnt lgkmcnt(1)
	v_mul_f32_e32 v2, v74, v236
	v_mul_f32_e32 v252, v73, v236
	v_fma_f32 v2, v73, v235, -v2
	v_fmac_f32_e32 v252, v74, v235
	v_add_f32_e32 v1, v1, v2
	s_waitcnt vmcnt(3)
	v_mul_f32_e32 v2, v76, v238
	v_add_f32_e32 v251, v251, v252
	v_mul_f32_e32 v252, v75, v238
	s_waitcnt vmcnt(0)
	v_fma_f32 v2, v75, v250, -v2
	v_fmac_f32_e32 v252, v76, v250
	v_add_f32_e32 v1, v1, v2
	s_waitcnt lgkmcnt(0)
	v_mul_f32_e32 v2, v21, v240
	v_add_f32_e32 v251, v251, v252
	v_mul_f32_e32 v252, v20, v240
	v_fma_f32 v2, v20, v239, -v2
	v_fmac_f32_e32 v252, v21, v239
	v_add_f32_e32 v1, v1, v2
	v_add_f32_e32 v251, v251, v252
	v_sub_f32_e32 v1, v13, v1
	v_sub_f32_e32 v2, v14, v251
	buffer_store_dword v1, off, s[0:3], 0 offset:16
	buffer_store_dword v2, off, s[0:3], 0 offset:20
	s_and_saveexec_b64 s[4:5], vcc
	s_cbranch_execz .LBB63_395
; %bb.394:
	buffer_load_dword v1, off, s[0:3], 0 offset:8
	buffer_load_dword v2, off, s[0:3], 0 offset:12
	s_waitcnt vmcnt(0)
	ds_write_b64 v249, v[1:2]
	buffer_store_dword v117, off, s[0:3], 0 offset:8
	buffer_store_dword v117, off, s[0:3], 0 offset:12
.LBB63_395:
	s_or_b64 exec, exec, s[4:5]
	s_waitcnt lgkmcnt(0)
	; wave barrier
	buffer_load_dword v118, off, s[0:3], 0 offset:20
	buffer_load_dword v119, off, s[0:3], 0 offset:28
	;; [unrolled: 1-line block ×26, first 2 shown]
	ds_read_b128 v[113:116], v117 offset:528
	ds_read_b128 v[1:4], v117 offset:544
	buffer_load_dword v138, off, s[0:3], 0 offset:120
	buffer_load_dword v139, off, s[0:3], 0 offset:124
	;; [unrolled: 1-line block ×4, first 2 shown]
	ds_read_b128 v[17:20], v117 offset:560
	ds_read_b128 v[13:16], v117 offset:576
	;; [unrolled: 1-line block ×4, first 2 shown]
	buffer_load_dword v142, off, s[0:3], 0 offset:136
	buffer_load_dword v143, off, s[0:3], 0 offset:140
	buffer_load_dword v144, off, s[0:3], 0 offset:144
	buffer_load_dword v145, off, s[0:3], 0 offset:148
	buffer_load_dword v146, off, s[0:3], 0 offset:152
	buffer_load_dword v147, off, s[0:3], 0 offset:156
	buffer_load_dword v148, off, s[0:3], 0 offset:160
	buffer_load_dword v149, off, s[0:3], 0 offset:164
	buffer_load_dword v150, off, s[0:3], 0 offset:168
	buffer_load_dword v151, off, s[0:3], 0 offset:172
	buffer_load_dword v152, off, s[0:3], 0 offset:176
	buffer_load_dword v153, off, s[0:3], 0 offset:180
	buffer_load_dword v154, off, s[0:3], 0 offset:184
	buffer_load_dword v155, off, s[0:3], 0 offset:188
	buffer_load_dword v156, off, s[0:3], 0 offset:192
	buffer_load_dword v157, off, s[0:3], 0 offset:196
	buffer_load_dword v158, off, s[0:3], 0 offset:200
	buffer_load_dword v159, off, s[0:3], 0 offset:204
	buffer_load_dword v160, off, s[0:3], 0 offset:208
	buffer_load_dword v255, off, s[0:3], 0 offset:212
	buffer_load_dword v161, off, s[0:3], 0 offset:216
	buffer_load_dword v162, off, s[0:3], 0 offset:220
	buffer_load_dword v163, off, s[0:3], 0 offset:224
	buffer_load_dword v164, off, s[0:3], 0 offset:228
	buffer_load_dword v165, off, s[0:3], 0 offset:232
	buffer_load_dword v166, off, s[0:3], 0 offset:236
	buffer_load_dword v167, off, s[0:3], 0 offset:240
	buffer_load_dword v168, off, s[0:3], 0 offset:244
	v_cmp_ne_u32_e32 vcc, 0, v0
	s_waitcnt vmcnt(57) lgkmcnt(5)
	v_mul_f32_e32 v21, v113, v118
	s_waitcnt vmcnt(56)
	v_mul_f32_e32 v22, v115, v119
	s_waitcnt vmcnt(55) lgkmcnt(4)
	v_mul_f32_e32 v23, v1, v254
	s_waitcnt vmcnt(54)
	v_mul_f32_e32 v24, v3, v253
	;; [unrolled: 4-line block ×5, first 2 shown]
	s_waitcnt vmcnt(47)
	v_fmac_f32_e32 v21, v114, v120
	s_waitcnt vmcnt(46)
	v_fmac_f32_e32 v22, v116, v235
	v_add_f32_e32 v21, 0, v21
	s_waitcnt vmcnt(45)
	v_fmac_f32_e32 v23, v2, v132
	v_add_f32_e32 v21, v21, v22
	;; [unrolled: 3-line block ×9, first 2 shown]
	s_waitcnt vmcnt(37) lgkmcnt(0)
	v_mul_f32_e32 v22, v5, v124
	ds_read_b128 v[25:28], v117 offset:624
	v_add_f32_e32 v21, v21, v30
	s_waitcnt vmcnt(36)
	v_fmac_f32_e32 v22, v6, v133
	v_add_f32_e32 v21, v21, v22
	s_waitcnt vmcnt(35)
	v_mul_f32_e32 v22, v7, v137
	s_waitcnt vmcnt(34)
	v_fmac_f32_e32 v22, v8, v136
	v_add_f32_e32 v29, v21, v22
	ds_read_b128 v[21:24], v117 offset:640
	s_waitcnt vmcnt(33) lgkmcnt(1)
	v_mul_f32_e32 v30, v25, v135
	s_waitcnt vmcnt(32)
	v_fmac_f32_e32 v30, v26, v134
	buffer_load_dword v169, off, s[0:3], 0 offset:248
	buffer_load_dword v170, off, s[0:3], 0 offset:252
	v_add_f32_e32 v29, v29, v30
	s_waitcnt vmcnt(32)
	v_mul_f32_e32 v30, v27, v139
	v_fmac_f32_e32 v30, v28, v138
	buffer_load_dword v171, off, s[0:3], 0 offset:256
	buffer_load_dword v172, off, s[0:3], 0 offset:260
	v_add_f32_e32 v29, v29, v30
	s_waitcnt vmcnt(32) lgkmcnt(0)
	v_mul_f32_e32 v30, v21, v141
	v_fmac_f32_e32 v30, v22, v140
	v_add_f32_e32 v33, v29, v30
	ds_read_b128 v[29:32], v117 offset:656
	buffer_load_dword v173, off, s[0:3], 0 offset:264
	buffer_load_dword v174, off, s[0:3], 0 offset:268
	s_waitcnt vmcnt(32)
	v_mul_f32_e32 v34, v23, v143
	v_fmac_f32_e32 v34, v24, v142
	v_add_f32_e32 v37, v33, v34
	ds_read_b128 v[33:36], v117 offset:672
	s_waitcnt vmcnt(30) lgkmcnt(1)
	v_mul_f32_e32 v38, v29, v145
	v_fmac_f32_e32 v38, v30, v144
	v_add_f32_e32 v37, v37, v38
	s_waitcnt vmcnt(28)
	v_mul_f32_e32 v38, v31, v147
	v_fmac_f32_e32 v38, v32, v146
	v_add_f32_e32 v37, v37, v38
	s_waitcnt vmcnt(26) lgkmcnt(0)
	v_mul_f32_e32 v38, v33, v149
	v_fmac_f32_e32 v38, v34, v148
	buffer_load_dword v175, off, s[0:3], 0 offset:272
	buffer_load_dword v176, off, s[0:3], 0 offset:276
	v_add_f32_e32 v41, v37, v38
	ds_read_b128 v[37:40], v117 offset:688
	buffer_load_dword v177, off, s[0:3], 0 offset:280
	buffer_load_dword v178, off, s[0:3], 0 offset:284
	s_waitcnt vmcnt(28)
	v_mul_f32_e32 v42, v35, v151
	v_fmac_f32_e32 v42, v36, v150
	v_add_f32_e32 v45, v41, v42
	ds_read_b128 v[41:44], v117 offset:704
	buffer_load_dword v179, off, s[0:3], 0 offset:288
	buffer_load_dword v180, off, s[0:3], 0 offset:292
	s_waitcnt vmcnt(28) lgkmcnt(1)
	v_mul_f32_e32 v46, v37, v153
	v_fmac_f32_e32 v46, v38, v152
	buffer_load_dword v181, off, s[0:3], 0 offset:296
	buffer_load_dword v182, off, s[0:3], 0 offset:300
	v_add_f32_e32 v45, v45, v46
	s_waitcnt vmcnt(28)
	v_mul_f32_e32 v46, v39, v155
	v_fmac_f32_e32 v46, v40, v154
	v_add_f32_e32 v45, v45, v46
	s_waitcnt vmcnt(26) lgkmcnt(0)
	v_mul_f32_e32 v46, v41, v157
	ds_read_b128 v[49:52], v117 offset:720
	v_fmac_f32_e32 v46, v42, v156
	v_add_f32_e32 v45, v45, v46
	s_waitcnt vmcnt(24)
	v_mul_f32_e32 v46, v43, v159
	v_fmac_f32_e32 v46, v44, v158
	v_add_f32_e32 v53, v45, v46
	ds_read_b128 v[45:48], v117 offset:736
	s_waitcnt vmcnt(22) lgkmcnt(1)
	v_mul_f32_e32 v54, v49, v255
	v_fmac_f32_e32 v54, v50, v160
	buffer_load_dword v183, off, s[0:3], 0 offset:304
	buffer_load_dword v184, off, s[0:3], 0 offset:308
	v_add_f32_e32 v53, v53, v54
	s_waitcnt vmcnt(22)
	v_mul_f32_e32 v54, v51, v162
	v_fmac_f32_e32 v54, v52, v161
	v_add_f32_e32 v53, v53, v54
	s_waitcnt vmcnt(20) lgkmcnt(0)
	v_mul_f32_e32 v54, v45, v164
	buffer_load_dword v185, off, s[0:3], 0 offset:312
	buffer_load_dword v186, off, s[0:3], 0 offset:316
	v_fmac_f32_e32 v54, v46, v163
	v_add_f32_e32 v53, v53, v54
	s_waitcnt vmcnt(20)
	v_mul_f32_e32 v54, v47, v166
	ds_read_b128 v[57:60], v117 offset:752
	buffer_load_dword v187, off, s[0:3], 0 offset:320
	buffer_load_dword v188, off, s[0:3], 0 offset:324
	v_fmac_f32_e32 v54, v48, v165
	v_add_f32_e32 v61, v53, v54
	ds_read_b128 v[53:56], v117 offset:768
	buffer_load_dword v189, off, s[0:3], 0 offset:328
	buffer_load_dword v192, off, s[0:3], 0 offset:332
	buffer_load_dword v190, off, s[0:3], 0 offset:336
	buffer_load_dword v194, off, s[0:3], 0 offset:340
	buffer_load_dword v196, off, s[0:3], 0 offset:348
	buffer_load_dword v195, off, s[0:3], 0 offset:344
	buffer_load_dword v191, off, s[0:3], 0 offset:352
	buffer_load_dword v197, off, s[0:3], 0 offset:356
	buffer_load_dword v193, off, s[0:3], 0 offset:360
	buffer_load_dword v200, off, s[0:3], 0 offset:364
	s_waitcnt vmcnt(30) lgkmcnt(1)
	v_mul_f32_e32 v62, v57, v168
	v_fmac_f32_e32 v62, v58, v167
	v_add_f32_e32 v61, v61, v62
	buffer_load_dword v198, off, s[0:3], 0 offset:368
	buffer_load_dword v202, off, s[0:3], 0 offset:372
	ds_read_b128 v[65:68], v117 offset:784
	buffer_load_dword v204, off, s[0:3], 0 offset:380
	buffer_load_dword v203, off, s[0:3], 0 offset:376
	;; [unrolled: 1-line block ×4, first 2 shown]
	v_mul_f32_e32 v114, v114, v118
	v_mul_f32_e32 v2, v2, v254
	v_fma_f32 v1, v1, v132, -v2
	v_mul_f32_e32 v2, v4, v253
	v_fma_f32 v2, v3, v131, -v2
	s_waitcnt vmcnt(34)
	v_mul_f32_e32 v62, v59, v170
	v_fmac_f32_e32 v62, v60, v169
	v_add_f32_e32 v61, v61, v62
	s_waitcnt vmcnt(32) lgkmcnt(1)
	v_mul_f32_e32 v62, v53, v172
	v_fmac_f32_e32 v62, v54, v171
	v_add_f32_e32 v61, v61, v62
	s_waitcnt vmcnt(30)
	v_mul_f32_e32 v62, v55, v174
	v_fmac_f32_e32 v62, v56, v173
	v_add_f32_e32 v69, v61, v62
	ds_read_b128 v[61:64], v117 offset:800
	buffer_load_dword v201, off, s[0:3], 0 offset:392
	buffer_load_dword v208, off, s[0:3], 0 offset:396
	;; [unrolled: 1-line block ×16, first 2 shown]
	ds_read_b128 v[73:76], v117 offset:816
	buffer_load_dword v217, off, s[0:3], 0 offset:456
	buffer_load_dword v224, off, s[0:3], 0 offset:460
	s_waitcnt vmcnt(46) lgkmcnt(2)
	v_mul_f32_e32 v70, v65, v176
	v_fmac_f32_e32 v70, v66, v175
	v_add_f32_e32 v69, v69, v70
	s_waitcnt vmcnt(44)
	v_mul_f32_e32 v70, v67, v178
	v_fmac_f32_e32 v70, v68, v177
	v_add_f32_e32 v69, v69, v70
	s_waitcnt vmcnt(42) lgkmcnt(1)
	v_mul_f32_e32 v70, v61, v180
	v_fmac_f32_e32 v70, v62, v179
	v_add_f32_e32 v69, v69, v70
	s_waitcnt vmcnt(40)
	v_mul_f32_e32 v70, v63, v182
	v_fmac_f32_e32 v70, v64, v181
	v_add_f32_e32 v77, v69, v70
	ds_read_b128 v[69:72], v117 offset:832
	buffer_load_dword v222, off, s[0:3], 0 offset:464
	buffer_load_dword v227, off, s[0:3], 0 offset:468
	;; [unrolled: 1-line block ×12, first 2 shown]
	ds_read_b128 v[81:84], v117 offset:848
	ds_read_b128 v[89:92], v117 offset:880
	ds_read_b128 v[97:100], v117 offset:912
	ds_read_b128 v[105:108], v117 offset:944
	s_waitcnt vmcnt(50) lgkmcnt(5)
	v_mul_f32_e32 v78, v73, v184
	v_fmac_f32_e32 v78, v74, v183
	v_add_f32_e32 v77, v77, v78
	s_waitcnt vmcnt(48)
	v_mul_f32_e32 v78, v75, v186
	v_fmac_f32_e32 v78, v76, v185
	v_add_f32_e32 v77, v77, v78
	s_waitcnt vmcnt(46) lgkmcnt(4)
	v_mul_f32_e32 v78, v69, v188
	v_fmac_f32_e32 v78, v70, v187
	v_add_f32_e32 v77, v77, v78
	s_waitcnt vmcnt(44)
	v_mul_f32_e32 v78, v71, v192
	v_fmac_f32_e32 v78, v72, v189
	v_add_f32_e32 v85, v77, v78
	ds_read_b128 v[77:80], v117 offset:864
	s_waitcnt vmcnt(42) lgkmcnt(4)
	v_mul_f32_e32 v86, v81, v194
	v_fmac_f32_e32 v86, v82, v190
	v_add_f32_e32 v85, v85, v86
	s_waitcnt vmcnt(41)
	v_mul_f32_e32 v86, v83, v196
	s_waitcnt vmcnt(40)
	v_fmac_f32_e32 v86, v84, v195
	v_add_f32_e32 v85, v85, v86
	s_waitcnt vmcnt(38) lgkmcnt(0)
	v_mul_f32_e32 v86, v77, v197
	v_fmac_f32_e32 v86, v78, v191
	v_add_f32_e32 v85, v85, v86
	s_waitcnt vmcnt(36)
	v_mul_f32_e32 v86, v79, v200
	v_fmac_f32_e32 v86, v80, v193
	v_add_f32_e32 v93, v85, v86
	ds_read_b128 v[85:88], v117 offset:896
	s_waitcnt vmcnt(34)
	v_mul_f32_e32 v94, v89, v202
	v_fmac_f32_e32 v94, v90, v198
	v_add_f32_e32 v93, v93, v94
	s_waitcnt vmcnt(33)
	v_mul_f32_e32 v94, v91, v204
	s_waitcnt vmcnt(32)
	v_fmac_f32_e32 v94, v92, v203
	v_add_f32_e32 v93, v93, v94
	s_waitcnt vmcnt(30) lgkmcnt(0)
	v_mul_f32_e32 v94, v85, v205
	v_fmac_f32_e32 v94, v86, v199
	v_add_f32_e32 v93, v93, v94
	s_waitcnt vmcnt(28)
	v_mul_f32_e32 v94, v87, v208
	v_fmac_f32_e32 v94, v88, v201
	v_add_f32_e32 v101, v93, v94
	ds_read_b128 v[93:96], v117 offset:928
	s_waitcnt vmcnt(26)
	;; [unrolled: 18-line block ×3, first 2 shown]
	v_mul_f32_e32 v110, v105, v218
	v_fmac_f32_e32 v110, v106, v214
	v_add_f32_e32 v109, v109, v110
	s_waitcnt vmcnt(17)
	v_mul_f32_e32 v110, v107, v220
	s_waitcnt vmcnt(16)
	v_fmac_f32_e32 v110, v108, v219
	v_add_f32_e32 v109, v109, v110
	s_waitcnt vmcnt(14) lgkmcnt(0)
	v_mul_f32_e32 v110, v101, v221
	v_fmac_f32_e32 v110, v102, v215
	s_waitcnt vmcnt(12)
	v_mul_f32_e32 v237, v103, v224
	v_add_f32_e32 v236, v109, v110
	v_fmac_f32_e32 v237, v104, v217
	v_add_f32_e32 v236, v236, v237
	v_fma_f32 v237, v113, v120, -v114
	v_mul_f32_e32 v113, v116, v119
	v_fma_f32 v238, v115, v235, -v113
	v_add_f32_e32 v237, 0, v237
	v_add_f32_e32 v237, v237, v238
	;; [unrolled: 1-line block ×4, first 2 shown]
	v_mul_f32_e32 v2, v18, v252
	v_fma_f32 v2, v17, v129, -v2
	v_add_f32_e32 v1, v1, v2
	v_mul_f32_e32 v2, v20, v251
	v_fma_f32 v2, v19, v127, -v2
	v_add_f32_e32 v1, v1, v2
	;; [unrolled: 3-line block ×9, first 2 shown]
	v_mul_f32_e32 v2, v28, v139
	v_fma_f32 v2, v27, v138, -v2
	ds_read_b128 v[109:112], v117 offset:976
	ds_read_b128 v[113:116], v117 offset:992
	v_add_f32_e32 v1, v1, v2
	v_mul_f32_e32 v2, v22, v141
	v_fma_f32 v2, v21, v140, -v2
	v_add_f32_e32 v1, v1, v2
	v_mul_f32_e32 v2, v24, v143
	v_fma_f32 v2, v23, v142, -v2
	v_add_f32_e32 v1, v1, v2
	v_mul_f32_e32 v2, v30, v145
	s_waitcnt vmcnt(10) lgkmcnt(1)
	v_mul_f32_e32 v118, v109, v227
	v_fma_f32 v2, v29, v144, -v2
	v_fmac_f32_e32 v118, v110, v222
	s_waitcnt vmcnt(9)
	v_mul_f32_e32 v119, v111, v229
	v_add_f32_e32 v1, v1, v2
	v_mul_f32_e32 v2, v32, v147
	v_add_f32_e32 v118, v236, v118
	s_waitcnt vmcnt(8)
	v_fmac_f32_e32 v119, v112, v228
	v_fma_f32 v2, v31, v146, -v2
	v_add_f32_e32 v235, v118, v119
	ds_read_b128 v[117:120], v117 offset:1008
	v_add_f32_e32 v1, v1, v2
	v_mul_f32_e32 v2, v34, v149
	s_waitcnt vmcnt(6) lgkmcnt(1)
	v_mul_f32_e32 v236, v113, v230
	v_fma_f32 v2, v33, v148, -v2
	v_fmac_f32_e32 v236, v114, v223
	v_add_f32_e32 v1, v1, v2
	v_mul_f32_e32 v2, v36, v151
	v_add_f32_e32 v235, v235, v236
	s_waitcnt vmcnt(4)
	v_mul_f32_e32 v236, v115, v231
	v_fma_f32 v2, v35, v150, -v2
	v_fmac_f32_e32 v236, v116, v225
	v_add_f32_e32 v1, v1, v2
	v_mul_f32_e32 v2, v38, v153
	v_add_f32_e32 v235, v235, v236
	s_waitcnt vmcnt(3) lgkmcnt(0)
	v_mul_f32_e32 v236, v117, v233
	v_fma_f32 v2, v37, v152, -v2
	s_waitcnt vmcnt(2)
	v_fmac_f32_e32 v236, v118, v232
	v_add_f32_e32 v1, v1, v2
	v_mul_f32_e32 v2, v40, v155
	v_add_f32_e32 v235, v235, v236
	s_waitcnt vmcnt(0)
	v_mul_f32_e32 v236, v119, v234
	v_fma_f32 v2, v39, v154, -v2
	v_fmac_f32_e32 v236, v120, v226
	v_add_f32_e32 v1, v1, v2
	v_mul_f32_e32 v2, v42, v157
	v_add_f32_e32 v235, v235, v236
	buffer_load_dword v236, off, s[0:3], 0 offset:8
	buffer_load_dword v238, off, s[0:3], 0 offset:12
	v_fma_f32 v2, v41, v156, -v2
	v_add_f32_e32 v1, v1, v2
	v_mul_f32_e32 v2, v44, v159
	v_fma_f32 v2, v43, v158, -v2
	v_add_f32_e32 v1, v1, v2
	v_mul_f32_e32 v2, v50, v255
	;; [unrolled: 3-line block ×39, first 2 shown]
	v_fma_f32 v2, v119, v226, -v2
	v_add_f32_e32 v1, v1, v2
	s_waitcnt vmcnt(1)
	v_sub_f32_e32 v1, v236, v1
	s_waitcnt vmcnt(0)
	v_sub_f32_e32 v2, v238, v235
	buffer_store_dword v1, off, s[0:3], 0 offset:8
	buffer_store_dword v2, off, s[0:3], 0 offset:12
	s_and_saveexec_b64 s[4:5], vcc
	s_cbranch_execz .LBB63_397
; %bb.396:
	buffer_load_dword v0, off, s[0:3], 0
	buffer_load_dword v1, off, s[0:3], 0 offset:4
	v_mov_b32_e32 v2, 0
	buffer_store_dword v2, off, s[0:3], 0
	buffer_store_dword v2, off, s[0:3], 0 offset:4
	s_waitcnt vmcnt(2)
	ds_write_b64 v249, v[0:1]
.LBB63_397:
	s_or_b64 exec, exec, s[4:5]
	s_waitcnt lgkmcnt(0)
	; wave barrier
	buffer_load_dword v236, off, s[0:3], 0 offset:12
	buffer_load_dword v254, off, s[0:3], 0 offset:20
	;; [unrolled: 1-line block ×26, first 2 shown]
	buffer_load_dword v117, off, s[0:3], 0
	buffer_load_dword v134, off, s[0:3], 0 offset:112
	buffer_load_dword v135, off, s[0:3], 0 offset:116
	;; [unrolled: 1-line block ×26, first 2 shown]
	v_mov_b32_e32 v116, 0
	ds_read2_b64 v[20:23], v116 offset0:65 offset1:66
	ds_read2_b64 v[16:19], v116 offset0:67 offset1:68
	;; [unrolled: 1-line block ×6, first 2 shown]
	buffer_load_dword v161, off, s[0:3], 0 offset:216
	buffer_load_dword v162, off, s[0:3], 0 offset:220
	;; [unrolled: 1-line block ×4, first 2 shown]
	s_and_b64 vcc, exec, s[22:23]
	s_waitcnt vmcnt(56) lgkmcnt(5)
	v_mul_f32_e32 v24, v20, v236
	s_waitcnt vmcnt(55)
	v_mul_f32_e32 v25, v22, v254
	s_waitcnt vmcnt(54) lgkmcnt(4)
	v_mul_f32_e32 v26, v16, v250
	s_waitcnt vmcnt(53)
	v_mul_f32_e32 v27, v18, v249
	s_waitcnt vmcnt(52) lgkmcnt(3)
	v_mul_f32_e32 v28, v12, v120
	s_waitcnt vmcnt(51)
	v_mul_f32_e32 v29, v14, v119
	s_waitcnt vmcnt(50) lgkmcnt(2)
	v_mul_f32_e32 v30, v8, v118
	s_waitcnt vmcnt(49)
	v_mul_f32_e32 v31, v10, v251
	s_waitcnt vmcnt(48) lgkmcnt(1)
	v_mul_f32_e32 v32, v4, v252
	s_waitcnt vmcnt(47)
	v_mul_f32_e32 v33, v6, v253
	s_waitcnt vmcnt(46)
	v_fmac_f32_e32 v24, v21, v237
	s_waitcnt vmcnt(45)
	v_fmac_f32_e32 v25, v23, v141
	v_add_f32_e32 v24, 0, v24
	s_waitcnt vmcnt(44)
	v_fmac_f32_e32 v26, v17, v133
	v_add_f32_e32 v24, v24, v25
	;; [unrolled: 3-line block ×9, first 2 shown]
	s_waitcnt vmcnt(36) lgkmcnt(0)
	v_mul_f32_e32 v25, v0, v255
	ds_read2_b64 v[28:31], v116 offset0:77 offset1:78
	buffer_load_dword v164, off, s[0:3], 0 offset:232
	buffer_load_dword v166, off, s[0:3], 0 offset:236
	v_add_f32_e32 v24, v24, v33
	s_waitcnt vmcnt(37)
	v_fmac_f32_e32 v25, v1, v127
	v_add_f32_e32 v24, v24, v25
	s_waitcnt vmcnt(36)
	v_mul_f32_e32 v25, v2, v131
	s_waitcnt vmcnt(35)
	v_fmac_f32_e32 v25, v3, v130
	v_add_f32_e32 v32, v24, v25
	ds_read2_b64 v[24:27], v116 offset0:79 offset1:80
	buffer_load_dword v169, off, s[0:3], 0 offset:244
	buffer_load_dword v168, off, s[0:3], 0 offset:240
	;; [unrolled: 1-line block ×6, first 2 shown]
	s_waitcnt vmcnt(40) lgkmcnt(1)
	v_mul_f32_e32 v33, v28, v129
	s_waitcnt vmcnt(39)
	v_fmac_f32_e32 v33, v29, v128
	v_add_f32_e32 v32, v32, v33
	s_waitcnt vmcnt(36)
	v_mul_f32_e32 v33, v30, v135
	v_fmac_f32_e32 v33, v31, v134
	v_add_f32_e32 v32, v32, v33
	s_waitcnt vmcnt(34) lgkmcnt(0)
	v_mul_f32_e32 v33, v24, v137
	ds_read2_b64 v[36:39], v116 offset0:81 offset1:82
	v_fmac_f32_e32 v33, v25, v136
	v_add_f32_e32 v32, v32, v33
	s_waitcnt vmcnt(32)
	v_mul_f32_e32 v33, v26, v139
	v_fmac_f32_e32 v33, v27, v138
	v_add_f32_e32 v40, v32, v33
	ds_read2_b64 v[32:35], v116 offset0:83 offset1:84
	s_waitcnt vmcnt(30) lgkmcnt(1)
	v_mul_f32_e32 v41, v36, v142
	v_fmac_f32_e32 v41, v37, v140
	buffer_load_dword v173, off, s[0:3], 0 offset:264
	buffer_load_dword v174, off, s[0:3], 0 offset:268
	v_add_f32_e32 v40, v40, v41
	s_waitcnt vmcnt(30)
	v_mul_f32_e32 v41, v38, v144
	v_fmac_f32_e32 v41, v39, v143
	v_add_f32_e32 v40, v40, v41
	s_waitcnt vmcnt(28) lgkmcnt(0)
	v_mul_f32_e32 v41, v32, v146
	buffer_load_dword v175, off, s[0:3], 0 offset:272
	buffer_load_dword v176, off, s[0:3], 0 offset:276
	v_fmac_f32_e32 v41, v33, v145
	v_add_f32_e32 v40, v40, v41
	s_waitcnt vmcnt(28)
	v_mul_f32_e32 v41, v34, v148
	ds_read2_b64 v[44:47], v116 offset0:85 offset1:86
	buffer_load_dword v177, off, s[0:3], 0 offset:280
	buffer_load_dword v178, off, s[0:3], 0 offset:284
	v_fmac_f32_e32 v41, v35, v147
	v_add_f32_e32 v48, v40, v41
	ds_read2_b64 v[40:43], v116 offset0:87 offset1:88
	buffer_load_dword v179, off, s[0:3], 0 offset:288
	buffer_load_dword v180, off, s[0:3], 0 offset:292
	s_waitcnt vmcnt(30) lgkmcnt(1)
	v_mul_f32_e32 v49, v44, v150
	v_fmac_f32_e32 v49, v45, v149
	v_add_f32_e32 v48, v48, v49
	s_waitcnt vmcnt(28)
	v_mul_f32_e32 v49, v46, v152
	v_fmac_f32_e32 v49, v47, v151
	v_add_f32_e32 v48, v48, v49
	s_waitcnt vmcnt(26) lgkmcnt(0)
	v_mul_f32_e32 v49, v40, v154
	ds_read2_b64 v[52:55], v116 offset0:89 offset1:90
	v_fmac_f32_e32 v49, v41, v153
	v_add_f32_e32 v48, v48, v49
	s_waitcnt vmcnt(24)
	v_mul_f32_e32 v49, v42, v156
	v_fmac_f32_e32 v49, v43, v155
	v_add_f32_e32 v56, v48, v49
	buffer_load_dword v181, off, s[0:3], 0 offset:296
	buffer_load_dword v182, off, s[0:3], 0 offset:300
	ds_read2_b64 v[48:51], v116 offset0:91 offset1:92
	s_waitcnt vmcnt(24) lgkmcnt(1)
	v_mul_f32_e32 v57, v52, v158
	v_fmac_f32_e32 v57, v53, v157
	v_add_f32_e32 v56, v56, v57
	s_waitcnt vmcnt(23)
	v_mul_f32_e32 v57, v54, v160
	buffer_load_dword v183, off, s[0:3], 0 offset:304
	buffer_load_dword v184, off, s[0:3], 0 offset:308
	s_waitcnt vmcnt(24)
	v_fmac_f32_e32 v57, v55, v159
	v_add_f32_e32 v56, v56, v57
	s_waitcnt vmcnt(22) lgkmcnt(0)
	v_mul_f32_e32 v57, v48, v162
	buffer_load_dword v185, off, s[0:3], 0 offset:312
	buffer_load_dword v187, off, s[0:3], 0 offset:316
	v_fmac_f32_e32 v57, v49, v161
	v_add_f32_e32 v60, v56, v57
	ds_read2_b64 v[56:59], v116 offset0:93 offset1:94
	buffer_load_dword v186, off, s[0:3], 0 offset:320
	buffer_load_dword v188, off, s[0:3], 0 offset:324
	s_waitcnt vmcnt(24)
	v_mul_f32_e32 v61, v50, v165
	v_fmac_f32_e32 v61, v51, v163
	v_add_f32_e32 v64, v60, v61
	ds_read2_b64 v[60:63], v116 offset0:95 offset1:96
	buffer_load_dword v189, off, s[0:3], 0 offset:328
	buffer_load_dword v190, off, s[0:3], 0 offset:332
	;; [unrolled: 1-line block ×8, first 2 shown]
	ds_read2_b64 v[68:71], v116 offset0:97 offset1:98
	buffer_load_dword v196, off, s[0:3], 0 offset:360
	buffer_load_dword v200, off, s[0:3], 0 offset:364
	v_mul_f32_e32 v21, v21, v236
	s_waitcnt vmcnt(32) lgkmcnt(2)
	v_mul_f32_e32 v65, v56, v166
	v_fmac_f32_e32 v65, v57, v164
	v_add_f32_e32 v64, v64, v65
	v_fma_f32 v20, v20, v237, -v21
	v_mul_f32_e32 v21, v23, v254
	s_waitcnt vmcnt(31)
	v_mul_f32_e32 v65, v58, v169
	s_waitcnt vmcnt(30)
	v_fmac_f32_e32 v65, v59, v168
	v_add_f32_e32 v64, v64, v65
	s_waitcnt vmcnt(28) lgkmcnt(1)
	v_mul_f32_e32 v65, v60, v170
	v_fmac_f32_e32 v65, v61, v167
	v_add_f32_e32 v64, v64, v65
	s_waitcnt vmcnt(26)
	v_mul_f32_e32 v65, v62, v172
	v_fmac_f32_e32 v65, v63, v171
	v_add_f32_e32 v72, v64, v65
	ds_read2_b64 v[64:67], v116 offset0:99 offset1:100
	buffer_load_dword v202, off, s[0:3], 0 offset:372
	buffer_load_dword v201, off, s[0:3], 0 offset:368
	;; [unrolled: 1-line block ×8, first 2 shown]
	v_fma_f32 v23, v22, v141, -v21
	v_mul_f32_e32 v17, v17, v250
	v_add_f32_e32 v20, 0, v20
	buffer_load_dword v210, off, s[0:3], 0 offset:404
	buffer_load_dword v209, off, s[0:3], 0 offset:400
	buffer_load_dword v205, off, s[0:3], 0 offset:408
	buffer_load_dword v211, off, s[0:3], 0 offset:412
	v_fma_f32 v133, v16, v133, -v17
	v_mul_f32_e32 v16, v19, v249
	v_add_f32_e32 v20, v20, v23
	v_fma_f32 v132, v18, v132, -v16
	v_add_f32_e32 v20, v20, v133
	v_mul_f32_e32 v13, v13, v120
	buffer_load_dword v207, off, s[0:3], 0 offset:416
	buffer_load_dword v214, off, s[0:3], 0 offset:420
	v_add_f32_e32 v20, v20, v132
	v_fma_f32 v12, v12, v125, -v13
	v_mul_f32_e32 v13, v15, v119
	v_add_f32_e32 v12, v20, v12
	v_fma_f32 v13, v14, v123, -v13
	v_mul_f32_e32 v9, v9, v118
	s_waitcnt vmcnt(38) lgkmcnt(1)
	v_mul_f32_e32 v73, v68, v174
	v_add_f32_e32 v12, v12, v13
	v_fma_f32 v8, v8, v126, -v9
	v_mul_f32_e32 v9, v11, v251
	v_fmac_f32_e32 v73, v69, v173
	buffer_load_dword v212, off, s[0:3], 0 offset:424
	buffer_load_dword v215, off, s[0:3], 0 offset:428
	v_add_f32_e32 v8, v12, v8
	v_fma_f32 v9, v10, v124, -v9
	v_mul_f32_e32 v5, v5, v252
	v_add_f32_e32 v72, v72, v73
	s_waitcnt vmcnt(38)
	v_mul_f32_e32 v73, v70, v176
	v_add_f32_e32 v8, v8, v9
	v_fma_f32 v4, v4, v122, -v5
	v_mul_f32_e32 v5, v7, v253
	v_fmac_f32_e32 v73, v71, v175
	v_add_f32_e32 v4, v8, v4
	v_fma_f32 v5, v6, v121, -v5
	v_mul_f32_e32 v1, v1, v255
	v_add_f32_e32 v72, v72, v73
	s_waitcnt vmcnt(36) lgkmcnt(0)
	v_mul_f32_e32 v73, v64, v178
	v_add_f32_e32 v4, v4, v5
	v_fma_f32 v0, v0, v127, -v1
	v_mul_f32_e32 v1, v3, v131
	v_fmac_f32_e32 v73, v65, v177
	ds_read2_b64 v[76:79], v116 offset0:101 offset1:102
	buffer_load_dword v217, off, s[0:3], 0 offset:436
	buffer_load_dword v216, off, s[0:3], 0 offset:432
	;; [unrolled: 1-line block ×4, first 2 shown]
	v_add_f32_e32 v0, v4, v0
	v_fma_f32 v1, v2, v130, -v1
	v_add_f32_e32 v72, v72, v73
	s_waitcnt vmcnt(38)
	v_mul_f32_e32 v73, v66, v180
	v_add_f32_e32 v0, v0, v1
	v_mul_f32_e32 v1, v29, v129
	v_fmac_f32_e32 v73, v67, v179
	v_fma_f32 v1, v28, v128, -v1
	v_add_f32_e32 v80, v72, v73
	ds_read2_b64 v[72:75], v116 offset0:103 offset1:104
	buffer_load_dword v220, off, s[0:3], 0 offset:452
	buffer_load_dword v219, off, s[0:3], 0 offset:448
	v_add_f32_e32 v0, v0, v1
	v_mul_f32_e32 v1, v31, v135
	v_fma_f32 v1, v30, v134, -v1
	v_add_f32_e32 v0, v0, v1
	v_mul_f32_e32 v1, v25, v137
	v_fma_f32 v1, v24, v136, -v1
	;; [unrolled: 3-line block ×3, first 2 shown]
	buffer_load_dword v221, off, s[0:3], 0 offset:456
	buffer_load_dword v223, off, s[0:3], 0 offset:460
	v_add_f32_e32 v0, v0, v1
	v_mul_f32_e32 v1, v37, v142
	v_fma_f32 v1, v36, v140, -v1
	v_add_f32_e32 v0, v0, v1
	v_mul_f32_e32 v1, v39, v144
	buffer_load_dword v225, off, s[0:3], 0 offset:468
	buffer_load_dword v224, off, s[0:3], 0 offset:464
	;; [unrolled: 1-line block ×4, first 2 shown]
	v_fma_f32 v1, v38, v143, -v1
	s_waitcnt vmcnt(44) lgkmcnt(1)
	v_mul_f32_e32 v81, v76, v182
	v_add_f32_e32 v0, v0, v1
	v_mul_f32_e32 v1, v33, v146
	v_fmac_f32_e32 v81, v77, v181
	buffer_load_dword v227, off, s[0:3], 0 offset:480
	buffer_load_dword v230, off, s[0:3], 0 offset:484
	v_fma_f32 v1, v32, v145, -v1
	v_add_f32_e32 v80, v80, v81
	s_waitcnt vmcnt(44)
	v_mul_f32_e32 v81, v78, v184
	v_add_f32_e32 v0, v0, v1
	v_mul_f32_e32 v1, v35, v148
	v_fmac_f32_e32 v81, v79, v183
	v_fma_f32 v1, v34, v147, -v1
	v_add_f32_e32 v80, v80, v81
	s_waitcnt vmcnt(42) lgkmcnt(0)
	v_mul_f32_e32 v81, v72, v187
	ds_read2_b64 v[84:87], v116 offset0:105 offset1:106
	buffer_load_dword v228, off, s[0:3], 0 offset:488
	buffer_load_dword v231, off, s[0:3], 0 offset:492
	v_add_f32_e32 v0, v0, v1
	v_mul_f32_e32 v1, v45, v150
	v_fmac_f32_e32 v81, v73, v185
	v_fma_f32 v1, v44, v149, -v1
	v_add_f32_e32 v80, v80, v81
	s_waitcnt vmcnt(42)
	v_mul_f32_e32 v81, v74, v188
	v_add_f32_e32 v0, v0, v1
	v_mul_f32_e32 v1, v47, v152
	v_fmac_f32_e32 v81, v75, v186
	v_fma_f32 v1, v46, v151, -v1
	v_add_f32_e32 v88, v80, v81
	ds_read2_b64 v[80:83], v116 offset0:107 offset1:108
	buffer_load_dword v233, off, s[0:3], 0 offset:500
	buffer_load_dword v232, off, s[0:3], 0 offset:496
	;; [unrolled: 1-line block ×4, first 2 shown]
	v_add_f32_e32 v0, v0, v1
	v_mul_f32_e32 v1, v41, v154
	v_fma_f32 v1, v40, v153, -v1
	v_add_f32_e32 v0, v0, v1
	v_mul_f32_e32 v1, v43, v156
	v_fma_f32 v1, v42, v155, -v1
	buffer_load_dword v240, off, s[0:3], 0 offset:4
	v_add_f32_e32 v0, v0, v1
	v_mul_f32_e32 v1, v53, v158
	v_fma_f32 v1, v52, v157, -v1
	v_add_f32_e32 v0, v0, v1
	v_mul_f32_e32 v1, v55, v160
	v_fma_f32 v1, v54, v159, -v1
	;; [unrolled: 3-line block ×12, first 2 shown]
	s_waitcnt vmcnt(45) lgkmcnt(1)
	v_mul_f32_e32 v89, v84, v190
	v_add_f32_e32 v0, v0, v1
	v_mul_f32_e32 v1, v77, v182
	v_fmac_f32_e32 v89, v85, v189
	v_fma_f32 v1, v76, v181, -v1
	v_add_f32_e32 v88, v88, v89
	s_waitcnt vmcnt(44)
	v_mul_f32_e32 v89, v86, v194
	v_add_f32_e32 v0, v0, v1
	v_mul_f32_e32 v1, v79, v184
	s_waitcnt vmcnt(43)
	v_fmac_f32_e32 v89, v87, v193
	v_fma_f32 v1, v78, v183, -v1
	v_add_f32_e32 v88, v88, v89
	s_waitcnt vmcnt(41) lgkmcnt(0)
	v_mul_f32_e32 v89, v80, v195
	ds_read2_b64 v[92:95], v116 offset0:109 offset1:110
	v_add_f32_e32 v0, v0, v1
	v_mul_f32_e32 v1, v73, v187
	v_fmac_f32_e32 v89, v81, v191
	v_fma_f32 v1, v72, v185, -v1
	v_add_f32_e32 v88, v88, v89
	s_waitcnt vmcnt(39)
	v_mul_f32_e32 v89, v82, v198
	v_add_f32_e32 v0, v0, v1
	v_mul_f32_e32 v1, v75, v188
	v_fmac_f32_e32 v89, v83, v192
	v_fma_f32 v1, v74, v186, -v1
	v_add_f32_e32 v96, v88, v89
	ds_read2_b64 v[88:91], v116 offset0:111 offset1:112
	v_add_f32_e32 v0, v0, v1
	v_mul_f32_e32 v1, v85, v190
	s_waitcnt vmcnt(37) lgkmcnt(1)
	v_mul_f32_e32 v97, v92, v200
	v_fma_f32 v1, v84, v189, -v1
	v_fmac_f32_e32 v97, v93, v196
	v_add_f32_e32 v0, v0, v1
	v_mul_f32_e32 v1, v87, v194
	v_add_f32_e32 v96, v96, v97
	s_waitcnt vmcnt(36)
	v_mul_f32_e32 v97, v94, v202
	v_fma_f32 v1, v86, v193, -v1
	s_waitcnt vmcnt(35)
	v_fmac_f32_e32 v97, v95, v201
	v_add_f32_e32 v0, v0, v1
	v_mul_f32_e32 v1, v81, v195
	v_add_f32_e32 v96, v96, v97
	s_waitcnt vmcnt(33) lgkmcnt(0)
	v_mul_f32_e32 v97, v88, v203
	ds_read2_b64 v[100:103], v116 offset0:113 offset1:114
	v_fma_f32 v1, v80, v191, -v1
	v_fmac_f32_e32 v97, v89, v197
	v_add_f32_e32 v0, v0, v1
	v_mul_f32_e32 v1, v83, v198
	v_add_f32_e32 v96, v96, v97
	s_waitcnt vmcnt(31)
	v_mul_f32_e32 v97, v90, v206
	v_fma_f32 v1, v82, v192, -v1
	v_fmac_f32_e32 v97, v91, v199
	v_add_f32_e32 v0, v0, v1
	v_mul_f32_e32 v1, v93, v200
	v_add_f32_e32 v104, v96, v97
	ds_read2_b64 v[96:99], v116 offset0:115 offset1:116
	v_fma_f32 v1, v92, v196, -v1
	s_waitcnt vmcnt(29) lgkmcnt(1)
	v_mul_f32_e32 v105, v100, v208
	v_add_f32_e32 v0, v0, v1
	v_mul_f32_e32 v1, v95, v202
	v_fmac_f32_e32 v105, v101, v204
	v_fma_f32 v1, v94, v201, -v1
	v_add_f32_e32 v104, v104, v105
	s_waitcnt vmcnt(28)
	v_mul_f32_e32 v105, v102, v210
	v_add_f32_e32 v0, v0, v1
	v_mul_f32_e32 v1, v89, v203
	s_waitcnt vmcnt(27)
	v_fmac_f32_e32 v105, v103, v209
	v_fma_f32 v1, v88, v197, -v1
	v_add_f32_e32 v104, v104, v105
	s_waitcnt vmcnt(25) lgkmcnt(0)
	v_mul_f32_e32 v105, v96, v211
	ds_read2_b64 v[108:111], v116 offset0:117 offset1:118
	v_add_f32_e32 v0, v0, v1
	v_mul_f32_e32 v1, v91, v206
	v_fmac_f32_e32 v105, v97, v205
	v_fma_f32 v1, v90, v199, -v1
	v_add_f32_e32 v104, v104, v105
	s_waitcnt vmcnt(23)
	v_mul_f32_e32 v105, v98, v214
	v_add_f32_e32 v0, v0, v1
	v_mul_f32_e32 v1, v101, v208
	v_fmac_f32_e32 v105, v99, v207
	v_fma_f32 v1, v100, v204, -v1
	v_add_f32_e32 v112, v104, v105
	ds_read2_b64 v[104:107], v116 offset0:119 offset1:120
	v_add_f32_e32 v0, v0, v1
	v_mul_f32_e32 v1, v103, v210
	s_waitcnt vmcnt(21) lgkmcnt(1)
	v_mul_f32_e32 v113, v108, v215
	v_fma_f32 v1, v102, v209, -v1
	v_fmac_f32_e32 v113, v109, v212
	v_add_f32_e32 v0, v0, v1
	v_mul_f32_e32 v1, v97, v211
	v_add_f32_e32 v112, v112, v113
	s_waitcnt vmcnt(20)
	v_mul_f32_e32 v113, v110, v217
	v_fma_f32 v1, v96, v205, -v1
	s_waitcnt vmcnt(19)
	v_fmac_f32_e32 v113, v111, v216
	v_add_f32_e32 v0, v0, v1
	v_mul_f32_e32 v1, v99, v214
	v_add_f32_e32 v112, v112, v113
	s_waitcnt vmcnt(17) lgkmcnt(0)
	v_mul_f32_e32 v113, v104, v218
	v_fma_f32 v1, v98, v207, -v1
	v_fmac_f32_e32 v113, v105, v213
	v_add_f32_e32 v0, v0, v1
	v_mul_f32_e32 v1, v109, v215
	v_add_f32_e32 v112, v112, v113
	s_waitcnt vmcnt(16)
	v_mul_f32_e32 v113, v106, v220
	v_fma_f32 v1, v108, v212, -v1
	s_waitcnt vmcnt(15)
	v_fmac_f32_e32 v113, v107, v219
	v_add_f32_e32 v0, v0, v1
	v_mul_f32_e32 v1, v111, v217
	v_add_f32_e32 v235, v112, v113
	ds_read2_b64 v[112:115], v116 offset0:121 offset1:122
	ds_read2_b64 v[236:239], v116 offset0:123 offset1:124
	v_fma_f32 v1, v110, v216, -v1
	v_add_f32_e32 v0, v0, v1
	v_mul_f32_e32 v1, v105, v218
	v_fma_f32 v1, v104, v213, -v1
	v_add_f32_e32 v0, v0, v1
	v_mul_f32_e32 v1, v107, v220
	v_fma_f32 v1, v106, v219, -v1
	s_waitcnt vmcnt(13) lgkmcnt(1)
	v_mul_f32_e32 v21, v112, v223
	v_add_f32_e32 v0, v0, v1
	v_mul_f32_e32 v1, v113, v223
	v_fmac_f32_e32 v21, v113, v221
	s_waitcnt vmcnt(12)
	v_mul_f32_e32 v22, v114, v225
	v_fma_f32 v1, v112, v221, -v1
	v_add_f32_e32 v21, v235, v21
	s_waitcnt vmcnt(11)
	v_fmac_f32_e32 v22, v115, v224
	v_add_f32_e32 v0, v0, v1
	v_mul_f32_e32 v1, v115, v225
	v_add_f32_e32 v21, v21, v22
	s_waitcnt vmcnt(9) lgkmcnt(0)
	v_mul_f32_e32 v22, v236, v226
	ds_read2_b64 v[16:19], v116 offset0:125 offset1:126
	v_fma_f32 v1, v114, v224, -v1
	v_fmac_f32_e32 v22, v237, v222
	v_add_f32_e32 v0, v0, v1
	v_mul_f32_e32 v1, v237, v226
	v_add_f32_e32 v21, v21, v22
	s_waitcnt vmcnt(7)
	v_mul_f32_e32 v22, v238, v230
	v_fma_f32 v1, v236, v222, -v1
	v_fmac_f32_e32 v22, v239, v227
	v_add_f32_e32 v0, v0, v1
	v_mul_f32_e32 v1, v239, v230
	v_add_f32_e32 v141, v21, v22
	ds_read_b64 v[21:22], v116 offset:1016
	v_fma_f32 v1, v238, v227, -v1
	v_add_f32_e32 v0, v0, v1
	s_waitcnt vmcnt(5) lgkmcnt(1)
	v_mul_f32_e32 v1, v17, v231
	v_mul_f32_e32 v235, v16, v231
	v_fma_f32 v1, v16, v228, -v1
	v_fmac_f32_e32 v235, v17, v228
	v_add_f32_e32 v0, v0, v1
	s_waitcnt vmcnt(4)
	v_mul_f32_e32 v1, v19, v233
	v_add_f32_e32 v141, v141, v235
	v_mul_f32_e32 v235, v18, v233
	s_waitcnt vmcnt(3)
	v_fma_f32 v1, v18, v232, -v1
	v_fmac_f32_e32 v235, v19, v232
	v_add_f32_e32 v0, v0, v1
	s_waitcnt vmcnt(1) lgkmcnt(0)
	v_mul_f32_e32 v1, v22, v234
	v_add_f32_e32 v141, v141, v235
	v_mul_f32_e32 v235, v21, v234
	v_fma_f32 v1, v21, v229, -v1
	v_fmac_f32_e32 v235, v22, v229
	v_add_f32_e32 v0, v0, v1
	v_add_f32_e32 v141, v141, v235
	v_sub_f32_e32 v0, v117, v0
	s_waitcnt vmcnt(0)
	v_sub_f32_e32 v1, v240, v141
	buffer_store_dword v0, off, s[0:3], 0
	buffer_store_dword v1, off, s[0:3], 0 offset:4
	s_cbranch_vccz .LBB63_524
; %bb.398:
	global_load_dword v0, v116, s[20:21] offset:248
	s_waitcnt vmcnt(0)
	v_add_u32_e32 v0, -1, v0
	v_cmp_ne_u32_e32 vcc, 62, v0
	s_cbranch_vccz .LBB63_400
; %bb.399:
	v_lshlrev_b32_e32 v0, 3, v0
	buffer_load_dword v1, v0, s[0:3], 0 offen
	buffer_load_dword v2, v0, s[0:3], 0 offen offset:4
	buffer_load_dword v3, off, s[0:3], 0 offset:500
	buffer_load_dword v4, off, s[0:3], 0 offset:496
	s_waitcnt vmcnt(3)
	buffer_store_dword v1, off, s[0:3], 0 offset:496
	s_waitcnt vmcnt(3)
	buffer_store_dword v2, off, s[0:3], 0 offset:500
	s_waitcnt vmcnt(3)
	buffer_store_dword v3, v0, s[0:3], 0 offen offset:4
	s_waitcnt vmcnt(3)
	buffer_store_dword v4, v0, s[0:3], 0 offen
.LBB63_400:
	v_mov_b32_e32 v0, 0
	global_load_dword v1, v0, s[20:21] offset:244
	s_waitcnt vmcnt(0)
	v_add_u32_e32 v1, -1, v1
	v_cmp_eq_u32_e32 vcc, 61, v1
	s_cbranch_vccnz .LBB63_402
; %bb.401:
	v_lshlrev_b32_e32 v1, 3, v1
	buffer_load_dword v2, v1, s[0:3], 0 offen
	buffer_load_dword v3, v1, s[0:3], 0 offen offset:4
	buffer_load_dword v4, off, s[0:3], 0 offset:488
	buffer_load_dword v5, off, s[0:3], 0 offset:492
	s_waitcnt vmcnt(3)
	buffer_store_dword v2, off, s[0:3], 0 offset:488
	s_waitcnt vmcnt(3)
	buffer_store_dword v3, off, s[0:3], 0 offset:492
	s_waitcnt vmcnt(3)
	buffer_store_dword v4, v1, s[0:3], 0 offen
	s_waitcnt vmcnt(3)
	buffer_store_dword v5, v1, s[0:3], 0 offen offset:4
.LBB63_402:
	global_load_dword v0, v0, s[20:21] offset:240
	s_waitcnt vmcnt(0)
	v_add_u32_e32 v0, -1, v0
	v_cmp_eq_u32_e32 vcc, 60, v0
	s_cbranch_vccnz .LBB63_404
; %bb.403:
	v_lshlrev_b32_e32 v0, 3, v0
	buffer_load_dword v1, v0, s[0:3], 0 offen
	buffer_load_dword v2, v0, s[0:3], 0 offen offset:4
	buffer_load_dword v3, off, s[0:3], 0 offset:484
	buffer_load_dword v4, off, s[0:3], 0 offset:480
	s_waitcnt vmcnt(3)
	buffer_store_dword v1, off, s[0:3], 0 offset:480
	s_waitcnt vmcnt(3)
	buffer_store_dword v2, off, s[0:3], 0 offset:484
	s_waitcnt vmcnt(3)
	buffer_store_dword v3, v0, s[0:3], 0 offen offset:4
	s_waitcnt vmcnt(3)
	buffer_store_dword v4, v0, s[0:3], 0 offen
.LBB63_404:
	v_mov_b32_e32 v0, 0
	global_load_dword v1, v0, s[20:21] offset:236
	s_waitcnt vmcnt(0)
	v_add_u32_e32 v1, -1, v1
	v_cmp_eq_u32_e32 vcc, 59, v1
	s_cbranch_vccnz .LBB63_406
; %bb.405:
	v_lshlrev_b32_e32 v1, 3, v1
	buffer_load_dword v2, v1, s[0:3], 0 offen
	buffer_load_dword v3, v1, s[0:3], 0 offen offset:4
	buffer_load_dword v4, off, s[0:3], 0 offset:472
	buffer_load_dword v5, off, s[0:3], 0 offset:476
	s_waitcnt vmcnt(3)
	buffer_store_dword v2, off, s[0:3], 0 offset:472
	s_waitcnt vmcnt(3)
	buffer_store_dword v3, off, s[0:3], 0 offset:476
	s_waitcnt vmcnt(3)
	buffer_store_dword v4, v1, s[0:3], 0 offen
	s_waitcnt vmcnt(3)
	buffer_store_dword v5, v1, s[0:3], 0 offen offset:4
.LBB63_406:
	global_load_dword v0, v0, s[20:21] offset:232
	s_waitcnt vmcnt(0)
	v_add_u32_e32 v0, -1, v0
	v_cmp_eq_u32_e32 vcc, 58, v0
	s_cbranch_vccnz .LBB63_408
; %bb.407:
	v_lshlrev_b32_e32 v0, 3, v0
	buffer_load_dword v1, v0, s[0:3], 0 offen
	buffer_load_dword v2, v0, s[0:3], 0 offen offset:4
	buffer_load_dword v3, off, s[0:3], 0 offset:468
	buffer_load_dword v4, off, s[0:3], 0 offset:464
	s_waitcnt vmcnt(3)
	buffer_store_dword v1, off, s[0:3], 0 offset:464
	s_waitcnt vmcnt(3)
	buffer_store_dword v2, off, s[0:3], 0 offset:468
	s_waitcnt vmcnt(3)
	buffer_store_dword v3, v0, s[0:3], 0 offen offset:4
	s_waitcnt vmcnt(3)
	buffer_store_dword v4, v0, s[0:3], 0 offen
.LBB63_408:
	;; [unrolled: 41-line block ×30, first 2 shown]
	v_mov_b32_e32 v0, 0
	global_load_dword v1, v0, s[20:21] offset:4
	s_waitcnt vmcnt(0)
	v_add_u32_e32 v1, -1, v1
	v_cmp_eq_u32_e32 vcc, 1, v1
	s_cbranch_vccnz .LBB63_522
; %bb.521:
	v_lshlrev_b32_e32 v1, 3, v1
	buffer_load_dword v2, v1, s[0:3], 0 offen
	buffer_load_dword v3, v1, s[0:3], 0 offen offset:4
	buffer_load_dword v4, off, s[0:3], 0 offset:8
	buffer_load_dword v5, off, s[0:3], 0 offset:12
	s_waitcnt vmcnt(3)
	buffer_store_dword v2, off, s[0:3], 0 offset:8
	s_waitcnt vmcnt(3)
	buffer_store_dword v3, off, s[0:3], 0 offset:12
	s_waitcnt vmcnt(3)
	buffer_store_dword v4, v1, s[0:3], 0 offen
	s_waitcnt vmcnt(3)
	buffer_store_dword v5, v1, s[0:3], 0 offen offset:4
.LBB63_522:
	global_load_dword v0, v0, s[20:21]
	s_waitcnt vmcnt(0)
	v_add_u32_e32 v0, -1, v0
	v_cmp_eq_u32_e32 vcc, 0, v0
	s_cbranch_vccnz .LBB63_524
; %bb.523:
	v_lshlrev_b32_e32 v0, 3, v0
	buffer_load_dword v1, v0, s[0:3], 0 offen
	buffer_load_dword v2, v0, s[0:3], 0 offen offset:4
	buffer_load_dword v3, off, s[0:3], 0 offset:4
	buffer_load_dword v4, off, s[0:3], 0
	s_waitcnt vmcnt(3)
	buffer_store_dword v1, off, s[0:3], 0
	s_waitcnt vmcnt(3)
	buffer_store_dword v2, off, s[0:3], 0 offset:4
	s_waitcnt vmcnt(3)
	buffer_store_dword v3, v0, s[0:3], 0 offen offset:4
	s_waitcnt vmcnt(3)
	buffer_store_dword v4, v0, s[0:3], 0 offen
.LBB63_524:
	buffer_load_dword v0, off, s[0:3], 0
	s_nop 0
	buffer_load_dword v1, off, s[0:3], 0 offset:4
	buffer_load_dword v2, off, s[0:3], 0 offset:8
	;; [unrolled: 1-line block ×79, first 2 shown]
	s_waitcnt vmcnt(62)
	global_store_dwordx2 v[247:248], v[0:1], off
	buffer_load_dword v0, off, s[0:3], 0 offset:320
	s_nop 0
	buffer_load_dword v1, off, s[0:3], 0 offset:324
	buffer_load_dword v80, off, s[0:3], 0 offset:328
	;; [unrolled: 1-line block ×47, first 2 shown]
	buffer_load_dword v126, off, s[0:3], 0 offset:968 ; 4-byte Folded Reload
	buffer_load_dword v127, off, s[0:3], 0 offset:972 ; 4-byte Folded Reload
	s_waitcnt vmcnt(0)
	global_store_dwordx2 v[126:127], v[2:3], off
	buffer_load_dword v2, off, s[0:3], 0 offset:512 ; 4-byte Folded Reload
	s_nop 0
	buffer_load_dword v3, off, s[0:3], 0 offset:516 ; 4-byte Folded Reload
	s_waitcnt vmcnt(0)
	global_store_dwordx2 v[2:3], v[4:5], off
	buffer_load_dword v2, off, s[0:3], 0 offset:520 ; 4-byte Folded Reload
	s_nop 0
	;; [unrolled: 5-line block ×59, first 2 shown]
	buffer_load_dword v1, off, s[0:3], 0 offset:988 ; 4-byte Folded Reload
	s_waitcnt vmcnt(0)
	global_store_dwordx2 v[0:1], v[118:119], off
	global_store_dwordx2 v[241:242], v[120:121], off
	;; [unrolled: 1-line block ×4, first 2 shown]
	s_endpgm
	.section	.rodata,"a",@progbits
	.p2align	6, 0x0
	.amdhsa_kernel _ZN9rocsolver6v33100L18getri_kernel_smallILi64E19rocblas_complex_numIfEPS3_EEvT1_iilPiilS6_bb
		.amdhsa_group_segment_fixed_size 1028
		.amdhsa_private_segment_fixed_size 1008
		.amdhsa_kernarg_size 60
		.amdhsa_user_sgpr_count 6
		.amdhsa_user_sgpr_private_segment_buffer 1
		.amdhsa_user_sgpr_dispatch_ptr 0
		.amdhsa_user_sgpr_queue_ptr 0
		.amdhsa_user_sgpr_kernarg_segment_ptr 1
		.amdhsa_user_sgpr_dispatch_id 0
		.amdhsa_user_sgpr_flat_scratch_init 0
		.amdhsa_user_sgpr_private_segment_size 0
		.amdhsa_uses_dynamic_stack 0
		.amdhsa_system_sgpr_private_segment_wavefront_offset 1
		.amdhsa_system_sgpr_workgroup_id_x 1
		.amdhsa_system_sgpr_workgroup_id_y 0
		.amdhsa_system_sgpr_workgroup_id_z 0
		.amdhsa_system_sgpr_workgroup_info 0
		.amdhsa_system_vgpr_workitem_id 0
		.amdhsa_next_free_vgpr 256
		.amdhsa_next_free_sgpr 24
		.amdhsa_reserve_vcc 1
		.amdhsa_reserve_flat_scratch 0
		.amdhsa_float_round_mode_32 0
		.amdhsa_float_round_mode_16_64 0
		.amdhsa_float_denorm_mode_32 3
		.amdhsa_float_denorm_mode_16_64 3
		.amdhsa_dx10_clamp 1
		.amdhsa_ieee_mode 1
		.amdhsa_fp16_overflow 0
		.amdhsa_exception_fp_ieee_invalid_op 0
		.amdhsa_exception_fp_denorm_src 0
		.amdhsa_exception_fp_ieee_div_zero 0
		.amdhsa_exception_fp_ieee_overflow 0
		.amdhsa_exception_fp_ieee_underflow 0
		.amdhsa_exception_fp_ieee_inexact 0
		.amdhsa_exception_int_div_zero 0
	.end_amdhsa_kernel
	.section	.text._ZN9rocsolver6v33100L18getri_kernel_smallILi64E19rocblas_complex_numIfEPS3_EEvT1_iilPiilS6_bb,"axG",@progbits,_ZN9rocsolver6v33100L18getri_kernel_smallILi64E19rocblas_complex_numIfEPS3_EEvT1_iilPiilS6_bb,comdat
.Lfunc_end63:
	.size	_ZN9rocsolver6v33100L18getri_kernel_smallILi64E19rocblas_complex_numIfEPS3_EEvT1_iilPiilS6_bb, .Lfunc_end63-_ZN9rocsolver6v33100L18getri_kernel_smallILi64E19rocblas_complex_numIfEPS3_EEvT1_iilPiilS6_bb
                                        ; -- End function
	.set _ZN9rocsolver6v33100L18getri_kernel_smallILi64E19rocblas_complex_numIfEPS3_EEvT1_iilPiilS6_bb.num_vgpr, 256
	.set _ZN9rocsolver6v33100L18getri_kernel_smallILi64E19rocblas_complex_numIfEPS3_EEvT1_iilPiilS6_bb.num_agpr, 0
	.set _ZN9rocsolver6v33100L18getri_kernel_smallILi64E19rocblas_complex_numIfEPS3_EEvT1_iilPiilS6_bb.numbered_sgpr, 24
	.set _ZN9rocsolver6v33100L18getri_kernel_smallILi64E19rocblas_complex_numIfEPS3_EEvT1_iilPiilS6_bb.num_named_barrier, 0
	.set _ZN9rocsolver6v33100L18getri_kernel_smallILi64E19rocblas_complex_numIfEPS3_EEvT1_iilPiilS6_bb.private_seg_size, 1008
	.set _ZN9rocsolver6v33100L18getri_kernel_smallILi64E19rocblas_complex_numIfEPS3_EEvT1_iilPiilS6_bb.uses_vcc, 1
	.set _ZN9rocsolver6v33100L18getri_kernel_smallILi64E19rocblas_complex_numIfEPS3_EEvT1_iilPiilS6_bb.uses_flat_scratch, 0
	.set _ZN9rocsolver6v33100L18getri_kernel_smallILi64E19rocblas_complex_numIfEPS3_EEvT1_iilPiilS6_bb.has_dyn_sized_stack, 0
	.set _ZN9rocsolver6v33100L18getri_kernel_smallILi64E19rocblas_complex_numIfEPS3_EEvT1_iilPiilS6_bb.has_recursion, 0
	.set _ZN9rocsolver6v33100L18getri_kernel_smallILi64E19rocblas_complex_numIfEPS3_EEvT1_iilPiilS6_bb.has_indirect_call, 0
	.section	.AMDGPU.csdata,"",@progbits
; Kernel info:
; codeLenInByte = 144116
; TotalNumSgprs: 28
; NumVgprs: 256
; ScratchSize: 1008
; MemoryBound: 0
; FloatMode: 240
; IeeeMode: 1
; LDSByteSize: 1028 bytes/workgroup (compile time only)
; SGPRBlocks: 3
; VGPRBlocks: 63
; NumSGPRsForWavesPerEU: 28
; NumVGPRsForWavesPerEU: 256
; Occupancy: 1
; WaveLimiterHint : 1
; COMPUTE_PGM_RSRC2:SCRATCH_EN: 1
; COMPUTE_PGM_RSRC2:USER_SGPR: 6
; COMPUTE_PGM_RSRC2:TRAP_HANDLER: 0
; COMPUTE_PGM_RSRC2:TGID_X_EN: 1
; COMPUTE_PGM_RSRC2:TGID_Y_EN: 0
; COMPUTE_PGM_RSRC2:TGID_Z_EN: 0
; COMPUTE_PGM_RSRC2:TIDIG_COMP_CNT: 0
	.section	.text._ZN9rocsolver6v33100L18getri_kernel_smallILi1E19rocblas_complex_numIfEPKPS3_EEvT1_iilPiilS8_bb,"axG",@progbits,_ZN9rocsolver6v33100L18getri_kernel_smallILi1E19rocblas_complex_numIfEPKPS3_EEvT1_iilPiilS8_bb,comdat
	.globl	_ZN9rocsolver6v33100L18getri_kernel_smallILi1E19rocblas_complex_numIfEPKPS3_EEvT1_iilPiilS8_bb ; -- Begin function _ZN9rocsolver6v33100L18getri_kernel_smallILi1E19rocblas_complex_numIfEPKPS3_EEvT1_iilPiilS8_bb
	.p2align	8
	.type	_ZN9rocsolver6v33100L18getri_kernel_smallILi1E19rocblas_complex_numIfEPKPS3_EEvT1_iilPiilS8_bb,@function
_ZN9rocsolver6v33100L18getri_kernel_smallILi1E19rocblas_complex_numIfEPKPS3_EEvT1_iilPiilS8_bb: ; @_ZN9rocsolver6v33100L18getri_kernel_smallILi1E19rocblas_complex_numIfEPKPS3_EEvT1_iilPiilS8_bb
; %bb.0:
	v_cmp_eq_u32_e32 vcc, 0, v0
	s_and_saveexec_b64 s[0:1], vcc
	s_cbranch_execz .LBB64_16
; %bb.1:
	s_load_dword s0, s[4:5], 0x8
	s_load_dword s7, s[4:5], 0x38
	s_load_dwordx2 s[2:3], s[4:5], 0x0
	s_load_dwordx2 s[8:9], s[4:5], 0x30
	s_waitcnt lgkmcnt(0)
	s_ashr_i32 s1, s0, 31
	s_bitcmp1_b32 s7, 0
	s_cselect_b64 s[4:5], -1, 0
	s_ashr_i32 s7, s6, 31
	s_lshl_b64 s[10:11], s[6:7], 3
	s_add_u32 s2, s2, s10
	s_addc_u32 s3, s3, s11
	s_load_dwordx2 s[2:3], s[2:3], 0x0
	s_lshl_b64 s[0:1], s[0:1], 3
	s_waitcnt lgkmcnt(0)
	s_add_u32 s2, s2, s0
	s_addc_u32 s3, s3, s1
	v_mov_b32_e32 v0, s2
	v_mov_b32_e32 v1, s3
	flat_load_dwordx2 v[0:1], v[0:1]
	s_and_b64 vcc, exec, s[4:5]
	s_cbranch_vccnz .LBB64_3
; %bb.2:
	s_lshl_b64 s[0:1], s[6:7], 2
	s_add_u32 s0, s8, s0
	s_addc_u32 s1, s9, s1
	s_load_dword s4, s[0:1], 0x0
	s_waitcnt lgkmcnt(0)
	s_cmp_eq_u32 s4, 0
	s_cselect_b64 s[4:5], -1, 0
	s_cbranch_execz .LBB64_4
	s_branch .LBB64_14
.LBB64_3:
	s_mov_b64 s[4:5], 0
.LBB64_4:
	s_waitcnt vmcnt(0) lgkmcnt(0)
	v_cmp_eq_f32_e32 vcc, 0, v0
	v_cmp_eq_f32_e64 s[0:1], 0, v1
	v_mov_b32_e32 v2, 0
	s_and_b64 s[0:1], vcc, s[0:1]
	ds_write_b32 v2, v2
	s_waitcnt lgkmcnt(0)
	; wave barrier
	s_and_saveexec_b64 s[10:11], s[0:1]
	s_cbranch_execz .LBB64_8
; %bb.5:
	ds_read_b32 v3, v2
	s_waitcnt lgkmcnt(0)
	v_cmp_ne_u32_e32 vcc, 0, v3
	v_cmp_gt_i32_e64 s[0:1], 2, v3
	s_and_b64 s[0:1], vcc, s[0:1]
	s_and_b64 vcc, exec, s[0:1]
	s_cbranch_vccnz .LBB64_8
; %bb.6:
	s_mov_b64 s[12:13], 0
	v_mov_b32_e32 v4, 1
	v_mov_b32_e32 v5, 0
.LBB64_7:                               ; =>This Inner Loop Header: Depth=1
	ds_cmpst_rtn_b32 v3, v5, v3, v4
	s_waitcnt lgkmcnt(0)
	v_cmp_ne_u32_e32 vcc, 0, v3
	v_cmp_gt_i32_e64 s[0:1], 2, v3
	s_and_b64 s[0:1], vcc, s[0:1]
	s_and_b64 s[0:1], exec, s[0:1]
	s_or_b64 s[12:13], s[0:1], s[12:13]
	s_andn2_b64 exec, exec, s[12:13]
	s_cbranch_execnz .LBB64_7
.LBB64_8:
	s_or_b64 exec, exec, s[10:11]
	; wave barrier
	ds_read_b32 v3, v2
	s_lshl_b64 s[0:1], s[6:7], 2
	s_add_u32 s0, s8, s0
	s_addc_u32 s1, s9, s1
	s_waitcnt lgkmcnt(0)
	v_cmp_ne_u32_e32 vcc, 0, v3
	global_store_dword v2, v3, s[0:1]
	s_cbranch_vccnz .LBB64_14
; %bb.9:
	v_cmp_ngt_f32_e64 s[0:1], |v0|, |v1|
	s_and_saveexec_b64 s[4:5], s[0:1]
	s_xor_b64 s[0:1], exec, s[4:5]
	s_cbranch_execz .LBB64_11
; %bb.10:
	v_div_scale_f32 v2, s[4:5], v1, v1, v0
	v_div_scale_f32 v3, vcc, v0, v1, v0
	v_rcp_f32_e32 v4, v2
	v_fma_f32 v5, -v2, v4, 1.0
	v_fmac_f32_e32 v4, v5, v4
	v_mul_f32_e32 v5, v3, v4
	v_fma_f32 v6, -v2, v5, v3
	v_fmac_f32_e32 v5, v6, v4
	v_fma_f32 v2, -v2, v5, v3
	v_div_fmas_f32 v2, v2, v4, v5
	v_div_fixup_f32 v2, v2, v1, v0
	v_fmac_f32_e32 v1, v0, v2
	v_div_scale_f32 v0, s[4:5], v1, v1, 1.0
	v_div_scale_f32 v3, vcc, 1.0, v1, 1.0
	v_rcp_f32_e32 v4, v0
	v_fma_f32 v5, -v0, v4, 1.0
	v_fmac_f32_e32 v4, v5, v4
	v_mul_f32_e32 v5, v3, v4
	v_fma_f32 v6, -v0, v5, v3
	v_fmac_f32_e32 v5, v6, v4
	v_fma_f32 v0, -v0, v5, v3
	v_div_fmas_f32 v0, v0, v4, v5
	v_div_fixup_f32 v1, v0, v1, 1.0
	v_mul_f32_e32 v0, v2, v1
	v_xor_b32_e32 v1, 0x80000000, v1
.LBB64_11:
	s_andn2_saveexec_b64 s[0:1], s[0:1]
	s_cbranch_execz .LBB64_13
; %bb.12:
	v_div_scale_f32 v2, s[4:5], v0, v0, v1
	v_div_scale_f32 v3, vcc, v1, v0, v1
	v_rcp_f32_e32 v4, v2
	v_fma_f32 v5, -v2, v4, 1.0
	v_fmac_f32_e32 v4, v5, v4
	v_mul_f32_e32 v5, v3, v4
	v_fma_f32 v6, -v2, v5, v3
	v_fmac_f32_e32 v5, v6, v4
	v_fma_f32 v2, -v2, v5, v3
	v_div_fmas_f32 v2, v2, v4, v5
	v_div_fixup_f32 v2, v2, v0, v1
	v_fmac_f32_e32 v0, v1, v2
	v_div_scale_f32 v1, s[4:5], v0, v0, 1.0
	v_div_scale_f32 v3, vcc, 1.0, v0, 1.0
	v_rcp_f32_e32 v4, v1
	v_fma_f32 v5, -v1, v4, 1.0
	v_fmac_f32_e32 v4, v5, v4
	v_mul_f32_e32 v5, v3, v4
	v_fma_f32 v6, -v1, v5, v3
	v_fmac_f32_e32 v5, v6, v4
	v_fma_f32 v1, -v1, v5, v3
	v_div_fmas_f32 v1, v1, v4, v5
	v_div_fixup_f32 v0, v1, v0, 1.0
	v_mul_f32_e64 v1, v2, -v0
.LBB64_13:
	s_or_b64 exec, exec, s[0:1]
	s_mov_b64 s[4:5], -1
.LBB64_14:
	s_and_b64 vcc, exec, s[4:5]
	s_cbranch_vccz .LBB64_16
; %bb.15:
	v_mov_b32_e32 v2, s2
	v_mov_b32_e32 v3, s3
	s_waitcnt vmcnt(0) lgkmcnt(0)
	flat_store_dwordx2 v[2:3], v[0:1]
.LBB64_16:
	s_endpgm
	.section	.rodata,"a",@progbits
	.p2align	6, 0x0
	.amdhsa_kernel _ZN9rocsolver6v33100L18getri_kernel_smallILi1E19rocblas_complex_numIfEPKPS3_EEvT1_iilPiilS8_bb
		.amdhsa_group_segment_fixed_size 4
		.amdhsa_private_segment_fixed_size 0
		.amdhsa_kernarg_size 60
		.amdhsa_user_sgpr_count 6
		.amdhsa_user_sgpr_private_segment_buffer 1
		.amdhsa_user_sgpr_dispatch_ptr 0
		.amdhsa_user_sgpr_queue_ptr 0
		.amdhsa_user_sgpr_kernarg_segment_ptr 1
		.amdhsa_user_sgpr_dispatch_id 0
		.amdhsa_user_sgpr_flat_scratch_init 0
		.amdhsa_user_sgpr_private_segment_size 0
		.amdhsa_uses_dynamic_stack 0
		.amdhsa_system_sgpr_private_segment_wavefront_offset 0
		.amdhsa_system_sgpr_workgroup_id_x 1
		.amdhsa_system_sgpr_workgroup_id_y 0
		.amdhsa_system_sgpr_workgroup_id_z 0
		.amdhsa_system_sgpr_workgroup_info 0
		.amdhsa_system_vgpr_workitem_id 0
		.amdhsa_next_free_vgpr 7
		.amdhsa_next_free_sgpr 14
		.amdhsa_reserve_vcc 1
		.amdhsa_reserve_flat_scratch 0
		.amdhsa_float_round_mode_32 0
		.amdhsa_float_round_mode_16_64 0
		.amdhsa_float_denorm_mode_32 3
		.amdhsa_float_denorm_mode_16_64 3
		.amdhsa_dx10_clamp 1
		.amdhsa_ieee_mode 1
		.amdhsa_fp16_overflow 0
		.amdhsa_exception_fp_ieee_invalid_op 0
		.amdhsa_exception_fp_denorm_src 0
		.amdhsa_exception_fp_ieee_div_zero 0
		.amdhsa_exception_fp_ieee_overflow 0
		.amdhsa_exception_fp_ieee_underflow 0
		.amdhsa_exception_fp_ieee_inexact 0
		.amdhsa_exception_int_div_zero 0
	.end_amdhsa_kernel
	.section	.text._ZN9rocsolver6v33100L18getri_kernel_smallILi1E19rocblas_complex_numIfEPKPS3_EEvT1_iilPiilS8_bb,"axG",@progbits,_ZN9rocsolver6v33100L18getri_kernel_smallILi1E19rocblas_complex_numIfEPKPS3_EEvT1_iilPiilS8_bb,comdat
.Lfunc_end64:
	.size	_ZN9rocsolver6v33100L18getri_kernel_smallILi1E19rocblas_complex_numIfEPKPS3_EEvT1_iilPiilS8_bb, .Lfunc_end64-_ZN9rocsolver6v33100L18getri_kernel_smallILi1E19rocblas_complex_numIfEPKPS3_EEvT1_iilPiilS8_bb
                                        ; -- End function
	.set _ZN9rocsolver6v33100L18getri_kernel_smallILi1E19rocblas_complex_numIfEPKPS3_EEvT1_iilPiilS8_bb.num_vgpr, 7
	.set _ZN9rocsolver6v33100L18getri_kernel_smallILi1E19rocblas_complex_numIfEPKPS3_EEvT1_iilPiilS8_bb.num_agpr, 0
	.set _ZN9rocsolver6v33100L18getri_kernel_smallILi1E19rocblas_complex_numIfEPKPS3_EEvT1_iilPiilS8_bb.numbered_sgpr, 14
	.set _ZN9rocsolver6v33100L18getri_kernel_smallILi1E19rocblas_complex_numIfEPKPS3_EEvT1_iilPiilS8_bb.num_named_barrier, 0
	.set _ZN9rocsolver6v33100L18getri_kernel_smallILi1E19rocblas_complex_numIfEPKPS3_EEvT1_iilPiilS8_bb.private_seg_size, 0
	.set _ZN9rocsolver6v33100L18getri_kernel_smallILi1E19rocblas_complex_numIfEPKPS3_EEvT1_iilPiilS8_bb.uses_vcc, 1
	.set _ZN9rocsolver6v33100L18getri_kernel_smallILi1E19rocblas_complex_numIfEPKPS3_EEvT1_iilPiilS8_bb.uses_flat_scratch, 0
	.set _ZN9rocsolver6v33100L18getri_kernel_smallILi1E19rocblas_complex_numIfEPKPS3_EEvT1_iilPiilS8_bb.has_dyn_sized_stack, 0
	.set _ZN9rocsolver6v33100L18getri_kernel_smallILi1E19rocblas_complex_numIfEPKPS3_EEvT1_iilPiilS8_bb.has_recursion, 0
	.set _ZN9rocsolver6v33100L18getri_kernel_smallILi1E19rocblas_complex_numIfEPKPS3_EEvT1_iilPiilS8_bb.has_indirect_call, 0
	.section	.AMDGPU.csdata,"",@progbits
; Kernel info:
; codeLenInByte = 732
; TotalNumSgprs: 18
; NumVgprs: 7
; ScratchSize: 0
; MemoryBound: 0
; FloatMode: 240
; IeeeMode: 1
; LDSByteSize: 4 bytes/workgroup (compile time only)
; SGPRBlocks: 2
; VGPRBlocks: 1
; NumSGPRsForWavesPerEU: 18
; NumVGPRsForWavesPerEU: 7
; Occupancy: 10
; WaveLimiterHint : 1
; COMPUTE_PGM_RSRC2:SCRATCH_EN: 0
; COMPUTE_PGM_RSRC2:USER_SGPR: 6
; COMPUTE_PGM_RSRC2:TRAP_HANDLER: 0
; COMPUTE_PGM_RSRC2:TGID_X_EN: 1
; COMPUTE_PGM_RSRC2:TGID_Y_EN: 0
; COMPUTE_PGM_RSRC2:TGID_Z_EN: 0
; COMPUTE_PGM_RSRC2:TIDIG_COMP_CNT: 0
	.section	.text._ZN9rocsolver6v33100L18getri_kernel_smallILi2E19rocblas_complex_numIfEPKPS3_EEvT1_iilPiilS8_bb,"axG",@progbits,_ZN9rocsolver6v33100L18getri_kernel_smallILi2E19rocblas_complex_numIfEPKPS3_EEvT1_iilPiilS8_bb,comdat
	.globl	_ZN9rocsolver6v33100L18getri_kernel_smallILi2E19rocblas_complex_numIfEPKPS3_EEvT1_iilPiilS8_bb ; -- Begin function _ZN9rocsolver6v33100L18getri_kernel_smallILi2E19rocblas_complex_numIfEPKPS3_EEvT1_iilPiilS8_bb
	.p2align	8
	.type	_ZN9rocsolver6v33100L18getri_kernel_smallILi2E19rocblas_complex_numIfEPKPS3_EEvT1_iilPiilS8_bb,@function
_ZN9rocsolver6v33100L18getri_kernel_smallILi2E19rocblas_complex_numIfEPKPS3_EEvT1_iilPiilS8_bb: ; @_ZN9rocsolver6v33100L18getri_kernel_smallILi2E19rocblas_complex_numIfEPKPS3_EEvT1_iilPiilS8_bb
; %bb.0:
	s_add_u32 s0, s0, s7
	s_addc_u32 s1, s1, 0
	v_cmp_gt_u32_e32 vcc, 2, v0
	s_and_saveexec_b64 s[8:9], vcc
	s_cbranch_execz .LBB65_22
; %bb.1:
	s_load_dword s18, s[4:5], 0x38
	s_load_dwordx2 s[14:15], s[4:5], 0x0
	s_load_dwordx4 s[8:11], s[4:5], 0x28
	s_waitcnt lgkmcnt(0)
	s_bitcmp1_b32 s18, 8
	s_cselect_b64 s[12:13], -1, 0
	s_ashr_i32 s7, s6, 31
	s_lshl_b64 s[16:17], s[6:7], 3
	s_add_u32 s14, s14, s16
	s_addc_u32 s15, s15, s17
	s_load_dwordx2 s[16:17], s[14:15], 0x0
	s_bfe_u32 s14, s18, 0x10008
	s_cmp_eq_u32 s14, 0
                                        ; implicit-def: $sgpr14_sgpr15
	s_cbranch_scc1 .LBB65_3
; %bb.2:
	s_load_dword s14, s[4:5], 0x20
	s_load_dwordx2 s[18:19], s[4:5], 0x18
	s_mul_i32 s15, s8, s7
	s_mul_hi_u32 s20, s8, s6
	s_add_i32 s20, s20, s15
	s_mul_i32 s9, s9, s6
	s_add_i32 s9, s20, s9
	s_mul_i32 s8, s8, s6
	s_waitcnt lgkmcnt(0)
	s_ashr_i32 s15, s14, 31
	s_lshl_b64 s[8:9], s[8:9], 2
	s_add_u32 s18, s18, s8
	s_addc_u32 s19, s19, s9
	s_lshl_b64 s[8:9], s[14:15], 2
	s_add_u32 s14, s18, s8
	s_addc_u32 s15, s19, s9
.LBB65_3:
	s_load_dwordx2 s[8:9], s[4:5], 0x8
	s_load_dword s18, s[4:5], 0x38
	v_lshlrev_b32_e32 v7, 3, v0
	s_waitcnt lgkmcnt(0)
	s_ashr_i32 s5, s8, 31
	s_mov_b32 s4, s8
	s_lshl_b64 s[4:5], s[4:5], 3
	s_add_u32 s4, s16, s4
	s_addc_u32 s5, s17, s5
	v_mov_b32_e32 v2, s5
	v_add_co_u32_e32 v1, vcc, s4, v7
	s_ashr_i32 s5, s9, 31
	s_mov_b32 s4, s9
	v_addc_co_u32_e32 v2, vcc, 0, v2, vcc
	s_lshl_b64 s[4:5], s[4:5], 3
	flat_load_dwordx2 v[5:6], v[1:2]
	v_mov_b32_e32 v4, s5
	v_add_co_u32_e32 v3, vcc, s4, v1
	v_addc_co_u32_e32 v4, vcc, v2, v4, vcc
	flat_load_dwordx2 v[8:9], v[3:4]
	s_bitcmp0_b32 s18, 0
	s_mov_b64 s[8:9], -1
	s_waitcnt vmcnt(0) lgkmcnt(0)
	buffer_store_dword v6, off, s[0:3], 0 offset:4
	buffer_store_dword v5, off, s[0:3], 0
	buffer_store_dword v9, off, s[0:3], 0 offset:12
	buffer_store_dword v8, off, s[0:3], 0 offset:8
	s_cbranch_scc1 .LBB65_20
; %bb.4:
	v_cmp_eq_u32_e64 s[4:5], 0, v0
	s_and_saveexec_b64 s[8:9], s[4:5]
; %bb.5:
	v_mov_b32_e32 v5, 0
	ds_write_b32 v5, v5 offset:32
; %bb.6:
	s_or_b64 exec, exec, s[8:9]
	v_mov_b32_e32 v5, 0
	v_lshl_add_u32 v6, v0, 3, v5
	s_waitcnt lgkmcnt(0)
	; wave barrier
	buffer_load_dword v5, v6, s[0:3], 0 offen
	buffer_load_dword v8, v6, s[0:3], 0 offen offset:4
	s_waitcnt vmcnt(1)
	v_cmp_eq_f32_e32 vcc, 0, v5
	s_waitcnt vmcnt(0)
	v_cmp_eq_f32_e64 s[8:9], 0, v8
	s_and_b64 s[8:9], vcc, s[8:9]
	s_and_saveexec_b64 s[16:17], s[8:9]
	s_cbranch_execz .LBB65_10
; %bb.7:
	v_mov_b32_e32 v5, 0
	ds_read_b32 v9, v5 offset:32
	v_add_u32_e32 v8, 1, v0
	s_waitcnt lgkmcnt(0)
	v_readfirstlane_b32 s8, v9
	s_cmp_eq_u32 s8, 0
	s_cselect_b64 s[18:19], -1, 0
	v_cmp_gt_i32_e32 vcc, s8, v8
	s_or_b64 s[18:19], s[18:19], vcc
	s_and_b64 exec, exec, s[18:19]
	s_cbranch_execz .LBB65_10
; %bb.8:
	s_mov_b64 s[18:19], 0
	v_mov_b32_e32 v9, s8
.LBB65_9:                               ; =>This Inner Loop Header: Depth=1
	ds_cmpst_rtn_b32 v9, v5, v9, v8 offset:32
	s_waitcnt lgkmcnt(0)
	v_cmp_ne_u32_e32 vcc, 0, v9
	v_cmp_le_i32_e64 s[8:9], v9, v8
	s_and_b64 s[8:9], vcc, s[8:9]
	s_and_b64 s[8:9], exec, s[8:9]
	s_or_b64 s[18:19], s[8:9], s[18:19]
	s_andn2_b64 exec, exec, s[18:19]
	s_cbranch_execnz .LBB65_9
.LBB65_10:
	s_or_b64 exec, exec, s[16:17]
	v_mov_b32_e32 v8, 0
	; wave barrier
	ds_read_b32 v5, v8 offset:32
	s_and_saveexec_b64 s[8:9], s[4:5]
	s_cbranch_execz .LBB65_12
; %bb.11:
	s_lshl_b64 s[16:17], s[6:7], 2
	s_add_u32 s16, s10, s16
	s_addc_u32 s17, s11, s17
	s_waitcnt lgkmcnt(0)
	global_store_dword v8, v5, s[16:17]
.LBB65_12:
	s_or_b64 exec, exec, s[8:9]
	s_waitcnt lgkmcnt(0)
	v_cmp_ne_u32_e32 vcc, 0, v5
	s_mov_b64 s[8:9], 0
	s_cbranch_vccnz .LBB65_20
; %bb.13:
	buffer_load_dword v8, v6, s[0:3], 0 offen
	buffer_load_dword v9, v6, s[0:3], 0 offen offset:4
                                        ; implicit-def: $vgpr11
                                        ; implicit-def: $vgpr10
                                        ; implicit-def: $vgpr5
	s_waitcnt vmcnt(0)
	v_cmp_ngt_f32_e64 s[8:9], |v8|, |v9|
	s_and_saveexec_b64 s[16:17], s[8:9]
	s_xor_b64 s[8:9], exec, s[16:17]
	s_cbranch_execz .LBB65_15
; %bb.14:
	v_div_scale_f32 v5, s[16:17], v9, v9, v8
	v_div_scale_f32 v10, vcc, v8, v9, v8
	v_rcp_f32_e32 v11, v5
	v_fma_f32 v12, -v5, v11, 1.0
	v_fmac_f32_e32 v11, v12, v11
	v_mul_f32_e32 v12, v10, v11
	v_fma_f32 v13, -v5, v12, v10
	v_fmac_f32_e32 v12, v13, v11
	v_fma_f32 v5, -v5, v12, v10
	v_div_fmas_f32 v5, v5, v11, v12
	v_div_fixup_f32 v5, v5, v9, v8
	v_fmac_f32_e32 v9, v8, v5
	v_div_scale_f32 v8, s[16:17], v9, v9, 1.0
	v_div_scale_f32 v10, vcc, 1.0, v9, 1.0
	v_rcp_f32_e32 v11, v8
	v_fma_f32 v12, -v8, v11, 1.0
	v_fmac_f32_e32 v11, v12, v11
	v_mul_f32_e32 v12, v10, v11
	v_fma_f32 v13, -v8, v12, v10
	v_fmac_f32_e32 v12, v13, v11
	v_fma_f32 v8, -v8, v12, v10
	v_div_fmas_f32 v8, v8, v11, v12
	v_div_fixup_f32 v8, v8, v9, 1.0
	v_mul_f32_e32 v11, v5, v8
	v_xor_b32_e32 v10, 0x80000000, v8
	v_xor_b32_e32 v5, 0x80000000, v11
                                        ; implicit-def: $vgpr8
                                        ; implicit-def: $vgpr9
.LBB65_15:
	s_andn2_saveexec_b64 s[8:9], s[8:9]
	s_cbranch_execz .LBB65_17
; %bb.16:
	v_div_scale_f32 v5, s[16:17], v8, v8, v9
	v_div_scale_f32 v10, vcc, v9, v8, v9
	v_rcp_f32_e32 v11, v5
	v_fma_f32 v12, -v5, v11, 1.0
	v_fmac_f32_e32 v11, v12, v11
	v_mul_f32_e32 v12, v10, v11
	v_fma_f32 v13, -v5, v12, v10
	v_fmac_f32_e32 v12, v13, v11
	v_fma_f32 v5, -v5, v12, v10
	v_div_fmas_f32 v5, v5, v11, v12
	v_div_fixup_f32 v10, v5, v8, v9
	v_fmac_f32_e32 v8, v9, v10
	v_div_scale_f32 v5, s[16:17], v8, v8, 1.0
	v_div_scale_f32 v9, vcc, 1.0, v8, 1.0
	v_rcp_f32_e32 v11, v5
	v_fma_f32 v12, -v5, v11, 1.0
	v_fmac_f32_e32 v11, v12, v11
	v_mul_f32_e32 v12, v9, v11
	v_fma_f32 v13, -v5, v12, v9
	v_fmac_f32_e32 v12, v13, v11
	v_fma_f32 v5, -v5, v12, v9
	v_div_fmas_f32 v5, v5, v11, v12
	v_div_fixup_f32 v11, v5, v8, 1.0
	v_xor_b32_e32 v5, 0x80000000, v11
	v_mul_f32_e64 v10, v10, -v11
.LBB65_17:
	s_or_b64 exec, exec, s[8:9]
	buffer_store_dword v11, v6, s[0:3], 0 offen
	buffer_store_dword v10, v6, s[0:3], 0 offen offset:4
	buffer_load_dword v9, off, s[0:3], 0 offset:12
	buffer_load_dword v8, off, s[0:3], 0 offset:8
	v_xor_b32_e32 v6, 0x80000000, v10
	s_waitcnt vmcnt(0)
	ds_write2_b64 v7, v[5:6], v[8:9] offset1:2
	s_waitcnt lgkmcnt(0)
	; wave barrier
	s_and_saveexec_b64 s[8:9], s[4:5]
	s_cbranch_execz .LBB65_19
; %bb.18:
	buffer_load_dword v9, off, s[0:3], 0 offset:4
	buffer_load_dword v10, off, s[0:3], 0
	v_mov_b32_e32 v5, 0
	ds_read2_b64 v[5:8], v5 offset0:1 offset1:2
	s_waitcnt vmcnt(1) lgkmcnt(0)
	v_mul_f32_e32 v11, v8, v9
	v_mul_f32_e32 v9, v7, v9
	s_waitcnt vmcnt(0)
	v_fmac_f32_e32 v9, v8, v10
	v_fma_f32 v7, v7, v10, -v11
	v_add_f32_e32 v8, 0, v9
	v_add_f32_e32 v7, 0, v7
	v_mul_f32_e32 v9, v8, v6
	v_mul_f32_e32 v6, v7, v6
	v_fma_f32 v7, v7, v5, -v9
	v_fmac_f32_e32 v6, v8, v5
	buffer_store_dword v7, off, s[0:3], 0 offset:8
	buffer_store_dword v6, off, s[0:3], 0 offset:12
.LBB65_19:
	s_or_b64 exec, exec, s[8:9]
	s_mov_b64 s[8:9], -1
	; wave barrier
.LBB65_20:
	s_and_b64 vcc, exec, s[8:9]
	s_cbranch_vccz .LBB65_22
; %bb.21:
	s_lshl_b64 s[4:5], s[6:7], 2
	s_add_u32 s4, s10, s4
	s_addc_u32 s5, s11, s5
	v_mov_b32_e32 v5, 0
	global_load_dword v5, v5, s[4:5]
	s_waitcnt vmcnt(0)
	v_cmp_ne_u32_e32 vcc, 0, v5
	s_cbranch_vccz .LBB65_23
.LBB65_22:
	s_endpgm
.LBB65_23:
	v_cmp_eq_u32_e32 vcc, 1, v0
	s_and_saveexec_b64 s[4:5], vcc
	s_cbranch_execz .LBB65_25
; %bb.24:
	buffer_load_dword v5, off, s[0:3], 0
	buffer_load_dword v6, off, s[0:3], 0 offset:4
	v_mov_b32_e32 v0, 0
	buffer_store_dword v0, off, s[0:3], 0
	buffer_store_dword v0, off, s[0:3], 0 offset:4
	s_waitcnt vmcnt(2)
	ds_write_b64 v0, v[5:6] offset:24
.LBB65_25:
	s_or_b64 exec, exec, s[4:5]
	s_waitcnt lgkmcnt(0)
	; wave barrier
	buffer_load_dword v6, off, s[0:3], 0 offset:12
	buffer_load_dword v5, off, s[0:3], 0 offset:8
	buffer_load_dword v9, off, s[0:3], 0
	buffer_load_dword v10, off, s[0:3], 0 offset:4
	v_mov_b32_e32 v0, 0
	ds_read_b64 v[7:8], v0 offset:24
	s_and_b64 vcc, exec, s[12:13]
	s_waitcnt vmcnt(3) lgkmcnt(0)
	v_mul_f32_e32 v11, v8, v6
	v_mul_f32_e32 v12, v7, v6
	s_waitcnt vmcnt(2)
	v_fma_f32 v7, v7, v5, -v11
	v_fmac_f32_e32 v12, v8, v5
	v_add_f32_e32 v7, 0, v7
	v_add_f32_e32 v8, 0, v12
	s_waitcnt vmcnt(1)
	v_sub_f32_e32 v7, v9, v7
	s_waitcnt vmcnt(0)
	v_sub_f32_e32 v8, v10, v8
	buffer_store_dword v7, off, s[0:3], 0
	buffer_store_dword v8, off, s[0:3], 0 offset:4
	s_cbranch_vccz .LBB65_28
; %bb.26:
	global_load_dword v0, v0, s[14:15]
	s_waitcnt vmcnt(0)
	v_add_u32_e32 v0, -1, v0
	v_cmp_ne_u32_e32 vcc, 0, v0
	s_cbranch_vccz .LBB65_28
; %bb.27:
	v_lshlrev_b32_e32 v0, 3, v0
	buffer_load_dword v5, v0, s[0:3], 0 offen
	buffer_load_dword v6, v0, s[0:3], 0 offen offset:4
	buffer_load_dword v7, off, s[0:3], 0 offset:4
	buffer_load_dword v8, off, s[0:3], 0
	s_waitcnt vmcnt(3)
	buffer_store_dword v5, off, s[0:3], 0
	s_waitcnt vmcnt(3)
	buffer_store_dword v6, off, s[0:3], 0 offset:4
	s_waitcnt vmcnt(3)
	buffer_store_dword v7, v0, s[0:3], 0 offen offset:4
	s_waitcnt vmcnt(3)
	buffer_store_dword v8, v0, s[0:3], 0 offen
	buffer_load_dword v6, off, s[0:3], 0 offset:12
	buffer_load_dword v5, off, s[0:3], 0 offset:8
.LBB65_28:
	buffer_load_dword v7, off, s[0:3], 0
	s_nop 0
	buffer_load_dword v8, off, s[0:3], 0 offset:4
	s_waitcnt vmcnt(0)
	flat_store_dwordx2 v[1:2], v[7:8]
	flat_store_dwordx2 v[3:4], v[5:6]
	s_endpgm
	.section	.rodata,"a",@progbits
	.p2align	6, 0x0
	.amdhsa_kernel _ZN9rocsolver6v33100L18getri_kernel_smallILi2E19rocblas_complex_numIfEPKPS3_EEvT1_iilPiilS8_bb
		.amdhsa_group_segment_fixed_size 36
		.amdhsa_private_segment_fixed_size 32
		.amdhsa_kernarg_size 60
		.amdhsa_user_sgpr_count 6
		.amdhsa_user_sgpr_private_segment_buffer 1
		.amdhsa_user_sgpr_dispatch_ptr 0
		.amdhsa_user_sgpr_queue_ptr 0
		.amdhsa_user_sgpr_kernarg_segment_ptr 1
		.amdhsa_user_sgpr_dispatch_id 0
		.amdhsa_user_sgpr_flat_scratch_init 0
		.amdhsa_user_sgpr_private_segment_size 0
		.amdhsa_uses_dynamic_stack 0
		.amdhsa_system_sgpr_private_segment_wavefront_offset 1
		.amdhsa_system_sgpr_workgroup_id_x 1
		.amdhsa_system_sgpr_workgroup_id_y 0
		.amdhsa_system_sgpr_workgroup_id_z 0
		.amdhsa_system_sgpr_workgroup_info 0
		.amdhsa_system_vgpr_workitem_id 0
		.amdhsa_next_free_vgpr 14
		.amdhsa_next_free_sgpr 21
		.amdhsa_reserve_vcc 1
		.amdhsa_reserve_flat_scratch 0
		.amdhsa_float_round_mode_32 0
		.amdhsa_float_round_mode_16_64 0
		.amdhsa_float_denorm_mode_32 3
		.amdhsa_float_denorm_mode_16_64 3
		.amdhsa_dx10_clamp 1
		.amdhsa_ieee_mode 1
		.amdhsa_fp16_overflow 0
		.amdhsa_exception_fp_ieee_invalid_op 0
		.amdhsa_exception_fp_denorm_src 0
		.amdhsa_exception_fp_ieee_div_zero 0
		.amdhsa_exception_fp_ieee_overflow 0
		.amdhsa_exception_fp_ieee_underflow 0
		.amdhsa_exception_fp_ieee_inexact 0
		.amdhsa_exception_int_div_zero 0
	.end_amdhsa_kernel
	.section	.text._ZN9rocsolver6v33100L18getri_kernel_smallILi2E19rocblas_complex_numIfEPKPS3_EEvT1_iilPiilS8_bb,"axG",@progbits,_ZN9rocsolver6v33100L18getri_kernel_smallILi2E19rocblas_complex_numIfEPKPS3_EEvT1_iilPiilS8_bb,comdat
.Lfunc_end65:
	.size	_ZN9rocsolver6v33100L18getri_kernel_smallILi2E19rocblas_complex_numIfEPKPS3_EEvT1_iilPiilS8_bb, .Lfunc_end65-_ZN9rocsolver6v33100L18getri_kernel_smallILi2E19rocblas_complex_numIfEPKPS3_EEvT1_iilPiilS8_bb
                                        ; -- End function
	.set _ZN9rocsolver6v33100L18getri_kernel_smallILi2E19rocblas_complex_numIfEPKPS3_EEvT1_iilPiilS8_bb.num_vgpr, 14
	.set _ZN9rocsolver6v33100L18getri_kernel_smallILi2E19rocblas_complex_numIfEPKPS3_EEvT1_iilPiilS8_bb.num_agpr, 0
	.set _ZN9rocsolver6v33100L18getri_kernel_smallILi2E19rocblas_complex_numIfEPKPS3_EEvT1_iilPiilS8_bb.numbered_sgpr, 21
	.set _ZN9rocsolver6v33100L18getri_kernel_smallILi2E19rocblas_complex_numIfEPKPS3_EEvT1_iilPiilS8_bb.num_named_barrier, 0
	.set _ZN9rocsolver6v33100L18getri_kernel_smallILi2E19rocblas_complex_numIfEPKPS3_EEvT1_iilPiilS8_bb.private_seg_size, 32
	.set _ZN9rocsolver6v33100L18getri_kernel_smallILi2E19rocblas_complex_numIfEPKPS3_EEvT1_iilPiilS8_bb.uses_vcc, 1
	.set _ZN9rocsolver6v33100L18getri_kernel_smallILi2E19rocblas_complex_numIfEPKPS3_EEvT1_iilPiilS8_bb.uses_flat_scratch, 0
	.set _ZN9rocsolver6v33100L18getri_kernel_smallILi2E19rocblas_complex_numIfEPKPS3_EEvT1_iilPiilS8_bb.has_dyn_sized_stack, 0
	.set _ZN9rocsolver6v33100L18getri_kernel_smallILi2E19rocblas_complex_numIfEPKPS3_EEvT1_iilPiilS8_bb.has_recursion, 0
	.set _ZN9rocsolver6v33100L18getri_kernel_smallILi2E19rocblas_complex_numIfEPKPS3_EEvT1_iilPiilS8_bb.has_indirect_call, 0
	.section	.AMDGPU.csdata,"",@progbits
; Kernel info:
; codeLenInByte = 1532
; TotalNumSgprs: 25
; NumVgprs: 14
; ScratchSize: 32
; MemoryBound: 0
; FloatMode: 240
; IeeeMode: 1
; LDSByteSize: 36 bytes/workgroup (compile time only)
; SGPRBlocks: 3
; VGPRBlocks: 3
; NumSGPRsForWavesPerEU: 25
; NumVGPRsForWavesPerEU: 14
; Occupancy: 10
; WaveLimiterHint : 1
; COMPUTE_PGM_RSRC2:SCRATCH_EN: 1
; COMPUTE_PGM_RSRC2:USER_SGPR: 6
; COMPUTE_PGM_RSRC2:TRAP_HANDLER: 0
; COMPUTE_PGM_RSRC2:TGID_X_EN: 1
; COMPUTE_PGM_RSRC2:TGID_Y_EN: 0
; COMPUTE_PGM_RSRC2:TGID_Z_EN: 0
; COMPUTE_PGM_RSRC2:TIDIG_COMP_CNT: 0
	.section	.text._ZN9rocsolver6v33100L18getri_kernel_smallILi3E19rocblas_complex_numIfEPKPS3_EEvT1_iilPiilS8_bb,"axG",@progbits,_ZN9rocsolver6v33100L18getri_kernel_smallILi3E19rocblas_complex_numIfEPKPS3_EEvT1_iilPiilS8_bb,comdat
	.globl	_ZN9rocsolver6v33100L18getri_kernel_smallILi3E19rocblas_complex_numIfEPKPS3_EEvT1_iilPiilS8_bb ; -- Begin function _ZN9rocsolver6v33100L18getri_kernel_smallILi3E19rocblas_complex_numIfEPKPS3_EEvT1_iilPiilS8_bb
	.p2align	8
	.type	_ZN9rocsolver6v33100L18getri_kernel_smallILi3E19rocblas_complex_numIfEPKPS3_EEvT1_iilPiilS8_bb,@function
_ZN9rocsolver6v33100L18getri_kernel_smallILi3E19rocblas_complex_numIfEPKPS3_EEvT1_iilPiilS8_bb: ; @_ZN9rocsolver6v33100L18getri_kernel_smallILi3E19rocblas_complex_numIfEPKPS3_EEvT1_iilPiilS8_bb
; %bb.0:
	s_add_u32 s0, s0, s7
	s_addc_u32 s1, s1, 0
	v_cmp_gt_u32_e32 vcc, 3, v0
	s_and_saveexec_b64 s[8:9], vcc
	s_cbranch_execz .LBB66_26
; %bb.1:
	s_load_dword s18, s[4:5], 0x38
	s_load_dwordx2 s[12:13], s[4:5], 0x0
	s_load_dwordx4 s[8:11], s[4:5], 0x28
	s_waitcnt lgkmcnt(0)
	s_bitcmp1_b32 s18, 8
	s_cselect_b64 s[14:15], -1, 0
	s_ashr_i32 s7, s6, 31
	s_lshl_b64 s[16:17], s[6:7], 3
	s_add_u32 s12, s12, s16
	s_addc_u32 s13, s13, s17
	s_load_dwordx2 s[16:17], s[12:13], 0x0
	s_bfe_u32 s12, s18, 0x10008
	s_cmp_eq_u32 s12, 0
                                        ; implicit-def: $sgpr12_sgpr13
	s_cbranch_scc1 .LBB66_3
; %bb.2:
	s_load_dword s12, s[4:5], 0x20
	s_load_dwordx2 s[18:19], s[4:5], 0x18
	s_mul_i32 s13, s8, s7
	s_mul_hi_u32 s20, s8, s6
	s_add_i32 s20, s20, s13
	s_mul_i32 s9, s9, s6
	s_add_i32 s9, s20, s9
	s_mul_i32 s8, s8, s6
	s_waitcnt lgkmcnt(0)
	s_ashr_i32 s13, s12, 31
	s_lshl_b64 s[8:9], s[8:9], 2
	s_add_u32 s18, s18, s8
	s_addc_u32 s19, s19, s9
	s_lshl_b64 s[8:9], s[12:13], 2
	s_add_u32 s12, s18, s8
	s_addc_u32 s13, s19, s9
.LBB66_3:
	s_load_dwordx2 s[8:9], s[4:5], 0x8
	s_load_dword s18, s[4:5], 0x38
	v_lshlrev_b32_e32 v9, 3, v0
	s_waitcnt lgkmcnt(0)
	s_ashr_i32 s5, s8, 31
	s_mov_b32 s4, s8
	s_lshl_b64 s[4:5], s[4:5], 3
	s_add_u32 s8, s16, s4
	s_addc_u32 s16, s17, s5
	v_mov_b32_e32 v2, s16
	v_add_co_u32_e32 v1, vcc, s8, v9
	s_ashr_i32 s5, s9, 31
	s_mov_b32 s4, s9
	v_addc_co_u32_e32 v2, vcc, 0, v2, vcc
	s_lshl_b64 s[4:5], s[4:5], 3
	v_add_co_u32_e32 v3, vcc, s4, v1
	s_add_i32 s4, s9, s9
	v_add_u32_e32 v5, s4, v0
	v_mov_b32_e32 v4, s5
	v_ashrrev_i32_e32 v6, 31, v5
	v_addc_co_u32_e32 v4, vcc, v2, v4, vcc
	flat_load_dwordx2 v[7:8], v[1:2]
	flat_load_dwordx2 v[10:11], v[3:4]
	v_lshlrev_b64 v[5:6], 3, v[5:6]
	v_mov_b32_e32 v12, s16
	v_add_co_u32_e32 v5, vcc, s8, v5
	v_addc_co_u32_e32 v6, vcc, v12, v6, vcc
	flat_load_dwordx2 v[12:13], v[5:6]
	s_bitcmp0_b32 s18, 0
	s_mov_b64 s[8:9], -1
	s_waitcnt vmcnt(0) lgkmcnt(0)
	buffer_store_dword v8, off, s[0:3], 0 offset:4
	buffer_store_dword v7, off, s[0:3], 0
	buffer_store_dword v11, off, s[0:3], 0 offset:12
	buffer_store_dword v10, off, s[0:3], 0 offset:8
	;; [unrolled: 1-line block ×4, first 2 shown]
	s_cbranch_scc1 .LBB66_24
; %bb.4:
	v_cmp_eq_u32_e64 s[4:5], 0, v0
	s_and_saveexec_b64 s[8:9], s[4:5]
; %bb.5:
	v_mov_b32_e32 v7, 0
	ds_write_b32 v7, v7 offset:24
; %bb.6:
	s_or_b64 exec, exec, s[8:9]
	v_mov_b32_e32 v7, 0
	v_lshl_add_u32 v10, v0, 3, v7
	s_waitcnt lgkmcnt(0)
	; wave barrier
	buffer_load_dword v7, v10, s[0:3], 0 offen
	buffer_load_dword v8, v10, s[0:3], 0 offen offset:4
	s_waitcnt vmcnt(1)
	v_cmp_eq_f32_e32 vcc, 0, v7
	s_waitcnt vmcnt(0)
	v_cmp_eq_f32_e64 s[8:9], 0, v8
	s_and_b64 s[8:9], vcc, s[8:9]
	s_and_saveexec_b64 s[16:17], s[8:9]
	s_cbranch_execz .LBB66_10
; %bb.7:
	v_mov_b32_e32 v7, 0
	ds_read_b32 v11, v7 offset:24
	v_add_u32_e32 v8, 1, v0
	s_waitcnt lgkmcnt(0)
	v_readfirstlane_b32 s8, v11
	s_cmp_eq_u32 s8, 0
	s_cselect_b64 s[18:19], -1, 0
	v_cmp_gt_i32_e32 vcc, s8, v8
	s_or_b64 s[18:19], s[18:19], vcc
	s_and_b64 exec, exec, s[18:19]
	s_cbranch_execz .LBB66_10
; %bb.8:
	s_mov_b64 s[18:19], 0
	v_mov_b32_e32 v11, s8
.LBB66_9:                               ; =>This Inner Loop Header: Depth=1
	ds_cmpst_rtn_b32 v11, v7, v11, v8 offset:24
	s_waitcnt lgkmcnt(0)
	v_cmp_ne_u32_e32 vcc, 0, v11
	v_cmp_le_i32_e64 s[8:9], v11, v8
	s_and_b64 s[8:9], vcc, s[8:9]
	s_and_b64 s[8:9], exec, s[8:9]
	s_or_b64 s[18:19], s[8:9], s[18:19]
	s_andn2_b64 exec, exec, s[18:19]
	s_cbranch_execnz .LBB66_9
.LBB66_10:
	s_or_b64 exec, exec, s[16:17]
	v_mov_b32_e32 v8, 0
	; wave barrier
	ds_read_b32 v7, v8 offset:24
	s_and_saveexec_b64 s[8:9], s[4:5]
	s_cbranch_execz .LBB66_12
; %bb.11:
	s_lshl_b64 s[16:17], s[6:7], 2
	s_add_u32 s16, s10, s16
	s_addc_u32 s17, s11, s17
	s_waitcnt lgkmcnt(0)
	global_store_dword v8, v7, s[16:17]
.LBB66_12:
	s_or_b64 exec, exec, s[8:9]
	s_waitcnt lgkmcnt(0)
	v_cmp_ne_u32_e32 vcc, 0, v7
	s_mov_b64 s[8:9], 0
	s_cbranch_vccnz .LBB66_24
; %bb.13:
	buffer_load_dword v8, v10, s[0:3], 0 offen
	buffer_load_dword v11, v10, s[0:3], 0 offen offset:4
                                        ; implicit-def: $vgpr13
                                        ; implicit-def: $vgpr12
                                        ; implicit-def: $vgpr7
	s_waitcnt vmcnt(0)
	v_cmp_ngt_f32_e64 s[8:9], |v8|, |v11|
	s_and_saveexec_b64 s[16:17], s[8:9]
	s_xor_b64 s[8:9], exec, s[16:17]
	s_cbranch_execz .LBB66_15
; %bb.14:
	v_div_scale_f32 v7, s[16:17], v11, v11, v8
	v_div_scale_f32 v12, vcc, v8, v11, v8
	v_rcp_f32_e32 v13, v7
	v_fma_f32 v14, -v7, v13, 1.0
	v_fmac_f32_e32 v13, v14, v13
	v_mul_f32_e32 v14, v12, v13
	v_fma_f32 v15, -v7, v14, v12
	v_fmac_f32_e32 v14, v15, v13
	v_fma_f32 v7, -v7, v14, v12
	v_div_fmas_f32 v7, v7, v13, v14
	v_div_fixup_f32 v7, v7, v11, v8
	v_fmac_f32_e32 v11, v8, v7
	v_div_scale_f32 v8, s[16:17], v11, v11, 1.0
	v_div_scale_f32 v12, vcc, 1.0, v11, 1.0
	v_rcp_f32_e32 v13, v8
	v_fma_f32 v14, -v8, v13, 1.0
	v_fmac_f32_e32 v13, v14, v13
	v_mul_f32_e32 v14, v12, v13
	v_fma_f32 v15, -v8, v14, v12
	v_fmac_f32_e32 v14, v15, v13
	v_fma_f32 v8, -v8, v14, v12
	v_div_fmas_f32 v8, v8, v13, v14
	v_div_fixup_f32 v8, v8, v11, 1.0
	v_mul_f32_e32 v13, v7, v8
	v_xor_b32_e32 v12, 0x80000000, v8
	v_xor_b32_e32 v7, 0x80000000, v13
                                        ; implicit-def: $vgpr8
                                        ; implicit-def: $vgpr11
.LBB66_15:
	s_andn2_saveexec_b64 s[8:9], s[8:9]
	s_cbranch_execz .LBB66_17
; %bb.16:
	v_div_scale_f32 v7, s[16:17], v8, v8, v11
	v_div_scale_f32 v12, vcc, v11, v8, v11
	v_rcp_f32_e32 v13, v7
	v_fma_f32 v14, -v7, v13, 1.0
	v_fmac_f32_e32 v13, v14, v13
	v_mul_f32_e32 v14, v12, v13
	v_fma_f32 v15, -v7, v14, v12
	v_fmac_f32_e32 v14, v15, v13
	v_fma_f32 v7, -v7, v14, v12
	v_div_fmas_f32 v7, v7, v13, v14
	v_div_fixup_f32 v12, v7, v8, v11
	v_fmac_f32_e32 v8, v11, v12
	v_div_scale_f32 v7, s[16:17], v8, v8, 1.0
	v_div_scale_f32 v11, vcc, 1.0, v8, 1.0
	v_rcp_f32_e32 v13, v7
	v_fma_f32 v14, -v7, v13, 1.0
	v_fmac_f32_e32 v13, v14, v13
	v_mul_f32_e32 v14, v11, v13
	v_fma_f32 v15, -v7, v14, v11
	v_fmac_f32_e32 v14, v15, v13
	v_fma_f32 v7, -v7, v14, v11
	v_div_fmas_f32 v7, v7, v13, v14
	v_div_fixup_f32 v13, v7, v8, 1.0
	v_xor_b32_e32 v7, 0x80000000, v13
	v_mul_f32_e64 v12, v12, -v13
.LBB66_17:
	s_or_b64 exec, exec, s[8:9]
	buffer_store_dword v13, v10, s[0:3], 0 offen
	buffer_store_dword v12, v10, s[0:3], 0 offen offset:4
	buffer_load_dword v14, off, s[0:3], 0 offset:12
	s_nop 0
	buffer_load_dword v13, off, s[0:3], 0 offset:8
	v_xor_b32_e32 v8, 0x80000000, v12
	v_add_u32_e32 v11, 32, v9
	s_waitcnt vmcnt(0)
	ds_write2_b64 v9, v[7:8], v[13:14] offset1:4
	s_waitcnt lgkmcnt(0)
	; wave barrier
	s_and_saveexec_b64 s[8:9], s[4:5]
	s_cbranch_execz .LBB66_19
; %bb.18:
	buffer_load_dword v9, v10, s[0:3], 0 offen offset:4
	buffer_load_dword v14, v10, s[0:3], 0 offen
	ds_read_b64 v[7:8], v11
	v_mov_b32_e32 v12, 0
	ds_read_b64 v[12:13], v12 offset:8
	s_waitcnt vmcnt(1) lgkmcnt(1)
	v_mul_f32_e32 v15, v8, v9
	v_mul_f32_e32 v9, v7, v9
	s_waitcnt vmcnt(0)
	v_fmac_f32_e32 v9, v8, v14
	v_fma_f32 v7, v7, v14, -v15
	v_add_f32_e32 v8, 0, v9
	v_add_f32_e32 v7, 0, v7
	s_waitcnt lgkmcnt(0)
	v_mul_f32_e32 v9, v8, v13
	v_mul_f32_e32 v13, v7, v13
	v_fma_f32 v7, v7, v12, -v9
	v_fmac_f32_e32 v13, v8, v12
	buffer_store_dword v7, off, s[0:3], 0 offset:8
	buffer_store_dword v13, off, s[0:3], 0 offset:12
.LBB66_19:
	s_or_b64 exec, exec, s[8:9]
	; wave barrier
	buffer_load_dword v7, off, s[0:3], 0 offset:16
	buffer_load_dword v8, off, s[0:3], 0 offset:20
	v_cmp_ne_u32_e32 vcc, 2, v0
	s_waitcnt vmcnt(0)
	ds_write_b64 v11, v[7:8]
	s_waitcnt lgkmcnt(0)
	; wave barrier
	s_and_saveexec_b64 s[8:9], vcc
	s_cbranch_execz .LBB66_23
; %bb.20:
	buffer_load_dword v9, v10, s[0:3], 0 offen offset:4
	buffer_load_dword v12, v10, s[0:3], 0 offen
	ds_read_b64 v[7:8], v11
	s_waitcnt vmcnt(1) lgkmcnt(0)
	v_mul_f32_e32 v10, v8, v9
	v_mul_f32_e32 v9, v7, v9
	s_waitcnt vmcnt(0)
	v_fma_f32 v7, v7, v12, -v10
	v_fmac_f32_e32 v9, v8, v12
	v_add_f32_e32 v8, 0, v7
	v_add_f32_e32 v7, 0, v9
	s_and_saveexec_b64 s[16:17], s[4:5]
	s_cbranch_execz .LBB66_22
; %bb.21:
	buffer_load_dword v11, off, s[0:3], 0 offset:12
	buffer_load_dword v12, off, s[0:3], 0 offset:8
	v_mov_b32_e32 v9, 0
	ds_read_b64 v[9:10], v9 offset:40
	s_waitcnt vmcnt(1) lgkmcnt(0)
	v_mul_f32_e32 v13, v9, v11
	v_mul_f32_e32 v11, v10, v11
	s_waitcnt vmcnt(0)
	v_fmac_f32_e32 v13, v10, v12
	v_fma_f32 v9, v9, v12, -v11
	v_add_f32_e32 v7, v7, v13
	v_add_f32_e32 v8, v8, v9
.LBB66_22:
	s_or_b64 exec, exec, s[16:17]
	v_mov_b32_e32 v9, 0
	ds_read_b64 v[9:10], v9 offset:16
	s_waitcnt lgkmcnt(0)
	v_mul_f32_e32 v11, v7, v10
	v_mul_f32_e32 v10, v8, v10
	v_fma_f32 v8, v8, v9, -v11
	v_fmac_f32_e32 v10, v7, v9
	buffer_store_dword v8, off, s[0:3], 0 offset:16
	buffer_store_dword v10, off, s[0:3], 0 offset:20
.LBB66_23:
	s_or_b64 exec, exec, s[8:9]
	s_mov_b64 s[8:9], -1
	; wave barrier
.LBB66_24:
	s_and_b64 vcc, exec, s[8:9]
	s_cbranch_vccz .LBB66_26
; %bb.25:
	s_lshl_b64 s[4:5], s[6:7], 2
	s_add_u32 s4, s10, s4
	s_addc_u32 s5, s11, s5
	v_mov_b32_e32 v7, 0
	global_load_dword v7, v7, s[4:5]
	s_waitcnt vmcnt(0)
	v_cmp_ne_u32_e32 vcc, 0, v7
	s_cbranch_vccz .LBB66_27
.LBB66_26:
	s_endpgm
.LBB66_27:
	v_lshl_add_u32 v7, v0, 3, 32
	v_cmp_eq_u32_e32 vcc, 2, v0
	s_and_saveexec_b64 s[4:5], vcc
	s_cbranch_execz .LBB66_29
; %bb.28:
	buffer_load_dword v8, off, s[0:3], 0 offset:8
	buffer_load_dword v9, off, s[0:3], 0 offset:12
	v_mov_b32_e32 v10, 0
	buffer_store_dword v10, off, s[0:3], 0 offset:8
	buffer_store_dword v10, off, s[0:3], 0 offset:12
	s_waitcnt vmcnt(2)
	ds_write_b64 v7, v[8:9]
.LBB66_29:
	s_or_b64 exec, exec, s[4:5]
	s_waitcnt lgkmcnt(0)
	; wave barrier
	buffer_load_dword v11, off, s[0:3], 0 offset:20
	buffer_load_dword v12, off, s[0:3], 0 offset:16
	;; [unrolled: 1-line block ×4, first 2 shown]
	v_mov_b32_e32 v8, 0
	ds_read_b64 v[9:10], v8 offset:48
	v_cmp_ne_u32_e32 vcc, 0, v0
	s_waitcnt vmcnt(3) lgkmcnt(0)
	v_mul_f32_e32 v15, v9, v11
	v_mul_f32_e32 v11, v10, v11
	s_waitcnt vmcnt(2)
	v_fma_f32 v9, v9, v12, -v11
	v_fmac_f32_e32 v15, v10, v12
	v_add_f32_e32 v9, 0, v9
	v_add_f32_e32 v10, 0, v15
	s_waitcnt vmcnt(1)
	v_sub_f32_e32 v9, v13, v9
	s_waitcnt vmcnt(0)
	v_sub_f32_e32 v10, v14, v10
	buffer_store_dword v9, off, s[0:3], 0 offset:8
	buffer_store_dword v10, off, s[0:3], 0 offset:12
	s_and_saveexec_b64 s[4:5], vcc
	s_cbranch_execz .LBB66_31
; %bb.30:
	buffer_load_dword v9, off, s[0:3], 0
	buffer_load_dword v10, off, s[0:3], 0 offset:4
	s_waitcnt vmcnt(0)
	ds_write_b64 v7, v[9:10]
	buffer_store_dword v8, off, s[0:3], 0
	buffer_store_dword v8, off, s[0:3], 0 offset:4
.LBB66_31:
	s_or_b64 exec, exec, s[4:5]
	s_waitcnt lgkmcnt(0)
	; wave barrier
	buffer_load_dword v0, off, s[0:3], 0 offset:12
	buffer_load_dword v12, off, s[0:3], 0 offset:20
	;; [unrolled: 1-line block ×4, first 2 shown]
	buffer_load_dword v14, off, s[0:3], 0
	buffer_load_dword v15, off, s[0:3], 0 offset:4
	ds_read2_b64 v[8:11], v8 offset0:5 offset1:6
	s_and_b64 vcc, exec, s[14:15]
	s_waitcnt vmcnt(5) lgkmcnt(0)
	v_mul_f32_e32 v18, v9, v0
	v_mul_f32_e32 v16, v8, v0
	s_waitcnt vmcnt(4)
	v_mul_f32_e32 v17, v10, v12
	v_mul_f32_e32 v12, v11, v12
	s_waitcnt vmcnt(3)
	v_fma_f32 v8, v8, v7, -v18
	v_fmac_f32_e32 v16, v9, v7
	s_waitcnt vmcnt(2)
	v_fma_f32 v9, v10, v13, -v12
	v_add_f32_e32 v8, 0, v8
	v_fmac_f32_e32 v17, v11, v13
	v_add_f32_e32 v10, 0, v16
	v_add_f32_e32 v8, v8, v9
	;; [unrolled: 1-line block ×3, first 2 shown]
	s_waitcnt vmcnt(1)
	v_sub_f32_e32 v8, v14, v8
	s_waitcnt vmcnt(0)
	v_sub_f32_e32 v9, v15, v10
	buffer_store_dword v8, off, s[0:3], 0
	buffer_store_dword v9, off, s[0:3], 0 offset:4
	s_cbranch_vccz .LBB66_36
; %bb.32:
	v_mov_b32_e32 v8, 0
	global_load_dword v9, v8, s[12:13] offset:4
	s_waitcnt vmcnt(0)
	v_add_u32_e32 v9, -1, v9
	v_cmp_ne_u32_e32 vcc, 1, v9
	s_cbranch_vccz .LBB66_34
; %bb.33:
	v_lshlrev_b32_e32 v9, 3, v9
	buffer_load_dword v10, v9, s[0:3], 0 offen
	buffer_load_dword v11, v9, s[0:3], 0 offen offset:4
	s_waitcnt vmcnt(1)
	buffer_store_dword v10, off, s[0:3], 0 offset:8
	s_waitcnt vmcnt(1)
	buffer_store_dword v11, off, s[0:3], 0 offset:12
	buffer_store_dword v7, v9, s[0:3], 0 offen
	buffer_store_dword v0, v9, s[0:3], 0 offen offset:4
.LBB66_34:
	global_load_dword v0, v8, s[12:13]
	s_waitcnt vmcnt(0)
	v_add_u32_e32 v0, -1, v0
	v_cmp_eq_u32_e32 vcc, 0, v0
	s_cbranch_vccnz .LBB66_36
; %bb.35:
	v_lshlrev_b32_e32 v0, 3, v0
	buffer_load_dword v7, v0, s[0:3], 0 offen
	buffer_load_dword v8, v0, s[0:3], 0 offen offset:4
	buffer_load_dword v9, off, s[0:3], 0 offset:4
	buffer_load_dword v10, off, s[0:3], 0
	s_waitcnt vmcnt(3)
	buffer_store_dword v7, off, s[0:3], 0
	s_waitcnt vmcnt(3)
	buffer_store_dword v8, off, s[0:3], 0 offset:4
	s_waitcnt vmcnt(3)
	buffer_store_dword v9, v0, s[0:3], 0 offen offset:4
	s_waitcnt vmcnt(3)
	buffer_store_dword v10, v0, s[0:3], 0 offen
.LBB66_36:
	buffer_load_dword v7, off, s[0:3], 0
	buffer_load_dword v8, off, s[0:3], 0 offset:4
	buffer_load_dword v9, off, s[0:3], 0 offset:8
	s_nop 0
	buffer_load_dword v10, off, s[0:3], 0 offset:12
	buffer_load_dword v11, off, s[0:3], 0 offset:16
	;; [unrolled: 1-line block ×3, first 2 shown]
	s_waitcnt vmcnt(4)
	flat_store_dwordx2 v[1:2], v[7:8]
	s_waitcnt vmcnt(0)
	flat_store_dwordx2 v[3:4], v[9:10]
	flat_store_dwordx2 v[5:6], v[11:12]
	s_endpgm
	.section	.rodata,"a",@progbits
	.p2align	6, 0x0
	.amdhsa_kernel _ZN9rocsolver6v33100L18getri_kernel_smallILi3E19rocblas_complex_numIfEPKPS3_EEvT1_iilPiilS8_bb
		.amdhsa_group_segment_fixed_size 56
		.amdhsa_private_segment_fixed_size 32
		.amdhsa_kernarg_size 60
		.amdhsa_user_sgpr_count 6
		.amdhsa_user_sgpr_private_segment_buffer 1
		.amdhsa_user_sgpr_dispatch_ptr 0
		.amdhsa_user_sgpr_queue_ptr 0
		.amdhsa_user_sgpr_kernarg_segment_ptr 1
		.amdhsa_user_sgpr_dispatch_id 0
		.amdhsa_user_sgpr_flat_scratch_init 0
		.amdhsa_user_sgpr_private_segment_size 0
		.amdhsa_uses_dynamic_stack 0
		.amdhsa_system_sgpr_private_segment_wavefront_offset 1
		.amdhsa_system_sgpr_workgroup_id_x 1
		.amdhsa_system_sgpr_workgroup_id_y 0
		.amdhsa_system_sgpr_workgroup_id_z 0
		.amdhsa_system_sgpr_workgroup_info 0
		.amdhsa_system_vgpr_workitem_id 0
		.amdhsa_next_free_vgpr 19
		.amdhsa_next_free_sgpr 21
		.amdhsa_reserve_vcc 1
		.amdhsa_reserve_flat_scratch 0
		.amdhsa_float_round_mode_32 0
		.amdhsa_float_round_mode_16_64 0
		.amdhsa_float_denorm_mode_32 3
		.amdhsa_float_denorm_mode_16_64 3
		.amdhsa_dx10_clamp 1
		.amdhsa_ieee_mode 1
		.amdhsa_fp16_overflow 0
		.amdhsa_exception_fp_ieee_invalid_op 0
		.amdhsa_exception_fp_denorm_src 0
		.amdhsa_exception_fp_ieee_div_zero 0
		.amdhsa_exception_fp_ieee_overflow 0
		.amdhsa_exception_fp_ieee_underflow 0
		.amdhsa_exception_fp_ieee_inexact 0
		.amdhsa_exception_int_div_zero 0
	.end_amdhsa_kernel
	.section	.text._ZN9rocsolver6v33100L18getri_kernel_smallILi3E19rocblas_complex_numIfEPKPS3_EEvT1_iilPiilS8_bb,"axG",@progbits,_ZN9rocsolver6v33100L18getri_kernel_smallILi3E19rocblas_complex_numIfEPKPS3_EEvT1_iilPiilS8_bb,comdat
.Lfunc_end66:
	.size	_ZN9rocsolver6v33100L18getri_kernel_smallILi3E19rocblas_complex_numIfEPKPS3_EEvT1_iilPiilS8_bb, .Lfunc_end66-_ZN9rocsolver6v33100L18getri_kernel_smallILi3E19rocblas_complex_numIfEPKPS3_EEvT1_iilPiilS8_bb
                                        ; -- End function
	.set _ZN9rocsolver6v33100L18getri_kernel_smallILi3E19rocblas_complex_numIfEPKPS3_EEvT1_iilPiilS8_bb.num_vgpr, 19
	.set _ZN9rocsolver6v33100L18getri_kernel_smallILi3E19rocblas_complex_numIfEPKPS3_EEvT1_iilPiilS8_bb.num_agpr, 0
	.set _ZN9rocsolver6v33100L18getri_kernel_smallILi3E19rocblas_complex_numIfEPKPS3_EEvT1_iilPiilS8_bb.numbered_sgpr, 21
	.set _ZN9rocsolver6v33100L18getri_kernel_smallILi3E19rocblas_complex_numIfEPKPS3_EEvT1_iilPiilS8_bb.num_named_barrier, 0
	.set _ZN9rocsolver6v33100L18getri_kernel_smallILi3E19rocblas_complex_numIfEPKPS3_EEvT1_iilPiilS8_bb.private_seg_size, 32
	.set _ZN9rocsolver6v33100L18getri_kernel_smallILi3E19rocblas_complex_numIfEPKPS3_EEvT1_iilPiilS8_bb.uses_vcc, 1
	.set _ZN9rocsolver6v33100L18getri_kernel_smallILi3E19rocblas_complex_numIfEPKPS3_EEvT1_iilPiilS8_bb.uses_flat_scratch, 0
	.set _ZN9rocsolver6v33100L18getri_kernel_smallILi3E19rocblas_complex_numIfEPKPS3_EEvT1_iilPiilS8_bb.has_dyn_sized_stack, 0
	.set _ZN9rocsolver6v33100L18getri_kernel_smallILi3E19rocblas_complex_numIfEPKPS3_EEvT1_iilPiilS8_bb.has_recursion, 0
	.set _ZN9rocsolver6v33100L18getri_kernel_smallILi3E19rocblas_complex_numIfEPKPS3_EEvT1_iilPiilS8_bb.has_indirect_call, 0
	.section	.AMDGPU.csdata,"",@progbits
; Kernel info:
; codeLenInByte = 2192
; TotalNumSgprs: 25
; NumVgprs: 19
; ScratchSize: 32
; MemoryBound: 0
; FloatMode: 240
; IeeeMode: 1
; LDSByteSize: 56 bytes/workgroup (compile time only)
; SGPRBlocks: 3
; VGPRBlocks: 4
; NumSGPRsForWavesPerEU: 25
; NumVGPRsForWavesPerEU: 19
; Occupancy: 10
; WaveLimiterHint : 1
; COMPUTE_PGM_RSRC2:SCRATCH_EN: 1
; COMPUTE_PGM_RSRC2:USER_SGPR: 6
; COMPUTE_PGM_RSRC2:TRAP_HANDLER: 0
; COMPUTE_PGM_RSRC2:TGID_X_EN: 1
; COMPUTE_PGM_RSRC2:TGID_Y_EN: 0
; COMPUTE_PGM_RSRC2:TGID_Z_EN: 0
; COMPUTE_PGM_RSRC2:TIDIG_COMP_CNT: 0
	.section	.text._ZN9rocsolver6v33100L18getri_kernel_smallILi4E19rocblas_complex_numIfEPKPS3_EEvT1_iilPiilS8_bb,"axG",@progbits,_ZN9rocsolver6v33100L18getri_kernel_smallILi4E19rocblas_complex_numIfEPKPS3_EEvT1_iilPiilS8_bb,comdat
	.globl	_ZN9rocsolver6v33100L18getri_kernel_smallILi4E19rocblas_complex_numIfEPKPS3_EEvT1_iilPiilS8_bb ; -- Begin function _ZN9rocsolver6v33100L18getri_kernel_smallILi4E19rocblas_complex_numIfEPKPS3_EEvT1_iilPiilS8_bb
	.p2align	8
	.type	_ZN9rocsolver6v33100L18getri_kernel_smallILi4E19rocblas_complex_numIfEPKPS3_EEvT1_iilPiilS8_bb,@function
_ZN9rocsolver6v33100L18getri_kernel_smallILi4E19rocblas_complex_numIfEPKPS3_EEvT1_iilPiilS8_bb: ; @_ZN9rocsolver6v33100L18getri_kernel_smallILi4E19rocblas_complex_numIfEPKPS3_EEvT1_iilPiilS8_bb
; %bb.0:
	s_add_u32 s0, s0, s7
	s_addc_u32 s1, s1, 0
	v_cmp_gt_u32_e32 vcc, 4, v0
	s_and_saveexec_b64 s[8:9], vcc
	s_cbranch_execz .LBB67_30
; %bb.1:
	s_load_dword s18, s[4:5], 0x38
	s_load_dwordx2 s[12:13], s[4:5], 0x0
	s_load_dwordx4 s[8:11], s[4:5], 0x28
	s_waitcnt lgkmcnt(0)
	s_bitcmp1_b32 s18, 8
	s_cselect_b64 s[14:15], -1, 0
	s_ashr_i32 s7, s6, 31
	s_lshl_b64 s[16:17], s[6:7], 3
	s_add_u32 s12, s12, s16
	s_addc_u32 s13, s13, s17
	s_load_dwordx2 s[16:17], s[12:13], 0x0
	s_bfe_u32 s12, s18, 0x10008
	s_cmp_eq_u32 s12, 0
                                        ; implicit-def: $sgpr12_sgpr13
	s_cbranch_scc1 .LBB67_3
; %bb.2:
	s_load_dword s12, s[4:5], 0x20
	s_load_dwordx2 s[18:19], s[4:5], 0x18
	s_mul_i32 s13, s8, s7
	s_mul_hi_u32 s20, s8, s6
	s_add_i32 s20, s20, s13
	s_mul_i32 s9, s9, s6
	s_add_i32 s9, s20, s9
	s_mul_i32 s8, s8, s6
	s_waitcnt lgkmcnt(0)
	s_ashr_i32 s13, s12, 31
	s_lshl_b64 s[8:9], s[8:9], 2
	s_add_u32 s18, s18, s8
	s_addc_u32 s19, s19, s9
	s_lshl_b64 s[8:9], s[12:13], 2
	s_add_u32 s12, s18, s8
	s_addc_u32 s13, s19, s9
.LBB67_3:
	s_load_dwordx2 s[8:9], s[4:5], 0x8
	s_load_dword s18, s[4:5], 0x38
	v_lshlrev_b32_e32 v11, 3, v0
	s_waitcnt lgkmcnt(0)
	s_ashr_i32 s5, s8, 31
	s_mov_b32 s4, s8
	s_lshl_b64 s[4:5], s[4:5], 3
	s_add_u32 s8, s16, s4
	s_addc_u32 s16, s17, s5
	v_mov_b32_e32 v2, s16
	v_add_co_u32_e32 v1, vcc, s8, v11
	v_addc_co_u32_e32 v2, vcc, 0, v2, vcc
	flat_load_dwordx2 v[5:6], v[1:2]
	s_mov_b32 s4, s9
	s_ashr_i32 s5, s9, 31
	s_lshl_b64 s[4:5], s[4:5], 3
	v_mov_b32_e32 v4, s5
	v_add_co_u32_e32 v3, vcc, s4, v1
	v_addc_co_u32_e32 v4, vcc, v2, v4, vcc
	s_add_i32 s4, s9, s9
	v_add_u32_e32 v9, s4, v0
	v_ashrrev_i32_e32 v10, 31, v9
	v_mov_b32_e32 v12, s16
	s_bitcmp0_b32 s18, 0
	s_waitcnt vmcnt(0) lgkmcnt(0)
	buffer_store_dword v6, off, s[0:3], 0 offset:4
	buffer_store_dword v5, off, s[0:3], 0
	flat_load_dwordx2 v[7:8], v[3:4]
	v_lshlrev_b64 v[5:6], 3, v[9:10]
	v_mov_b32_e32 v10, s16
	v_add_co_u32_e32 v5, vcc, s8, v5
	v_addc_co_u32_e32 v6, vcc, v12, v6, vcc
	s_waitcnt vmcnt(0) lgkmcnt(0)
	buffer_store_dword v8, off, s[0:3], 0 offset:12
	buffer_store_dword v7, off, s[0:3], 0 offset:8
	flat_load_dwordx2 v[12:13], v[5:6]
	v_add_u32_e32 v7, s9, v9
	v_ashrrev_i32_e32 v8, 31, v7
	v_lshlrev_b64 v[7:8], 3, v[7:8]
	s_waitcnt vmcnt(0) lgkmcnt(0)
	buffer_store_dword v13, off, s[0:3], 0 offset:20
	buffer_store_dword v12, off, s[0:3], 0 offset:16
	v_add_co_u32_e32 v7, vcc, s8, v7
	v_addc_co_u32_e32 v8, vcc, v10, v8, vcc
	flat_load_dwordx2 v[9:10], v[7:8]
	s_mov_b64 s[8:9], -1
	s_waitcnt vmcnt(0) lgkmcnt(0)
	buffer_store_dword v10, off, s[0:3], 0 offset:28
	buffer_store_dword v9, off, s[0:3], 0 offset:24
	s_cbranch_scc1 .LBB67_28
; %bb.4:
	v_cmp_eq_u32_e64 s[4:5], 0, v0
	s_and_saveexec_b64 s[8:9], s[4:5]
; %bb.5:
	v_mov_b32_e32 v9, 0
	ds_write_b32 v9, v9 offset:64
; %bb.6:
	s_or_b64 exec, exec, s[8:9]
	v_mov_b32_e32 v9, 0
	v_lshl_add_u32 v12, v0, 3, v9
	s_waitcnt lgkmcnt(0)
	; wave barrier
	buffer_load_dword v9, v12, s[0:3], 0 offen
	buffer_load_dword v10, v12, s[0:3], 0 offen offset:4
	s_waitcnt vmcnt(1)
	v_cmp_eq_f32_e32 vcc, 0, v9
	s_waitcnt vmcnt(0)
	v_cmp_eq_f32_e64 s[8:9], 0, v10
	s_and_b64 s[8:9], vcc, s[8:9]
	s_and_saveexec_b64 s[16:17], s[8:9]
	s_cbranch_execz .LBB67_10
; %bb.7:
	v_mov_b32_e32 v9, 0
	ds_read_b32 v13, v9 offset:64
	v_add_u32_e32 v10, 1, v0
	s_waitcnt lgkmcnt(0)
	v_readfirstlane_b32 s8, v13
	s_cmp_eq_u32 s8, 0
	s_cselect_b64 s[18:19], -1, 0
	v_cmp_gt_i32_e32 vcc, s8, v10
	s_or_b64 s[18:19], s[18:19], vcc
	s_and_b64 exec, exec, s[18:19]
	s_cbranch_execz .LBB67_10
; %bb.8:
	s_mov_b64 s[18:19], 0
	v_mov_b32_e32 v13, s8
.LBB67_9:                               ; =>This Inner Loop Header: Depth=1
	ds_cmpst_rtn_b32 v13, v9, v13, v10 offset:64
	s_waitcnt lgkmcnt(0)
	v_cmp_ne_u32_e32 vcc, 0, v13
	v_cmp_le_i32_e64 s[8:9], v13, v10
	s_and_b64 s[8:9], vcc, s[8:9]
	s_and_b64 s[8:9], exec, s[8:9]
	s_or_b64 s[18:19], s[8:9], s[18:19]
	s_andn2_b64 exec, exec, s[18:19]
	s_cbranch_execnz .LBB67_9
.LBB67_10:
	s_or_b64 exec, exec, s[16:17]
	v_mov_b32_e32 v10, 0
	; wave barrier
	ds_read_b32 v9, v10 offset:64
	s_and_saveexec_b64 s[8:9], s[4:5]
	s_cbranch_execz .LBB67_12
; %bb.11:
	s_lshl_b64 s[16:17], s[6:7], 2
	s_add_u32 s16, s10, s16
	s_addc_u32 s17, s11, s17
	s_waitcnt lgkmcnt(0)
	global_store_dword v10, v9, s[16:17]
.LBB67_12:
	s_or_b64 exec, exec, s[8:9]
	s_waitcnt lgkmcnt(0)
	v_cmp_ne_u32_e32 vcc, 0, v9
	s_mov_b64 s[8:9], 0
	s_cbranch_vccnz .LBB67_28
; %bb.13:
	buffer_load_dword v10, v12, s[0:3], 0 offen
	buffer_load_dword v13, v12, s[0:3], 0 offen offset:4
                                        ; implicit-def: $vgpr15
                                        ; implicit-def: $vgpr14
                                        ; implicit-def: $vgpr9
	s_waitcnt vmcnt(0)
	v_cmp_ngt_f32_e64 s[8:9], |v10|, |v13|
	s_and_saveexec_b64 s[16:17], s[8:9]
	s_xor_b64 s[8:9], exec, s[16:17]
	s_cbranch_execz .LBB67_15
; %bb.14:
	v_div_scale_f32 v9, s[16:17], v13, v13, v10
	v_div_scale_f32 v14, vcc, v10, v13, v10
	v_rcp_f32_e32 v15, v9
	v_fma_f32 v16, -v9, v15, 1.0
	v_fmac_f32_e32 v15, v16, v15
	v_mul_f32_e32 v16, v14, v15
	v_fma_f32 v17, -v9, v16, v14
	v_fmac_f32_e32 v16, v17, v15
	v_fma_f32 v9, -v9, v16, v14
	v_div_fmas_f32 v9, v9, v15, v16
	v_div_fixup_f32 v9, v9, v13, v10
	v_fmac_f32_e32 v13, v10, v9
	v_div_scale_f32 v10, s[16:17], v13, v13, 1.0
	v_div_scale_f32 v14, vcc, 1.0, v13, 1.0
	v_rcp_f32_e32 v15, v10
	v_fma_f32 v16, -v10, v15, 1.0
	v_fmac_f32_e32 v15, v16, v15
	v_mul_f32_e32 v16, v14, v15
	v_fma_f32 v17, -v10, v16, v14
	v_fmac_f32_e32 v16, v17, v15
	v_fma_f32 v10, -v10, v16, v14
	v_div_fmas_f32 v10, v10, v15, v16
	v_div_fixup_f32 v10, v10, v13, 1.0
	v_mul_f32_e32 v15, v9, v10
	v_xor_b32_e32 v14, 0x80000000, v10
	v_xor_b32_e32 v9, 0x80000000, v15
                                        ; implicit-def: $vgpr10
                                        ; implicit-def: $vgpr13
.LBB67_15:
	s_andn2_saveexec_b64 s[8:9], s[8:9]
	s_cbranch_execz .LBB67_17
; %bb.16:
	v_div_scale_f32 v9, s[16:17], v10, v10, v13
	v_div_scale_f32 v14, vcc, v13, v10, v13
	v_rcp_f32_e32 v15, v9
	v_fma_f32 v16, -v9, v15, 1.0
	v_fmac_f32_e32 v15, v16, v15
	v_mul_f32_e32 v16, v14, v15
	v_fma_f32 v17, -v9, v16, v14
	v_fmac_f32_e32 v16, v17, v15
	v_fma_f32 v9, -v9, v16, v14
	v_div_fmas_f32 v9, v9, v15, v16
	v_div_fixup_f32 v14, v9, v10, v13
	v_fmac_f32_e32 v10, v13, v14
	v_div_scale_f32 v9, s[16:17], v10, v10, 1.0
	v_div_scale_f32 v13, vcc, 1.0, v10, 1.0
	v_rcp_f32_e32 v15, v9
	v_fma_f32 v16, -v9, v15, 1.0
	v_fmac_f32_e32 v15, v16, v15
	v_mul_f32_e32 v16, v13, v15
	v_fma_f32 v17, -v9, v16, v13
	v_fmac_f32_e32 v16, v17, v15
	v_fma_f32 v9, -v9, v16, v13
	v_div_fmas_f32 v9, v9, v15, v16
	v_div_fixup_f32 v15, v9, v10, 1.0
	v_xor_b32_e32 v9, 0x80000000, v15
	v_mul_f32_e64 v14, v14, -v15
.LBB67_17:
	s_or_b64 exec, exec, s[8:9]
	buffer_store_dword v15, v12, s[0:3], 0 offen
	buffer_store_dword v14, v12, s[0:3], 0 offen offset:4
	buffer_load_dword v16, off, s[0:3], 0 offset:12
	s_nop 0
	buffer_load_dword v15, off, s[0:3], 0 offset:8
	v_xor_b32_e32 v10, 0x80000000, v14
	v_add_u32_e32 v13, 32, v11
	s_waitcnt vmcnt(0)
	ds_write2_b64 v11, v[9:10], v[15:16] offset1:4
	s_waitcnt lgkmcnt(0)
	; wave barrier
	s_and_saveexec_b64 s[8:9], s[4:5]
	s_cbranch_execz .LBB67_19
; %bb.18:
	buffer_load_dword v16, v12, s[0:3], 0 offen offset:4
	buffer_load_dword v17, v12, s[0:3], 0 offen
	ds_read_b64 v[9:10], v13
	v_mov_b32_e32 v14, 0
	ds_read_b64 v[14:15], v14 offset:8
	s_waitcnt vmcnt(1) lgkmcnt(1)
	v_mul_f32_e32 v18, v10, v16
	v_mul_f32_e32 v16, v9, v16
	s_waitcnt vmcnt(0)
	v_fmac_f32_e32 v16, v10, v17
	v_fma_f32 v9, v9, v17, -v18
	v_add_f32_e32 v10, 0, v16
	v_add_f32_e32 v9, 0, v9
	s_waitcnt lgkmcnt(0)
	v_mul_f32_e32 v16, v10, v15
	v_mul_f32_e32 v15, v9, v15
	v_fma_f32 v9, v9, v14, -v16
	v_fmac_f32_e32 v15, v10, v14
	buffer_store_dword v9, off, s[0:3], 0 offset:8
	buffer_store_dword v15, off, s[0:3], 0 offset:12
.LBB67_19:
	s_or_b64 exec, exec, s[8:9]
	; wave barrier
	buffer_load_dword v9, off, s[0:3], 0 offset:16
	buffer_load_dword v10, off, s[0:3], 0 offset:20
	v_cmp_gt_u32_e32 vcc, 2, v0
	s_waitcnt vmcnt(0)
	ds_write_b64 v13, v[9:10]
	s_waitcnt lgkmcnt(0)
	; wave barrier
	s_and_saveexec_b64 s[8:9], vcc
	s_cbranch_execz .LBB67_23
; %bb.20:
	buffer_load_dword v14, v12, s[0:3], 0 offen offset:4
	buffer_load_dword v15, v12, s[0:3], 0 offen
	ds_read_b64 v[9:10], v13
	s_waitcnt vmcnt(1) lgkmcnt(0)
	v_mul_f32_e32 v12, v10, v14
	v_mul_f32_e32 v14, v9, v14
	s_waitcnt vmcnt(0)
	v_fma_f32 v9, v9, v15, -v12
	v_fmac_f32_e32 v14, v10, v15
	v_add_f32_e32 v10, 0, v9
	v_add_f32_e32 v9, 0, v14
	s_and_saveexec_b64 s[16:17], s[4:5]
	s_cbranch_execz .LBB67_22
; %bb.21:
	buffer_load_dword v12, off, s[0:3], 0 offset:12
	buffer_load_dword v16, off, s[0:3], 0 offset:8
	v_mov_b32_e32 v14, 0
	ds_read_b64 v[14:15], v14 offset:40
	s_waitcnt vmcnt(1) lgkmcnt(0)
	v_mul_f32_e32 v17, v14, v12
	v_mul_f32_e32 v12, v15, v12
	s_waitcnt vmcnt(0)
	v_fmac_f32_e32 v17, v15, v16
	v_fma_f32 v12, v14, v16, -v12
	v_add_f32_e32 v9, v9, v17
	v_add_f32_e32 v10, v10, v12
.LBB67_22:
	s_or_b64 exec, exec, s[16:17]
	v_mov_b32_e32 v12, 0
	ds_read_b64 v[14:15], v12 offset:16
	s_waitcnt lgkmcnt(0)
	v_mul_f32_e32 v12, v9, v15
	v_mul_f32_e32 v15, v10, v15
	v_fma_f32 v10, v10, v14, -v12
	v_fmac_f32_e32 v15, v9, v14
	buffer_store_dword v10, off, s[0:3], 0 offset:16
	buffer_store_dword v15, off, s[0:3], 0 offset:20
.LBB67_23:
	s_or_b64 exec, exec, s[8:9]
	; wave barrier
	buffer_load_dword v9, off, s[0:3], 0 offset:24
	buffer_load_dword v10, off, s[0:3], 0 offset:28
	v_cmp_ne_u32_e32 vcc, 3, v0
	s_waitcnt vmcnt(0)
	ds_write_b64 v13, v[9:10]
	s_waitcnt lgkmcnt(0)
	; wave barrier
	s_and_saveexec_b64 s[4:5], vcc
	s_cbranch_execz .LBB67_27
; %bb.24:
	v_add_u32_e32 v10, -1, v0
	v_mov_b32_e32 v9, 0
	s_mov_b64 s[8:9], 0
	v_mov_b32_e32 v12, 0
.LBB67_25:                              ; =>This Inner Loop Header: Depth=1
	buffer_load_dword v16, v11, s[0:3], 0 offen offset:4
	buffer_load_dword v17, v11, s[0:3], 0 offen
	ds_read_b64 v[14:15], v13
	v_add_u32_e32 v10, 1, v10
	v_cmp_lt_u32_e32 vcc, 1, v10
	v_add_u32_e32 v13, 8, v13
	v_add_u32_e32 v11, 8, v11
	s_or_b64 s[8:9], vcc, s[8:9]
	s_waitcnt vmcnt(1) lgkmcnt(0)
	v_mul_f32_e32 v18, v15, v16
	v_mul_f32_e32 v16, v14, v16
	s_waitcnt vmcnt(0)
	v_fma_f32 v14, v14, v17, -v18
	v_fmac_f32_e32 v16, v15, v17
	v_add_f32_e32 v12, v12, v14
	v_add_f32_e32 v9, v9, v16
	s_andn2_b64 exec, exec, s[8:9]
	s_cbranch_execnz .LBB67_25
; %bb.26:
	s_or_b64 exec, exec, s[8:9]
	v_mov_b32_e32 v10, 0
	ds_read_b64 v[10:11], v10 offset:24
	s_waitcnt lgkmcnt(0)
	v_mul_f32_e32 v13, v9, v11
	v_mul_f32_e32 v11, v12, v11
	v_fma_f32 v12, v12, v10, -v13
	v_fmac_f32_e32 v11, v9, v10
	buffer_store_dword v12, off, s[0:3], 0 offset:24
	buffer_store_dword v11, off, s[0:3], 0 offset:28
.LBB67_27:
	s_or_b64 exec, exec, s[4:5]
	s_mov_b64 s[8:9], -1
	; wave barrier
.LBB67_28:
	s_and_b64 vcc, exec, s[8:9]
	s_cbranch_vccz .LBB67_30
; %bb.29:
	s_lshl_b64 s[4:5], s[6:7], 2
	s_add_u32 s4, s10, s4
	s_addc_u32 s5, s11, s5
	v_mov_b32_e32 v9, 0
	global_load_dword v9, v9, s[4:5]
	s_waitcnt vmcnt(0)
	v_cmp_ne_u32_e32 vcc, 0, v9
	s_cbranch_vccz .LBB67_31
.LBB67_30:
	s_endpgm
.LBB67_31:
	v_lshl_add_u32 v9, v0, 3, 32
	v_cmp_eq_u32_e32 vcc, 3, v0
	s_and_saveexec_b64 s[4:5], vcc
	s_cbranch_execz .LBB67_33
; %bb.32:
	buffer_load_dword v10, off, s[0:3], 0 offset:16
	buffer_load_dword v11, off, s[0:3], 0 offset:20
	v_mov_b32_e32 v12, 0
	buffer_store_dword v12, off, s[0:3], 0 offset:16
	buffer_store_dword v12, off, s[0:3], 0 offset:20
	s_waitcnt vmcnt(2)
	ds_write_b64 v9, v[10:11]
.LBB67_33:
	s_or_b64 exec, exec, s[4:5]
	s_waitcnt lgkmcnt(0)
	; wave barrier
	buffer_load_dword v13, off, s[0:3], 0 offset:28
	buffer_load_dword v14, off, s[0:3], 0 offset:24
	;; [unrolled: 1-line block ×4, first 2 shown]
	v_mov_b32_e32 v10, 0
	ds_read_b64 v[11:12], v10 offset:56
	v_cmp_lt_u32_e32 vcc, 1, v0
	s_waitcnt vmcnt(3) lgkmcnt(0)
	v_mul_f32_e32 v17, v11, v13
	v_mul_f32_e32 v13, v12, v13
	s_waitcnt vmcnt(2)
	v_fma_f32 v11, v11, v14, -v13
	v_fmac_f32_e32 v17, v12, v14
	v_add_f32_e32 v11, 0, v11
	v_add_f32_e32 v12, 0, v17
	s_waitcnt vmcnt(1)
	v_sub_f32_e32 v11, v15, v11
	s_waitcnt vmcnt(0)
	v_sub_f32_e32 v12, v16, v12
	buffer_store_dword v11, off, s[0:3], 0 offset:16
	buffer_store_dword v12, off, s[0:3], 0 offset:20
	s_and_saveexec_b64 s[4:5], vcc
	s_cbranch_execz .LBB67_35
; %bb.34:
	buffer_load_dword v11, off, s[0:3], 0 offset:8
	buffer_load_dword v12, off, s[0:3], 0 offset:12
	s_waitcnt vmcnt(0)
	ds_write_b64 v9, v[11:12]
	buffer_store_dword v10, off, s[0:3], 0 offset:8
	buffer_store_dword v10, off, s[0:3], 0 offset:12
.LBB67_35:
	s_or_b64 exec, exec, s[4:5]
	s_waitcnt lgkmcnt(0)
	; wave barrier
	buffer_load_dword v14, off, s[0:3], 0 offset:20
	buffer_load_dword v15, off, s[0:3], 0 offset:28
	;; [unrolled: 1-line block ×6, first 2 shown]
	ds_read_b128 v[10:13], v10 offset:48
	v_cmp_ne_u32_e32 vcc, 0, v0
	s_waitcnt vmcnt(5) lgkmcnt(0)
	v_mul_f32_e32 v20, v10, v14
	v_mul_f32_e32 v14, v11, v14
	s_waitcnt vmcnt(4)
	v_mul_f32_e32 v21, v12, v15
	v_mul_f32_e32 v15, v13, v15
	s_waitcnt vmcnt(3)
	v_fma_f32 v10, v10, v16, -v14
	v_fmac_f32_e32 v20, v11, v16
	s_waitcnt vmcnt(2)
	v_fma_f32 v11, v12, v17, -v15
	v_add_f32_e32 v10, 0, v10
	v_fmac_f32_e32 v21, v13, v17
	v_add_f32_e32 v12, 0, v20
	v_add_f32_e32 v10, v10, v11
	v_add_f32_e32 v12, v12, v21
	s_waitcnt vmcnt(1)
	v_sub_f32_e32 v10, v18, v10
	s_waitcnt vmcnt(0)
	v_sub_f32_e32 v11, v19, v12
	buffer_store_dword v10, off, s[0:3], 0 offset:8
	buffer_store_dword v11, off, s[0:3], 0 offset:12
	s_and_saveexec_b64 s[4:5], vcc
	s_cbranch_execz .LBB67_37
; %bb.36:
	buffer_load_dword v10, off, s[0:3], 0
	buffer_load_dword v11, off, s[0:3], 0 offset:4
	v_mov_b32_e32 v0, 0
	buffer_store_dword v0, off, s[0:3], 0
	buffer_store_dword v0, off, s[0:3], 0 offset:4
	s_waitcnt vmcnt(2)
	ds_write_b64 v9, v[10:11]
.LBB67_37:
	s_or_b64 exec, exec, s[4:5]
	s_waitcnt lgkmcnt(0)
	; wave barrier
	buffer_load_dword v17, off, s[0:3], 0 offset:12
	buffer_load_dword v0, off, s[0:3], 0 offset:20
	;; [unrolled: 1-line block ×6, first 2 shown]
	buffer_load_dword v21, off, s[0:3], 0
	buffer_load_dword v22, off, s[0:3], 0 offset:4
	v_mov_b32_e32 v10, 0
	ds_read2_b64 v[11:14], v10 offset0:5 offset1:6
	ds_read_b64 v[15:16], v10 offset:56
	s_and_b64 vcc, exec, s[14:15]
	s_waitcnt vmcnt(7) lgkmcnt(1)
	v_mul_f32_e32 v23, v11, v17
	v_mul_f32_e32 v17, v12, v17
	s_waitcnt vmcnt(6)
	v_mul_f32_e32 v26, v14, v0
	s_waitcnt vmcnt(4)
	v_fma_f32 v11, v11, v19, -v17
	v_mul_f32_e32 v24, v13, v0
	s_waitcnt lgkmcnt(0)
	v_mul_f32_e32 v25, v15, v18
	v_mul_f32_e32 v18, v16, v18
	v_fmac_f32_e32 v23, v12, v19
	s_waitcnt vmcnt(3)
	v_fma_f32 v12, v13, v9, -v26
	v_add_f32_e32 v11, 0, v11
	v_fmac_f32_e32 v24, v14, v9
	s_waitcnt vmcnt(2)
	v_fma_f32 v13, v15, v20, -v18
	v_add_f32_e32 v14, 0, v23
	v_add_f32_e32 v11, v11, v12
	v_fmac_f32_e32 v25, v16, v20
	v_add_f32_e32 v14, v14, v24
	v_add_f32_e32 v11, v11, v13
	;; [unrolled: 1-line block ×3, first 2 shown]
	s_waitcnt vmcnt(1)
	v_sub_f32_e32 v11, v21, v11
	s_waitcnt vmcnt(0)
	v_sub_f32_e32 v12, v22, v12
	buffer_store_dword v11, off, s[0:3], 0
	buffer_store_dword v12, off, s[0:3], 0 offset:4
	s_cbranch_vccz .LBB67_44
; %bb.38:
	global_load_dword v10, v10, s[12:13] offset:8
	s_waitcnt vmcnt(0)
	v_add_u32_e32 v10, -1, v10
	v_cmp_ne_u32_e32 vcc, 2, v10
	s_cbranch_vccz .LBB67_40
; %bb.39:
	v_lshlrev_b32_e32 v10, 3, v10
	buffer_load_dword v11, v10, s[0:3], 0 offen offset:4
	buffer_load_dword v12, v10, s[0:3], 0 offen
	s_waitcnt vmcnt(1)
	buffer_store_dword v11, off, s[0:3], 0 offset:20
	s_waitcnt vmcnt(1)
	buffer_store_dword v12, off, s[0:3], 0 offset:16
	buffer_store_dword v0, v10, s[0:3], 0 offen offset:4
	buffer_store_dword v9, v10, s[0:3], 0 offen
.LBB67_40:
	v_mov_b32_e32 v0, 0
	global_load_dword v9, v0, s[12:13] offset:4
	s_waitcnt vmcnt(0)
	v_add_u32_e32 v9, -1, v9
	v_cmp_eq_u32_e32 vcc, 1, v9
	s_cbranch_vccnz .LBB67_42
; %bb.41:
	v_lshlrev_b32_e32 v9, 3, v9
	buffer_load_dword v10, v9, s[0:3], 0 offen
	buffer_load_dword v11, v9, s[0:3], 0 offen offset:4
	buffer_load_dword v12, off, s[0:3], 0 offset:8
	buffer_load_dword v13, off, s[0:3], 0 offset:12
	s_waitcnt vmcnt(3)
	buffer_store_dword v10, off, s[0:3], 0 offset:8
	s_waitcnt vmcnt(3)
	buffer_store_dword v11, off, s[0:3], 0 offset:12
	s_waitcnt vmcnt(3)
	buffer_store_dword v12, v9, s[0:3], 0 offen
	s_waitcnt vmcnt(3)
	buffer_store_dword v13, v9, s[0:3], 0 offen offset:4
.LBB67_42:
	global_load_dword v0, v0, s[12:13]
	s_waitcnt vmcnt(0)
	v_add_u32_e32 v0, -1, v0
	v_cmp_eq_u32_e32 vcc, 0, v0
	s_cbranch_vccnz .LBB67_44
; %bb.43:
	v_lshlrev_b32_e32 v0, 3, v0
	buffer_load_dword v9, v0, s[0:3], 0 offen
	buffer_load_dword v10, v0, s[0:3], 0 offen offset:4
	buffer_load_dword v11, off, s[0:3], 0 offset:4
	buffer_load_dword v12, off, s[0:3], 0
	s_waitcnt vmcnt(3)
	buffer_store_dword v9, off, s[0:3], 0
	s_waitcnt vmcnt(3)
	buffer_store_dword v10, off, s[0:3], 0 offset:4
	s_waitcnt vmcnt(3)
	buffer_store_dword v11, v0, s[0:3], 0 offen offset:4
	s_waitcnt vmcnt(3)
	buffer_store_dword v12, v0, s[0:3], 0 offen
.LBB67_44:
	buffer_load_dword v9, off, s[0:3], 0
	buffer_load_dword v10, off, s[0:3], 0 offset:4
	s_waitcnt vmcnt(0)
	flat_store_dwordx2 v[1:2], v[9:10]
	buffer_load_dword v0, off, s[0:3], 0 offset:8
	s_nop 0
	buffer_load_dword v1, off, s[0:3], 0 offset:12
	s_waitcnt vmcnt(0)
	flat_store_dwordx2 v[3:4], v[0:1]
	buffer_load_dword v0, off, s[0:3], 0 offset:16
	s_nop 0
	buffer_load_dword v1, off, s[0:3], 0 offset:20
	s_waitcnt vmcnt(0)
	flat_store_dwordx2 v[5:6], v[0:1]
	buffer_load_dword v0, off, s[0:3], 0 offset:24
	s_nop 0
	buffer_load_dword v1, off, s[0:3], 0 offset:28
	s_waitcnt vmcnt(0)
	flat_store_dwordx2 v[7:8], v[0:1]
	s_endpgm
	.section	.rodata,"a",@progbits
	.p2align	6, 0x0
	.amdhsa_kernel _ZN9rocsolver6v33100L18getri_kernel_smallILi4E19rocblas_complex_numIfEPKPS3_EEvT1_iilPiilS8_bb
		.amdhsa_group_segment_fixed_size 68
		.amdhsa_private_segment_fixed_size 48
		.amdhsa_kernarg_size 60
		.amdhsa_user_sgpr_count 6
		.amdhsa_user_sgpr_private_segment_buffer 1
		.amdhsa_user_sgpr_dispatch_ptr 0
		.amdhsa_user_sgpr_queue_ptr 0
		.amdhsa_user_sgpr_kernarg_segment_ptr 1
		.amdhsa_user_sgpr_dispatch_id 0
		.amdhsa_user_sgpr_flat_scratch_init 0
		.amdhsa_user_sgpr_private_segment_size 0
		.amdhsa_uses_dynamic_stack 0
		.amdhsa_system_sgpr_private_segment_wavefront_offset 1
		.amdhsa_system_sgpr_workgroup_id_x 1
		.amdhsa_system_sgpr_workgroup_id_y 0
		.amdhsa_system_sgpr_workgroup_id_z 0
		.amdhsa_system_sgpr_workgroup_info 0
		.amdhsa_system_vgpr_workitem_id 0
		.amdhsa_next_free_vgpr 27
		.amdhsa_next_free_sgpr 21
		.amdhsa_reserve_vcc 1
		.amdhsa_reserve_flat_scratch 0
		.amdhsa_float_round_mode_32 0
		.amdhsa_float_round_mode_16_64 0
		.amdhsa_float_denorm_mode_32 3
		.amdhsa_float_denorm_mode_16_64 3
		.amdhsa_dx10_clamp 1
		.amdhsa_ieee_mode 1
		.amdhsa_fp16_overflow 0
		.amdhsa_exception_fp_ieee_invalid_op 0
		.amdhsa_exception_fp_denorm_src 0
		.amdhsa_exception_fp_ieee_div_zero 0
		.amdhsa_exception_fp_ieee_overflow 0
		.amdhsa_exception_fp_ieee_underflow 0
		.amdhsa_exception_fp_ieee_inexact 0
		.amdhsa_exception_int_div_zero 0
	.end_amdhsa_kernel
	.section	.text._ZN9rocsolver6v33100L18getri_kernel_smallILi4E19rocblas_complex_numIfEPKPS3_EEvT1_iilPiilS8_bb,"axG",@progbits,_ZN9rocsolver6v33100L18getri_kernel_smallILi4E19rocblas_complex_numIfEPKPS3_EEvT1_iilPiilS8_bb,comdat
.Lfunc_end67:
	.size	_ZN9rocsolver6v33100L18getri_kernel_smallILi4E19rocblas_complex_numIfEPKPS3_EEvT1_iilPiilS8_bb, .Lfunc_end67-_ZN9rocsolver6v33100L18getri_kernel_smallILi4E19rocblas_complex_numIfEPKPS3_EEvT1_iilPiilS8_bb
                                        ; -- End function
	.set _ZN9rocsolver6v33100L18getri_kernel_smallILi4E19rocblas_complex_numIfEPKPS3_EEvT1_iilPiilS8_bb.num_vgpr, 27
	.set _ZN9rocsolver6v33100L18getri_kernel_smallILi4E19rocblas_complex_numIfEPKPS3_EEvT1_iilPiilS8_bb.num_agpr, 0
	.set _ZN9rocsolver6v33100L18getri_kernel_smallILi4E19rocblas_complex_numIfEPKPS3_EEvT1_iilPiilS8_bb.numbered_sgpr, 21
	.set _ZN9rocsolver6v33100L18getri_kernel_smallILi4E19rocblas_complex_numIfEPKPS3_EEvT1_iilPiilS8_bb.num_named_barrier, 0
	.set _ZN9rocsolver6v33100L18getri_kernel_smallILi4E19rocblas_complex_numIfEPKPS3_EEvT1_iilPiilS8_bb.private_seg_size, 48
	.set _ZN9rocsolver6v33100L18getri_kernel_smallILi4E19rocblas_complex_numIfEPKPS3_EEvT1_iilPiilS8_bb.uses_vcc, 1
	.set _ZN9rocsolver6v33100L18getri_kernel_smallILi4E19rocblas_complex_numIfEPKPS3_EEvT1_iilPiilS8_bb.uses_flat_scratch, 0
	.set _ZN9rocsolver6v33100L18getri_kernel_smallILi4E19rocblas_complex_numIfEPKPS3_EEvT1_iilPiilS8_bb.has_dyn_sized_stack, 0
	.set _ZN9rocsolver6v33100L18getri_kernel_smallILi4E19rocblas_complex_numIfEPKPS3_EEvT1_iilPiilS8_bb.has_recursion, 0
	.set _ZN9rocsolver6v33100L18getri_kernel_smallILi4E19rocblas_complex_numIfEPKPS3_EEvT1_iilPiilS8_bb.has_indirect_call, 0
	.section	.AMDGPU.csdata,"",@progbits
; Kernel info:
; codeLenInByte = 2904
; TotalNumSgprs: 25
; NumVgprs: 27
; ScratchSize: 48
; MemoryBound: 0
; FloatMode: 240
; IeeeMode: 1
; LDSByteSize: 68 bytes/workgroup (compile time only)
; SGPRBlocks: 3
; VGPRBlocks: 6
; NumSGPRsForWavesPerEU: 25
; NumVGPRsForWavesPerEU: 27
; Occupancy: 9
; WaveLimiterHint : 1
; COMPUTE_PGM_RSRC2:SCRATCH_EN: 1
; COMPUTE_PGM_RSRC2:USER_SGPR: 6
; COMPUTE_PGM_RSRC2:TRAP_HANDLER: 0
; COMPUTE_PGM_RSRC2:TGID_X_EN: 1
; COMPUTE_PGM_RSRC2:TGID_Y_EN: 0
; COMPUTE_PGM_RSRC2:TGID_Z_EN: 0
; COMPUTE_PGM_RSRC2:TIDIG_COMP_CNT: 0
	.section	.text._ZN9rocsolver6v33100L18getri_kernel_smallILi5E19rocblas_complex_numIfEPKPS3_EEvT1_iilPiilS8_bb,"axG",@progbits,_ZN9rocsolver6v33100L18getri_kernel_smallILi5E19rocblas_complex_numIfEPKPS3_EEvT1_iilPiilS8_bb,comdat
	.globl	_ZN9rocsolver6v33100L18getri_kernel_smallILi5E19rocblas_complex_numIfEPKPS3_EEvT1_iilPiilS8_bb ; -- Begin function _ZN9rocsolver6v33100L18getri_kernel_smallILi5E19rocblas_complex_numIfEPKPS3_EEvT1_iilPiilS8_bb
	.p2align	8
	.type	_ZN9rocsolver6v33100L18getri_kernel_smallILi5E19rocblas_complex_numIfEPKPS3_EEvT1_iilPiilS8_bb,@function
_ZN9rocsolver6v33100L18getri_kernel_smallILi5E19rocblas_complex_numIfEPKPS3_EEvT1_iilPiilS8_bb: ; @_ZN9rocsolver6v33100L18getri_kernel_smallILi5E19rocblas_complex_numIfEPKPS3_EEvT1_iilPiilS8_bb
; %bb.0:
	s_add_u32 s0, s0, s7
	s_addc_u32 s1, s1, 0
	v_cmp_gt_u32_e32 vcc, 5, v0
	s_and_saveexec_b64 s[8:9], vcc
	s_cbranch_execz .LBB68_34
; %bb.1:
	s_load_dword s18, s[4:5], 0x38
	s_load_dwordx2 s[12:13], s[4:5], 0x0
	s_load_dwordx4 s[8:11], s[4:5], 0x28
	s_waitcnt lgkmcnt(0)
	s_bitcmp1_b32 s18, 8
	s_cselect_b64 s[14:15], -1, 0
	s_ashr_i32 s7, s6, 31
	s_lshl_b64 s[16:17], s[6:7], 3
	s_add_u32 s12, s12, s16
	s_addc_u32 s13, s13, s17
	s_load_dwordx2 s[16:17], s[12:13], 0x0
	s_bfe_u32 s12, s18, 0x10008
	s_cmp_eq_u32 s12, 0
                                        ; implicit-def: $sgpr12_sgpr13
	s_cbranch_scc1 .LBB68_3
; %bb.2:
	s_load_dword s12, s[4:5], 0x20
	s_load_dwordx2 s[18:19], s[4:5], 0x18
	s_mul_i32 s13, s8, s7
	s_mul_hi_u32 s20, s8, s6
	s_add_i32 s20, s20, s13
	s_mul_i32 s9, s9, s6
	s_add_i32 s9, s20, s9
	s_mul_i32 s8, s8, s6
	s_waitcnt lgkmcnt(0)
	s_ashr_i32 s13, s12, 31
	s_lshl_b64 s[8:9], s[8:9], 2
	s_add_u32 s18, s18, s8
	s_addc_u32 s19, s19, s9
	s_lshl_b64 s[8:9], s[12:13], 2
	s_add_u32 s12, s18, s8
	s_addc_u32 s13, s19, s9
.LBB68_3:
	s_load_dwordx2 s[8:9], s[4:5], 0x8
	s_load_dword s18, s[4:5], 0x38
	v_lshlrev_b32_e32 v13, 3, v0
	s_waitcnt lgkmcnt(0)
	s_ashr_i32 s5, s8, 31
	s_mov_b32 s4, s8
	s_lshl_b64 s[4:5], s[4:5], 3
	s_add_u32 s8, s16, s4
	s_addc_u32 s16, s17, s5
	v_mov_b32_e32 v2, s16
	v_add_co_u32_e32 v1, vcc, s8, v13
	v_addc_co_u32_e32 v2, vcc, 0, v2, vcc
	flat_load_dwordx2 v[5:6], v[1:2]
	s_mov_b32 s4, s9
	s_ashr_i32 s5, s9, 31
	s_lshl_b64 s[4:5], s[4:5], 3
	v_mov_b32_e32 v4, s5
	v_add_co_u32_e32 v3, vcc, s4, v1
	v_addc_co_u32_e32 v4, vcc, v2, v4, vcc
	s_add_i32 s4, s9, s9
	v_add_u32_e32 v9, s4, v0
	v_ashrrev_i32_e32 v10, 31, v9
	v_mov_b32_e32 v11, s16
	v_add_u32_e32 v14, s9, v9
	v_ashrrev_i32_e32 v15, 31, v14
	v_mov_b32_e32 v12, s16
	s_bitcmp0_b32 s18, 0
	s_waitcnt vmcnt(0) lgkmcnt(0)
	buffer_store_dword v6, off, s[0:3], 0 offset:4
	buffer_store_dword v5, off, s[0:3], 0
	flat_load_dwordx2 v[7:8], v[3:4]
	v_lshlrev_b64 v[5:6], 3, v[9:10]
	v_add_u32_e32 v9, s9, v14
	v_add_co_u32_e32 v5, vcc, s8, v5
	v_addc_co_u32_e32 v6, vcc, v11, v6, vcc
	s_waitcnt vmcnt(0) lgkmcnt(0)
	buffer_store_dword v8, off, s[0:3], 0 offset:12
	buffer_store_dword v7, off, s[0:3], 0 offset:8
	flat_load_dwordx2 v[10:11], v[5:6]
	v_lshlrev_b64 v[7:8], 3, v[14:15]
	v_mov_b32_e32 v15, s16
	v_add_co_u32_e32 v7, vcc, s8, v7
	v_addc_co_u32_e32 v8, vcc, v12, v8, vcc
	s_waitcnt vmcnt(0) lgkmcnt(0)
	buffer_store_dword v11, off, s[0:3], 0 offset:20
	buffer_store_dword v10, off, s[0:3], 0 offset:16
	flat_load_dwordx2 v[11:12], v[7:8]
	v_ashrrev_i32_e32 v10, 31, v9
	v_lshlrev_b64 v[9:10], 3, v[9:10]
	s_waitcnt vmcnt(0) lgkmcnt(0)
	buffer_store_dword v12, off, s[0:3], 0 offset:28
	buffer_store_dword v11, off, s[0:3], 0 offset:24
	v_add_co_u32_e32 v9, vcc, s8, v9
	v_addc_co_u32_e32 v10, vcc, v15, v10, vcc
	flat_load_dwordx2 v[11:12], v[9:10]
	s_mov_b64 s[8:9], -1
	s_waitcnt vmcnt(0) lgkmcnt(0)
	buffer_store_dword v12, off, s[0:3], 0 offset:36
	buffer_store_dword v11, off, s[0:3], 0 offset:32
	s_cbranch_scc1 .LBB68_32
; %bb.4:
	v_cmp_eq_u32_e64 s[4:5], 0, v0
	s_and_saveexec_b64 s[8:9], s[4:5]
; %bb.5:
	v_mov_b32_e32 v11, 0
	ds_write_b32 v11, v11 offset:40
; %bb.6:
	s_or_b64 exec, exec, s[8:9]
	v_mov_b32_e32 v11, 0
	v_lshl_add_u32 v15, v0, 3, v11
	s_waitcnt lgkmcnt(0)
	; wave barrier
	buffer_load_dword v11, v15, s[0:3], 0 offen
	buffer_load_dword v12, v15, s[0:3], 0 offen offset:4
	s_waitcnt vmcnt(1)
	v_cmp_eq_f32_e32 vcc, 0, v11
	s_waitcnt vmcnt(0)
	v_cmp_eq_f32_e64 s[8:9], 0, v12
	s_and_b64 s[8:9], vcc, s[8:9]
	s_and_saveexec_b64 s[16:17], s[8:9]
	s_cbranch_execz .LBB68_10
; %bb.7:
	v_mov_b32_e32 v11, 0
	ds_read_b32 v14, v11 offset:40
	v_add_u32_e32 v12, 1, v0
	s_waitcnt lgkmcnt(0)
	v_readfirstlane_b32 s8, v14
	s_cmp_eq_u32 s8, 0
	s_cselect_b64 s[18:19], -1, 0
	v_cmp_gt_i32_e32 vcc, s8, v12
	s_or_b64 s[18:19], s[18:19], vcc
	s_and_b64 exec, exec, s[18:19]
	s_cbranch_execz .LBB68_10
; %bb.8:
	s_mov_b64 s[18:19], 0
	v_mov_b32_e32 v14, s8
.LBB68_9:                               ; =>This Inner Loop Header: Depth=1
	ds_cmpst_rtn_b32 v14, v11, v14, v12 offset:40
	s_waitcnt lgkmcnt(0)
	v_cmp_ne_u32_e32 vcc, 0, v14
	v_cmp_le_i32_e64 s[8:9], v14, v12
	s_and_b64 s[8:9], vcc, s[8:9]
	s_and_b64 s[8:9], exec, s[8:9]
	s_or_b64 s[18:19], s[8:9], s[18:19]
	s_andn2_b64 exec, exec, s[18:19]
	s_cbranch_execnz .LBB68_9
.LBB68_10:
	s_or_b64 exec, exec, s[16:17]
	v_mov_b32_e32 v12, 0
	; wave barrier
	ds_read_b32 v11, v12 offset:40
	s_and_saveexec_b64 s[8:9], s[4:5]
	s_cbranch_execz .LBB68_12
; %bb.11:
	s_lshl_b64 s[16:17], s[6:7], 2
	s_add_u32 s16, s10, s16
	s_addc_u32 s17, s11, s17
	s_waitcnt lgkmcnt(0)
	global_store_dword v12, v11, s[16:17]
.LBB68_12:
	s_or_b64 exec, exec, s[8:9]
	s_waitcnt lgkmcnt(0)
	v_cmp_ne_u32_e32 vcc, 0, v11
	s_mov_b64 s[8:9], 0
	s_cbranch_vccnz .LBB68_32
; %bb.13:
	buffer_load_dword v12, v15, s[0:3], 0 offen
	buffer_load_dword v14, v15, s[0:3], 0 offen offset:4
                                        ; implicit-def: $vgpr17
                                        ; implicit-def: $vgpr16
                                        ; implicit-def: $vgpr11
	s_waitcnt vmcnt(0)
	v_cmp_ngt_f32_e64 s[8:9], |v12|, |v14|
	s_and_saveexec_b64 s[16:17], s[8:9]
	s_xor_b64 s[8:9], exec, s[16:17]
	s_cbranch_execz .LBB68_15
; %bb.14:
	v_div_scale_f32 v11, s[16:17], v14, v14, v12
	v_div_scale_f32 v16, vcc, v12, v14, v12
	v_rcp_f32_e32 v17, v11
	v_fma_f32 v18, -v11, v17, 1.0
	v_fmac_f32_e32 v17, v18, v17
	v_mul_f32_e32 v18, v16, v17
	v_fma_f32 v19, -v11, v18, v16
	v_fmac_f32_e32 v18, v19, v17
	v_fma_f32 v11, -v11, v18, v16
	v_div_fmas_f32 v11, v11, v17, v18
	v_div_fixup_f32 v11, v11, v14, v12
	v_fmac_f32_e32 v14, v12, v11
	v_div_scale_f32 v12, s[16:17], v14, v14, 1.0
	v_div_scale_f32 v16, vcc, 1.0, v14, 1.0
	v_rcp_f32_e32 v17, v12
	v_fma_f32 v18, -v12, v17, 1.0
	v_fmac_f32_e32 v17, v18, v17
	v_mul_f32_e32 v18, v16, v17
	v_fma_f32 v19, -v12, v18, v16
	v_fmac_f32_e32 v18, v19, v17
	v_fma_f32 v12, -v12, v18, v16
	v_div_fmas_f32 v12, v12, v17, v18
	v_div_fixup_f32 v12, v12, v14, 1.0
	v_mul_f32_e32 v17, v11, v12
	v_xor_b32_e32 v16, 0x80000000, v12
	v_xor_b32_e32 v11, 0x80000000, v17
                                        ; implicit-def: $vgpr12
                                        ; implicit-def: $vgpr14
.LBB68_15:
	s_andn2_saveexec_b64 s[8:9], s[8:9]
	s_cbranch_execz .LBB68_17
; %bb.16:
	v_div_scale_f32 v11, s[16:17], v12, v12, v14
	v_div_scale_f32 v16, vcc, v14, v12, v14
	v_rcp_f32_e32 v17, v11
	v_fma_f32 v18, -v11, v17, 1.0
	v_fmac_f32_e32 v17, v18, v17
	v_mul_f32_e32 v18, v16, v17
	v_fma_f32 v19, -v11, v18, v16
	v_fmac_f32_e32 v18, v19, v17
	v_fma_f32 v11, -v11, v18, v16
	v_div_fmas_f32 v11, v11, v17, v18
	v_div_fixup_f32 v16, v11, v12, v14
	v_fmac_f32_e32 v12, v14, v16
	v_div_scale_f32 v11, s[16:17], v12, v12, 1.0
	v_div_scale_f32 v14, vcc, 1.0, v12, 1.0
	v_rcp_f32_e32 v17, v11
	v_fma_f32 v18, -v11, v17, 1.0
	v_fmac_f32_e32 v17, v18, v17
	v_mul_f32_e32 v18, v14, v17
	v_fma_f32 v19, -v11, v18, v14
	v_fmac_f32_e32 v18, v19, v17
	v_fma_f32 v11, -v11, v18, v14
	v_div_fmas_f32 v11, v11, v17, v18
	v_div_fixup_f32 v17, v11, v12, 1.0
	v_xor_b32_e32 v11, 0x80000000, v17
	v_mul_f32_e64 v16, v16, -v17
.LBB68_17:
	s_or_b64 exec, exec, s[8:9]
	buffer_store_dword v17, v15, s[0:3], 0 offen
	buffer_store_dword v16, v15, s[0:3], 0 offen offset:4
	buffer_load_dword v18, off, s[0:3], 0 offset:12
	s_nop 0
	buffer_load_dword v17, off, s[0:3], 0 offset:8
	v_xor_b32_e32 v12, 0x80000000, v16
	v_add_u32_e32 v14, 48, v13
	s_waitcnt vmcnt(0)
	ds_write2_b64 v13, v[11:12], v[17:18] offset1:6
	s_waitcnt lgkmcnt(0)
	; wave barrier
	s_and_saveexec_b64 s[8:9], s[4:5]
	s_cbranch_execz .LBB68_19
; %bb.18:
	buffer_load_dword v18, v15, s[0:3], 0 offen offset:4
	buffer_load_dword v19, v15, s[0:3], 0 offen
	ds_read_b64 v[11:12], v14
	v_mov_b32_e32 v16, 0
	ds_read_b64 v[16:17], v16 offset:8
	s_waitcnt vmcnt(1) lgkmcnt(1)
	v_mul_f32_e32 v20, v12, v18
	v_mul_f32_e32 v18, v11, v18
	s_waitcnt vmcnt(0)
	v_fmac_f32_e32 v18, v12, v19
	v_fma_f32 v11, v11, v19, -v20
	v_add_f32_e32 v12, 0, v18
	v_add_f32_e32 v11, 0, v11
	s_waitcnt lgkmcnt(0)
	v_mul_f32_e32 v18, v12, v17
	v_mul_f32_e32 v17, v11, v17
	v_fma_f32 v11, v11, v16, -v18
	v_fmac_f32_e32 v17, v12, v16
	buffer_store_dword v11, off, s[0:3], 0 offset:8
	buffer_store_dword v17, off, s[0:3], 0 offset:12
.LBB68_19:
	s_or_b64 exec, exec, s[8:9]
	; wave barrier
	buffer_load_dword v11, off, s[0:3], 0 offset:16
	buffer_load_dword v12, off, s[0:3], 0 offset:20
	v_cmp_gt_u32_e32 vcc, 2, v0
	s_waitcnt vmcnt(0)
	ds_write_b64 v14, v[11:12]
	s_waitcnt lgkmcnt(0)
	; wave barrier
	s_and_saveexec_b64 s[8:9], vcc
	s_cbranch_execz .LBB68_23
; %bb.20:
	buffer_load_dword v16, v15, s[0:3], 0 offen offset:4
	buffer_load_dword v17, v15, s[0:3], 0 offen
	ds_read_b64 v[11:12], v14
	s_waitcnt vmcnt(1) lgkmcnt(0)
	v_mul_f32_e32 v15, v12, v16
	v_mul_f32_e32 v16, v11, v16
	s_waitcnt vmcnt(0)
	v_fma_f32 v11, v11, v17, -v15
	v_fmac_f32_e32 v16, v12, v17
	v_add_f32_e32 v12, 0, v11
	v_add_f32_e32 v11, 0, v16
	s_and_saveexec_b64 s[16:17], s[4:5]
	s_cbranch_execz .LBB68_22
; %bb.21:
	buffer_load_dword v17, off, s[0:3], 0 offset:12
	buffer_load_dword v18, off, s[0:3], 0 offset:8
	v_mov_b32_e32 v15, 0
	ds_read_b64 v[15:16], v15 offset:56
	s_waitcnt vmcnt(1) lgkmcnt(0)
	v_mul_f32_e32 v19, v15, v17
	v_mul_f32_e32 v17, v16, v17
	s_waitcnt vmcnt(0)
	v_fmac_f32_e32 v19, v16, v18
	v_fma_f32 v15, v15, v18, -v17
	v_add_f32_e32 v11, v11, v19
	v_add_f32_e32 v12, v12, v15
.LBB68_22:
	s_or_b64 exec, exec, s[16:17]
	v_mov_b32_e32 v15, 0
	ds_read_b64 v[15:16], v15 offset:16
	s_waitcnt lgkmcnt(0)
	v_mul_f32_e32 v17, v11, v16
	v_mul_f32_e32 v16, v12, v16
	v_fma_f32 v12, v12, v15, -v17
	v_fmac_f32_e32 v16, v11, v15
	buffer_store_dword v12, off, s[0:3], 0 offset:16
	buffer_store_dword v16, off, s[0:3], 0 offset:20
.LBB68_23:
	s_or_b64 exec, exec, s[8:9]
	; wave barrier
	buffer_load_dword v11, off, s[0:3], 0 offset:24
	buffer_load_dword v12, off, s[0:3], 0 offset:28
	v_cmp_gt_u32_e32 vcc, 3, v0
	s_waitcnt vmcnt(0)
	ds_write_b64 v14, v[11:12]
	v_add_u32_e32 v11, -1, v0
	s_waitcnt lgkmcnt(0)
	; wave barrier
	s_and_saveexec_b64 s[4:5], vcc
	s_cbranch_execz .LBB68_27
; %bb.24:
	v_add_u32_e32 v15, -1, v0
	v_add_u32_e32 v16, 48, v13
	v_mov_b32_e32 v17, v13
	v_mov_b32_e32 v12, 0
	s_mov_b64 s[8:9], 0
	v_mov_b32_e32 v18, 0
.LBB68_25:                              ; =>This Inner Loop Header: Depth=1
	buffer_load_dword v21, v17, s[0:3], 0 offen offset:4
	buffer_load_dword v22, v17, s[0:3], 0 offen
	ds_read_b64 v[19:20], v16
	v_add_u32_e32 v15, 1, v15
	v_cmp_lt_u32_e32 vcc, 1, v15
	v_add_u32_e32 v16, 8, v16
	v_add_u32_e32 v17, 8, v17
	s_or_b64 s[8:9], vcc, s[8:9]
	s_waitcnt vmcnt(1) lgkmcnt(0)
	v_mul_f32_e32 v23, v20, v21
	v_mul_f32_e32 v21, v19, v21
	s_waitcnt vmcnt(0)
	v_fma_f32 v19, v19, v22, -v23
	v_fmac_f32_e32 v21, v20, v22
	v_add_f32_e32 v18, v18, v19
	v_add_f32_e32 v12, v12, v21
	s_andn2_b64 exec, exec, s[8:9]
	s_cbranch_execnz .LBB68_25
; %bb.26:
	s_or_b64 exec, exec, s[8:9]
	v_mov_b32_e32 v15, 0
	ds_read_b64 v[15:16], v15 offset:24
	s_waitcnt lgkmcnt(0)
	v_mul_f32_e32 v17, v12, v16
	v_mul_f32_e32 v16, v18, v16
	v_fma_f32 v17, v18, v15, -v17
	v_fmac_f32_e32 v16, v12, v15
	buffer_store_dword v17, off, s[0:3], 0 offset:24
	buffer_store_dword v16, off, s[0:3], 0 offset:28
.LBB68_27:
	s_or_b64 exec, exec, s[4:5]
	; wave barrier
	buffer_load_dword v15, off, s[0:3], 0 offset:32
	buffer_load_dword v16, off, s[0:3], 0 offset:36
	v_cmp_ne_u32_e32 vcc, 4, v0
	s_waitcnt vmcnt(0)
	ds_write_b64 v14, v[15:16]
	s_waitcnt lgkmcnt(0)
	; wave barrier
	s_and_saveexec_b64 s[4:5], vcc
	s_cbranch_execz .LBB68_31
; %bb.28:
	v_mov_b32_e32 v12, 0
	s_mov_b64 s[8:9], 0
	v_mov_b32_e32 v15, 0
.LBB68_29:                              ; =>This Inner Loop Header: Depth=1
	buffer_load_dword v18, v13, s[0:3], 0 offen offset:4
	buffer_load_dword v19, v13, s[0:3], 0 offen
	ds_read_b64 v[16:17], v14
	v_add_u32_e32 v11, 1, v11
	v_cmp_lt_u32_e32 vcc, 2, v11
	v_add_u32_e32 v14, 8, v14
	v_add_u32_e32 v13, 8, v13
	s_or_b64 s[8:9], vcc, s[8:9]
	s_waitcnt vmcnt(1) lgkmcnt(0)
	v_mul_f32_e32 v20, v17, v18
	v_mul_f32_e32 v18, v16, v18
	s_waitcnt vmcnt(0)
	v_fma_f32 v16, v16, v19, -v20
	v_fmac_f32_e32 v18, v17, v19
	v_add_f32_e32 v15, v15, v16
	v_add_f32_e32 v12, v12, v18
	s_andn2_b64 exec, exec, s[8:9]
	s_cbranch_execnz .LBB68_29
; %bb.30:
	s_or_b64 exec, exec, s[8:9]
	v_mov_b32_e32 v11, 0
	ds_read_b64 v[13:14], v11 offset:32
	s_waitcnt lgkmcnt(0)
	v_mul_f32_e32 v11, v12, v14
	v_mul_f32_e32 v14, v15, v14
	v_fma_f32 v11, v15, v13, -v11
	v_fmac_f32_e32 v14, v12, v13
	buffer_store_dword v11, off, s[0:3], 0 offset:32
	buffer_store_dword v14, off, s[0:3], 0 offset:36
.LBB68_31:
	s_or_b64 exec, exec, s[4:5]
	s_mov_b64 s[8:9], -1
	; wave barrier
.LBB68_32:
	s_and_b64 vcc, exec, s[8:9]
	s_cbranch_vccz .LBB68_34
; %bb.33:
	s_lshl_b64 s[4:5], s[6:7], 2
	s_add_u32 s4, s10, s4
	s_addc_u32 s5, s11, s5
	v_mov_b32_e32 v11, 0
	global_load_dword v11, v11, s[4:5]
	s_waitcnt vmcnt(0)
	v_cmp_ne_u32_e32 vcc, 0, v11
	s_cbranch_vccz .LBB68_35
.LBB68_34:
	s_endpgm
.LBB68_35:
	v_lshl_add_u32 v11, v0, 3, 48
	v_cmp_eq_u32_e32 vcc, 4, v0
	s_and_saveexec_b64 s[4:5], vcc
	s_cbranch_execz .LBB68_37
; %bb.36:
	buffer_load_dword v12, off, s[0:3], 0 offset:24
	buffer_load_dword v13, off, s[0:3], 0 offset:28
	v_mov_b32_e32 v14, 0
	buffer_store_dword v14, off, s[0:3], 0 offset:24
	buffer_store_dword v14, off, s[0:3], 0 offset:28
	s_waitcnt vmcnt(2)
	ds_write_b64 v11, v[12:13]
.LBB68_37:
	s_or_b64 exec, exec, s[4:5]
	s_waitcnt lgkmcnt(0)
	; wave barrier
	buffer_load_dword v15, off, s[0:3], 0 offset:36
	buffer_load_dword v16, off, s[0:3], 0 offset:32
	;; [unrolled: 1-line block ×4, first 2 shown]
	v_mov_b32_e32 v12, 0
	ds_read_b64 v[13:14], v12 offset:80
	v_cmp_lt_u32_e32 vcc, 2, v0
	s_waitcnt vmcnt(3) lgkmcnt(0)
	v_mul_f32_e32 v19, v13, v15
	v_mul_f32_e32 v15, v14, v15
	s_waitcnt vmcnt(2)
	v_fma_f32 v13, v13, v16, -v15
	v_fmac_f32_e32 v19, v14, v16
	v_add_f32_e32 v13, 0, v13
	v_add_f32_e32 v14, 0, v19
	s_waitcnt vmcnt(1)
	v_sub_f32_e32 v13, v17, v13
	s_waitcnt vmcnt(0)
	v_sub_f32_e32 v14, v18, v14
	buffer_store_dword v13, off, s[0:3], 0 offset:24
	buffer_store_dword v14, off, s[0:3], 0 offset:28
	s_and_saveexec_b64 s[4:5], vcc
	s_cbranch_execz .LBB68_39
; %bb.38:
	buffer_load_dword v13, off, s[0:3], 0 offset:16
	buffer_load_dword v14, off, s[0:3], 0 offset:20
	s_waitcnt vmcnt(0)
	ds_write_b64 v11, v[13:14]
	buffer_store_dword v12, off, s[0:3], 0 offset:16
	buffer_store_dword v12, off, s[0:3], 0 offset:20
.LBB68_39:
	s_or_b64 exec, exec, s[4:5]
	s_waitcnt lgkmcnt(0)
	; wave barrier
	buffer_load_dword v16, off, s[0:3], 0 offset:28
	buffer_load_dword v17, off, s[0:3], 0 offset:36
	;; [unrolled: 1-line block ×6, first 2 shown]
	ds_read2_b64 v[12:15], v12 offset0:9 offset1:10
	v_cmp_lt_u32_e32 vcc, 1, v0
	s_waitcnt vmcnt(5) lgkmcnt(0)
	v_mul_f32_e32 v22, v12, v16
	v_mul_f32_e32 v16, v13, v16
	s_waitcnt vmcnt(4)
	v_mul_f32_e32 v23, v14, v17
	v_mul_f32_e32 v17, v15, v17
	s_waitcnt vmcnt(3)
	v_fma_f32 v12, v12, v18, -v16
	v_fmac_f32_e32 v22, v13, v18
	s_waitcnt vmcnt(2)
	v_fma_f32 v13, v14, v19, -v17
	v_add_f32_e32 v12, 0, v12
	v_fmac_f32_e32 v23, v15, v19
	v_add_f32_e32 v14, 0, v22
	v_add_f32_e32 v12, v12, v13
	;; [unrolled: 1-line block ×3, first 2 shown]
	s_waitcnt vmcnt(1)
	v_sub_f32_e32 v12, v20, v12
	s_waitcnt vmcnt(0)
	v_sub_f32_e32 v13, v21, v14
	buffer_store_dword v12, off, s[0:3], 0 offset:16
	buffer_store_dword v13, off, s[0:3], 0 offset:20
	s_and_saveexec_b64 s[4:5], vcc
	s_cbranch_execz .LBB68_41
; %bb.40:
	buffer_load_dword v12, off, s[0:3], 0 offset:8
	buffer_load_dword v13, off, s[0:3], 0 offset:12
	v_mov_b32_e32 v14, 0
	buffer_store_dword v14, off, s[0:3], 0 offset:8
	buffer_store_dword v14, off, s[0:3], 0 offset:12
	s_waitcnt vmcnt(2)
	ds_write_b64 v11, v[12:13]
.LBB68_41:
	s_or_b64 exec, exec, s[4:5]
	s_waitcnt lgkmcnt(0)
	; wave barrier
	buffer_load_dword v19, off, s[0:3], 0 offset:20
	buffer_load_dword v20, off, s[0:3], 0 offset:28
	;; [unrolled: 1-line block ×8, first 2 shown]
	v_mov_b32_e32 v12, 0
	ds_read_b128 v[13:16], v12 offset:64
	ds_read_b64 v[17:18], v12 offset:80
	v_cmp_ne_u32_e32 vcc, 0, v0
	s_waitcnt vmcnt(7) lgkmcnt(1)
	v_mul_f32_e32 v27, v13, v19
	v_mul_f32_e32 v19, v14, v19
	s_waitcnt vmcnt(6)
	v_mul_f32_e32 v28, v15, v20
	v_mul_f32_e32 v20, v16, v20
	s_waitcnt vmcnt(4)
	v_fma_f32 v13, v13, v22, -v19
	s_waitcnt lgkmcnt(0)
	v_mul_f32_e32 v29, v17, v21
	v_mul_f32_e32 v21, v18, v21
	v_fmac_f32_e32 v27, v14, v22
	s_waitcnt vmcnt(3)
	v_fma_f32 v14, v15, v23, -v20
	v_add_f32_e32 v13, 0, v13
	v_fmac_f32_e32 v28, v16, v23
	s_waitcnt vmcnt(2)
	v_fma_f32 v15, v17, v24, -v21
	v_add_f32_e32 v16, 0, v27
	v_add_f32_e32 v13, v13, v14
	v_fmac_f32_e32 v29, v18, v24
	v_add_f32_e32 v16, v16, v28
	v_add_f32_e32 v13, v13, v15
	;; [unrolled: 1-line block ×3, first 2 shown]
	s_waitcnt vmcnt(1)
	v_sub_f32_e32 v13, v25, v13
	s_waitcnt vmcnt(0)
	v_sub_f32_e32 v14, v26, v14
	buffer_store_dword v13, off, s[0:3], 0 offset:8
	buffer_store_dword v14, off, s[0:3], 0 offset:12
	s_and_saveexec_b64 s[4:5], vcc
	s_cbranch_execz .LBB68_43
; %bb.42:
	buffer_load_dword v13, off, s[0:3], 0
	buffer_load_dword v14, off, s[0:3], 0 offset:4
	s_waitcnt vmcnt(0)
	ds_write_b64 v11, v[13:14]
	buffer_store_dword v12, off, s[0:3], 0
	buffer_store_dword v12, off, s[0:3], 0 offset:4
.LBB68_43:
	s_or_b64 exec, exec, s[4:5]
	s_waitcnt lgkmcnt(0)
	; wave barrier
	buffer_load_dword v21, off, s[0:3], 0 offset:12
	buffer_load_dword v22, off, s[0:3], 0 offset:20
	;; [unrolled: 1-line block ×8, first 2 shown]
	buffer_load_dword v27, off, s[0:3], 0
	buffer_load_dword v28, off, s[0:3], 0 offset:4
	ds_read2_b64 v[13:16], v12 offset0:7 offset1:8
	ds_read2_b64 v[17:20], v12 offset0:9 offset1:10
	s_and_b64 vcc, exec, s[14:15]
	s_waitcnt vmcnt(9) lgkmcnt(1)
	v_mul_f32_e32 v12, v13, v21
	v_mul_f32_e32 v21, v14, v21
	s_waitcnt vmcnt(8)
	v_mul_f32_e32 v29, v15, v22
	v_mul_f32_e32 v22, v16, v22
	s_waitcnt vmcnt(5)
	v_fma_f32 v13, v13, v24, -v21
	s_waitcnt lgkmcnt(0)
	v_mul_f32_e32 v32, v18, v0
	v_fmac_f32_e32 v12, v14, v24
	s_waitcnt vmcnt(4)
	v_fma_f32 v14, v15, v25, -v22
	v_add_f32_e32 v13, 0, v13
	v_mul_f32_e32 v30, v17, v0
	v_mul_f32_e32 v31, v19, v23
	;; [unrolled: 1-line block ×3, first 2 shown]
	v_fmac_f32_e32 v29, v16, v25
	s_waitcnt vmcnt(3)
	v_fma_f32 v15, v17, v11, -v32
	v_add_f32_e32 v12, 0, v12
	v_add_f32_e32 v13, v13, v14
	v_fmac_f32_e32 v30, v18, v11
	s_waitcnt vmcnt(2)
	v_fma_f32 v16, v19, v26, -v23
	v_add_f32_e32 v12, v12, v29
	v_add_f32_e32 v13, v13, v15
	v_fmac_f32_e32 v31, v20, v26
	v_add_f32_e32 v12, v12, v30
	v_add_f32_e32 v13, v13, v16
	;; [unrolled: 1-line block ×3, first 2 shown]
	s_waitcnt vmcnt(1)
	v_sub_f32_e32 v13, v27, v13
	s_waitcnt vmcnt(0)
	v_sub_f32_e32 v12, v28, v12
	buffer_store_dword v13, off, s[0:3], 0
	buffer_store_dword v12, off, s[0:3], 0 offset:4
	s_cbranch_vccz .LBB68_52
; %bb.44:
	v_mov_b32_e32 v12, 0
	global_load_dword v13, v12, s[12:13] offset:12
	s_waitcnt vmcnt(0)
	v_add_u32_e32 v13, -1, v13
	v_cmp_ne_u32_e32 vcc, 3, v13
	s_cbranch_vccz .LBB68_46
; %bb.45:
	v_lshlrev_b32_e32 v13, 3, v13
	buffer_load_dword v14, v13, s[0:3], 0 offen
	buffer_load_dword v15, v13, s[0:3], 0 offen offset:4
	s_waitcnt vmcnt(1)
	buffer_store_dword v14, off, s[0:3], 0 offset:24
	s_waitcnt vmcnt(1)
	buffer_store_dword v15, off, s[0:3], 0 offset:28
	buffer_store_dword v11, v13, s[0:3], 0 offen
	buffer_store_dword v0, v13, s[0:3], 0 offen offset:4
.LBB68_46:
	global_load_dword v0, v12, s[12:13] offset:8
	s_waitcnt vmcnt(0)
	v_add_u32_e32 v0, -1, v0
	v_cmp_eq_u32_e32 vcc, 2, v0
	s_cbranch_vccnz .LBB68_48
; %bb.47:
	v_lshlrev_b32_e32 v0, 3, v0
	buffer_load_dword v11, v0, s[0:3], 0 offen
	buffer_load_dword v12, v0, s[0:3], 0 offen offset:4
	buffer_load_dword v13, off, s[0:3], 0 offset:20
	buffer_load_dword v14, off, s[0:3], 0 offset:16
	s_waitcnt vmcnt(3)
	buffer_store_dword v11, off, s[0:3], 0 offset:16
	s_waitcnt vmcnt(3)
	buffer_store_dword v12, off, s[0:3], 0 offset:20
	s_waitcnt vmcnt(3)
	buffer_store_dword v13, v0, s[0:3], 0 offen offset:4
	s_waitcnt vmcnt(3)
	buffer_store_dword v14, v0, s[0:3], 0 offen
.LBB68_48:
	v_mov_b32_e32 v0, 0
	global_load_dword v11, v0, s[12:13] offset:4
	s_waitcnt vmcnt(0)
	v_add_u32_e32 v11, -1, v11
	v_cmp_eq_u32_e32 vcc, 1, v11
	s_cbranch_vccnz .LBB68_50
; %bb.49:
	v_lshlrev_b32_e32 v11, 3, v11
	buffer_load_dword v12, v11, s[0:3], 0 offen
	buffer_load_dword v13, v11, s[0:3], 0 offen offset:4
	buffer_load_dword v14, off, s[0:3], 0 offset:8
	buffer_load_dword v15, off, s[0:3], 0 offset:12
	s_waitcnt vmcnt(3)
	buffer_store_dword v12, off, s[0:3], 0 offset:8
	s_waitcnt vmcnt(3)
	buffer_store_dword v13, off, s[0:3], 0 offset:12
	s_waitcnt vmcnt(3)
	buffer_store_dword v14, v11, s[0:3], 0 offen
	s_waitcnt vmcnt(3)
	buffer_store_dword v15, v11, s[0:3], 0 offen offset:4
.LBB68_50:
	global_load_dword v0, v0, s[12:13]
	s_waitcnt vmcnt(0)
	v_add_u32_e32 v0, -1, v0
	v_cmp_eq_u32_e32 vcc, 0, v0
	s_cbranch_vccnz .LBB68_52
; %bb.51:
	v_lshlrev_b32_e32 v0, 3, v0
	buffer_load_dword v11, v0, s[0:3], 0 offen
	buffer_load_dword v12, v0, s[0:3], 0 offen offset:4
	buffer_load_dword v13, off, s[0:3], 0 offset:4
	buffer_load_dword v14, off, s[0:3], 0
	s_waitcnt vmcnt(3)
	buffer_store_dword v11, off, s[0:3], 0
	s_waitcnt vmcnt(3)
	buffer_store_dword v12, off, s[0:3], 0 offset:4
	s_waitcnt vmcnt(3)
	buffer_store_dword v13, v0, s[0:3], 0 offen offset:4
	s_waitcnt vmcnt(3)
	buffer_store_dword v14, v0, s[0:3], 0 offen
.LBB68_52:
	buffer_load_dword v11, off, s[0:3], 0
	buffer_load_dword v12, off, s[0:3], 0 offset:4
	s_waitcnt vmcnt(0)
	flat_store_dwordx2 v[1:2], v[11:12]
	buffer_load_dword v0, off, s[0:3], 0 offset:8
	s_nop 0
	buffer_load_dword v1, off, s[0:3], 0 offset:12
	s_waitcnt vmcnt(0)
	flat_store_dwordx2 v[3:4], v[0:1]
	buffer_load_dword v0, off, s[0:3], 0 offset:16
	s_nop 0
	;; [unrolled: 5-line block ×4, first 2 shown]
	buffer_load_dword v1, off, s[0:3], 0 offset:36
	s_waitcnt vmcnt(0)
	flat_store_dwordx2 v[9:10], v[0:1]
	s_endpgm
	.section	.rodata,"a",@progbits
	.p2align	6, 0x0
	.amdhsa_kernel _ZN9rocsolver6v33100L18getri_kernel_smallILi5E19rocblas_complex_numIfEPKPS3_EEvT1_iilPiilS8_bb
		.amdhsa_group_segment_fixed_size 88
		.amdhsa_private_segment_fixed_size 48
		.amdhsa_kernarg_size 60
		.amdhsa_user_sgpr_count 6
		.amdhsa_user_sgpr_private_segment_buffer 1
		.amdhsa_user_sgpr_dispatch_ptr 0
		.amdhsa_user_sgpr_queue_ptr 0
		.amdhsa_user_sgpr_kernarg_segment_ptr 1
		.amdhsa_user_sgpr_dispatch_id 0
		.amdhsa_user_sgpr_flat_scratch_init 0
		.amdhsa_user_sgpr_private_segment_size 0
		.amdhsa_uses_dynamic_stack 0
		.amdhsa_system_sgpr_private_segment_wavefront_offset 1
		.amdhsa_system_sgpr_workgroup_id_x 1
		.amdhsa_system_sgpr_workgroup_id_y 0
		.amdhsa_system_sgpr_workgroup_id_z 0
		.amdhsa_system_sgpr_workgroup_info 0
		.amdhsa_system_vgpr_workitem_id 0
		.amdhsa_next_free_vgpr 33
		.amdhsa_next_free_sgpr 21
		.amdhsa_reserve_vcc 1
		.amdhsa_reserve_flat_scratch 0
		.amdhsa_float_round_mode_32 0
		.amdhsa_float_round_mode_16_64 0
		.amdhsa_float_denorm_mode_32 3
		.amdhsa_float_denorm_mode_16_64 3
		.amdhsa_dx10_clamp 1
		.amdhsa_ieee_mode 1
		.amdhsa_fp16_overflow 0
		.amdhsa_exception_fp_ieee_invalid_op 0
		.amdhsa_exception_fp_denorm_src 0
		.amdhsa_exception_fp_ieee_div_zero 0
		.amdhsa_exception_fp_ieee_overflow 0
		.amdhsa_exception_fp_ieee_underflow 0
		.amdhsa_exception_fp_ieee_inexact 0
		.amdhsa_exception_int_div_zero 0
	.end_amdhsa_kernel
	.section	.text._ZN9rocsolver6v33100L18getri_kernel_smallILi5E19rocblas_complex_numIfEPKPS3_EEvT1_iilPiilS8_bb,"axG",@progbits,_ZN9rocsolver6v33100L18getri_kernel_smallILi5E19rocblas_complex_numIfEPKPS3_EEvT1_iilPiilS8_bb,comdat
.Lfunc_end68:
	.size	_ZN9rocsolver6v33100L18getri_kernel_smallILi5E19rocblas_complex_numIfEPKPS3_EEvT1_iilPiilS8_bb, .Lfunc_end68-_ZN9rocsolver6v33100L18getri_kernel_smallILi5E19rocblas_complex_numIfEPKPS3_EEvT1_iilPiilS8_bb
                                        ; -- End function
	.set _ZN9rocsolver6v33100L18getri_kernel_smallILi5E19rocblas_complex_numIfEPKPS3_EEvT1_iilPiilS8_bb.num_vgpr, 33
	.set _ZN9rocsolver6v33100L18getri_kernel_smallILi5E19rocblas_complex_numIfEPKPS3_EEvT1_iilPiilS8_bb.num_agpr, 0
	.set _ZN9rocsolver6v33100L18getri_kernel_smallILi5E19rocblas_complex_numIfEPKPS3_EEvT1_iilPiilS8_bb.numbered_sgpr, 21
	.set _ZN9rocsolver6v33100L18getri_kernel_smallILi5E19rocblas_complex_numIfEPKPS3_EEvT1_iilPiilS8_bb.num_named_barrier, 0
	.set _ZN9rocsolver6v33100L18getri_kernel_smallILi5E19rocblas_complex_numIfEPKPS3_EEvT1_iilPiilS8_bb.private_seg_size, 48
	.set _ZN9rocsolver6v33100L18getri_kernel_smallILi5E19rocblas_complex_numIfEPKPS3_EEvT1_iilPiilS8_bb.uses_vcc, 1
	.set _ZN9rocsolver6v33100L18getri_kernel_smallILi5E19rocblas_complex_numIfEPKPS3_EEvT1_iilPiilS8_bb.uses_flat_scratch, 0
	.set _ZN9rocsolver6v33100L18getri_kernel_smallILi5E19rocblas_complex_numIfEPKPS3_EEvT1_iilPiilS8_bb.has_dyn_sized_stack, 0
	.set _ZN9rocsolver6v33100L18getri_kernel_smallILi5E19rocblas_complex_numIfEPKPS3_EEvT1_iilPiilS8_bb.has_recursion, 0
	.set _ZN9rocsolver6v33100L18getri_kernel_smallILi5E19rocblas_complex_numIfEPKPS3_EEvT1_iilPiilS8_bb.has_indirect_call, 0
	.section	.AMDGPU.csdata,"",@progbits
; Kernel info:
; codeLenInByte = 3652
; TotalNumSgprs: 25
; NumVgprs: 33
; ScratchSize: 48
; MemoryBound: 0
; FloatMode: 240
; IeeeMode: 1
; LDSByteSize: 88 bytes/workgroup (compile time only)
; SGPRBlocks: 3
; VGPRBlocks: 8
; NumSGPRsForWavesPerEU: 25
; NumVGPRsForWavesPerEU: 33
; Occupancy: 7
; WaveLimiterHint : 1
; COMPUTE_PGM_RSRC2:SCRATCH_EN: 1
; COMPUTE_PGM_RSRC2:USER_SGPR: 6
; COMPUTE_PGM_RSRC2:TRAP_HANDLER: 0
; COMPUTE_PGM_RSRC2:TGID_X_EN: 1
; COMPUTE_PGM_RSRC2:TGID_Y_EN: 0
; COMPUTE_PGM_RSRC2:TGID_Z_EN: 0
; COMPUTE_PGM_RSRC2:TIDIG_COMP_CNT: 0
	.section	.text._ZN9rocsolver6v33100L18getri_kernel_smallILi6E19rocblas_complex_numIfEPKPS3_EEvT1_iilPiilS8_bb,"axG",@progbits,_ZN9rocsolver6v33100L18getri_kernel_smallILi6E19rocblas_complex_numIfEPKPS3_EEvT1_iilPiilS8_bb,comdat
	.globl	_ZN9rocsolver6v33100L18getri_kernel_smallILi6E19rocblas_complex_numIfEPKPS3_EEvT1_iilPiilS8_bb ; -- Begin function _ZN9rocsolver6v33100L18getri_kernel_smallILi6E19rocblas_complex_numIfEPKPS3_EEvT1_iilPiilS8_bb
	.p2align	8
	.type	_ZN9rocsolver6v33100L18getri_kernel_smallILi6E19rocblas_complex_numIfEPKPS3_EEvT1_iilPiilS8_bb,@function
_ZN9rocsolver6v33100L18getri_kernel_smallILi6E19rocblas_complex_numIfEPKPS3_EEvT1_iilPiilS8_bb: ; @_ZN9rocsolver6v33100L18getri_kernel_smallILi6E19rocblas_complex_numIfEPKPS3_EEvT1_iilPiilS8_bb
; %bb.0:
	s_add_u32 s0, s0, s7
	s_addc_u32 s1, s1, 0
	v_cmp_gt_u32_e32 vcc, 6, v0
	s_and_saveexec_b64 s[8:9], vcc
	s_cbranch_execz .LBB69_38
; %bb.1:
	s_load_dword s18, s[4:5], 0x38
	s_load_dwordx2 s[12:13], s[4:5], 0x0
	s_load_dwordx4 s[8:11], s[4:5], 0x28
	s_waitcnt lgkmcnt(0)
	s_bitcmp1_b32 s18, 8
	s_cselect_b64 s[14:15], -1, 0
	s_ashr_i32 s7, s6, 31
	s_lshl_b64 s[16:17], s[6:7], 3
	s_add_u32 s12, s12, s16
	s_addc_u32 s13, s13, s17
	s_load_dwordx2 s[16:17], s[12:13], 0x0
	s_bfe_u32 s12, s18, 0x10008
	s_cmp_eq_u32 s12, 0
                                        ; implicit-def: $sgpr12_sgpr13
	s_cbranch_scc1 .LBB69_3
; %bb.2:
	s_load_dword s12, s[4:5], 0x20
	s_load_dwordx2 s[18:19], s[4:5], 0x18
	s_mul_i32 s13, s8, s7
	s_mul_hi_u32 s20, s8, s6
	s_add_i32 s20, s20, s13
	s_mul_i32 s9, s9, s6
	s_add_i32 s9, s20, s9
	s_mul_i32 s8, s8, s6
	s_waitcnt lgkmcnt(0)
	s_ashr_i32 s13, s12, 31
	s_lshl_b64 s[8:9], s[8:9], 2
	s_add_u32 s18, s18, s8
	s_addc_u32 s19, s19, s9
	s_lshl_b64 s[8:9], s[12:13], 2
	s_add_u32 s12, s18, s8
	s_addc_u32 s13, s19, s9
.LBB69_3:
	s_load_dwordx2 s[8:9], s[4:5], 0x8
	s_load_dword s18, s[4:5], 0x38
	v_lshlrev_b32_e32 v15, 3, v0
	s_waitcnt lgkmcnt(0)
	s_ashr_i32 s5, s8, 31
	s_mov_b32 s4, s8
	s_lshl_b64 s[4:5], s[4:5], 3
	s_add_u32 s8, s16, s4
	s_addc_u32 s16, s17, s5
	v_mov_b32_e32 v2, s16
	v_add_co_u32_e32 v1, vcc, s8, v15
	v_addc_co_u32_e32 v2, vcc, 0, v2, vcc
	flat_load_dwordx2 v[5:6], v[1:2]
	s_mov_b32 s4, s9
	s_ashr_i32 s5, s9, 31
	s_lshl_b64 s[4:5], s[4:5], 3
	v_mov_b32_e32 v4, s5
	v_add_co_u32_e32 v3, vcc, s4, v1
	v_addc_co_u32_e32 v4, vcc, v2, v4, vcc
	s_add_i32 s4, s9, s9
	v_add_u32_e32 v9, s4, v0
	v_ashrrev_i32_e32 v10, 31, v9
	v_mov_b32_e32 v11, s16
	v_add_u32_e32 v12, s9, v9
	v_ashrrev_i32_e32 v13, 31, v12
	v_mov_b32_e32 v14, s16
	v_mov_b32_e32 v16, s16
	s_bitcmp0_b32 s18, 0
	s_waitcnt vmcnt(0) lgkmcnt(0)
	buffer_store_dword v6, off, s[0:3], 0 offset:4
	buffer_store_dword v5, off, s[0:3], 0
	flat_load_dwordx2 v[7:8], v[3:4]
	v_lshlrev_b64 v[5:6], 3, v[9:10]
	s_waitcnt vmcnt(0) lgkmcnt(0)
	buffer_store_dword v8, off, s[0:3], 0 offset:12
	buffer_store_dword v7, off, s[0:3], 0 offset:8
	v_add_co_u32_e32 v5, vcc, s8, v5
	v_addc_co_u32_e32 v6, vcc, v11, v6, vcc
	flat_load_dwordx2 v[10:11], v[5:6]
	v_lshlrev_b64 v[7:8], 3, v[12:13]
	s_waitcnt vmcnt(0) lgkmcnt(0)
	buffer_store_dword v11, off, s[0:3], 0 offset:20
	buffer_store_dword v10, off, s[0:3], 0 offset:16
	v_add_co_u32_e32 v7, vcc, s8, v7
	v_addc_co_u32_e32 v8, vcc, v14, v8, vcc
	flat_load_dwordx2 v[13:14], v[7:8]
	v_add_u32_e32 v11, s9, v12
	v_ashrrev_i32_e32 v12, 31, v11
	v_lshlrev_b64 v[9:10], 3, v[11:12]
	v_add_u32_e32 v11, s9, v11
	v_add_co_u32_e32 v9, vcc, s8, v9
	v_addc_co_u32_e32 v10, vcc, v16, v10, vcc
	v_ashrrev_i32_e32 v12, 31, v11
	v_lshlrev_b64 v[11:12], 3, v[11:12]
	s_waitcnt vmcnt(0) lgkmcnt(0)
	buffer_store_dword v14, off, s[0:3], 0 offset:28
	buffer_store_dword v13, off, s[0:3], 0 offset:24
	flat_load_dwordx2 v[13:14], v[9:10]
	v_add_co_u32_e32 v11, vcc, s8, v11
	v_addc_co_u32_e32 v12, vcc, v16, v12, vcc
	s_mov_b64 s[8:9], -1
	s_waitcnt vmcnt(0) lgkmcnt(0)
	buffer_store_dword v14, off, s[0:3], 0 offset:36
	buffer_store_dword v13, off, s[0:3], 0 offset:32
	flat_load_dwordx2 v[13:14], v[11:12]
	s_waitcnt vmcnt(0) lgkmcnt(0)
	buffer_store_dword v14, off, s[0:3], 0 offset:44
	buffer_store_dword v13, off, s[0:3], 0 offset:40
	s_cbranch_scc1 .LBB69_36
; %bb.4:
	v_cmp_eq_u32_e64 s[4:5], 0, v0
	s_and_saveexec_b64 s[8:9], s[4:5]
; %bb.5:
	v_mov_b32_e32 v13, 0
	ds_write_b32 v13, v13 offset:96
; %bb.6:
	s_or_b64 exec, exec, s[8:9]
	v_mov_b32_e32 v13, 0
	v_lshl_add_u32 v17, v0, 3, v13
	s_waitcnt lgkmcnt(0)
	; wave barrier
	buffer_load_dword v13, v17, s[0:3], 0 offen
	buffer_load_dword v14, v17, s[0:3], 0 offen offset:4
	s_waitcnt vmcnt(1)
	v_cmp_eq_f32_e32 vcc, 0, v13
	s_waitcnt vmcnt(0)
	v_cmp_eq_f32_e64 s[8:9], 0, v14
	s_and_b64 s[8:9], vcc, s[8:9]
	s_and_saveexec_b64 s[16:17], s[8:9]
	s_cbranch_execz .LBB69_10
; %bb.7:
	v_mov_b32_e32 v13, 0
	ds_read_b32 v16, v13 offset:96
	v_add_u32_e32 v14, 1, v0
	s_waitcnt lgkmcnt(0)
	v_readfirstlane_b32 s8, v16
	s_cmp_eq_u32 s8, 0
	s_cselect_b64 s[18:19], -1, 0
	v_cmp_gt_i32_e32 vcc, s8, v14
	s_or_b64 s[18:19], s[18:19], vcc
	s_and_b64 exec, exec, s[18:19]
	s_cbranch_execz .LBB69_10
; %bb.8:
	s_mov_b64 s[18:19], 0
	v_mov_b32_e32 v16, s8
.LBB69_9:                               ; =>This Inner Loop Header: Depth=1
	ds_cmpst_rtn_b32 v16, v13, v16, v14 offset:96
	s_waitcnt lgkmcnt(0)
	v_cmp_ne_u32_e32 vcc, 0, v16
	v_cmp_le_i32_e64 s[8:9], v16, v14
	s_and_b64 s[8:9], vcc, s[8:9]
	s_and_b64 s[8:9], exec, s[8:9]
	s_or_b64 s[18:19], s[8:9], s[18:19]
	s_andn2_b64 exec, exec, s[18:19]
	s_cbranch_execnz .LBB69_9
.LBB69_10:
	s_or_b64 exec, exec, s[16:17]
	v_mov_b32_e32 v14, 0
	; wave barrier
	ds_read_b32 v13, v14 offset:96
	s_and_saveexec_b64 s[8:9], s[4:5]
	s_cbranch_execz .LBB69_12
; %bb.11:
	s_lshl_b64 s[16:17], s[6:7], 2
	s_add_u32 s16, s10, s16
	s_addc_u32 s17, s11, s17
	s_waitcnt lgkmcnt(0)
	global_store_dword v14, v13, s[16:17]
.LBB69_12:
	s_or_b64 exec, exec, s[8:9]
	s_waitcnt lgkmcnt(0)
	v_cmp_ne_u32_e32 vcc, 0, v13
	s_mov_b64 s[8:9], 0
	s_cbranch_vccnz .LBB69_36
; %bb.13:
	buffer_load_dword v14, v17, s[0:3], 0 offen
	buffer_load_dword v16, v17, s[0:3], 0 offen offset:4
                                        ; implicit-def: $vgpr19
                                        ; implicit-def: $vgpr18
                                        ; implicit-def: $vgpr13
	s_waitcnt vmcnt(0)
	v_cmp_ngt_f32_e64 s[8:9], |v14|, |v16|
	s_and_saveexec_b64 s[16:17], s[8:9]
	s_xor_b64 s[8:9], exec, s[16:17]
	s_cbranch_execz .LBB69_15
; %bb.14:
	v_div_scale_f32 v13, s[16:17], v16, v16, v14
	v_div_scale_f32 v18, vcc, v14, v16, v14
	v_rcp_f32_e32 v19, v13
	v_fma_f32 v20, -v13, v19, 1.0
	v_fmac_f32_e32 v19, v20, v19
	v_mul_f32_e32 v20, v18, v19
	v_fma_f32 v21, -v13, v20, v18
	v_fmac_f32_e32 v20, v21, v19
	v_fma_f32 v13, -v13, v20, v18
	v_div_fmas_f32 v13, v13, v19, v20
	v_div_fixup_f32 v13, v13, v16, v14
	v_fmac_f32_e32 v16, v14, v13
	v_div_scale_f32 v14, s[16:17], v16, v16, 1.0
	v_div_scale_f32 v18, vcc, 1.0, v16, 1.0
	v_rcp_f32_e32 v19, v14
	v_fma_f32 v20, -v14, v19, 1.0
	v_fmac_f32_e32 v19, v20, v19
	v_mul_f32_e32 v20, v18, v19
	v_fma_f32 v21, -v14, v20, v18
	v_fmac_f32_e32 v20, v21, v19
	v_fma_f32 v14, -v14, v20, v18
	v_div_fmas_f32 v14, v14, v19, v20
	v_div_fixup_f32 v14, v14, v16, 1.0
	v_mul_f32_e32 v19, v13, v14
	v_xor_b32_e32 v18, 0x80000000, v14
	v_xor_b32_e32 v13, 0x80000000, v19
                                        ; implicit-def: $vgpr14
                                        ; implicit-def: $vgpr16
.LBB69_15:
	s_andn2_saveexec_b64 s[8:9], s[8:9]
	s_cbranch_execz .LBB69_17
; %bb.16:
	v_div_scale_f32 v13, s[16:17], v14, v14, v16
	v_div_scale_f32 v18, vcc, v16, v14, v16
	v_rcp_f32_e32 v19, v13
	v_fma_f32 v20, -v13, v19, 1.0
	v_fmac_f32_e32 v19, v20, v19
	v_mul_f32_e32 v20, v18, v19
	v_fma_f32 v21, -v13, v20, v18
	v_fmac_f32_e32 v20, v21, v19
	v_fma_f32 v13, -v13, v20, v18
	v_div_fmas_f32 v13, v13, v19, v20
	v_div_fixup_f32 v18, v13, v14, v16
	v_fmac_f32_e32 v14, v16, v18
	v_div_scale_f32 v13, s[16:17], v14, v14, 1.0
	v_div_scale_f32 v16, vcc, 1.0, v14, 1.0
	v_rcp_f32_e32 v19, v13
	v_fma_f32 v20, -v13, v19, 1.0
	v_fmac_f32_e32 v19, v20, v19
	v_mul_f32_e32 v20, v16, v19
	v_fma_f32 v21, -v13, v20, v16
	v_fmac_f32_e32 v20, v21, v19
	v_fma_f32 v13, -v13, v20, v16
	v_div_fmas_f32 v13, v13, v19, v20
	v_div_fixup_f32 v19, v13, v14, 1.0
	v_xor_b32_e32 v13, 0x80000000, v19
	v_mul_f32_e64 v18, v18, -v19
.LBB69_17:
	s_or_b64 exec, exec, s[8:9]
	buffer_store_dword v19, v17, s[0:3], 0 offen
	buffer_store_dword v18, v17, s[0:3], 0 offen offset:4
	buffer_load_dword v20, off, s[0:3], 0 offset:12
	s_nop 0
	buffer_load_dword v19, off, s[0:3], 0 offset:8
	v_xor_b32_e32 v14, 0x80000000, v18
	v_add_u32_e32 v16, 48, v15
	s_waitcnt vmcnt(0)
	ds_write2_b64 v15, v[13:14], v[19:20] offset1:6
	s_waitcnt lgkmcnt(0)
	; wave barrier
	s_and_saveexec_b64 s[8:9], s[4:5]
	s_cbranch_execz .LBB69_19
; %bb.18:
	buffer_load_dword v20, v17, s[0:3], 0 offen offset:4
	buffer_load_dword v21, v17, s[0:3], 0 offen
	ds_read_b64 v[13:14], v16
	v_mov_b32_e32 v18, 0
	ds_read_b64 v[18:19], v18 offset:8
	s_waitcnt vmcnt(1) lgkmcnt(1)
	v_mul_f32_e32 v22, v14, v20
	v_mul_f32_e32 v20, v13, v20
	s_waitcnt vmcnt(0)
	v_fmac_f32_e32 v20, v14, v21
	v_fma_f32 v13, v13, v21, -v22
	v_add_f32_e32 v14, 0, v20
	v_add_f32_e32 v13, 0, v13
	s_waitcnt lgkmcnt(0)
	v_mul_f32_e32 v20, v14, v19
	v_mul_f32_e32 v19, v13, v19
	v_fma_f32 v13, v13, v18, -v20
	v_fmac_f32_e32 v19, v14, v18
	buffer_store_dword v13, off, s[0:3], 0 offset:8
	buffer_store_dword v19, off, s[0:3], 0 offset:12
.LBB69_19:
	s_or_b64 exec, exec, s[8:9]
	; wave barrier
	buffer_load_dword v13, off, s[0:3], 0 offset:16
	buffer_load_dword v14, off, s[0:3], 0 offset:20
	v_cmp_gt_u32_e32 vcc, 2, v0
	s_waitcnt vmcnt(0)
	ds_write_b64 v16, v[13:14]
	s_waitcnt lgkmcnt(0)
	; wave barrier
	s_and_saveexec_b64 s[8:9], vcc
	s_cbranch_execz .LBB69_23
; %bb.20:
	buffer_load_dword v18, v17, s[0:3], 0 offen offset:4
	buffer_load_dword v19, v17, s[0:3], 0 offen
	ds_read_b64 v[13:14], v16
	s_waitcnt vmcnt(1) lgkmcnt(0)
	v_mul_f32_e32 v17, v14, v18
	v_mul_f32_e32 v18, v13, v18
	s_waitcnt vmcnt(0)
	v_fma_f32 v13, v13, v19, -v17
	v_fmac_f32_e32 v18, v14, v19
	v_add_f32_e32 v14, 0, v13
	v_add_f32_e32 v13, 0, v18
	s_and_saveexec_b64 s[16:17], s[4:5]
	s_cbranch_execz .LBB69_22
; %bb.21:
	buffer_load_dword v19, off, s[0:3], 0 offset:12
	buffer_load_dword v20, off, s[0:3], 0 offset:8
	v_mov_b32_e32 v17, 0
	ds_read_b64 v[17:18], v17 offset:56
	s_waitcnt vmcnt(1) lgkmcnt(0)
	v_mul_f32_e32 v21, v17, v19
	v_mul_f32_e32 v19, v18, v19
	s_waitcnt vmcnt(0)
	v_fmac_f32_e32 v21, v18, v20
	v_fma_f32 v17, v17, v20, -v19
	v_add_f32_e32 v13, v13, v21
	v_add_f32_e32 v14, v14, v17
.LBB69_22:
	s_or_b64 exec, exec, s[16:17]
	v_mov_b32_e32 v17, 0
	ds_read_b64 v[17:18], v17 offset:16
	s_waitcnt lgkmcnt(0)
	v_mul_f32_e32 v19, v13, v18
	v_mul_f32_e32 v18, v14, v18
	v_fma_f32 v14, v14, v17, -v19
	v_fmac_f32_e32 v18, v13, v17
	buffer_store_dword v14, off, s[0:3], 0 offset:16
	buffer_store_dword v18, off, s[0:3], 0 offset:20
.LBB69_23:
	s_or_b64 exec, exec, s[8:9]
	; wave barrier
	buffer_load_dword v13, off, s[0:3], 0 offset:24
	buffer_load_dword v14, off, s[0:3], 0 offset:28
	v_cmp_gt_u32_e32 vcc, 3, v0
	s_waitcnt vmcnt(0)
	ds_write_b64 v16, v[13:14]
	v_add_u32_e32 v13, -1, v0
	s_waitcnt lgkmcnt(0)
	; wave barrier
	s_and_saveexec_b64 s[4:5], vcc
	s_cbranch_execz .LBB69_27
; %bb.24:
	v_add_u32_e32 v17, -1, v0
	v_add_u32_e32 v18, 48, v15
	v_mov_b32_e32 v19, v15
	v_mov_b32_e32 v14, 0
	s_mov_b64 s[8:9], 0
	v_mov_b32_e32 v20, 0
.LBB69_25:                              ; =>This Inner Loop Header: Depth=1
	buffer_load_dword v23, v19, s[0:3], 0 offen offset:4
	buffer_load_dword v24, v19, s[0:3], 0 offen
	ds_read_b64 v[21:22], v18
	v_add_u32_e32 v17, 1, v17
	v_cmp_lt_u32_e32 vcc, 1, v17
	v_add_u32_e32 v18, 8, v18
	v_add_u32_e32 v19, 8, v19
	s_or_b64 s[8:9], vcc, s[8:9]
	s_waitcnt vmcnt(1) lgkmcnt(0)
	v_mul_f32_e32 v25, v22, v23
	v_mul_f32_e32 v23, v21, v23
	s_waitcnt vmcnt(0)
	v_fma_f32 v21, v21, v24, -v25
	v_fmac_f32_e32 v23, v22, v24
	v_add_f32_e32 v20, v20, v21
	v_add_f32_e32 v14, v14, v23
	s_andn2_b64 exec, exec, s[8:9]
	s_cbranch_execnz .LBB69_25
; %bb.26:
	s_or_b64 exec, exec, s[8:9]
	v_mov_b32_e32 v17, 0
	ds_read_b64 v[17:18], v17 offset:24
	s_waitcnt lgkmcnt(0)
	v_mul_f32_e32 v19, v14, v18
	v_mul_f32_e32 v18, v20, v18
	v_fma_f32 v19, v20, v17, -v19
	v_fmac_f32_e32 v18, v14, v17
	buffer_store_dword v19, off, s[0:3], 0 offset:24
	buffer_store_dword v18, off, s[0:3], 0 offset:28
.LBB69_27:
	s_or_b64 exec, exec, s[4:5]
	; wave barrier
	buffer_load_dword v17, off, s[0:3], 0 offset:32
	buffer_load_dword v18, off, s[0:3], 0 offset:36
	v_cmp_gt_u32_e32 vcc, 4, v0
	s_waitcnt vmcnt(0)
	ds_write_b64 v16, v[17:18]
	s_waitcnt lgkmcnt(0)
	; wave barrier
	s_and_saveexec_b64 s[4:5], vcc
	s_cbranch_execz .LBB69_31
; %bb.28:
	v_add_u32_e32 v17, -1, v0
	v_add_u32_e32 v18, 48, v15
	v_mov_b32_e32 v19, v15
	v_mov_b32_e32 v14, 0
	s_mov_b64 s[8:9], 0
	v_mov_b32_e32 v20, 0
.LBB69_29:                              ; =>This Inner Loop Header: Depth=1
	buffer_load_dword v23, v19, s[0:3], 0 offen offset:4
	buffer_load_dword v24, v19, s[0:3], 0 offen
	ds_read_b64 v[21:22], v18
	v_add_u32_e32 v17, 1, v17
	v_cmp_lt_u32_e32 vcc, 2, v17
	v_add_u32_e32 v18, 8, v18
	v_add_u32_e32 v19, 8, v19
	s_or_b64 s[8:9], vcc, s[8:9]
	s_waitcnt vmcnt(1) lgkmcnt(0)
	v_mul_f32_e32 v25, v22, v23
	v_mul_f32_e32 v23, v21, v23
	s_waitcnt vmcnt(0)
	v_fma_f32 v21, v21, v24, -v25
	v_fmac_f32_e32 v23, v22, v24
	v_add_f32_e32 v20, v20, v21
	v_add_f32_e32 v14, v14, v23
	s_andn2_b64 exec, exec, s[8:9]
	s_cbranch_execnz .LBB69_29
; %bb.30:
	s_or_b64 exec, exec, s[8:9]
	v_mov_b32_e32 v17, 0
	ds_read_b64 v[17:18], v17 offset:32
	s_waitcnt lgkmcnt(0)
	v_mul_f32_e32 v19, v14, v18
	v_mul_f32_e32 v18, v20, v18
	v_fma_f32 v19, v20, v17, -v19
	v_fmac_f32_e32 v18, v14, v17
	buffer_store_dword v19, off, s[0:3], 0 offset:32
	buffer_store_dword v18, off, s[0:3], 0 offset:36
.LBB69_31:
	s_or_b64 exec, exec, s[4:5]
	; wave barrier
	buffer_load_dword v17, off, s[0:3], 0 offset:40
	buffer_load_dword v18, off, s[0:3], 0 offset:44
	v_cmp_ne_u32_e32 vcc, 5, v0
	s_waitcnt vmcnt(0)
	ds_write_b64 v16, v[17:18]
	s_waitcnt lgkmcnt(0)
	; wave barrier
	s_and_saveexec_b64 s[4:5], vcc
	s_cbranch_execz .LBB69_35
; %bb.32:
	v_mov_b32_e32 v14, 0
	s_mov_b64 s[8:9], 0
	v_mov_b32_e32 v17, 0
.LBB69_33:                              ; =>This Inner Loop Header: Depth=1
	buffer_load_dword v20, v15, s[0:3], 0 offen offset:4
	buffer_load_dword v21, v15, s[0:3], 0 offen
	ds_read_b64 v[18:19], v16
	v_add_u32_e32 v13, 1, v13
	v_cmp_lt_u32_e32 vcc, 3, v13
	v_add_u32_e32 v16, 8, v16
	v_add_u32_e32 v15, 8, v15
	s_or_b64 s[8:9], vcc, s[8:9]
	s_waitcnt vmcnt(1) lgkmcnt(0)
	v_mul_f32_e32 v22, v19, v20
	v_mul_f32_e32 v20, v18, v20
	s_waitcnt vmcnt(0)
	v_fma_f32 v18, v18, v21, -v22
	v_fmac_f32_e32 v20, v19, v21
	v_add_f32_e32 v17, v17, v18
	v_add_f32_e32 v14, v14, v20
	s_andn2_b64 exec, exec, s[8:9]
	s_cbranch_execnz .LBB69_33
; %bb.34:
	s_or_b64 exec, exec, s[8:9]
	v_mov_b32_e32 v13, 0
	ds_read_b64 v[15:16], v13 offset:40
	s_waitcnt lgkmcnt(0)
	v_mul_f32_e32 v13, v14, v16
	v_mul_f32_e32 v16, v17, v16
	v_fma_f32 v13, v17, v15, -v13
	v_fmac_f32_e32 v16, v14, v15
	buffer_store_dword v13, off, s[0:3], 0 offset:40
	buffer_store_dword v16, off, s[0:3], 0 offset:44
.LBB69_35:
	s_or_b64 exec, exec, s[4:5]
	s_mov_b64 s[8:9], -1
	; wave barrier
.LBB69_36:
	s_and_b64 vcc, exec, s[8:9]
	s_cbranch_vccz .LBB69_38
; %bb.37:
	s_lshl_b64 s[4:5], s[6:7], 2
	s_add_u32 s4, s10, s4
	s_addc_u32 s5, s11, s5
	v_mov_b32_e32 v13, 0
	global_load_dword v13, v13, s[4:5]
	s_waitcnt vmcnt(0)
	v_cmp_ne_u32_e32 vcc, 0, v13
	s_cbranch_vccz .LBB69_39
.LBB69_38:
	s_endpgm
.LBB69_39:
	v_lshl_add_u32 v13, v0, 3, 48
	v_cmp_eq_u32_e32 vcc, 5, v0
	s_and_saveexec_b64 s[4:5], vcc
	s_cbranch_execz .LBB69_41
; %bb.40:
	buffer_load_dword v14, off, s[0:3], 0 offset:32
	buffer_load_dword v15, off, s[0:3], 0 offset:36
	v_mov_b32_e32 v16, 0
	buffer_store_dword v16, off, s[0:3], 0 offset:32
	buffer_store_dword v16, off, s[0:3], 0 offset:36
	s_waitcnt vmcnt(2)
	ds_write_b64 v13, v[14:15]
.LBB69_41:
	s_or_b64 exec, exec, s[4:5]
	s_waitcnt lgkmcnt(0)
	; wave barrier
	buffer_load_dword v17, off, s[0:3], 0 offset:44
	buffer_load_dword v18, off, s[0:3], 0 offset:40
	;; [unrolled: 1-line block ×4, first 2 shown]
	v_mov_b32_e32 v14, 0
	ds_read_b64 v[15:16], v14 offset:88
	v_cmp_lt_u32_e32 vcc, 3, v0
	s_waitcnt vmcnt(3) lgkmcnt(0)
	v_mul_f32_e32 v21, v15, v17
	v_mul_f32_e32 v17, v16, v17
	s_waitcnt vmcnt(2)
	v_fma_f32 v15, v15, v18, -v17
	v_fmac_f32_e32 v21, v16, v18
	v_add_f32_e32 v15, 0, v15
	v_add_f32_e32 v16, 0, v21
	s_waitcnt vmcnt(1)
	v_sub_f32_e32 v15, v19, v15
	s_waitcnt vmcnt(0)
	v_sub_f32_e32 v16, v20, v16
	buffer_store_dword v15, off, s[0:3], 0 offset:32
	buffer_store_dword v16, off, s[0:3], 0 offset:36
	s_and_saveexec_b64 s[4:5], vcc
	s_cbranch_execz .LBB69_43
; %bb.42:
	buffer_load_dword v15, off, s[0:3], 0 offset:24
	buffer_load_dword v16, off, s[0:3], 0 offset:28
	s_waitcnt vmcnt(0)
	ds_write_b64 v13, v[15:16]
	buffer_store_dword v14, off, s[0:3], 0 offset:24
	buffer_store_dword v14, off, s[0:3], 0 offset:28
.LBB69_43:
	s_or_b64 exec, exec, s[4:5]
	s_waitcnt lgkmcnt(0)
	; wave barrier
	buffer_load_dword v18, off, s[0:3], 0 offset:36
	buffer_load_dword v19, off, s[0:3], 0 offset:44
	;; [unrolled: 1-line block ×6, first 2 shown]
	ds_read_b128 v[14:17], v14 offset:80
	v_cmp_lt_u32_e32 vcc, 2, v0
	s_waitcnt vmcnt(5) lgkmcnt(0)
	v_mul_f32_e32 v24, v14, v18
	v_mul_f32_e32 v18, v15, v18
	s_waitcnt vmcnt(4)
	v_mul_f32_e32 v25, v16, v19
	v_mul_f32_e32 v19, v17, v19
	s_waitcnt vmcnt(3)
	v_fma_f32 v14, v14, v20, -v18
	v_fmac_f32_e32 v24, v15, v20
	s_waitcnt vmcnt(2)
	v_fma_f32 v15, v16, v21, -v19
	v_add_f32_e32 v14, 0, v14
	v_fmac_f32_e32 v25, v17, v21
	v_add_f32_e32 v16, 0, v24
	v_add_f32_e32 v14, v14, v15
	;; [unrolled: 1-line block ×3, first 2 shown]
	s_waitcnt vmcnt(1)
	v_sub_f32_e32 v14, v22, v14
	s_waitcnt vmcnt(0)
	v_sub_f32_e32 v15, v23, v16
	buffer_store_dword v14, off, s[0:3], 0 offset:24
	buffer_store_dword v15, off, s[0:3], 0 offset:28
	s_and_saveexec_b64 s[4:5], vcc
	s_cbranch_execz .LBB69_45
; %bb.44:
	buffer_load_dword v14, off, s[0:3], 0 offset:16
	buffer_load_dword v15, off, s[0:3], 0 offset:20
	v_mov_b32_e32 v16, 0
	buffer_store_dword v16, off, s[0:3], 0 offset:16
	buffer_store_dword v16, off, s[0:3], 0 offset:20
	s_waitcnt vmcnt(2)
	ds_write_b64 v13, v[14:15]
.LBB69_45:
	s_or_b64 exec, exec, s[4:5]
	s_waitcnt lgkmcnt(0)
	; wave barrier
	buffer_load_dword v21, off, s[0:3], 0 offset:28
	buffer_load_dword v22, off, s[0:3], 0 offset:36
	;; [unrolled: 1-line block ×8, first 2 shown]
	v_mov_b32_e32 v14, 0
	ds_read2_b64 v[15:18], v14 offset0:9 offset1:10
	ds_read_b64 v[19:20], v14 offset:88
	v_cmp_lt_u32_e32 vcc, 1, v0
	s_waitcnt vmcnt(7) lgkmcnt(1)
	v_mul_f32_e32 v29, v15, v21
	v_mul_f32_e32 v21, v16, v21
	s_waitcnt vmcnt(6)
	v_mul_f32_e32 v30, v17, v22
	v_mul_f32_e32 v22, v18, v22
	s_waitcnt vmcnt(4)
	v_fma_f32 v15, v15, v24, -v21
	s_waitcnt lgkmcnt(0)
	v_mul_f32_e32 v31, v19, v23
	v_mul_f32_e32 v23, v20, v23
	v_fmac_f32_e32 v29, v16, v24
	s_waitcnt vmcnt(3)
	v_fma_f32 v16, v17, v25, -v22
	v_add_f32_e32 v15, 0, v15
	v_fmac_f32_e32 v30, v18, v25
	s_waitcnt vmcnt(2)
	v_fma_f32 v17, v19, v26, -v23
	v_add_f32_e32 v18, 0, v29
	v_add_f32_e32 v15, v15, v16
	v_fmac_f32_e32 v31, v20, v26
	v_add_f32_e32 v18, v18, v30
	v_add_f32_e32 v15, v15, v17
	;; [unrolled: 1-line block ×3, first 2 shown]
	s_waitcnt vmcnt(1)
	v_sub_f32_e32 v15, v27, v15
	s_waitcnt vmcnt(0)
	v_sub_f32_e32 v16, v28, v16
	buffer_store_dword v15, off, s[0:3], 0 offset:16
	buffer_store_dword v16, off, s[0:3], 0 offset:20
	s_and_saveexec_b64 s[4:5], vcc
	s_cbranch_execz .LBB69_47
; %bb.46:
	buffer_load_dword v15, off, s[0:3], 0 offset:8
	buffer_load_dword v16, off, s[0:3], 0 offset:12
	s_waitcnt vmcnt(0)
	ds_write_b64 v13, v[15:16]
	buffer_store_dword v14, off, s[0:3], 0 offset:8
	buffer_store_dword v14, off, s[0:3], 0 offset:12
.LBB69_47:
	s_or_b64 exec, exec, s[4:5]
	s_waitcnt lgkmcnt(0)
	; wave barrier
	buffer_load_dword v23, off, s[0:3], 0 offset:20
	buffer_load_dword v24, off, s[0:3], 0 offset:28
	;; [unrolled: 1-line block ×10, first 2 shown]
	ds_read_b128 v[15:18], v14 offset:64
	ds_read_b128 v[19:22], v14 offset:80
	v_cmp_ne_u32_e32 vcc, 0, v0
	s_waitcnt vmcnt(9) lgkmcnt(1)
	v_mul_f32_e32 v14, v15, v23
	v_mul_f32_e32 v23, v16, v23
	s_waitcnt vmcnt(8)
	v_mul_f32_e32 v33, v17, v24
	v_mul_f32_e32 v24, v18, v24
	s_waitcnt vmcnt(5)
	v_fma_f32 v15, v15, v27, -v23
	s_waitcnt lgkmcnt(0)
	v_mul_f32_e32 v34, v19, v25
	v_mul_f32_e32 v25, v20, v25
	v_fmac_f32_e32 v14, v16, v27
	s_waitcnt vmcnt(4)
	v_fma_f32 v16, v17, v28, -v24
	v_add_f32_e32 v15, 0, v15
	v_mul_f32_e32 v35, v21, v26
	v_mul_f32_e32 v26, v22, v26
	v_fmac_f32_e32 v33, v18, v28
	s_waitcnt vmcnt(3)
	v_fma_f32 v17, v19, v29, -v25
	v_add_f32_e32 v14, 0, v14
	v_add_f32_e32 v15, v15, v16
	v_fmac_f32_e32 v34, v20, v29
	s_waitcnt vmcnt(2)
	v_fma_f32 v18, v21, v30, -v26
	v_add_f32_e32 v14, v14, v33
	v_add_f32_e32 v15, v15, v17
	v_fmac_f32_e32 v35, v22, v30
	v_add_f32_e32 v14, v14, v34
	v_add_f32_e32 v15, v15, v18
	;; [unrolled: 1-line block ×3, first 2 shown]
	s_waitcnt vmcnt(1)
	v_sub_f32_e32 v15, v31, v15
	s_waitcnt vmcnt(0)
	v_sub_f32_e32 v14, v32, v14
	buffer_store_dword v15, off, s[0:3], 0 offset:8
	buffer_store_dword v14, off, s[0:3], 0 offset:12
	s_and_saveexec_b64 s[4:5], vcc
	s_cbranch_execz .LBB69_49
; %bb.48:
	buffer_load_dword v14, off, s[0:3], 0
	buffer_load_dword v15, off, s[0:3], 0 offset:4
	v_mov_b32_e32 v0, 0
	buffer_store_dword v0, off, s[0:3], 0
	buffer_store_dword v0, off, s[0:3], 0 offset:4
	s_waitcnt vmcnt(2)
	ds_write_b64 v13, v[14:15]
.LBB69_49:
	s_or_b64 exec, exec, s[4:5]
	s_waitcnt lgkmcnt(0)
	; wave barrier
	buffer_load_dword v25, off, s[0:3], 0 offset:12
	buffer_load_dword v26, off, s[0:3], 0 offset:20
	;; [unrolled: 1-line block ×10, first 2 shown]
	buffer_load_dword v33, off, s[0:3], 0
	buffer_load_dword v34, off, s[0:3], 0 offset:4
	v_mov_b32_e32 v14, 0
	ds_read2_b64 v[15:18], v14 offset0:7 offset1:8
	ds_read2_b64 v[19:22], v14 offset0:9 offset1:10
	ds_read_b64 v[23:24], v14 offset:88
	s_and_b64 vcc, exec, s[14:15]
	s_waitcnt vmcnt(11) lgkmcnt(2)
	v_mul_f32_e32 v35, v15, v25
	v_mul_f32_e32 v25, v16, v25
	s_waitcnt vmcnt(10)
	v_mul_f32_e32 v36, v17, v26
	v_mul_f32_e32 v26, v18, v26
	s_waitcnt vmcnt(9) lgkmcnt(1)
	v_mul_f32_e32 v37, v19, v27
	s_waitcnt vmcnt(6)
	v_fma_f32 v15, v15, v29, -v25
	v_mul_f32_e32 v27, v20, v27
	v_fmac_f32_e32 v35, v16, v29
	s_waitcnt vmcnt(5)
	v_fma_f32 v16, v17, v30, -v26
	v_add_f32_e32 v15, 0, v15
	v_mul_f32_e32 v40, v22, v0
	v_fmac_f32_e32 v36, v18, v30
	s_waitcnt vmcnt(4)
	v_fmac_f32_e32 v37, v20, v31
	v_fma_f32 v17, v19, v31, -v27
	v_add_f32_e32 v20, 0, v35
	v_add_f32_e32 v15, v15, v16
	v_mul_f32_e32 v38, v21, v0
	s_waitcnt lgkmcnt(0)
	v_mul_f32_e32 v39, v23, v28
	v_mul_f32_e32 v28, v24, v28
	s_waitcnt vmcnt(3)
	v_fma_f32 v18, v21, v13, -v40
	v_add_f32_e32 v20, v20, v36
	v_add_f32_e32 v15, v15, v17
	v_fmac_f32_e32 v38, v22, v13
	s_waitcnt vmcnt(2)
	v_fma_f32 v19, v23, v32, -v28
	v_add_f32_e32 v16, v20, v37
	v_add_f32_e32 v15, v15, v18
	v_fmac_f32_e32 v39, v24, v32
	v_add_f32_e32 v16, v16, v38
	v_add_f32_e32 v15, v15, v19
	;; [unrolled: 1-line block ×3, first 2 shown]
	s_waitcnt vmcnt(1)
	v_sub_f32_e32 v15, v33, v15
	s_waitcnt vmcnt(0)
	v_sub_f32_e32 v16, v34, v16
	buffer_store_dword v15, off, s[0:3], 0
	buffer_store_dword v16, off, s[0:3], 0 offset:4
	s_cbranch_vccz .LBB69_60
; %bb.50:
	global_load_dword v14, v14, s[12:13] offset:16
	s_waitcnt vmcnt(0)
	v_add_u32_e32 v14, -1, v14
	v_cmp_ne_u32_e32 vcc, 4, v14
	s_cbranch_vccz .LBB69_52
; %bb.51:
	v_lshlrev_b32_e32 v14, 3, v14
	buffer_load_dword v15, v14, s[0:3], 0 offen offset:4
	buffer_load_dword v16, v14, s[0:3], 0 offen
	s_waitcnt vmcnt(1)
	buffer_store_dword v15, off, s[0:3], 0 offset:36
	s_waitcnt vmcnt(1)
	buffer_store_dword v16, off, s[0:3], 0 offset:32
	buffer_store_dword v0, v14, s[0:3], 0 offen offset:4
	buffer_store_dword v13, v14, s[0:3], 0 offen
.LBB69_52:
	v_mov_b32_e32 v0, 0
	global_load_dword v13, v0, s[12:13] offset:12
	s_waitcnt vmcnt(0)
	v_add_u32_e32 v13, -1, v13
	v_cmp_eq_u32_e32 vcc, 3, v13
	s_cbranch_vccnz .LBB69_54
; %bb.53:
	v_lshlrev_b32_e32 v13, 3, v13
	buffer_load_dword v14, v13, s[0:3], 0 offen
	buffer_load_dword v15, v13, s[0:3], 0 offen offset:4
	buffer_load_dword v16, off, s[0:3], 0 offset:24
	buffer_load_dword v17, off, s[0:3], 0 offset:28
	s_waitcnt vmcnt(3)
	buffer_store_dword v14, off, s[0:3], 0 offset:24
	s_waitcnt vmcnt(3)
	buffer_store_dword v15, off, s[0:3], 0 offset:28
	s_waitcnt vmcnt(3)
	buffer_store_dword v16, v13, s[0:3], 0 offen
	s_waitcnt vmcnt(3)
	buffer_store_dword v17, v13, s[0:3], 0 offen offset:4
.LBB69_54:
	global_load_dword v0, v0, s[12:13] offset:8
	s_waitcnt vmcnt(0)
	v_add_u32_e32 v0, -1, v0
	v_cmp_eq_u32_e32 vcc, 2, v0
	s_cbranch_vccnz .LBB69_56
; %bb.55:
	v_lshlrev_b32_e32 v0, 3, v0
	buffer_load_dword v13, v0, s[0:3], 0 offen
	buffer_load_dword v14, v0, s[0:3], 0 offen offset:4
	buffer_load_dword v15, off, s[0:3], 0 offset:20
	buffer_load_dword v16, off, s[0:3], 0 offset:16
	s_waitcnt vmcnt(3)
	buffer_store_dword v13, off, s[0:3], 0 offset:16
	s_waitcnt vmcnt(3)
	buffer_store_dword v14, off, s[0:3], 0 offset:20
	s_waitcnt vmcnt(3)
	buffer_store_dword v15, v0, s[0:3], 0 offen offset:4
	s_waitcnt vmcnt(3)
	buffer_store_dword v16, v0, s[0:3], 0 offen
.LBB69_56:
	v_mov_b32_e32 v0, 0
	global_load_dword v13, v0, s[12:13] offset:4
	s_waitcnt vmcnt(0)
	v_add_u32_e32 v13, -1, v13
	v_cmp_eq_u32_e32 vcc, 1, v13
	s_cbranch_vccnz .LBB69_58
; %bb.57:
	v_lshlrev_b32_e32 v13, 3, v13
	buffer_load_dword v14, v13, s[0:3], 0 offen
	buffer_load_dword v15, v13, s[0:3], 0 offen offset:4
	buffer_load_dword v16, off, s[0:3], 0 offset:8
	buffer_load_dword v17, off, s[0:3], 0 offset:12
	s_waitcnt vmcnt(3)
	buffer_store_dword v14, off, s[0:3], 0 offset:8
	s_waitcnt vmcnt(3)
	buffer_store_dword v15, off, s[0:3], 0 offset:12
	s_waitcnt vmcnt(3)
	buffer_store_dword v16, v13, s[0:3], 0 offen
	s_waitcnt vmcnt(3)
	buffer_store_dword v17, v13, s[0:3], 0 offen offset:4
.LBB69_58:
	global_load_dword v0, v0, s[12:13]
	s_waitcnt vmcnt(0)
	v_add_u32_e32 v0, -1, v0
	v_cmp_eq_u32_e32 vcc, 0, v0
	s_cbranch_vccnz .LBB69_60
; %bb.59:
	v_lshlrev_b32_e32 v0, 3, v0
	buffer_load_dword v13, v0, s[0:3], 0 offen
	buffer_load_dword v14, v0, s[0:3], 0 offen offset:4
	buffer_load_dword v15, off, s[0:3], 0 offset:4
	buffer_load_dword v16, off, s[0:3], 0
	s_waitcnt vmcnt(3)
	buffer_store_dword v13, off, s[0:3], 0
	s_waitcnt vmcnt(3)
	buffer_store_dword v14, off, s[0:3], 0 offset:4
	s_waitcnt vmcnt(3)
	buffer_store_dword v15, v0, s[0:3], 0 offen offset:4
	s_waitcnt vmcnt(3)
	buffer_store_dword v16, v0, s[0:3], 0 offen
.LBB69_60:
	buffer_load_dword v13, off, s[0:3], 0
	buffer_load_dword v14, off, s[0:3], 0 offset:4
	s_waitcnt vmcnt(0)
	flat_store_dwordx2 v[1:2], v[13:14]
	buffer_load_dword v0, off, s[0:3], 0 offset:8
	s_nop 0
	buffer_load_dword v1, off, s[0:3], 0 offset:12
	s_waitcnt vmcnt(0)
	flat_store_dwordx2 v[3:4], v[0:1]
	buffer_load_dword v0, off, s[0:3], 0 offset:16
	s_nop 0
	;; [unrolled: 5-line block ×5, first 2 shown]
	buffer_load_dword v1, off, s[0:3], 0 offset:44
	s_waitcnt vmcnt(0)
	flat_store_dwordx2 v[11:12], v[0:1]
	s_endpgm
	.section	.rodata,"a",@progbits
	.p2align	6, 0x0
	.amdhsa_kernel _ZN9rocsolver6v33100L18getri_kernel_smallILi6E19rocblas_complex_numIfEPKPS3_EEvT1_iilPiilS8_bb
		.amdhsa_group_segment_fixed_size 100
		.amdhsa_private_segment_fixed_size 64
		.amdhsa_kernarg_size 60
		.amdhsa_user_sgpr_count 6
		.amdhsa_user_sgpr_private_segment_buffer 1
		.amdhsa_user_sgpr_dispatch_ptr 0
		.amdhsa_user_sgpr_queue_ptr 0
		.amdhsa_user_sgpr_kernarg_segment_ptr 1
		.amdhsa_user_sgpr_dispatch_id 0
		.amdhsa_user_sgpr_flat_scratch_init 0
		.amdhsa_user_sgpr_private_segment_size 0
		.amdhsa_uses_dynamic_stack 0
		.amdhsa_system_sgpr_private_segment_wavefront_offset 1
		.amdhsa_system_sgpr_workgroup_id_x 1
		.amdhsa_system_sgpr_workgroup_id_y 0
		.amdhsa_system_sgpr_workgroup_id_z 0
		.amdhsa_system_sgpr_workgroup_info 0
		.amdhsa_system_vgpr_workitem_id 0
		.amdhsa_next_free_vgpr 41
		.amdhsa_next_free_sgpr 21
		.amdhsa_reserve_vcc 1
		.amdhsa_reserve_flat_scratch 0
		.amdhsa_float_round_mode_32 0
		.amdhsa_float_round_mode_16_64 0
		.amdhsa_float_denorm_mode_32 3
		.amdhsa_float_denorm_mode_16_64 3
		.amdhsa_dx10_clamp 1
		.amdhsa_ieee_mode 1
		.amdhsa_fp16_overflow 0
		.amdhsa_exception_fp_ieee_invalid_op 0
		.amdhsa_exception_fp_denorm_src 0
		.amdhsa_exception_fp_ieee_div_zero 0
		.amdhsa_exception_fp_ieee_overflow 0
		.amdhsa_exception_fp_ieee_underflow 0
		.amdhsa_exception_fp_ieee_inexact 0
		.amdhsa_exception_int_div_zero 0
	.end_amdhsa_kernel
	.section	.text._ZN9rocsolver6v33100L18getri_kernel_smallILi6E19rocblas_complex_numIfEPKPS3_EEvT1_iilPiilS8_bb,"axG",@progbits,_ZN9rocsolver6v33100L18getri_kernel_smallILi6E19rocblas_complex_numIfEPKPS3_EEvT1_iilPiilS8_bb,comdat
.Lfunc_end69:
	.size	_ZN9rocsolver6v33100L18getri_kernel_smallILi6E19rocblas_complex_numIfEPKPS3_EEvT1_iilPiilS8_bb, .Lfunc_end69-_ZN9rocsolver6v33100L18getri_kernel_smallILi6E19rocblas_complex_numIfEPKPS3_EEvT1_iilPiilS8_bb
                                        ; -- End function
	.set _ZN9rocsolver6v33100L18getri_kernel_smallILi6E19rocblas_complex_numIfEPKPS3_EEvT1_iilPiilS8_bb.num_vgpr, 41
	.set _ZN9rocsolver6v33100L18getri_kernel_smallILi6E19rocblas_complex_numIfEPKPS3_EEvT1_iilPiilS8_bb.num_agpr, 0
	.set _ZN9rocsolver6v33100L18getri_kernel_smallILi6E19rocblas_complex_numIfEPKPS3_EEvT1_iilPiilS8_bb.numbered_sgpr, 21
	.set _ZN9rocsolver6v33100L18getri_kernel_smallILi6E19rocblas_complex_numIfEPKPS3_EEvT1_iilPiilS8_bb.num_named_barrier, 0
	.set _ZN9rocsolver6v33100L18getri_kernel_smallILi6E19rocblas_complex_numIfEPKPS3_EEvT1_iilPiilS8_bb.private_seg_size, 64
	.set _ZN9rocsolver6v33100L18getri_kernel_smallILi6E19rocblas_complex_numIfEPKPS3_EEvT1_iilPiilS8_bb.uses_vcc, 1
	.set _ZN9rocsolver6v33100L18getri_kernel_smallILi6E19rocblas_complex_numIfEPKPS3_EEvT1_iilPiilS8_bb.uses_flat_scratch, 0
	.set _ZN9rocsolver6v33100L18getri_kernel_smallILi6E19rocblas_complex_numIfEPKPS3_EEvT1_iilPiilS8_bb.has_dyn_sized_stack, 0
	.set _ZN9rocsolver6v33100L18getri_kernel_smallILi6E19rocblas_complex_numIfEPKPS3_EEvT1_iilPiilS8_bb.has_recursion, 0
	.set _ZN9rocsolver6v33100L18getri_kernel_smallILi6E19rocblas_complex_numIfEPKPS3_EEvT1_iilPiilS8_bb.has_indirect_call, 0
	.section	.AMDGPU.csdata,"",@progbits
; Kernel info:
; codeLenInByte = 4460
; TotalNumSgprs: 25
; NumVgprs: 41
; ScratchSize: 64
; MemoryBound: 0
; FloatMode: 240
; IeeeMode: 1
; LDSByteSize: 100 bytes/workgroup (compile time only)
; SGPRBlocks: 3
; VGPRBlocks: 10
; NumSGPRsForWavesPerEU: 25
; NumVGPRsForWavesPerEU: 41
; Occupancy: 5
; WaveLimiterHint : 1
; COMPUTE_PGM_RSRC2:SCRATCH_EN: 1
; COMPUTE_PGM_RSRC2:USER_SGPR: 6
; COMPUTE_PGM_RSRC2:TRAP_HANDLER: 0
; COMPUTE_PGM_RSRC2:TGID_X_EN: 1
; COMPUTE_PGM_RSRC2:TGID_Y_EN: 0
; COMPUTE_PGM_RSRC2:TGID_Z_EN: 0
; COMPUTE_PGM_RSRC2:TIDIG_COMP_CNT: 0
	.section	.text._ZN9rocsolver6v33100L18getri_kernel_smallILi7E19rocblas_complex_numIfEPKPS3_EEvT1_iilPiilS8_bb,"axG",@progbits,_ZN9rocsolver6v33100L18getri_kernel_smallILi7E19rocblas_complex_numIfEPKPS3_EEvT1_iilPiilS8_bb,comdat
	.globl	_ZN9rocsolver6v33100L18getri_kernel_smallILi7E19rocblas_complex_numIfEPKPS3_EEvT1_iilPiilS8_bb ; -- Begin function _ZN9rocsolver6v33100L18getri_kernel_smallILi7E19rocblas_complex_numIfEPKPS3_EEvT1_iilPiilS8_bb
	.p2align	8
	.type	_ZN9rocsolver6v33100L18getri_kernel_smallILi7E19rocblas_complex_numIfEPKPS3_EEvT1_iilPiilS8_bb,@function
_ZN9rocsolver6v33100L18getri_kernel_smallILi7E19rocblas_complex_numIfEPKPS3_EEvT1_iilPiilS8_bb: ; @_ZN9rocsolver6v33100L18getri_kernel_smallILi7E19rocblas_complex_numIfEPKPS3_EEvT1_iilPiilS8_bb
; %bb.0:
	s_add_u32 s0, s0, s7
	s_addc_u32 s1, s1, 0
	v_cmp_gt_u32_e32 vcc, 7, v0
	s_and_saveexec_b64 s[8:9], vcc
	s_cbranch_execz .LBB70_42
; %bb.1:
	s_load_dword s18, s[4:5], 0x38
	s_load_dwordx2 s[12:13], s[4:5], 0x0
	s_load_dwordx4 s[8:11], s[4:5], 0x28
	s_waitcnt lgkmcnt(0)
	s_bitcmp1_b32 s18, 8
	s_cselect_b64 s[14:15], -1, 0
	s_ashr_i32 s7, s6, 31
	s_lshl_b64 s[16:17], s[6:7], 3
	s_add_u32 s12, s12, s16
	s_addc_u32 s13, s13, s17
	s_load_dwordx2 s[16:17], s[12:13], 0x0
	s_bfe_u32 s12, s18, 0x10008
	s_cmp_eq_u32 s12, 0
                                        ; implicit-def: $sgpr12_sgpr13
	s_cbranch_scc1 .LBB70_3
; %bb.2:
	s_load_dword s12, s[4:5], 0x20
	s_load_dwordx2 s[18:19], s[4:5], 0x18
	s_mul_i32 s13, s8, s7
	s_mul_hi_u32 s20, s8, s6
	s_add_i32 s20, s20, s13
	s_mul_i32 s9, s9, s6
	s_add_i32 s9, s20, s9
	s_mul_i32 s8, s8, s6
	s_waitcnt lgkmcnt(0)
	s_ashr_i32 s13, s12, 31
	s_lshl_b64 s[8:9], s[8:9], 2
	s_add_u32 s18, s18, s8
	s_addc_u32 s19, s19, s9
	s_lshl_b64 s[8:9], s[12:13], 2
	s_add_u32 s12, s18, s8
	s_addc_u32 s13, s19, s9
.LBB70_3:
	s_load_dwordx2 s[8:9], s[4:5], 0x8
	s_load_dword s18, s[4:5], 0x38
	v_lshlrev_b32_e32 v17, 3, v0
	s_waitcnt lgkmcnt(0)
	s_ashr_i32 s5, s8, 31
	s_mov_b32 s4, s8
	s_lshl_b64 s[4:5], s[4:5], 3
	s_add_u32 s8, s16, s4
	s_addc_u32 s16, s17, s5
	v_mov_b32_e32 v2, s16
	v_add_co_u32_e32 v1, vcc, s8, v17
	v_addc_co_u32_e32 v2, vcc, 0, v2, vcc
	flat_load_dwordx2 v[5:6], v[1:2]
	s_mov_b32 s4, s9
	s_ashr_i32 s5, s9, 31
	s_lshl_b64 s[4:5], s[4:5], 3
	v_mov_b32_e32 v4, s5
	v_add_co_u32_e32 v3, vcc, s4, v1
	v_addc_co_u32_e32 v4, vcc, v2, v4, vcc
	s_add_i32 s4, s9, s9
	v_add_u32_e32 v9, s4, v0
	v_ashrrev_i32_e32 v10, 31, v9
	v_mov_b32_e32 v11, s16
	v_add_u32_e32 v12, s9, v9
	v_ashrrev_i32_e32 v13, 31, v12
	v_mov_b32_e32 v14, s16
	v_mov_b32_e32 v15, s16
	;; [unrolled: 1-line block ×3, first 2 shown]
	s_bitcmp0_b32 s18, 0
	s_waitcnt vmcnt(0) lgkmcnt(0)
	buffer_store_dword v6, off, s[0:3], 0 offset:4
	buffer_store_dword v5, off, s[0:3], 0
	flat_load_dwordx2 v[7:8], v[3:4]
	v_lshlrev_b64 v[5:6], 3, v[9:10]
	s_waitcnt vmcnt(0) lgkmcnt(0)
	buffer_store_dword v8, off, s[0:3], 0 offset:12
	buffer_store_dword v7, off, s[0:3], 0 offset:8
	v_add_co_u32_e32 v5, vcc, s8, v5
	v_addc_co_u32_e32 v6, vcc, v11, v6, vcc
	flat_load_dwordx2 v[10:11], v[5:6]
	v_lshlrev_b64 v[7:8], 3, v[12:13]
	s_waitcnt vmcnt(0) lgkmcnt(0)
	buffer_store_dword v11, off, s[0:3], 0 offset:20
	buffer_store_dword v10, off, s[0:3], 0 offset:16
	v_add_co_u32_e32 v7, vcc, s8, v7
	v_addc_co_u32_e32 v8, vcc, v14, v8, vcc
	flat_load_dwordx2 v[13:14], v[7:8]
	v_add_u32_e32 v11, s9, v12
	v_ashrrev_i32_e32 v12, 31, v11
	v_lshlrev_b64 v[9:10], 3, v[11:12]
	s_waitcnt vmcnt(0) lgkmcnt(0)
	buffer_store_dword v14, off, s[0:3], 0 offset:28
	buffer_store_dword v13, off, s[0:3], 0 offset:24
	v_add_co_u32_e32 v9, vcc, s8, v9
	v_addc_co_u32_e32 v10, vcc, v15, v10, vcc
	flat_load_dwordx2 v[13:14], v[9:10]
	v_add_u32_e32 v15, s9, v11
	v_ashrrev_i32_e32 v16, 31, v15
	v_lshlrev_b64 v[11:12], 3, v[15:16]
	v_mov_b32_e32 v16, s16
	v_add_co_u32_e32 v11, vcc, s8, v11
	v_addc_co_u32_e32 v12, vcc, v18, v12, vcc
	s_waitcnt vmcnt(0) lgkmcnt(0)
	buffer_store_dword v14, off, s[0:3], 0 offset:36
	buffer_store_dword v13, off, s[0:3], 0 offset:32
	flat_load_dwordx2 v[18:19], v[11:12]
	v_add_u32_e32 v13, s9, v15
	v_ashrrev_i32_e32 v14, 31, v13
	v_lshlrev_b64 v[13:14], 3, v[13:14]
	s_waitcnt vmcnt(0) lgkmcnt(0)
	buffer_store_dword v19, off, s[0:3], 0 offset:44
	buffer_store_dword v18, off, s[0:3], 0 offset:40
	v_add_co_u32_e32 v13, vcc, s8, v13
	v_addc_co_u32_e32 v14, vcc, v16, v14, vcc
	flat_load_dwordx2 v[15:16], v[13:14]
	s_mov_b64 s[8:9], -1
	s_waitcnt vmcnt(0) lgkmcnt(0)
	buffer_store_dword v16, off, s[0:3], 0 offset:52
	buffer_store_dword v15, off, s[0:3], 0 offset:48
	s_cbranch_scc1 .LBB70_40
; %bb.4:
	v_cmp_eq_u32_e64 s[4:5], 0, v0
	s_and_saveexec_b64 s[8:9], s[4:5]
; %bb.5:
	v_mov_b32_e32 v15, 0
	ds_write_b32 v15, v15 offset:56
; %bb.6:
	s_or_b64 exec, exec, s[8:9]
	v_mov_b32_e32 v15, 0
	v_lshl_add_u32 v19, v0, 3, v15
	s_waitcnt lgkmcnt(0)
	; wave barrier
	buffer_load_dword v15, v19, s[0:3], 0 offen
	buffer_load_dword v16, v19, s[0:3], 0 offen offset:4
	s_waitcnt vmcnt(1)
	v_cmp_eq_f32_e32 vcc, 0, v15
	s_waitcnt vmcnt(0)
	v_cmp_eq_f32_e64 s[8:9], 0, v16
	s_and_b64 s[8:9], vcc, s[8:9]
	s_and_saveexec_b64 s[16:17], s[8:9]
	s_cbranch_execz .LBB70_10
; %bb.7:
	v_mov_b32_e32 v15, 0
	ds_read_b32 v18, v15 offset:56
	v_add_u32_e32 v16, 1, v0
	s_waitcnt lgkmcnt(0)
	v_readfirstlane_b32 s8, v18
	s_cmp_eq_u32 s8, 0
	s_cselect_b64 s[18:19], -1, 0
	v_cmp_gt_i32_e32 vcc, s8, v16
	s_or_b64 s[18:19], s[18:19], vcc
	s_and_b64 exec, exec, s[18:19]
	s_cbranch_execz .LBB70_10
; %bb.8:
	s_mov_b64 s[18:19], 0
	v_mov_b32_e32 v18, s8
.LBB70_9:                               ; =>This Inner Loop Header: Depth=1
	ds_cmpst_rtn_b32 v18, v15, v18, v16 offset:56
	s_waitcnt lgkmcnt(0)
	v_cmp_ne_u32_e32 vcc, 0, v18
	v_cmp_le_i32_e64 s[8:9], v18, v16
	s_and_b64 s[8:9], vcc, s[8:9]
	s_and_b64 s[8:9], exec, s[8:9]
	s_or_b64 s[18:19], s[8:9], s[18:19]
	s_andn2_b64 exec, exec, s[18:19]
	s_cbranch_execnz .LBB70_9
.LBB70_10:
	s_or_b64 exec, exec, s[16:17]
	v_mov_b32_e32 v16, 0
	; wave barrier
	ds_read_b32 v15, v16 offset:56
	s_and_saveexec_b64 s[8:9], s[4:5]
	s_cbranch_execz .LBB70_12
; %bb.11:
	s_lshl_b64 s[16:17], s[6:7], 2
	s_add_u32 s16, s10, s16
	s_addc_u32 s17, s11, s17
	s_waitcnt lgkmcnt(0)
	global_store_dword v16, v15, s[16:17]
.LBB70_12:
	s_or_b64 exec, exec, s[8:9]
	s_waitcnt lgkmcnt(0)
	v_cmp_ne_u32_e32 vcc, 0, v15
	s_mov_b64 s[8:9], 0
	s_cbranch_vccnz .LBB70_40
; %bb.13:
	buffer_load_dword v16, v19, s[0:3], 0 offen
	buffer_load_dword v18, v19, s[0:3], 0 offen offset:4
                                        ; implicit-def: $vgpr21
                                        ; implicit-def: $vgpr20
                                        ; implicit-def: $vgpr15
	s_waitcnt vmcnt(0)
	v_cmp_ngt_f32_e64 s[8:9], |v16|, |v18|
	s_and_saveexec_b64 s[16:17], s[8:9]
	s_xor_b64 s[8:9], exec, s[16:17]
	s_cbranch_execz .LBB70_15
; %bb.14:
	v_div_scale_f32 v15, s[16:17], v18, v18, v16
	v_div_scale_f32 v20, vcc, v16, v18, v16
	v_rcp_f32_e32 v21, v15
	v_fma_f32 v22, -v15, v21, 1.0
	v_fmac_f32_e32 v21, v22, v21
	v_mul_f32_e32 v22, v20, v21
	v_fma_f32 v23, -v15, v22, v20
	v_fmac_f32_e32 v22, v23, v21
	v_fma_f32 v15, -v15, v22, v20
	v_div_fmas_f32 v15, v15, v21, v22
	v_div_fixup_f32 v15, v15, v18, v16
	v_fmac_f32_e32 v18, v16, v15
	v_div_scale_f32 v16, s[16:17], v18, v18, 1.0
	v_div_scale_f32 v20, vcc, 1.0, v18, 1.0
	v_rcp_f32_e32 v21, v16
	v_fma_f32 v22, -v16, v21, 1.0
	v_fmac_f32_e32 v21, v22, v21
	v_mul_f32_e32 v22, v20, v21
	v_fma_f32 v23, -v16, v22, v20
	v_fmac_f32_e32 v22, v23, v21
	v_fma_f32 v16, -v16, v22, v20
	v_div_fmas_f32 v16, v16, v21, v22
	v_div_fixup_f32 v16, v16, v18, 1.0
	v_mul_f32_e32 v21, v15, v16
	v_xor_b32_e32 v20, 0x80000000, v16
	v_xor_b32_e32 v15, 0x80000000, v21
                                        ; implicit-def: $vgpr16
                                        ; implicit-def: $vgpr18
.LBB70_15:
	s_andn2_saveexec_b64 s[8:9], s[8:9]
	s_cbranch_execz .LBB70_17
; %bb.16:
	v_div_scale_f32 v15, s[16:17], v16, v16, v18
	v_div_scale_f32 v20, vcc, v18, v16, v18
	v_rcp_f32_e32 v21, v15
	v_fma_f32 v22, -v15, v21, 1.0
	v_fmac_f32_e32 v21, v22, v21
	v_mul_f32_e32 v22, v20, v21
	v_fma_f32 v23, -v15, v22, v20
	v_fmac_f32_e32 v22, v23, v21
	v_fma_f32 v15, -v15, v22, v20
	v_div_fmas_f32 v15, v15, v21, v22
	v_div_fixup_f32 v20, v15, v16, v18
	v_fmac_f32_e32 v16, v18, v20
	v_div_scale_f32 v15, s[16:17], v16, v16, 1.0
	v_div_scale_f32 v18, vcc, 1.0, v16, 1.0
	v_rcp_f32_e32 v21, v15
	v_fma_f32 v22, -v15, v21, 1.0
	v_fmac_f32_e32 v21, v22, v21
	v_mul_f32_e32 v22, v18, v21
	v_fma_f32 v23, -v15, v22, v18
	v_fmac_f32_e32 v22, v23, v21
	v_fma_f32 v15, -v15, v22, v18
	v_div_fmas_f32 v15, v15, v21, v22
	v_div_fixup_f32 v21, v15, v16, 1.0
	v_xor_b32_e32 v15, 0x80000000, v21
	v_mul_f32_e64 v20, v20, -v21
.LBB70_17:
	s_or_b64 exec, exec, s[8:9]
	buffer_store_dword v21, v19, s[0:3], 0 offen
	buffer_store_dword v20, v19, s[0:3], 0 offen offset:4
	buffer_load_dword v22, off, s[0:3], 0 offset:12
	s_nop 0
	buffer_load_dword v21, off, s[0:3], 0 offset:8
	v_xor_b32_e32 v16, 0x80000000, v20
	v_add_u32_e32 v18, 64, v17
	s_waitcnt vmcnt(0)
	ds_write2_b64 v17, v[15:16], v[21:22] offset1:8
	s_waitcnt lgkmcnt(0)
	; wave barrier
	s_and_saveexec_b64 s[8:9], s[4:5]
	s_cbranch_execz .LBB70_19
; %bb.18:
	buffer_load_dword v22, v19, s[0:3], 0 offen offset:4
	buffer_load_dword v23, v19, s[0:3], 0 offen
	ds_read_b64 v[15:16], v18
	v_mov_b32_e32 v20, 0
	ds_read_b64 v[20:21], v20 offset:8
	s_waitcnt vmcnt(1) lgkmcnt(1)
	v_mul_f32_e32 v24, v16, v22
	v_mul_f32_e32 v22, v15, v22
	s_waitcnt vmcnt(0)
	v_fmac_f32_e32 v22, v16, v23
	v_fma_f32 v15, v15, v23, -v24
	v_add_f32_e32 v16, 0, v22
	v_add_f32_e32 v15, 0, v15
	s_waitcnt lgkmcnt(0)
	v_mul_f32_e32 v22, v16, v21
	v_mul_f32_e32 v21, v15, v21
	v_fma_f32 v15, v15, v20, -v22
	v_fmac_f32_e32 v21, v16, v20
	buffer_store_dword v15, off, s[0:3], 0 offset:8
	buffer_store_dword v21, off, s[0:3], 0 offset:12
.LBB70_19:
	s_or_b64 exec, exec, s[8:9]
	; wave barrier
	buffer_load_dword v15, off, s[0:3], 0 offset:16
	buffer_load_dword v16, off, s[0:3], 0 offset:20
	v_cmp_gt_u32_e32 vcc, 2, v0
	s_waitcnt vmcnt(0)
	ds_write_b64 v18, v[15:16]
	s_waitcnt lgkmcnt(0)
	; wave barrier
	s_and_saveexec_b64 s[8:9], vcc
	s_cbranch_execz .LBB70_23
; %bb.20:
	buffer_load_dword v20, v19, s[0:3], 0 offen offset:4
	buffer_load_dword v21, v19, s[0:3], 0 offen
	ds_read_b64 v[15:16], v18
	s_waitcnt vmcnt(1) lgkmcnt(0)
	v_mul_f32_e32 v19, v16, v20
	v_mul_f32_e32 v20, v15, v20
	s_waitcnt vmcnt(0)
	v_fma_f32 v15, v15, v21, -v19
	v_fmac_f32_e32 v20, v16, v21
	v_add_f32_e32 v16, 0, v15
	v_add_f32_e32 v15, 0, v20
	s_and_saveexec_b64 s[16:17], s[4:5]
	s_cbranch_execz .LBB70_22
; %bb.21:
	buffer_load_dword v21, off, s[0:3], 0 offset:12
	buffer_load_dword v22, off, s[0:3], 0 offset:8
	v_mov_b32_e32 v19, 0
	ds_read_b64 v[19:20], v19 offset:72
	s_waitcnt vmcnt(1) lgkmcnt(0)
	v_mul_f32_e32 v23, v19, v21
	v_mul_f32_e32 v21, v20, v21
	s_waitcnt vmcnt(0)
	v_fmac_f32_e32 v23, v20, v22
	v_fma_f32 v19, v19, v22, -v21
	v_add_f32_e32 v15, v15, v23
	v_add_f32_e32 v16, v16, v19
.LBB70_22:
	s_or_b64 exec, exec, s[16:17]
	v_mov_b32_e32 v19, 0
	ds_read_b64 v[19:20], v19 offset:16
	s_waitcnt lgkmcnt(0)
	v_mul_f32_e32 v21, v15, v20
	v_mul_f32_e32 v20, v16, v20
	v_fma_f32 v16, v16, v19, -v21
	v_fmac_f32_e32 v20, v15, v19
	buffer_store_dword v16, off, s[0:3], 0 offset:16
	buffer_store_dword v20, off, s[0:3], 0 offset:20
.LBB70_23:
	s_or_b64 exec, exec, s[8:9]
	; wave barrier
	buffer_load_dword v15, off, s[0:3], 0 offset:24
	buffer_load_dword v16, off, s[0:3], 0 offset:28
	v_cmp_gt_u32_e32 vcc, 3, v0
	s_waitcnt vmcnt(0)
	ds_write_b64 v18, v[15:16]
	v_add_u32_e32 v15, -1, v0
	s_waitcnt lgkmcnt(0)
	; wave barrier
	s_and_saveexec_b64 s[4:5], vcc
	s_cbranch_execz .LBB70_27
; %bb.24:
	v_add_u32_e32 v19, -1, v0
	v_add_u32_e32 v20, 64, v17
	v_mov_b32_e32 v21, v17
	v_mov_b32_e32 v16, 0
	s_mov_b64 s[8:9], 0
	v_mov_b32_e32 v22, 0
.LBB70_25:                              ; =>This Inner Loop Header: Depth=1
	buffer_load_dword v25, v21, s[0:3], 0 offen offset:4
	buffer_load_dword v26, v21, s[0:3], 0 offen
	ds_read_b64 v[23:24], v20
	v_add_u32_e32 v19, 1, v19
	v_cmp_lt_u32_e32 vcc, 1, v19
	v_add_u32_e32 v20, 8, v20
	v_add_u32_e32 v21, 8, v21
	s_or_b64 s[8:9], vcc, s[8:9]
	s_waitcnt vmcnt(1) lgkmcnt(0)
	v_mul_f32_e32 v27, v24, v25
	v_mul_f32_e32 v25, v23, v25
	s_waitcnt vmcnt(0)
	v_fma_f32 v23, v23, v26, -v27
	v_fmac_f32_e32 v25, v24, v26
	v_add_f32_e32 v22, v22, v23
	v_add_f32_e32 v16, v16, v25
	s_andn2_b64 exec, exec, s[8:9]
	s_cbranch_execnz .LBB70_25
; %bb.26:
	s_or_b64 exec, exec, s[8:9]
	v_mov_b32_e32 v19, 0
	ds_read_b64 v[19:20], v19 offset:24
	s_waitcnt lgkmcnt(0)
	v_mul_f32_e32 v21, v16, v20
	v_mul_f32_e32 v20, v22, v20
	v_fma_f32 v21, v22, v19, -v21
	v_fmac_f32_e32 v20, v16, v19
	buffer_store_dword v21, off, s[0:3], 0 offset:24
	buffer_store_dword v20, off, s[0:3], 0 offset:28
.LBB70_27:
	s_or_b64 exec, exec, s[4:5]
	; wave barrier
	buffer_load_dword v19, off, s[0:3], 0 offset:32
	buffer_load_dword v20, off, s[0:3], 0 offset:36
	v_cmp_gt_u32_e32 vcc, 4, v0
	s_waitcnt vmcnt(0)
	ds_write_b64 v18, v[19:20]
	s_waitcnt lgkmcnt(0)
	; wave barrier
	s_and_saveexec_b64 s[4:5], vcc
	s_cbranch_execz .LBB70_31
; %bb.28:
	v_add_u32_e32 v19, -1, v0
	v_add_u32_e32 v20, 64, v17
	v_mov_b32_e32 v21, v17
	v_mov_b32_e32 v16, 0
	s_mov_b64 s[8:9], 0
	v_mov_b32_e32 v22, 0
.LBB70_29:                              ; =>This Inner Loop Header: Depth=1
	buffer_load_dword v25, v21, s[0:3], 0 offen offset:4
	buffer_load_dword v26, v21, s[0:3], 0 offen
	ds_read_b64 v[23:24], v20
	v_add_u32_e32 v19, 1, v19
	v_cmp_lt_u32_e32 vcc, 2, v19
	v_add_u32_e32 v20, 8, v20
	v_add_u32_e32 v21, 8, v21
	s_or_b64 s[8:9], vcc, s[8:9]
	s_waitcnt vmcnt(1) lgkmcnt(0)
	v_mul_f32_e32 v27, v24, v25
	v_mul_f32_e32 v25, v23, v25
	s_waitcnt vmcnt(0)
	v_fma_f32 v23, v23, v26, -v27
	v_fmac_f32_e32 v25, v24, v26
	v_add_f32_e32 v22, v22, v23
	v_add_f32_e32 v16, v16, v25
	s_andn2_b64 exec, exec, s[8:9]
	s_cbranch_execnz .LBB70_29
; %bb.30:
	s_or_b64 exec, exec, s[8:9]
	v_mov_b32_e32 v19, 0
	ds_read_b64 v[19:20], v19 offset:32
	s_waitcnt lgkmcnt(0)
	v_mul_f32_e32 v21, v16, v20
	v_mul_f32_e32 v20, v22, v20
	v_fma_f32 v21, v22, v19, -v21
	v_fmac_f32_e32 v20, v16, v19
	buffer_store_dword v21, off, s[0:3], 0 offset:32
	buffer_store_dword v20, off, s[0:3], 0 offset:36
.LBB70_31:
	s_or_b64 exec, exec, s[4:5]
	; wave barrier
	buffer_load_dword v19, off, s[0:3], 0 offset:40
	buffer_load_dword v20, off, s[0:3], 0 offset:44
	v_cmp_gt_u32_e32 vcc, 5, v0
	s_waitcnt vmcnt(0)
	ds_write_b64 v18, v[19:20]
	s_waitcnt lgkmcnt(0)
	; wave barrier
	s_and_saveexec_b64 s[4:5], vcc
	s_cbranch_execz .LBB70_35
; %bb.32:
	v_add_u32_e32 v19, -1, v0
	v_add_u32_e32 v20, 64, v17
	v_mov_b32_e32 v21, v17
	v_mov_b32_e32 v16, 0
	s_mov_b64 s[8:9], 0
	v_mov_b32_e32 v22, 0
.LBB70_33:                              ; =>This Inner Loop Header: Depth=1
	buffer_load_dword v25, v21, s[0:3], 0 offen offset:4
	buffer_load_dword v26, v21, s[0:3], 0 offen
	ds_read_b64 v[23:24], v20
	v_add_u32_e32 v19, 1, v19
	v_cmp_lt_u32_e32 vcc, 3, v19
	v_add_u32_e32 v20, 8, v20
	v_add_u32_e32 v21, 8, v21
	s_or_b64 s[8:9], vcc, s[8:9]
	s_waitcnt vmcnt(1) lgkmcnt(0)
	v_mul_f32_e32 v27, v24, v25
	v_mul_f32_e32 v25, v23, v25
	s_waitcnt vmcnt(0)
	v_fma_f32 v23, v23, v26, -v27
	v_fmac_f32_e32 v25, v24, v26
	v_add_f32_e32 v22, v22, v23
	v_add_f32_e32 v16, v16, v25
	s_andn2_b64 exec, exec, s[8:9]
	s_cbranch_execnz .LBB70_33
; %bb.34:
	s_or_b64 exec, exec, s[8:9]
	v_mov_b32_e32 v19, 0
	ds_read_b64 v[19:20], v19 offset:40
	s_waitcnt lgkmcnt(0)
	v_mul_f32_e32 v21, v16, v20
	v_mul_f32_e32 v20, v22, v20
	v_fma_f32 v21, v22, v19, -v21
	v_fmac_f32_e32 v20, v16, v19
	buffer_store_dword v21, off, s[0:3], 0 offset:40
	buffer_store_dword v20, off, s[0:3], 0 offset:44
.LBB70_35:
	s_or_b64 exec, exec, s[4:5]
	; wave barrier
	buffer_load_dword v19, off, s[0:3], 0 offset:48
	buffer_load_dword v20, off, s[0:3], 0 offset:52
	v_cmp_ne_u32_e32 vcc, 6, v0
	s_waitcnt vmcnt(0)
	ds_write_b64 v18, v[19:20]
	s_waitcnt lgkmcnt(0)
	; wave barrier
	s_and_saveexec_b64 s[4:5], vcc
	s_cbranch_execz .LBB70_39
; %bb.36:
	v_mov_b32_e32 v16, 0
	s_mov_b64 s[8:9], 0
	v_mov_b32_e32 v19, 0
.LBB70_37:                              ; =>This Inner Loop Header: Depth=1
	buffer_load_dword v22, v17, s[0:3], 0 offen offset:4
	buffer_load_dword v23, v17, s[0:3], 0 offen
	ds_read_b64 v[20:21], v18
	v_add_u32_e32 v15, 1, v15
	v_cmp_lt_u32_e32 vcc, 4, v15
	v_add_u32_e32 v18, 8, v18
	v_add_u32_e32 v17, 8, v17
	s_or_b64 s[8:9], vcc, s[8:9]
	s_waitcnt vmcnt(1) lgkmcnt(0)
	v_mul_f32_e32 v24, v21, v22
	v_mul_f32_e32 v22, v20, v22
	s_waitcnt vmcnt(0)
	v_fma_f32 v20, v20, v23, -v24
	v_fmac_f32_e32 v22, v21, v23
	v_add_f32_e32 v19, v19, v20
	v_add_f32_e32 v16, v16, v22
	s_andn2_b64 exec, exec, s[8:9]
	s_cbranch_execnz .LBB70_37
; %bb.38:
	s_or_b64 exec, exec, s[8:9]
	v_mov_b32_e32 v15, 0
	ds_read_b64 v[17:18], v15 offset:48
	s_waitcnt lgkmcnt(0)
	v_mul_f32_e32 v15, v16, v18
	v_mul_f32_e32 v18, v19, v18
	v_fma_f32 v15, v19, v17, -v15
	v_fmac_f32_e32 v18, v16, v17
	buffer_store_dword v15, off, s[0:3], 0 offset:48
	buffer_store_dword v18, off, s[0:3], 0 offset:52
.LBB70_39:
	s_or_b64 exec, exec, s[4:5]
	s_mov_b64 s[8:9], -1
	; wave barrier
.LBB70_40:
	s_and_b64 vcc, exec, s[8:9]
	s_cbranch_vccz .LBB70_42
; %bb.41:
	s_lshl_b64 s[4:5], s[6:7], 2
	s_add_u32 s4, s10, s4
	s_addc_u32 s5, s11, s5
	v_mov_b32_e32 v15, 0
	global_load_dword v15, v15, s[4:5]
	s_waitcnt vmcnt(0)
	v_cmp_ne_u32_e32 vcc, 0, v15
	s_cbranch_vccz .LBB70_43
.LBB70_42:
	s_endpgm
.LBB70_43:
	v_lshl_add_u32 v15, v0, 3, 64
	v_cmp_eq_u32_e32 vcc, 6, v0
	s_and_saveexec_b64 s[4:5], vcc
	s_cbranch_execz .LBB70_45
; %bb.44:
	buffer_load_dword v16, off, s[0:3], 0 offset:40
	buffer_load_dword v17, off, s[0:3], 0 offset:44
	v_mov_b32_e32 v18, 0
	buffer_store_dword v18, off, s[0:3], 0 offset:40
	buffer_store_dword v18, off, s[0:3], 0 offset:44
	s_waitcnt vmcnt(2)
	ds_write_b64 v15, v[16:17]
.LBB70_45:
	s_or_b64 exec, exec, s[4:5]
	s_waitcnt lgkmcnt(0)
	; wave barrier
	buffer_load_dword v19, off, s[0:3], 0 offset:52
	buffer_load_dword v20, off, s[0:3], 0 offset:48
	;; [unrolled: 1-line block ×4, first 2 shown]
	v_mov_b32_e32 v16, 0
	ds_read_b64 v[17:18], v16 offset:112
	v_cmp_lt_u32_e32 vcc, 4, v0
	s_waitcnt vmcnt(3) lgkmcnt(0)
	v_mul_f32_e32 v23, v17, v19
	v_mul_f32_e32 v19, v18, v19
	s_waitcnt vmcnt(2)
	v_fma_f32 v17, v17, v20, -v19
	v_fmac_f32_e32 v23, v18, v20
	v_add_f32_e32 v17, 0, v17
	v_add_f32_e32 v18, 0, v23
	s_waitcnt vmcnt(1)
	v_sub_f32_e32 v17, v21, v17
	s_waitcnt vmcnt(0)
	v_sub_f32_e32 v18, v22, v18
	buffer_store_dword v17, off, s[0:3], 0 offset:40
	buffer_store_dword v18, off, s[0:3], 0 offset:44
	s_and_saveexec_b64 s[4:5], vcc
	s_cbranch_execz .LBB70_47
; %bb.46:
	buffer_load_dword v17, off, s[0:3], 0 offset:32
	buffer_load_dword v18, off, s[0:3], 0 offset:36
	s_waitcnt vmcnt(0)
	ds_write_b64 v15, v[17:18]
	buffer_store_dword v16, off, s[0:3], 0 offset:32
	buffer_store_dword v16, off, s[0:3], 0 offset:36
.LBB70_47:
	s_or_b64 exec, exec, s[4:5]
	s_waitcnt lgkmcnt(0)
	; wave barrier
	buffer_load_dword v20, off, s[0:3], 0 offset:44
	buffer_load_dword v21, off, s[0:3], 0 offset:52
	;; [unrolled: 1-line block ×6, first 2 shown]
	ds_read2_b64 v[16:19], v16 offset0:13 offset1:14
	v_cmp_lt_u32_e32 vcc, 3, v0
	s_waitcnt vmcnt(5) lgkmcnt(0)
	v_mul_f32_e32 v26, v16, v20
	v_mul_f32_e32 v20, v17, v20
	s_waitcnt vmcnt(4)
	v_mul_f32_e32 v27, v18, v21
	v_mul_f32_e32 v21, v19, v21
	s_waitcnt vmcnt(3)
	v_fma_f32 v16, v16, v22, -v20
	v_fmac_f32_e32 v26, v17, v22
	s_waitcnt vmcnt(2)
	v_fma_f32 v17, v18, v23, -v21
	v_add_f32_e32 v16, 0, v16
	v_fmac_f32_e32 v27, v19, v23
	v_add_f32_e32 v18, 0, v26
	v_add_f32_e32 v16, v16, v17
	;; [unrolled: 1-line block ×3, first 2 shown]
	s_waitcnt vmcnt(1)
	v_sub_f32_e32 v16, v24, v16
	s_waitcnt vmcnt(0)
	v_sub_f32_e32 v17, v25, v18
	buffer_store_dword v16, off, s[0:3], 0 offset:32
	buffer_store_dword v17, off, s[0:3], 0 offset:36
	s_and_saveexec_b64 s[4:5], vcc
	s_cbranch_execz .LBB70_49
; %bb.48:
	buffer_load_dword v16, off, s[0:3], 0 offset:24
	buffer_load_dword v17, off, s[0:3], 0 offset:28
	v_mov_b32_e32 v18, 0
	buffer_store_dword v18, off, s[0:3], 0 offset:24
	buffer_store_dword v18, off, s[0:3], 0 offset:28
	s_waitcnt vmcnt(2)
	ds_write_b64 v15, v[16:17]
.LBB70_49:
	s_or_b64 exec, exec, s[4:5]
	s_waitcnt lgkmcnt(0)
	; wave barrier
	buffer_load_dword v23, off, s[0:3], 0 offset:36
	buffer_load_dword v24, off, s[0:3], 0 offset:44
	;; [unrolled: 1-line block ×8, first 2 shown]
	v_mov_b32_e32 v16, 0
	ds_read_b128 v[17:20], v16 offset:96
	ds_read_b64 v[21:22], v16 offset:112
	v_cmp_lt_u32_e32 vcc, 2, v0
	s_waitcnt vmcnt(7) lgkmcnt(1)
	v_mul_f32_e32 v31, v17, v23
	v_mul_f32_e32 v23, v18, v23
	s_waitcnt vmcnt(6)
	v_mul_f32_e32 v32, v19, v24
	v_mul_f32_e32 v24, v20, v24
	s_waitcnt vmcnt(4)
	v_fma_f32 v17, v17, v26, -v23
	s_waitcnt lgkmcnt(0)
	v_mul_f32_e32 v33, v21, v25
	v_mul_f32_e32 v25, v22, v25
	v_fmac_f32_e32 v31, v18, v26
	s_waitcnt vmcnt(3)
	v_fma_f32 v18, v19, v27, -v24
	v_add_f32_e32 v17, 0, v17
	v_fmac_f32_e32 v32, v20, v27
	s_waitcnt vmcnt(2)
	v_fma_f32 v19, v21, v28, -v25
	v_add_f32_e32 v20, 0, v31
	v_add_f32_e32 v17, v17, v18
	v_fmac_f32_e32 v33, v22, v28
	v_add_f32_e32 v20, v20, v32
	v_add_f32_e32 v17, v17, v19
	;; [unrolled: 1-line block ×3, first 2 shown]
	s_waitcnt vmcnt(1)
	v_sub_f32_e32 v17, v29, v17
	s_waitcnt vmcnt(0)
	v_sub_f32_e32 v18, v30, v18
	buffer_store_dword v17, off, s[0:3], 0 offset:24
	buffer_store_dword v18, off, s[0:3], 0 offset:28
	s_and_saveexec_b64 s[4:5], vcc
	s_cbranch_execz .LBB70_51
; %bb.50:
	buffer_load_dword v17, off, s[0:3], 0 offset:16
	buffer_load_dword v18, off, s[0:3], 0 offset:20
	s_waitcnt vmcnt(0)
	ds_write_b64 v15, v[17:18]
	buffer_store_dword v16, off, s[0:3], 0 offset:16
	buffer_store_dword v16, off, s[0:3], 0 offset:20
.LBB70_51:
	s_or_b64 exec, exec, s[4:5]
	s_waitcnt lgkmcnt(0)
	; wave barrier
	buffer_load_dword v25, off, s[0:3], 0 offset:28
	buffer_load_dword v26, off, s[0:3], 0 offset:36
	;; [unrolled: 1-line block ×10, first 2 shown]
	ds_read2_b64 v[17:20], v16 offset0:11 offset1:12
	ds_read2_b64 v[21:24], v16 offset0:13 offset1:14
	v_cmp_lt_u32_e32 vcc, 1, v0
	s_waitcnt vmcnt(9) lgkmcnt(1)
	v_mul_f32_e32 v16, v17, v25
	v_mul_f32_e32 v25, v18, v25
	s_waitcnt vmcnt(8)
	v_mul_f32_e32 v35, v19, v26
	v_mul_f32_e32 v26, v20, v26
	s_waitcnt vmcnt(5)
	v_fma_f32 v17, v17, v29, -v25
	s_waitcnt lgkmcnt(0)
	v_mul_f32_e32 v36, v21, v27
	v_mul_f32_e32 v27, v22, v27
	v_fmac_f32_e32 v16, v18, v29
	s_waitcnt vmcnt(4)
	v_fma_f32 v18, v19, v30, -v26
	v_add_f32_e32 v17, 0, v17
	v_mul_f32_e32 v37, v23, v28
	v_mul_f32_e32 v28, v24, v28
	v_fmac_f32_e32 v35, v20, v30
	s_waitcnt vmcnt(3)
	v_fma_f32 v19, v21, v31, -v27
	v_add_f32_e32 v16, 0, v16
	v_add_f32_e32 v17, v17, v18
	v_fmac_f32_e32 v36, v22, v31
	s_waitcnt vmcnt(2)
	v_fma_f32 v20, v23, v32, -v28
	v_add_f32_e32 v16, v16, v35
	v_add_f32_e32 v17, v17, v19
	v_fmac_f32_e32 v37, v24, v32
	v_add_f32_e32 v16, v16, v36
	v_add_f32_e32 v17, v17, v20
	;; [unrolled: 1-line block ×3, first 2 shown]
	s_waitcnt vmcnt(1)
	v_sub_f32_e32 v17, v33, v17
	s_waitcnt vmcnt(0)
	v_sub_f32_e32 v16, v34, v16
	buffer_store_dword v17, off, s[0:3], 0 offset:16
	buffer_store_dword v16, off, s[0:3], 0 offset:20
	s_and_saveexec_b64 s[4:5], vcc
	s_cbranch_execz .LBB70_53
; %bb.52:
	buffer_load_dword v16, off, s[0:3], 0 offset:8
	buffer_load_dword v17, off, s[0:3], 0 offset:12
	v_mov_b32_e32 v18, 0
	buffer_store_dword v18, off, s[0:3], 0 offset:8
	buffer_store_dword v18, off, s[0:3], 0 offset:12
	s_waitcnt vmcnt(2)
	ds_write_b64 v15, v[16:17]
.LBB70_53:
	s_or_b64 exec, exec, s[4:5]
	s_waitcnt lgkmcnt(0)
	; wave barrier
	buffer_load_dword v27, off, s[0:3], 0 offset:20
	buffer_load_dword v28, off, s[0:3], 0 offset:28
	;; [unrolled: 1-line block ×12, first 2 shown]
	v_mov_b32_e32 v16, 0
	ds_read_b128 v[17:20], v16 offset:80
	ds_read_b128 v[21:24], v16 offset:96
	ds_read_b64 v[25:26], v16 offset:112
	v_cmp_ne_u32_e32 vcc, 0, v0
	s_waitcnt vmcnt(11) lgkmcnt(2)
	v_mul_f32_e32 v39, v17, v27
	v_mul_f32_e32 v27, v18, v27
	s_waitcnt vmcnt(10)
	v_mul_f32_e32 v40, v19, v28
	v_mul_f32_e32 v28, v20, v28
	s_waitcnt vmcnt(9) lgkmcnt(1)
	v_mul_f32_e32 v41, v21, v29
	s_waitcnt vmcnt(6)
	v_fma_f32 v17, v17, v32, -v27
	v_mul_f32_e32 v29, v22, v29
	v_fmac_f32_e32 v39, v18, v32
	s_waitcnt vmcnt(5)
	v_fma_f32 v18, v19, v33, -v28
	v_add_f32_e32 v17, 0, v17
	v_mul_f32_e32 v42, v23, v30
	v_mul_f32_e32 v30, v24, v30
	v_fmac_f32_e32 v40, v20, v33
	s_waitcnt vmcnt(4)
	v_fmac_f32_e32 v41, v22, v34
	v_fma_f32 v19, v21, v34, -v29
	v_add_f32_e32 v22, 0, v39
	v_add_f32_e32 v17, v17, v18
	s_waitcnt lgkmcnt(0)
	v_mul_f32_e32 v43, v25, v31
	v_mul_f32_e32 v31, v26, v31
	s_waitcnt vmcnt(3)
	v_fma_f32 v20, v23, v35, -v30
	v_add_f32_e32 v22, v22, v40
	v_add_f32_e32 v17, v17, v19
	v_fmac_f32_e32 v42, v24, v35
	s_waitcnt vmcnt(2)
	v_fma_f32 v21, v25, v36, -v31
	v_add_f32_e32 v18, v22, v41
	v_add_f32_e32 v17, v17, v20
	v_fmac_f32_e32 v43, v26, v36
	v_add_f32_e32 v18, v18, v42
	v_add_f32_e32 v17, v17, v21
	;; [unrolled: 1-line block ×3, first 2 shown]
	s_waitcnt vmcnt(1)
	v_sub_f32_e32 v17, v37, v17
	s_waitcnt vmcnt(0)
	v_sub_f32_e32 v18, v38, v18
	buffer_store_dword v17, off, s[0:3], 0 offset:8
	buffer_store_dword v18, off, s[0:3], 0 offset:12
	s_and_saveexec_b64 s[4:5], vcc
	s_cbranch_execz .LBB70_55
; %bb.54:
	buffer_load_dword v17, off, s[0:3], 0
	buffer_load_dword v18, off, s[0:3], 0 offset:4
	s_waitcnt vmcnt(0)
	ds_write_b64 v15, v[17:18]
	buffer_store_dword v16, off, s[0:3], 0
	buffer_store_dword v16, off, s[0:3], 0 offset:4
.LBB70_55:
	s_or_b64 exec, exec, s[4:5]
	s_waitcnt lgkmcnt(0)
	; wave barrier
	buffer_load_dword v29, off, s[0:3], 0 offset:12
	buffer_load_dword v30, off, s[0:3], 0 offset:20
	;; [unrolled: 1-line block ×12, first 2 shown]
	buffer_load_dword v39, off, s[0:3], 0
	buffer_load_dword v40, off, s[0:3], 0 offset:4
	ds_read2_b64 v[17:20], v16 offset0:9 offset1:10
	ds_read2_b64 v[21:24], v16 offset0:11 offset1:12
	;; [unrolled: 1-line block ×3, first 2 shown]
	s_and_b64 vcc, exec, s[14:15]
	s_waitcnt vmcnt(13) lgkmcnt(2)
	v_mul_f32_e32 v16, v17, v29
	v_mul_f32_e32 v29, v18, v29
	s_waitcnt vmcnt(12)
	v_mul_f32_e32 v41, v19, v30
	v_mul_f32_e32 v30, v20, v30
	s_waitcnt vmcnt(11) lgkmcnt(1)
	v_mul_f32_e32 v42, v21, v31
	v_mul_f32_e32 v31, v22, v31
	s_waitcnt vmcnt(7)
	v_fma_f32 v17, v17, v34, -v29
	v_fmac_f32_e32 v16, v18, v34
	s_waitcnt vmcnt(6)
	v_fma_f32 v18, v19, v35, -v30
	v_add_f32_e32 v17, 0, v17
	v_mul_f32_e32 v43, v23, v32
	v_mul_f32_e32 v32, v24, v32
	v_fmac_f32_e32 v41, v20, v35
	s_waitcnt vmcnt(5)
	v_fma_f32 v19, v21, v36, -v31
	v_add_f32_e32 v16, 0, v16
	v_add_f32_e32 v17, v17, v18
	s_waitcnt lgkmcnt(0)
	v_mul_f32_e32 v46, v26, v0
	v_fmac_f32_e32 v42, v22, v36
	s_waitcnt vmcnt(4)
	v_fma_f32 v20, v23, v37, -v32
	v_add_f32_e32 v16, v16, v41
	v_add_f32_e32 v17, v17, v19
	v_mul_f32_e32 v44, v25, v0
	v_mul_f32_e32 v45, v27, v33
	;; [unrolled: 1-line block ×3, first 2 shown]
	v_fmac_f32_e32 v43, v24, v37
	s_waitcnt vmcnt(3)
	v_fma_f32 v21, v25, v15, -v46
	v_add_f32_e32 v16, v16, v42
	v_add_f32_e32 v17, v17, v20
	v_fmac_f32_e32 v44, v26, v15
	s_waitcnt vmcnt(2)
	v_fma_f32 v22, v27, v38, -v33
	v_add_f32_e32 v16, v16, v43
	v_add_f32_e32 v17, v17, v21
	v_fmac_f32_e32 v45, v28, v38
	v_add_f32_e32 v16, v16, v44
	v_add_f32_e32 v17, v17, v22
	;; [unrolled: 1-line block ×3, first 2 shown]
	s_waitcnt vmcnt(1)
	v_sub_f32_e32 v17, v39, v17
	s_waitcnt vmcnt(0)
	v_sub_f32_e32 v16, v40, v16
	buffer_store_dword v17, off, s[0:3], 0
	buffer_store_dword v16, off, s[0:3], 0 offset:4
	s_cbranch_vccz .LBB70_68
; %bb.56:
	v_mov_b32_e32 v16, 0
	global_load_dword v17, v16, s[12:13] offset:20
	s_waitcnt vmcnt(0)
	v_add_u32_e32 v17, -1, v17
	v_cmp_ne_u32_e32 vcc, 5, v17
	s_cbranch_vccz .LBB70_58
; %bb.57:
	v_lshlrev_b32_e32 v17, 3, v17
	buffer_load_dword v18, v17, s[0:3], 0 offen
	buffer_load_dword v19, v17, s[0:3], 0 offen offset:4
	s_waitcnt vmcnt(1)
	buffer_store_dword v18, off, s[0:3], 0 offset:40
	s_waitcnt vmcnt(1)
	buffer_store_dword v19, off, s[0:3], 0 offset:44
	buffer_store_dword v15, v17, s[0:3], 0 offen
	buffer_store_dword v0, v17, s[0:3], 0 offen offset:4
.LBB70_58:
	global_load_dword v0, v16, s[12:13] offset:16
	s_waitcnt vmcnt(0)
	v_add_u32_e32 v0, -1, v0
	v_cmp_eq_u32_e32 vcc, 4, v0
	s_cbranch_vccnz .LBB70_60
; %bb.59:
	v_lshlrev_b32_e32 v0, 3, v0
	buffer_load_dword v15, v0, s[0:3], 0 offen
	buffer_load_dword v16, v0, s[0:3], 0 offen offset:4
	buffer_load_dword v17, off, s[0:3], 0 offset:36
	buffer_load_dword v18, off, s[0:3], 0 offset:32
	s_waitcnt vmcnt(3)
	buffer_store_dword v15, off, s[0:3], 0 offset:32
	s_waitcnt vmcnt(3)
	buffer_store_dword v16, off, s[0:3], 0 offset:36
	s_waitcnt vmcnt(3)
	buffer_store_dword v17, v0, s[0:3], 0 offen offset:4
	s_waitcnt vmcnt(3)
	buffer_store_dword v18, v0, s[0:3], 0 offen
.LBB70_60:
	v_mov_b32_e32 v0, 0
	global_load_dword v15, v0, s[12:13] offset:12
	s_waitcnt vmcnt(0)
	v_add_u32_e32 v15, -1, v15
	v_cmp_eq_u32_e32 vcc, 3, v15
	s_cbranch_vccnz .LBB70_62
; %bb.61:
	v_lshlrev_b32_e32 v15, 3, v15
	buffer_load_dword v16, v15, s[0:3], 0 offen
	buffer_load_dword v17, v15, s[0:3], 0 offen offset:4
	buffer_load_dword v18, off, s[0:3], 0 offset:24
	buffer_load_dword v19, off, s[0:3], 0 offset:28
	s_waitcnt vmcnt(3)
	buffer_store_dword v16, off, s[0:3], 0 offset:24
	s_waitcnt vmcnt(3)
	buffer_store_dword v17, off, s[0:3], 0 offset:28
	s_waitcnt vmcnt(3)
	buffer_store_dword v18, v15, s[0:3], 0 offen
	s_waitcnt vmcnt(3)
	buffer_store_dword v19, v15, s[0:3], 0 offen offset:4
.LBB70_62:
	global_load_dword v0, v0, s[12:13] offset:8
	s_waitcnt vmcnt(0)
	v_add_u32_e32 v0, -1, v0
	v_cmp_eq_u32_e32 vcc, 2, v0
	s_cbranch_vccnz .LBB70_64
; %bb.63:
	v_lshlrev_b32_e32 v0, 3, v0
	buffer_load_dword v15, v0, s[0:3], 0 offen
	buffer_load_dword v16, v0, s[0:3], 0 offen offset:4
	buffer_load_dword v17, off, s[0:3], 0 offset:20
	buffer_load_dword v18, off, s[0:3], 0 offset:16
	s_waitcnt vmcnt(3)
	buffer_store_dword v15, off, s[0:3], 0 offset:16
	s_waitcnt vmcnt(3)
	buffer_store_dword v16, off, s[0:3], 0 offset:20
	s_waitcnt vmcnt(3)
	buffer_store_dword v17, v0, s[0:3], 0 offen offset:4
	s_waitcnt vmcnt(3)
	buffer_store_dword v18, v0, s[0:3], 0 offen
.LBB70_64:
	v_mov_b32_e32 v0, 0
	global_load_dword v15, v0, s[12:13] offset:4
	s_waitcnt vmcnt(0)
	v_add_u32_e32 v15, -1, v15
	v_cmp_eq_u32_e32 vcc, 1, v15
	s_cbranch_vccnz .LBB70_66
; %bb.65:
	v_lshlrev_b32_e32 v15, 3, v15
	buffer_load_dword v16, v15, s[0:3], 0 offen
	buffer_load_dword v17, v15, s[0:3], 0 offen offset:4
	buffer_load_dword v18, off, s[0:3], 0 offset:8
	buffer_load_dword v19, off, s[0:3], 0 offset:12
	s_waitcnt vmcnt(3)
	buffer_store_dword v16, off, s[0:3], 0 offset:8
	s_waitcnt vmcnt(3)
	buffer_store_dword v17, off, s[0:3], 0 offset:12
	s_waitcnt vmcnt(3)
	buffer_store_dword v18, v15, s[0:3], 0 offen
	s_waitcnt vmcnt(3)
	buffer_store_dword v19, v15, s[0:3], 0 offen offset:4
.LBB70_66:
	global_load_dword v0, v0, s[12:13]
	s_waitcnt vmcnt(0)
	v_add_u32_e32 v0, -1, v0
	v_cmp_eq_u32_e32 vcc, 0, v0
	s_cbranch_vccnz .LBB70_68
; %bb.67:
	v_lshlrev_b32_e32 v0, 3, v0
	buffer_load_dword v15, v0, s[0:3], 0 offen
	buffer_load_dword v16, v0, s[0:3], 0 offen offset:4
	buffer_load_dword v17, off, s[0:3], 0 offset:4
	buffer_load_dword v18, off, s[0:3], 0
	s_waitcnt vmcnt(3)
	buffer_store_dword v15, off, s[0:3], 0
	s_waitcnt vmcnt(3)
	buffer_store_dword v16, off, s[0:3], 0 offset:4
	s_waitcnt vmcnt(3)
	buffer_store_dword v17, v0, s[0:3], 0 offen offset:4
	s_waitcnt vmcnt(3)
	buffer_store_dword v18, v0, s[0:3], 0 offen
.LBB70_68:
	buffer_load_dword v15, off, s[0:3], 0
	buffer_load_dword v16, off, s[0:3], 0 offset:4
	s_waitcnt vmcnt(0)
	flat_store_dwordx2 v[1:2], v[15:16]
	buffer_load_dword v0, off, s[0:3], 0 offset:8
	s_nop 0
	buffer_load_dword v1, off, s[0:3], 0 offset:12
	s_waitcnt vmcnt(0)
	flat_store_dwordx2 v[3:4], v[0:1]
	buffer_load_dword v0, off, s[0:3], 0 offset:16
	s_nop 0
	;; [unrolled: 5-line block ×6, first 2 shown]
	buffer_load_dword v1, off, s[0:3], 0 offset:52
	s_waitcnt vmcnt(0)
	flat_store_dwordx2 v[13:14], v[0:1]
	s_endpgm
	.section	.rodata,"a",@progbits
	.p2align	6, 0x0
	.amdhsa_kernel _ZN9rocsolver6v33100L18getri_kernel_smallILi7E19rocblas_complex_numIfEPKPS3_EEvT1_iilPiilS8_bb
		.amdhsa_group_segment_fixed_size 120
		.amdhsa_private_segment_fixed_size 64
		.amdhsa_kernarg_size 60
		.amdhsa_user_sgpr_count 6
		.amdhsa_user_sgpr_private_segment_buffer 1
		.amdhsa_user_sgpr_dispatch_ptr 0
		.amdhsa_user_sgpr_queue_ptr 0
		.amdhsa_user_sgpr_kernarg_segment_ptr 1
		.amdhsa_user_sgpr_dispatch_id 0
		.amdhsa_user_sgpr_flat_scratch_init 0
		.amdhsa_user_sgpr_private_segment_size 0
		.amdhsa_uses_dynamic_stack 0
		.amdhsa_system_sgpr_private_segment_wavefront_offset 1
		.amdhsa_system_sgpr_workgroup_id_x 1
		.amdhsa_system_sgpr_workgroup_id_y 0
		.amdhsa_system_sgpr_workgroup_id_z 0
		.amdhsa_system_sgpr_workgroup_info 0
		.amdhsa_system_vgpr_workitem_id 0
		.amdhsa_next_free_vgpr 47
		.amdhsa_next_free_sgpr 21
		.amdhsa_reserve_vcc 1
		.amdhsa_reserve_flat_scratch 0
		.amdhsa_float_round_mode_32 0
		.amdhsa_float_round_mode_16_64 0
		.amdhsa_float_denorm_mode_32 3
		.amdhsa_float_denorm_mode_16_64 3
		.amdhsa_dx10_clamp 1
		.amdhsa_ieee_mode 1
		.amdhsa_fp16_overflow 0
		.amdhsa_exception_fp_ieee_invalid_op 0
		.amdhsa_exception_fp_denorm_src 0
		.amdhsa_exception_fp_ieee_div_zero 0
		.amdhsa_exception_fp_ieee_overflow 0
		.amdhsa_exception_fp_ieee_underflow 0
		.amdhsa_exception_fp_ieee_inexact 0
		.amdhsa_exception_int_div_zero 0
	.end_amdhsa_kernel
	.section	.text._ZN9rocsolver6v33100L18getri_kernel_smallILi7E19rocblas_complex_numIfEPKPS3_EEvT1_iilPiilS8_bb,"axG",@progbits,_ZN9rocsolver6v33100L18getri_kernel_smallILi7E19rocblas_complex_numIfEPKPS3_EEvT1_iilPiilS8_bb,comdat
.Lfunc_end70:
	.size	_ZN9rocsolver6v33100L18getri_kernel_smallILi7E19rocblas_complex_numIfEPKPS3_EEvT1_iilPiilS8_bb, .Lfunc_end70-_ZN9rocsolver6v33100L18getri_kernel_smallILi7E19rocblas_complex_numIfEPKPS3_EEvT1_iilPiilS8_bb
                                        ; -- End function
	.set _ZN9rocsolver6v33100L18getri_kernel_smallILi7E19rocblas_complex_numIfEPKPS3_EEvT1_iilPiilS8_bb.num_vgpr, 47
	.set _ZN9rocsolver6v33100L18getri_kernel_smallILi7E19rocblas_complex_numIfEPKPS3_EEvT1_iilPiilS8_bb.num_agpr, 0
	.set _ZN9rocsolver6v33100L18getri_kernel_smallILi7E19rocblas_complex_numIfEPKPS3_EEvT1_iilPiilS8_bb.numbered_sgpr, 21
	.set _ZN9rocsolver6v33100L18getri_kernel_smallILi7E19rocblas_complex_numIfEPKPS3_EEvT1_iilPiilS8_bb.num_named_barrier, 0
	.set _ZN9rocsolver6v33100L18getri_kernel_smallILi7E19rocblas_complex_numIfEPKPS3_EEvT1_iilPiilS8_bb.private_seg_size, 64
	.set _ZN9rocsolver6v33100L18getri_kernel_smallILi7E19rocblas_complex_numIfEPKPS3_EEvT1_iilPiilS8_bb.uses_vcc, 1
	.set _ZN9rocsolver6v33100L18getri_kernel_smallILi7E19rocblas_complex_numIfEPKPS3_EEvT1_iilPiilS8_bb.uses_flat_scratch, 0
	.set _ZN9rocsolver6v33100L18getri_kernel_smallILi7E19rocblas_complex_numIfEPKPS3_EEvT1_iilPiilS8_bb.has_dyn_sized_stack, 0
	.set _ZN9rocsolver6v33100L18getri_kernel_smallILi7E19rocblas_complex_numIfEPKPS3_EEvT1_iilPiilS8_bb.has_recursion, 0
	.set _ZN9rocsolver6v33100L18getri_kernel_smallILi7E19rocblas_complex_numIfEPKPS3_EEvT1_iilPiilS8_bb.has_indirect_call, 0
	.section	.AMDGPU.csdata,"",@progbits
; Kernel info:
; codeLenInByte = 5320
; TotalNumSgprs: 25
; NumVgprs: 47
; ScratchSize: 64
; MemoryBound: 0
; FloatMode: 240
; IeeeMode: 1
; LDSByteSize: 120 bytes/workgroup (compile time only)
; SGPRBlocks: 3
; VGPRBlocks: 11
; NumSGPRsForWavesPerEU: 25
; NumVGPRsForWavesPerEU: 47
; Occupancy: 5
; WaveLimiterHint : 1
; COMPUTE_PGM_RSRC2:SCRATCH_EN: 1
; COMPUTE_PGM_RSRC2:USER_SGPR: 6
; COMPUTE_PGM_RSRC2:TRAP_HANDLER: 0
; COMPUTE_PGM_RSRC2:TGID_X_EN: 1
; COMPUTE_PGM_RSRC2:TGID_Y_EN: 0
; COMPUTE_PGM_RSRC2:TGID_Z_EN: 0
; COMPUTE_PGM_RSRC2:TIDIG_COMP_CNT: 0
	.section	.text._ZN9rocsolver6v33100L18getri_kernel_smallILi8E19rocblas_complex_numIfEPKPS3_EEvT1_iilPiilS8_bb,"axG",@progbits,_ZN9rocsolver6v33100L18getri_kernel_smallILi8E19rocblas_complex_numIfEPKPS3_EEvT1_iilPiilS8_bb,comdat
	.globl	_ZN9rocsolver6v33100L18getri_kernel_smallILi8E19rocblas_complex_numIfEPKPS3_EEvT1_iilPiilS8_bb ; -- Begin function _ZN9rocsolver6v33100L18getri_kernel_smallILi8E19rocblas_complex_numIfEPKPS3_EEvT1_iilPiilS8_bb
	.p2align	8
	.type	_ZN9rocsolver6v33100L18getri_kernel_smallILi8E19rocblas_complex_numIfEPKPS3_EEvT1_iilPiilS8_bb,@function
_ZN9rocsolver6v33100L18getri_kernel_smallILi8E19rocblas_complex_numIfEPKPS3_EEvT1_iilPiilS8_bb: ; @_ZN9rocsolver6v33100L18getri_kernel_smallILi8E19rocblas_complex_numIfEPKPS3_EEvT1_iilPiilS8_bb
; %bb.0:
	s_add_u32 s0, s0, s7
	s_addc_u32 s1, s1, 0
	v_cmp_gt_u32_e32 vcc, 8, v0
	s_and_saveexec_b64 s[8:9], vcc
	s_cbranch_execz .LBB71_46
; %bb.1:
	s_load_dword s18, s[4:5], 0x38
	s_load_dwordx2 s[12:13], s[4:5], 0x0
	s_load_dwordx4 s[8:11], s[4:5], 0x28
	s_waitcnt lgkmcnt(0)
	s_bitcmp1_b32 s18, 8
	s_cselect_b64 s[14:15], -1, 0
	s_ashr_i32 s7, s6, 31
	s_lshl_b64 s[16:17], s[6:7], 3
	s_add_u32 s12, s12, s16
	s_addc_u32 s13, s13, s17
	s_load_dwordx2 s[16:17], s[12:13], 0x0
	s_bfe_u32 s12, s18, 0x10008
	s_cmp_eq_u32 s12, 0
                                        ; implicit-def: $sgpr12_sgpr13
	s_cbranch_scc1 .LBB71_3
; %bb.2:
	s_load_dword s12, s[4:5], 0x20
	s_load_dwordx2 s[18:19], s[4:5], 0x18
	s_mul_i32 s13, s8, s7
	s_mul_hi_u32 s20, s8, s6
	s_add_i32 s20, s20, s13
	s_mul_i32 s9, s9, s6
	s_add_i32 s9, s20, s9
	s_mul_i32 s8, s8, s6
	s_waitcnt lgkmcnt(0)
	s_ashr_i32 s13, s12, 31
	s_lshl_b64 s[8:9], s[8:9], 2
	s_add_u32 s18, s18, s8
	s_addc_u32 s19, s19, s9
	s_lshl_b64 s[8:9], s[12:13], 2
	s_add_u32 s12, s18, s8
	s_addc_u32 s13, s19, s9
.LBB71_3:
	s_load_dwordx2 s[8:9], s[4:5], 0x8
	s_load_dword s18, s[4:5], 0x38
	v_lshlrev_b32_e32 v19, 3, v0
	s_waitcnt lgkmcnt(0)
	s_ashr_i32 s5, s8, 31
	s_mov_b32 s4, s8
	s_lshl_b64 s[4:5], s[4:5], 3
	s_add_u32 s8, s16, s4
	s_addc_u32 s16, s17, s5
	v_mov_b32_e32 v2, s16
	v_add_co_u32_e32 v1, vcc, s8, v19
	v_addc_co_u32_e32 v2, vcc, 0, v2, vcc
	flat_load_dwordx2 v[5:6], v[1:2]
	s_mov_b32 s4, s9
	s_ashr_i32 s5, s9, 31
	s_lshl_b64 s[4:5], s[4:5], 3
	v_mov_b32_e32 v4, s5
	v_add_co_u32_e32 v3, vcc, s4, v1
	v_addc_co_u32_e32 v4, vcc, v2, v4, vcc
	s_add_i32 s4, s9, s9
	v_add_u32_e32 v9, s4, v0
	v_ashrrev_i32_e32 v10, 31, v9
	v_mov_b32_e32 v11, s16
	v_add_u32_e32 v12, s9, v9
	v_ashrrev_i32_e32 v13, 31, v12
	v_mov_b32_e32 v14, s16
	v_mov_b32_e32 v15, s16
	;; [unrolled: 1-line block ×4, first 2 shown]
	s_bitcmp0_b32 s18, 0
	s_waitcnt vmcnt(0) lgkmcnt(0)
	buffer_store_dword v6, off, s[0:3], 0 offset:4
	buffer_store_dword v5, off, s[0:3], 0
	flat_load_dwordx2 v[7:8], v[3:4]
	v_lshlrev_b64 v[5:6], 3, v[9:10]
	s_waitcnt vmcnt(0) lgkmcnt(0)
	buffer_store_dword v8, off, s[0:3], 0 offset:12
	buffer_store_dword v7, off, s[0:3], 0 offset:8
	v_add_co_u32_e32 v5, vcc, s8, v5
	v_addc_co_u32_e32 v6, vcc, v11, v6, vcc
	flat_load_dwordx2 v[10:11], v[5:6]
	v_lshlrev_b64 v[7:8], 3, v[12:13]
	s_waitcnt vmcnt(0) lgkmcnt(0)
	buffer_store_dword v11, off, s[0:3], 0 offset:20
	buffer_store_dword v10, off, s[0:3], 0 offset:16
	v_add_co_u32_e32 v7, vcc, s8, v7
	v_addc_co_u32_e32 v8, vcc, v14, v8, vcc
	flat_load_dwordx2 v[13:14], v[7:8]
	v_add_u32_e32 v11, s9, v12
	v_ashrrev_i32_e32 v12, 31, v11
	v_lshlrev_b64 v[9:10], 3, v[11:12]
	s_waitcnt vmcnt(0) lgkmcnt(0)
	buffer_store_dword v14, off, s[0:3], 0 offset:28
	buffer_store_dword v13, off, s[0:3], 0 offset:24
	v_add_co_u32_e32 v9, vcc, s8, v9
	v_addc_co_u32_e32 v10, vcc, v15, v10, vcc
	flat_load_dwordx2 v[13:14], v[9:10]
	v_add_u32_e32 v15, s9, v11
	v_ashrrev_i32_e32 v16, 31, v15
	v_lshlrev_b64 v[11:12], 3, v[15:16]
	v_add_u32_e32 v20, s9, v15
	v_add_co_u32_e32 v11, vcc, s8, v11
	v_addc_co_u32_e32 v12, vcc, v17, v12, vcc
	v_ashrrev_i32_e32 v21, 31, v20
	v_add_u32_e32 v15, s9, v20
	s_waitcnt vmcnt(0) lgkmcnt(0)
	buffer_store_dword v14, off, s[0:3], 0 offset:36
	buffer_store_dword v13, off, s[0:3], 0 offset:32
	flat_load_dwordx2 v[16:17], v[11:12]
	v_lshlrev_b64 v[13:14], 3, v[20:21]
	v_mov_b32_e32 v21, s16
	v_add_co_u32_e32 v13, vcc, s8, v13
	v_addc_co_u32_e32 v14, vcc, v18, v14, vcc
	s_waitcnt vmcnt(0) lgkmcnt(0)
	buffer_store_dword v17, off, s[0:3], 0 offset:44
	buffer_store_dword v16, off, s[0:3], 0 offset:40
	flat_load_dwordx2 v[17:18], v[13:14]
	v_ashrrev_i32_e32 v16, 31, v15
	v_lshlrev_b64 v[15:16], 3, v[15:16]
	s_waitcnt vmcnt(0) lgkmcnt(0)
	buffer_store_dword v18, off, s[0:3], 0 offset:52
	buffer_store_dword v17, off, s[0:3], 0 offset:48
	v_add_co_u32_e32 v15, vcc, s8, v15
	v_addc_co_u32_e32 v16, vcc, v21, v16, vcc
	flat_load_dwordx2 v[17:18], v[15:16]
	s_mov_b64 s[8:9], -1
	s_waitcnt vmcnt(0) lgkmcnt(0)
	buffer_store_dword v18, off, s[0:3], 0 offset:60
	buffer_store_dword v17, off, s[0:3], 0 offset:56
	s_cbranch_scc1 .LBB71_44
; %bb.4:
	v_cmp_eq_u32_e64 s[4:5], 0, v0
	s_and_saveexec_b64 s[8:9], s[4:5]
; %bb.5:
	v_mov_b32_e32 v17, 0
	ds_write_b32 v17, v17 offset:128
; %bb.6:
	s_or_b64 exec, exec, s[8:9]
	v_mov_b32_e32 v17, 0
	v_lshl_add_u32 v21, v0, 3, v17
	s_waitcnt lgkmcnt(0)
	; wave barrier
	buffer_load_dword v17, v21, s[0:3], 0 offen
	buffer_load_dword v18, v21, s[0:3], 0 offen offset:4
	s_waitcnt vmcnt(1)
	v_cmp_eq_f32_e32 vcc, 0, v17
	s_waitcnt vmcnt(0)
	v_cmp_eq_f32_e64 s[8:9], 0, v18
	s_and_b64 s[8:9], vcc, s[8:9]
	s_and_saveexec_b64 s[16:17], s[8:9]
	s_cbranch_execz .LBB71_10
; %bb.7:
	v_mov_b32_e32 v17, 0
	ds_read_b32 v20, v17 offset:128
	v_add_u32_e32 v18, 1, v0
	s_waitcnt lgkmcnt(0)
	v_readfirstlane_b32 s8, v20
	s_cmp_eq_u32 s8, 0
	s_cselect_b64 s[18:19], -1, 0
	v_cmp_gt_i32_e32 vcc, s8, v18
	s_or_b64 s[18:19], s[18:19], vcc
	s_and_b64 exec, exec, s[18:19]
	s_cbranch_execz .LBB71_10
; %bb.8:
	s_mov_b64 s[18:19], 0
	v_mov_b32_e32 v20, s8
.LBB71_9:                               ; =>This Inner Loop Header: Depth=1
	ds_cmpst_rtn_b32 v20, v17, v20, v18 offset:128
	s_waitcnt lgkmcnt(0)
	v_cmp_ne_u32_e32 vcc, 0, v20
	v_cmp_le_i32_e64 s[8:9], v20, v18
	s_and_b64 s[8:9], vcc, s[8:9]
	s_and_b64 s[8:9], exec, s[8:9]
	s_or_b64 s[18:19], s[8:9], s[18:19]
	s_andn2_b64 exec, exec, s[18:19]
	s_cbranch_execnz .LBB71_9
.LBB71_10:
	s_or_b64 exec, exec, s[16:17]
	v_mov_b32_e32 v18, 0
	; wave barrier
	ds_read_b32 v17, v18 offset:128
	s_and_saveexec_b64 s[8:9], s[4:5]
	s_cbranch_execz .LBB71_12
; %bb.11:
	s_lshl_b64 s[16:17], s[6:7], 2
	s_add_u32 s16, s10, s16
	s_addc_u32 s17, s11, s17
	s_waitcnt lgkmcnt(0)
	global_store_dword v18, v17, s[16:17]
.LBB71_12:
	s_or_b64 exec, exec, s[8:9]
	s_waitcnt lgkmcnt(0)
	v_cmp_ne_u32_e32 vcc, 0, v17
	s_mov_b64 s[8:9], 0
	s_cbranch_vccnz .LBB71_44
; %bb.13:
	buffer_load_dword v18, v21, s[0:3], 0 offen
	buffer_load_dword v20, v21, s[0:3], 0 offen offset:4
                                        ; implicit-def: $vgpr23
                                        ; implicit-def: $vgpr22
                                        ; implicit-def: $vgpr17
	s_waitcnt vmcnt(0)
	v_cmp_ngt_f32_e64 s[8:9], |v18|, |v20|
	s_and_saveexec_b64 s[16:17], s[8:9]
	s_xor_b64 s[8:9], exec, s[16:17]
	s_cbranch_execz .LBB71_15
; %bb.14:
	v_div_scale_f32 v17, s[16:17], v20, v20, v18
	v_div_scale_f32 v22, vcc, v18, v20, v18
	v_rcp_f32_e32 v23, v17
	v_fma_f32 v24, -v17, v23, 1.0
	v_fmac_f32_e32 v23, v24, v23
	v_mul_f32_e32 v24, v22, v23
	v_fma_f32 v25, -v17, v24, v22
	v_fmac_f32_e32 v24, v25, v23
	v_fma_f32 v17, -v17, v24, v22
	v_div_fmas_f32 v17, v17, v23, v24
	v_div_fixup_f32 v17, v17, v20, v18
	v_fmac_f32_e32 v20, v18, v17
	v_div_scale_f32 v18, s[16:17], v20, v20, 1.0
	v_div_scale_f32 v22, vcc, 1.0, v20, 1.0
	v_rcp_f32_e32 v23, v18
	v_fma_f32 v24, -v18, v23, 1.0
	v_fmac_f32_e32 v23, v24, v23
	v_mul_f32_e32 v24, v22, v23
	v_fma_f32 v25, -v18, v24, v22
	v_fmac_f32_e32 v24, v25, v23
	v_fma_f32 v18, -v18, v24, v22
	v_div_fmas_f32 v18, v18, v23, v24
	v_div_fixup_f32 v18, v18, v20, 1.0
	v_mul_f32_e32 v23, v17, v18
	v_xor_b32_e32 v22, 0x80000000, v18
	v_xor_b32_e32 v17, 0x80000000, v23
                                        ; implicit-def: $vgpr18
                                        ; implicit-def: $vgpr20
.LBB71_15:
	s_andn2_saveexec_b64 s[8:9], s[8:9]
	s_cbranch_execz .LBB71_17
; %bb.16:
	v_div_scale_f32 v17, s[16:17], v18, v18, v20
	v_div_scale_f32 v22, vcc, v20, v18, v20
	v_rcp_f32_e32 v23, v17
	v_fma_f32 v24, -v17, v23, 1.0
	v_fmac_f32_e32 v23, v24, v23
	v_mul_f32_e32 v24, v22, v23
	v_fma_f32 v25, -v17, v24, v22
	v_fmac_f32_e32 v24, v25, v23
	v_fma_f32 v17, -v17, v24, v22
	v_div_fmas_f32 v17, v17, v23, v24
	v_div_fixup_f32 v22, v17, v18, v20
	v_fmac_f32_e32 v18, v20, v22
	v_div_scale_f32 v17, s[16:17], v18, v18, 1.0
	v_div_scale_f32 v20, vcc, 1.0, v18, 1.0
	v_rcp_f32_e32 v23, v17
	v_fma_f32 v24, -v17, v23, 1.0
	v_fmac_f32_e32 v23, v24, v23
	v_mul_f32_e32 v24, v20, v23
	v_fma_f32 v25, -v17, v24, v20
	v_fmac_f32_e32 v24, v25, v23
	v_fma_f32 v17, -v17, v24, v20
	v_div_fmas_f32 v17, v17, v23, v24
	v_div_fixup_f32 v23, v17, v18, 1.0
	v_xor_b32_e32 v17, 0x80000000, v23
	v_mul_f32_e64 v22, v22, -v23
.LBB71_17:
	s_or_b64 exec, exec, s[8:9]
	buffer_store_dword v23, v21, s[0:3], 0 offen
	buffer_store_dword v22, v21, s[0:3], 0 offen offset:4
	buffer_load_dword v24, off, s[0:3], 0 offset:12
	s_nop 0
	buffer_load_dword v23, off, s[0:3], 0 offset:8
	v_xor_b32_e32 v18, 0x80000000, v22
	v_add_u32_e32 v20, 64, v19
	s_waitcnt vmcnt(0)
	ds_write2_b64 v19, v[17:18], v[23:24] offset1:8
	s_waitcnt lgkmcnt(0)
	; wave barrier
	s_and_saveexec_b64 s[8:9], s[4:5]
	s_cbranch_execz .LBB71_19
; %bb.18:
	buffer_load_dword v24, v21, s[0:3], 0 offen offset:4
	buffer_load_dword v25, v21, s[0:3], 0 offen
	ds_read_b64 v[17:18], v20
	v_mov_b32_e32 v22, 0
	ds_read_b64 v[22:23], v22 offset:8
	s_waitcnt vmcnt(1) lgkmcnt(1)
	v_mul_f32_e32 v26, v18, v24
	v_mul_f32_e32 v24, v17, v24
	s_waitcnt vmcnt(0)
	v_fmac_f32_e32 v24, v18, v25
	v_fma_f32 v17, v17, v25, -v26
	v_add_f32_e32 v18, 0, v24
	v_add_f32_e32 v17, 0, v17
	s_waitcnt lgkmcnt(0)
	v_mul_f32_e32 v24, v18, v23
	v_mul_f32_e32 v23, v17, v23
	v_fma_f32 v17, v17, v22, -v24
	v_fmac_f32_e32 v23, v18, v22
	buffer_store_dword v17, off, s[0:3], 0 offset:8
	buffer_store_dword v23, off, s[0:3], 0 offset:12
.LBB71_19:
	s_or_b64 exec, exec, s[8:9]
	; wave barrier
	buffer_load_dword v17, off, s[0:3], 0 offset:16
	buffer_load_dword v18, off, s[0:3], 0 offset:20
	v_cmp_gt_u32_e32 vcc, 2, v0
	s_waitcnt vmcnt(0)
	ds_write_b64 v20, v[17:18]
	s_waitcnt lgkmcnt(0)
	; wave barrier
	s_and_saveexec_b64 s[8:9], vcc
	s_cbranch_execz .LBB71_23
; %bb.20:
	buffer_load_dword v22, v21, s[0:3], 0 offen offset:4
	buffer_load_dword v23, v21, s[0:3], 0 offen
	ds_read_b64 v[17:18], v20
	s_waitcnt vmcnt(1) lgkmcnt(0)
	v_mul_f32_e32 v21, v18, v22
	v_mul_f32_e32 v22, v17, v22
	s_waitcnt vmcnt(0)
	v_fma_f32 v17, v17, v23, -v21
	v_fmac_f32_e32 v22, v18, v23
	v_add_f32_e32 v18, 0, v17
	v_add_f32_e32 v17, 0, v22
	s_and_saveexec_b64 s[16:17], s[4:5]
	s_cbranch_execz .LBB71_22
; %bb.21:
	buffer_load_dword v23, off, s[0:3], 0 offset:12
	buffer_load_dword v24, off, s[0:3], 0 offset:8
	v_mov_b32_e32 v21, 0
	ds_read_b64 v[21:22], v21 offset:72
	s_waitcnt vmcnt(1) lgkmcnt(0)
	v_mul_f32_e32 v25, v21, v23
	v_mul_f32_e32 v23, v22, v23
	s_waitcnt vmcnt(0)
	v_fmac_f32_e32 v25, v22, v24
	v_fma_f32 v21, v21, v24, -v23
	v_add_f32_e32 v17, v17, v25
	v_add_f32_e32 v18, v18, v21
.LBB71_22:
	s_or_b64 exec, exec, s[16:17]
	v_mov_b32_e32 v21, 0
	ds_read_b64 v[21:22], v21 offset:16
	s_waitcnt lgkmcnt(0)
	v_mul_f32_e32 v23, v17, v22
	v_mul_f32_e32 v22, v18, v22
	v_fma_f32 v18, v18, v21, -v23
	v_fmac_f32_e32 v22, v17, v21
	buffer_store_dword v18, off, s[0:3], 0 offset:16
	buffer_store_dword v22, off, s[0:3], 0 offset:20
.LBB71_23:
	s_or_b64 exec, exec, s[8:9]
	; wave barrier
	buffer_load_dword v17, off, s[0:3], 0 offset:24
	buffer_load_dword v18, off, s[0:3], 0 offset:28
	v_cmp_gt_u32_e32 vcc, 3, v0
	s_waitcnt vmcnt(0)
	ds_write_b64 v20, v[17:18]
	v_add_u32_e32 v17, -1, v0
	s_waitcnt lgkmcnt(0)
	; wave barrier
	s_and_saveexec_b64 s[4:5], vcc
	s_cbranch_execz .LBB71_27
; %bb.24:
	v_add_u32_e32 v21, -1, v0
	v_add_u32_e32 v22, 64, v19
	v_mov_b32_e32 v23, v19
	v_mov_b32_e32 v18, 0
	s_mov_b64 s[8:9], 0
	v_mov_b32_e32 v24, 0
.LBB71_25:                              ; =>This Inner Loop Header: Depth=1
	buffer_load_dword v27, v23, s[0:3], 0 offen offset:4
	buffer_load_dword v28, v23, s[0:3], 0 offen
	ds_read_b64 v[25:26], v22
	v_add_u32_e32 v21, 1, v21
	v_cmp_lt_u32_e32 vcc, 1, v21
	v_add_u32_e32 v22, 8, v22
	v_add_u32_e32 v23, 8, v23
	s_or_b64 s[8:9], vcc, s[8:9]
	s_waitcnt vmcnt(1) lgkmcnt(0)
	v_mul_f32_e32 v29, v26, v27
	v_mul_f32_e32 v27, v25, v27
	s_waitcnt vmcnt(0)
	v_fma_f32 v25, v25, v28, -v29
	v_fmac_f32_e32 v27, v26, v28
	v_add_f32_e32 v24, v24, v25
	v_add_f32_e32 v18, v18, v27
	s_andn2_b64 exec, exec, s[8:9]
	s_cbranch_execnz .LBB71_25
; %bb.26:
	s_or_b64 exec, exec, s[8:9]
	v_mov_b32_e32 v21, 0
	ds_read_b64 v[21:22], v21 offset:24
	s_waitcnt lgkmcnt(0)
	v_mul_f32_e32 v23, v18, v22
	v_mul_f32_e32 v22, v24, v22
	v_fma_f32 v23, v24, v21, -v23
	v_fmac_f32_e32 v22, v18, v21
	buffer_store_dword v23, off, s[0:3], 0 offset:24
	buffer_store_dword v22, off, s[0:3], 0 offset:28
.LBB71_27:
	s_or_b64 exec, exec, s[4:5]
	; wave barrier
	buffer_load_dword v21, off, s[0:3], 0 offset:32
	buffer_load_dword v22, off, s[0:3], 0 offset:36
	v_cmp_gt_u32_e32 vcc, 4, v0
	s_waitcnt vmcnt(0)
	ds_write_b64 v20, v[21:22]
	s_waitcnt lgkmcnt(0)
	; wave barrier
	s_and_saveexec_b64 s[4:5], vcc
	s_cbranch_execz .LBB71_31
; %bb.28:
	v_add_u32_e32 v21, -1, v0
	v_add_u32_e32 v22, 64, v19
	v_mov_b32_e32 v23, v19
	v_mov_b32_e32 v18, 0
	s_mov_b64 s[8:9], 0
	v_mov_b32_e32 v24, 0
.LBB71_29:                              ; =>This Inner Loop Header: Depth=1
	buffer_load_dword v27, v23, s[0:3], 0 offen offset:4
	buffer_load_dword v28, v23, s[0:3], 0 offen
	ds_read_b64 v[25:26], v22
	v_add_u32_e32 v21, 1, v21
	v_cmp_lt_u32_e32 vcc, 2, v21
	v_add_u32_e32 v22, 8, v22
	v_add_u32_e32 v23, 8, v23
	s_or_b64 s[8:9], vcc, s[8:9]
	s_waitcnt vmcnt(1) lgkmcnt(0)
	v_mul_f32_e32 v29, v26, v27
	v_mul_f32_e32 v27, v25, v27
	s_waitcnt vmcnt(0)
	v_fma_f32 v25, v25, v28, -v29
	v_fmac_f32_e32 v27, v26, v28
	v_add_f32_e32 v24, v24, v25
	v_add_f32_e32 v18, v18, v27
	s_andn2_b64 exec, exec, s[8:9]
	s_cbranch_execnz .LBB71_29
; %bb.30:
	s_or_b64 exec, exec, s[8:9]
	v_mov_b32_e32 v21, 0
	ds_read_b64 v[21:22], v21 offset:32
	s_waitcnt lgkmcnt(0)
	v_mul_f32_e32 v23, v18, v22
	v_mul_f32_e32 v22, v24, v22
	v_fma_f32 v23, v24, v21, -v23
	v_fmac_f32_e32 v22, v18, v21
	buffer_store_dword v23, off, s[0:3], 0 offset:32
	buffer_store_dword v22, off, s[0:3], 0 offset:36
.LBB71_31:
	s_or_b64 exec, exec, s[4:5]
	; wave barrier
	buffer_load_dword v21, off, s[0:3], 0 offset:40
	buffer_load_dword v22, off, s[0:3], 0 offset:44
	v_cmp_gt_u32_e32 vcc, 5, v0
	s_waitcnt vmcnt(0)
	ds_write_b64 v20, v[21:22]
	;; [unrolled: 49-line block ×3, first 2 shown]
	s_waitcnt lgkmcnt(0)
	; wave barrier
	s_and_saveexec_b64 s[4:5], vcc
	s_cbranch_execz .LBB71_39
; %bb.36:
	v_add_u32_e32 v21, -1, v0
	v_add_u32_e32 v22, 64, v19
	v_mov_b32_e32 v23, v19
	v_mov_b32_e32 v18, 0
	s_mov_b64 s[8:9], 0
	v_mov_b32_e32 v24, 0
.LBB71_37:                              ; =>This Inner Loop Header: Depth=1
	buffer_load_dword v27, v23, s[0:3], 0 offen offset:4
	buffer_load_dword v28, v23, s[0:3], 0 offen
	ds_read_b64 v[25:26], v22
	v_add_u32_e32 v21, 1, v21
	v_cmp_lt_u32_e32 vcc, 4, v21
	v_add_u32_e32 v22, 8, v22
	v_add_u32_e32 v23, 8, v23
	s_or_b64 s[8:9], vcc, s[8:9]
	s_waitcnt vmcnt(1) lgkmcnt(0)
	v_mul_f32_e32 v29, v26, v27
	v_mul_f32_e32 v27, v25, v27
	s_waitcnt vmcnt(0)
	v_fma_f32 v25, v25, v28, -v29
	v_fmac_f32_e32 v27, v26, v28
	v_add_f32_e32 v24, v24, v25
	v_add_f32_e32 v18, v18, v27
	s_andn2_b64 exec, exec, s[8:9]
	s_cbranch_execnz .LBB71_37
; %bb.38:
	s_or_b64 exec, exec, s[8:9]
	v_mov_b32_e32 v21, 0
	ds_read_b64 v[21:22], v21 offset:48
	s_waitcnt lgkmcnt(0)
	v_mul_f32_e32 v23, v18, v22
	v_mul_f32_e32 v22, v24, v22
	v_fma_f32 v23, v24, v21, -v23
	v_fmac_f32_e32 v22, v18, v21
	buffer_store_dword v23, off, s[0:3], 0 offset:48
	buffer_store_dword v22, off, s[0:3], 0 offset:52
.LBB71_39:
	s_or_b64 exec, exec, s[4:5]
	; wave barrier
	buffer_load_dword v21, off, s[0:3], 0 offset:56
	buffer_load_dword v22, off, s[0:3], 0 offset:60
	v_cmp_ne_u32_e32 vcc, 7, v0
	s_waitcnt vmcnt(0)
	ds_write_b64 v20, v[21:22]
	s_waitcnt lgkmcnt(0)
	; wave barrier
	s_and_saveexec_b64 s[4:5], vcc
	s_cbranch_execz .LBB71_43
; %bb.40:
	v_mov_b32_e32 v18, 0
	s_mov_b64 s[8:9], 0
	v_mov_b32_e32 v21, 0
.LBB71_41:                              ; =>This Inner Loop Header: Depth=1
	buffer_load_dword v24, v19, s[0:3], 0 offen offset:4
	buffer_load_dword v25, v19, s[0:3], 0 offen
	ds_read_b64 v[22:23], v20
	v_add_u32_e32 v17, 1, v17
	v_cmp_lt_u32_e32 vcc, 5, v17
	v_add_u32_e32 v20, 8, v20
	v_add_u32_e32 v19, 8, v19
	s_or_b64 s[8:9], vcc, s[8:9]
	s_waitcnt vmcnt(1) lgkmcnt(0)
	v_mul_f32_e32 v26, v23, v24
	v_mul_f32_e32 v24, v22, v24
	s_waitcnt vmcnt(0)
	v_fma_f32 v22, v22, v25, -v26
	v_fmac_f32_e32 v24, v23, v25
	v_add_f32_e32 v21, v21, v22
	v_add_f32_e32 v18, v18, v24
	s_andn2_b64 exec, exec, s[8:9]
	s_cbranch_execnz .LBB71_41
; %bb.42:
	s_or_b64 exec, exec, s[8:9]
	v_mov_b32_e32 v17, 0
	ds_read_b64 v[19:20], v17 offset:56
	s_waitcnt lgkmcnt(0)
	v_mul_f32_e32 v17, v18, v20
	v_mul_f32_e32 v20, v21, v20
	v_fma_f32 v17, v21, v19, -v17
	v_fmac_f32_e32 v20, v18, v19
	buffer_store_dword v17, off, s[0:3], 0 offset:56
	buffer_store_dword v20, off, s[0:3], 0 offset:60
.LBB71_43:
	s_or_b64 exec, exec, s[4:5]
	s_mov_b64 s[8:9], -1
	; wave barrier
.LBB71_44:
	s_and_b64 vcc, exec, s[8:9]
	s_cbranch_vccz .LBB71_46
; %bb.45:
	s_lshl_b64 s[4:5], s[6:7], 2
	s_add_u32 s4, s10, s4
	s_addc_u32 s5, s11, s5
	v_mov_b32_e32 v17, 0
	global_load_dword v17, v17, s[4:5]
	s_waitcnt vmcnt(0)
	v_cmp_ne_u32_e32 vcc, 0, v17
	s_cbranch_vccz .LBB71_47
.LBB71_46:
	s_endpgm
.LBB71_47:
	v_lshl_add_u32 v17, v0, 3, 64
	v_cmp_eq_u32_e32 vcc, 7, v0
	s_and_saveexec_b64 s[4:5], vcc
	s_cbranch_execz .LBB71_49
; %bb.48:
	buffer_load_dword v18, off, s[0:3], 0 offset:48
	buffer_load_dword v19, off, s[0:3], 0 offset:52
	v_mov_b32_e32 v20, 0
	buffer_store_dword v20, off, s[0:3], 0 offset:48
	buffer_store_dword v20, off, s[0:3], 0 offset:52
	s_waitcnt vmcnt(2)
	ds_write_b64 v17, v[18:19]
.LBB71_49:
	s_or_b64 exec, exec, s[4:5]
	s_waitcnt lgkmcnt(0)
	; wave barrier
	buffer_load_dword v21, off, s[0:3], 0 offset:60
	buffer_load_dword v22, off, s[0:3], 0 offset:56
	;; [unrolled: 1-line block ×4, first 2 shown]
	v_mov_b32_e32 v18, 0
	ds_read_b64 v[19:20], v18 offset:120
	v_cmp_lt_u32_e32 vcc, 5, v0
	s_waitcnt vmcnt(3) lgkmcnt(0)
	v_mul_f32_e32 v25, v19, v21
	v_mul_f32_e32 v21, v20, v21
	s_waitcnt vmcnt(2)
	v_fma_f32 v19, v19, v22, -v21
	v_fmac_f32_e32 v25, v20, v22
	v_add_f32_e32 v19, 0, v19
	v_add_f32_e32 v20, 0, v25
	s_waitcnt vmcnt(1)
	v_sub_f32_e32 v19, v23, v19
	s_waitcnt vmcnt(0)
	v_sub_f32_e32 v20, v24, v20
	buffer_store_dword v19, off, s[0:3], 0 offset:48
	buffer_store_dword v20, off, s[0:3], 0 offset:52
	s_and_saveexec_b64 s[4:5], vcc
	s_cbranch_execz .LBB71_51
; %bb.50:
	buffer_load_dword v19, off, s[0:3], 0 offset:40
	buffer_load_dword v20, off, s[0:3], 0 offset:44
	s_waitcnt vmcnt(0)
	ds_write_b64 v17, v[19:20]
	buffer_store_dword v18, off, s[0:3], 0 offset:40
	buffer_store_dword v18, off, s[0:3], 0 offset:44
.LBB71_51:
	s_or_b64 exec, exec, s[4:5]
	s_waitcnt lgkmcnt(0)
	; wave barrier
	buffer_load_dword v22, off, s[0:3], 0 offset:52
	buffer_load_dword v23, off, s[0:3], 0 offset:60
	;; [unrolled: 1-line block ×6, first 2 shown]
	ds_read_b128 v[18:21], v18 offset:112
	v_cmp_lt_u32_e32 vcc, 4, v0
	s_waitcnt vmcnt(5) lgkmcnt(0)
	v_mul_f32_e32 v28, v18, v22
	v_mul_f32_e32 v22, v19, v22
	s_waitcnt vmcnt(4)
	v_mul_f32_e32 v29, v20, v23
	v_mul_f32_e32 v23, v21, v23
	s_waitcnt vmcnt(3)
	v_fma_f32 v18, v18, v24, -v22
	v_fmac_f32_e32 v28, v19, v24
	s_waitcnt vmcnt(2)
	v_fma_f32 v19, v20, v25, -v23
	v_add_f32_e32 v18, 0, v18
	v_fmac_f32_e32 v29, v21, v25
	v_add_f32_e32 v20, 0, v28
	v_add_f32_e32 v18, v18, v19
	;; [unrolled: 1-line block ×3, first 2 shown]
	s_waitcnt vmcnt(1)
	v_sub_f32_e32 v18, v26, v18
	s_waitcnt vmcnt(0)
	v_sub_f32_e32 v19, v27, v20
	buffer_store_dword v18, off, s[0:3], 0 offset:40
	buffer_store_dword v19, off, s[0:3], 0 offset:44
	s_and_saveexec_b64 s[4:5], vcc
	s_cbranch_execz .LBB71_53
; %bb.52:
	buffer_load_dword v18, off, s[0:3], 0 offset:32
	buffer_load_dword v19, off, s[0:3], 0 offset:36
	v_mov_b32_e32 v20, 0
	buffer_store_dword v20, off, s[0:3], 0 offset:32
	buffer_store_dword v20, off, s[0:3], 0 offset:36
	s_waitcnt vmcnt(2)
	ds_write_b64 v17, v[18:19]
.LBB71_53:
	s_or_b64 exec, exec, s[4:5]
	s_waitcnt lgkmcnt(0)
	; wave barrier
	buffer_load_dword v25, off, s[0:3], 0 offset:44
	buffer_load_dword v26, off, s[0:3], 0 offset:52
	;; [unrolled: 1-line block ×8, first 2 shown]
	v_mov_b32_e32 v18, 0
	ds_read2_b64 v[19:22], v18 offset0:13 offset1:14
	ds_read_b64 v[23:24], v18 offset:120
	v_cmp_lt_u32_e32 vcc, 3, v0
	s_waitcnt vmcnt(7) lgkmcnt(1)
	v_mul_f32_e32 v33, v19, v25
	v_mul_f32_e32 v25, v20, v25
	s_waitcnt vmcnt(6)
	v_mul_f32_e32 v34, v21, v26
	v_mul_f32_e32 v26, v22, v26
	s_waitcnt vmcnt(4)
	v_fma_f32 v19, v19, v28, -v25
	s_waitcnt lgkmcnt(0)
	v_mul_f32_e32 v35, v23, v27
	v_mul_f32_e32 v27, v24, v27
	v_fmac_f32_e32 v33, v20, v28
	s_waitcnt vmcnt(3)
	v_fma_f32 v20, v21, v29, -v26
	v_add_f32_e32 v19, 0, v19
	v_fmac_f32_e32 v34, v22, v29
	s_waitcnt vmcnt(2)
	v_fma_f32 v21, v23, v30, -v27
	v_add_f32_e32 v22, 0, v33
	v_add_f32_e32 v19, v19, v20
	v_fmac_f32_e32 v35, v24, v30
	v_add_f32_e32 v22, v22, v34
	v_add_f32_e32 v19, v19, v21
	;; [unrolled: 1-line block ×3, first 2 shown]
	s_waitcnt vmcnt(1)
	v_sub_f32_e32 v19, v31, v19
	s_waitcnt vmcnt(0)
	v_sub_f32_e32 v20, v32, v20
	buffer_store_dword v19, off, s[0:3], 0 offset:32
	buffer_store_dword v20, off, s[0:3], 0 offset:36
	s_and_saveexec_b64 s[4:5], vcc
	s_cbranch_execz .LBB71_55
; %bb.54:
	buffer_load_dword v19, off, s[0:3], 0 offset:24
	buffer_load_dword v20, off, s[0:3], 0 offset:28
	s_waitcnt vmcnt(0)
	ds_write_b64 v17, v[19:20]
	buffer_store_dword v18, off, s[0:3], 0 offset:24
	buffer_store_dword v18, off, s[0:3], 0 offset:28
.LBB71_55:
	s_or_b64 exec, exec, s[4:5]
	s_waitcnt lgkmcnt(0)
	; wave barrier
	buffer_load_dword v27, off, s[0:3], 0 offset:36
	buffer_load_dword v28, off, s[0:3], 0 offset:44
	;; [unrolled: 1-line block ×10, first 2 shown]
	ds_read_b128 v[19:22], v18 offset:96
	ds_read_b128 v[23:26], v18 offset:112
	v_cmp_lt_u32_e32 vcc, 2, v0
	s_waitcnt vmcnt(9) lgkmcnt(1)
	v_mul_f32_e32 v18, v19, v27
	v_mul_f32_e32 v27, v20, v27
	s_waitcnt vmcnt(8)
	v_mul_f32_e32 v37, v21, v28
	v_mul_f32_e32 v28, v22, v28
	s_waitcnt vmcnt(5)
	v_fma_f32 v19, v19, v31, -v27
	s_waitcnt lgkmcnt(0)
	v_mul_f32_e32 v38, v23, v29
	v_mul_f32_e32 v29, v24, v29
	v_fmac_f32_e32 v18, v20, v31
	s_waitcnt vmcnt(4)
	v_fma_f32 v20, v21, v32, -v28
	v_add_f32_e32 v19, 0, v19
	v_mul_f32_e32 v39, v25, v30
	v_mul_f32_e32 v30, v26, v30
	v_fmac_f32_e32 v37, v22, v32
	s_waitcnt vmcnt(3)
	v_fma_f32 v21, v23, v33, -v29
	v_add_f32_e32 v18, 0, v18
	v_add_f32_e32 v19, v19, v20
	v_fmac_f32_e32 v38, v24, v33
	s_waitcnt vmcnt(2)
	v_fma_f32 v22, v25, v34, -v30
	v_add_f32_e32 v18, v18, v37
	v_add_f32_e32 v19, v19, v21
	v_fmac_f32_e32 v39, v26, v34
	v_add_f32_e32 v18, v18, v38
	v_add_f32_e32 v19, v19, v22
	;; [unrolled: 1-line block ×3, first 2 shown]
	s_waitcnt vmcnt(1)
	v_sub_f32_e32 v19, v35, v19
	s_waitcnt vmcnt(0)
	v_sub_f32_e32 v18, v36, v18
	buffer_store_dword v19, off, s[0:3], 0 offset:24
	buffer_store_dword v18, off, s[0:3], 0 offset:28
	s_and_saveexec_b64 s[4:5], vcc
	s_cbranch_execz .LBB71_57
; %bb.56:
	buffer_load_dword v18, off, s[0:3], 0 offset:16
	buffer_load_dword v19, off, s[0:3], 0 offset:20
	v_mov_b32_e32 v20, 0
	buffer_store_dword v20, off, s[0:3], 0 offset:16
	buffer_store_dword v20, off, s[0:3], 0 offset:20
	s_waitcnt vmcnt(2)
	ds_write_b64 v17, v[18:19]
.LBB71_57:
	s_or_b64 exec, exec, s[4:5]
	s_waitcnt lgkmcnt(0)
	; wave barrier
	buffer_load_dword v29, off, s[0:3], 0 offset:28
	buffer_load_dword v30, off, s[0:3], 0 offset:36
	;; [unrolled: 1-line block ×12, first 2 shown]
	v_mov_b32_e32 v18, 0
	ds_read2_b64 v[19:22], v18 offset0:11 offset1:12
	ds_read2_b64 v[23:26], v18 offset0:13 offset1:14
	ds_read_b64 v[27:28], v18 offset:120
	v_cmp_lt_u32_e32 vcc, 1, v0
	s_waitcnt vmcnt(11) lgkmcnt(2)
	v_mul_f32_e32 v41, v19, v29
	v_mul_f32_e32 v29, v20, v29
	s_waitcnt vmcnt(10)
	v_mul_f32_e32 v42, v21, v30
	v_mul_f32_e32 v30, v22, v30
	s_waitcnt vmcnt(9) lgkmcnt(1)
	v_mul_f32_e32 v43, v23, v31
	s_waitcnt vmcnt(6)
	v_fma_f32 v19, v19, v34, -v29
	v_mul_f32_e32 v31, v24, v31
	v_fmac_f32_e32 v41, v20, v34
	s_waitcnt vmcnt(5)
	v_fma_f32 v20, v21, v35, -v30
	v_add_f32_e32 v19, 0, v19
	v_mul_f32_e32 v44, v25, v32
	v_mul_f32_e32 v32, v26, v32
	v_fmac_f32_e32 v42, v22, v35
	s_waitcnt vmcnt(4)
	v_fmac_f32_e32 v43, v24, v36
	v_fma_f32 v21, v23, v36, -v31
	v_add_f32_e32 v24, 0, v41
	v_add_f32_e32 v19, v19, v20
	s_waitcnt lgkmcnt(0)
	v_mul_f32_e32 v45, v27, v33
	v_mul_f32_e32 v33, v28, v33
	s_waitcnt vmcnt(3)
	v_fma_f32 v22, v25, v37, -v32
	v_add_f32_e32 v24, v24, v42
	v_add_f32_e32 v19, v19, v21
	v_fmac_f32_e32 v44, v26, v37
	s_waitcnt vmcnt(2)
	v_fma_f32 v23, v27, v38, -v33
	v_add_f32_e32 v20, v24, v43
	v_add_f32_e32 v19, v19, v22
	v_fmac_f32_e32 v45, v28, v38
	v_add_f32_e32 v20, v20, v44
	v_add_f32_e32 v19, v19, v23
	;; [unrolled: 1-line block ×3, first 2 shown]
	s_waitcnt vmcnt(1)
	v_sub_f32_e32 v19, v39, v19
	s_waitcnt vmcnt(0)
	v_sub_f32_e32 v20, v40, v20
	buffer_store_dword v19, off, s[0:3], 0 offset:16
	buffer_store_dword v20, off, s[0:3], 0 offset:20
	s_and_saveexec_b64 s[4:5], vcc
	s_cbranch_execz .LBB71_59
; %bb.58:
	buffer_load_dword v19, off, s[0:3], 0 offset:8
	buffer_load_dword v20, off, s[0:3], 0 offset:12
	s_waitcnt vmcnt(0)
	ds_write_b64 v17, v[19:20]
	buffer_store_dword v18, off, s[0:3], 0 offset:8
	buffer_store_dword v18, off, s[0:3], 0 offset:12
.LBB71_59:
	s_or_b64 exec, exec, s[4:5]
	s_waitcnt lgkmcnt(0)
	; wave barrier
	buffer_load_dword v31, off, s[0:3], 0 offset:20
	buffer_load_dword v32, off, s[0:3], 0 offset:28
	;; [unrolled: 1-line block ×14, first 2 shown]
	ds_read_b128 v[19:22], v18 offset:80
	ds_read_b128 v[23:26], v18 offset:96
	;; [unrolled: 1-line block ×3, first 2 shown]
	v_cmp_ne_u32_e32 vcc, 0, v0
	s_waitcnt vmcnt(13) lgkmcnt(2)
	v_mul_f32_e32 v18, v19, v31
	v_mul_f32_e32 v31, v20, v31
	s_waitcnt vmcnt(12)
	v_mul_f32_e32 v45, v21, v32
	v_mul_f32_e32 v32, v22, v32
	s_waitcnt vmcnt(11) lgkmcnt(1)
	v_mul_f32_e32 v46, v23, v33
	v_mul_f32_e32 v33, v24, v33
	s_waitcnt vmcnt(7)
	v_fma_f32 v19, v19, v37, -v31
	v_fmac_f32_e32 v18, v20, v37
	s_waitcnt vmcnt(6)
	v_fma_f32 v20, v21, v38, -v32
	v_add_f32_e32 v19, 0, v19
	v_mul_f32_e32 v47, v25, v34
	v_mul_f32_e32 v34, v26, v34
	v_fmac_f32_e32 v45, v22, v38
	s_waitcnt vmcnt(5)
	v_fma_f32 v21, v23, v39, -v33
	v_add_f32_e32 v18, 0, v18
	v_add_f32_e32 v19, v19, v20
	s_waitcnt lgkmcnt(0)
	v_mul_f32_e32 v48, v27, v35
	v_mul_f32_e32 v35, v28, v35
	v_fmac_f32_e32 v46, v24, v39
	s_waitcnt vmcnt(4)
	v_fma_f32 v22, v25, v40, -v34
	v_add_f32_e32 v18, v18, v45
	v_add_f32_e32 v19, v19, v21
	v_mul_f32_e32 v49, v29, v36
	v_mul_f32_e32 v36, v30, v36
	v_fmac_f32_e32 v47, v26, v40
	s_waitcnt vmcnt(3)
	v_fma_f32 v23, v27, v41, -v35
	v_add_f32_e32 v18, v18, v46
	v_add_f32_e32 v19, v19, v22
	v_fmac_f32_e32 v48, v28, v41
	s_waitcnt vmcnt(2)
	v_fma_f32 v24, v29, v42, -v36
	v_add_f32_e32 v18, v18, v47
	v_add_f32_e32 v19, v19, v23
	v_fmac_f32_e32 v49, v30, v42
	v_add_f32_e32 v18, v18, v48
	v_add_f32_e32 v19, v19, v24
	;; [unrolled: 1-line block ×3, first 2 shown]
	s_waitcnt vmcnt(1)
	v_sub_f32_e32 v19, v43, v19
	s_waitcnt vmcnt(0)
	v_sub_f32_e32 v18, v44, v18
	buffer_store_dword v19, off, s[0:3], 0 offset:8
	buffer_store_dword v18, off, s[0:3], 0 offset:12
	s_and_saveexec_b64 s[4:5], vcc
	s_cbranch_execz .LBB71_61
; %bb.60:
	buffer_load_dword v18, off, s[0:3], 0
	buffer_load_dword v19, off, s[0:3], 0 offset:4
	v_mov_b32_e32 v0, 0
	buffer_store_dword v0, off, s[0:3], 0
	buffer_store_dword v0, off, s[0:3], 0 offset:4
	s_waitcnt vmcnt(2)
	ds_write_b64 v17, v[18:19]
.LBB71_61:
	s_or_b64 exec, exec, s[4:5]
	s_waitcnt lgkmcnt(0)
	; wave barrier
	buffer_load_dword v33, off, s[0:3], 0 offset:12
	buffer_load_dword v34, off, s[0:3], 0 offset:20
	;; [unrolled: 1-line block ×14, first 2 shown]
	buffer_load_dword v45, off, s[0:3], 0
	buffer_load_dword v46, off, s[0:3], 0 offset:4
	v_mov_b32_e32 v18, 0
	ds_read2_b64 v[19:22], v18 offset0:9 offset1:10
	ds_read2_b64 v[23:26], v18 offset0:11 offset1:12
	;; [unrolled: 1-line block ×3, first 2 shown]
	ds_read_b64 v[31:32], v18 offset:120
	s_and_b64 vcc, exec, s[14:15]
	s_waitcnt vmcnt(15) lgkmcnt(3)
	v_mul_f32_e32 v47, v19, v33
	v_mul_f32_e32 v33, v20, v33
	s_waitcnt vmcnt(14)
	v_mul_f32_e32 v48, v21, v34
	v_mul_f32_e32 v34, v22, v34
	s_waitcnt vmcnt(13) lgkmcnt(2)
	v_mul_f32_e32 v49, v23, v35
	s_waitcnt vmcnt(12)
	v_mul_f32_e32 v50, v25, v36
	v_mul_f32_e32 v35, v24, v35
	s_waitcnt vmcnt(8)
	v_fma_f32 v19, v19, v39, -v33
	v_fmac_f32_e32 v47, v20, v39
	s_waitcnt vmcnt(7)
	v_fma_f32 v20, v21, v40, -v34
	v_add_f32_e32 v19, 0, v19
	v_mul_f32_e32 v36, v26, v36
	v_fmac_f32_e32 v48, v22, v40
	s_waitcnt vmcnt(5)
	v_fmac_f32_e32 v50, v26, v42
	v_fma_f32 v21, v23, v41, -v35
	v_add_f32_e32 v26, 0, v47
	v_add_f32_e32 v19, v19, v20
	s_waitcnt lgkmcnt(1)
	v_mul_f32_e32 v51, v27, v37
	v_mul_f32_e32 v37, v28, v37
	v_fmac_f32_e32 v49, v24, v41
	v_fma_f32 v22, v25, v42, -v36
	v_add_f32_e32 v26, v26, v48
	v_add_f32_e32 v19, v19, v21
	v_mul_f32_e32 v54, v30, v0
	s_waitcnt vmcnt(4)
	v_fma_f32 v23, v27, v43, -v37
	v_add_f32_e32 v20, v26, v49
	v_add_f32_e32 v19, v19, v22
	v_mul_f32_e32 v52, v29, v0
	s_waitcnt lgkmcnt(0)
	v_mul_f32_e32 v53, v31, v38
	v_mul_f32_e32 v38, v32, v38
	v_fmac_f32_e32 v51, v28, v43
	s_waitcnt vmcnt(3)
	v_fma_f32 v24, v29, v17, -v54
	v_add_f32_e32 v20, v20, v50
	v_add_f32_e32 v19, v19, v23
	v_fmac_f32_e32 v52, v30, v17
	s_waitcnt vmcnt(2)
	v_fma_f32 v25, v31, v44, -v38
	v_add_f32_e32 v20, v20, v51
	v_add_f32_e32 v19, v19, v24
	v_fmac_f32_e32 v53, v32, v44
	v_add_f32_e32 v20, v20, v52
	v_add_f32_e32 v19, v19, v25
	;; [unrolled: 1-line block ×3, first 2 shown]
	s_waitcnt vmcnt(1)
	v_sub_f32_e32 v19, v45, v19
	s_waitcnt vmcnt(0)
	v_sub_f32_e32 v20, v46, v20
	buffer_store_dword v19, off, s[0:3], 0
	buffer_store_dword v20, off, s[0:3], 0 offset:4
	s_cbranch_vccz .LBB71_76
; %bb.62:
	global_load_dword v18, v18, s[12:13] offset:24
	s_waitcnt vmcnt(0)
	v_add_u32_e32 v18, -1, v18
	v_cmp_ne_u32_e32 vcc, 6, v18
	s_cbranch_vccz .LBB71_64
; %bb.63:
	v_lshlrev_b32_e32 v18, 3, v18
	buffer_load_dword v19, v18, s[0:3], 0 offen offset:4
	buffer_load_dword v20, v18, s[0:3], 0 offen
	s_waitcnt vmcnt(1)
	buffer_store_dword v19, off, s[0:3], 0 offset:52
	s_waitcnt vmcnt(1)
	buffer_store_dword v20, off, s[0:3], 0 offset:48
	buffer_store_dword v0, v18, s[0:3], 0 offen offset:4
	buffer_store_dword v17, v18, s[0:3], 0 offen
.LBB71_64:
	v_mov_b32_e32 v0, 0
	global_load_dword v17, v0, s[12:13] offset:20
	s_waitcnt vmcnt(0)
	v_add_u32_e32 v17, -1, v17
	v_cmp_eq_u32_e32 vcc, 5, v17
	s_cbranch_vccnz .LBB71_66
; %bb.65:
	v_lshlrev_b32_e32 v17, 3, v17
	buffer_load_dword v18, v17, s[0:3], 0 offen
	buffer_load_dword v19, v17, s[0:3], 0 offen offset:4
	buffer_load_dword v20, off, s[0:3], 0 offset:40
	buffer_load_dword v21, off, s[0:3], 0 offset:44
	s_waitcnt vmcnt(3)
	buffer_store_dword v18, off, s[0:3], 0 offset:40
	s_waitcnt vmcnt(3)
	buffer_store_dword v19, off, s[0:3], 0 offset:44
	s_waitcnt vmcnt(3)
	buffer_store_dword v20, v17, s[0:3], 0 offen
	s_waitcnt vmcnt(3)
	buffer_store_dword v21, v17, s[0:3], 0 offen offset:4
.LBB71_66:
	global_load_dword v0, v0, s[12:13] offset:16
	s_waitcnt vmcnt(0)
	v_add_u32_e32 v0, -1, v0
	v_cmp_eq_u32_e32 vcc, 4, v0
	s_cbranch_vccnz .LBB71_68
; %bb.67:
	v_lshlrev_b32_e32 v0, 3, v0
	buffer_load_dword v17, v0, s[0:3], 0 offen
	buffer_load_dword v18, v0, s[0:3], 0 offen offset:4
	buffer_load_dword v19, off, s[0:3], 0 offset:36
	buffer_load_dword v20, off, s[0:3], 0 offset:32
	s_waitcnt vmcnt(3)
	buffer_store_dword v17, off, s[0:3], 0 offset:32
	s_waitcnt vmcnt(3)
	buffer_store_dword v18, off, s[0:3], 0 offset:36
	s_waitcnt vmcnt(3)
	buffer_store_dword v19, v0, s[0:3], 0 offen offset:4
	s_waitcnt vmcnt(3)
	buffer_store_dword v20, v0, s[0:3], 0 offen
.LBB71_68:
	v_mov_b32_e32 v0, 0
	global_load_dword v17, v0, s[12:13] offset:12
	s_waitcnt vmcnt(0)
	v_add_u32_e32 v17, -1, v17
	v_cmp_eq_u32_e32 vcc, 3, v17
	s_cbranch_vccnz .LBB71_70
; %bb.69:
	v_lshlrev_b32_e32 v17, 3, v17
	buffer_load_dword v18, v17, s[0:3], 0 offen
	buffer_load_dword v19, v17, s[0:3], 0 offen offset:4
	buffer_load_dword v20, off, s[0:3], 0 offset:24
	buffer_load_dword v21, off, s[0:3], 0 offset:28
	s_waitcnt vmcnt(3)
	buffer_store_dword v18, off, s[0:3], 0 offset:24
	s_waitcnt vmcnt(3)
	buffer_store_dword v19, off, s[0:3], 0 offset:28
	s_waitcnt vmcnt(3)
	buffer_store_dword v20, v17, s[0:3], 0 offen
	s_waitcnt vmcnt(3)
	buffer_store_dword v21, v17, s[0:3], 0 offen offset:4
.LBB71_70:
	global_load_dword v0, v0, s[12:13] offset:8
	s_waitcnt vmcnt(0)
	v_add_u32_e32 v0, -1, v0
	v_cmp_eq_u32_e32 vcc, 2, v0
	s_cbranch_vccnz .LBB71_72
; %bb.71:
	v_lshlrev_b32_e32 v0, 3, v0
	buffer_load_dword v17, v0, s[0:3], 0 offen
	buffer_load_dword v18, v0, s[0:3], 0 offen offset:4
	buffer_load_dword v19, off, s[0:3], 0 offset:20
	buffer_load_dword v20, off, s[0:3], 0 offset:16
	s_waitcnt vmcnt(3)
	buffer_store_dword v17, off, s[0:3], 0 offset:16
	s_waitcnt vmcnt(3)
	buffer_store_dword v18, off, s[0:3], 0 offset:20
	s_waitcnt vmcnt(3)
	buffer_store_dword v19, v0, s[0:3], 0 offen offset:4
	s_waitcnt vmcnt(3)
	buffer_store_dword v20, v0, s[0:3], 0 offen
.LBB71_72:
	v_mov_b32_e32 v0, 0
	global_load_dword v17, v0, s[12:13] offset:4
	s_waitcnt vmcnt(0)
	v_add_u32_e32 v17, -1, v17
	v_cmp_eq_u32_e32 vcc, 1, v17
	s_cbranch_vccnz .LBB71_74
; %bb.73:
	v_lshlrev_b32_e32 v17, 3, v17
	buffer_load_dword v18, v17, s[0:3], 0 offen
	buffer_load_dword v19, v17, s[0:3], 0 offen offset:4
	buffer_load_dword v20, off, s[0:3], 0 offset:8
	buffer_load_dword v21, off, s[0:3], 0 offset:12
	s_waitcnt vmcnt(3)
	buffer_store_dword v18, off, s[0:3], 0 offset:8
	s_waitcnt vmcnt(3)
	buffer_store_dword v19, off, s[0:3], 0 offset:12
	s_waitcnt vmcnt(3)
	buffer_store_dword v20, v17, s[0:3], 0 offen
	s_waitcnt vmcnt(3)
	buffer_store_dword v21, v17, s[0:3], 0 offen offset:4
.LBB71_74:
	global_load_dword v0, v0, s[12:13]
	s_waitcnt vmcnt(0)
	v_add_u32_e32 v0, -1, v0
	v_cmp_eq_u32_e32 vcc, 0, v0
	s_cbranch_vccnz .LBB71_76
; %bb.75:
	v_lshlrev_b32_e32 v0, 3, v0
	buffer_load_dword v17, v0, s[0:3], 0 offen
	buffer_load_dword v18, v0, s[0:3], 0 offen offset:4
	buffer_load_dword v19, off, s[0:3], 0 offset:4
	buffer_load_dword v20, off, s[0:3], 0
	s_waitcnt vmcnt(3)
	buffer_store_dword v17, off, s[0:3], 0
	s_waitcnt vmcnt(3)
	buffer_store_dword v18, off, s[0:3], 0 offset:4
	s_waitcnt vmcnt(3)
	buffer_store_dword v19, v0, s[0:3], 0 offen offset:4
	s_waitcnt vmcnt(3)
	buffer_store_dword v20, v0, s[0:3], 0 offen
.LBB71_76:
	buffer_load_dword v17, off, s[0:3], 0
	buffer_load_dword v18, off, s[0:3], 0 offset:4
	s_waitcnt vmcnt(0)
	flat_store_dwordx2 v[1:2], v[17:18]
	buffer_load_dword v0, off, s[0:3], 0 offset:8
	s_nop 0
	buffer_load_dword v1, off, s[0:3], 0 offset:12
	s_waitcnt vmcnt(0)
	flat_store_dwordx2 v[3:4], v[0:1]
	buffer_load_dword v0, off, s[0:3], 0 offset:16
	s_nop 0
	;; [unrolled: 5-line block ×7, first 2 shown]
	buffer_load_dword v1, off, s[0:3], 0 offset:60
	s_waitcnt vmcnt(0)
	flat_store_dwordx2 v[15:16], v[0:1]
	s_endpgm
	.section	.rodata,"a",@progbits
	.p2align	6, 0x0
	.amdhsa_kernel _ZN9rocsolver6v33100L18getri_kernel_smallILi8E19rocblas_complex_numIfEPKPS3_EEvT1_iilPiilS8_bb
		.amdhsa_group_segment_fixed_size 132
		.amdhsa_private_segment_fixed_size 80
		.amdhsa_kernarg_size 60
		.amdhsa_user_sgpr_count 6
		.amdhsa_user_sgpr_private_segment_buffer 1
		.amdhsa_user_sgpr_dispatch_ptr 0
		.amdhsa_user_sgpr_queue_ptr 0
		.amdhsa_user_sgpr_kernarg_segment_ptr 1
		.amdhsa_user_sgpr_dispatch_id 0
		.amdhsa_user_sgpr_flat_scratch_init 0
		.amdhsa_user_sgpr_private_segment_size 0
		.amdhsa_uses_dynamic_stack 0
		.amdhsa_system_sgpr_private_segment_wavefront_offset 1
		.amdhsa_system_sgpr_workgroup_id_x 1
		.amdhsa_system_sgpr_workgroup_id_y 0
		.amdhsa_system_sgpr_workgroup_id_z 0
		.amdhsa_system_sgpr_workgroup_info 0
		.amdhsa_system_vgpr_workitem_id 0
		.amdhsa_next_free_vgpr 55
		.amdhsa_next_free_sgpr 21
		.amdhsa_reserve_vcc 1
		.amdhsa_reserve_flat_scratch 0
		.amdhsa_float_round_mode_32 0
		.amdhsa_float_round_mode_16_64 0
		.amdhsa_float_denorm_mode_32 3
		.amdhsa_float_denorm_mode_16_64 3
		.amdhsa_dx10_clamp 1
		.amdhsa_ieee_mode 1
		.amdhsa_fp16_overflow 0
		.amdhsa_exception_fp_ieee_invalid_op 0
		.amdhsa_exception_fp_denorm_src 0
		.amdhsa_exception_fp_ieee_div_zero 0
		.amdhsa_exception_fp_ieee_overflow 0
		.amdhsa_exception_fp_ieee_underflow 0
		.amdhsa_exception_fp_ieee_inexact 0
		.amdhsa_exception_int_div_zero 0
	.end_amdhsa_kernel
	.section	.text._ZN9rocsolver6v33100L18getri_kernel_smallILi8E19rocblas_complex_numIfEPKPS3_EEvT1_iilPiilS8_bb,"axG",@progbits,_ZN9rocsolver6v33100L18getri_kernel_smallILi8E19rocblas_complex_numIfEPKPS3_EEvT1_iilPiilS8_bb,comdat
.Lfunc_end71:
	.size	_ZN9rocsolver6v33100L18getri_kernel_smallILi8E19rocblas_complex_numIfEPKPS3_EEvT1_iilPiilS8_bb, .Lfunc_end71-_ZN9rocsolver6v33100L18getri_kernel_smallILi8E19rocblas_complex_numIfEPKPS3_EEvT1_iilPiilS8_bb
                                        ; -- End function
	.set _ZN9rocsolver6v33100L18getri_kernel_smallILi8E19rocblas_complex_numIfEPKPS3_EEvT1_iilPiilS8_bb.num_vgpr, 55
	.set _ZN9rocsolver6v33100L18getri_kernel_smallILi8E19rocblas_complex_numIfEPKPS3_EEvT1_iilPiilS8_bb.num_agpr, 0
	.set _ZN9rocsolver6v33100L18getri_kernel_smallILi8E19rocblas_complex_numIfEPKPS3_EEvT1_iilPiilS8_bb.numbered_sgpr, 21
	.set _ZN9rocsolver6v33100L18getri_kernel_smallILi8E19rocblas_complex_numIfEPKPS3_EEvT1_iilPiilS8_bb.num_named_barrier, 0
	.set _ZN9rocsolver6v33100L18getri_kernel_smallILi8E19rocblas_complex_numIfEPKPS3_EEvT1_iilPiilS8_bb.private_seg_size, 80
	.set _ZN9rocsolver6v33100L18getri_kernel_smallILi8E19rocblas_complex_numIfEPKPS3_EEvT1_iilPiilS8_bb.uses_vcc, 1
	.set _ZN9rocsolver6v33100L18getri_kernel_smallILi8E19rocblas_complex_numIfEPKPS3_EEvT1_iilPiilS8_bb.uses_flat_scratch, 0
	.set _ZN9rocsolver6v33100L18getri_kernel_smallILi8E19rocblas_complex_numIfEPKPS3_EEvT1_iilPiilS8_bb.has_dyn_sized_stack, 0
	.set _ZN9rocsolver6v33100L18getri_kernel_smallILi8E19rocblas_complex_numIfEPKPS3_EEvT1_iilPiilS8_bb.has_recursion, 0
	.set _ZN9rocsolver6v33100L18getri_kernel_smallILi8E19rocblas_complex_numIfEPKPS3_EEvT1_iilPiilS8_bb.has_indirect_call, 0
	.section	.AMDGPU.csdata,"",@progbits
; Kernel info:
; codeLenInByte = 6240
; TotalNumSgprs: 25
; NumVgprs: 55
; ScratchSize: 80
; MemoryBound: 0
; FloatMode: 240
; IeeeMode: 1
; LDSByteSize: 132 bytes/workgroup (compile time only)
; SGPRBlocks: 3
; VGPRBlocks: 13
; NumSGPRsForWavesPerEU: 25
; NumVGPRsForWavesPerEU: 55
; Occupancy: 4
; WaveLimiterHint : 1
; COMPUTE_PGM_RSRC2:SCRATCH_EN: 1
; COMPUTE_PGM_RSRC2:USER_SGPR: 6
; COMPUTE_PGM_RSRC2:TRAP_HANDLER: 0
; COMPUTE_PGM_RSRC2:TGID_X_EN: 1
; COMPUTE_PGM_RSRC2:TGID_Y_EN: 0
; COMPUTE_PGM_RSRC2:TGID_Z_EN: 0
; COMPUTE_PGM_RSRC2:TIDIG_COMP_CNT: 0
	.section	.text._ZN9rocsolver6v33100L18getri_kernel_smallILi9E19rocblas_complex_numIfEPKPS3_EEvT1_iilPiilS8_bb,"axG",@progbits,_ZN9rocsolver6v33100L18getri_kernel_smallILi9E19rocblas_complex_numIfEPKPS3_EEvT1_iilPiilS8_bb,comdat
	.globl	_ZN9rocsolver6v33100L18getri_kernel_smallILi9E19rocblas_complex_numIfEPKPS3_EEvT1_iilPiilS8_bb ; -- Begin function _ZN9rocsolver6v33100L18getri_kernel_smallILi9E19rocblas_complex_numIfEPKPS3_EEvT1_iilPiilS8_bb
	.p2align	8
	.type	_ZN9rocsolver6v33100L18getri_kernel_smallILi9E19rocblas_complex_numIfEPKPS3_EEvT1_iilPiilS8_bb,@function
_ZN9rocsolver6v33100L18getri_kernel_smallILi9E19rocblas_complex_numIfEPKPS3_EEvT1_iilPiilS8_bb: ; @_ZN9rocsolver6v33100L18getri_kernel_smallILi9E19rocblas_complex_numIfEPKPS3_EEvT1_iilPiilS8_bb
; %bb.0:
	s_add_u32 s0, s0, s7
	s_addc_u32 s1, s1, 0
	v_cmp_gt_u32_e32 vcc, 9, v0
	s_and_saveexec_b64 s[8:9], vcc
	s_cbranch_execz .LBB72_50
; %bb.1:
	s_load_dword s18, s[4:5], 0x38
	s_load_dwordx2 s[12:13], s[4:5], 0x0
	s_load_dwordx4 s[8:11], s[4:5], 0x28
	s_waitcnt lgkmcnt(0)
	s_bitcmp1_b32 s18, 8
	s_cselect_b64 s[14:15], -1, 0
	s_ashr_i32 s7, s6, 31
	s_lshl_b64 s[16:17], s[6:7], 3
	s_add_u32 s12, s12, s16
	s_addc_u32 s13, s13, s17
	s_load_dwordx2 s[16:17], s[12:13], 0x0
	s_bfe_u32 s12, s18, 0x10008
	s_cmp_eq_u32 s12, 0
                                        ; implicit-def: $sgpr12_sgpr13
	s_cbranch_scc1 .LBB72_3
; %bb.2:
	s_load_dword s12, s[4:5], 0x20
	s_load_dwordx2 s[18:19], s[4:5], 0x18
	s_mul_i32 s13, s8, s7
	s_mul_hi_u32 s20, s8, s6
	s_add_i32 s20, s20, s13
	s_mul_i32 s9, s9, s6
	s_add_i32 s9, s20, s9
	s_mul_i32 s8, s8, s6
	s_waitcnt lgkmcnt(0)
	s_ashr_i32 s13, s12, 31
	s_lshl_b64 s[8:9], s[8:9], 2
	s_add_u32 s18, s18, s8
	s_addc_u32 s19, s19, s9
	s_lshl_b64 s[8:9], s[12:13], 2
	s_add_u32 s12, s18, s8
	s_addc_u32 s13, s19, s9
.LBB72_3:
	s_load_dwordx2 s[8:9], s[4:5], 0x8
	s_load_dword s18, s[4:5], 0x38
	v_lshlrev_b32_e32 v21, 3, v0
	s_waitcnt lgkmcnt(0)
	s_ashr_i32 s5, s8, 31
	s_mov_b32 s4, s8
	s_lshl_b64 s[4:5], s[4:5], 3
	s_add_u32 s8, s16, s4
	s_addc_u32 s16, s17, s5
	v_mov_b32_e32 v2, s16
	v_add_co_u32_e32 v1, vcc, s8, v21
	v_addc_co_u32_e32 v2, vcc, 0, v2, vcc
	flat_load_dwordx2 v[5:6], v[1:2]
	s_mov_b32 s4, s9
	s_ashr_i32 s5, s9, 31
	s_lshl_b64 s[4:5], s[4:5], 3
	v_mov_b32_e32 v4, s5
	v_add_co_u32_e32 v3, vcc, s4, v1
	v_addc_co_u32_e32 v4, vcc, v2, v4, vcc
	s_add_i32 s4, s9, s9
	v_add_u32_e32 v9, s4, v0
	v_ashrrev_i32_e32 v10, 31, v9
	v_mov_b32_e32 v11, s16
	v_add_u32_e32 v12, s9, v9
	v_ashrrev_i32_e32 v13, 31, v12
	v_mov_b32_e32 v14, s16
	v_mov_b32_e32 v15, s16
	v_mov_b32_e32 v17, s16
	v_mov_b32_e32 v20, s16
	v_mov_b32_e32 v22, s16
	s_bitcmp0_b32 s18, 0
	s_waitcnt vmcnt(0) lgkmcnt(0)
	buffer_store_dword v6, off, s[0:3], 0 offset:4
	buffer_store_dword v5, off, s[0:3], 0
	flat_load_dwordx2 v[7:8], v[3:4]
	v_lshlrev_b64 v[5:6], 3, v[9:10]
	s_waitcnt vmcnt(0) lgkmcnt(0)
	buffer_store_dword v8, off, s[0:3], 0 offset:12
	buffer_store_dword v7, off, s[0:3], 0 offset:8
	v_add_co_u32_e32 v5, vcc, s8, v5
	v_addc_co_u32_e32 v6, vcc, v11, v6, vcc
	flat_load_dwordx2 v[10:11], v[5:6]
	v_lshlrev_b64 v[7:8], 3, v[12:13]
	s_waitcnt vmcnt(0) lgkmcnt(0)
	buffer_store_dword v11, off, s[0:3], 0 offset:20
	buffer_store_dword v10, off, s[0:3], 0 offset:16
	v_add_co_u32_e32 v7, vcc, s8, v7
	v_addc_co_u32_e32 v8, vcc, v14, v8, vcc
	flat_load_dwordx2 v[13:14], v[7:8]
	v_add_u32_e32 v11, s9, v12
	v_ashrrev_i32_e32 v12, 31, v11
	v_lshlrev_b64 v[9:10], 3, v[11:12]
	s_waitcnt vmcnt(0) lgkmcnt(0)
	buffer_store_dword v14, off, s[0:3], 0 offset:28
	buffer_store_dword v13, off, s[0:3], 0 offset:24
	v_add_co_u32_e32 v9, vcc, s8, v9
	v_addc_co_u32_e32 v10, vcc, v15, v10, vcc
	flat_load_dwordx2 v[13:14], v[9:10]
	v_add_u32_e32 v15, s9, v11
	v_ashrrev_i32_e32 v16, 31, v15
	v_lshlrev_b64 v[11:12], 3, v[15:16]
	v_add_u32_e32 v18, s9, v15
	v_add_co_u32_e32 v11, vcc, s8, v11
	v_addc_co_u32_e32 v12, vcc, v17, v12, vcc
	v_ashrrev_i32_e32 v19, 31, v18
	s_waitcnt vmcnt(0) lgkmcnt(0)
	buffer_store_dword v14, off, s[0:3], 0 offset:36
	buffer_store_dword v13, off, s[0:3], 0 offset:32
	flat_load_dwordx2 v[16:17], v[11:12]
	v_lshlrev_b64 v[13:14], 3, v[18:19]
	s_waitcnt vmcnt(0) lgkmcnt(0)
	buffer_store_dword v17, off, s[0:3], 0 offset:44
	buffer_store_dword v16, off, s[0:3], 0 offset:40
	v_add_co_u32_e32 v13, vcc, s8, v13
	v_addc_co_u32_e32 v14, vcc, v20, v14, vcc
	flat_load_dwordx2 v[19:20], v[13:14]
	v_add_u32_e32 v17, s9, v18
	v_ashrrev_i32_e32 v18, 31, v17
	v_lshlrev_b64 v[15:16], 3, v[17:18]
	v_add_u32_e32 v17, s9, v17
	v_add_co_u32_e32 v15, vcc, s8, v15
	v_addc_co_u32_e32 v16, vcc, v22, v16, vcc
	v_ashrrev_i32_e32 v18, 31, v17
	v_lshlrev_b64 v[17:18], 3, v[17:18]
	s_waitcnt vmcnt(0) lgkmcnt(0)
	buffer_store_dword v20, off, s[0:3], 0 offset:52
	buffer_store_dword v19, off, s[0:3], 0 offset:48
	flat_load_dwordx2 v[19:20], v[15:16]
	v_add_co_u32_e32 v17, vcc, s8, v17
	v_addc_co_u32_e32 v18, vcc, v22, v18, vcc
	s_mov_b64 s[8:9], -1
	s_waitcnt vmcnt(0) lgkmcnt(0)
	buffer_store_dword v20, off, s[0:3], 0 offset:60
	buffer_store_dword v19, off, s[0:3], 0 offset:56
	flat_load_dwordx2 v[19:20], v[17:18]
	s_waitcnt vmcnt(0) lgkmcnt(0)
	buffer_store_dword v20, off, s[0:3], 0 offset:68
	buffer_store_dword v19, off, s[0:3], 0 offset:64
	s_cbranch_scc1 .LBB72_48
; %bb.4:
	v_cmp_eq_u32_e64 s[4:5], 0, v0
	s_and_saveexec_b64 s[8:9], s[4:5]
; %bb.5:
	v_mov_b32_e32 v19, 0
	ds_write_b32 v19, v19 offset:72
; %bb.6:
	s_or_b64 exec, exec, s[8:9]
	v_mov_b32_e32 v19, 0
	v_lshl_add_u32 v23, v0, 3, v19
	s_waitcnt lgkmcnt(0)
	; wave barrier
	buffer_load_dword v19, v23, s[0:3], 0 offen
	buffer_load_dword v20, v23, s[0:3], 0 offen offset:4
	s_waitcnt vmcnt(1)
	v_cmp_eq_f32_e32 vcc, 0, v19
	s_waitcnt vmcnt(0)
	v_cmp_eq_f32_e64 s[8:9], 0, v20
	s_and_b64 s[8:9], vcc, s[8:9]
	s_and_saveexec_b64 s[16:17], s[8:9]
	s_cbranch_execz .LBB72_10
; %bb.7:
	v_mov_b32_e32 v19, 0
	ds_read_b32 v22, v19 offset:72
	v_add_u32_e32 v20, 1, v0
	s_waitcnt lgkmcnt(0)
	v_readfirstlane_b32 s8, v22
	s_cmp_eq_u32 s8, 0
	s_cselect_b64 s[18:19], -1, 0
	v_cmp_gt_i32_e32 vcc, s8, v20
	s_or_b64 s[18:19], s[18:19], vcc
	s_and_b64 exec, exec, s[18:19]
	s_cbranch_execz .LBB72_10
; %bb.8:
	s_mov_b64 s[18:19], 0
	v_mov_b32_e32 v22, s8
.LBB72_9:                               ; =>This Inner Loop Header: Depth=1
	ds_cmpst_rtn_b32 v22, v19, v22, v20 offset:72
	s_waitcnt lgkmcnt(0)
	v_cmp_ne_u32_e32 vcc, 0, v22
	v_cmp_le_i32_e64 s[8:9], v22, v20
	s_and_b64 s[8:9], vcc, s[8:9]
	s_and_b64 s[8:9], exec, s[8:9]
	s_or_b64 s[18:19], s[8:9], s[18:19]
	s_andn2_b64 exec, exec, s[18:19]
	s_cbranch_execnz .LBB72_9
.LBB72_10:
	s_or_b64 exec, exec, s[16:17]
	v_mov_b32_e32 v20, 0
	; wave barrier
	ds_read_b32 v19, v20 offset:72
	s_and_saveexec_b64 s[8:9], s[4:5]
	s_cbranch_execz .LBB72_12
; %bb.11:
	s_lshl_b64 s[16:17], s[6:7], 2
	s_add_u32 s16, s10, s16
	s_addc_u32 s17, s11, s17
	s_waitcnt lgkmcnt(0)
	global_store_dword v20, v19, s[16:17]
.LBB72_12:
	s_or_b64 exec, exec, s[8:9]
	s_waitcnt lgkmcnt(0)
	v_cmp_ne_u32_e32 vcc, 0, v19
	s_mov_b64 s[8:9], 0
	s_cbranch_vccnz .LBB72_48
; %bb.13:
	buffer_load_dword v20, v23, s[0:3], 0 offen
	buffer_load_dword v22, v23, s[0:3], 0 offen offset:4
                                        ; implicit-def: $vgpr25
                                        ; implicit-def: $vgpr24
                                        ; implicit-def: $vgpr19
	s_waitcnt vmcnt(0)
	v_cmp_ngt_f32_e64 s[8:9], |v20|, |v22|
	s_and_saveexec_b64 s[16:17], s[8:9]
	s_xor_b64 s[8:9], exec, s[16:17]
	s_cbranch_execz .LBB72_15
; %bb.14:
	v_div_scale_f32 v19, s[16:17], v22, v22, v20
	v_div_scale_f32 v24, vcc, v20, v22, v20
	v_rcp_f32_e32 v25, v19
	v_fma_f32 v26, -v19, v25, 1.0
	v_fmac_f32_e32 v25, v26, v25
	v_mul_f32_e32 v26, v24, v25
	v_fma_f32 v27, -v19, v26, v24
	v_fmac_f32_e32 v26, v27, v25
	v_fma_f32 v19, -v19, v26, v24
	v_div_fmas_f32 v19, v19, v25, v26
	v_div_fixup_f32 v19, v19, v22, v20
	v_fmac_f32_e32 v22, v20, v19
	v_div_scale_f32 v20, s[16:17], v22, v22, 1.0
	v_div_scale_f32 v24, vcc, 1.0, v22, 1.0
	v_rcp_f32_e32 v25, v20
	v_fma_f32 v26, -v20, v25, 1.0
	v_fmac_f32_e32 v25, v26, v25
	v_mul_f32_e32 v26, v24, v25
	v_fma_f32 v27, -v20, v26, v24
	v_fmac_f32_e32 v26, v27, v25
	v_fma_f32 v20, -v20, v26, v24
	v_div_fmas_f32 v20, v20, v25, v26
	v_div_fixup_f32 v20, v20, v22, 1.0
	v_mul_f32_e32 v25, v19, v20
	v_xor_b32_e32 v24, 0x80000000, v20
	v_xor_b32_e32 v19, 0x80000000, v25
                                        ; implicit-def: $vgpr20
                                        ; implicit-def: $vgpr22
.LBB72_15:
	s_andn2_saveexec_b64 s[8:9], s[8:9]
	s_cbranch_execz .LBB72_17
; %bb.16:
	v_div_scale_f32 v19, s[16:17], v20, v20, v22
	v_div_scale_f32 v24, vcc, v22, v20, v22
	v_rcp_f32_e32 v25, v19
	v_fma_f32 v26, -v19, v25, 1.0
	v_fmac_f32_e32 v25, v26, v25
	v_mul_f32_e32 v26, v24, v25
	v_fma_f32 v27, -v19, v26, v24
	v_fmac_f32_e32 v26, v27, v25
	v_fma_f32 v19, -v19, v26, v24
	v_div_fmas_f32 v19, v19, v25, v26
	v_div_fixup_f32 v24, v19, v20, v22
	v_fmac_f32_e32 v20, v22, v24
	v_div_scale_f32 v19, s[16:17], v20, v20, 1.0
	v_div_scale_f32 v22, vcc, 1.0, v20, 1.0
	v_rcp_f32_e32 v25, v19
	v_fma_f32 v26, -v19, v25, 1.0
	v_fmac_f32_e32 v25, v26, v25
	v_mul_f32_e32 v26, v22, v25
	v_fma_f32 v27, -v19, v26, v22
	v_fmac_f32_e32 v26, v27, v25
	v_fma_f32 v19, -v19, v26, v22
	v_div_fmas_f32 v19, v19, v25, v26
	v_div_fixup_f32 v25, v19, v20, 1.0
	v_xor_b32_e32 v19, 0x80000000, v25
	v_mul_f32_e64 v24, v24, -v25
.LBB72_17:
	s_or_b64 exec, exec, s[8:9]
	buffer_store_dword v25, v23, s[0:3], 0 offen
	buffer_store_dword v24, v23, s[0:3], 0 offen offset:4
	buffer_load_dword v26, off, s[0:3], 0 offset:12
	s_nop 0
	buffer_load_dword v25, off, s[0:3], 0 offset:8
	v_xor_b32_e32 v20, 0x80000000, v24
	v_add_u32_e32 v22, 0x50, v21
	s_waitcnt vmcnt(0)
	ds_write2_b64 v21, v[19:20], v[25:26] offset1:10
	s_waitcnt lgkmcnt(0)
	; wave barrier
	s_and_saveexec_b64 s[8:9], s[4:5]
	s_cbranch_execz .LBB72_19
; %bb.18:
	buffer_load_dword v26, v23, s[0:3], 0 offen offset:4
	buffer_load_dword v27, v23, s[0:3], 0 offen
	ds_read_b64 v[19:20], v22
	v_mov_b32_e32 v24, 0
	ds_read_b64 v[24:25], v24 offset:8
	s_waitcnt vmcnt(1) lgkmcnt(1)
	v_mul_f32_e32 v28, v20, v26
	v_mul_f32_e32 v26, v19, v26
	s_waitcnt vmcnt(0)
	v_fmac_f32_e32 v26, v20, v27
	v_fma_f32 v19, v19, v27, -v28
	v_add_f32_e32 v20, 0, v26
	v_add_f32_e32 v19, 0, v19
	s_waitcnt lgkmcnt(0)
	v_mul_f32_e32 v26, v20, v25
	v_mul_f32_e32 v25, v19, v25
	v_fma_f32 v19, v19, v24, -v26
	v_fmac_f32_e32 v25, v20, v24
	buffer_store_dword v19, off, s[0:3], 0 offset:8
	buffer_store_dword v25, off, s[0:3], 0 offset:12
.LBB72_19:
	s_or_b64 exec, exec, s[8:9]
	; wave barrier
	buffer_load_dword v19, off, s[0:3], 0 offset:16
	buffer_load_dword v20, off, s[0:3], 0 offset:20
	v_cmp_gt_u32_e32 vcc, 2, v0
	s_waitcnt vmcnt(0)
	ds_write_b64 v22, v[19:20]
	s_waitcnt lgkmcnt(0)
	; wave barrier
	s_and_saveexec_b64 s[8:9], vcc
	s_cbranch_execz .LBB72_23
; %bb.20:
	buffer_load_dword v24, v23, s[0:3], 0 offen offset:4
	buffer_load_dword v25, v23, s[0:3], 0 offen
	ds_read_b64 v[19:20], v22
	s_waitcnt vmcnt(1) lgkmcnt(0)
	v_mul_f32_e32 v23, v20, v24
	v_mul_f32_e32 v24, v19, v24
	s_waitcnt vmcnt(0)
	v_fma_f32 v19, v19, v25, -v23
	v_fmac_f32_e32 v24, v20, v25
	v_add_f32_e32 v20, 0, v19
	v_add_f32_e32 v19, 0, v24
	s_and_saveexec_b64 s[16:17], s[4:5]
	s_cbranch_execz .LBB72_22
; %bb.21:
	buffer_load_dword v25, off, s[0:3], 0 offset:12
	buffer_load_dword v26, off, s[0:3], 0 offset:8
	v_mov_b32_e32 v23, 0
	ds_read_b64 v[23:24], v23 offset:88
	s_waitcnt vmcnt(1) lgkmcnt(0)
	v_mul_f32_e32 v27, v23, v25
	v_mul_f32_e32 v25, v24, v25
	s_waitcnt vmcnt(0)
	v_fmac_f32_e32 v27, v24, v26
	v_fma_f32 v23, v23, v26, -v25
	v_add_f32_e32 v19, v19, v27
	v_add_f32_e32 v20, v20, v23
.LBB72_22:
	s_or_b64 exec, exec, s[16:17]
	v_mov_b32_e32 v23, 0
	ds_read_b64 v[23:24], v23 offset:16
	s_waitcnt lgkmcnt(0)
	v_mul_f32_e32 v25, v19, v24
	v_mul_f32_e32 v24, v20, v24
	v_fma_f32 v20, v20, v23, -v25
	v_fmac_f32_e32 v24, v19, v23
	buffer_store_dword v20, off, s[0:3], 0 offset:16
	buffer_store_dword v24, off, s[0:3], 0 offset:20
.LBB72_23:
	s_or_b64 exec, exec, s[8:9]
	; wave barrier
	buffer_load_dword v19, off, s[0:3], 0 offset:24
	buffer_load_dword v20, off, s[0:3], 0 offset:28
	v_cmp_gt_u32_e32 vcc, 3, v0
	s_waitcnt vmcnt(0)
	ds_write_b64 v22, v[19:20]
	v_add_u32_e32 v19, -1, v0
	s_waitcnt lgkmcnt(0)
	; wave barrier
	s_and_saveexec_b64 s[4:5], vcc
	s_cbranch_execz .LBB72_27
; %bb.24:
	v_add_u32_e32 v23, -1, v0
	v_add_u32_e32 v24, 0x50, v21
	v_mov_b32_e32 v25, v21
	v_mov_b32_e32 v20, 0
	s_mov_b64 s[8:9], 0
	v_mov_b32_e32 v26, 0
.LBB72_25:                              ; =>This Inner Loop Header: Depth=1
	buffer_load_dword v29, v25, s[0:3], 0 offen offset:4
	buffer_load_dword v30, v25, s[0:3], 0 offen
	ds_read_b64 v[27:28], v24
	v_add_u32_e32 v23, 1, v23
	v_cmp_lt_u32_e32 vcc, 1, v23
	v_add_u32_e32 v24, 8, v24
	v_add_u32_e32 v25, 8, v25
	s_or_b64 s[8:9], vcc, s[8:9]
	s_waitcnt vmcnt(1) lgkmcnt(0)
	v_mul_f32_e32 v31, v28, v29
	v_mul_f32_e32 v29, v27, v29
	s_waitcnt vmcnt(0)
	v_fma_f32 v27, v27, v30, -v31
	v_fmac_f32_e32 v29, v28, v30
	v_add_f32_e32 v26, v26, v27
	v_add_f32_e32 v20, v20, v29
	s_andn2_b64 exec, exec, s[8:9]
	s_cbranch_execnz .LBB72_25
; %bb.26:
	s_or_b64 exec, exec, s[8:9]
	v_mov_b32_e32 v23, 0
	ds_read_b64 v[23:24], v23 offset:24
	s_waitcnt lgkmcnt(0)
	v_mul_f32_e32 v25, v20, v24
	v_mul_f32_e32 v24, v26, v24
	v_fma_f32 v25, v26, v23, -v25
	v_fmac_f32_e32 v24, v20, v23
	buffer_store_dword v25, off, s[0:3], 0 offset:24
	buffer_store_dword v24, off, s[0:3], 0 offset:28
.LBB72_27:
	s_or_b64 exec, exec, s[4:5]
	; wave barrier
	buffer_load_dword v23, off, s[0:3], 0 offset:32
	buffer_load_dword v24, off, s[0:3], 0 offset:36
	v_cmp_gt_u32_e32 vcc, 4, v0
	s_waitcnt vmcnt(0)
	ds_write_b64 v22, v[23:24]
	s_waitcnt lgkmcnt(0)
	; wave barrier
	s_and_saveexec_b64 s[4:5], vcc
	s_cbranch_execz .LBB72_31
; %bb.28:
	v_add_u32_e32 v23, -1, v0
	v_add_u32_e32 v24, 0x50, v21
	v_mov_b32_e32 v25, v21
	v_mov_b32_e32 v20, 0
	s_mov_b64 s[8:9], 0
	v_mov_b32_e32 v26, 0
.LBB72_29:                              ; =>This Inner Loop Header: Depth=1
	buffer_load_dword v29, v25, s[0:3], 0 offen offset:4
	buffer_load_dword v30, v25, s[0:3], 0 offen
	ds_read_b64 v[27:28], v24
	v_add_u32_e32 v23, 1, v23
	v_cmp_lt_u32_e32 vcc, 2, v23
	v_add_u32_e32 v24, 8, v24
	v_add_u32_e32 v25, 8, v25
	s_or_b64 s[8:9], vcc, s[8:9]
	s_waitcnt vmcnt(1) lgkmcnt(0)
	v_mul_f32_e32 v31, v28, v29
	v_mul_f32_e32 v29, v27, v29
	s_waitcnt vmcnt(0)
	v_fma_f32 v27, v27, v30, -v31
	v_fmac_f32_e32 v29, v28, v30
	v_add_f32_e32 v26, v26, v27
	v_add_f32_e32 v20, v20, v29
	s_andn2_b64 exec, exec, s[8:9]
	s_cbranch_execnz .LBB72_29
; %bb.30:
	s_or_b64 exec, exec, s[8:9]
	v_mov_b32_e32 v23, 0
	ds_read_b64 v[23:24], v23 offset:32
	s_waitcnt lgkmcnt(0)
	v_mul_f32_e32 v25, v20, v24
	v_mul_f32_e32 v24, v26, v24
	v_fma_f32 v25, v26, v23, -v25
	v_fmac_f32_e32 v24, v20, v23
	buffer_store_dword v25, off, s[0:3], 0 offset:32
	buffer_store_dword v24, off, s[0:3], 0 offset:36
.LBB72_31:
	s_or_b64 exec, exec, s[4:5]
	; wave barrier
	buffer_load_dword v23, off, s[0:3], 0 offset:40
	buffer_load_dword v24, off, s[0:3], 0 offset:44
	v_cmp_gt_u32_e32 vcc, 5, v0
	s_waitcnt vmcnt(0)
	ds_write_b64 v22, v[23:24]
	;; [unrolled: 49-line block ×4, first 2 shown]
	s_waitcnt lgkmcnt(0)
	; wave barrier
	s_and_saveexec_b64 s[4:5], vcc
	s_cbranch_execz .LBB72_43
; %bb.40:
	v_add_u32_e32 v23, -1, v0
	v_add_u32_e32 v24, 0x50, v21
	v_mov_b32_e32 v25, v21
	v_mov_b32_e32 v20, 0
	s_mov_b64 s[8:9], 0
	v_mov_b32_e32 v26, 0
.LBB72_41:                              ; =>This Inner Loop Header: Depth=1
	buffer_load_dword v29, v25, s[0:3], 0 offen offset:4
	buffer_load_dword v30, v25, s[0:3], 0 offen
	ds_read_b64 v[27:28], v24
	v_add_u32_e32 v23, 1, v23
	v_cmp_lt_u32_e32 vcc, 5, v23
	v_add_u32_e32 v24, 8, v24
	v_add_u32_e32 v25, 8, v25
	s_or_b64 s[8:9], vcc, s[8:9]
	s_waitcnt vmcnt(1) lgkmcnt(0)
	v_mul_f32_e32 v31, v28, v29
	v_mul_f32_e32 v29, v27, v29
	s_waitcnt vmcnt(0)
	v_fma_f32 v27, v27, v30, -v31
	v_fmac_f32_e32 v29, v28, v30
	v_add_f32_e32 v26, v26, v27
	v_add_f32_e32 v20, v20, v29
	s_andn2_b64 exec, exec, s[8:9]
	s_cbranch_execnz .LBB72_41
; %bb.42:
	s_or_b64 exec, exec, s[8:9]
	v_mov_b32_e32 v23, 0
	ds_read_b64 v[23:24], v23 offset:56
	s_waitcnt lgkmcnt(0)
	v_mul_f32_e32 v25, v20, v24
	v_mul_f32_e32 v24, v26, v24
	v_fma_f32 v25, v26, v23, -v25
	v_fmac_f32_e32 v24, v20, v23
	buffer_store_dword v25, off, s[0:3], 0 offset:56
	buffer_store_dword v24, off, s[0:3], 0 offset:60
.LBB72_43:
	s_or_b64 exec, exec, s[4:5]
	; wave barrier
	buffer_load_dword v23, off, s[0:3], 0 offset:64
	buffer_load_dword v24, off, s[0:3], 0 offset:68
	v_cmp_ne_u32_e32 vcc, 8, v0
	s_waitcnt vmcnt(0)
	ds_write_b64 v22, v[23:24]
	s_waitcnt lgkmcnt(0)
	; wave barrier
	s_and_saveexec_b64 s[4:5], vcc
	s_cbranch_execz .LBB72_47
; %bb.44:
	v_add_u32_e32 v22, 0x50, v21
	v_mov_b32_e32 v20, 0
	s_mov_b64 s[8:9], 0
	v_mov_b32_e32 v23, 0
.LBB72_45:                              ; =>This Inner Loop Header: Depth=1
	buffer_load_dword v26, v21, s[0:3], 0 offen offset:4
	buffer_load_dword v27, v21, s[0:3], 0 offen
	ds_read_b64 v[24:25], v22
	v_add_u32_e32 v19, 1, v19
	v_cmp_lt_u32_e32 vcc, 6, v19
	v_add_u32_e32 v22, 8, v22
	v_add_u32_e32 v21, 8, v21
	s_or_b64 s[8:9], vcc, s[8:9]
	s_waitcnt vmcnt(1) lgkmcnt(0)
	v_mul_f32_e32 v28, v25, v26
	v_mul_f32_e32 v26, v24, v26
	s_waitcnt vmcnt(0)
	v_fma_f32 v24, v24, v27, -v28
	v_fmac_f32_e32 v26, v25, v27
	v_add_f32_e32 v23, v23, v24
	v_add_f32_e32 v20, v20, v26
	s_andn2_b64 exec, exec, s[8:9]
	s_cbranch_execnz .LBB72_45
; %bb.46:
	s_or_b64 exec, exec, s[8:9]
	v_mov_b32_e32 v19, 0
	ds_read_b64 v[21:22], v19 offset:64
	s_waitcnt lgkmcnt(0)
	v_mul_f32_e32 v19, v20, v22
	v_mul_f32_e32 v22, v23, v22
	v_fma_f32 v19, v23, v21, -v19
	v_fmac_f32_e32 v22, v20, v21
	buffer_store_dword v19, off, s[0:3], 0 offset:64
	buffer_store_dword v22, off, s[0:3], 0 offset:68
.LBB72_47:
	s_or_b64 exec, exec, s[4:5]
	s_mov_b64 s[8:9], -1
	; wave barrier
.LBB72_48:
	s_and_b64 vcc, exec, s[8:9]
	s_cbranch_vccz .LBB72_50
; %bb.49:
	s_lshl_b64 s[4:5], s[6:7], 2
	s_add_u32 s4, s10, s4
	s_addc_u32 s5, s11, s5
	v_mov_b32_e32 v19, 0
	global_load_dword v19, v19, s[4:5]
	s_waitcnt vmcnt(0)
	v_cmp_ne_u32_e32 vcc, 0, v19
	s_cbranch_vccz .LBB72_51
.LBB72_50:
	s_endpgm
.LBB72_51:
	v_mov_b32_e32 v19, 0x50
	v_lshl_add_u32 v19, v0, 3, v19
	v_cmp_eq_u32_e32 vcc, 8, v0
	s_and_saveexec_b64 s[4:5], vcc
	s_cbranch_execz .LBB72_53
; %bb.52:
	buffer_load_dword v20, off, s[0:3], 0 offset:56
	buffer_load_dword v21, off, s[0:3], 0 offset:60
	v_mov_b32_e32 v22, 0
	buffer_store_dword v22, off, s[0:3], 0 offset:56
	buffer_store_dword v22, off, s[0:3], 0 offset:60
	s_waitcnt vmcnt(2)
	ds_write_b64 v19, v[20:21]
.LBB72_53:
	s_or_b64 exec, exec, s[4:5]
	s_waitcnt lgkmcnt(0)
	; wave barrier
	buffer_load_dword v23, off, s[0:3], 0 offset:68
	buffer_load_dword v24, off, s[0:3], 0 offset:64
	;; [unrolled: 1-line block ×4, first 2 shown]
	v_mov_b32_e32 v20, 0
	ds_read_b64 v[21:22], v20 offset:144
	v_cmp_lt_u32_e32 vcc, 6, v0
	s_waitcnt vmcnt(3) lgkmcnt(0)
	v_mul_f32_e32 v27, v21, v23
	v_mul_f32_e32 v23, v22, v23
	s_waitcnt vmcnt(2)
	v_fma_f32 v21, v21, v24, -v23
	v_fmac_f32_e32 v27, v22, v24
	v_add_f32_e32 v21, 0, v21
	v_add_f32_e32 v22, 0, v27
	s_waitcnt vmcnt(1)
	v_sub_f32_e32 v21, v25, v21
	s_waitcnt vmcnt(0)
	v_sub_f32_e32 v22, v26, v22
	buffer_store_dword v21, off, s[0:3], 0 offset:56
	buffer_store_dword v22, off, s[0:3], 0 offset:60
	s_and_saveexec_b64 s[4:5], vcc
	s_cbranch_execz .LBB72_55
; %bb.54:
	buffer_load_dword v21, off, s[0:3], 0 offset:48
	buffer_load_dword v22, off, s[0:3], 0 offset:52
	s_waitcnt vmcnt(0)
	ds_write_b64 v19, v[21:22]
	buffer_store_dword v20, off, s[0:3], 0 offset:48
	buffer_store_dword v20, off, s[0:3], 0 offset:52
.LBB72_55:
	s_or_b64 exec, exec, s[4:5]
	s_waitcnt lgkmcnt(0)
	; wave barrier
	buffer_load_dword v24, off, s[0:3], 0 offset:60
	buffer_load_dword v25, off, s[0:3], 0 offset:68
	;; [unrolled: 1-line block ×6, first 2 shown]
	ds_read2_b64 v[20:23], v20 offset0:17 offset1:18
	v_cmp_lt_u32_e32 vcc, 5, v0
	s_waitcnt vmcnt(5) lgkmcnt(0)
	v_mul_f32_e32 v30, v20, v24
	v_mul_f32_e32 v24, v21, v24
	s_waitcnt vmcnt(4)
	v_mul_f32_e32 v31, v22, v25
	v_mul_f32_e32 v25, v23, v25
	s_waitcnt vmcnt(3)
	v_fma_f32 v20, v20, v26, -v24
	v_fmac_f32_e32 v30, v21, v26
	s_waitcnt vmcnt(2)
	v_fma_f32 v21, v22, v27, -v25
	v_add_f32_e32 v20, 0, v20
	v_fmac_f32_e32 v31, v23, v27
	v_add_f32_e32 v22, 0, v30
	v_add_f32_e32 v20, v20, v21
	;; [unrolled: 1-line block ×3, first 2 shown]
	s_waitcnt vmcnt(1)
	v_sub_f32_e32 v20, v28, v20
	s_waitcnt vmcnt(0)
	v_sub_f32_e32 v21, v29, v22
	buffer_store_dword v20, off, s[0:3], 0 offset:48
	buffer_store_dword v21, off, s[0:3], 0 offset:52
	s_and_saveexec_b64 s[4:5], vcc
	s_cbranch_execz .LBB72_57
; %bb.56:
	buffer_load_dword v20, off, s[0:3], 0 offset:40
	buffer_load_dword v21, off, s[0:3], 0 offset:44
	v_mov_b32_e32 v22, 0
	buffer_store_dword v22, off, s[0:3], 0 offset:40
	buffer_store_dword v22, off, s[0:3], 0 offset:44
	s_waitcnt vmcnt(2)
	ds_write_b64 v19, v[20:21]
.LBB72_57:
	s_or_b64 exec, exec, s[4:5]
	s_waitcnt lgkmcnt(0)
	; wave barrier
	buffer_load_dword v27, off, s[0:3], 0 offset:52
	buffer_load_dword v28, off, s[0:3], 0 offset:60
	;; [unrolled: 1-line block ×8, first 2 shown]
	v_mov_b32_e32 v20, 0
	ds_read_b128 v[21:24], v20 offset:128
	ds_read_b64 v[25:26], v20 offset:144
	v_cmp_lt_u32_e32 vcc, 4, v0
	s_waitcnt vmcnt(7) lgkmcnt(1)
	v_mul_f32_e32 v35, v21, v27
	v_mul_f32_e32 v27, v22, v27
	s_waitcnt vmcnt(6)
	v_mul_f32_e32 v36, v23, v28
	v_mul_f32_e32 v28, v24, v28
	s_waitcnt vmcnt(4)
	v_fma_f32 v21, v21, v30, -v27
	s_waitcnt lgkmcnt(0)
	v_mul_f32_e32 v37, v25, v29
	v_mul_f32_e32 v29, v26, v29
	v_fmac_f32_e32 v35, v22, v30
	s_waitcnt vmcnt(3)
	v_fma_f32 v22, v23, v31, -v28
	v_add_f32_e32 v21, 0, v21
	v_fmac_f32_e32 v36, v24, v31
	s_waitcnt vmcnt(2)
	v_fma_f32 v23, v25, v32, -v29
	v_add_f32_e32 v24, 0, v35
	v_add_f32_e32 v21, v21, v22
	v_fmac_f32_e32 v37, v26, v32
	v_add_f32_e32 v24, v24, v36
	v_add_f32_e32 v21, v21, v23
	;; [unrolled: 1-line block ×3, first 2 shown]
	s_waitcnt vmcnt(1)
	v_sub_f32_e32 v21, v33, v21
	s_waitcnt vmcnt(0)
	v_sub_f32_e32 v22, v34, v22
	buffer_store_dword v21, off, s[0:3], 0 offset:40
	buffer_store_dword v22, off, s[0:3], 0 offset:44
	s_and_saveexec_b64 s[4:5], vcc
	s_cbranch_execz .LBB72_59
; %bb.58:
	buffer_load_dword v21, off, s[0:3], 0 offset:32
	buffer_load_dword v22, off, s[0:3], 0 offset:36
	s_waitcnt vmcnt(0)
	ds_write_b64 v19, v[21:22]
	buffer_store_dword v20, off, s[0:3], 0 offset:32
	buffer_store_dword v20, off, s[0:3], 0 offset:36
.LBB72_59:
	s_or_b64 exec, exec, s[4:5]
	s_waitcnt lgkmcnt(0)
	; wave barrier
	buffer_load_dword v29, off, s[0:3], 0 offset:44
	buffer_load_dword v30, off, s[0:3], 0 offset:52
	buffer_load_dword v31, off, s[0:3], 0 offset:60
	buffer_load_dword v32, off, s[0:3], 0 offset:68
	buffer_load_dword v33, off, s[0:3], 0 offset:40
	buffer_load_dword v34, off, s[0:3], 0 offset:48
	buffer_load_dword v35, off, s[0:3], 0 offset:56
	buffer_load_dword v36, off, s[0:3], 0 offset:64
	buffer_load_dword v37, off, s[0:3], 0 offset:32
	buffer_load_dword v38, off, s[0:3], 0 offset:36
	ds_read2_b64 v[21:24], v20 offset0:15 offset1:16
	ds_read2_b64 v[25:28], v20 offset0:17 offset1:18
	v_cmp_lt_u32_e32 vcc, 3, v0
	s_waitcnt vmcnt(9) lgkmcnt(1)
	v_mul_f32_e32 v20, v21, v29
	v_mul_f32_e32 v29, v22, v29
	s_waitcnt vmcnt(8)
	v_mul_f32_e32 v39, v23, v30
	v_mul_f32_e32 v30, v24, v30
	s_waitcnt vmcnt(5)
	v_fma_f32 v21, v21, v33, -v29
	s_waitcnt lgkmcnt(0)
	v_mul_f32_e32 v40, v25, v31
	v_mul_f32_e32 v31, v26, v31
	v_fmac_f32_e32 v20, v22, v33
	s_waitcnt vmcnt(4)
	v_fma_f32 v22, v23, v34, -v30
	v_add_f32_e32 v21, 0, v21
	v_mul_f32_e32 v41, v27, v32
	v_mul_f32_e32 v32, v28, v32
	v_fmac_f32_e32 v39, v24, v34
	s_waitcnt vmcnt(3)
	v_fma_f32 v23, v25, v35, -v31
	v_add_f32_e32 v20, 0, v20
	v_add_f32_e32 v21, v21, v22
	v_fmac_f32_e32 v40, v26, v35
	s_waitcnt vmcnt(2)
	v_fma_f32 v24, v27, v36, -v32
	v_add_f32_e32 v20, v20, v39
	v_add_f32_e32 v21, v21, v23
	v_fmac_f32_e32 v41, v28, v36
	v_add_f32_e32 v20, v20, v40
	v_add_f32_e32 v21, v21, v24
	;; [unrolled: 1-line block ×3, first 2 shown]
	s_waitcnt vmcnt(1)
	v_sub_f32_e32 v21, v37, v21
	s_waitcnt vmcnt(0)
	v_sub_f32_e32 v20, v38, v20
	buffer_store_dword v21, off, s[0:3], 0 offset:32
	buffer_store_dword v20, off, s[0:3], 0 offset:36
	s_and_saveexec_b64 s[4:5], vcc
	s_cbranch_execz .LBB72_61
; %bb.60:
	buffer_load_dword v20, off, s[0:3], 0 offset:24
	buffer_load_dword v21, off, s[0:3], 0 offset:28
	v_mov_b32_e32 v22, 0
	buffer_store_dword v22, off, s[0:3], 0 offset:24
	buffer_store_dword v22, off, s[0:3], 0 offset:28
	s_waitcnt vmcnt(2)
	ds_write_b64 v19, v[20:21]
.LBB72_61:
	s_or_b64 exec, exec, s[4:5]
	s_waitcnt lgkmcnt(0)
	; wave barrier
	buffer_load_dword v31, off, s[0:3], 0 offset:36
	buffer_load_dword v32, off, s[0:3], 0 offset:44
	buffer_load_dword v33, off, s[0:3], 0 offset:52
	buffer_load_dword v34, off, s[0:3], 0 offset:60
	buffer_load_dword v35, off, s[0:3], 0 offset:68
	buffer_load_dword v36, off, s[0:3], 0 offset:32
	buffer_load_dword v37, off, s[0:3], 0 offset:40
	buffer_load_dword v38, off, s[0:3], 0 offset:48
	buffer_load_dword v39, off, s[0:3], 0 offset:56
	buffer_load_dword v40, off, s[0:3], 0 offset:64
	buffer_load_dword v41, off, s[0:3], 0 offset:24
	buffer_load_dword v42, off, s[0:3], 0 offset:28
	v_mov_b32_e32 v20, 0
	ds_read_b128 v[21:24], v20 offset:112
	ds_read_b128 v[25:28], v20 offset:128
	ds_read_b64 v[29:30], v20 offset:144
	v_cmp_lt_u32_e32 vcc, 2, v0
	s_waitcnt vmcnt(11) lgkmcnt(2)
	v_mul_f32_e32 v43, v21, v31
	v_mul_f32_e32 v31, v22, v31
	s_waitcnt vmcnt(10)
	v_mul_f32_e32 v44, v23, v32
	v_mul_f32_e32 v32, v24, v32
	s_waitcnt vmcnt(9) lgkmcnt(1)
	v_mul_f32_e32 v45, v25, v33
	s_waitcnt vmcnt(6)
	v_fma_f32 v21, v21, v36, -v31
	v_mul_f32_e32 v33, v26, v33
	v_fmac_f32_e32 v43, v22, v36
	s_waitcnt vmcnt(5)
	v_fma_f32 v22, v23, v37, -v32
	v_add_f32_e32 v21, 0, v21
	v_mul_f32_e32 v46, v27, v34
	v_mul_f32_e32 v34, v28, v34
	v_fmac_f32_e32 v44, v24, v37
	s_waitcnt vmcnt(4)
	v_fmac_f32_e32 v45, v26, v38
	v_fma_f32 v23, v25, v38, -v33
	v_add_f32_e32 v26, 0, v43
	v_add_f32_e32 v21, v21, v22
	s_waitcnt lgkmcnt(0)
	v_mul_f32_e32 v47, v29, v35
	v_mul_f32_e32 v35, v30, v35
	s_waitcnt vmcnt(3)
	v_fma_f32 v24, v27, v39, -v34
	v_add_f32_e32 v26, v26, v44
	v_add_f32_e32 v21, v21, v23
	v_fmac_f32_e32 v46, v28, v39
	s_waitcnt vmcnt(2)
	v_fma_f32 v25, v29, v40, -v35
	v_add_f32_e32 v22, v26, v45
	v_add_f32_e32 v21, v21, v24
	v_fmac_f32_e32 v47, v30, v40
	v_add_f32_e32 v22, v22, v46
	v_add_f32_e32 v21, v21, v25
	;; [unrolled: 1-line block ×3, first 2 shown]
	s_waitcnt vmcnt(1)
	v_sub_f32_e32 v21, v41, v21
	s_waitcnt vmcnt(0)
	v_sub_f32_e32 v22, v42, v22
	buffer_store_dword v21, off, s[0:3], 0 offset:24
	buffer_store_dword v22, off, s[0:3], 0 offset:28
	s_and_saveexec_b64 s[4:5], vcc
	s_cbranch_execz .LBB72_63
; %bb.62:
	buffer_load_dword v21, off, s[0:3], 0 offset:16
	buffer_load_dword v22, off, s[0:3], 0 offset:20
	s_waitcnt vmcnt(0)
	ds_write_b64 v19, v[21:22]
	buffer_store_dword v20, off, s[0:3], 0 offset:16
	buffer_store_dword v20, off, s[0:3], 0 offset:20
.LBB72_63:
	s_or_b64 exec, exec, s[4:5]
	s_waitcnt lgkmcnt(0)
	; wave barrier
	buffer_load_dword v33, off, s[0:3], 0 offset:28
	buffer_load_dword v34, off, s[0:3], 0 offset:36
	;; [unrolled: 1-line block ×14, first 2 shown]
	ds_read2_b64 v[21:24], v20 offset0:13 offset1:14
	ds_read2_b64 v[25:28], v20 offset0:15 offset1:16
	;; [unrolled: 1-line block ×3, first 2 shown]
	v_cmp_lt_u32_e32 vcc, 1, v0
	s_waitcnt vmcnt(13) lgkmcnt(2)
	v_mul_f32_e32 v20, v21, v33
	v_mul_f32_e32 v33, v22, v33
	s_waitcnt vmcnt(12)
	v_mul_f32_e32 v47, v23, v34
	v_mul_f32_e32 v34, v24, v34
	s_waitcnt vmcnt(11) lgkmcnt(1)
	v_mul_f32_e32 v48, v25, v35
	v_mul_f32_e32 v35, v26, v35
	s_waitcnt vmcnt(7)
	v_fma_f32 v21, v21, v39, -v33
	v_fmac_f32_e32 v20, v22, v39
	s_waitcnt vmcnt(6)
	v_fma_f32 v22, v23, v40, -v34
	v_add_f32_e32 v21, 0, v21
	v_mul_f32_e32 v49, v27, v36
	v_mul_f32_e32 v36, v28, v36
	v_fmac_f32_e32 v47, v24, v40
	s_waitcnt vmcnt(5)
	v_fma_f32 v23, v25, v41, -v35
	v_add_f32_e32 v20, 0, v20
	v_add_f32_e32 v21, v21, v22
	s_waitcnt lgkmcnt(0)
	v_mul_f32_e32 v50, v29, v37
	v_mul_f32_e32 v37, v30, v37
	v_fmac_f32_e32 v48, v26, v41
	s_waitcnt vmcnt(4)
	v_fma_f32 v24, v27, v42, -v36
	v_add_f32_e32 v20, v20, v47
	v_add_f32_e32 v21, v21, v23
	v_mul_f32_e32 v51, v31, v38
	v_mul_f32_e32 v38, v32, v38
	v_fmac_f32_e32 v49, v28, v42
	s_waitcnt vmcnt(3)
	v_fma_f32 v25, v29, v43, -v37
	v_add_f32_e32 v20, v20, v48
	v_add_f32_e32 v21, v21, v24
	v_fmac_f32_e32 v50, v30, v43
	s_waitcnt vmcnt(2)
	v_fma_f32 v26, v31, v44, -v38
	v_add_f32_e32 v20, v20, v49
	v_add_f32_e32 v21, v21, v25
	v_fmac_f32_e32 v51, v32, v44
	v_add_f32_e32 v20, v20, v50
	v_add_f32_e32 v21, v21, v26
	;; [unrolled: 1-line block ×3, first 2 shown]
	s_waitcnt vmcnt(1)
	v_sub_f32_e32 v21, v45, v21
	s_waitcnt vmcnt(0)
	v_sub_f32_e32 v20, v46, v20
	buffer_store_dword v21, off, s[0:3], 0 offset:16
	buffer_store_dword v20, off, s[0:3], 0 offset:20
	s_and_saveexec_b64 s[4:5], vcc
	s_cbranch_execz .LBB72_65
; %bb.64:
	buffer_load_dword v20, off, s[0:3], 0 offset:8
	buffer_load_dword v21, off, s[0:3], 0 offset:12
	v_mov_b32_e32 v22, 0
	buffer_store_dword v22, off, s[0:3], 0 offset:8
	buffer_store_dword v22, off, s[0:3], 0 offset:12
	s_waitcnt vmcnt(2)
	ds_write_b64 v19, v[20:21]
.LBB72_65:
	s_or_b64 exec, exec, s[4:5]
	s_waitcnt lgkmcnt(0)
	; wave barrier
	buffer_load_dword v35, off, s[0:3], 0 offset:20
	buffer_load_dword v36, off, s[0:3], 0 offset:28
	;; [unrolled: 1-line block ×16, first 2 shown]
	v_mov_b32_e32 v20, 0
	ds_read_b128 v[21:24], v20 offset:96
	ds_read_b128 v[25:28], v20 offset:112
	;; [unrolled: 1-line block ×3, first 2 shown]
	ds_read_b64 v[33:34], v20 offset:144
	v_cmp_ne_u32_e32 vcc, 0, v0
	s_waitcnt vmcnt(15) lgkmcnt(3)
	v_mul_f32_e32 v51, v21, v35
	v_mul_f32_e32 v35, v22, v35
	s_waitcnt vmcnt(14)
	v_mul_f32_e32 v52, v23, v36
	v_mul_f32_e32 v36, v24, v36
	s_waitcnt vmcnt(13) lgkmcnt(2)
	v_mul_f32_e32 v53, v25, v37
	s_waitcnt vmcnt(12)
	v_mul_f32_e32 v54, v27, v38
	v_mul_f32_e32 v37, v26, v37
	s_waitcnt vmcnt(8)
	v_fma_f32 v21, v21, v42, -v35
	v_fmac_f32_e32 v51, v22, v42
	s_waitcnt vmcnt(7)
	v_fma_f32 v22, v23, v43, -v36
	v_add_f32_e32 v21, 0, v21
	v_mul_f32_e32 v38, v28, v38
	v_fmac_f32_e32 v52, v24, v43
	s_waitcnt vmcnt(5)
	v_fmac_f32_e32 v54, v28, v45
	v_fma_f32 v23, v25, v44, -v37
	v_add_f32_e32 v28, 0, v51
	v_add_f32_e32 v21, v21, v22
	s_waitcnt lgkmcnt(1)
	v_mul_f32_e32 v55, v29, v39
	v_mul_f32_e32 v39, v30, v39
	v_fmac_f32_e32 v53, v26, v44
	v_fma_f32 v24, v27, v45, -v38
	v_add_f32_e32 v28, v28, v52
	v_add_f32_e32 v21, v21, v23
	v_mul_f32_e32 v56, v31, v40
	v_mul_f32_e32 v40, v32, v40
	s_waitcnt vmcnt(4)
	v_fma_f32 v25, v29, v46, -v39
	v_add_f32_e32 v22, v28, v53
	v_add_f32_e32 v21, v21, v24
	s_waitcnt lgkmcnt(0)
	v_mul_f32_e32 v57, v33, v41
	v_mul_f32_e32 v41, v34, v41
	v_fmac_f32_e32 v55, v30, v46
	s_waitcnt vmcnt(3)
	v_fma_f32 v26, v31, v47, -v40
	v_add_f32_e32 v22, v22, v54
	v_add_f32_e32 v21, v21, v25
	v_fmac_f32_e32 v56, v32, v47
	s_waitcnt vmcnt(2)
	v_fma_f32 v27, v33, v48, -v41
	v_add_f32_e32 v22, v22, v55
	v_add_f32_e32 v21, v21, v26
	v_fmac_f32_e32 v57, v34, v48
	v_add_f32_e32 v22, v22, v56
	v_add_f32_e32 v21, v21, v27
	;; [unrolled: 1-line block ×3, first 2 shown]
	s_waitcnt vmcnt(1)
	v_sub_f32_e32 v21, v49, v21
	s_waitcnt vmcnt(0)
	v_sub_f32_e32 v22, v50, v22
	buffer_store_dword v21, off, s[0:3], 0 offset:8
	buffer_store_dword v22, off, s[0:3], 0 offset:12
	s_and_saveexec_b64 s[4:5], vcc
	s_cbranch_execz .LBB72_67
; %bb.66:
	buffer_load_dword v21, off, s[0:3], 0
	buffer_load_dword v22, off, s[0:3], 0 offset:4
	s_waitcnt vmcnt(0)
	ds_write_b64 v19, v[21:22]
	buffer_store_dword v20, off, s[0:3], 0
	buffer_store_dword v20, off, s[0:3], 0 offset:4
.LBB72_67:
	s_or_b64 exec, exec, s[4:5]
	s_waitcnt lgkmcnt(0)
	; wave barrier
	buffer_load_dword v37, off, s[0:3], 0 offset:12
	buffer_load_dword v38, off, s[0:3], 0 offset:20
	;; [unrolled: 1-line block ×16, first 2 shown]
	buffer_load_dword v51, off, s[0:3], 0
	buffer_load_dword v52, off, s[0:3], 0 offset:4
	ds_read2_b64 v[21:24], v20 offset0:11 offset1:12
	ds_read2_b64 v[25:28], v20 offset0:13 offset1:14
	;; [unrolled: 1-line block ×4, first 2 shown]
	s_and_b64 vcc, exec, s[14:15]
	s_waitcnt vmcnt(17) lgkmcnt(3)
	v_mul_f32_e32 v20, v21, v37
	v_mul_f32_e32 v37, v22, v37
	s_waitcnt vmcnt(16)
	v_mul_f32_e32 v53, v23, v38
	v_mul_f32_e32 v38, v24, v38
	s_waitcnt vmcnt(15) lgkmcnt(2)
	v_mul_f32_e32 v54, v25, v39
	v_mul_f32_e32 v39, v26, v39
	s_waitcnt vmcnt(14)
	v_mul_f32_e32 v55, v27, v40
	v_mul_f32_e32 v40, v28, v40
	s_waitcnt vmcnt(9)
	v_fma_f32 v21, v21, v44, -v37
	v_fmac_f32_e32 v20, v22, v44
	s_waitcnt vmcnt(8)
	v_fma_f32 v22, v23, v45, -v38
	v_add_f32_e32 v21, 0, v21
	v_fmac_f32_e32 v53, v24, v45
	s_waitcnt vmcnt(7)
	v_fma_f32 v23, v25, v46, -v39
	v_add_f32_e32 v20, 0, v20
	v_add_f32_e32 v21, v21, v22
	s_waitcnt lgkmcnt(1)
	v_mul_f32_e32 v56, v29, v41
	v_mul_f32_e32 v41, v30, v41
	v_fmac_f32_e32 v54, v26, v46
	s_waitcnt vmcnt(6)
	v_fma_f32 v24, v27, v47, -v40
	v_add_f32_e32 v20, v20, v53
	v_add_f32_e32 v21, v21, v23
	v_mul_f32_e32 v57, v31, v42
	v_mul_f32_e32 v42, v32, v42
	v_fmac_f32_e32 v55, v28, v47
	s_waitcnt vmcnt(5)
	v_fma_f32 v25, v29, v48, -v41
	v_add_f32_e32 v20, v20, v54
	v_add_f32_e32 v21, v21, v24
	s_waitcnt lgkmcnt(0)
	v_mul_f32_e32 v60, v34, v0
	v_fmac_f32_e32 v56, v30, v48
	s_waitcnt vmcnt(4)
	v_fma_f32 v26, v31, v49, -v42
	v_add_f32_e32 v20, v20, v55
	v_add_f32_e32 v21, v21, v25
	v_mul_f32_e32 v58, v33, v0
	v_mul_f32_e32 v59, v35, v43
	;; [unrolled: 1-line block ×3, first 2 shown]
	v_fmac_f32_e32 v57, v32, v49
	s_waitcnt vmcnt(3)
	v_fma_f32 v27, v33, v19, -v60
	v_add_f32_e32 v20, v20, v56
	v_add_f32_e32 v21, v21, v26
	v_fmac_f32_e32 v58, v34, v19
	s_waitcnt vmcnt(2)
	v_fma_f32 v28, v35, v50, -v43
	v_add_f32_e32 v20, v20, v57
	v_add_f32_e32 v21, v21, v27
	v_fmac_f32_e32 v59, v36, v50
	v_add_f32_e32 v20, v20, v58
	v_add_f32_e32 v21, v21, v28
	;; [unrolled: 1-line block ×3, first 2 shown]
	s_waitcnt vmcnt(1)
	v_sub_f32_e32 v21, v51, v21
	s_waitcnt vmcnt(0)
	v_sub_f32_e32 v20, v52, v20
	buffer_store_dword v21, off, s[0:3], 0
	buffer_store_dword v20, off, s[0:3], 0 offset:4
	s_cbranch_vccz .LBB72_84
; %bb.68:
	v_mov_b32_e32 v20, 0
	global_load_dword v21, v20, s[12:13] offset:28
	s_waitcnt vmcnt(0)
	v_add_u32_e32 v21, -1, v21
	v_cmp_ne_u32_e32 vcc, 7, v21
	s_cbranch_vccz .LBB72_70
; %bb.69:
	v_lshlrev_b32_e32 v21, 3, v21
	buffer_load_dword v22, v21, s[0:3], 0 offen
	buffer_load_dword v23, v21, s[0:3], 0 offen offset:4
	s_waitcnt vmcnt(1)
	buffer_store_dword v22, off, s[0:3], 0 offset:56
	s_waitcnt vmcnt(1)
	buffer_store_dword v23, off, s[0:3], 0 offset:60
	buffer_store_dword v19, v21, s[0:3], 0 offen
	buffer_store_dword v0, v21, s[0:3], 0 offen offset:4
.LBB72_70:
	global_load_dword v0, v20, s[12:13] offset:24
	s_waitcnt vmcnt(0)
	v_add_u32_e32 v0, -1, v0
	v_cmp_eq_u32_e32 vcc, 6, v0
	s_cbranch_vccnz .LBB72_72
; %bb.71:
	v_lshlrev_b32_e32 v0, 3, v0
	buffer_load_dword v19, v0, s[0:3], 0 offen
	buffer_load_dword v20, v0, s[0:3], 0 offen offset:4
	buffer_load_dword v21, off, s[0:3], 0 offset:52
	buffer_load_dword v22, off, s[0:3], 0 offset:48
	s_waitcnt vmcnt(3)
	buffer_store_dword v19, off, s[0:3], 0 offset:48
	s_waitcnt vmcnt(3)
	buffer_store_dword v20, off, s[0:3], 0 offset:52
	s_waitcnt vmcnt(3)
	buffer_store_dword v21, v0, s[0:3], 0 offen offset:4
	s_waitcnt vmcnt(3)
	buffer_store_dword v22, v0, s[0:3], 0 offen
.LBB72_72:
	v_mov_b32_e32 v0, 0
	global_load_dword v19, v0, s[12:13] offset:20
	s_waitcnt vmcnt(0)
	v_add_u32_e32 v19, -1, v19
	v_cmp_eq_u32_e32 vcc, 5, v19
	s_cbranch_vccnz .LBB72_74
; %bb.73:
	v_lshlrev_b32_e32 v19, 3, v19
	buffer_load_dword v20, v19, s[0:3], 0 offen
	buffer_load_dword v21, v19, s[0:3], 0 offen offset:4
	buffer_load_dword v22, off, s[0:3], 0 offset:40
	buffer_load_dword v23, off, s[0:3], 0 offset:44
	s_waitcnt vmcnt(3)
	buffer_store_dword v20, off, s[0:3], 0 offset:40
	s_waitcnt vmcnt(3)
	buffer_store_dword v21, off, s[0:3], 0 offset:44
	s_waitcnt vmcnt(3)
	buffer_store_dword v22, v19, s[0:3], 0 offen
	s_waitcnt vmcnt(3)
	buffer_store_dword v23, v19, s[0:3], 0 offen offset:4
.LBB72_74:
	global_load_dword v0, v0, s[12:13] offset:16
	s_waitcnt vmcnt(0)
	v_add_u32_e32 v0, -1, v0
	v_cmp_eq_u32_e32 vcc, 4, v0
	s_cbranch_vccnz .LBB72_76
; %bb.75:
	v_lshlrev_b32_e32 v0, 3, v0
	buffer_load_dword v19, v0, s[0:3], 0 offen
	buffer_load_dword v20, v0, s[0:3], 0 offen offset:4
	buffer_load_dword v21, off, s[0:3], 0 offset:36
	buffer_load_dword v22, off, s[0:3], 0 offset:32
	s_waitcnt vmcnt(3)
	buffer_store_dword v19, off, s[0:3], 0 offset:32
	s_waitcnt vmcnt(3)
	buffer_store_dword v20, off, s[0:3], 0 offset:36
	s_waitcnt vmcnt(3)
	buffer_store_dword v21, v0, s[0:3], 0 offen offset:4
	s_waitcnt vmcnt(3)
	buffer_store_dword v22, v0, s[0:3], 0 offen
.LBB72_76:
	v_mov_b32_e32 v0, 0
	global_load_dword v19, v0, s[12:13] offset:12
	s_waitcnt vmcnt(0)
	v_add_u32_e32 v19, -1, v19
	v_cmp_eq_u32_e32 vcc, 3, v19
	s_cbranch_vccnz .LBB72_78
; %bb.77:
	v_lshlrev_b32_e32 v19, 3, v19
	buffer_load_dword v20, v19, s[0:3], 0 offen
	buffer_load_dword v21, v19, s[0:3], 0 offen offset:4
	buffer_load_dword v22, off, s[0:3], 0 offset:24
	buffer_load_dword v23, off, s[0:3], 0 offset:28
	s_waitcnt vmcnt(3)
	buffer_store_dword v20, off, s[0:3], 0 offset:24
	s_waitcnt vmcnt(3)
	buffer_store_dword v21, off, s[0:3], 0 offset:28
	s_waitcnt vmcnt(3)
	buffer_store_dword v22, v19, s[0:3], 0 offen
	s_waitcnt vmcnt(3)
	buffer_store_dword v23, v19, s[0:3], 0 offen offset:4
.LBB72_78:
	;; [unrolled: 41-line block ×3, first 2 shown]
	global_load_dword v0, v0, s[12:13]
	s_waitcnt vmcnt(0)
	v_add_u32_e32 v0, -1, v0
	v_cmp_eq_u32_e32 vcc, 0, v0
	s_cbranch_vccnz .LBB72_84
; %bb.83:
	v_lshlrev_b32_e32 v0, 3, v0
	buffer_load_dword v19, v0, s[0:3], 0 offen
	buffer_load_dword v20, v0, s[0:3], 0 offen offset:4
	buffer_load_dword v21, off, s[0:3], 0 offset:4
	buffer_load_dword v22, off, s[0:3], 0
	s_waitcnt vmcnt(3)
	buffer_store_dword v19, off, s[0:3], 0
	s_waitcnt vmcnt(3)
	buffer_store_dword v20, off, s[0:3], 0 offset:4
	s_waitcnt vmcnt(3)
	buffer_store_dword v21, v0, s[0:3], 0 offen offset:4
	s_waitcnt vmcnt(3)
	buffer_store_dword v22, v0, s[0:3], 0 offen
.LBB72_84:
	buffer_load_dword v19, off, s[0:3], 0
	buffer_load_dword v20, off, s[0:3], 0 offset:4
	s_waitcnt vmcnt(0)
	flat_store_dwordx2 v[1:2], v[19:20]
	buffer_load_dword v0, off, s[0:3], 0 offset:8
	s_nop 0
	buffer_load_dword v1, off, s[0:3], 0 offset:12
	s_waitcnt vmcnt(0)
	flat_store_dwordx2 v[3:4], v[0:1]
	buffer_load_dword v0, off, s[0:3], 0 offset:16
	s_nop 0
	;; [unrolled: 5-line block ×8, first 2 shown]
	buffer_load_dword v1, off, s[0:3], 0 offset:68
	s_waitcnt vmcnt(0)
	flat_store_dwordx2 v[17:18], v[0:1]
	s_endpgm
	.section	.rodata,"a",@progbits
	.p2align	6, 0x0
	.amdhsa_kernel _ZN9rocsolver6v33100L18getri_kernel_smallILi9E19rocblas_complex_numIfEPKPS3_EEvT1_iilPiilS8_bb
		.amdhsa_group_segment_fixed_size 152
		.amdhsa_private_segment_fixed_size 80
		.amdhsa_kernarg_size 60
		.amdhsa_user_sgpr_count 6
		.amdhsa_user_sgpr_private_segment_buffer 1
		.amdhsa_user_sgpr_dispatch_ptr 0
		.amdhsa_user_sgpr_queue_ptr 0
		.amdhsa_user_sgpr_kernarg_segment_ptr 1
		.amdhsa_user_sgpr_dispatch_id 0
		.amdhsa_user_sgpr_flat_scratch_init 0
		.amdhsa_user_sgpr_private_segment_size 0
		.amdhsa_uses_dynamic_stack 0
		.amdhsa_system_sgpr_private_segment_wavefront_offset 1
		.amdhsa_system_sgpr_workgroup_id_x 1
		.amdhsa_system_sgpr_workgroup_id_y 0
		.amdhsa_system_sgpr_workgroup_id_z 0
		.amdhsa_system_sgpr_workgroup_info 0
		.amdhsa_system_vgpr_workitem_id 0
		.amdhsa_next_free_vgpr 61
		.amdhsa_next_free_sgpr 21
		.amdhsa_reserve_vcc 1
		.amdhsa_reserve_flat_scratch 0
		.amdhsa_float_round_mode_32 0
		.amdhsa_float_round_mode_16_64 0
		.amdhsa_float_denorm_mode_32 3
		.amdhsa_float_denorm_mode_16_64 3
		.amdhsa_dx10_clamp 1
		.amdhsa_ieee_mode 1
		.amdhsa_fp16_overflow 0
		.amdhsa_exception_fp_ieee_invalid_op 0
		.amdhsa_exception_fp_denorm_src 0
		.amdhsa_exception_fp_ieee_div_zero 0
		.amdhsa_exception_fp_ieee_overflow 0
		.amdhsa_exception_fp_ieee_underflow 0
		.amdhsa_exception_fp_ieee_inexact 0
		.amdhsa_exception_int_div_zero 0
	.end_amdhsa_kernel
	.section	.text._ZN9rocsolver6v33100L18getri_kernel_smallILi9E19rocblas_complex_numIfEPKPS3_EEvT1_iilPiilS8_bb,"axG",@progbits,_ZN9rocsolver6v33100L18getri_kernel_smallILi9E19rocblas_complex_numIfEPKPS3_EEvT1_iilPiilS8_bb,comdat
.Lfunc_end72:
	.size	_ZN9rocsolver6v33100L18getri_kernel_smallILi9E19rocblas_complex_numIfEPKPS3_EEvT1_iilPiilS8_bb, .Lfunc_end72-_ZN9rocsolver6v33100L18getri_kernel_smallILi9E19rocblas_complex_numIfEPKPS3_EEvT1_iilPiilS8_bb
                                        ; -- End function
	.set _ZN9rocsolver6v33100L18getri_kernel_smallILi9E19rocblas_complex_numIfEPKPS3_EEvT1_iilPiilS8_bb.num_vgpr, 61
	.set _ZN9rocsolver6v33100L18getri_kernel_smallILi9E19rocblas_complex_numIfEPKPS3_EEvT1_iilPiilS8_bb.num_agpr, 0
	.set _ZN9rocsolver6v33100L18getri_kernel_smallILi9E19rocblas_complex_numIfEPKPS3_EEvT1_iilPiilS8_bb.numbered_sgpr, 21
	.set _ZN9rocsolver6v33100L18getri_kernel_smallILi9E19rocblas_complex_numIfEPKPS3_EEvT1_iilPiilS8_bb.num_named_barrier, 0
	.set _ZN9rocsolver6v33100L18getri_kernel_smallILi9E19rocblas_complex_numIfEPKPS3_EEvT1_iilPiilS8_bb.private_seg_size, 80
	.set _ZN9rocsolver6v33100L18getri_kernel_smallILi9E19rocblas_complex_numIfEPKPS3_EEvT1_iilPiilS8_bb.uses_vcc, 1
	.set _ZN9rocsolver6v33100L18getri_kernel_smallILi9E19rocblas_complex_numIfEPKPS3_EEvT1_iilPiilS8_bb.uses_flat_scratch, 0
	.set _ZN9rocsolver6v33100L18getri_kernel_smallILi9E19rocblas_complex_numIfEPKPS3_EEvT1_iilPiilS8_bb.has_dyn_sized_stack, 0
	.set _ZN9rocsolver6v33100L18getri_kernel_smallILi9E19rocblas_complex_numIfEPKPS3_EEvT1_iilPiilS8_bb.has_recursion, 0
	.set _ZN9rocsolver6v33100L18getri_kernel_smallILi9E19rocblas_complex_numIfEPKPS3_EEvT1_iilPiilS8_bb.has_indirect_call, 0
	.section	.AMDGPU.csdata,"",@progbits
; Kernel info:
; codeLenInByte = 7244
; TotalNumSgprs: 25
; NumVgprs: 61
; ScratchSize: 80
; MemoryBound: 0
; FloatMode: 240
; IeeeMode: 1
; LDSByteSize: 152 bytes/workgroup (compile time only)
; SGPRBlocks: 3
; VGPRBlocks: 15
; NumSGPRsForWavesPerEU: 25
; NumVGPRsForWavesPerEU: 61
; Occupancy: 4
; WaveLimiterHint : 1
; COMPUTE_PGM_RSRC2:SCRATCH_EN: 1
; COMPUTE_PGM_RSRC2:USER_SGPR: 6
; COMPUTE_PGM_RSRC2:TRAP_HANDLER: 0
; COMPUTE_PGM_RSRC2:TGID_X_EN: 1
; COMPUTE_PGM_RSRC2:TGID_Y_EN: 0
; COMPUTE_PGM_RSRC2:TGID_Z_EN: 0
; COMPUTE_PGM_RSRC2:TIDIG_COMP_CNT: 0
	.section	.text._ZN9rocsolver6v33100L18getri_kernel_smallILi10E19rocblas_complex_numIfEPKPS3_EEvT1_iilPiilS8_bb,"axG",@progbits,_ZN9rocsolver6v33100L18getri_kernel_smallILi10E19rocblas_complex_numIfEPKPS3_EEvT1_iilPiilS8_bb,comdat
	.globl	_ZN9rocsolver6v33100L18getri_kernel_smallILi10E19rocblas_complex_numIfEPKPS3_EEvT1_iilPiilS8_bb ; -- Begin function _ZN9rocsolver6v33100L18getri_kernel_smallILi10E19rocblas_complex_numIfEPKPS3_EEvT1_iilPiilS8_bb
	.p2align	8
	.type	_ZN9rocsolver6v33100L18getri_kernel_smallILi10E19rocblas_complex_numIfEPKPS3_EEvT1_iilPiilS8_bb,@function
_ZN9rocsolver6v33100L18getri_kernel_smallILi10E19rocblas_complex_numIfEPKPS3_EEvT1_iilPiilS8_bb: ; @_ZN9rocsolver6v33100L18getri_kernel_smallILi10E19rocblas_complex_numIfEPKPS3_EEvT1_iilPiilS8_bb
; %bb.0:
	s_add_u32 s0, s0, s7
	s_addc_u32 s1, s1, 0
	v_cmp_gt_u32_e32 vcc, 10, v0
	s_and_saveexec_b64 s[8:9], vcc
	s_cbranch_execz .LBB73_54
; %bb.1:
	s_load_dword s18, s[4:5], 0x38
	s_load_dwordx2 s[12:13], s[4:5], 0x0
	s_load_dwordx4 s[8:11], s[4:5], 0x28
	s_waitcnt lgkmcnt(0)
	s_bitcmp1_b32 s18, 8
	s_cselect_b64 s[14:15], -1, 0
	s_ashr_i32 s7, s6, 31
	s_lshl_b64 s[16:17], s[6:7], 3
	s_add_u32 s12, s12, s16
	s_addc_u32 s13, s13, s17
	s_load_dwordx2 s[16:17], s[12:13], 0x0
	s_bfe_u32 s12, s18, 0x10008
	s_cmp_eq_u32 s12, 0
                                        ; implicit-def: $sgpr12_sgpr13
	s_cbranch_scc1 .LBB73_3
; %bb.2:
	s_load_dword s12, s[4:5], 0x20
	s_load_dwordx2 s[18:19], s[4:5], 0x18
	s_mul_i32 s13, s8, s7
	s_mul_hi_u32 s20, s8, s6
	s_add_i32 s20, s20, s13
	s_mul_i32 s9, s9, s6
	s_add_i32 s9, s20, s9
	s_mul_i32 s8, s8, s6
	s_waitcnt lgkmcnt(0)
	s_ashr_i32 s13, s12, 31
	s_lshl_b64 s[8:9], s[8:9], 2
	s_add_u32 s18, s18, s8
	s_addc_u32 s19, s19, s9
	s_lshl_b64 s[8:9], s[12:13], 2
	s_add_u32 s12, s18, s8
	s_addc_u32 s13, s19, s9
.LBB73_3:
	s_load_dwordx2 s[8:9], s[4:5], 0x8
	s_load_dword s18, s[4:5], 0x38
	v_lshlrev_b32_e32 v23, 3, v0
	s_waitcnt lgkmcnt(0)
	s_ashr_i32 s5, s8, 31
	s_mov_b32 s4, s8
	s_lshl_b64 s[4:5], s[4:5], 3
	s_add_u32 s8, s16, s4
	s_addc_u32 s16, s17, s5
	v_mov_b32_e32 v2, s16
	v_add_co_u32_e32 v1, vcc, s8, v23
	v_addc_co_u32_e32 v2, vcc, 0, v2, vcc
	flat_load_dwordx2 v[5:6], v[1:2]
	s_mov_b32 s4, s9
	s_ashr_i32 s5, s9, 31
	s_lshl_b64 s[4:5], s[4:5], 3
	v_mov_b32_e32 v4, s5
	v_add_co_u32_e32 v3, vcc, s4, v1
	v_addc_co_u32_e32 v4, vcc, v2, v4, vcc
	s_add_i32 s4, s9, s9
	v_add_u32_e32 v9, s4, v0
	v_ashrrev_i32_e32 v10, 31, v9
	v_mov_b32_e32 v11, s16
	v_add_u32_e32 v12, s9, v9
	v_ashrrev_i32_e32 v13, 31, v12
	v_mov_b32_e32 v14, s16
	v_mov_b32_e32 v15, s16
	v_mov_b32_e32 v17, s16
	v_mov_b32_e32 v20, s16
	v_mov_b32_e32 v21, s16
	v_mov_b32_e32 v24, s16
	s_bitcmp0_b32 s18, 0
	s_waitcnt vmcnt(0) lgkmcnt(0)
	buffer_store_dword v6, off, s[0:3], 0 offset:4
	buffer_store_dword v5, off, s[0:3], 0
	flat_load_dwordx2 v[7:8], v[3:4]
	v_lshlrev_b64 v[5:6], 3, v[9:10]
	s_waitcnt vmcnt(0) lgkmcnt(0)
	buffer_store_dword v8, off, s[0:3], 0 offset:12
	buffer_store_dword v7, off, s[0:3], 0 offset:8
	v_add_co_u32_e32 v5, vcc, s8, v5
	v_addc_co_u32_e32 v6, vcc, v11, v6, vcc
	flat_load_dwordx2 v[10:11], v[5:6]
	v_lshlrev_b64 v[7:8], 3, v[12:13]
	s_waitcnt vmcnt(0) lgkmcnt(0)
	buffer_store_dword v11, off, s[0:3], 0 offset:20
	buffer_store_dword v10, off, s[0:3], 0 offset:16
	v_add_co_u32_e32 v7, vcc, s8, v7
	v_addc_co_u32_e32 v8, vcc, v14, v8, vcc
	flat_load_dwordx2 v[13:14], v[7:8]
	v_add_u32_e32 v11, s9, v12
	v_ashrrev_i32_e32 v12, 31, v11
	v_lshlrev_b64 v[9:10], 3, v[11:12]
	s_waitcnt vmcnt(0) lgkmcnt(0)
	buffer_store_dword v14, off, s[0:3], 0 offset:28
	buffer_store_dword v13, off, s[0:3], 0 offset:24
	v_add_co_u32_e32 v9, vcc, s8, v9
	v_addc_co_u32_e32 v10, vcc, v15, v10, vcc
	flat_load_dwordx2 v[13:14], v[9:10]
	v_add_u32_e32 v15, s9, v11
	v_ashrrev_i32_e32 v16, 31, v15
	v_lshlrev_b64 v[11:12], 3, v[15:16]
	v_add_u32_e32 v18, s9, v15
	v_add_co_u32_e32 v11, vcc, s8, v11
	v_addc_co_u32_e32 v12, vcc, v17, v12, vcc
	v_ashrrev_i32_e32 v19, 31, v18
	s_waitcnt vmcnt(0) lgkmcnt(0)
	buffer_store_dword v14, off, s[0:3], 0 offset:36
	buffer_store_dword v13, off, s[0:3], 0 offset:32
	flat_load_dwordx2 v[16:17], v[11:12]
	v_lshlrev_b64 v[13:14], 3, v[18:19]
	s_waitcnt vmcnt(0) lgkmcnt(0)
	buffer_store_dword v17, off, s[0:3], 0 offset:44
	buffer_store_dword v16, off, s[0:3], 0 offset:40
	v_add_co_u32_e32 v13, vcc, s8, v13
	v_addc_co_u32_e32 v14, vcc, v20, v14, vcc
	flat_load_dwordx2 v[19:20], v[13:14]
	v_add_u32_e32 v17, s9, v18
	v_ashrrev_i32_e32 v18, 31, v17
	v_lshlrev_b64 v[15:16], 3, v[17:18]
	s_waitcnt vmcnt(0) lgkmcnt(0)
	buffer_store_dword v20, off, s[0:3], 0 offset:52
	buffer_store_dword v19, off, s[0:3], 0 offset:48
	v_add_co_u32_e32 v15, vcc, s8, v15
	v_addc_co_u32_e32 v16, vcc, v21, v16, vcc
	flat_load_dwordx2 v[19:20], v[15:16]
	v_add_u32_e32 v21, s9, v17
	v_ashrrev_i32_e32 v22, 31, v21
	v_lshlrev_b64 v[17:18], 3, v[21:22]
	v_mov_b32_e32 v22, s16
	v_add_co_u32_e32 v17, vcc, s8, v17
	v_addc_co_u32_e32 v18, vcc, v24, v18, vcc
	s_waitcnt vmcnt(0) lgkmcnt(0)
	buffer_store_dword v20, off, s[0:3], 0 offset:60
	buffer_store_dword v19, off, s[0:3], 0 offset:56
	flat_load_dwordx2 v[24:25], v[17:18]
	v_add_u32_e32 v19, s9, v21
	v_ashrrev_i32_e32 v20, 31, v19
	v_lshlrev_b64 v[19:20], 3, v[19:20]
	s_waitcnt vmcnt(0) lgkmcnt(0)
	buffer_store_dword v25, off, s[0:3], 0 offset:68
	buffer_store_dword v24, off, s[0:3], 0 offset:64
	v_add_co_u32_e32 v19, vcc, s8, v19
	v_addc_co_u32_e32 v20, vcc, v22, v20, vcc
	flat_load_dwordx2 v[21:22], v[19:20]
	s_mov_b64 s[8:9], -1
	s_waitcnt vmcnt(0) lgkmcnt(0)
	buffer_store_dword v22, off, s[0:3], 0 offset:76
	buffer_store_dword v21, off, s[0:3], 0 offset:72
	s_cbranch_scc1 .LBB73_52
; %bb.4:
	v_cmp_eq_u32_e64 s[4:5], 0, v0
	s_and_saveexec_b64 s[8:9], s[4:5]
; %bb.5:
	v_mov_b32_e32 v21, 0
	ds_write_b32 v21, v21 offset:160
; %bb.6:
	s_or_b64 exec, exec, s[8:9]
	v_mov_b32_e32 v21, 0
	v_lshl_add_u32 v25, v0, 3, v21
	s_waitcnt lgkmcnt(0)
	; wave barrier
	buffer_load_dword v21, v25, s[0:3], 0 offen
	buffer_load_dword v22, v25, s[0:3], 0 offen offset:4
	s_waitcnt vmcnt(1)
	v_cmp_eq_f32_e32 vcc, 0, v21
	s_waitcnt vmcnt(0)
	v_cmp_eq_f32_e64 s[8:9], 0, v22
	s_and_b64 s[8:9], vcc, s[8:9]
	s_and_saveexec_b64 s[16:17], s[8:9]
	s_cbranch_execz .LBB73_10
; %bb.7:
	v_mov_b32_e32 v21, 0
	ds_read_b32 v24, v21 offset:160
	v_add_u32_e32 v22, 1, v0
	s_waitcnt lgkmcnt(0)
	v_readfirstlane_b32 s8, v24
	s_cmp_eq_u32 s8, 0
	s_cselect_b64 s[18:19], -1, 0
	v_cmp_gt_i32_e32 vcc, s8, v22
	s_or_b64 s[18:19], s[18:19], vcc
	s_and_b64 exec, exec, s[18:19]
	s_cbranch_execz .LBB73_10
; %bb.8:
	s_mov_b64 s[18:19], 0
	v_mov_b32_e32 v24, s8
.LBB73_9:                               ; =>This Inner Loop Header: Depth=1
	ds_cmpst_rtn_b32 v24, v21, v24, v22 offset:160
	s_waitcnt lgkmcnt(0)
	v_cmp_ne_u32_e32 vcc, 0, v24
	v_cmp_le_i32_e64 s[8:9], v24, v22
	s_and_b64 s[8:9], vcc, s[8:9]
	s_and_b64 s[8:9], exec, s[8:9]
	s_or_b64 s[18:19], s[8:9], s[18:19]
	s_andn2_b64 exec, exec, s[18:19]
	s_cbranch_execnz .LBB73_9
.LBB73_10:
	s_or_b64 exec, exec, s[16:17]
	v_mov_b32_e32 v22, 0
	; wave barrier
	ds_read_b32 v21, v22 offset:160
	s_and_saveexec_b64 s[8:9], s[4:5]
	s_cbranch_execz .LBB73_12
; %bb.11:
	s_lshl_b64 s[16:17], s[6:7], 2
	s_add_u32 s16, s10, s16
	s_addc_u32 s17, s11, s17
	s_waitcnt lgkmcnt(0)
	global_store_dword v22, v21, s[16:17]
.LBB73_12:
	s_or_b64 exec, exec, s[8:9]
	s_waitcnt lgkmcnt(0)
	v_cmp_ne_u32_e32 vcc, 0, v21
	s_mov_b64 s[8:9], 0
	s_cbranch_vccnz .LBB73_52
; %bb.13:
	buffer_load_dword v22, v25, s[0:3], 0 offen
	buffer_load_dword v24, v25, s[0:3], 0 offen offset:4
                                        ; implicit-def: $vgpr27
                                        ; implicit-def: $vgpr26
                                        ; implicit-def: $vgpr21
	s_waitcnt vmcnt(0)
	v_cmp_ngt_f32_e64 s[8:9], |v22|, |v24|
	s_and_saveexec_b64 s[16:17], s[8:9]
	s_xor_b64 s[8:9], exec, s[16:17]
	s_cbranch_execz .LBB73_15
; %bb.14:
	v_div_scale_f32 v21, s[16:17], v24, v24, v22
	v_div_scale_f32 v26, vcc, v22, v24, v22
	v_rcp_f32_e32 v27, v21
	v_fma_f32 v28, -v21, v27, 1.0
	v_fmac_f32_e32 v27, v28, v27
	v_mul_f32_e32 v28, v26, v27
	v_fma_f32 v29, -v21, v28, v26
	v_fmac_f32_e32 v28, v29, v27
	v_fma_f32 v21, -v21, v28, v26
	v_div_fmas_f32 v21, v21, v27, v28
	v_div_fixup_f32 v21, v21, v24, v22
	v_fmac_f32_e32 v24, v22, v21
	v_div_scale_f32 v22, s[16:17], v24, v24, 1.0
	v_div_scale_f32 v26, vcc, 1.0, v24, 1.0
	v_rcp_f32_e32 v27, v22
	v_fma_f32 v28, -v22, v27, 1.0
	v_fmac_f32_e32 v27, v28, v27
	v_mul_f32_e32 v28, v26, v27
	v_fma_f32 v29, -v22, v28, v26
	v_fmac_f32_e32 v28, v29, v27
	v_fma_f32 v22, -v22, v28, v26
	v_div_fmas_f32 v22, v22, v27, v28
	v_div_fixup_f32 v22, v22, v24, 1.0
	v_mul_f32_e32 v27, v21, v22
	v_xor_b32_e32 v26, 0x80000000, v22
	v_xor_b32_e32 v21, 0x80000000, v27
                                        ; implicit-def: $vgpr22
                                        ; implicit-def: $vgpr24
.LBB73_15:
	s_andn2_saveexec_b64 s[8:9], s[8:9]
	s_cbranch_execz .LBB73_17
; %bb.16:
	v_div_scale_f32 v21, s[16:17], v22, v22, v24
	v_div_scale_f32 v26, vcc, v24, v22, v24
	v_rcp_f32_e32 v27, v21
	v_fma_f32 v28, -v21, v27, 1.0
	v_fmac_f32_e32 v27, v28, v27
	v_mul_f32_e32 v28, v26, v27
	v_fma_f32 v29, -v21, v28, v26
	v_fmac_f32_e32 v28, v29, v27
	v_fma_f32 v21, -v21, v28, v26
	v_div_fmas_f32 v21, v21, v27, v28
	v_div_fixup_f32 v26, v21, v22, v24
	v_fmac_f32_e32 v22, v24, v26
	v_div_scale_f32 v21, s[16:17], v22, v22, 1.0
	v_div_scale_f32 v24, vcc, 1.0, v22, 1.0
	v_rcp_f32_e32 v27, v21
	v_fma_f32 v28, -v21, v27, 1.0
	v_fmac_f32_e32 v27, v28, v27
	v_mul_f32_e32 v28, v24, v27
	v_fma_f32 v29, -v21, v28, v24
	v_fmac_f32_e32 v28, v29, v27
	v_fma_f32 v21, -v21, v28, v24
	v_div_fmas_f32 v21, v21, v27, v28
	v_div_fixup_f32 v27, v21, v22, 1.0
	v_xor_b32_e32 v21, 0x80000000, v27
	v_mul_f32_e64 v26, v26, -v27
.LBB73_17:
	s_or_b64 exec, exec, s[8:9]
	buffer_store_dword v27, v25, s[0:3], 0 offen
	buffer_store_dword v26, v25, s[0:3], 0 offen offset:4
	buffer_load_dword v28, off, s[0:3], 0 offset:12
	s_nop 0
	buffer_load_dword v27, off, s[0:3], 0 offset:8
	v_xor_b32_e32 v22, 0x80000000, v26
	v_add_u32_e32 v24, 0x50, v23
	s_waitcnt vmcnt(0)
	ds_write2_b64 v23, v[21:22], v[27:28] offset1:10
	s_waitcnt lgkmcnt(0)
	; wave barrier
	s_and_saveexec_b64 s[8:9], s[4:5]
	s_cbranch_execz .LBB73_19
; %bb.18:
	buffer_load_dword v28, v25, s[0:3], 0 offen offset:4
	buffer_load_dword v29, v25, s[0:3], 0 offen
	ds_read_b64 v[21:22], v24
	v_mov_b32_e32 v26, 0
	ds_read_b64 v[26:27], v26 offset:8
	s_waitcnt vmcnt(1) lgkmcnt(1)
	v_mul_f32_e32 v30, v22, v28
	v_mul_f32_e32 v28, v21, v28
	s_waitcnt vmcnt(0)
	v_fmac_f32_e32 v28, v22, v29
	v_fma_f32 v21, v21, v29, -v30
	v_add_f32_e32 v22, 0, v28
	v_add_f32_e32 v21, 0, v21
	s_waitcnt lgkmcnt(0)
	v_mul_f32_e32 v28, v22, v27
	v_mul_f32_e32 v27, v21, v27
	v_fma_f32 v21, v21, v26, -v28
	v_fmac_f32_e32 v27, v22, v26
	buffer_store_dword v21, off, s[0:3], 0 offset:8
	buffer_store_dword v27, off, s[0:3], 0 offset:12
.LBB73_19:
	s_or_b64 exec, exec, s[8:9]
	; wave barrier
	buffer_load_dword v21, off, s[0:3], 0 offset:16
	buffer_load_dword v22, off, s[0:3], 0 offset:20
	v_cmp_gt_u32_e32 vcc, 2, v0
	s_waitcnt vmcnt(0)
	ds_write_b64 v24, v[21:22]
	s_waitcnt lgkmcnt(0)
	; wave barrier
	s_and_saveexec_b64 s[8:9], vcc
	s_cbranch_execz .LBB73_23
; %bb.20:
	buffer_load_dword v26, v25, s[0:3], 0 offen offset:4
	buffer_load_dword v27, v25, s[0:3], 0 offen
	ds_read_b64 v[21:22], v24
	s_waitcnt vmcnt(1) lgkmcnt(0)
	v_mul_f32_e32 v25, v22, v26
	v_mul_f32_e32 v26, v21, v26
	s_waitcnt vmcnt(0)
	v_fma_f32 v21, v21, v27, -v25
	v_fmac_f32_e32 v26, v22, v27
	v_add_f32_e32 v22, 0, v21
	v_add_f32_e32 v21, 0, v26
	s_and_saveexec_b64 s[16:17], s[4:5]
	s_cbranch_execz .LBB73_22
; %bb.21:
	buffer_load_dword v27, off, s[0:3], 0 offset:12
	buffer_load_dword v28, off, s[0:3], 0 offset:8
	v_mov_b32_e32 v25, 0
	ds_read_b64 v[25:26], v25 offset:88
	s_waitcnt vmcnt(1) lgkmcnt(0)
	v_mul_f32_e32 v29, v25, v27
	v_mul_f32_e32 v27, v26, v27
	s_waitcnt vmcnt(0)
	v_fmac_f32_e32 v29, v26, v28
	v_fma_f32 v25, v25, v28, -v27
	v_add_f32_e32 v21, v21, v29
	v_add_f32_e32 v22, v22, v25
.LBB73_22:
	s_or_b64 exec, exec, s[16:17]
	v_mov_b32_e32 v25, 0
	ds_read_b64 v[25:26], v25 offset:16
	s_waitcnt lgkmcnt(0)
	v_mul_f32_e32 v27, v21, v26
	v_mul_f32_e32 v26, v22, v26
	v_fma_f32 v22, v22, v25, -v27
	v_fmac_f32_e32 v26, v21, v25
	buffer_store_dword v22, off, s[0:3], 0 offset:16
	buffer_store_dword v26, off, s[0:3], 0 offset:20
.LBB73_23:
	s_or_b64 exec, exec, s[8:9]
	; wave barrier
	buffer_load_dword v21, off, s[0:3], 0 offset:24
	buffer_load_dword v22, off, s[0:3], 0 offset:28
	v_cmp_gt_u32_e32 vcc, 3, v0
	s_waitcnt vmcnt(0)
	ds_write_b64 v24, v[21:22]
	v_add_u32_e32 v21, -1, v0
	s_waitcnt lgkmcnt(0)
	; wave barrier
	s_and_saveexec_b64 s[4:5], vcc
	s_cbranch_execz .LBB73_27
; %bb.24:
	v_add_u32_e32 v25, -1, v0
	v_add_u32_e32 v26, 0x50, v23
	v_mov_b32_e32 v27, v23
	v_mov_b32_e32 v22, 0
	s_mov_b64 s[8:9], 0
	v_mov_b32_e32 v28, 0
.LBB73_25:                              ; =>This Inner Loop Header: Depth=1
	buffer_load_dword v31, v27, s[0:3], 0 offen offset:4
	buffer_load_dword v32, v27, s[0:3], 0 offen
	ds_read_b64 v[29:30], v26
	v_add_u32_e32 v25, 1, v25
	v_cmp_lt_u32_e32 vcc, 1, v25
	v_add_u32_e32 v26, 8, v26
	v_add_u32_e32 v27, 8, v27
	s_or_b64 s[8:9], vcc, s[8:9]
	s_waitcnt vmcnt(1) lgkmcnt(0)
	v_mul_f32_e32 v33, v30, v31
	v_mul_f32_e32 v31, v29, v31
	s_waitcnt vmcnt(0)
	v_fma_f32 v29, v29, v32, -v33
	v_fmac_f32_e32 v31, v30, v32
	v_add_f32_e32 v28, v28, v29
	v_add_f32_e32 v22, v22, v31
	s_andn2_b64 exec, exec, s[8:9]
	s_cbranch_execnz .LBB73_25
; %bb.26:
	s_or_b64 exec, exec, s[8:9]
	v_mov_b32_e32 v25, 0
	ds_read_b64 v[25:26], v25 offset:24
	s_waitcnt lgkmcnt(0)
	v_mul_f32_e32 v27, v22, v26
	v_mul_f32_e32 v26, v28, v26
	v_fma_f32 v27, v28, v25, -v27
	v_fmac_f32_e32 v26, v22, v25
	buffer_store_dword v27, off, s[0:3], 0 offset:24
	buffer_store_dword v26, off, s[0:3], 0 offset:28
.LBB73_27:
	s_or_b64 exec, exec, s[4:5]
	; wave barrier
	buffer_load_dword v25, off, s[0:3], 0 offset:32
	buffer_load_dword v26, off, s[0:3], 0 offset:36
	v_cmp_gt_u32_e32 vcc, 4, v0
	s_waitcnt vmcnt(0)
	ds_write_b64 v24, v[25:26]
	s_waitcnt lgkmcnt(0)
	; wave barrier
	s_and_saveexec_b64 s[4:5], vcc
	s_cbranch_execz .LBB73_31
; %bb.28:
	v_add_u32_e32 v25, -1, v0
	v_add_u32_e32 v26, 0x50, v23
	v_mov_b32_e32 v27, v23
	v_mov_b32_e32 v22, 0
	s_mov_b64 s[8:9], 0
	v_mov_b32_e32 v28, 0
.LBB73_29:                              ; =>This Inner Loop Header: Depth=1
	buffer_load_dword v31, v27, s[0:3], 0 offen offset:4
	buffer_load_dword v32, v27, s[0:3], 0 offen
	ds_read_b64 v[29:30], v26
	v_add_u32_e32 v25, 1, v25
	v_cmp_lt_u32_e32 vcc, 2, v25
	v_add_u32_e32 v26, 8, v26
	v_add_u32_e32 v27, 8, v27
	s_or_b64 s[8:9], vcc, s[8:9]
	s_waitcnt vmcnt(1) lgkmcnt(0)
	v_mul_f32_e32 v33, v30, v31
	v_mul_f32_e32 v31, v29, v31
	s_waitcnt vmcnt(0)
	v_fma_f32 v29, v29, v32, -v33
	v_fmac_f32_e32 v31, v30, v32
	v_add_f32_e32 v28, v28, v29
	v_add_f32_e32 v22, v22, v31
	s_andn2_b64 exec, exec, s[8:9]
	s_cbranch_execnz .LBB73_29
; %bb.30:
	s_or_b64 exec, exec, s[8:9]
	v_mov_b32_e32 v25, 0
	ds_read_b64 v[25:26], v25 offset:32
	s_waitcnt lgkmcnt(0)
	v_mul_f32_e32 v27, v22, v26
	v_mul_f32_e32 v26, v28, v26
	v_fma_f32 v27, v28, v25, -v27
	v_fmac_f32_e32 v26, v22, v25
	buffer_store_dword v27, off, s[0:3], 0 offset:32
	buffer_store_dword v26, off, s[0:3], 0 offset:36
.LBB73_31:
	s_or_b64 exec, exec, s[4:5]
	; wave barrier
	buffer_load_dword v25, off, s[0:3], 0 offset:40
	buffer_load_dword v26, off, s[0:3], 0 offset:44
	v_cmp_gt_u32_e32 vcc, 5, v0
	s_waitcnt vmcnt(0)
	ds_write_b64 v24, v[25:26]
	;; [unrolled: 49-line block ×5, first 2 shown]
	s_waitcnt lgkmcnt(0)
	; wave barrier
	s_and_saveexec_b64 s[4:5], vcc
	s_cbranch_execz .LBB73_47
; %bb.44:
	v_add_u32_e32 v25, -1, v0
	v_add_u32_e32 v26, 0x50, v23
	v_mov_b32_e32 v27, v23
	v_mov_b32_e32 v22, 0
	s_mov_b64 s[8:9], 0
	v_mov_b32_e32 v28, 0
.LBB73_45:                              ; =>This Inner Loop Header: Depth=1
	buffer_load_dword v31, v27, s[0:3], 0 offen offset:4
	buffer_load_dword v32, v27, s[0:3], 0 offen
	ds_read_b64 v[29:30], v26
	v_add_u32_e32 v25, 1, v25
	v_cmp_lt_u32_e32 vcc, 6, v25
	v_add_u32_e32 v26, 8, v26
	v_add_u32_e32 v27, 8, v27
	s_or_b64 s[8:9], vcc, s[8:9]
	s_waitcnt vmcnt(1) lgkmcnt(0)
	v_mul_f32_e32 v33, v30, v31
	v_mul_f32_e32 v31, v29, v31
	s_waitcnt vmcnt(0)
	v_fma_f32 v29, v29, v32, -v33
	v_fmac_f32_e32 v31, v30, v32
	v_add_f32_e32 v28, v28, v29
	v_add_f32_e32 v22, v22, v31
	s_andn2_b64 exec, exec, s[8:9]
	s_cbranch_execnz .LBB73_45
; %bb.46:
	s_or_b64 exec, exec, s[8:9]
	v_mov_b32_e32 v25, 0
	ds_read_b64 v[25:26], v25 offset:64
	s_waitcnt lgkmcnt(0)
	v_mul_f32_e32 v27, v22, v26
	v_mul_f32_e32 v26, v28, v26
	v_fma_f32 v27, v28, v25, -v27
	v_fmac_f32_e32 v26, v22, v25
	buffer_store_dword v27, off, s[0:3], 0 offset:64
	buffer_store_dword v26, off, s[0:3], 0 offset:68
.LBB73_47:
	s_or_b64 exec, exec, s[4:5]
	; wave barrier
	buffer_load_dword v25, off, s[0:3], 0 offset:72
	buffer_load_dword v26, off, s[0:3], 0 offset:76
	v_cmp_ne_u32_e32 vcc, 9, v0
	s_waitcnt vmcnt(0)
	ds_write_b64 v24, v[25:26]
	s_waitcnt lgkmcnt(0)
	; wave barrier
	s_and_saveexec_b64 s[4:5], vcc
	s_cbranch_execz .LBB73_51
; %bb.48:
	v_add_u32_e32 v24, 0x50, v23
	v_mov_b32_e32 v22, 0
	s_mov_b64 s[8:9], 0
	v_mov_b32_e32 v25, 0
.LBB73_49:                              ; =>This Inner Loop Header: Depth=1
	buffer_load_dword v28, v23, s[0:3], 0 offen offset:4
	buffer_load_dword v29, v23, s[0:3], 0 offen
	ds_read_b64 v[26:27], v24
	v_add_u32_e32 v21, 1, v21
	v_cmp_lt_u32_e32 vcc, 7, v21
	v_add_u32_e32 v24, 8, v24
	v_add_u32_e32 v23, 8, v23
	s_or_b64 s[8:9], vcc, s[8:9]
	s_waitcnt vmcnt(1) lgkmcnt(0)
	v_mul_f32_e32 v30, v27, v28
	v_mul_f32_e32 v28, v26, v28
	s_waitcnt vmcnt(0)
	v_fma_f32 v26, v26, v29, -v30
	v_fmac_f32_e32 v28, v27, v29
	v_add_f32_e32 v25, v25, v26
	v_add_f32_e32 v22, v22, v28
	s_andn2_b64 exec, exec, s[8:9]
	s_cbranch_execnz .LBB73_49
; %bb.50:
	s_or_b64 exec, exec, s[8:9]
	v_mov_b32_e32 v21, 0
	ds_read_b64 v[23:24], v21 offset:72
	s_waitcnt lgkmcnt(0)
	v_mul_f32_e32 v21, v22, v24
	v_mul_f32_e32 v24, v25, v24
	v_fma_f32 v21, v25, v23, -v21
	v_fmac_f32_e32 v24, v22, v23
	buffer_store_dword v21, off, s[0:3], 0 offset:72
	buffer_store_dword v24, off, s[0:3], 0 offset:76
.LBB73_51:
	s_or_b64 exec, exec, s[4:5]
	s_mov_b64 s[8:9], -1
	; wave barrier
.LBB73_52:
	s_and_b64 vcc, exec, s[8:9]
	s_cbranch_vccz .LBB73_54
; %bb.53:
	s_lshl_b64 s[4:5], s[6:7], 2
	s_add_u32 s4, s10, s4
	s_addc_u32 s5, s11, s5
	v_mov_b32_e32 v21, 0
	global_load_dword v21, v21, s[4:5]
	s_waitcnt vmcnt(0)
	v_cmp_ne_u32_e32 vcc, 0, v21
	s_cbranch_vccz .LBB73_55
.LBB73_54:
	s_endpgm
.LBB73_55:
	v_mov_b32_e32 v21, 0x50
	v_lshl_add_u32 v21, v0, 3, v21
	v_cmp_eq_u32_e32 vcc, 9, v0
	s_and_saveexec_b64 s[4:5], vcc
	s_cbranch_execz .LBB73_57
; %bb.56:
	buffer_load_dword v22, off, s[0:3], 0 offset:64
	buffer_load_dword v23, off, s[0:3], 0 offset:68
	v_mov_b32_e32 v24, 0
	buffer_store_dword v24, off, s[0:3], 0 offset:64
	buffer_store_dword v24, off, s[0:3], 0 offset:68
	s_waitcnt vmcnt(2)
	ds_write_b64 v21, v[22:23]
.LBB73_57:
	s_or_b64 exec, exec, s[4:5]
	s_waitcnt lgkmcnt(0)
	; wave barrier
	buffer_load_dword v25, off, s[0:3], 0 offset:76
	buffer_load_dword v26, off, s[0:3], 0 offset:72
	;; [unrolled: 1-line block ×4, first 2 shown]
	v_mov_b32_e32 v22, 0
	ds_read_b64 v[23:24], v22 offset:152
	v_cmp_lt_u32_e32 vcc, 7, v0
	s_waitcnt vmcnt(3) lgkmcnt(0)
	v_mul_f32_e32 v29, v23, v25
	v_mul_f32_e32 v25, v24, v25
	s_waitcnt vmcnt(2)
	v_fma_f32 v23, v23, v26, -v25
	v_fmac_f32_e32 v29, v24, v26
	v_add_f32_e32 v23, 0, v23
	v_add_f32_e32 v24, 0, v29
	s_waitcnt vmcnt(1)
	v_sub_f32_e32 v23, v27, v23
	s_waitcnt vmcnt(0)
	v_sub_f32_e32 v24, v28, v24
	buffer_store_dword v23, off, s[0:3], 0 offset:64
	buffer_store_dword v24, off, s[0:3], 0 offset:68
	s_and_saveexec_b64 s[4:5], vcc
	s_cbranch_execz .LBB73_59
; %bb.58:
	buffer_load_dword v23, off, s[0:3], 0 offset:56
	buffer_load_dword v24, off, s[0:3], 0 offset:60
	s_waitcnt vmcnt(0)
	ds_write_b64 v21, v[23:24]
	buffer_store_dword v22, off, s[0:3], 0 offset:56
	buffer_store_dword v22, off, s[0:3], 0 offset:60
.LBB73_59:
	s_or_b64 exec, exec, s[4:5]
	s_waitcnt lgkmcnt(0)
	; wave barrier
	buffer_load_dword v26, off, s[0:3], 0 offset:68
	buffer_load_dword v27, off, s[0:3], 0 offset:76
	;; [unrolled: 1-line block ×6, first 2 shown]
	ds_read_b128 v[22:25], v22 offset:144
	v_cmp_lt_u32_e32 vcc, 6, v0
	s_waitcnt vmcnt(5) lgkmcnt(0)
	v_mul_f32_e32 v32, v22, v26
	v_mul_f32_e32 v26, v23, v26
	s_waitcnt vmcnt(4)
	v_mul_f32_e32 v33, v24, v27
	v_mul_f32_e32 v27, v25, v27
	s_waitcnt vmcnt(3)
	v_fma_f32 v22, v22, v28, -v26
	v_fmac_f32_e32 v32, v23, v28
	s_waitcnt vmcnt(2)
	v_fma_f32 v23, v24, v29, -v27
	v_add_f32_e32 v22, 0, v22
	v_fmac_f32_e32 v33, v25, v29
	v_add_f32_e32 v24, 0, v32
	v_add_f32_e32 v22, v22, v23
	;; [unrolled: 1-line block ×3, first 2 shown]
	s_waitcnt vmcnt(1)
	v_sub_f32_e32 v22, v30, v22
	s_waitcnt vmcnt(0)
	v_sub_f32_e32 v23, v31, v24
	buffer_store_dword v22, off, s[0:3], 0 offset:56
	buffer_store_dword v23, off, s[0:3], 0 offset:60
	s_and_saveexec_b64 s[4:5], vcc
	s_cbranch_execz .LBB73_61
; %bb.60:
	buffer_load_dword v22, off, s[0:3], 0 offset:48
	buffer_load_dword v23, off, s[0:3], 0 offset:52
	v_mov_b32_e32 v24, 0
	buffer_store_dword v24, off, s[0:3], 0 offset:48
	buffer_store_dword v24, off, s[0:3], 0 offset:52
	s_waitcnt vmcnt(2)
	ds_write_b64 v21, v[22:23]
.LBB73_61:
	s_or_b64 exec, exec, s[4:5]
	s_waitcnt lgkmcnt(0)
	; wave barrier
	buffer_load_dword v29, off, s[0:3], 0 offset:60
	buffer_load_dword v30, off, s[0:3], 0 offset:68
	;; [unrolled: 1-line block ×8, first 2 shown]
	v_mov_b32_e32 v22, 0
	ds_read2_b64 v[23:26], v22 offset0:17 offset1:18
	ds_read_b64 v[27:28], v22 offset:152
	v_cmp_lt_u32_e32 vcc, 5, v0
	s_waitcnt vmcnt(7) lgkmcnt(1)
	v_mul_f32_e32 v37, v23, v29
	v_mul_f32_e32 v29, v24, v29
	s_waitcnt vmcnt(6)
	v_mul_f32_e32 v38, v25, v30
	v_mul_f32_e32 v30, v26, v30
	s_waitcnt vmcnt(4)
	v_fma_f32 v23, v23, v32, -v29
	s_waitcnt lgkmcnt(0)
	v_mul_f32_e32 v39, v27, v31
	v_mul_f32_e32 v31, v28, v31
	v_fmac_f32_e32 v37, v24, v32
	s_waitcnt vmcnt(3)
	v_fma_f32 v24, v25, v33, -v30
	v_add_f32_e32 v23, 0, v23
	v_fmac_f32_e32 v38, v26, v33
	s_waitcnt vmcnt(2)
	v_fma_f32 v25, v27, v34, -v31
	v_add_f32_e32 v26, 0, v37
	v_add_f32_e32 v23, v23, v24
	v_fmac_f32_e32 v39, v28, v34
	v_add_f32_e32 v26, v26, v38
	v_add_f32_e32 v23, v23, v25
	;; [unrolled: 1-line block ×3, first 2 shown]
	s_waitcnt vmcnt(1)
	v_sub_f32_e32 v23, v35, v23
	s_waitcnt vmcnt(0)
	v_sub_f32_e32 v24, v36, v24
	buffer_store_dword v23, off, s[0:3], 0 offset:48
	buffer_store_dword v24, off, s[0:3], 0 offset:52
	s_and_saveexec_b64 s[4:5], vcc
	s_cbranch_execz .LBB73_63
; %bb.62:
	buffer_load_dword v23, off, s[0:3], 0 offset:40
	buffer_load_dword v24, off, s[0:3], 0 offset:44
	s_waitcnt vmcnt(0)
	ds_write_b64 v21, v[23:24]
	buffer_store_dword v22, off, s[0:3], 0 offset:40
	buffer_store_dword v22, off, s[0:3], 0 offset:44
.LBB73_63:
	s_or_b64 exec, exec, s[4:5]
	s_waitcnt lgkmcnt(0)
	; wave barrier
	buffer_load_dword v31, off, s[0:3], 0 offset:52
	buffer_load_dword v32, off, s[0:3], 0 offset:60
	buffer_load_dword v33, off, s[0:3], 0 offset:68
	buffer_load_dword v34, off, s[0:3], 0 offset:76
	buffer_load_dword v35, off, s[0:3], 0 offset:48
	buffer_load_dword v36, off, s[0:3], 0 offset:56
	buffer_load_dword v37, off, s[0:3], 0 offset:64
	buffer_load_dword v38, off, s[0:3], 0 offset:72
	buffer_load_dword v39, off, s[0:3], 0 offset:40
	buffer_load_dword v40, off, s[0:3], 0 offset:44
	ds_read_b128 v[23:26], v22 offset:128
	ds_read_b128 v[27:30], v22 offset:144
	v_cmp_lt_u32_e32 vcc, 4, v0
	s_waitcnt vmcnt(9) lgkmcnt(1)
	v_mul_f32_e32 v22, v23, v31
	v_mul_f32_e32 v31, v24, v31
	s_waitcnt vmcnt(8)
	v_mul_f32_e32 v41, v25, v32
	v_mul_f32_e32 v32, v26, v32
	s_waitcnt vmcnt(5)
	v_fma_f32 v23, v23, v35, -v31
	s_waitcnt lgkmcnt(0)
	v_mul_f32_e32 v42, v27, v33
	v_mul_f32_e32 v33, v28, v33
	v_fmac_f32_e32 v22, v24, v35
	s_waitcnt vmcnt(4)
	v_fma_f32 v24, v25, v36, -v32
	v_add_f32_e32 v23, 0, v23
	v_mul_f32_e32 v43, v29, v34
	v_mul_f32_e32 v34, v30, v34
	v_fmac_f32_e32 v41, v26, v36
	s_waitcnt vmcnt(3)
	v_fma_f32 v25, v27, v37, -v33
	v_add_f32_e32 v22, 0, v22
	v_add_f32_e32 v23, v23, v24
	v_fmac_f32_e32 v42, v28, v37
	s_waitcnt vmcnt(2)
	v_fma_f32 v26, v29, v38, -v34
	v_add_f32_e32 v22, v22, v41
	v_add_f32_e32 v23, v23, v25
	v_fmac_f32_e32 v43, v30, v38
	v_add_f32_e32 v22, v22, v42
	v_add_f32_e32 v23, v23, v26
	;; [unrolled: 1-line block ×3, first 2 shown]
	s_waitcnt vmcnt(1)
	v_sub_f32_e32 v23, v39, v23
	s_waitcnt vmcnt(0)
	v_sub_f32_e32 v22, v40, v22
	buffer_store_dword v23, off, s[0:3], 0 offset:40
	buffer_store_dword v22, off, s[0:3], 0 offset:44
	s_and_saveexec_b64 s[4:5], vcc
	s_cbranch_execz .LBB73_65
; %bb.64:
	buffer_load_dword v22, off, s[0:3], 0 offset:32
	buffer_load_dword v23, off, s[0:3], 0 offset:36
	v_mov_b32_e32 v24, 0
	buffer_store_dword v24, off, s[0:3], 0 offset:32
	buffer_store_dword v24, off, s[0:3], 0 offset:36
	s_waitcnt vmcnt(2)
	ds_write_b64 v21, v[22:23]
.LBB73_65:
	s_or_b64 exec, exec, s[4:5]
	s_waitcnt lgkmcnt(0)
	; wave barrier
	buffer_load_dword v33, off, s[0:3], 0 offset:44
	buffer_load_dword v34, off, s[0:3], 0 offset:52
	buffer_load_dword v35, off, s[0:3], 0 offset:60
	buffer_load_dword v36, off, s[0:3], 0 offset:68
	buffer_load_dword v37, off, s[0:3], 0 offset:76
	buffer_load_dword v38, off, s[0:3], 0 offset:40
	buffer_load_dword v39, off, s[0:3], 0 offset:48
	buffer_load_dword v40, off, s[0:3], 0 offset:56
	buffer_load_dword v41, off, s[0:3], 0 offset:64
	buffer_load_dword v42, off, s[0:3], 0 offset:72
	buffer_load_dword v43, off, s[0:3], 0 offset:32
	buffer_load_dword v44, off, s[0:3], 0 offset:36
	v_mov_b32_e32 v22, 0
	ds_read2_b64 v[23:26], v22 offset0:15 offset1:16
	ds_read2_b64 v[27:30], v22 offset0:17 offset1:18
	ds_read_b64 v[31:32], v22 offset:152
	v_cmp_lt_u32_e32 vcc, 3, v0
	s_waitcnt vmcnt(11) lgkmcnt(2)
	v_mul_f32_e32 v45, v23, v33
	v_mul_f32_e32 v33, v24, v33
	s_waitcnt vmcnt(10)
	v_mul_f32_e32 v46, v25, v34
	v_mul_f32_e32 v34, v26, v34
	s_waitcnt vmcnt(9) lgkmcnt(1)
	v_mul_f32_e32 v47, v27, v35
	s_waitcnt vmcnt(6)
	v_fma_f32 v23, v23, v38, -v33
	v_mul_f32_e32 v35, v28, v35
	v_fmac_f32_e32 v45, v24, v38
	s_waitcnt vmcnt(5)
	v_fma_f32 v24, v25, v39, -v34
	v_add_f32_e32 v23, 0, v23
	v_mul_f32_e32 v48, v29, v36
	v_mul_f32_e32 v36, v30, v36
	v_fmac_f32_e32 v46, v26, v39
	s_waitcnt vmcnt(4)
	v_fmac_f32_e32 v47, v28, v40
	v_fma_f32 v25, v27, v40, -v35
	v_add_f32_e32 v28, 0, v45
	v_add_f32_e32 v23, v23, v24
	s_waitcnt lgkmcnt(0)
	v_mul_f32_e32 v49, v31, v37
	v_mul_f32_e32 v37, v32, v37
	s_waitcnt vmcnt(3)
	v_fma_f32 v26, v29, v41, -v36
	v_add_f32_e32 v28, v28, v46
	v_add_f32_e32 v23, v23, v25
	v_fmac_f32_e32 v48, v30, v41
	s_waitcnt vmcnt(2)
	v_fma_f32 v27, v31, v42, -v37
	v_add_f32_e32 v24, v28, v47
	v_add_f32_e32 v23, v23, v26
	v_fmac_f32_e32 v49, v32, v42
	v_add_f32_e32 v24, v24, v48
	v_add_f32_e32 v23, v23, v27
	;; [unrolled: 1-line block ×3, first 2 shown]
	s_waitcnt vmcnt(1)
	v_sub_f32_e32 v23, v43, v23
	s_waitcnt vmcnt(0)
	v_sub_f32_e32 v24, v44, v24
	buffer_store_dword v23, off, s[0:3], 0 offset:32
	buffer_store_dword v24, off, s[0:3], 0 offset:36
	s_and_saveexec_b64 s[4:5], vcc
	s_cbranch_execz .LBB73_67
; %bb.66:
	buffer_load_dword v23, off, s[0:3], 0 offset:24
	buffer_load_dword v24, off, s[0:3], 0 offset:28
	s_waitcnt vmcnt(0)
	ds_write_b64 v21, v[23:24]
	buffer_store_dword v22, off, s[0:3], 0 offset:24
	buffer_store_dword v22, off, s[0:3], 0 offset:28
.LBB73_67:
	s_or_b64 exec, exec, s[4:5]
	s_waitcnt lgkmcnt(0)
	; wave barrier
	buffer_load_dword v35, off, s[0:3], 0 offset:36
	buffer_load_dword v36, off, s[0:3], 0 offset:44
	;; [unrolled: 1-line block ×14, first 2 shown]
	ds_read_b128 v[23:26], v22 offset:112
	ds_read_b128 v[27:30], v22 offset:128
	;; [unrolled: 1-line block ×3, first 2 shown]
	v_cmp_lt_u32_e32 vcc, 2, v0
	s_waitcnt vmcnt(13) lgkmcnt(2)
	v_mul_f32_e32 v22, v23, v35
	v_mul_f32_e32 v35, v24, v35
	s_waitcnt vmcnt(12)
	v_mul_f32_e32 v49, v25, v36
	v_mul_f32_e32 v36, v26, v36
	s_waitcnt vmcnt(11) lgkmcnt(1)
	v_mul_f32_e32 v50, v27, v37
	v_mul_f32_e32 v37, v28, v37
	s_waitcnt vmcnt(7)
	v_fma_f32 v23, v23, v41, -v35
	v_fmac_f32_e32 v22, v24, v41
	s_waitcnt vmcnt(6)
	v_fma_f32 v24, v25, v42, -v36
	v_add_f32_e32 v23, 0, v23
	v_mul_f32_e32 v51, v29, v38
	v_mul_f32_e32 v38, v30, v38
	v_fmac_f32_e32 v49, v26, v42
	s_waitcnt vmcnt(5)
	v_fma_f32 v25, v27, v43, -v37
	v_add_f32_e32 v22, 0, v22
	v_add_f32_e32 v23, v23, v24
	s_waitcnt lgkmcnt(0)
	v_mul_f32_e32 v52, v31, v39
	v_mul_f32_e32 v39, v32, v39
	v_fmac_f32_e32 v50, v28, v43
	s_waitcnt vmcnt(4)
	v_fma_f32 v26, v29, v44, -v38
	v_add_f32_e32 v22, v22, v49
	v_add_f32_e32 v23, v23, v25
	v_mul_f32_e32 v53, v33, v40
	v_mul_f32_e32 v40, v34, v40
	v_fmac_f32_e32 v51, v30, v44
	s_waitcnt vmcnt(3)
	v_fma_f32 v27, v31, v45, -v39
	v_add_f32_e32 v22, v22, v50
	v_add_f32_e32 v23, v23, v26
	v_fmac_f32_e32 v52, v32, v45
	s_waitcnt vmcnt(2)
	v_fma_f32 v28, v33, v46, -v40
	v_add_f32_e32 v22, v22, v51
	v_add_f32_e32 v23, v23, v27
	v_fmac_f32_e32 v53, v34, v46
	v_add_f32_e32 v22, v22, v52
	v_add_f32_e32 v23, v23, v28
	;; [unrolled: 1-line block ×3, first 2 shown]
	s_waitcnt vmcnt(1)
	v_sub_f32_e32 v23, v47, v23
	s_waitcnt vmcnt(0)
	v_sub_f32_e32 v22, v48, v22
	buffer_store_dword v23, off, s[0:3], 0 offset:24
	buffer_store_dword v22, off, s[0:3], 0 offset:28
	s_and_saveexec_b64 s[4:5], vcc
	s_cbranch_execz .LBB73_69
; %bb.68:
	buffer_load_dword v22, off, s[0:3], 0 offset:16
	buffer_load_dword v23, off, s[0:3], 0 offset:20
	v_mov_b32_e32 v24, 0
	buffer_store_dword v24, off, s[0:3], 0 offset:16
	buffer_store_dword v24, off, s[0:3], 0 offset:20
	s_waitcnt vmcnt(2)
	ds_write_b64 v21, v[22:23]
.LBB73_69:
	s_or_b64 exec, exec, s[4:5]
	s_waitcnt lgkmcnt(0)
	; wave barrier
	buffer_load_dword v37, off, s[0:3], 0 offset:28
	buffer_load_dword v38, off, s[0:3], 0 offset:36
	;; [unrolled: 1-line block ×16, first 2 shown]
	v_mov_b32_e32 v22, 0
	ds_read2_b64 v[23:26], v22 offset0:13 offset1:14
	ds_read2_b64 v[27:30], v22 offset0:15 offset1:16
	;; [unrolled: 1-line block ×3, first 2 shown]
	ds_read_b64 v[35:36], v22 offset:152
	v_cmp_lt_u32_e32 vcc, 1, v0
	s_waitcnt vmcnt(15) lgkmcnt(3)
	v_mul_f32_e32 v53, v23, v37
	v_mul_f32_e32 v37, v24, v37
	s_waitcnt vmcnt(14)
	v_mul_f32_e32 v54, v25, v38
	v_mul_f32_e32 v38, v26, v38
	s_waitcnt vmcnt(13) lgkmcnt(2)
	v_mul_f32_e32 v55, v27, v39
	s_waitcnt vmcnt(12)
	v_mul_f32_e32 v56, v29, v40
	v_mul_f32_e32 v39, v28, v39
	s_waitcnt vmcnt(8)
	v_fma_f32 v23, v23, v44, -v37
	v_fmac_f32_e32 v53, v24, v44
	s_waitcnt vmcnt(7)
	v_fma_f32 v24, v25, v45, -v38
	v_add_f32_e32 v23, 0, v23
	v_mul_f32_e32 v40, v30, v40
	v_fmac_f32_e32 v54, v26, v45
	s_waitcnt vmcnt(5)
	v_fmac_f32_e32 v56, v30, v47
	v_fma_f32 v25, v27, v46, -v39
	v_add_f32_e32 v30, 0, v53
	v_add_f32_e32 v23, v23, v24
	s_waitcnt lgkmcnt(1)
	v_mul_f32_e32 v57, v31, v41
	v_mul_f32_e32 v41, v32, v41
	v_fmac_f32_e32 v55, v28, v46
	v_fma_f32 v26, v29, v47, -v40
	v_add_f32_e32 v30, v30, v54
	v_add_f32_e32 v23, v23, v25
	v_mul_f32_e32 v58, v33, v42
	v_mul_f32_e32 v42, v34, v42
	s_waitcnt vmcnt(4)
	v_fma_f32 v27, v31, v48, -v41
	v_add_f32_e32 v24, v30, v55
	v_add_f32_e32 v23, v23, v26
	s_waitcnt lgkmcnt(0)
	v_mul_f32_e32 v59, v35, v43
	v_mul_f32_e32 v43, v36, v43
	v_fmac_f32_e32 v57, v32, v48
	s_waitcnt vmcnt(3)
	v_fma_f32 v28, v33, v49, -v42
	v_add_f32_e32 v24, v24, v56
	v_add_f32_e32 v23, v23, v27
	v_fmac_f32_e32 v58, v34, v49
	s_waitcnt vmcnt(2)
	v_fma_f32 v29, v35, v50, -v43
	v_add_f32_e32 v24, v24, v57
	v_add_f32_e32 v23, v23, v28
	v_fmac_f32_e32 v59, v36, v50
	v_add_f32_e32 v24, v24, v58
	v_add_f32_e32 v23, v23, v29
	;; [unrolled: 1-line block ×3, first 2 shown]
	s_waitcnt vmcnt(1)
	v_sub_f32_e32 v23, v51, v23
	s_waitcnt vmcnt(0)
	v_sub_f32_e32 v24, v52, v24
	buffer_store_dword v23, off, s[0:3], 0 offset:16
	buffer_store_dword v24, off, s[0:3], 0 offset:20
	s_and_saveexec_b64 s[4:5], vcc
	s_cbranch_execz .LBB73_71
; %bb.70:
	buffer_load_dword v23, off, s[0:3], 0 offset:8
	buffer_load_dword v24, off, s[0:3], 0 offset:12
	s_waitcnt vmcnt(0)
	ds_write_b64 v21, v[23:24]
	buffer_store_dword v22, off, s[0:3], 0 offset:8
	buffer_store_dword v22, off, s[0:3], 0 offset:12
.LBB73_71:
	s_or_b64 exec, exec, s[4:5]
	s_waitcnt lgkmcnt(0)
	; wave barrier
	ds_read_b128 v[23:26], v22 offset:96
	ds_read_b128 v[27:30], v22 offset:112
	;; [unrolled: 1-line block ×4, first 2 shown]
	buffer_load_dword v22, off, s[0:3], 0 offset:8
	buffer_load_dword v39, off, s[0:3], 0 offset:12
	;; [unrolled: 1-line block ×16, first 2 shown]
	v_cmp_ne_u32_e32 vcc, 0, v0
	s_waitcnt vmcnt(12) lgkmcnt(3)
	v_mul_f32_e32 v54, v23, v41
	v_fmac_f32_e32 v54, v24, v40
	s_waitcnt vmcnt(10)
	v_mul_f32_e32 v55, v25, v43
	v_add_f32_e32 v54, 0, v54
	v_fmac_f32_e32 v55, v26, v42
	v_add_f32_e32 v54, v54, v55
	s_waitcnt vmcnt(8) lgkmcnt(2)
	v_mul_f32_e32 v55, v27, v45
	v_fmac_f32_e32 v55, v28, v44
	v_add_f32_e32 v54, v54, v55
	s_waitcnt vmcnt(6)
	v_mul_f32_e32 v55, v29, v47
	v_fmac_f32_e32 v55, v30, v46
	v_add_f32_e32 v54, v54, v55
	s_waitcnt vmcnt(4) lgkmcnt(1)
	v_mul_f32_e32 v55, v31, v49
	v_fmac_f32_e32 v55, v32, v48
	v_add_f32_e32 v54, v54, v55
	s_waitcnt vmcnt(2)
	v_mul_f32_e32 v55, v33, v51
	v_fmac_f32_e32 v55, v34, v50
	v_add_f32_e32 v54, v54, v55
	s_waitcnt vmcnt(0) lgkmcnt(0)
	v_mul_f32_e32 v55, v35, v53
	v_fmac_f32_e32 v55, v36, v52
	v_add_f32_e32 v54, v54, v55
	buffer_load_dword v55, off, s[0:3], 0 offset:72
	buffer_load_dword v56, off, s[0:3], 0 offset:76
	v_mul_f32_e32 v24, v24, v41
	v_fma_f32 v23, v23, v40, -v24
	v_mul_f32_e32 v24, v26, v43
	v_add_f32_e32 v23, 0, v23
	v_fma_f32 v24, v25, v42, -v24
	v_add_f32_e32 v23, v23, v24
	v_mul_f32_e32 v24, v28, v45
	v_fma_f32 v24, v27, v44, -v24
	v_add_f32_e32 v23, v23, v24
	v_mul_f32_e32 v24, v30, v47
	;; [unrolled: 3-line block ×5, first 2 shown]
	v_fma_f32 v24, v35, v52, -v24
	v_add_f32_e32 v23, v23, v24
	s_waitcnt vmcnt(0)
	v_mul_f32_e32 v24, v38, v56
	v_mul_f32_e32 v57, v37, v56
	v_fma_f32 v24, v37, v55, -v24
	v_fmac_f32_e32 v57, v38, v55
	v_add_f32_e32 v23, v23, v24
	v_add_f32_e32 v54, v54, v57
	v_sub_f32_e32 v22, v22, v23
	v_sub_f32_e32 v23, v39, v54
	buffer_store_dword v22, off, s[0:3], 0 offset:8
	buffer_store_dword v23, off, s[0:3], 0 offset:12
	s_and_saveexec_b64 s[4:5], vcc
	s_cbranch_execz .LBB73_73
; %bb.72:
	buffer_load_dword v22, off, s[0:3], 0
	buffer_load_dword v23, off, s[0:3], 0 offset:4
	v_mov_b32_e32 v0, 0
	buffer_store_dword v0, off, s[0:3], 0
	buffer_store_dword v0, off, s[0:3], 0 offset:4
	s_waitcnt vmcnt(2)
	ds_write_b64 v21, v[22:23]
.LBB73_73:
	s_or_b64 exec, exec, s[4:5]
	v_mov_b32_e32 v0, 0
	s_waitcnt lgkmcnt(0)
	; wave barrier
	ds_read2_b64 v[23:26], v0 offset0:11 offset1:12
	buffer_load_dword v41, off, s[0:3], 0
	buffer_load_dword v42, off, s[0:3], 0 offset:4
	buffer_load_dword v43, off, s[0:3], 0 offset:8
	;; [unrolled: 1-line block ×15, first 2 shown]
	ds_read2_b64 v[27:30], v0 offset0:13 offset1:14
	ds_read2_b64 v[31:34], v0 offset0:15 offset1:16
	;; [unrolled: 1-line block ×3, first 2 shown]
	s_and_b64 vcc, exec, s[14:15]
	s_waitcnt vmcnt(12) lgkmcnt(3)
	v_mul_f32_e32 v21, v23, v44
	v_fmac_f32_e32 v21, v24, v43
	s_waitcnt vmcnt(10)
	v_mul_f32_e32 v22, v25, v46
	v_add_f32_e32 v21, 0, v21
	v_fmac_f32_e32 v22, v26, v45
	v_add_f32_e32 v21, v21, v22
	s_waitcnt vmcnt(8) lgkmcnt(2)
	v_mul_f32_e32 v22, v27, v48
	v_fmac_f32_e32 v22, v28, v47
	v_add_f32_e32 v21, v21, v22
	s_waitcnt vmcnt(6)
	v_mul_f32_e32 v22, v29, v50
	v_fmac_f32_e32 v22, v30, v49
	v_add_f32_e32 v21, v21, v22
	s_waitcnt vmcnt(4) lgkmcnt(1)
	v_mul_f32_e32 v22, v31, v52
	v_fmac_f32_e32 v22, v32, v51
	v_add_f32_e32 v21, v21, v22
	s_waitcnt vmcnt(2)
	v_mul_f32_e32 v22, v33, v54
	v_fmac_f32_e32 v22, v34, v53
	v_add_f32_e32 v21, v21, v22
	s_waitcnt vmcnt(0) lgkmcnt(0)
	v_mul_f32_e32 v22, v35, v56
	v_fmac_f32_e32 v22, v36, v55
	v_add_f32_e32 v39, v21, v22
	buffer_load_dword v21, off, s[0:3], 0 offset:68
	buffer_load_dword v22, off, s[0:3], 0 offset:64
	v_mul_f32_e32 v24, v24, v44
	v_fma_f32 v23, v23, v43, -v24
	v_mul_f32_e32 v24, v26, v46
	v_add_f32_e32 v23, 0, v23
	v_fma_f32 v24, v25, v45, -v24
	v_add_f32_e32 v23, v23, v24
	v_mul_f32_e32 v24, v28, v48
	v_fma_f32 v24, v27, v47, -v24
	v_add_f32_e32 v23, v23, v24
	v_mul_f32_e32 v24, v30, v50
	;; [unrolled: 3-line block ×5, first 2 shown]
	v_fma_f32 v24, v35, v55, -v24
	v_add_f32_e32 v23, v23, v24
	s_waitcnt vmcnt(1)
	v_mul_f32_e32 v40, v37, v21
	s_waitcnt vmcnt(0)
	v_fmac_f32_e32 v40, v38, v22
	v_add_f32_e32 v57, v39, v40
	ds_read_b64 v[39:40], v0 offset:152
	buffer_load_dword v58, off, s[0:3], 0 offset:72
	buffer_load_dword v59, off, s[0:3], 0 offset:76
	v_mul_f32_e32 v24, v38, v21
	v_fma_f32 v24, v37, v22, -v24
	v_add_f32_e32 v23, v23, v24
	s_waitcnt vmcnt(0) lgkmcnt(0)
	v_mul_f32_e32 v24, v40, v59
	v_mul_f32_e32 v60, v39, v59
	v_fma_f32 v24, v39, v58, -v24
	v_fmac_f32_e32 v60, v40, v58
	v_add_f32_e32 v23, v23, v24
	v_add_f32_e32 v57, v57, v60
	v_sub_f32_e32 v23, v41, v23
	v_sub_f32_e32 v24, v42, v57
	buffer_store_dword v23, off, s[0:3], 0
	buffer_store_dword v24, off, s[0:3], 0 offset:4
	s_cbranch_vccz .LBB73_92
; %bb.74:
	global_load_dword v0, v0, s[12:13] offset:32
	s_waitcnt vmcnt(0)
	v_add_u32_e32 v0, -1, v0
	v_cmp_ne_u32_e32 vcc, 8, v0
	s_cbranch_vccz .LBB73_76
; %bb.75:
	v_lshlrev_b32_e32 v0, 3, v0
	buffer_load_dword v23, v0, s[0:3], 0 offen offset:4
	buffer_load_dword v24, v0, s[0:3], 0 offen
	s_waitcnt vmcnt(1)
	buffer_store_dword v23, off, s[0:3], 0 offset:68
	s_waitcnt vmcnt(1)
	buffer_store_dword v24, off, s[0:3], 0 offset:64
	buffer_store_dword v21, v0, s[0:3], 0 offen offset:4
	buffer_store_dword v22, v0, s[0:3], 0 offen
.LBB73_76:
	v_mov_b32_e32 v0, 0
	global_load_dword v21, v0, s[12:13] offset:28
	s_waitcnt vmcnt(0)
	v_add_u32_e32 v21, -1, v21
	v_cmp_eq_u32_e32 vcc, 7, v21
	s_cbranch_vccnz .LBB73_78
; %bb.77:
	v_lshlrev_b32_e32 v21, 3, v21
	buffer_load_dword v22, v21, s[0:3], 0 offen
	buffer_load_dword v23, v21, s[0:3], 0 offen offset:4
	buffer_load_dword v24, off, s[0:3], 0 offset:56
	buffer_load_dword v25, off, s[0:3], 0 offset:60
	s_waitcnt vmcnt(3)
	buffer_store_dword v22, off, s[0:3], 0 offset:56
	s_waitcnt vmcnt(3)
	buffer_store_dword v23, off, s[0:3], 0 offset:60
	s_waitcnt vmcnt(3)
	buffer_store_dword v24, v21, s[0:3], 0 offen
	s_waitcnt vmcnt(3)
	buffer_store_dword v25, v21, s[0:3], 0 offen offset:4
.LBB73_78:
	global_load_dword v0, v0, s[12:13] offset:24
	s_waitcnt vmcnt(0)
	v_add_u32_e32 v0, -1, v0
	v_cmp_eq_u32_e32 vcc, 6, v0
	s_cbranch_vccnz .LBB73_80
; %bb.79:
	v_lshlrev_b32_e32 v0, 3, v0
	buffer_load_dword v21, v0, s[0:3], 0 offen
	buffer_load_dword v22, v0, s[0:3], 0 offen offset:4
	buffer_load_dword v23, off, s[0:3], 0 offset:52
	buffer_load_dword v24, off, s[0:3], 0 offset:48
	s_waitcnt vmcnt(3)
	buffer_store_dword v21, off, s[0:3], 0 offset:48
	s_waitcnt vmcnt(3)
	buffer_store_dword v22, off, s[0:3], 0 offset:52
	s_waitcnt vmcnt(3)
	buffer_store_dword v23, v0, s[0:3], 0 offen offset:4
	s_waitcnt vmcnt(3)
	buffer_store_dword v24, v0, s[0:3], 0 offen
.LBB73_80:
	v_mov_b32_e32 v0, 0
	global_load_dword v21, v0, s[12:13] offset:20
	s_waitcnt vmcnt(0)
	v_add_u32_e32 v21, -1, v21
	v_cmp_eq_u32_e32 vcc, 5, v21
	s_cbranch_vccnz .LBB73_82
; %bb.81:
	v_lshlrev_b32_e32 v21, 3, v21
	buffer_load_dword v22, v21, s[0:3], 0 offen
	buffer_load_dword v23, v21, s[0:3], 0 offen offset:4
	buffer_load_dword v24, off, s[0:3], 0 offset:40
	buffer_load_dword v25, off, s[0:3], 0 offset:44
	s_waitcnt vmcnt(3)
	buffer_store_dword v22, off, s[0:3], 0 offset:40
	s_waitcnt vmcnt(3)
	buffer_store_dword v23, off, s[0:3], 0 offset:44
	s_waitcnt vmcnt(3)
	buffer_store_dword v24, v21, s[0:3], 0 offen
	s_waitcnt vmcnt(3)
	buffer_store_dword v25, v21, s[0:3], 0 offen offset:4
.LBB73_82:
	global_load_dword v0, v0, s[12:13] offset:16
	s_waitcnt vmcnt(0)
	v_add_u32_e32 v0, -1, v0
	v_cmp_eq_u32_e32 vcc, 4, v0
	s_cbranch_vccnz .LBB73_84
; %bb.83:
	v_lshlrev_b32_e32 v0, 3, v0
	buffer_load_dword v21, v0, s[0:3], 0 offen
	buffer_load_dword v22, v0, s[0:3], 0 offen offset:4
	buffer_load_dword v23, off, s[0:3], 0 offset:36
	buffer_load_dword v24, off, s[0:3], 0 offset:32
	s_waitcnt vmcnt(3)
	buffer_store_dword v21, off, s[0:3], 0 offset:32
	s_waitcnt vmcnt(3)
	buffer_store_dword v22, off, s[0:3], 0 offset:36
	s_waitcnt vmcnt(3)
	buffer_store_dword v23, v0, s[0:3], 0 offen offset:4
	s_waitcnt vmcnt(3)
	buffer_store_dword v24, v0, s[0:3], 0 offen
.LBB73_84:
	;; [unrolled: 41-line block ×3, first 2 shown]
	v_mov_b32_e32 v0, 0
	global_load_dword v21, v0, s[12:13] offset:4
	s_waitcnt vmcnt(0)
	v_add_u32_e32 v21, -1, v21
	v_cmp_eq_u32_e32 vcc, 1, v21
	s_cbranch_vccnz .LBB73_90
; %bb.89:
	v_lshlrev_b32_e32 v21, 3, v21
	buffer_load_dword v22, v21, s[0:3], 0 offen
	buffer_load_dword v23, v21, s[0:3], 0 offen offset:4
	buffer_load_dword v24, off, s[0:3], 0 offset:8
	buffer_load_dword v25, off, s[0:3], 0 offset:12
	s_waitcnt vmcnt(3)
	buffer_store_dword v22, off, s[0:3], 0 offset:8
	s_waitcnt vmcnt(3)
	buffer_store_dword v23, off, s[0:3], 0 offset:12
	s_waitcnt vmcnt(3)
	buffer_store_dword v24, v21, s[0:3], 0 offen
	s_waitcnt vmcnt(3)
	buffer_store_dword v25, v21, s[0:3], 0 offen offset:4
.LBB73_90:
	global_load_dword v0, v0, s[12:13]
	s_waitcnt vmcnt(0)
	v_add_u32_e32 v0, -1, v0
	v_cmp_eq_u32_e32 vcc, 0, v0
	s_cbranch_vccnz .LBB73_92
; %bb.91:
	v_lshlrev_b32_e32 v0, 3, v0
	buffer_load_dword v21, v0, s[0:3], 0 offen
	buffer_load_dword v22, v0, s[0:3], 0 offen offset:4
	buffer_load_dword v23, off, s[0:3], 0 offset:4
	buffer_load_dword v24, off, s[0:3], 0
	s_waitcnt vmcnt(3)
	buffer_store_dword v21, off, s[0:3], 0
	s_waitcnt vmcnt(3)
	buffer_store_dword v22, off, s[0:3], 0 offset:4
	s_waitcnt vmcnt(3)
	buffer_store_dword v23, v0, s[0:3], 0 offen offset:4
	s_waitcnt vmcnt(3)
	buffer_store_dword v24, v0, s[0:3], 0 offen
.LBB73_92:
	buffer_load_dword v21, off, s[0:3], 0
	buffer_load_dword v22, off, s[0:3], 0 offset:4
	s_waitcnt vmcnt(0)
	flat_store_dwordx2 v[1:2], v[21:22]
	buffer_load_dword v0, off, s[0:3], 0 offset:8
	s_nop 0
	buffer_load_dword v1, off, s[0:3], 0 offset:12
	s_waitcnt vmcnt(0)
	flat_store_dwordx2 v[3:4], v[0:1]
	buffer_load_dword v0, off, s[0:3], 0 offset:16
	s_nop 0
	;; [unrolled: 5-line block ×9, first 2 shown]
	buffer_load_dword v1, off, s[0:3], 0 offset:76
	s_waitcnt vmcnt(0)
	flat_store_dwordx2 v[19:20], v[0:1]
	s_endpgm
	.section	.rodata,"a",@progbits
	.p2align	6, 0x0
	.amdhsa_kernel _ZN9rocsolver6v33100L18getri_kernel_smallILi10E19rocblas_complex_numIfEPKPS3_EEvT1_iilPiilS8_bb
		.amdhsa_group_segment_fixed_size 164
		.amdhsa_private_segment_fixed_size 96
		.amdhsa_kernarg_size 60
		.amdhsa_user_sgpr_count 6
		.amdhsa_user_sgpr_private_segment_buffer 1
		.amdhsa_user_sgpr_dispatch_ptr 0
		.amdhsa_user_sgpr_queue_ptr 0
		.amdhsa_user_sgpr_kernarg_segment_ptr 1
		.amdhsa_user_sgpr_dispatch_id 0
		.amdhsa_user_sgpr_flat_scratch_init 0
		.amdhsa_user_sgpr_private_segment_size 0
		.amdhsa_uses_dynamic_stack 0
		.amdhsa_system_sgpr_private_segment_wavefront_offset 1
		.amdhsa_system_sgpr_workgroup_id_x 1
		.amdhsa_system_sgpr_workgroup_id_y 0
		.amdhsa_system_sgpr_workgroup_id_z 0
		.amdhsa_system_sgpr_workgroup_info 0
		.amdhsa_system_vgpr_workitem_id 0
		.amdhsa_next_free_vgpr 61
		.amdhsa_next_free_sgpr 21
		.amdhsa_reserve_vcc 1
		.amdhsa_reserve_flat_scratch 0
		.amdhsa_float_round_mode_32 0
		.amdhsa_float_round_mode_16_64 0
		.amdhsa_float_denorm_mode_32 3
		.amdhsa_float_denorm_mode_16_64 3
		.amdhsa_dx10_clamp 1
		.amdhsa_ieee_mode 1
		.amdhsa_fp16_overflow 0
		.amdhsa_exception_fp_ieee_invalid_op 0
		.amdhsa_exception_fp_denorm_src 0
		.amdhsa_exception_fp_ieee_div_zero 0
		.amdhsa_exception_fp_ieee_overflow 0
		.amdhsa_exception_fp_ieee_underflow 0
		.amdhsa_exception_fp_ieee_inexact 0
		.amdhsa_exception_int_div_zero 0
	.end_amdhsa_kernel
	.section	.text._ZN9rocsolver6v33100L18getri_kernel_smallILi10E19rocblas_complex_numIfEPKPS3_EEvT1_iilPiilS8_bb,"axG",@progbits,_ZN9rocsolver6v33100L18getri_kernel_smallILi10E19rocblas_complex_numIfEPKPS3_EEvT1_iilPiilS8_bb,comdat
.Lfunc_end73:
	.size	_ZN9rocsolver6v33100L18getri_kernel_smallILi10E19rocblas_complex_numIfEPKPS3_EEvT1_iilPiilS8_bb, .Lfunc_end73-_ZN9rocsolver6v33100L18getri_kernel_smallILi10E19rocblas_complex_numIfEPKPS3_EEvT1_iilPiilS8_bb
                                        ; -- End function
	.set _ZN9rocsolver6v33100L18getri_kernel_smallILi10E19rocblas_complex_numIfEPKPS3_EEvT1_iilPiilS8_bb.num_vgpr, 61
	.set _ZN9rocsolver6v33100L18getri_kernel_smallILi10E19rocblas_complex_numIfEPKPS3_EEvT1_iilPiilS8_bb.num_agpr, 0
	.set _ZN9rocsolver6v33100L18getri_kernel_smallILi10E19rocblas_complex_numIfEPKPS3_EEvT1_iilPiilS8_bb.numbered_sgpr, 21
	.set _ZN9rocsolver6v33100L18getri_kernel_smallILi10E19rocblas_complex_numIfEPKPS3_EEvT1_iilPiilS8_bb.num_named_barrier, 0
	.set _ZN9rocsolver6v33100L18getri_kernel_smallILi10E19rocblas_complex_numIfEPKPS3_EEvT1_iilPiilS8_bb.private_seg_size, 96
	.set _ZN9rocsolver6v33100L18getri_kernel_smallILi10E19rocblas_complex_numIfEPKPS3_EEvT1_iilPiilS8_bb.uses_vcc, 1
	.set _ZN9rocsolver6v33100L18getri_kernel_smallILi10E19rocblas_complex_numIfEPKPS3_EEvT1_iilPiilS8_bb.uses_flat_scratch, 0
	.set _ZN9rocsolver6v33100L18getri_kernel_smallILi10E19rocblas_complex_numIfEPKPS3_EEvT1_iilPiilS8_bb.has_dyn_sized_stack, 0
	.set _ZN9rocsolver6v33100L18getri_kernel_smallILi10E19rocblas_complex_numIfEPKPS3_EEvT1_iilPiilS8_bb.has_recursion, 0
	.set _ZN9rocsolver6v33100L18getri_kernel_smallILi10E19rocblas_complex_numIfEPKPS3_EEvT1_iilPiilS8_bb.has_indirect_call, 0
	.section	.AMDGPU.csdata,"",@progbits
; Kernel info:
; codeLenInByte = 8220
; TotalNumSgprs: 25
; NumVgprs: 61
; ScratchSize: 96
; MemoryBound: 0
; FloatMode: 240
; IeeeMode: 1
; LDSByteSize: 164 bytes/workgroup (compile time only)
; SGPRBlocks: 3
; VGPRBlocks: 15
; NumSGPRsForWavesPerEU: 25
; NumVGPRsForWavesPerEU: 61
; Occupancy: 4
; WaveLimiterHint : 1
; COMPUTE_PGM_RSRC2:SCRATCH_EN: 1
; COMPUTE_PGM_RSRC2:USER_SGPR: 6
; COMPUTE_PGM_RSRC2:TRAP_HANDLER: 0
; COMPUTE_PGM_RSRC2:TGID_X_EN: 1
; COMPUTE_PGM_RSRC2:TGID_Y_EN: 0
; COMPUTE_PGM_RSRC2:TGID_Z_EN: 0
; COMPUTE_PGM_RSRC2:TIDIG_COMP_CNT: 0
	.section	.text._ZN9rocsolver6v33100L18getri_kernel_smallILi11E19rocblas_complex_numIfEPKPS3_EEvT1_iilPiilS8_bb,"axG",@progbits,_ZN9rocsolver6v33100L18getri_kernel_smallILi11E19rocblas_complex_numIfEPKPS3_EEvT1_iilPiilS8_bb,comdat
	.globl	_ZN9rocsolver6v33100L18getri_kernel_smallILi11E19rocblas_complex_numIfEPKPS3_EEvT1_iilPiilS8_bb ; -- Begin function _ZN9rocsolver6v33100L18getri_kernel_smallILi11E19rocblas_complex_numIfEPKPS3_EEvT1_iilPiilS8_bb
	.p2align	8
	.type	_ZN9rocsolver6v33100L18getri_kernel_smallILi11E19rocblas_complex_numIfEPKPS3_EEvT1_iilPiilS8_bb,@function
_ZN9rocsolver6v33100L18getri_kernel_smallILi11E19rocblas_complex_numIfEPKPS3_EEvT1_iilPiilS8_bb: ; @_ZN9rocsolver6v33100L18getri_kernel_smallILi11E19rocblas_complex_numIfEPKPS3_EEvT1_iilPiilS8_bb
; %bb.0:
	s_add_u32 s0, s0, s7
	s_addc_u32 s1, s1, 0
	v_cmp_gt_u32_e32 vcc, 11, v0
	s_and_saveexec_b64 s[8:9], vcc
	s_cbranch_execz .LBB74_58
; %bb.1:
	s_load_dword s18, s[4:5], 0x38
	s_load_dwordx2 s[12:13], s[4:5], 0x0
	s_load_dwordx4 s[8:11], s[4:5], 0x28
	s_waitcnt lgkmcnt(0)
	s_bitcmp1_b32 s18, 8
	s_cselect_b64 s[14:15], -1, 0
	s_ashr_i32 s7, s6, 31
	s_lshl_b64 s[16:17], s[6:7], 3
	s_add_u32 s12, s12, s16
	s_addc_u32 s13, s13, s17
	s_load_dwordx2 s[16:17], s[12:13], 0x0
	s_bfe_u32 s12, s18, 0x10008
	s_cmp_eq_u32 s12, 0
                                        ; implicit-def: $sgpr12_sgpr13
	s_cbranch_scc1 .LBB74_3
; %bb.2:
	s_load_dword s12, s[4:5], 0x20
	s_load_dwordx2 s[18:19], s[4:5], 0x18
	s_mul_i32 s13, s8, s7
	s_mul_hi_u32 s20, s8, s6
	s_add_i32 s20, s20, s13
	s_mul_i32 s9, s9, s6
	s_add_i32 s9, s20, s9
	s_mul_i32 s8, s8, s6
	s_waitcnt lgkmcnt(0)
	s_ashr_i32 s13, s12, 31
	s_lshl_b64 s[8:9], s[8:9], 2
	s_add_u32 s18, s18, s8
	s_addc_u32 s19, s19, s9
	s_lshl_b64 s[8:9], s[12:13], 2
	s_add_u32 s12, s18, s8
	s_addc_u32 s13, s19, s9
.LBB74_3:
	s_load_dwordx2 s[8:9], s[4:5], 0x8
	s_load_dword s18, s[4:5], 0x38
	v_lshlrev_b32_e32 v25, 3, v0
	s_waitcnt lgkmcnt(0)
	s_ashr_i32 s5, s8, 31
	s_mov_b32 s4, s8
	s_lshl_b64 s[4:5], s[4:5], 3
	s_add_u32 s8, s16, s4
	s_addc_u32 s16, s17, s5
	v_mov_b32_e32 v2, s16
	v_add_co_u32_e32 v1, vcc, s8, v25
	v_addc_co_u32_e32 v2, vcc, 0, v2, vcc
	flat_load_dwordx2 v[5:6], v[1:2]
	s_mov_b32 s4, s9
	s_ashr_i32 s5, s9, 31
	s_lshl_b64 s[4:5], s[4:5], 3
	v_mov_b32_e32 v4, s5
	v_add_co_u32_e32 v3, vcc, s4, v1
	v_addc_co_u32_e32 v4, vcc, v2, v4, vcc
	s_add_i32 s4, s9, s9
	v_add_u32_e32 v9, s4, v0
	v_ashrrev_i32_e32 v10, 31, v9
	v_mov_b32_e32 v11, s16
	v_add_u32_e32 v12, s9, v9
	v_ashrrev_i32_e32 v13, 31, v12
	v_mov_b32_e32 v14, s16
	v_mov_b32_e32 v15, s16
	;; [unrolled: 1-line block ×7, first 2 shown]
	s_bitcmp0_b32 s18, 0
	s_waitcnt vmcnt(0) lgkmcnt(0)
	buffer_store_dword v6, off, s[0:3], 0 offset:4
	buffer_store_dword v5, off, s[0:3], 0
	flat_load_dwordx2 v[7:8], v[3:4]
	v_lshlrev_b64 v[5:6], 3, v[9:10]
	s_waitcnt vmcnt(0) lgkmcnt(0)
	buffer_store_dword v8, off, s[0:3], 0 offset:12
	buffer_store_dword v7, off, s[0:3], 0 offset:8
	v_add_co_u32_e32 v5, vcc, s8, v5
	v_addc_co_u32_e32 v6, vcc, v11, v6, vcc
	flat_load_dwordx2 v[10:11], v[5:6]
	v_lshlrev_b64 v[7:8], 3, v[12:13]
	s_waitcnt vmcnt(0) lgkmcnt(0)
	buffer_store_dword v11, off, s[0:3], 0 offset:20
	buffer_store_dword v10, off, s[0:3], 0 offset:16
	v_add_co_u32_e32 v7, vcc, s8, v7
	v_addc_co_u32_e32 v8, vcc, v14, v8, vcc
	flat_load_dwordx2 v[13:14], v[7:8]
	v_add_u32_e32 v11, s9, v12
	v_ashrrev_i32_e32 v12, 31, v11
	v_lshlrev_b64 v[9:10], 3, v[11:12]
	s_waitcnt vmcnt(0) lgkmcnt(0)
	buffer_store_dword v14, off, s[0:3], 0 offset:28
	buffer_store_dword v13, off, s[0:3], 0 offset:24
	v_add_co_u32_e32 v9, vcc, s8, v9
	v_addc_co_u32_e32 v10, vcc, v15, v10, vcc
	flat_load_dwordx2 v[13:14], v[9:10]
	v_add_u32_e32 v15, s9, v11
	v_ashrrev_i32_e32 v16, 31, v15
	v_lshlrev_b64 v[11:12], 3, v[15:16]
	v_add_u32_e32 v18, s9, v15
	v_add_co_u32_e32 v11, vcc, s8, v11
	v_addc_co_u32_e32 v12, vcc, v17, v12, vcc
	v_ashrrev_i32_e32 v19, 31, v18
	s_waitcnt vmcnt(0) lgkmcnt(0)
	buffer_store_dword v14, off, s[0:3], 0 offset:36
	buffer_store_dword v13, off, s[0:3], 0 offset:32
	flat_load_dwordx2 v[16:17], v[11:12]
	v_lshlrev_b64 v[13:14], 3, v[18:19]
	s_waitcnt vmcnt(0) lgkmcnt(0)
	buffer_store_dword v17, off, s[0:3], 0 offset:44
	buffer_store_dword v16, off, s[0:3], 0 offset:40
	v_add_co_u32_e32 v13, vcc, s8, v13
	v_addc_co_u32_e32 v14, vcc, v20, v14, vcc
	flat_load_dwordx2 v[19:20], v[13:14]
	v_add_u32_e32 v17, s9, v18
	v_ashrrev_i32_e32 v18, 31, v17
	v_lshlrev_b64 v[15:16], 3, v[17:18]
	s_waitcnt vmcnt(0) lgkmcnt(0)
	buffer_store_dword v20, off, s[0:3], 0 offset:52
	buffer_store_dword v19, off, s[0:3], 0 offset:48
	v_add_co_u32_e32 v15, vcc, s8, v15
	v_addc_co_u32_e32 v16, vcc, v21, v16, vcc
	flat_load_dwordx2 v[19:20], v[15:16]
	v_add_u32_e32 v21, s9, v17
	v_ashrrev_i32_e32 v22, 31, v21
	v_lshlrev_b64 v[17:18], 3, v[21:22]
	v_add_u32_e32 v26, s9, v21
	v_add_co_u32_e32 v17, vcc, s8, v17
	v_addc_co_u32_e32 v18, vcc, v23, v18, vcc
	v_ashrrev_i32_e32 v27, 31, v26
	v_add_u32_e32 v21, s9, v26
	s_waitcnt vmcnt(0) lgkmcnt(0)
	buffer_store_dword v20, off, s[0:3], 0 offset:60
	buffer_store_dword v19, off, s[0:3], 0 offset:56
	flat_load_dwordx2 v[22:23], v[17:18]
	v_lshlrev_b64 v[19:20], 3, v[26:27]
	v_mov_b32_e32 v27, s16
	v_add_co_u32_e32 v19, vcc, s8, v19
	v_addc_co_u32_e32 v20, vcc, v24, v20, vcc
	s_waitcnt vmcnt(0) lgkmcnt(0)
	buffer_store_dword v23, off, s[0:3], 0 offset:68
	buffer_store_dword v22, off, s[0:3], 0 offset:64
	flat_load_dwordx2 v[23:24], v[19:20]
	v_ashrrev_i32_e32 v22, 31, v21
	v_lshlrev_b64 v[21:22], 3, v[21:22]
	s_waitcnt vmcnt(0) lgkmcnt(0)
	buffer_store_dword v24, off, s[0:3], 0 offset:76
	buffer_store_dword v23, off, s[0:3], 0 offset:72
	v_add_co_u32_e32 v21, vcc, s8, v21
	v_addc_co_u32_e32 v22, vcc, v27, v22, vcc
	flat_load_dwordx2 v[23:24], v[21:22]
	s_mov_b64 s[8:9], -1
	s_waitcnt vmcnt(0) lgkmcnt(0)
	buffer_store_dword v24, off, s[0:3], 0 offset:84
	buffer_store_dword v23, off, s[0:3], 0 offset:80
	s_cbranch_scc1 .LBB74_56
; %bb.4:
	v_cmp_eq_u32_e64 s[4:5], 0, v0
	s_and_saveexec_b64 s[8:9], s[4:5]
; %bb.5:
	v_mov_b32_e32 v23, 0
	ds_write_b32 v23, v23 offset:88
; %bb.6:
	s_or_b64 exec, exec, s[8:9]
	v_mov_b32_e32 v23, 0
	v_lshl_add_u32 v27, v0, 3, v23
	s_waitcnt lgkmcnt(0)
	; wave barrier
	buffer_load_dword v23, v27, s[0:3], 0 offen
	buffer_load_dword v24, v27, s[0:3], 0 offen offset:4
	s_waitcnt vmcnt(1)
	v_cmp_eq_f32_e32 vcc, 0, v23
	s_waitcnt vmcnt(0)
	v_cmp_eq_f32_e64 s[8:9], 0, v24
	s_and_b64 s[8:9], vcc, s[8:9]
	s_and_saveexec_b64 s[16:17], s[8:9]
	s_cbranch_execz .LBB74_10
; %bb.7:
	v_mov_b32_e32 v23, 0
	ds_read_b32 v26, v23 offset:88
	v_add_u32_e32 v24, 1, v0
	s_waitcnt lgkmcnt(0)
	v_readfirstlane_b32 s8, v26
	s_cmp_eq_u32 s8, 0
	s_cselect_b64 s[18:19], -1, 0
	v_cmp_gt_i32_e32 vcc, s8, v24
	s_or_b64 s[18:19], s[18:19], vcc
	s_and_b64 exec, exec, s[18:19]
	s_cbranch_execz .LBB74_10
; %bb.8:
	s_mov_b64 s[18:19], 0
	v_mov_b32_e32 v26, s8
.LBB74_9:                               ; =>This Inner Loop Header: Depth=1
	ds_cmpst_rtn_b32 v26, v23, v26, v24 offset:88
	s_waitcnt lgkmcnt(0)
	v_cmp_ne_u32_e32 vcc, 0, v26
	v_cmp_le_i32_e64 s[8:9], v26, v24
	s_and_b64 s[8:9], vcc, s[8:9]
	s_and_b64 s[8:9], exec, s[8:9]
	s_or_b64 s[18:19], s[8:9], s[18:19]
	s_andn2_b64 exec, exec, s[18:19]
	s_cbranch_execnz .LBB74_9
.LBB74_10:
	s_or_b64 exec, exec, s[16:17]
	v_mov_b32_e32 v24, 0
	; wave barrier
	ds_read_b32 v23, v24 offset:88
	s_and_saveexec_b64 s[8:9], s[4:5]
	s_cbranch_execz .LBB74_12
; %bb.11:
	s_lshl_b64 s[16:17], s[6:7], 2
	s_add_u32 s16, s10, s16
	s_addc_u32 s17, s11, s17
	s_waitcnt lgkmcnt(0)
	global_store_dword v24, v23, s[16:17]
.LBB74_12:
	s_or_b64 exec, exec, s[8:9]
	s_waitcnt lgkmcnt(0)
	v_cmp_ne_u32_e32 vcc, 0, v23
	s_mov_b64 s[8:9], 0
	s_cbranch_vccnz .LBB74_56
; %bb.13:
	buffer_load_dword v24, v27, s[0:3], 0 offen
	buffer_load_dword v26, v27, s[0:3], 0 offen offset:4
                                        ; implicit-def: $vgpr29
                                        ; implicit-def: $vgpr28
                                        ; implicit-def: $vgpr23
	s_waitcnt vmcnt(0)
	v_cmp_ngt_f32_e64 s[8:9], |v24|, |v26|
	s_and_saveexec_b64 s[16:17], s[8:9]
	s_xor_b64 s[8:9], exec, s[16:17]
	s_cbranch_execz .LBB74_15
; %bb.14:
	v_div_scale_f32 v23, s[16:17], v26, v26, v24
	v_div_scale_f32 v28, vcc, v24, v26, v24
	v_rcp_f32_e32 v29, v23
	v_fma_f32 v30, -v23, v29, 1.0
	v_fmac_f32_e32 v29, v30, v29
	v_mul_f32_e32 v30, v28, v29
	v_fma_f32 v31, -v23, v30, v28
	v_fmac_f32_e32 v30, v31, v29
	v_fma_f32 v23, -v23, v30, v28
	v_div_fmas_f32 v23, v23, v29, v30
	v_div_fixup_f32 v23, v23, v26, v24
	v_fmac_f32_e32 v26, v24, v23
	v_div_scale_f32 v24, s[16:17], v26, v26, 1.0
	v_div_scale_f32 v28, vcc, 1.0, v26, 1.0
	v_rcp_f32_e32 v29, v24
	v_fma_f32 v30, -v24, v29, 1.0
	v_fmac_f32_e32 v29, v30, v29
	v_mul_f32_e32 v30, v28, v29
	v_fma_f32 v31, -v24, v30, v28
	v_fmac_f32_e32 v30, v31, v29
	v_fma_f32 v24, -v24, v30, v28
	v_div_fmas_f32 v24, v24, v29, v30
	v_div_fixup_f32 v24, v24, v26, 1.0
	v_mul_f32_e32 v29, v23, v24
	v_xor_b32_e32 v28, 0x80000000, v24
	v_xor_b32_e32 v23, 0x80000000, v29
                                        ; implicit-def: $vgpr24
                                        ; implicit-def: $vgpr26
.LBB74_15:
	s_andn2_saveexec_b64 s[8:9], s[8:9]
	s_cbranch_execz .LBB74_17
; %bb.16:
	v_div_scale_f32 v23, s[16:17], v24, v24, v26
	v_div_scale_f32 v28, vcc, v26, v24, v26
	v_rcp_f32_e32 v29, v23
	v_fma_f32 v30, -v23, v29, 1.0
	v_fmac_f32_e32 v29, v30, v29
	v_mul_f32_e32 v30, v28, v29
	v_fma_f32 v31, -v23, v30, v28
	v_fmac_f32_e32 v30, v31, v29
	v_fma_f32 v23, -v23, v30, v28
	v_div_fmas_f32 v23, v23, v29, v30
	v_div_fixup_f32 v28, v23, v24, v26
	v_fmac_f32_e32 v24, v26, v28
	v_div_scale_f32 v23, s[16:17], v24, v24, 1.0
	v_div_scale_f32 v26, vcc, 1.0, v24, 1.0
	v_rcp_f32_e32 v29, v23
	v_fma_f32 v30, -v23, v29, 1.0
	v_fmac_f32_e32 v29, v30, v29
	v_mul_f32_e32 v30, v26, v29
	v_fma_f32 v31, -v23, v30, v26
	v_fmac_f32_e32 v30, v31, v29
	v_fma_f32 v23, -v23, v30, v26
	v_div_fmas_f32 v23, v23, v29, v30
	v_div_fixup_f32 v29, v23, v24, 1.0
	v_xor_b32_e32 v23, 0x80000000, v29
	v_mul_f32_e64 v28, v28, -v29
.LBB74_17:
	s_or_b64 exec, exec, s[8:9]
	buffer_store_dword v29, v27, s[0:3], 0 offen
	buffer_store_dword v28, v27, s[0:3], 0 offen offset:4
	buffer_load_dword v30, off, s[0:3], 0 offset:12
	s_nop 0
	buffer_load_dword v29, off, s[0:3], 0 offset:8
	v_xor_b32_e32 v24, 0x80000000, v28
	v_add_u32_e32 v26, 0x60, v25
	s_waitcnt vmcnt(0)
	ds_write2_b64 v25, v[23:24], v[29:30] offset1:12
	s_waitcnt lgkmcnt(0)
	; wave barrier
	s_and_saveexec_b64 s[8:9], s[4:5]
	s_cbranch_execz .LBB74_19
; %bb.18:
	buffer_load_dword v30, v27, s[0:3], 0 offen offset:4
	buffer_load_dword v31, v27, s[0:3], 0 offen
	ds_read_b64 v[23:24], v26
	v_mov_b32_e32 v28, 0
	ds_read_b64 v[28:29], v28 offset:8
	s_waitcnt vmcnt(1) lgkmcnt(1)
	v_mul_f32_e32 v32, v24, v30
	v_mul_f32_e32 v30, v23, v30
	s_waitcnt vmcnt(0)
	v_fmac_f32_e32 v30, v24, v31
	v_fma_f32 v23, v23, v31, -v32
	v_add_f32_e32 v24, 0, v30
	v_add_f32_e32 v23, 0, v23
	s_waitcnt lgkmcnt(0)
	v_mul_f32_e32 v30, v24, v29
	v_mul_f32_e32 v29, v23, v29
	v_fma_f32 v23, v23, v28, -v30
	v_fmac_f32_e32 v29, v24, v28
	buffer_store_dword v23, off, s[0:3], 0 offset:8
	buffer_store_dword v29, off, s[0:3], 0 offset:12
.LBB74_19:
	s_or_b64 exec, exec, s[8:9]
	; wave barrier
	buffer_load_dword v23, off, s[0:3], 0 offset:16
	buffer_load_dword v24, off, s[0:3], 0 offset:20
	v_cmp_gt_u32_e32 vcc, 2, v0
	s_waitcnt vmcnt(0)
	ds_write_b64 v26, v[23:24]
	s_waitcnt lgkmcnt(0)
	; wave barrier
	s_and_saveexec_b64 s[8:9], vcc
	s_cbranch_execz .LBB74_23
; %bb.20:
	buffer_load_dword v28, v27, s[0:3], 0 offen offset:4
	buffer_load_dword v29, v27, s[0:3], 0 offen
	ds_read_b64 v[23:24], v26
	s_waitcnt vmcnt(1) lgkmcnt(0)
	v_mul_f32_e32 v27, v24, v28
	v_mul_f32_e32 v28, v23, v28
	s_waitcnt vmcnt(0)
	v_fma_f32 v23, v23, v29, -v27
	v_fmac_f32_e32 v28, v24, v29
	v_add_f32_e32 v24, 0, v23
	v_add_f32_e32 v23, 0, v28
	s_and_saveexec_b64 s[16:17], s[4:5]
	s_cbranch_execz .LBB74_22
; %bb.21:
	buffer_load_dword v29, off, s[0:3], 0 offset:12
	buffer_load_dword v30, off, s[0:3], 0 offset:8
	v_mov_b32_e32 v27, 0
	ds_read_b64 v[27:28], v27 offset:104
	s_waitcnt vmcnt(1) lgkmcnt(0)
	v_mul_f32_e32 v31, v27, v29
	v_mul_f32_e32 v29, v28, v29
	s_waitcnt vmcnt(0)
	v_fmac_f32_e32 v31, v28, v30
	v_fma_f32 v27, v27, v30, -v29
	v_add_f32_e32 v23, v23, v31
	v_add_f32_e32 v24, v24, v27
.LBB74_22:
	s_or_b64 exec, exec, s[16:17]
	v_mov_b32_e32 v27, 0
	ds_read_b64 v[27:28], v27 offset:16
	s_waitcnt lgkmcnt(0)
	v_mul_f32_e32 v29, v23, v28
	v_mul_f32_e32 v28, v24, v28
	v_fma_f32 v24, v24, v27, -v29
	v_fmac_f32_e32 v28, v23, v27
	buffer_store_dword v24, off, s[0:3], 0 offset:16
	buffer_store_dword v28, off, s[0:3], 0 offset:20
.LBB74_23:
	s_or_b64 exec, exec, s[8:9]
	; wave barrier
	buffer_load_dword v23, off, s[0:3], 0 offset:24
	buffer_load_dword v24, off, s[0:3], 0 offset:28
	v_cmp_gt_u32_e32 vcc, 3, v0
	s_waitcnt vmcnt(0)
	ds_write_b64 v26, v[23:24]
	v_add_u32_e32 v23, -1, v0
	s_waitcnt lgkmcnt(0)
	; wave barrier
	s_and_saveexec_b64 s[4:5], vcc
	s_cbranch_execz .LBB74_27
; %bb.24:
	v_add_u32_e32 v27, -1, v0
	v_add_u32_e32 v28, 0x60, v25
	v_mov_b32_e32 v29, v25
	v_mov_b32_e32 v24, 0
	s_mov_b64 s[8:9], 0
	v_mov_b32_e32 v30, 0
.LBB74_25:                              ; =>This Inner Loop Header: Depth=1
	buffer_load_dword v33, v29, s[0:3], 0 offen offset:4
	buffer_load_dword v34, v29, s[0:3], 0 offen
	ds_read_b64 v[31:32], v28
	v_add_u32_e32 v27, 1, v27
	v_cmp_lt_u32_e32 vcc, 1, v27
	v_add_u32_e32 v28, 8, v28
	v_add_u32_e32 v29, 8, v29
	s_or_b64 s[8:9], vcc, s[8:9]
	s_waitcnt vmcnt(1) lgkmcnt(0)
	v_mul_f32_e32 v35, v32, v33
	v_mul_f32_e32 v33, v31, v33
	s_waitcnt vmcnt(0)
	v_fma_f32 v31, v31, v34, -v35
	v_fmac_f32_e32 v33, v32, v34
	v_add_f32_e32 v30, v30, v31
	v_add_f32_e32 v24, v24, v33
	s_andn2_b64 exec, exec, s[8:9]
	s_cbranch_execnz .LBB74_25
; %bb.26:
	s_or_b64 exec, exec, s[8:9]
	v_mov_b32_e32 v27, 0
	ds_read_b64 v[27:28], v27 offset:24
	s_waitcnt lgkmcnt(0)
	v_mul_f32_e32 v29, v24, v28
	v_mul_f32_e32 v28, v30, v28
	v_fma_f32 v29, v30, v27, -v29
	v_fmac_f32_e32 v28, v24, v27
	buffer_store_dword v29, off, s[0:3], 0 offset:24
	buffer_store_dword v28, off, s[0:3], 0 offset:28
.LBB74_27:
	s_or_b64 exec, exec, s[4:5]
	; wave barrier
	buffer_load_dword v27, off, s[0:3], 0 offset:32
	buffer_load_dword v28, off, s[0:3], 0 offset:36
	v_cmp_gt_u32_e32 vcc, 4, v0
	s_waitcnt vmcnt(0)
	ds_write_b64 v26, v[27:28]
	s_waitcnt lgkmcnt(0)
	; wave barrier
	s_and_saveexec_b64 s[4:5], vcc
	s_cbranch_execz .LBB74_31
; %bb.28:
	v_add_u32_e32 v27, -1, v0
	v_add_u32_e32 v28, 0x60, v25
	v_mov_b32_e32 v29, v25
	v_mov_b32_e32 v24, 0
	s_mov_b64 s[8:9], 0
	v_mov_b32_e32 v30, 0
.LBB74_29:                              ; =>This Inner Loop Header: Depth=1
	buffer_load_dword v33, v29, s[0:3], 0 offen offset:4
	buffer_load_dword v34, v29, s[0:3], 0 offen
	ds_read_b64 v[31:32], v28
	v_add_u32_e32 v27, 1, v27
	v_cmp_lt_u32_e32 vcc, 2, v27
	v_add_u32_e32 v28, 8, v28
	v_add_u32_e32 v29, 8, v29
	s_or_b64 s[8:9], vcc, s[8:9]
	s_waitcnt vmcnt(1) lgkmcnt(0)
	v_mul_f32_e32 v35, v32, v33
	v_mul_f32_e32 v33, v31, v33
	s_waitcnt vmcnt(0)
	v_fma_f32 v31, v31, v34, -v35
	v_fmac_f32_e32 v33, v32, v34
	v_add_f32_e32 v30, v30, v31
	v_add_f32_e32 v24, v24, v33
	s_andn2_b64 exec, exec, s[8:9]
	s_cbranch_execnz .LBB74_29
; %bb.30:
	s_or_b64 exec, exec, s[8:9]
	v_mov_b32_e32 v27, 0
	ds_read_b64 v[27:28], v27 offset:32
	s_waitcnt lgkmcnt(0)
	v_mul_f32_e32 v29, v24, v28
	v_mul_f32_e32 v28, v30, v28
	v_fma_f32 v29, v30, v27, -v29
	v_fmac_f32_e32 v28, v24, v27
	buffer_store_dword v29, off, s[0:3], 0 offset:32
	buffer_store_dword v28, off, s[0:3], 0 offset:36
.LBB74_31:
	s_or_b64 exec, exec, s[4:5]
	; wave barrier
	buffer_load_dword v27, off, s[0:3], 0 offset:40
	buffer_load_dword v28, off, s[0:3], 0 offset:44
	v_cmp_gt_u32_e32 vcc, 5, v0
	s_waitcnt vmcnt(0)
	ds_write_b64 v26, v[27:28]
	;; [unrolled: 49-line block ×6, first 2 shown]
	s_waitcnt lgkmcnt(0)
	; wave barrier
	s_and_saveexec_b64 s[4:5], vcc
	s_cbranch_execz .LBB74_51
; %bb.48:
	v_add_u32_e32 v27, -1, v0
	v_add_u32_e32 v28, 0x60, v25
	v_mov_b32_e32 v29, v25
	v_mov_b32_e32 v24, 0
	s_mov_b64 s[8:9], 0
	v_mov_b32_e32 v30, 0
.LBB74_49:                              ; =>This Inner Loop Header: Depth=1
	buffer_load_dword v33, v29, s[0:3], 0 offen offset:4
	buffer_load_dword v34, v29, s[0:3], 0 offen
	ds_read_b64 v[31:32], v28
	v_add_u32_e32 v27, 1, v27
	v_cmp_lt_u32_e32 vcc, 7, v27
	v_add_u32_e32 v28, 8, v28
	v_add_u32_e32 v29, 8, v29
	s_or_b64 s[8:9], vcc, s[8:9]
	s_waitcnt vmcnt(1) lgkmcnt(0)
	v_mul_f32_e32 v35, v32, v33
	v_mul_f32_e32 v33, v31, v33
	s_waitcnt vmcnt(0)
	v_fma_f32 v31, v31, v34, -v35
	v_fmac_f32_e32 v33, v32, v34
	v_add_f32_e32 v30, v30, v31
	v_add_f32_e32 v24, v24, v33
	s_andn2_b64 exec, exec, s[8:9]
	s_cbranch_execnz .LBB74_49
; %bb.50:
	s_or_b64 exec, exec, s[8:9]
	v_mov_b32_e32 v27, 0
	ds_read_b64 v[27:28], v27 offset:72
	s_waitcnt lgkmcnt(0)
	v_mul_f32_e32 v29, v24, v28
	v_mul_f32_e32 v28, v30, v28
	v_fma_f32 v29, v30, v27, -v29
	v_fmac_f32_e32 v28, v24, v27
	buffer_store_dword v29, off, s[0:3], 0 offset:72
	buffer_store_dword v28, off, s[0:3], 0 offset:76
.LBB74_51:
	s_or_b64 exec, exec, s[4:5]
	; wave barrier
	buffer_load_dword v27, off, s[0:3], 0 offset:80
	buffer_load_dword v28, off, s[0:3], 0 offset:84
	v_cmp_ne_u32_e32 vcc, 10, v0
	s_waitcnt vmcnt(0)
	ds_write_b64 v26, v[27:28]
	s_waitcnt lgkmcnt(0)
	; wave barrier
	s_and_saveexec_b64 s[4:5], vcc
	s_cbranch_execz .LBB74_55
; %bb.52:
	v_add_u32_e32 v26, 0x60, v25
	v_mov_b32_e32 v24, 0
	s_mov_b64 s[8:9], 0
	v_mov_b32_e32 v27, 0
.LBB74_53:                              ; =>This Inner Loop Header: Depth=1
	buffer_load_dword v30, v25, s[0:3], 0 offen offset:4
	buffer_load_dword v31, v25, s[0:3], 0 offen
	ds_read_b64 v[28:29], v26
	v_add_u32_e32 v23, 1, v23
	v_cmp_lt_u32_e32 vcc, 8, v23
	v_add_u32_e32 v26, 8, v26
	v_add_u32_e32 v25, 8, v25
	s_or_b64 s[8:9], vcc, s[8:9]
	s_waitcnt vmcnt(1) lgkmcnt(0)
	v_mul_f32_e32 v32, v29, v30
	v_mul_f32_e32 v30, v28, v30
	s_waitcnt vmcnt(0)
	v_fma_f32 v28, v28, v31, -v32
	v_fmac_f32_e32 v30, v29, v31
	v_add_f32_e32 v27, v27, v28
	v_add_f32_e32 v24, v24, v30
	s_andn2_b64 exec, exec, s[8:9]
	s_cbranch_execnz .LBB74_53
; %bb.54:
	s_or_b64 exec, exec, s[8:9]
	v_mov_b32_e32 v23, 0
	ds_read_b64 v[25:26], v23 offset:80
	s_waitcnt lgkmcnt(0)
	v_mul_f32_e32 v23, v24, v26
	v_mul_f32_e32 v26, v27, v26
	v_fma_f32 v23, v27, v25, -v23
	v_fmac_f32_e32 v26, v24, v25
	buffer_store_dword v23, off, s[0:3], 0 offset:80
	buffer_store_dword v26, off, s[0:3], 0 offset:84
.LBB74_55:
	s_or_b64 exec, exec, s[4:5]
	s_mov_b64 s[8:9], -1
	; wave barrier
.LBB74_56:
	s_and_b64 vcc, exec, s[8:9]
	s_cbranch_vccz .LBB74_58
; %bb.57:
	s_lshl_b64 s[4:5], s[6:7], 2
	s_add_u32 s4, s10, s4
	s_addc_u32 s5, s11, s5
	v_mov_b32_e32 v23, 0
	global_load_dword v23, v23, s[4:5]
	s_waitcnt vmcnt(0)
	v_cmp_ne_u32_e32 vcc, 0, v23
	s_cbranch_vccz .LBB74_59
.LBB74_58:
	s_endpgm
.LBB74_59:
	v_mov_b32_e32 v23, 0x60
	v_lshl_add_u32 v23, v0, 3, v23
	v_cmp_eq_u32_e32 vcc, 10, v0
	s_and_saveexec_b64 s[4:5], vcc
	s_cbranch_execz .LBB74_61
; %bb.60:
	buffer_load_dword v24, off, s[0:3], 0 offset:72
	buffer_load_dword v25, off, s[0:3], 0 offset:76
	v_mov_b32_e32 v26, 0
	buffer_store_dword v26, off, s[0:3], 0 offset:72
	buffer_store_dword v26, off, s[0:3], 0 offset:76
	s_waitcnt vmcnt(2)
	ds_write_b64 v23, v[24:25]
.LBB74_61:
	s_or_b64 exec, exec, s[4:5]
	s_waitcnt lgkmcnt(0)
	; wave barrier
	buffer_load_dword v27, off, s[0:3], 0 offset:84
	buffer_load_dword v28, off, s[0:3], 0 offset:80
	;; [unrolled: 1-line block ×4, first 2 shown]
	v_mov_b32_e32 v24, 0
	ds_read_b64 v[25:26], v24 offset:176
	v_cmp_lt_u32_e32 vcc, 8, v0
	s_waitcnt vmcnt(3) lgkmcnt(0)
	v_mul_f32_e32 v31, v25, v27
	v_mul_f32_e32 v27, v26, v27
	s_waitcnt vmcnt(2)
	v_fma_f32 v25, v25, v28, -v27
	v_fmac_f32_e32 v31, v26, v28
	v_add_f32_e32 v25, 0, v25
	v_add_f32_e32 v26, 0, v31
	s_waitcnt vmcnt(1)
	v_sub_f32_e32 v25, v29, v25
	s_waitcnt vmcnt(0)
	v_sub_f32_e32 v26, v30, v26
	buffer_store_dword v25, off, s[0:3], 0 offset:72
	buffer_store_dword v26, off, s[0:3], 0 offset:76
	s_and_saveexec_b64 s[4:5], vcc
	s_cbranch_execz .LBB74_63
; %bb.62:
	buffer_load_dword v25, off, s[0:3], 0 offset:64
	buffer_load_dword v26, off, s[0:3], 0 offset:68
	s_waitcnt vmcnt(0)
	ds_write_b64 v23, v[25:26]
	buffer_store_dword v24, off, s[0:3], 0 offset:64
	buffer_store_dword v24, off, s[0:3], 0 offset:68
.LBB74_63:
	s_or_b64 exec, exec, s[4:5]
	s_waitcnt lgkmcnt(0)
	; wave barrier
	buffer_load_dword v28, off, s[0:3], 0 offset:76
	buffer_load_dword v29, off, s[0:3], 0 offset:84
	;; [unrolled: 1-line block ×6, first 2 shown]
	ds_read2_b64 v[24:27], v24 offset0:21 offset1:22
	v_cmp_lt_u32_e32 vcc, 7, v0
	s_waitcnt vmcnt(5) lgkmcnt(0)
	v_mul_f32_e32 v34, v24, v28
	v_mul_f32_e32 v28, v25, v28
	s_waitcnt vmcnt(4)
	v_mul_f32_e32 v35, v26, v29
	v_mul_f32_e32 v29, v27, v29
	s_waitcnt vmcnt(3)
	v_fma_f32 v24, v24, v30, -v28
	v_fmac_f32_e32 v34, v25, v30
	s_waitcnt vmcnt(2)
	v_fma_f32 v25, v26, v31, -v29
	v_add_f32_e32 v24, 0, v24
	v_fmac_f32_e32 v35, v27, v31
	v_add_f32_e32 v26, 0, v34
	v_add_f32_e32 v24, v24, v25
	;; [unrolled: 1-line block ×3, first 2 shown]
	s_waitcnt vmcnt(1)
	v_sub_f32_e32 v24, v32, v24
	s_waitcnt vmcnt(0)
	v_sub_f32_e32 v25, v33, v26
	buffer_store_dword v24, off, s[0:3], 0 offset:64
	buffer_store_dword v25, off, s[0:3], 0 offset:68
	s_and_saveexec_b64 s[4:5], vcc
	s_cbranch_execz .LBB74_65
; %bb.64:
	buffer_load_dword v24, off, s[0:3], 0 offset:56
	buffer_load_dword v25, off, s[0:3], 0 offset:60
	v_mov_b32_e32 v26, 0
	buffer_store_dword v26, off, s[0:3], 0 offset:56
	buffer_store_dword v26, off, s[0:3], 0 offset:60
	s_waitcnt vmcnt(2)
	ds_write_b64 v23, v[24:25]
.LBB74_65:
	s_or_b64 exec, exec, s[4:5]
	s_waitcnt lgkmcnt(0)
	; wave barrier
	buffer_load_dword v31, off, s[0:3], 0 offset:68
	buffer_load_dword v32, off, s[0:3], 0 offset:76
	;; [unrolled: 1-line block ×8, first 2 shown]
	v_mov_b32_e32 v24, 0
	ds_read_b128 v[25:28], v24 offset:160
	ds_read_b64 v[29:30], v24 offset:176
	v_cmp_lt_u32_e32 vcc, 6, v0
	s_waitcnt vmcnt(7) lgkmcnt(1)
	v_mul_f32_e32 v39, v25, v31
	v_mul_f32_e32 v31, v26, v31
	s_waitcnt vmcnt(6)
	v_mul_f32_e32 v40, v27, v32
	v_mul_f32_e32 v32, v28, v32
	s_waitcnt vmcnt(4)
	v_fma_f32 v25, v25, v34, -v31
	s_waitcnt lgkmcnt(0)
	v_mul_f32_e32 v41, v29, v33
	v_mul_f32_e32 v33, v30, v33
	v_fmac_f32_e32 v39, v26, v34
	s_waitcnt vmcnt(3)
	v_fma_f32 v26, v27, v35, -v32
	v_add_f32_e32 v25, 0, v25
	v_fmac_f32_e32 v40, v28, v35
	s_waitcnt vmcnt(2)
	v_fma_f32 v27, v29, v36, -v33
	v_add_f32_e32 v28, 0, v39
	v_add_f32_e32 v25, v25, v26
	v_fmac_f32_e32 v41, v30, v36
	v_add_f32_e32 v28, v28, v40
	v_add_f32_e32 v25, v25, v27
	;; [unrolled: 1-line block ×3, first 2 shown]
	s_waitcnt vmcnt(1)
	v_sub_f32_e32 v25, v37, v25
	s_waitcnt vmcnt(0)
	v_sub_f32_e32 v26, v38, v26
	buffer_store_dword v25, off, s[0:3], 0 offset:56
	buffer_store_dword v26, off, s[0:3], 0 offset:60
	s_and_saveexec_b64 s[4:5], vcc
	s_cbranch_execz .LBB74_67
; %bb.66:
	buffer_load_dword v25, off, s[0:3], 0 offset:48
	buffer_load_dword v26, off, s[0:3], 0 offset:52
	s_waitcnt vmcnt(0)
	ds_write_b64 v23, v[25:26]
	buffer_store_dword v24, off, s[0:3], 0 offset:48
	buffer_store_dword v24, off, s[0:3], 0 offset:52
.LBB74_67:
	s_or_b64 exec, exec, s[4:5]
	s_waitcnt lgkmcnt(0)
	; wave barrier
	buffer_load_dword v33, off, s[0:3], 0 offset:60
	buffer_load_dword v34, off, s[0:3], 0 offset:68
	buffer_load_dword v35, off, s[0:3], 0 offset:76
	buffer_load_dword v36, off, s[0:3], 0 offset:84
	buffer_load_dword v37, off, s[0:3], 0 offset:56
	buffer_load_dword v38, off, s[0:3], 0 offset:64
	buffer_load_dword v39, off, s[0:3], 0 offset:72
	buffer_load_dword v40, off, s[0:3], 0 offset:80
	buffer_load_dword v41, off, s[0:3], 0 offset:48
	buffer_load_dword v42, off, s[0:3], 0 offset:52
	ds_read2_b64 v[25:28], v24 offset0:19 offset1:20
	ds_read2_b64 v[29:32], v24 offset0:21 offset1:22
	v_cmp_lt_u32_e32 vcc, 5, v0
	s_waitcnt vmcnt(9) lgkmcnt(1)
	v_mul_f32_e32 v24, v25, v33
	v_mul_f32_e32 v33, v26, v33
	s_waitcnt vmcnt(8)
	v_mul_f32_e32 v43, v27, v34
	v_mul_f32_e32 v34, v28, v34
	s_waitcnt vmcnt(5)
	v_fma_f32 v25, v25, v37, -v33
	s_waitcnt lgkmcnt(0)
	v_mul_f32_e32 v44, v29, v35
	v_mul_f32_e32 v35, v30, v35
	v_fmac_f32_e32 v24, v26, v37
	s_waitcnt vmcnt(4)
	v_fma_f32 v26, v27, v38, -v34
	v_add_f32_e32 v25, 0, v25
	v_mul_f32_e32 v45, v31, v36
	v_mul_f32_e32 v36, v32, v36
	v_fmac_f32_e32 v43, v28, v38
	s_waitcnt vmcnt(3)
	v_fma_f32 v27, v29, v39, -v35
	v_add_f32_e32 v24, 0, v24
	v_add_f32_e32 v25, v25, v26
	v_fmac_f32_e32 v44, v30, v39
	s_waitcnt vmcnt(2)
	v_fma_f32 v28, v31, v40, -v36
	v_add_f32_e32 v24, v24, v43
	v_add_f32_e32 v25, v25, v27
	v_fmac_f32_e32 v45, v32, v40
	v_add_f32_e32 v24, v24, v44
	v_add_f32_e32 v25, v25, v28
	v_add_f32_e32 v24, v24, v45
	s_waitcnt vmcnt(1)
	v_sub_f32_e32 v25, v41, v25
	s_waitcnt vmcnt(0)
	v_sub_f32_e32 v24, v42, v24
	buffer_store_dword v25, off, s[0:3], 0 offset:48
	buffer_store_dword v24, off, s[0:3], 0 offset:52
	s_and_saveexec_b64 s[4:5], vcc
	s_cbranch_execz .LBB74_69
; %bb.68:
	buffer_load_dword v24, off, s[0:3], 0 offset:40
	buffer_load_dword v25, off, s[0:3], 0 offset:44
	v_mov_b32_e32 v26, 0
	buffer_store_dword v26, off, s[0:3], 0 offset:40
	buffer_store_dword v26, off, s[0:3], 0 offset:44
	s_waitcnt vmcnt(2)
	ds_write_b64 v23, v[24:25]
.LBB74_69:
	s_or_b64 exec, exec, s[4:5]
	s_waitcnt lgkmcnt(0)
	; wave barrier
	buffer_load_dword v35, off, s[0:3], 0 offset:52
	buffer_load_dword v36, off, s[0:3], 0 offset:60
	buffer_load_dword v37, off, s[0:3], 0 offset:68
	buffer_load_dword v38, off, s[0:3], 0 offset:76
	buffer_load_dword v39, off, s[0:3], 0 offset:84
	buffer_load_dword v40, off, s[0:3], 0 offset:48
	buffer_load_dword v41, off, s[0:3], 0 offset:56
	buffer_load_dword v42, off, s[0:3], 0 offset:64
	buffer_load_dword v43, off, s[0:3], 0 offset:72
	buffer_load_dword v44, off, s[0:3], 0 offset:80
	buffer_load_dword v45, off, s[0:3], 0 offset:40
	buffer_load_dword v46, off, s[0:3], 0 offset:44
	v_mov_b32_e32 v24, 0
	ds_read_b128 v[25:28], v24 offset:144
	ds_read_b128 v[29:32], v24 offset:160
	ds_read_b64 v[33:34], v24 offset:176
	v_cmp_lt_u32_e32 vcc, 4, v0
	s_waitcnt vmcnt(11) lgkmcnt(2)
	v_mul_f32_e32 v47, v25, v35
	v_mul_f32_e32 v35, v26, v35
	s_waitcnt vmcnt(10)
	v_mul_f32_e32 v48, v27, v36
	v_mul_f32_e32 v36, v28, v36
	s_waitcnt vmcnt(9) lgkmcnt(1)
	v_mul_f32_e32 v49, v29, v37
	s_waitcnt vmcnt(6)
	v_fma_f32 v25, v25, v40, -v35
	v_mul_f32_e32 v37, v30, v37
	v_fmac_f32_e32 v47, v26, v40
	s_waitcnt vmcnt(5)
	v_fma_f32 v26, v27, v41, -v36
	v_add_f32_e32 v25, 0, v25
	v_mul_f32_e32 v50, v31, v38
	v_mul_f32_e32 v38, v32, v38
	v_fmac_f32_e32 v48, v28, v41
	s_waitcnt vmcnt(4)
	v_fmac_f32_e32 v49, v30, v42
	v_fma_f32 v27, v29, v42, -v37
	v_add_f32_e32 v30, 0, v47
	v_add_f32_e32 v25, v25, v26
	s_waitcnt lgkmcnt(0)
	v_mul_f32_e32 v51, v33, v39
	v_mul_f32_e32 v39, v34, v39
	s_waitcnt vmcnt(3)
	v_fma_f32 v28, v31, v43, -v38
	v_add_f32_e32 v30, v30, v48
	v_add_f32_e32 v25, v25, v27
	v_fmac_f32_e32 v50, v32, v43
	s_waitcnt vmcnt(2)
	v_fma_f32 v29, v33, v44, -v39
	v_add_f32_e32 v26, v30, v49
	v_add_f32_e32 v25, v25, v28
	v_fmac_f32_e32 v51, v34, v44
	v_add_f32_e32 v26, v26, v50
	v_add_f32_e32 v25, v25, v29
	;; [unrolled: 1-line block ×3, first 2 shown]
	s_waitcnt vmcnt(1)
	v_sub_f32_e32 v25, v45, v25
	s_waitcnt vmcnt(0)
	v_sub_f32_e32 v26, v46, v26
	buffer_store_dword v25, off, s[0:3], 0 offset:40
	buffer_store_dword v26, off, s[0:3], 0 offset:44
	s_and_saveexec_b64 s[4:5], vcc
	s_cbranch_execz .LBB74_71
; %bb.70:
	buffer_load_dword v25, off, s[0:3], 0 offset:32
	buffer_load_dword v26, off, s[0:3], 0 offset:36
	s_waitcnt vmcnt(0)
	ds_write_b64 v23, v[25:26]
	buffer_store_dword v24, off, s[0:3], 0 offset:32
	buffer_store_dword v24, off, s[0:3], 0 offset:36
.LBB74_71:
	s_or_b64 exec, exec, s[4:5]
	s_waitcnt lgkmcnt(0)
	; wave barrier
	buffer_load_dword v37, off, s[0:3], 0 offset:44
	buffer_load_dword v38, off, s[0:3], 0 offset:52
	;; [unrolled: 1-line block ×14, first 2 shown]
	ds_read2_b64 v[25:28], v24 offset0:17 offset1:18
	ds_read2_b64 v[29:32], v24 offset0:19 offset1:20
	;; [unrolled: 1-line block ×3, first 2 shown]
	v_cmp_lt_u32_e32 vcc, 3, v0
	s_waitcnt vmcnt(13) lgkmcnt(2)
	v_mul_f32_e32 v24, v25, v37
	v_mul_f32_e32 v37, v26, v37
	s_waitcnt vmcnt(12)
	v_mul_f32_e32 v51, v27, v38
	v_mul_f32_e32 v38, v28, v38
	s_waitcnt vmcnt(11) lgkmcnt(1)
	v_mul_f32_e32 v52, v29, v39
	v_mul_f32_e32 v39, v30, v39
	s_waitcnt vmcnt(7)
	v_fma_f32 v25, v25, v43, -v37
	v_fmac_f32_e32 v24, v26, v43
	s_waitcnt vmcnt(6)
	v_fma_f32 v26, v27, v44, -v38
	v_add_f32_e32 v25, 0, v25
	v_mul_f32_e32 v53, v31, v40
	v_mul_f32_e32 v40, v32, v40
	v_fmac_f32_e32 v51, v28, v44
	s_waitcnt vmcnt(5)
	v_fma_f32 v27, v29, v45, -v39
	v_add_f32_e32 v24, 0, v24
	v_add_f32_e32 v25, v25, v26
	s_waitcnt lgkmcnt(0)
	v_mul_f32_e32 v54, v33, v41
	v_mul_f32_e32 v41, v34, v41
	v_fmac_f32_e32 v52, v30, v45
	s_waitcnt vmcnt(4)
	v_fma_f32 v28, v31, v46, -v40
	v_add_f32_e32 v24, v24, v51
	v_add_f32_e32 v25, v25, v27
	v_mul_f32_e32 v55, v35, v42
	v_mul_f32_e32 v42, v36, v42
	v_fmac_f32_e32 v53, v32, v46
	s_waitcnt vmcnt(3)
	v_fma_f32 v29, v33, v47, -v41
	v_add_f32_e32 v24, v24, v52
	v_add_f32_e32 v25, v25, v28
	v_fmac_f32_e32 v54, v34, v47
	s_waitcnt vmcnt(2)
	v_fma_f32 v30, v35, v48, -v42
	v_add_f32_e32 v24, v24, v53
	v_add_f32_e32 v25, v25, v29
	v_fmac_f32_e32 v55, v36, v48
	v_add_f32_e32 v24, v24, v54
	v_add_f32_e32 v25, v25, v30
	;; [unrolled: 1-line block ×3, first 2 shown]
	s_waitcnt vmcnt(1)
	v_sub_f32_e32 v25, v49, v25
	s_waitcnt vmcnt(0)
	v_sub_f32_e32 v24, v50, v24
	buffer_store_dword v25, off, s[0:3], 0 offset:32
	buffer_store_dword v24, off, s[0:3], 0 offset:36
	s_and_saveexec_b64 s[4:5], vcc
	s_cbranch_execz .LBB74_73
; %bb.72:
	buffer_load_dword v24, off, s[0:3], 0 offset:24
	buffer_load_dword v25, off, s[0:3], 0 offset:28
	v_mov_b32_e32 v26, 0
	buffer_store_dword v26, off, s[0:3], 0 offset:24
	buffer_store_dword v26, off, s[0:3], 0 offset:28
	s_waitcnt vmcnt(2)
	ds_write_b64 v23, v[24:25]
.LBB74_73:
	s_or_b64 exec, exec, s[4:5]
	s_waitcnt lgkmcnt(0)
	; wave barrier
	buffer_load_dword v39, off, s[0:3], 0 offset:36
	buffer_load_dword v40, off, s[0:3], 0 offset:44
	;; [unrolled: 1-line block ×16, first 2 shown]
	v_mov_b32_e32 v24, 0
	ds_read_b128 v[25:28], v24 offset:128
	ds_read_b128 v[29:32], v24 offset:144
	;; [unrolled: 1-line block ×3, first 2 shown]
	ds_read_b64 v[37:38], v24 offset:176
	v_cmp_lt_u32_e32 vcc, 2, v0
	s_waitcnt vmcnt(15) lgkmcnt(3)
	v_mul_f32_e32 v55, v25, v39
	v_mul_f32_e32 v39, v26, v39
	s_waitcnt vmcnt(14)
	v_mul_f32_e32 v56, v27, v40
	v_mul_f32_e32 v40, v28, v40
	s_waitcnt vmcnt(13) lgkmcnt(2)
	v_mul_f32_e32 v57, v29, v41
	s_waitcnt vmcnt(12)
	v_mul_f32_e32 v58, v31, v42
	v_mul_f32_e32 v41, v30, v41
	s_waitcnt vmcnt(8)
	v_fma_f32 v25, v25, v46, -v39
	v_fmac_f32_e32 v55, v26, v46
	s_waitcnt vmcnt(7)
	v_fma_f32 v26, v27, v47, -v40
	v_add_f32_e32 v25, 0, v25
	v_mul_f32_e32 v42, v32, v42
	v_fmac_f32_e32 v56, v28, v47
	s_waitcnt vmcnt(5)
	v_fmac_f32_e32 v58, v32, v49
	v_fma_f32 v27, v29, v48, -v41
	v_add_f32_e32 v32, 0, v55
	v_add_f32_e32 v25, v25, v26
	s_waitcnt lgkmcnt(1)
	v_mul_f32_e32 v59, v33, v43
	v_mul_f32_e32 v43, v34, v43
	v_fmac_f32_e32 v57, v30, v48
	v_fma_f32 v28, v31, v49, -v42
	v_add_f32_e32 v32, v32, v56
	v_add_f32_e32 v25, v25, v27
	v_mul_f32_e32 v60, v35, v44
	v_mul_f32_e32 v44, v36, v44
	s_waitcnt vmcnt(4)
	v_fma_f32 v29, v33, v50, -v43
	v_add_f32_e32 v26, v32, v57
	v_add_f32_e32 v25, v25, v28
	s_waitcnt lgkmcnt(0)
	v_mul_f32_e32 v61, v37, v45
	v_mul_f32_e32 v45, v38, v45
	v_fmac_f32_e32 v59, v34, v50
	s_waitcnt vmcnt(3)
	v_fma_f32 v30, v35, v51, -v44
	v_add_f32_e32 v26, v26, v58
	v_add_f32_e32 v25, v25, v29
	v_fmac_f32_e32 v60, v36, v51
	s_waitcnt vmcnt(2)
	v_fma_f32 v31, v37, v52, -v45
	v_add_f32_e32 v26, v26, v59
	v_add_f32_e32 v25, v25, v30
	v_fmac_f32_e32 v61, v38, v52
	v_add_f32_e32 v26, v26, v60
	v_add_f32_e32 v25, v25, v31
	;; [unrolled: 1-line block ×3, first 2 shown]
	s_waitcnt vmcnt(1)
	v_sub_f32_e32 v25, v53, v25
	s_waitcnt vmcnt(0)
	v_sub_f32_e32 v26, v54, v26
	buffer_store_dword v25, off, s[0:3], 0 offset:24
	buffer_store_dword v26, off, s[0:3], 0 offset:28
	s_and_saveexec_b64 s[4:5], vcc
	s_cbranch_execz .LBB74_75
; %bb.74:
	buffer_load_dword v25, off, s[0:3], 0 offset:16
	buffer_load_dword v26, off, s[0:3], 0 offset:20
	s_waitcnt vmcnt(0)
	ds_write_b64 v23, v[25:26]
	buffer_store_dword v24, off, s[0:3], 0 offset:16
	buffer_store_dword v24, off, s[0:3], 0 offset:20
.LBB74_75:
	s_or_b64 exec, exec, s[4:5]
	s_waitcnt lgkmcnt(0)
	; wave barrier
	ds_read2_b64 v[25:28], v24 offset0:15 offset1:16
	buffer_load_dword v41, off, s[0:3], 0 offset:16
	buffer_load_dword v42, off, s[0:3], 0 offset:20
	;; [unrolled: 1-line block ×16, first 2 shown]
	v_cmp_lt_u32_e32 vcc, 1, v0
	s_waitcnt vmcnt(12) lgkmcnt(0)
	v_mul_f32_e32 v29, v25, v44
	v_fmac_f32_e32 v29, v26, v43
	s_waitcnt vmcnt(10)
	v_mul_f32_e32 v30, v27, v46
	v_add_f32_e32 v29, 0, v29
	v_fmac_f32_e32 v30, v28, v45
	v_add_f32_e32 v33, v29, v30
	ds_read2_b64 v[29:32], v24 offset0:17 offset1:18
	v_mul_f32_e32 v26, v26, v44
	v_fma_f32 v25, v25, v43, -v26
	v_mul_f32_e32 v26, v28, v46
	v_add_f32_e32 v25, 0, v25
	s_waitcnt vmcnt(8) lgkmcnt(0)
	v_mul_f32_e32 v34, v29, v48
	v_fmac_f32_e32 v34, v30, v47
	v_add_f32_e32 v33, v33, v34
	s_waitcnt vmcnt(6)
	v_mul_f32_e32 v34, v31, v50
	v_fmac_f32_e32 v34, v32, v49
	v_add_f32_e32 v37, v33, v34
	ds_read2_b64 v[33:36], v24 offset0:19 offset1:20
	v_fma_f32 v26, v27, v45, -v26
	v_add_f32_e32 v25, v25, v26
	v_mul_f32_e32 v26, v30, v48
	v_fma_f32 v26, v29, v47, -v26
	s_waitcnt vmcnt(4) lgkmcnt(0)
	v_mul_f32_e32 v38, v33, v52
	v_fmac_f32_e32 v38, v34, v51
	v_add_f32_e32 v37, v37, v38
	s_waitcnt vmcnt(2)
	v_mul_f32_e32 v38, v35, v54
	v_fmac_f32_e32 v38, v36, v53
	v_add_f32_e32 v57, v37, v38
	ds_read2_b64 v[37:40], v24 offset0:21 offset1:22
	v_add_f32_e32 v25, v25, v26
	v_mul_f32_e32 v26, v32, v50
	v_fma_f32 v26, v31, v49, -v26
	v_add_f32_e32 v25, v25, v26
	s_waitcnt vmcnt(0) lgkmcnt(0)
	v_mul_f32_e32 v24, v37, v56
	v_fmac_f32_e32 v24, v38, v55
	v_add_f32_e32 v24, v57, v24
	buffer_load_dword v57, off, s[0:3], 0 offset:80
	buffer_load_dword v58, off, s[0:3], 0 offset:84
	v_mul_f32_e32 v26, v34, v52
	v_fma_f32 v26, v33, v51, -v26
	v_add_f32_e32 v25, v25, v26
	v_mul_f32_e32 v26, v36, v54
	v_fma_f32 v26, v35, v53, -v26
	v_add_f32_e32 v25, v25, v26
	;; [unrolled: 3-line block ×3, first 2 shown]
	s_waitcnt vmcnt(0)
	v_mul_f32_e32 v26, v40, v58
	v_mul_f32_e32 v59, v39, v58
	v_fma_f32 v26, v39, v57, -v26
	v_fmac_f32_e32 v59, v40, v57
	v_add_f32_e32 v25, v25, v26
	v_add_f32_e32 v24, v24, v59
	v_sub_f32_e32 v25, v41, v25
	v_sub_f32_e32 v24, v42, v24
	buffer_store_dword v25, off, s[0:3], 0 offset:16
	buffer_store_dword v24, off, s[0:3], 0 offset:20
	s_and_saveexec_b64 s[4:5], vcc
	s_cbranch_execz .LBB74_77
; %bb.76:
	buffer_load_dword v24, off, s[0:3], 0 offset:8
	buffer_load_dword v25, off, s[0:3], 0 offset:12
	v_mov_b32_e32 v26, 0
	buffer_store_dword v26, off, s[0:3], 0 offset:8
	buffer_store_dword v26, off, s[0:3], 0 offset:12
	s_waitcnt vmcnt(2)
	ds_write_b64 v23, v[24:25]
.LBB74_77:
	s_or_b64 exec, exec, s[4:5]
	s_waitcnt lgkmcnt(0)
	; wave barrier
	buffer_load_dword v43, off, s[0:3], 0 offset:20
	buffer_load_dword v44, off, s[0:3], 0 offset:28
	;; [unrolled: 1-line block ×20, first 2 shown]
	v_mov_b32_e32 v24, 0
	ds_read_b128 v[25:28], v24 offset:112
	ds_read_b128 v[29:32], v24 offset:128
	;; [unrolled: 1-line block ×4, first 2 shown]
	ds_read_b64 v[41:42], v24 offset:176
	v_cmp_ne_u32_e32 vcc, 0, v0
	s_waitcnt vmcnt(19) lgkmcnt(4)
	v_mul_f32_e32 v63, v25, v43
	v_mul_f32_e32 v43, v26, v43
	s_waitcnt vmcnt(18)
	v_mul_f32_e32 v64, v27, v44
	v_mul_f32_e32 v44, v28, v44
	s_waitcnt vmcnt(17) lgkmcnt(3)
	v_mul_f32_e32 v65, v29, v45
	s_waitcnt vmcnt(15) lgkmcnt(2)
	v_mul_f32_e32 v67, v33, v47
	v_mul_f32_e32 v45, v30, v45
	;; [unrolled: 1-line block ×4, first 2 shown]
	s_waitcnt vmcnt(10)
	v_fma_f32 v25, v25, v52, -v43
	v_fmac_f32_e32 v63, v26, v52
	s_waitcnt vmcnt(9)
	v_fma_f32 v26, v27, v53, -v44
	v_add_f32_e32 v25, 0, v25
	v_mul_f32_e32 v47, v34, v47
	v_fmac_f32_e32 v64, v28, v53
	s_waitcnt vmcnt(6)
	v_fmac_f32_e32 v67, v34, v56
	v_fma_f32 v27, v29, v54, -v45
	v_add_f32_e32 v34, 0, v63
	v_add_f32_e32 v25, v25, v26
	v_fmac_f32_e32 v65, v30, v54
	v_fma_f32 v28, v31, v55, -v46
	v_add_f32_e32 v34, v34, v64
	v_add_f32_e32 v25, v25, v27
	v_mul_f32_e32 v68, v35, v48
	v_mul_f32_e32 v48, v36, v48
	v_fmac_f32_e32 v66, v32, v55
	v_fma_f32 v29, v33, v56, -v47
	v_add_f32_e32 v26, v34, v65
	v_add_f32_e32 v25, v25, v28
	s_waitcnt lgkmcnt(1)
	v_mul_f32_e32 v69, v37, v49
	v_mul_f32_e32 v49, v38, v49
	s_waitcnt vmcnt(5)
	v_fma_f32 v30, v35, v57, -v48
	v_add_f32_e32 v26, v26, v66
	v_add_f32_e32 v25, v25, v29
	v_mul_f32_e32 v70, v39, v50
	v_mul_f32_e32 v50, v40, v50
	v_fmac_f32_e32 v68, v36, v57
	s_waitcnt vmcnt(4)
	v_fma_f32 v31, v37, v58, -v49
	v_add_f32_e32 v26, v26, v67
	v_add_f32_e32 v25, v25, v30
	s_waitcnt lgkmcnt(0)
	v_mul_f32_e32 v71, v41, v51
	v_mul_f32_e32 v51, v42, v51
	v_fmac_f32_e32 v69, v38, v58
	s_waitcnt vmcnt(3)
	v_fma_f32 v32, v39, v59, -v50
	v_add_f32_e32 v26, v26, v68
	v_add_f32_e32 v25, v25, v31
	v_fmac_f32_e32 v70, v40, v59
	s_waitcnt vmcnt(2)
	v_fma_f32 v33, v41, v60, -v51
	v_add_f32_e32 v26, v26, v69
	v_add_f32_e32 v25, v25, v32
	v_fmac_f32_e32 v71, v42, v60
	v_add_f32_e32 v26, v26, v70
	v_add_f32_e32 v25, v25, v33
	;; [unrolled: 1-line block ×3, first 2 shown]
	s_waitcnt vmcnt(1)
	v_sub_f32_e32 v25, v61, v25
	s_waitcnt vmcnt(0)
	v_sub_f32_e32 v26, v62, v26
	buffer_store_dword v25, off, s[0:3], 0 offset:8
	buffer_store_dword v26, off, s[0:3], 0 offset:12
	s_and_saveexec_b64 s[4:5], vcc
	s_cbranch_execz .LBB74_79
; %bb.78:
	buffer_load_dword v25, off, s[0:3], 0
	buffer_load_dword v26, off, s[0:3], 0 offset:4
	s_waitcnt vmcnt(0)
	ds_write_b64 v23, v[25:26]
	buffer_store_dword v24, off, s[0:3], 0
	buffer_store_dword v24, off, s[0:3], 0 offset:4
.LBB74_79:
	s_or_b64 exec, exec, s[4:5]
	s_waitcnt lgkmcnt(0)
	; wave barrier
	buffer_load_dword v45, off, s[0:3], 0 offset:12
	buffer_load_dword v46, off, s[0:3], 0 offset:20
	;; [unrolled: 1-line block ×20, first 2 shown]
	buffer_load_dword v63, off, s[0:3], 0
	buffer_load_dword v64, off, s[0:3], 0 offset:4
	ds_read2_b64 v[25:28], v24 offset0:13 offset1:14
	ds_read2_b64 v[29:32], v24 offset0:15 offset1:16
	;; [unrolled: 1-line block ×5, first 2 shown]
	s_and_b64 vcc, exec, s[14:15]
	s_waitcnt vmcnt(21) lgkmcnt(4)
	v_mul_f32_e32 v24, v25, v45
	v_mul_f32_e32 v45, v26, v45
	s_waitcnt vmcnt(20)
	v_mul_f32_e32 v65, v27, v46
	v_mul_f32_e32 v46, v28, v46
	s_waitcnt vmcnt(19) lgkmcnt(3)
	v_mul_f32_e32 v66, v29, v47
	v_mul_f32_e32 v47, v30, v47
	s_waitcnt vmcnt(18)
	v_mul_f32_e32 v67, v31, v48
	v_mul_f32_e32 v48, v32, v48
	s_waitcnt vmcnt(17) lgkmcnt(2)
	v_mul_f32_e32 v68, v33, v49
	v_mul_f32_e32 v49, v34, v49
	s_waitcnt vmcnt(11)
	v_fma_f32 v25, v25, v54, -v45
	v_fmac_f32_e32 v24, v26, v54
	s_waitcnt vmcnt(10)
	v_fma_f32 v26, v27, v55, -v46
	v_add_f32_e32 v25, 0, v25
	v_fmac_f32_e32 v65, v28, v55
	s_waitcnt vmcnt(9)
	v_fma_f32 v27, v29, v56, -v47
	v_add_f32_e32 v24, 0, v24
	v_add_f32_e32 v25, v25, v26
	v_fmac_f32_e32 v66, v30, v56
	s_waitcnt vmcnt(8)
	v_fma_f32 v28, v31, v57, -v48
	v_add_f32_e32 v24, v24, v65
	v_add_f32_e32 v25, v25, v27
	v_mul_f32_e32 v69, v35, v50
	v_mul_f32_e32 v50, v36, v50
	v_fmac_f32_e32 v67, v32, v57
	s_waitcnt vmcnt(7)
	v_fma_f32 v29, v33, v58, -v49
	v_add_f32_e32 v24, v24, v66
	v_add_f32_e32 v25, v25, v28
	s_waitcnt lgkmcnt(1)
	v_mul_f32_e32 v70, v37, v51
	v_mul_f32_e32 v51, v38, v51
	v_fmac_f32_e32 v68, v34, v58
	s_waitcnt vmcnt(6)
	v_fma_f32 v30, v35, v59, -v50
	v_add_f32_e32 v24, v24, v67
	v_add_f32_e32 v25, v25, v29
	v_mul_f32_e32 v71, v39, v52
	v_mul_f32_e32 v52, v40, v52
	v_fmac_f32_e32 v69, v36, v59
	s_waitcnt vmcnt(5)
	v_fma_f32 v31, v37, v60, -v51
	v_add_f32_e32 v24, v24, v68
	v_add_f32_e32 v25, v25, v30
	s_waitcnt lgkmcnt(0)
	v_mul_f32_e32 v74, v42, v0
	v_fmac_f32_e32 v70, v38, v60
	s_waitcnt vmcnt(4)
	v_fma_f32 v32, v39, v61, -v52
	v_add_f32_e32 v24, v24, v69
	v_add_f32_e32 v25, v25, v31
	v_mul_f32_e32 v72, v41, v0
	v_mul_f32_e32 v73, v43, v53
	;; [unrolled: 1-line block ×3, first 2 shown]
	v_fmac_f32_e32 v71, v40, v61
	s_waitcnt vmcnt(2)
	v_fma_f32 v33, v41, v23, -v74
	v_add_f32_e32 v24, v24, v70
	v_add_f32_e32 v25, v25, v32
	v_fmac_f32_e32 v72, v42, v23
	v_fma_f32 v34, v43, v62, -v53
	v_add_f32_e32 v24, v24, v71
	v_add_f32_e32 v25, v25, v33
	v_fmac_f32_e32 v73, v44, v62
	v_add_f32_e32 v24, v24, v72
	v_add_f32_e32 v25, v25, v34
	;; [unrolled: 1-line block ×3, first 2 shown]
	s_waitcnt vmcnt(1)
	v_sub_f32_e32 v25, v63, v25
	s_waitcnt vmcnt(0)
	v_sub_f32_e32 v24, v64, v24
	buffer_store_dword v25, off, s[0:3], 0
	buffer_store_dword v24, off, s[0:3], 0 offset:4
	s_cbranch_vccz .LBB74_100
; %bb.80:
	v_mov_b32_e32 v24, 0
	global_load_dword v25, v24, s[12:13] offset:36
	s_waitcnt vmcnt(0)
	v_add_u32_e32 v25, -1, v25
	v_cmp_ne_u32_e32 vcc, 9, v25
	s_cbranch_vccz .LBB74_82
; %bb.81:
	v_lshlrev_b32_e32 v25, 3, v25
	buffer_load_dword v26, v25, s[0:3], 0 offen
	buffer_load_dword v27, v25, s[0:3], 0 offen offset:4
	s_waitcnt vmcnt(1)
	buffer_store_dword v26, off, s[0:3], 0 offset:72
	s_waitcnt vmcnt(1)
	buffer_store_dword v27, off, s[0:3], 0 offset:76
	buffer_store_dword v23, v25, s[0:3], 0 offen
	buffer_store_dword v0, v25, s[0:3], 0 offen offset:4
.LBB74_82:
	global_load_dword v0, v24, s[12:13] offset:32
	s_waitcnt vmcnt(0)
	v_add_u32_e32 v0, -1, v0
	v_cmp_eq_u32_e32 vcc, 8, v0
	s_cbranch_vccnz .LBB74_84
; %bb.83:
	v_lshlrev_b32_e32 v0, 3, v0
	buffer_load_dword v23, v0, s[0:3], 0 offen
	buffer_load_dword v24, v0, s[0:3], 0 offen offset:4
	buffer_load_dword v25, off, s[0:3], 0 offset:68
	buffer_load_dword v26, off, s[0:3], 0 offset:64
	s_waitcnt vmcnt(3)
	buffer_store_dword v23, off, s[0:3], 0 offset:64
	s_waitcnt vmcnt(3)
	buffer_store_dword v24, off, s[0:3], 0 offset:68
	s_waitcnt vmcnt(3)
	buffer_store_dword v25, v0, s[0:3], 0 offen offset:4
	s_waitcnt vmcnt(3)
	buffer_store_dword v26, v0, s[0:3], 0 offen
.LBB74_84:
	v_mov_b32_e32 v0, 0
	global_load_dword v23, v0, s[12:13] offset:28
	s_waitcnt vmcnt(0)
	v_add_u32_e32 v23, -1, v23
	v_cmp_eq_u32_e32 vcc, 7, v23
	s_cbranch_vccnz .LBB74_86
; %bb.85:
	v_lshlrev_b32_e32 v23, 3, v23
	buffer_load_dword v24, v23, s[0:3], 0 offen
	buffer_load_dword v25, v23, s[0:3], 0 offen offset:4
	buffer_load_dword v26, off, s[0:3], 0 offset:56
	buffer_load_dword v27, off, s[0:3], 0 offset:60
	s_waitcnt vmcnt(3)
	buffer_store_dword v24, off, s[0:3], 0 offset:56
	s_waitcnt vmcnt(3)
	buffer_store_dword v25, off, s[0:3], 0 offset:60
	s_waitcnt vmcnt(3)
	buffer_store_dword v26, v23, s[0:3], 0 offen
	s_waitcnt vmcnt(3)
	buffer_store_dword v27, v23, s[0:3], 0 offen offset:4
.LBB74_86:
	global_load_dword v0, v0, s[12:13] offset:24
	s_waitcnt vmcnt(0)
	v_add_u32_e32 v0, -1, v0
	v_cmp_eq_u32_e32 vcc, 6, v0
	s_cbranch_vccnz .LBB74_88
; %bb.87:
	v_lshlrev_b32_e32 v0, 3, v0
	buffer_load_dword v23, v0, s[0:3], 0 offen
	buffer_load_dword v24, v0, s[0:3], 0 offen offset:4
	buffer_load_dword v25, off, s[0:3], 0 offset:52
	buffer_load_dword v26, off, s[0:3], 0 offset:48
	s_waitcnt vmcnt(3)
	buffer_store_dword v23, off, s[0:3], 0 offset:48
	s_waitcnt vmcnt(3)
	buffer_store_dword v24, off, s[0:3], 0 offset:52
	s_waitcnt vmcnt(3)
	buffer_store_dword v25, v0, s[0:3], 0 offen offset:4
	s_waitcnt vmcnt(3)
	buffer_store_dword v26, v0, s[0:3], 0 offen
.LBB74_88:
	v_mov_b32_e32 v0, 0
	global_load_dword v23, v0, s[12:13] offset:20
	s_waitcnt vmcnt(0)
	v_add_u32_e32 v23, -1, v23
	v_cmp_eq_u32_e32 vcc, 5, v23
	s_cbranch_vccnz .LBB74_90
; %bb.89:
	v_lshlrev_b32_e32 v23, 3, v23
	buffer_load_dword v24, v23, s[0:3], 0 offen
	buffer_load_dword v25, v23, s[0:3], 0 offen offset:4
	buffer_load_dword v26, off, s[0:3], 0 offset:40
	buffer_load_dword v27, off, s[0:3], 0 offset:44
	s_waitcnt vmcnt(3)
	buffer_store_dword v24, off, s[0:3], 0 offset:40
	s_waitcnt vmcnt(3)
	buffer_store_dword v25, off, s[0:3], 0 offset:44
	s_waitcnt vmcnt(3)
	buffer_store_dword v26, v23, s[0:3], 0 offen
	s_waitcnt vmcnt(3)
	buffer_store_dword v27, v23, s[0:3], 0 offen offset:4
.LBB74_90:
	;; [unrolled: 41-line block ×4, first 2 shown]
	global_load_dword v0, v0, s[12:13]
	s_waitcnt vmcnt(0)
	v_add_u32_e32 v0, -1, v0
	v_cmp_eq_u32_e32 vcc, 0, v0
	s_cbranch_vccnz .LBB74_100
; %bb.99:
	v_lshlrev_b32_e32 v0, 3, v0
	buffer_load_dword v23, v0, s[0:3], 0 offen
	buffer_load_dword v24, v0, s[0:3], 0 offen offset:4
	buffer_load_dword v25, off, s[0:3], 0 offset:4
	buffer_load_dword v26, off, s[0:3], 0
	s_waitcnt vmcnt(3)
	buffer_store_dword v23, off, s[0:3], 0
	s_waitcnt vmcnt(3)
	buffer_store_dword v24, off, s[0:3], 0 offset:4
	s_waitcnt vmcnt(3)
	buffer_store_dword v25, v0, s[0:3], 0 offen offset:4
	s_waitcnt vmcnt(3)
	buffer_store_dword v26, v0, s[0:3], 0 offen
.LBB74_100:
	buffer_load_dword v23, off, s[0:3], 0
	buffer_load_dword v24, off, s[0:3], 0 offset:4
	s_waitcnt vmcnt(0)
	flat_store_dwordx2 v[1:2], v[23:24]
	buffer_load_dword v0, off, s[0:3], 0 offset:8
	s_nop 0
	buffer_load_dword v1, off, s[0:3], 0 offset:12
	s_waitcnt vmcnt(0)
	flat_store_dwordx2 v[3:4], v[0:1]
	buffer_load_dword v0, off, s[0:3], 0 offset:16
	s_nop 0
	;; [unrolled: 5-line block ×10, first 2 shown]
	buffer_load_dword v1, off, s[0:3], 0 offset:84
	s_waitcnt vmcnt(0)
	flat_store_dwordx2 v[21:22], v[0:1]
	s_endpgm
	.section	.rodata,"a",@progbits
	.p2align	6, 0x0
	.amdhsa_kernel _ZN9rocsolver6v33100L18getri_kernel_smallILi11E19rocblas_complex_numIfEPKPS3_EEvT1_iilPiilS8_bb
		.amdhsa_group_segment_fixed_size 184
		.amdhsa_private_segment_fixed_size 96
		.amdhsa_kernarg_size 60
		.amdhsa_user_sgpr_count 6
		.amdhsa_user_sgpr_private_segment_buffer 1
		.amdhsa_user_sgpr_dispatch_ptr 0
		.amdhsa_user_sgpr_queue_ptr 0
		.amdhsa_user_sgpr_kernarg_segment_ptr 1
		.amdhsa_user_sgpr_dispatch_id 0
		.amdhsa_user_sgpr_flat_scratch_init 0
		.amdhsa_user_sgpr_private_segment_size 0
		.amdhsa_uses_dynamic_stack 0
		.amdhsa_system_sgpr_private_segment_wavefront_offset 1
		.amdhsa_system_sgpr_workgroup_id_x 1
		.amdhsa_system_sgpr_workgroup_id_y 0
		.amdhsa_system_sgpr_workgroup_id_z 0
		.amdhsa_system_sgpr_workgroup_info 0
		.amdhsa_system_vgpr_workitem_id 0
		.amdhsa_next_free_vgpr 75
		.amdhsa_next_free_sgpr 21
		.amdhsa_reserve_vcc 1
		.amdhsa_reserve_flat_scratch 0
		.amdhsa_float_round_mode_32 0
		.amdhsa_float_round_mode_16_64 0
		.amdhsa_float_denorm_mode_32 3
		.amdhsa_float_denorm_mode_16_64 3
		.amdhsa_dx10_clamp 1
		.amdhsa_ieee_mode 1
		.amdhsa_fp16_overflow 0
		.amdhsa_exception_fp_ieee_invalid_op 0
		.amdhsa_exception_fp_denorm_src 0
		.amdhsa_exception_fp_ieee_div_zero 0
		.amdhsa_exception_fp_ieee_overflow 0
		.amdhsa_exception_fp_ieee_underflow 0
		.amdhsa_exception_fp_ieee_inexact 0
		.amdhsa_exception_int_div_zero 0
	.end_amdhsa_kernel
	.section	.text._ZN9rocsolver6v33100L18getri_kernel_smallILi11E19rocblas_complex_numIfEPKPS3_EEvT1_iilPiilS8_bb,"axG",@progbits,_ZN9rocsolver6v33100L18getri_kernel_smallILi11E19rocblas_complex_numIfEPKPS3_EEvT1_iilPiilS8_bb,comdat
.Lfunc_end74:
	.size	_ZN9rocsolver6v33100L18getri_kernel_smallILi11E19rocblas_complex_numIfEPKPS3_EEvT1_iilPiilS8_bb, .Lfunc_end74-_ZN9rocsolver6v33100L18getri_kernel_smallILi11E19rocblas_complex_numIfEPKPS3_EEvT1_iilPiilS8_bb
                                        ; -- End function
	.set _ZN9rocsolver6v33100L18getri_kernel_smallILi11E19rocblas_complex_numIfEPKPS3_EEvT1_iilPiilS8_bb.num_vgpr, 75
	.set _ZN9rocsolver6v33100L18getri_kernel_smallILi11E19rocblas_complex_numIfEPKPS3_EEvT1_iilPiilS8_bb.num_agpr, 0
	.set _ZN9rocsolver6v33100L18getri_kernel_smallILi11E19rocblas_complex_numIfEPKPS3_EEvT1_iilPiilS8_bb.numbered_sgpr, 21
	.set _ZN9rocsolver6v33100L18getri_kernel_smallILi11E19rocblas_complex_numIfEPKPS3_EEvT1_iilPiilS8_bb.num_named_barrier, 0
	.set _ZN9rocsolver6v33100L18getri_kernel_smallILi11E19rocblas_complex_numIfEPKPS3_EEvT1_iilPiilS8_bb.private_seg_size, 96
	.set _ZN9rocsolver6v33100L18getri_kernel_smallILi11E19rocblas_complex_numIfEPKPS3_EEvT1_iilPiilS8_bb.uses_vcc, 1
	.set _ZN9rocsolver6v33100L18getri_kernel_smallILi11E19rocblas_complex_numIfEPKPS3_EEvT1_iilPiilS8_bb.uses_flat_scratch, 0
	.set _ZN9rocsolver6v33100L18getri_kernel_smallILi11E19rocblas_complex_numIfEPKPS3_EEvT1_iilPiilS8_bb.has_dyn_sized_stack, 0
	.set _ZN9rocsolver6v33100L18getri_kernel_smallILi11E19rocblas_complex_numIfEPKPS3_EEvT1_iilPiilS8_bb.has_recursion, 0
	.set _ZN9rocsolver6v33100L18getri_kernel_smallILi11E19rocblas_complex_numIfEPKPS3_EEvT1_iilPiilS8_bb.has_indirect_call, 0
	.section	.AMDGPU.csdata,"",@progbits
; Kernel info:
; codeLenInByte = 9316
; TotalNumSgprs: 25
; NumVgprs: 75
; ScratchSize: 96
; MemoryBound: 0
; FloatMode: 240
; IeeeMode: 1
; LDSByteSize: 184 bytes/workgroup (compile time only)
; SGPRBlocks: 3
; VGPRBlocks: 18
; NumSGPRsForWavesPerEU: 25
; NumVGPRsForWavesPerEU: 75
; Occupancy: 3
; WaveLimiterHint : 1
; COMPUTE_PGM_RSRC2:SCRATCH_EN: 1
; COMPUTE_PGM_RSRC2:USER_SGPR: 6
; COMPUTE_PGM_RSRC2:TRAP_HANDLER: 0
; COMPUTE_PGM_RSRC2:TGID_X_EN: 1
; COMPUTE_PGM_RSRC2:TGID_Y_EN: 0
; COMPUTE_PGM_RSRC2:TGID_Z_EN: 0
; COMPUTE_PGM_RSRC2:TIDIG_COMP_CNT: 0
	.section	.text._ZN9rocsolver6v33100L18getri_kernel_smallILi12E19rocblas_complex_numIfEPKPS3_EEvT1_iilPiilS8_bb,"axG",@progbits,_ZN9rocsolver6v33100L18getri_kernel_smallILi12E19rocblas_complex_numIfEPKPS3_EEvT1_iilPiilS8_bb,comdat
	.globl	_ZN9rocsolver6v33100L18getri_kernel_smallILi12E19rocblas_complex_numIfEPKPS3_EEvT1_iilPiilS8_bb ; -- Begin function _ZN9rocsolver6v33100L18getri_kernel_smallILi12E19rocblas_complex_numIfEPKPS3_EEvT1_iilPiilS8_bb
	.p2align	8
	.type	_ZN9rocsolver6v33100L18getri_kernel_smallILi12E19rocblas_complex_numIfEPKPS3_EEvT1_iilPiilS8_bb,@function
_ZN9rocsolver6v33100L18getri_kernel_smallILi12E19rocblas_complex_numIfEPKPS3_EEvT1_iilPiilS8_bb: ; @_ZN9rocsolver6v33100L18getri_kernel_smallILi12E19rocblas_complex_numIfEPKPS3_EEvT1_iilPiilS8_bb
; %bb.0:
	s_add_u32 s0, s0, s7
	s_addc_u32 s1, s1, 0
	v_cmp_gt_u32_e32 vcc, 12, v0
	s_and_saveexec_b64 s[8:9], vcc
	s_cbranch_execz .LBB75_62
; %bb.1:
	s_load_dword s18, s[4:5], 0x38
	s_load_dwordx2 s[12:13], s[4:5], 0x0
	s_load_dwordx4 s[8:11], s[4:5], 0x28
	s_waitcnt lgkmcnt(0)
	s_bitcmp1_b32 s18, 8
	s_cselect_b64 s[14:15], -1, 0
	s_ashr_i32 s7, s6, 31
	s_lshl_b64 s[16:17], s[6:7], 3
	s_add_u32 s12, s12, s16
	s_addc_u32 s13, s13, s17
	s_load_dwordx2 s[16:17], s[12:13], 0x0
	s_bfe_u32 s12, s18, 0x10008
	s_cmp_eq_u32 s12, 0
                                        ; implicit-def: $sgpr12_sgpr13
	s_cbranch_scc1 .LBB75_3
; %bb.2:
	s_load_dword s12, s[4:5], 0x20
	s_load_dwordx2 s[18:19], s[4:5], 0x18
	s_mul_i32 s13, s8, s7
	s_mul_hi_u32 s20, s8, s6
	s_add_i32 s20, s20, s13
	s_mul_i32 s9, s9, s6
	s_add_i32 s9, s20, s9
	s_mul_i32 s8, s8, s6
	s_waitcnt lgkmcnt(0)
	s_ashr_i32 s13, s12, 31
	s_lshl_b64 s[8:9], s[8:9], 2
	s_add_u32 s18, s18, s8
	s_addc_u32 s19, s19, s9
	s_lshl_b64 s[8:9], s[12:13], 2
	s_add_u32 s12, s18, s8
	s_addc_u32 s13, s19, s9
.LBB75_3:
	s_load_dwordx2 s[8:9], s[4:5], 0x8
	s_load_dword s18, s[4:5], 0x38
	v_lshlrev_b32_e32 v27, 3, v0
	s_waitcnt lgkmcnt(0)
	s_ashr_i32 s5, s8, 31
	s_mov_b32 s4, s8
	s_lshl_b64 s[4:5], s[4:5], 3
	s_add_u32 s8, s16, s4
	s_addc_u32 s16, s17, s5
	v_mov_b32_e32 v2, s16
	v_add_co_u32_e32 v1, vcc, s8, v27
	v_addc_co_u32_e32 v2, vcc, 0, v2, vcc
	flat_load_dwordx2 v[5:6], v[1:2]
	s_mov_b32 s4, s9
	s_ashr_i32 s5, s9, 31
	s_lshl_b64 s[4:5], s[4:5], 3
	v_mov_b32_e32 v4, s5
	v_add_co_u32_e32 v3, vcc, s4, v1
	v_addc_co_u32_e32 v4, vcc, v2, v4, vcc
	s_add_i32 s4, s9, s9
	v_add_u32_e32 v9, s4, v0
	v_ashrrev_i32_e32 v10, 31, v9
	v_mov_b32_e32 v11, s16
	v_add_u32_e32 v12, s9, v9
	v_ashrrev_i32_e32 v13, 31, v12
	v_mov_b32_e32 v14, s16
	v_mov_b32_e32 v15, s16
	;; [unrolled: 1-line block ×8, first 2 shown]
	s_bitcmp0_b32 s18, 0
	s_waitcnt vmcnt(0) lgkmcnt(0)
	buffer_store_dword v6, off, s[0:3], 0 offset:4
	buffer_store_dword v5, off, s[0:3], 0
	flat_load_dwordx2 v[7:8], v[3:4]
	v_lshlrev_b64 v[5:6], 3, v[9:10]
	s_waitcnt vmcnt(0) lgkmcnt(0)
	buffer_store_dword v8, off, s[0:3], 0 offset:12
	buffer_store_dword v7, off, s[0:3], 0 offset:8
	v_add_co_u32_e32 v5, vcc, s8, v5
	v_addc_co_u32_e32 v6, vcc, v11, v6, vcc
	flat_load_dwordx2 v[10:11], v[5:6]
	v_lshlrev_b64 v[7:8], 3, v[12:13]
	s_waitcnt vmcnt(0) lgkmcnt(0)
	buffer_store_dword v11, off, s[0:3], 0 offset:20
	buffer_store_dword v10, off, s[0:3], 0 offset:16
	v_add_co_u32_e32 v7, vcc, s8, v7
	v_addc_co_u32_e32 v8, vcc, v14, v8, vcc
	flat_load_dwordx2 v[13:14], v[7:8]
	v_add_u32_e32 v11, s9, v12
	v_ashrrev_i32_e32 v12, 31, v11
	v_lshlrev_b64 v[9:10], 3, v[11:12]
	s_waitcnt vmcnt(0) lgkmcnt(0)
	buffer_store_dword v14, off, s[0:3], 0 offset:28
	buffer_store_dword v13, off, s[0:3], 0 offset:24
	v_add_co_u32_e32 v9, vcc, s8, v9
	v_addc_co_u32_e32 v10, vcc, v15, v10, vcc
	flat_load_dwordx2 v[13:14], v[9:10]
	v_add_u32_e32 v15, s9, v11
	v_ashrrev_i32_e32 v16, 31, v15
	v_lshlrev_b64 v[11:12], 3, v[15:16]
	v_add_u32_e32 v18, s9, v15
	v_add_co_u32_e32 v11, vcc, s8, v11
	v_addc_co_u32_e32 v12, vcc, v17, v12, vcc
	v_ashrrev_i32_e32 v19, 31, v18
	s_waitcnt vmcnt(0) lgkmcnt(0)
	buffer_store_dword v14, off, s[0:3], 0 offset:36
	buffer_store_dword v13, off, s[0:3], 0 offset:32
	flat_load_dwordx2 v[16:17], v[11:12]
	v_lshlrev_b64 v[13:14], 3, v[18:19]
	s_waitcnt vmcnt(0) lgkmcnt(0)
	buffer_store_dword v17, off, s[0:3], 0 offset:44
	buffer_store_dword v16, off, s[0:3], 0 offset:40
	v_add_co_u32_e32 v13, vcc, s8, v13
	v_addc_co_u32_e32 v14, vcc, v20, v14, vcc
	flat_load_dwordx2 v[19:20], v[13:14]
	v_add_u32_e32 v17, s9, v18
	v_ashrrev_i32_e32 v18, 31, v17
	v_lshlrev_b64 v[15:16], 3, v[17:18]
	s_waitcnt vmcnt(0) lgkmcnt(0)
	buffer_store_dword v20, off, s[0:3], 0 offset:52
	buffer_store_dword v19, off, s[0:3], 0 offset:48
	v_add_co_u32_e32 v15, vcc, s8, v15
	v_addc_co_u32_e32 v16, vcc, v21, v16, vcc
	flat_load_dwordx2 v[19:20], v[15:16]
	v_add_u32_e32 v21, s9, v17
	v_ashrrev_i32_e32 v22, 31, v21
	v_lshlrev_b64 v[17:18], 3, v[21:22]
	v_add_u32_e32 v24, s9, v21
	v_add_co_u32_e32 v17, vcc, s8, v17
	v_addc_co_u32_e32 v18, vcc, v23, v18, vcc
	v_ashrrev_i32_e32 v25, 31, v24
	s_waitcnt vmcnt(0) lgkmcnt(0)
	buffer_store_dword v20, off, s[0:3], 0 offset:60
	buffer_store_dword v19, off, s[0:3], 0 offset:56
	flat_load_dwordx2 v[22:23], v[17:18]
	v_lshlrev_b64 v[19:20], 3, v[24:25]
	s_waitcnt vmcnt(0) lgkmcnt(0)
	buffer_store_dword v23, off, s[0:3], 0 offset:68
	buffer_store_dword v22, off, s[0:3], 0 offset:64
	v_add_co_u32_e32 v19, vcc, s8, v19
	v_addc_co_u32_e32 v20, vcc, v26, v20, vcc
	flat_load_dwordx2 v[25:26], v[19:20]
	v_add_u32_e32 v23, s9, v24
	v_ashrrev_i32_e32 v24, 31, v23
	v_lshlrev_b64 v[21:22], 3, v[23:24]
	v_add_u32_e32 v23, s9, v23
	v_add_co_u32_e32 v21, vcc, s8, v21
	v_addc_co_u32_e32 v22, vcc, v28, v22, vcc
	v_ashrrev_i32_e32 v24, 31, v23
	v_lshlrev_b64 v[23:24], 3, v[23:24]
	s_waitcnt vmcnt(0) lgkmcnt(0)
	buffer_store_dword v26, off, s[0:3], 0 offset:76
	buffer_store_dword v25, off, s[0:3], 0 offset:72
	flat_load_dwordx2 v[25:26], v[21:22]
	v_add_co_u32_e32 v23, vcc, s8, v23
	v_addc_co_u32_e32 v24, vcc, v28, v24, vcc
	s_mov_b64 s[8:9], -1
	s_waitcnt vmcnt(0) lgkmcnt(0)
	buffer_store_dword v26, off, s[0:3], 0 offset:84
	buffer_store_dword v25, off, s[0:3], 0 offset:80
	flat_load_dwordx2 v[25:26], v[23:24]
	s_waitcnt vmcnt(0) lgkmcnt(0)
	buffer_store_dword v26, off, s[0:3], 0 offset:92
	buffer_store_dword v25, off, s[0:3], 0 offset:88
	s_cbranch_scc1 .LBB75_60
; %bb.4:
	v_cmp_eq_u32_e64 s[4:5], 0, v0
	s_and_saveexec_b64 s[8:9], s[4:5]
; %bb.5:
	v_mov_b32_e32 v25, 0
	ds_write_b32 v25, v25 offset:192
; %bb.6:
	s_or_b64 exec, exec, s[8:9]
	v_mov_b32_e32 v25, 0
	v_lshl_add_u32 v29, v0, 3, v25
	s_waitcnt lgkmcnt(0)
	; wave barrier
	buffer_load_dword v25, v29, s[0:3], 0 offen
	buffer_load_dword v26, v29, s[0:3], 0 offen offset:4
	s_waitcnt vmcnt(1)
	v_cmp_eq_f32_e32 vcc, 0, v25
	s_waitcnt vmcnt(0)
	v_cmp_eq_f32_e64 s[8:9], 0, v26
	s_and_b64 s[8:9], vcc, s[8:9]
	s_and_saveexec_b64 s[16:17], s[8:9]
	s_cbranch_execz .LBB75_10
; %bb.7:
	v_mov_b32_e32 v25, 0
	ds_read_b32 v28, v25 offset:192
	v_add_u32_e32 v26, 1, v0
	s_waitcnt lgkmcnt(0)
	v_readfirstlane_b32 s8, v28
	s_cmp_eq_u32 s8, 0
	s_cselect_b64 s[18:19], -1, 0
	v_cmp_gt_i32_e32 vcc, s8, v26
	s_or_b64 s[18:19], s[18:19], vcc
	s_and_b64 exec, exec, s[18:19]
	s_cbranch_execz .LBB75_10
; %bb.8:
	s_mov_b64 s[18:19], 0
	v_mov_b32_e32 v28, s8
.LBB75_9:                               ; =>This Inner Loop Header: Depth=1
	ds_cmpst_rtn_b32 v28, v25, v28, v26 offset:192
	s_waitcnt lgkmcnt(0)
	v_cmp_ne_u32_e32 vcc, 0, v28
	v_cmp_le_i32_e64 s[8:9], v28, v26
	s_and_b64 s[8:9], vcc, s[8:9]
	s_and_b64 s[8:9], exec, s[8:9]
	s_or_b64 s[18:19], s[8:9], s[18:19]
	s_andn2_b64 exec, exec, s[18:19]
	s_cbranch_execnz .LBB75_9
.LBB75_10:
	s_or_b64 exec, exec, s[16:17]
	v_mov_b32_e32 v26, 0
	; wave barrier
	ds_read_b32 v25, v26 offset:192
	s_and_saveexec_b64 s[8:9], s[4:5]
	s_cbranch_execz .LBB75_12
; %bb.11:
	s_lshl_b64 s[16:17], s[6:7], 2
	s_add_u32 s16, s10, s16
	s_addc_u32 s17, s11, s17
	s_waitcnt lgkmcnt(0)
	global_store_dword v26, v25, s[16:17]
.LBB75_12:
	s_or_b64 exec, exec, s[8:9]
	s_waitcnt lgkmcnt(0)
	v_cmp_ne_u32_e32 vcc, 0, v25
	s_mov_b64 s[8:9], 0
	s_cbranch_vccnz .LBB75_60
; %bb.13:
	buffer_load_dword v26, v29, s[0:3], 0 offen
	buffer_load_dword v28, v29, s[0:3], 0 offen offset:4
                                        ; implicit-def: $vgpr31
                                        ; implicit-def: $vgpr30
                                        ; implicit-def: $vgpr25
	s_waitcnt vmcnt(0)
	v_cmp_ngt_f32_e64 s[8:9], |v26|, |v28|
	s_and_saveexec_b64 s[16:17], s[8:9]
	s_xor_b64 s[8:9], exec, s[16:17]
	s_cbranch_execz .LBB75_15
; %bb.14:
	v_div_scale_f32 v25, s[16:17], v28, v28, v26
	v_div_scale_f32 v30, vcc, v26, v28, v26
	v_rcp_f32_e32 v31, v25
	v_fma_f32 v32, -v25, v31, 1.0
	v_fmac_f32_e32 v31, v32, v31
	v_mul_f32_e32 v32, v30, v31
	v_fma_f32 v33, -v25, v32, v30
	v_fmac_f32_e32 v32, v33, v31
	v_fma_f32 v25, -v25, v32, v30
	v_div_fmas_f32 v25, v25, v31, v32
	v_div_fixup_f32 v25, v25, v28, v26
	v_fmac_f32_e32 v28, v26, v25
	v_div_scale_f32 v26, s[16:17], v28, v28, 1.0
	v_div_scale_f32 v30, vcc, 1.0, v28, 1.0
	v_rcp_f32_e32 v31, v26
	v_fma_f32 v32, -v26, v31, 1.0
	v_fmac_f32_e32 v31, v32, v31
	v_mul_f32_e32 v32, v30, v31
	v_fma_f32 v33, -v26, v32, v30
	v_fmac_f32_e32 v32, v33, v31
	v_fma_f32 v26, -v26, v32, v30
	v_div_fmas_f32 v26, v26, v31, v32
	v_div_fixup_f32 v26, v26, v28, 1.0
	v_mul_f32_e32 v31, v25, v26
	v_xor_b32_e32 v30, 0x80000000, v26
	v_xor_b32_e32 v25, 0x80000000, v31
                                        ; implicit-def: $vgpr26
                                        ; implicit-def: $vgpr28
.LBB75_15:
	s_andn2_saveexec_b64 s[8:9], s[8:9]
	s_cbranch_execz .LBB75_17
; %bb.16:
	v_div_scale_f32 v25, s[16:17], v26, v26, v28
	v_div_scale_f32 v30, vcc, v28, v26, v28
	v_rcp_f32_e32 v31, v25
	v_fma_f32 v32, -v25, v31, 1.0
	v_fmac_f32_e32 v31, v32, v31
	v_mul_f32_e32 v32, v30, v31
	v_fma_f32 v33, -v25, v32, v30
	v_fmac_f32_e32 v32, v33, v31
	v_fma_f32 v25, -v25, v32, v30
	v_div_fmas_f32 v25, v25, v31, v32
	v_div_fixup_f32 v30, v25, v26, v28
	v_fmac_f32_e32 v26, v28, v30
	v_div_scale_f32 v25, s[16:17], v26, v26, 1.0
	v_div_scale_f32 v28, vcc, 1.0, v26, 1.0
	v_rcp_f32_e32 v31, v25
	v_fma_f32 v32, -v25, v31, 1.0
	v_fmac_f32_e32 v31, v32, v31
	v_mul_f32_e32 v32, v28, v31
	v_fma_f32 v33, -v25, v32, v28
	v_fmac_f32_e32 v32, v33, v31
	v_fma_f32 v25, -v25, v32, v28
	v_div_fmas_f32 v25, v25, v31, v32
	v_div_fixup_f32 v31, v25, v26, 1.0
	v_xor_b32_e32 v25, 0x80000000, v31
	v_mul_f32_e64 v30, v30, -v31
.LBB75_17:
	s_or_b64 exec, exec, s[8:9]
	buffer_store_dword v31, v29, s[0:3], 0 offen
	buffer_store_dword v30, v29, s[0:3], 0 offen offset:4
	buffer_load_dword v32, off, s[0:3], 0 offset:12
	s_nop 0
	buffer_load_dword v31, off, s[0:3], 0 offset:8
	v_xor_b32_e32 v26, 0x80000000, v30
	v_add_u32_e32 v28, 0x60, v27
	s_waitcnt vmcnt(0)
	ds_write2_b64 v27, v[25:26], v[31:32] offset1:12
	s_waitcnt lgkmcnt(0)
	; wave barrier
	s_and_saveexec_b64 s[8:9], s[4:5]
	s_cbranch_execz .LBB75_19
; %bb.18:
	buffer_load_dword v32, v29, s[0:3], 0 offen offset:4
	buffer_load_dword v33, v29, s[0:3], 0 offen
	ds_read_b64 v[25:26], v28
	v_mov_b32_e32 v30, 0
	ds_read_b64 v[30:31], v30 offset:8
	s_waitcnt vmcnt(1) lgkmcnt(1)
	v_mul_f32_e32 v34, v26, v32
	v_mul_f32_e32 v32, v25, v32
	s_waitcnt vmcnt(0)
	v_fmac_f32_e32 v32, v26, v33
	v_fma_f32 v25, v25, v33, -v34
	v_add_f32_e32 v26, 0, v32
	v_add_f32_e32 v25, 0, v25
	s_waitcnt lgkmcnt(0)
	v_mul_f32_e32 v32, v26, v31
	v_mul_f32_e32 v31, v25, v31
	v_fma_f32 v25, v25, v30, -v32
	v_fmac_f32_e32 v31, v26, v30
	buffer_store_dword v25, off, s[0:3], 0 offset:8
	buffer_store_dword v31, off, s[0:3], 0 offset:12
.LBB75_19:
	s_or_b64 exec, exec, s[8:9]
	; wave barrier
	buffer_load_dword v25, off, s[0:3], 0 offset:16
	buffer_load_dword v26, off, s[0:3], 0 offset:20
	v_cmp_gt_u32_e32 vcc, 2, v0
	s_waitcnt vmcnt(0)
	ds_write_b64 v28, v[25:26]
	s_waitcnt lgkmcnt(0)
	; wave barrier
	s_and_saveexec_b64 s[8:9], vcc
	s_cbranch_execz .LBB75_23
; %bb.20:
	buffer_load_dword v30, v29, s[0:3], 0 offen offset:4
	buffer_load_dword v31, v29, s[0:3], 0 offen
	ds_read_b64 v[25:26], v28
	s_waitcnt vmcnt(1) lgkmcnt(0)
	v_mul_f32_e32 v29, v26, v30
	v_mul_f32_e32 v30, v25, v30
	s_waitcnt vmcnt(0)
	v_fma_f32 v25, v25, v31, -v29
	v_fmac_f32_e32 v30, v26, v31
	v_add_f32_e32 v26, 0, v25
	v_add_f32_e32 v25, 0, v30
	s_and_saveexec_b64 s[16:17], s[4:5]
	s_cbranch_execz .LBB75_22
; %bb.21:
	buffer_load_dword v31, off, s[0:3], 0 offset:12
	buffer_load_dword v32, off, s[0:3], 0 offset:8
	v_mov_b32_e32 v29, 0
	ds_read_b64 v[29:30], v29 offset:104
	s_waitcnt vmcnt(1) lgkmcnt(0)
	v_mul_f32_e32 v33, v29, v31
	v_mul_f32_e32 v31, v30, v31
	s_waitcnt vmcnt(0)
	v_fmac_f32_e32 v33, v30, v32
	v_fma_f32 v29, v29, v32, -v31
	v_add_f32_e32 v25, v25, v33
	v_add_f32_e32 v26, v26, v29
.LBB75_22:
	s_or_b64 exec, exec, s[16:17]
	v_mov_b32_e32 v29, 0
	ds_read_b64 v[29:30], v29 offset:16
	s_waitcnt lgkmcnt(0)
	v_mul_f32_e32 v31, v25, v30
	v_mul_f32_e32 v30, v26, v30
	v_fma_f32 v26, v26, v29, -v31
	v_fmac_f32_e32 v30, v25, v29
	buffer_store_dword v26, off, s[0:3], 0 offset:16
	buffer_store_dword v30, off, s[0:3], 0 offset:20
.LBB75_23:
	s_or_b64 exec, exec, s[8:9]
	; wave barrier
	buffer_load_dword v25, off, s[0:3], 0 offset:24
	buffer_load_dword v26, off, s[0:3], 0 offset:28
	v_cmp_gt_u32_e32 vcc, 3, v0
	s_waitcnt vmcnt(0)
	ds_write_b64 v28, v[25:26]
	v_add_u32_e32 v25, -1, v0
	s_waitcnt lgkmcnt(0)
	; wave barrier
	s_and_saveexec_b64 s[4:5], vcc
	s_cbranch_execz .LBB75_27
; %bb.24:
	v_add_u32_e32 v29, -1, v0
	v_add_u32_e32 v30, 0x60, v27
	v_mov_b32_e32 v31, v27
	v_mov_b32_e32 v26, 0
	s_mov_b64 s[8:9], 0
	v_mov_b32_e32 v32, 0
.LBB75_25:                              ; =>This Inner Loop Header: Depth=1
	buffer_load_dword v35, v31, s[0:3], 0 offen offset:4
	buffer_load_dword v36, v31, s[0:3], 0 offen
	ds_read_b64 v[33:34], v30
	v_add_u32_e32 v29, 1, v29
	v_cmp_lt_u32_e32 vcc, 1, v29
	v_add_u32_e32 v30, 8, v30
	v_add_u32_e32 v31, 8, v31
	s_or_b64 s[8:9], vcc, s[8:9]
	s_waitcnt vmcnt(1) lgkmcnt(0)
	v_mul_f32_e32 v37, v34, v35
	v_mul_f32_e32 v35, v33, v35
	s_waitcnt vmcnt(0)
	v_fma_f32 v33, v33, v36, -v37
	v_fmac_f32_e32 v35, v34, v36
	v_add_f32_e32 v32, v32, v33
	v_add_f32_e32 v26, v26, v35
	s_andn2_b64 exec, exec, s[8:9]
	s_cbranch_execnz .LBB75_25
; %bb.26:
	s_or_b64 exec, exec, s[8:9]
	v_mov_b32_e32 v29, 0
	ds_read_b64 v[29:30], v29 offset:24
	s_waitcnt lgkmcnt(0)
	v_mul_f32_e32 v31, v26, v30
	v_mul_f32_e32 v30, v32, v30
	v_fma_f32 v31, v32, v29, -v31
	v_fmac_f32_e32 v30, v26, v29
	buffer_store_dword v31, off, s[0:3], 0 offset:24
	buffer_store_dword v30, off, s[0:3], 0 offset:28
.LBB75_27:
	s_or_b64 exec, exec, s[4:5]
	; wave barrier
	buffer_load_dword v29, off, s[0:3], 0 offset:32
	buffer_load_dword v30, off, s[0:3], 0 offset:36
	v_cmp_gt_u32_e32 vcc, 4, v0
	s_waitcnt vmcnt(0)
	ds_write_b64 v28, v[29:30]
	s_waitcnt lgkmcnt(0)
	; wave barrier
	s_and_saveexec_b64 s[4:5], vcc
	s_cbranch_execz .LBB75_31
; %bb.28:
	v_add_u32_e32 v29, -1, v0
	v_add_u32_e32 v30, 0x60, v27
	v_mov_b32_e32 v31, v27
	v_mov_b32_e32 v26, 0
	s_mov_b64 s[8:9], 0
	v_mov_b32_e32 v32, 0
.LBB75_29:                              ; =>This Inner Loop Header: Depth=1
	buffer_load_dword v35, v31, s[0:3], 0 offen offset:4
	buffer_load_dword v36, v31, s[0:3], 0 offen
	ds_read_b64 v[33:34], v30
	v_add_u32_e32 v29, 1, v29
	v_cmp_lt_u32_e32 vcc, 2, v29
	v_add_u32_e32 v30, 8, v30
	v_add_u32_e32 v31, 8, v31
	s_or_b64 s[8:9], vcc, s[8:9]
	s_waitcnt vmcnt(1) lgkmcnt(0)
	v_mul_f32_e32 v37, v34, v35
	v_mul_f32_e32 v35, v33, v35
	s_waitcnt vmcnt(0)
	v_fma_f32 v33, v33, v36, -v37
	v_fmac_f32_e32 v35, v34, v36
	v_add_f32_e32 v32, v32, v33
	v_add_f32_e32 v26, v26, v35
	s_andn2_b64 exec, exec, s[8:9]
	s_cbranch_execnz .LBB75_29
; %bb.30:
	s_or_b64 exec, exec, s[8:9]
	v_mov_b32_e32 v29, 0
	ds_read_b64 v[29:30], v29 offset:32
	s_waitcnt lgkmcnt(0)
	v_mul_f32_e32 v31, v26, v30
	v_mul_f32_e32 v30, v32, v30
	v_fma_f32 v31, v32, v29, -v31
	v_fmac_f32_e32 v30, v26, v29
	buffer_store_dword v31, off, s[0:3], 0 offset:32
	buffer_store_dword v30, off, s[0:3], 0 offset:36
.LBB75_31:
	s_or_b64 exec, exec, s[4:5]
	; wave barrier
	buffer_load_dword v29, off, s[0:3], 0 offset:40
	buffer_load_dword v30, off, s[0:3], 0 offset:44
	v_cmp_gt_u32_e32 vcc, 5, v0
	s_waitcnt vmcnt(0)
	ds_write_b64 v28, v[29:30]
	;; [unrolled: 49-line block ×7, first 2 shown]
	s_waitcnt lgkmcnt(0)
	; wave barrier
	s_and_saveexec_b64 s[4:5], vcc
	s_cbranch_execz .LBB75_55
; %bb.52:
	v_add_u32_e32 v29, -1, v0
	v_add_u32_e32 v30, 0x60, v27
	v_mov_b32_e32 v31, v27
	v_mov_b32_e32 v26, 0
	s_mov_b64 s[8:9], 0
	v_mov_b32_e32 v32, 0
.LBB75_53:                              ; =>This Inner Loop Header: Depth=1
	buffer_load_dword v35, v31, s[0:3], 0 offen offset:4
	buffer_load_dword v36, v31, s[0:3], 0 offen
	ds_read_b64 v[33:34], v30
	v_add_u32_e32 v29, 1, v29
	v_cmp_lt_u32_e32 vcc, 8, v29
	v_add_u32_e32 v30, 8, v30
	v_add_u32_e32 v31, 8, v31
	s_or_b64 s[8:9], vcc, s[8:9]
	s_waitcnt vmcnt(1) lgkmcnt(0)
	v_mul_f32_e32 v37, v34, v35
	v_mul_f32_e32 v35, v33, v35
	s_waitcnt vmcnt(0)
	v_fma_f32 v33, v33, v36, -v37
	v_fmac_f32_e32 v35, v34, v36
	v_add_f32_e32 v32, v32, v33
	v_add_f32_e32 v26, v26, v35
	s_andn2_b64 exec, exec, s[8:9]
	s_cbranch_execnz .LBB75_53
; %bb.54:
	s_or_b64 exec, exec, s[8:9]
	v_mov_b32_e32 v29, 0
	ds_read_b64 v[29:30], v29 offset:80
	s_waitcnt lgkmcnt(0)
	v_mul_f32_e32 v31, v26, v30
	v_mul_f32_e32 v30, v32, v30
	v_fma_f32 v31, v32, v29, -v31
	v_fmac_f32_e32 v30, v26, v29
	buffer_store_dword v31, off, s[0:3], 0 offset:80
	buffer_store_dword v30, off, s[0:3], 0 offset:84
.LBB75_55:
	s_or_b64 exec, exec, s[4:5]
	; wave barrier
	buffer_load_dword v29, off, s[0:3], 0 offset:88
	buffer_load_dword v30, off, s[0:3], 0 offset:92
	v_cmp_ne_u32_e32 vcc, 11, v0
	s_waitcnt vmcnt(0)
	ds_write_b64 v28, v[29:30]
	s_waitcnt lgkmcnt(0)
	; wave barrier
	s_and_saveexec_b64 s[4:5], vcc
	s_cbranch_execz .LBB75_59
; %bb.56:
	v_add_u32_e32 v28, 0x60, v27
	v_mov_b32_e32 v26, 0
	s_mov_b64 s[8:9], 0
	v_mov_b32_e32 v29, 0
.LBB75_57:                              ; =>This Inner Loop Header: Depth=1
	buffer_load_dword v32, v27, s[0:3], 0 offen offset:4
	buffer_load_dword v33, v27, s[0:3], 0 offen
	ds_read_b64 v[30:31], v28
	v_add_u32_e32 v25, 1, v25
	v_cmp_lt_u32_e32 vcc, 9, v25
	v_add_u32_e32 v28, 8, v28
	v_add_u32_e32 v27, 8, v27
	s_or_b64 s[8:9], vcc, s[8:9]
	s_waitcnt vmcnt(1) lgkmcnt(0)
	v_mul_f32_e32 v34, v31, v32
	v_mul_f32_e32 v32, v30, v32
	s_waitcnt vmcnt(0)
	v_fma_f32 v30, v30, v33, -v34
	v_fmac_f32_e32 v32, v31, v33
	v_add_f32_e32 v29, v29, v30
	v_add_f32_e32 v26, v26, v32
	s_andn2_b64 exec, exec, s[8:9]
	s_cbranch_execnz .LBB75_57
; %bb.58:
	s_or_b64 exec, exec, s[8:9]
	v_mov_b32_e32 v25, 0
	ds_read_b64 v[27:28], v25 offset:88
	s_waitcnt lgkmcnt(0)
	v_mul_f32_e32 v25, v26, v28
	v_mul_f32_e32 v28, v29, v28
	v_fma_f32 v25, v29, v27, -v25
	v_fmac_f32_e32 v28, v26, v27
	buffer_store_dword v25, off, s[0:3], 0 offset:88
	buffer_store_dword v28, off, s[0:3], 0 offset:92
.LBB75_59:
	s_or_b64 exec, exec, s[4:5]
	s_mov_b64 s[8:9], -1
	; wave barrier
.LBB75_60:
	s_and_b64 vcc, exec, s[8:9]
	s_cbranch_vccz .LBB75_62
; %bb.61:
	s_lshl_b64 s[4:5], s[6:7], 2
	s_add_u32 s4, s10, s4
	s_addc_u32 s5, s11, s5
	v_mov_b32_e32 v25, 0
	global_load_dword v25, v25, s[4:5]
	s_waitcnt vmcnt(0)
	v_cmp_ne_u32_e32 vcc, 0, v25
	s_cbranch_vccz .LBB75_63
.LBB75_62:
	s_endpgm
.LBB75_63:
	v_mov_b32_e32 v25, 0x60
	v_lshl_add_u32 v25, v0, 3, v25
	v_cmp_eq_u32_e32 vcc, 11, v0
	s_and_saveexec_b64 s[4:5], vcc
	s_cbranch_execz .LBB75_65
; %bb.64:
	buffer_load_dword v26, off, s[0:3], 0 offset:80
	buffer_load_dword v27, off, s[0:3], 0 offset:84
	v_mov_b32_e32 v28, 0
	buffer_store_dword v28, off, s[0:3], 0 offset:80
	buffer_store_dword v28, off, s[0:3], 0 offset:84
	s_waitcnt vmcnt(2)
	ds_write_b64 v25, v[26:27]
.LBB75_65:
	s_or_b64 exec, exec, s[4:5]
	s_waitcnt lgkmcnt(0)
	; wave barrier
	buffer_load_dword v29, off, s[0:3], 0 offset:92
	buffer_load_dword v30, off, s[0:3], 0 offset:88
	;; [unrolled: 1-line block ×4, first 2 shown]
	v_mov_b32_e32 v26, 0
	ds_read_b64 v[27:28], v26 offset:184
	v_cmp_lt_u32_e32 vcc, 9, v0
	s_waitcnt vmcnt(3) lgkmcnt(0)
	v_mul_f32_e32 v33, v27, v29
	v_mul_f32_e32 v29, v28, v29
	s_waitcnt vmcnt(2)
	v_fma_f32 v27, v27, v30, -v29
	v_fmac_f32_e32 v33, v28, v30
	v_add_f32_e32 v27, 0, v27
	v_add_f32_e32 v28, 0, v33
	s_waitcnt vmcnt(1)
	v_sub_f32_e32 v27, v31, v27
	s_waitcnt vmcnt(0)
	v_sub_f32_e32 v28, v32, v28
	buffer_store_dword v27, off, s[0:3], 0 offset:80
	buffer_store_dword v28, off, s[0:3], 0 offset:84
	s_and_saveexec_b64 s[4:5], vcc
	s_cbranch_execz .LBB75_67
; %bb.66:
	buffer_load_dword v27, off, s[0:3], 0 offset:72
	buffer_load_dword v28, off, s[0:3], 0 offset:76
	s_waitcnt vmcnt(0)
	ds_write_b64 v25, v[27:28]
	buffer_store_dword v26, off, s[0:3], 0 offset:72
	buffer_store_dword v26, off, s[0:3], 0 offset:76
.LBB75_67:
	s_or_b64 exec, exec, s[4:5]
	s_waitcnt lgkmcnt(0)
	; wave barrier
	buffer_load_dword v30, off, s[0:3], 0 offset:84
	buffer_load_dword v31, off, s[0:3], 0 offset:92
	;; [unrolled: 1-line block ×6, first 2 shown]
	ds_read_b128 v[26:29], v26 offset:176
	v_cmp_lt_u32_e32 vcc, 8, v0
	s_waitcnt vmcnt(5) lgkmcnt(0)
	v_mul_f32_e32 v36, v26, v30
	v_mul_f32_e32 v30, v27, v30
	s_waitcnt vmcnt(4)
	v_mul_f32_e32 v37, v28, v31
	v_mul_f32_e32 v31, v29, v31
	s_waitcnt vmcnt(3)
	v_fma_f32 v26, v26, v32, -v30
	v_fmac_f32_e32 v36, v27, v32
	s_waitcnt vmcnt(2)
	v_fma_f32 v27, v28, v33, -v31
	v_add_f32_e32 v26, 0, v26
	v_fmac_f32_e32 v37, v29, v33
	v_add_f32_e32 v28, 0, v36
	v_add_f32_e32 v26, v26, v27
	;; [unrolled: 1-line block ×3, first 2 shown]
	s_waitcnt vmcnt(1)
	v_sub_f32_e32 v26, v34, v26
	s_waitcnt vmcnt(0)
	v_sub_f32_e32 v27, v35, v28
	buffer_store_dword v26, off, s[0:3], 0 offset:72
	buffer_store_dword v27, off, s[0:3], 0 offset:76
	s_and_saveexec_b64 s[4:5], vcc
	s_cbranch_execz .LBB75_69
; %bb.68:
	buffer_load_dword v26, off, s[0:3], 0 offset:64
	buffer_load_dword v27, off, s[0:3], 0 offset:68
	v_mov_b32_e32 v28, 0
	buffer_store_dword v28, off, s[0:3], 0 offset:64
	buffer_store_dword v28, off, s[0:3], 0 offset:68
	s_waitcnt vmcnt(2)
	ds_write_b64 v25, v[26:27]
.LBB75_69:
	s_or_b64 exec, exec, s[4:5]
	s_waitcnt lgkmcnt(0)
	; wave barrier
	buffer_load_dword v33, off, s[0:3], 0 offset:76
	buffer_load_dword v34, off, s[0:3], 0 offset:84
	;; [unrolled: 1-line block ×8, first 2 shown]
	v_mov_b32_e32 v26, 0
	ds_read2_b64 v[27:30], v26 offset0:21 offset1:22
	ds_read_b64 v[31:32], v26 offset:184
	v_cmp_lt_u32_e32 vcc, 7, v0
	s_waitcnt vmcnt(7) lgkmcnt(1)
	v_mul_f32_e32 v41, v27, v33
	v_mul_f32_e32 v33, v28, v33
	s_waitcnt vmcnt(6)
	v_mul_f32_e32 v42, v29, v34
	v_mul_f32_e32 v34, v30, v34
	s_waitcnt vmcnt(4)
	v_fma_f32 v27, v27, v36, -v33
	s_waitcnt lgkmcnt(0)
	v_mul_f32_e32 v43, v31, v35
	v_mul_f32_e32 v35, v32, v35
	v_fmac_f32_e32 v41, v28, v36
	s_waitcnt vmcnt(3)
	v_fma_f32 v28, v29, v37, -v34
	v_add_f32_e32 v27, 0, v27
	v_fmac_f32_e32 v42, v30, v37
	s_waitcnt vmcnt(2)
	v_fma_f32 v29, v31, v38, -v35
	v_add_f32_e32 v30, 0, v41
	v_add_f32_e32 v27, v27, v28
	v_fmac_f32_e32 v43, v32, v38
	v_add_f32_e32 v30, v30, v42
	v_add_f32_e32 v27, v27, v29
	;; [unrolled: 1-line block ×3, first 2 shown]
	s_waitcnt vmcnt(1)
	v_sub_f32_e32 v27, v39, v27
	s_waitcnt vmcnt(0)
	v_sub_f32_e32 v28, v40, v28
	buffer_store_dword v27, off, s[0:3], 0 offset:64
	buffer_store_dword v28, off, s[0:3], 0 offset:68
	s_and_saveexec_b64 s[4:5], vcc
	s_cbranch_execz .LBB75_71
; %bb.70:
	buffer_load_dword v27, off, s[0:3], 0 offset:56
	buffer_load_dword v28, off, s[0:3], 0 offset:60
	s_waitcnt vmcnt(0)
	ds_write_b64 v25, v[27:28]
	buffer_store_dword v26, off, s[0:3], 0 offset:56
	buffer_store_dword v26, off, s[0:3], 0 offset:60
.LBB75_71:
	s_or_b64 exec, exec, s[4:5]
	s_waitcnt lgkmcnt(0)
	; wave barrier
	buffer_load_dword v35, off, s[0:3], 0 offset:68
	buffer_load_dword v36, off, s[0:3], 0 offset:76
	;; [unrolled: 1-line block ×10, first 2 shown]
	ds_read_b128 v[27:30], v26 offset:160
	ds_read_b128 v[31:34], v26 offset:176
	v_cmp_lt_u32_e32 vcc, 6, v0
	s_waitcnt vmcnt(9) lgkmcnt(1)
	v_mul_f32_e32 v26, v27, v35
	v_mul_f32_e32 v35, v28, v35
	s_waitcnt vmcnt(8)
	v_mul_f32_e32 v45, v29, v36
	v_mul_f32_e32 v36, v30, v36
	s_waitcnt vmcnt(5)
	v_fma_f32 v27, v27, v39, -v35
	s_waitcnt lgkmcnt(0)
	v_mul_f32_e32 v46, v31, v37
	v_mul_f32_e32 v37, v32, v37
	v_fmac_f32_e32 v26, v28, v39
	s_waitcnt vmcnt(4)
	v_fma_f32 v28, v29, v40, -v36
	v_add_f32_e32 v27, 0, v27
	v_mul_f32_e32 v47, v33, v38
	v_mul_f32_e32 v38, v34, v38
	v_fmac_f32_e32 v45, v30, v40
	s_waitcnt vmcnt(3)
	v_fma_f32 v29, v31, v41, -v37
	v_add_f32_e32 v26, 0, v26
	v_add_f32_e32 v27, v27, v28
	v_fmac_f32_e32 v46, v32, v41
	s_waitcnt vmcnt(2)
	v_fma_f32 v30, v33, v42, -v38
	v_add_f32_e32 v26, v26, v45
	v_add_f32_e32 v27, v27, v29
	v_fmac_f32_e32 v47, v34, v42
	v_add_f32_e32 v26, v26, v46
	v_add_f32_e32 v27, v27, v30
	;; [unrolled: 1-line block ×3, first 2 shown]
	s_waitcnt vmcnt(1)
	v_sub_f32_e32 v27, v43, v27
	s_waitcnt vmcnt(0)
	v_sub_f32_e32 v26, v44, v26
	buffer_store_dword v27, off, s[0:3], 0 offset:56
	buffer_store_dword v26, off, s[0:3], 0 offset:60
	s_and_saveexec_b64 s[4:5], vcc
	s_cbranch_execz .LBB75_73
; %bb.72:
	buffer_load_dword v26, off, s[0:3], 0 offset:48
	buffer_load_dword v27, off, s[0:3], 0 offset:52
	v_mov_b32_e32 v28, 0
	buffer_store_dword v28, off, s[0:3], 0 offset:48
	buffer_store_dword v28, off, s[0:3], 0 offset:52
	s_waitcnt vmcnt(2)
	ds_write_b64 v25, v[26:27]
.LBB75_73:
	s_or_b64 exec, exec, s[4:5]
	s_waitcnt lgkmcnt(0)
	; wave barrier
	buffer_load_dword v37, off, s[0:3], 0 offset:60
	buffer_load_dword v38, off, s[0:3], 0 offset:68
	;; [unrolled: 1-line block ×12, first 2 shown]
	v_mov_b32_e32 v26, 0
	ds_read2_b64 v[27:30], v26 offset0:19 offset1:20
	ds_read2_b64 v[31:34], v26 offset0:21 offset1:22
	ds_read_b64 v[35:36], v26 offset:184
	v_cmp_lt_u32_e32 vcc, 5, v0
	s_waitcnt vmcnt(11) lgkmcnt(2)
	v_mul_f32_e32 v49, v27, v37
	v_mul_f32_e32 v37, v28, v37
	s_waitcnt vmcnt(10)
	v_mul_f32_e32 v50, v29, v38
	v_mul_f32_e32 v38, v30, v38
	s_waitcnt vmcnt(9) lgkmcnt(1)
	v_mul_f32_e32 v51, v31, v39
	s_waitcnt vmcnt(6)
	v_fma_f32 v27, v27, v42, -v37
	v_mul_f32_e32 v39, v32, v39
	v_fmac_f32_e32 v49, v28, v42
	s_waitcnt vmcnt(5)
	v_fma_f32 v28, v29, v43, -v38
	v_add_f32_e32 v27, 0, v27
	v_mul_f32_e32 v52, v33, v40
	v_mul_f32_e32 v40, v34, v40
	v_fmac_f32_e32 v50, v30, v43
	s_waitcnt vmcnt(4)
	v_fmac_f32_e32 v51, v32, v44
	v_fma_f32 v29, v31, v44, -v39
	v_add_f32_e32 v32, 0, v49
	v_add_f32_e32 v27, v27, v28
	s_waitcnt lgkmcnt(0)
	v_mul_f32_e32 v53, v35, v41
	v_mul_f32_e32 v41, v36, v41
	s_waitcnt vmcnt(3)
	v_fma_f32 v30, v33, v45, -v40
	v_add_f32_e32 v32, v32, v50
	v_add_f32_e32 v27, v27, v29
	v_fmac_f32_e32 v52, v34, v45
	s_waitcnt vmcnt(2)
	v_fma_f32 v31, v35, v46, -v41
	v_add_f32_e32 v28, v32, v51
	v_add_f32_e32 v27, v27, v30
	v_fmac_f32_e32 v53, v36, v46
	v_add_f32_e32 v28, v28, v52
	v_add_f32_e32 v27, v27, v31
	;; [unrolled: 1-line block ×3, first 2 shown]
	s_waitcnt vmcnt(1)
	v_sub_f32_e32 v27, v47, v27
	s_waitcnt vmcnt(0)
	v_sub_f32_e32 v28, v48, v28
	buffer_store_dword v27, off, s[0:3], 0 offset:48
	buffer_store_dword v28, off, s[0:3], 0 offset:52
	s_and_saveexec_b64 s[4:5], vcc
	s_cbranch_execz .LBB75_75
; %bb.74:
	buffer_load_dword v27, off, s[0:3], 0 offset:40
	buffer_load_dword v28, off, s[0:3], 0 offset:44
	s_waitcnt vmcnt(0)
	ds_write_b64 v25, v[27:28]
	buffer_store_dword v26, off, s[0:3], 0 offset:40
	buffer_store_dword v26, off, s[0:3], 0 offset:44
.LBB75_75:
	s_or_b64 exec, exec, s[4:5]
	s_waitcnt lgkmcnt(0)
	; wave barrier
	buffer_load_dword v39, off, s[0:3], 0 offset:52
	buffer_load_dword v40, off, s[0:3], 0 offset:60
	;; [unrolled: 1-line block ×14, first 2 shown]
	ds_read_b128 v[27:30], v26 offset:144
	ds_read_b128 v[31:34], v26 offset:160
	;; [unrolled: 1-line block ×3, first 2 shown]
	v_cmp_lt_u32_e32 vcc, 4, v0
	s_waitcnt vmcnt(13) lgkmcnt(2)
	v_mul_f32_e32 v26, v27, v39
	v_mul_f32_e32 v39, v28, v39
	s_waitcnt vmcnt(12)
	v_mul_f32_e32 v53, v29, v40
	v_mul_f32_e32 v40, v30, v40
	s_waitcnt vmcnt(11) lgkmcnt(1)
	v_mul_f32_e32 v54, v31, v41
	v_mul_f32_e32 v41, v32, v41
	s_waitcnt vmcnt(7)
	v_fma_f32 v27, v27, v45, -v39
	v_fmac_f32_e32 v26, v28, v45
	s_waitcnt vmcnt(6)
	v_fma_f32 v28, v29, v46, -v40
	v_add_f32_e32 v27, 0, v27
	v_mul_f32_e32 v55, v33, v42
	v_mul_f32_e32 v42, v34, v42
	v_fmac_f32_e32 v53, v30, v46
	s_waitcnt vmcnt(5)
	v_fma_f32 v29, v31, v47, -v41
	v_add_f32_e32 v26, 0, v26
	v_add_f32_e32 v27, v27, v28
	s_waitcnt lgkmcnt(0)
	v_mul_f32_e32 v56, v35, v43
	v_mul_f32_e32 v43, v36, v43
	v_fmac_f32_e32 v54, v32, v47
	s_waitcnt vmcnt(4)
	v_fma_f32 v30, v33, v48, -v42
	v_add_f32_e32 v26, v26, v53
	v_add_f32_e32 v27, v27, v29
	v_mul_f32_e32 v57, v37, v44
	v_mul_f32_e32 v44, v38, v44
	v_fmac_f32_e32 v55, v34, v48
	s_waitcnt vmcnt(3)
	v_fma_f32 v31, v35, v49, -v43
	v_add_f32_e32 v26, v26, v54
	v_add_f32_e32 v27, v27, v30
	v_fmac_f32_e32 v56, v36, v49
	s_waitcnt vmcnt(2)
	v_fma_f32 v32, v37, v50, -v44
	v_add_f32_e32 v26, v26, v55
	v_add_f32_e32 v27, v27, v31
	v_fmac_f32_e32 v57, v38, v50
	v_add_f32_e32 v26, v26, v56
	v_add_f32_e32 v27, v27, v32
	;; [unrolled: 1-line block ×3, first 2 shown]
	s_waitcnt vmcnt(1)
	v_sub_f32_e32 v27, v51, v27
	s_waitcnt vmcnt(0)
	v_sub_f32_e32 v26, v52, v26
	buffer_store_dword v27, off, s[0:3], 0 offset:40
	buffer_store_dword v26, off, s[0:3], 0 offset:44
	s_and_saveexec_b64 s[4:5], vcc
	s_cbranch_execz .LBB75_77
; %bb.76:
	buffer_load_dword v26, off, s[0:3], 0 offset:32
	buffer_load_dword v27, off, s[0:3], 0 offset:36
	v_mov_b32_e32 v28, 0
	buffer_store_dword v28, off, s[0:3], 0 offset:32
	buffer_store_dword v28, off, s[0:3], 0 offset:36
	s_waitcnt vmcnt(2)
	ds_write_b64 v25, v[26:27]
.LBB75_77:
	s_or_b64 exec, exec, s[4:5]
	v_mov_b32_e32 v26, 0
	s_waitcnt lgkmcnt(0)
	; wave barrier
	ds_read2_b64 v[27:30], v26 offset0:17 offset1:18
	buffer_load_dword v41, off, s[0:3], 0 offset:32
	buffer_load_dword v42, off, s[0:3], 0 offset:36
	;; [unrolled: 1-line block ×16, first 2 shown]
	v_cmp_lt_u32_e32 vcc, 3, v0
	s_waitcnt vmcnt(12) lgkmcnt(0)
	v_mul_f32_e32 v31, v27, v44
	v_fmac_f32_e32 v31, v28, v43
	s_waitcnt vmcnt(10)
	v_mul_f32_e32 v32, v29, v46
	v_add_f32_e32 v31, 0, v31
	v_fmac_f32_e32 v32, v30, v45
	v_add_f32_e32 v35, v31, v32
	ds_read2_b64 v[31:34], v26 offset0:19 offset1:20
	v_mul_f32_e32 v28, v28, v44
	v_fma_f32 v27, v27, v43, -v28
	v_mul_f32_e32 v28, v30, v46
	v_add_f32_e32 v27, 0, v27
	s_waitcnt vmcnt(8) lgkmcnt(0)
	v_mul_f32_e32 v36, v31, v48
	v_fmac_f32_e32 v36, v32, v47
	v_add_f32_e32 v35, v35, v36
	s_waitcnt vmcnt(6)
	v_mul_f32_e32 v36, v33, v50
	v_fmac_f32_e32 v36, v34, v49
	v_add_f32_e32 v39, v35, v36
	ds_read2_b64 v[35:38], v26 offset0:21 offset1:22
	v_fma_f32 v28, v29, v45, -v28
	v_add_f32_e32 v27, v27, v28
	v_mul_f32_e32 v28, v32, v48
	v_fma_f32 v28, v31, v47, -v28
	s_waitcnt vmcnt(4) lgkmcnt(0)
	v_mul_f32_e32 v40, v35, v52
	v_fmac_f32_e32 v40, v36, v51
	v_add_f32_e32 v39, v39, v40
	s_waitcnt vmcnt(2)
	v_mul_f32_e32 v40, v37, v54
	v_fmac_f32_e32 v40, v38, v53
	v_add_f32_e32 v27, v27, v28
	v_mul_f32_e32 v28, v34, v50
	v_add_f32_e32 v57, v39, v40
	ds_read_b64 v[39:40], v26 offset:184
	v_fma_f32 v28, v33, v49, -v28
	v_add_f32_e32 v27, v27, v28
	v_mul_f32_e32 v28, v36, v52
	v_fma_f32 v28, v35, v51, -v28
	v_add_f32_e32 v27, v27, v28
	v_mul_f32_e32 v28, v38, v54
	v_fma_f32 v28, v37, v53, -v28
	v_add_f32_e32 v27, v27, v28
	s_waitcnt vmcnt(0) lgkmcnt(0)
	v_mul_f32_e32 v28, v40, v56
	v_mul_f32_e32 v58, v39, v56
	v_fma_f32 v28, v39, v55, -v28
	v_fmac_f32_e32 v58, v40, v55
	v_add_f32_e32 v27, v27, v28
	v_add_f32_e32 v57, v57, v58
	v_sub_f32_e32 v27, v41, v27
	v_sub_f32_e32 v28, v42, v57
	buffer_store_dword v27, off, s[0:3], 0 offset:32
	buffer_store_dword v28, off, s[0:3], 0 offset:36
	s_and_saveexec_b64 s[4:5], vcc
	s_cbranch_execz .LBB75_79
; %bb.78:
	buffer_load_dword v27, off, s[0:3], 0 offset:24
	buffer_load_dword v28, off, s[0:3], 0 offset:28
	s_waitcnt vmcnt(0)
	ds_write_b64 v25, v[27:28]
	buffer_store_dword v26, off, s[0:3], 0 offset:24
	buffer_store_dword v26, off, s[0:3], 0 offset:28
.LBB75_79:
	s_or_b64 exec, exec, s[4:5]
	s_waitcnt lgkmcnt(0)
	; wave barrier
	ds_read_b128 v[27:30], v26 offset:128
	ds_read_b128 v[31:34], v26 offset:144
	;; [unrolled: 1-line block ×4, first 2 shown]
	buffer_load_dword v26, off, s[0:3], 0 offset:24
	buffer_load_dword v43, off, s[0:3], 0 offset:28
	;; [unrolled: 1-line block ×16, first 2 shown]
	v_cmp_lt_u32_e32 vcc, 2, v0
	s_waitcnt vmcnt(12) lgkmcnt(3)
	v_mul_f32_e32 v58, v27, v45
	v_fmac_f32_e32 v58, v28, v44
	s_waitcnt vmcnt(10)
	v_mul_f32_e32 v59, v29, v47
	v_add_f32_e32 v58, 0, v58
	v_fmac_f32_e32 v59, v30, v46
	v_add_f32_e32 v58, v58, v59
	s_waitcnt vmcnt(8) lgkmcnt(2)
	v_mul_f32_e32 v59, v31, v49
	v_fmac_f32_e32 v59, v32, v48
	v_add_f32_e32 v58, v58, v59
	s_waitcnt vmcnt(6)
	v_mul_f32_e32 v59, v33, v51
	v_fmac_f32_e32 v59, v34, v50
	v_add_f32_e32 v58, v58, v59
	s_waitcnt vmcnt(4) lgkmcnt(1)
	v_mul_f32_e32 v59, v35, v53
	v_fmac_f32_e32 v59, v36, v52
	v_add_f32_e32 v58, v58, v59
	s_waitcnt vmcnt(2)
	v_mul_f32_e32 v59, v37, v55
	v_fmac_f32_e32 v59, v38, v54
	v_add_f32_e32 v58, v58, v59
	s_waitcnt vmcnt(0) lgkmcnt(0)
	v_mul_f32_e32 v59, v39, v57
	v_fmac_f32_e32 v59, v40, v56
	v_add_f32_e32 v58, v58, v59
	buffer_load_dword v59, off, s[0:3], 0 offset:88
	buffer_load_dword v60, off, s[0:3], 0 offset:92
	v_mul_f32_e32 v28, v28, v45
	v_fma_f32 v27, v27, v44, -v28
	v_mul_f32_e32 v28, v30, v47
	v_add_f32_e32 v27, 0, v27
	v_fma_f32 v28, v29, v46, -v28
	v_add_f32_e32 v27, v27, v28
	v_mul_f32_e32 v28, v32, v49
	v_fma_f32 v28, v31, v48, -v28
	v_add_f32_e32 v27, v27, v28
	v_mul_f32_e32 v28, v34, v51
	;; [unrolled: 3-line block ×5, first 2 shown]
	v_fma_f32 v28, v39, v56, -v28
	v_add_f32_e32 v27, v27, v28
	s_waitcnt vmcnt(0)
	v_mul_f32_e32 v28, v42, v60
	v_mul_f32_e32 v61, v41, v60
	v_fma_f32 v28, v41, v59, -v28
	v_fmac_f32_e32 v61, v42, v59
	v_add_f32_e32 v27, v27, v28
	v_add_f32_e32 v58, v58, v61
	v_sub_f32_e32 v26, v26, v27
	v_sub_f32_e32 v27, v43, v58
	buffer_store_dword v26, off, s[0:3], 0 offset:24
	buffer_store_dword v27, off, s[0:3], 0 offset:28
	s_and_saveexec_b64 s[4:5], vcc
	s_cbranch_execz .LBB75_81
; %bb.80:
	buffer_load_dword v26, off, s[0:3], 0 offset:16
	buffer_load_dword v27, off, s[0:3], 0 offset:20
	v_mov_b32_e32 v28, 0
	buffer_store_dword v28, off, s[0:3], 0 offset:16
	buffer_store_dword v28, off, s[0:3], 0 offset:20
	s_waitcnt vmcnt(2)
	ds_write_b64 v25, v[26:27]
.LBB75_81:
	s_or_b64 exec, exec, s[4:5]
	s_waitcnt lgkmcnt(0)
	; wave barrier
	buffer_load_dword v45, off, s[0:3], 0 offset:28
	buffer_load_dword v46, off, s[0:3], 0 offset:36
	;; [unrolled: 1-line block ×20, first 2 shown]
	v_mov_b32_e32 v26, 0
	ds_read2_b64 v[27:30], v26 offset0:15 offset1:16
	ds_read2_b64 v[31:34], v26 offset0:17 offset1:18
	;; [unrolled: 1-line block ×4, first 2 shown]
	ds_read_b64 v[43:44], v26 offset:184
	v_cmp_lt_u32_e32 vcc, 1, v0
	s_waitcnt vmcnt(19) lgkmcnt(4)
	v_mul_f32_e32 v65, v27, v45
	v_mul_f32_e32 v45, v28, v45
	s_waitcnt vmcnt(18)
	v_mul_f32_e32 v66, v29, v46
	v_mul_f32_e32 v46, v30, v46
	s_waitcnt vmcnt(17) lgkmcnt(3)
	v_mul_f32_e32 v67, v31, v47
	s_waitcnt vmcnt(15) lgkmcnt(2)
	v_mul_f32_e32 v69, v35, v49
	v_mul_f32_e32 v47, v32, v47
	;; [unrolled: 1-line block ×4, first 2 shown]
	s_waitcnt vmcnt(10)
	v_fma_f32 v27, v27, v54, -v45
	v_fmac_f32_e32 v65, v28, v54
	s_waitcnt vmcnt(9)
	v_fma_f32 v28, v29, v55, -v46
	v_add_f32_e32 v27, 0, v27
	v_mul_f32_e32 v49, v36, v49
	v_fmac_f32_e32 v66, v30, v55
	s_waitcnt vmcnt(6)
	v_fmac_f32_e32 v69, v36, v58
	v_fma_f32 v29, v31, v56, -v47
	v_add_f32_e32 v36, 0, v65
	v_add_f32_e32 v27, v27, v28
	v_fmac_f32_e32 v67, v32, v56
	v_fma_f32 v30, v33, v57, -v48
	v_add_f32_e32 v36, v36, v66
	v_add_f32_e32 v27, v27, v29
	v_mul_f32_e32 v70, v37, v50
	v_mul_f32_e32 v50, v38, v50
	v_fmac_f32_e32 v68, v34, v57
	v_fma_f32 v31, v35, v58, -v49
	v_add_f32_e32 v28, v36, v67
	v_add_f32_e32 v27, v27, v30
	s_waitcnt lgkmcnt(1)
	v_mul_f32_e32 v71, v39, v51
	v_mul_f32_e32 v51, v40, v51
	s_waitcnt vmcnt(5)
	v_fma_f32 v32, v37, v59, -v50
	v_add_f32_e32 v28, v28, v68
	v_add_f32_e32 v27, v27, v31
	v_mul_f32_e32 v72, v41, v52
	v_mul_f32_e32 v52, v42, v52
	v_fmac_f32_e32 v70, v38, v59
	s_waitcnt vmcnt(4)
	v_fma_f32 v33, v39, v60, -v51
	v_add_f32_e32 v28, v28, v69
	v_add_f32_e32 v27, v27, v32
	s_waitcnt lgkmcnt(0)
	v_mul_f32_e32 v73, v43, v53
	v_mul_f32_e32 v53, v44, v53
	v_fmac_f32_e32 v71, v40, v60
	s_waitcnt vmcnt(3)
	v_fma_f32 v34, v41, v61, -v52
	v_add_f32_e32 v28, v28, v70
	v_add_f32_e32 v27, v27, v33
	v_fmac_f32_e32 v72, v42, v61
	s_waitcnt vmcnt(2)
	v_fma_f32 v35, v43, v62, -v53
	v_add_f32_e32 v28, v28, v71
	v_add_f32_e32 v27, v27, v34
	v_fmac_f32_e32 v73, v44, v62
	v_add_f32_e32 v28, v28, v72
	v_add_f32_e32 v27, v27, v35
	;; [unrolled: 1-line block ×3, first 2 shown]
	s_waitcnt vmcnt(1)
	v_sub_f32_e32 v27, v63, v27
	s_waitcnt vmcnt(0)
	v_sub_f32_e32 v28, v64, v28
	buffer_store_dword v27, off, s[0:3], 0 offset:16
	buffer_store_dword v28, off, s[0:3], 0 offset:20
	s_and_saveexec_b64 s[4:5], vcc
	s_cbranch_execz .LBB75_83
; %bb.82:
	buffer_load_dword v27, off, s[0:3], 0 offset:8
	buffer_load_dword v28, off, s[0:3], 0 offset:12
	s_waitcnt vmcnt(0)
	ds_write_b64 v25, v[27:28]
	buffer_store_dword v26, off, s[0:3], 0 offset:8
	buffer_store_dword v26, off, s[0:3], 0 offset:12
.LBB75_83:
	s_or_b64 exec, exec, s[4:5]
	s_waitcnt lgkmcnt(0)
	; wave barrier
	buffer_load_dword v47, off, s[0:3], 0 offset:20
	buffer_load_dword v48, off, s[0:3], 0 offset:28
	;; [unrolled: 1-line block ×22, first 2 shown]
	ds_read_b128 v[27:30], v26 offset:112
	ds_read_b128 v[31:34], v26 offset:128
	;; [unrolled: 1-line block ×5, first 2 shown]
	v_cmp_ne_u32_e32 vcc, 0, v0
	s_waitcnt vmcnt(21) lgkmcnt(4)
	v_mul_f32_e32 v26, v27, v47
	v_mul_f32_e32 v47, v28, v47
	s_waitcnt vmcnt(20)
	v_mul_f32_e32 v69, v29, v48
	v_mul_f32_e32 v48, v30, v48
	s_waitcnt vmcnt(19) lgkmcnt(3)
	v_mul_f32_e32 v70, v31, v49
	v_mul_f32_e32 v49, v32, v49
	s_waitcnt vmcnt(18)
	v_mul_f32_e32 v71, v33, v50
	v_mul_f32_e32 v50, v34, v50
	s_waitcnt vmcnt(17) lgkmcnt(2)
	v_mul_f32_e32 v72, v35, v51
	v_mul_f32_e32 v51, v36, v51
	s_waitcnt vmcnt(11)
	v_fma_f32 v27, v27, v57, -v47
	v_fmac_f32_e32 v26, v28, v57
	s_waitcnt vmcnt(10)
	v_fma_f32 v28, v29, v58, -v48
	v_add_f32_e32 v27, 0, v27
	v_fmac_f32_e32 v69, v30, v58
	s_waitcnt vmcnt(9)
	v_fma_f32 v29, v31, v59, -v49
	v_add_f32_e32 v26, 0, v26
	v_add_f32_e32 v27, v27, v28
	v_fmac_f32_e32 v70, v32, v59
	s_waitcnt vmcnt(8)
	v_fma_f32 v30, v33, v60, -v50
	v_add_f32_e32 v26, v26, v69
	v_add_f32_e32 v27, v27, v29
	v_mul_f32_e32 v73, v37, v52
	v_mul_f32_e32 v52, v38, v52
	v_fmac_f32_e32 v71, v34, v60
	s_waitcnt vmcnt(7)
	v_fma_f32 v31, v35, v61, -v51
	v_add_f32_e32 v26, v26, v70
	v_add_f32_e32 v27, v27, v30
	s_waitcnt lgkmcnt(1)
	v_mul_f32_e32 v74, v39, v53
	v_mul_f32_e32 v53, v40, v53
	v_fmac_f32_e32 v72, v36, v61
	s_waitcnt vmcnt(6)
	v_fma_f32 v32, v37, v62, -v52
	v_add_f32_e32 v26, v26, v71
	v_add_f32_e32 v27, v27, v31
	v_mul_f32_e32 v75, v41, v54
	v_mul_f32_e32 v54, v42, v54
	v_fmac_f32_e32 v73, v38, v62
	s_waitcnt vmcnt(5)
	v_fma_f32 v33, v39, v63, -v53
	v_add_f32_e32 v26, v26, v72
	v_add_f32_e32 v27, v27, v32
	s_waitcnt lgkmcnt(0)
	v_mul_f32_e32 v76, v43, v55
	v_mul_f32_e32 v55, v44, v55
	v_fmac_f32_e32 v74, v40, v63
	s_waitcnt vmcnt(4)
	v_fma_f32 v34, v41, v64, -v54
	v_add_f32_e32 v26, v26, v73
	v_add_f32_e32 v27, v27, v33
	v_mul_f32_e32 v77, v45, v56
	v_mul_f32_e32 v56, v46, v56
	v_fmac_f32_e32 v75, v42, v64
	s_waitcnt vmcnt(3)
	v_fma_f32 v35, v43, v65, -v55
	v_add_f32_e32 v26, v26, v74
	v_add_f32_e32 v27, v27, v34
	v_fmac_f32_e32 v76, v44, v65
	s_waitcnt vmcnt(2)
	v_fma_f32 v36, v45, v66, -v56
	v_add_f32_e32 v26, v26, v75
	v_add_f32_e32 v27, v27, v35
	v_fmac_f32_e32 v77, v46, v66
	v_add_f32_e32 v26, v26, v76
	v_add_f32_e32 v27, v27, v36
	;; [unrolled: 1-line block ×3, first 2 shown]
	s_waitcnt vmcnt(1)
	v_sub_f32_e32 v27, v67, v27
	s_waitcnt vmcnt(0)
	v_sub_f32_e32 v26, v68, v26
	buffer_store_dword v27, off, s[0:3], 0 offset:8
	buffer_store_dword v26, off, s[0:3], 0 offset:12
	s_and_saveexec_b64 s[4:5], vcc
	s_cbranch_execz .LBB75_85
; %bb.84:
	buffer_load_dword v26, off, s[0:3], 0
	buffer_load_dword v27, off, s[0:3], 0 offset:4
	v_mov_b32_e32 v0, 0
	buffer_store_dword v0, off, s[0:3], 0
	buffer_store_dword v0, off, s[0:3], 0 offset:4
	s_waitcnt vmcnt(2)
	ds_write_b64 v25, v[26:27]
.LBB75_85:
	s_or_b64 exec, exec, s[4:5]
	s_waitcnt lgkmcnt(0)
	; wave barrier
	buffer_load_dword v49, off, s[0:3], 0 offset:12
	buffer_load_dword v50, off, s[0:3], 0 offset:20
	;; [unrolled: 1-line block ×22, first 2 shown]
	buffer_load_dword v69, off, s[0:3], 0
	buffer_load_dword v70, off, s[0:3], 0 offset:4
	v_mov_b32_e32 v26, 0
	ds_read2_b64 v[27:30], v26 offset0:13 offset1:14
	ds_read2_b64 v[31:34], v26 offset0:15 offset1:16
	;; [unrolled: 1-line block ×5, first 2 shown]
	ds_read_b64 v[47:48], v26 offset:184
	s_and_b64 vcc, exec, s[14:15]
	s_waitcnt vmcnt(23) lgkmcnt(5)
	v_mul_f32_e32 v71, v27, v49
	v_mul_f32_e32 v49, v28, v49
	s_waitcnt vmcnt(22)
	v_mul_f32_e32 v72, v29, v50
	v_mul_f32_e32 v50, v30, v50
	s_waitcnt vmcnt(21) lgkmcnt(4)
	v_mul_f32_e32 v73, v31, v51
	v_mul_f32_e32 v51, v32, v51
	s_waitcnt vmcnt(20)
	v_mul_f32_e32 v74, v33, v52
	s_waitcnt vmcnt(19) lgkmcnt(3)
	v_mul_f32_e32 v75, v35, v53
	v_mul_f32_e32 v52, v34, v52
	;; [unrolled: 1-line block ×3, first 2 shown]
	s_waitcnt vmcnt(18)
	v_mul_f32_e32 v76, v37, v54
	s_waitcnt vmcnt(12)
	v_fma_f32 v27, v27, v59, -v49
	v_fmac_f32_e32 v71, v28, v59
	s_waitcnt vmcnt(11)
	v_fma_f32 v28, v29, v60, -v50
	v_add_f32_e32 v27, 0, v27
	s_waitcnt vmcnt(10)
	v_fma_f32 v29, v31, v61, -v51
	v_add_f32_e32 v27, v27, v28
	v_fmac_f32_e32 v72, v30, v60
	s_waitcnt vmcnt(8)
	v_fmac_f32_e32 v75, v36, v63
	v_fma_f32 v30, v33, v62, -v52
	v_add_f32_e32 v36, 0, v71
	v_add_f32_e32 v27, v27, v29
	v_mul_f32_e32 v54, v38, v54
	v_fmac_f32_e32 v73, v32, v61
	v_fma_f32 v31, v35, v63, -v53
	v_add_f32_e32 v36, v36, v72
	v_add_f32_e32 v27, v27, v30
	s_waitcnt lgkmcnt(2)
	v_mul_f32_e32 v77, v39, v55
	v_mul_f32_e32 v55, v40, v55
	v_fmac_f32_e32 v74, v34, v62
	s_waitcnt vmcnt(7)
	v_fma_f32 v32, v37, v64, -v54
	v_add_f32_e32 v28, v36, v73
	v_add_f32_e32 v27, v27, v31
	v_mul_f32_e32 v78, v41, v56
	v_mul_f32_e32 v56, v42, v56
	s_waitcnt vmcnt(6)
	v_fma_f32 v33, v39, v65, -v55
	v_add_f32_e32 v28, v28, v74
	v_add_f32_e32 v27, v27, v32
	s_waitcnt lgkmcnt(1)
	v_mul_f32_e32 v79, v43, v57
	v_mul_f32_e32 v57, v44, v57
	v_fmac_f32_e32 v76, v38, v64
	s_waitcnt vmcnt(5)
	v_fma_f32 v34, v41, v66, -v56
	v_add_f32_e32 v28, v28, v75
	v_add_f32_e32 v27, v27, v33
	v_fmac_f32_e32 v77, v40, v65
	s_waitcnt vmcnt(4)
	v_fma_f32 v35, v43, v67, -v57
	v_add_f32_e32 v28, v28, v76
	v_add_f32_e32 v27, v27, v34
	v_mul_f32_e32 v29, v46, v0
	v_fmac_f32_e32 v78, v42, v66
	v_add_f32_e32 v28, v28, v77
	v_add_f32_e32 v27, v27, v35
	s_waitcnt vmcnt(2)
	v_fma_f32 v29, v45, v25, -v29
	v_mul_f32_e32 v80, v45, v0
	v_fmac_f32_e32 v79, v44, v67
	v_add_f32_e32 v28, v28, v78
	v_add_f32_e32 v27, v27, v29
	s_waitcnt lgkmcnt(0)
	v_mul_f32_e32 v29, v48, v58
	v_mul_f32_e32 v81, v47, v58
	v_fmac_f32_e32 v80, v46, v25
	v_add_f32_e32 v28, v28, v79
	v_fma_f32 v29, v47, v68, -v29
	v_fmac_f32_e32 v81, v48, v68
	v_add_f32_e32 v28, v28, v80
	v_add_f32_e32 v27, v27, v29
	;; [unrolled: 1-line block ×3, first 2 shown]
	s_waitcnt vmcnt(1)
	v_sub_f32_e32 v27, v69, v27
	s_waitcnt vmcnt(0)
	v_sub_f32_e32 v28, v70, v28
	buffer_store_dword v27, off, s[0:3], 0
	buffer_store_dword v28, off, s[0:3], 0 offset:4
	s_cbranch_vccz .LBB75_108
; %bb.86:
	global_load_dword v26, v26, s[12:13] offset:40
	s_waitcnt vmcnt(0)
	v_add_u32_e32 v26, -1, v26
	v_cmp_ne_u32_e32 vcc, 10, v26
	s_cbranch_vccz .LBB75_88
; %bb.87:
	v_lshlrev_b32_e32 v26, 3, v26
	buffer_load_dword v27, v26, s[0:3], 0 offen offset:4
	buffer_load_dword v28, v26, s[0:3], 0 offen
	s_waitcnt vmcnt(1)
	buffer_store_dword v27, off, s[0:3], 0 offset:84
	s_waitcnt vmcnt(1)
	buffer_store_dword v28, off, s[0:3], 0 offset:80
	buffer_store_dword v0, v26, s[0:3], 0 offen offset:4
	buffer_store_dword v25, v26, s[0:3], 0 offen
.LBB75_88:
	v_mov_b32_e32 v0, 0
	global_load_dword v25, v0, s[12:13] offset:36
	s_waitcnt vmcnt(0)
	v_add_u32_e32 v25, -1, v25
	v_cmp_eq_u32_e32 vcc, 9, v25
	s_cbranch_vccnz .LBB75_90
; %bb.89:
	v_lshlrev_b32_e32 v25, 3, v25
	buffer_load_dword v26, v25, s[0:3], 0 offen
	buffer_load_dword v27, v25, s[0:3], 0 offen offset:4
	buffer_load_dword v28, off, s[0:3], 0 offset:72
	buffer_load_dword v29, off, s[0:3], 0 offset:76
	s_waitcnt vmcnt(3)
	buffer_store_dword v26, off, s[0:3], 0 offset:72
	s_waitcnt vmcnt(3)
	buffer_store_dword v27, off, s[0:3], 0 offset:76
	s_waitcnt vmcnt(3)
	buffer_store_dword v28, v25, s[0:3], 0 offen
	s_waitcnt vmcnt(3)
	buffer_store_dword v29, v25, s[0:3], 0 offen offset:4
.LBB75_90:
	global_load_dword v0, v0, s[12:13] offset:32
	s_waitcnt vmcnt(0)
	v_add_u32_e32 v0, -1, v0
	v_cmp_eq_u32_e32 vcc, 8, v0
	s_cbranch_vccnz .LBB75_92
; %bb.91:
	v_lshlrev_b32_e32 v0, 3, v0
	buffer_load_dword v25, v0, s[0:3], 0 offen
	buffer_load_dword v26, v0, s[0:3], 0 offen offset:4
	buffer_load_dword v27, off, s[0:3], 0 offset:68
	buffer_load_dword v28, off, s[0:3], 0 offset:64
	s_waitcnt vmcnt(3)
	buffer_store_dword v25, off, s[0:3], 0 offset:64
	s_waitcnt vmcnt(3)
	buffer_store_dword v26, off, s[0:3], 0 offset:68
	s_waitcnt vmcnt(3)
	buffer_store_dword v27, v0, s[0:3], 0 offen offset:4
	s_waitcnt vmcnt(3)
	buffer_store_dword v28, v0, s[0:3], 0 offen
.LBB75_92:
	v_mov_b32_e32 v0, 0
	global_load_dword v25, v0, s[12:13] offset:28
	s_waitcnt vmcnt(0)
	v_add_u32_e32 v25, -1, v25
	v_cmp_eq_u32_e32 vcc, 7, v25
	s_cbranch_vccnz .LBB75_94
; %bb.93:
	v_lshlrev_b32_e32 v25, 3, v25
	buffer_load_dword v26, v25, s[0:3], 0 offen
	buffer_load_dword v27, v25, s[0:3], 0 offen offset:4
	buffer_load_dword v28, off, s[0:3], 0 offset:56
	buffer_load_dword v29, off, s[0:3], 0 offset:60
	s_waitcnt vmcnt(3)
	buffer_store_dword v26, off, s[0:3], 0 offset:56
	s_waitcnt vmcnt(3)
	buffer_store_dword v27, off, s[0:3], 0 offset:60
	s_waitcnt vmcnt(3)
	buffer_store_dword v28, v25, s[0:3], 0 offen
	s_waitcnt vmcnt(3)
	buffer_store_dword v29, v25, s[0:3], 0 offen offset:4
.LBB75_94:
	global_load_dword v0, v0, s[12:13] offset:24
	s_waitcnt vmcnt(0)
	v_add_u32_e32 v0, -1, v0
	v_cmp_eq_u32_e32 vcc, 6, v0
	s_cbranch_vccnz .LBB75_96
; %bb.95:
	v_lshlrev_b32_e32 v0, 3, v0
	buffer_load_dword v25, v0, s[0:3], 0 offen
	buffer_load_dword v26, v0, s[0:3], 0 offen offset:4
	buffer_load_dword v27, off, s[0:3], 0 offset:52
	buffer_load_dword v28, off, s[0:3], 0 offset:48
	s_waitcnt vmcnt(3)
	buffer_store_dword v25, off, s[0:3], 0 offset:48
	s_waitcnt vmcnt(3)
	buffer_store_dword v26, off, s[0:3], 0 offset:52
	s_waitcnt vmcnt(3)
	buffer_store_dword v27, v0, s[0:3], 0 offen offset:4
	s_waitcnt vmcnt(3)
	buffer_store_dword v28, v0, s[0:3], 0 offen
.LBB75_96:
	;; [unrolled: 41-line block ×4, first 2 shown]
	v_mov_b32_e32 v0, 0
	global_load_dword v25, v0, s[12:13] offset:4
	s_waitcnt vmcnt(0)
	v_add_u32_e32 v25, -1, v25
	v_cmp_eq_u32_e32 vcc, 1, v25
	s_cbranch_vccnz .LBB75_106
; %bb.105:
	v_lshlrev_b32_e32 v25, 3, v25
	buffer_load_dword v26, v25, s[0:3], 0 offen
	buffer_load_dword v27, v25, s[0:3], 0 offen offset:4
	buffer_load_dword v28, off, s[0:3], 0 offset:8
	buffer_load_dword v29, off, s[0:3], 0 offset:12
	s_waitcnt vmcnt(3)
	buffer_store_dword v26, off, s[0:3], 0 offset:8
	s_waitcnt vmcnt(3)
	buffer_store_dword v27, off, s[0:3], 0 offset:12
	s_waitcnt vmcnt(3)
	buffer_store_dword v28, v25, s[0:3], 0 offen
	s_waitcnt vmcnt(3)
	buffer_store_dword v29, v25, s[0:3], 0 offen offset:4
.LBB75_106:
	global_load_dword v0, v0, s[12:13]
	s_waitcnt vmcnt(0)
	v_add_u32_e32 v0, -1, v0
	v_cmp_eq_u32_e32 vcc, 0, v0
	s_cbranch_vccnz .LBB75_108
; %bb.107:
	v_lshlrev_b32_e32 v0, 3, v0
	buffer_load_dword v25, v0, s[0:3], 0 offen
	buffer_load_dword v26, v0, s[0:3], 0 offen offset:4
	buffer_load_dword v27, off, s[0:3], 0 offset:4
	buffer_load_dword v28, off, s[0:3], 0
	s_waitcnt vmcnt(3)
	buffer_store_dword v25, off, s[0:3], 0
	s_waitcnt vmcnt(3)
	buffer_store_dword v26, off, s[0:3], 0 offset:4
	s_waitcnt vmcnt(3)
	buffer_store_dword v27, v0, s[0:3], 0 offen offset:4
	s_waitcnt vmcnt(3)
	buffer_store_dword v28, v0, s[0:3], 0 offen
.LBB75_108:
	buffer_load_dword v25, off, s[0:3], 0
	buffer_load_dword v26, off, s[0:3], 0 offset:4
	s_waitcnt vmcnt(0)
	flat_store_dwordx2 v[1:2], v[25:26]
	buffer_load_dword v0, off, s[0:3], 0 offset:8
	s_nop 0
	buffer_load_dword v1, off, s[0:3], 0 offset:12
	s_waitcnt vmcnt(0)
	flat_store_dwordx2 v[3:4], v[0:1]
	buffer_load_dword v0, off, s[0:3], 0 offset:16
	s_nop 0
	;; [unrolled: 5-line block ×11, first 2 shown]
	buffer_load_dword v1, off, s[0:3], 0 offset:92
	s_waitcnt vmcnt(0)
	flat_store_dwordx2 v[23:24], v[0:1]
	s_endpgm
	.section	.rodata,"a",@progbits
	.p2align	6, 0x0
	.amdhsa_kernel _ZN9rocsolver6v33100L18getri_kernel_smallILi12E19rocblas_complex_numIfEPKPS3_EEvT1_iilPiilS8_bb
		.amdhsa_group_segment_fixed_size 196
		.amdhsa_private_segment_fixed_size 112
		.amdhsa_kernarg_size 60
		.amdhsa_user_sgpr_count 6
		.amdhsa_user_sgpr_private_segment_buffer 1
		.amdhsa_user_sgpr_dispatch_ptr 0
		.amdhsa_user_sgpr_queue_ptr 0
		.amdhsa_user_sgpr_kernarg_segment_ptr 1
		.amdhsa_user_sgpr_dispatch_id 0
		.amdhsa_user_sgpr_flat_scratch_init 0
		.amdhsa_user_sgpr_private_segment_size 0
		.amdhsa_uses_dynamic_stack 0
		.amdhsa_system_sgpr_private_segment_wavefront_offset 1
		.amdhsa_system_sgpr_workgroup_id_x 1
		.amdhsa_system_sgpr_workgroup_id_y 0
		.amdhsa_system_sgpr_workgroup_id_z 0
		.amdhsa_system_sgpr_workgroup_info 0
		.amdhsa_system_vgpr_workitem_id 0
		.amdhsa_next_free_vgpr 82
		.amdhsa_next_free_sgpr 21
		.amdhsa_reserve_vcc 1
		.amdhsa_reserve_flat_scratch 0
		.amdhsa_float_round_mode_32 0
		.amdhsa_float_round_mode_16_64 0
		.amdhsa_float_denorm_mode_32 3
		.amdhsa_float_denorm_mode_16_64 3
		.amdhsa_dx10_clamp 1
		.amdhsa_ieee_mode 1
		.amdhsa_fp16_overflow 0
		.amdhsa_exception_fp_ieee_invalid_op 0
		.amdhsa_exception_fp_denorm_src 0
		.amdhsa_exception_fp_ieee_div_zero 0
		.amdhsa_exception_fp_ieee_overflow 0
		.amdhsa_exception_fp_ieee_underflow 0
		.amdhsa_exception_fp_ieee_inexact 0
		.amdhsa_exception_int_div_zero 0
	.end_amdhsa_kernel
	.section	.text._ZN9rocsolver6v33100L18getri_kernel_smallILi12E19rocblas_complex_numIfEPKPS3_EEvT1_iilPiilS8_bb,"axG",@progbits,_ZN9rocsolver6v33100L18getri_kernel_smallILi12E19rocblas_complex_numIfEPKPS3_EEvT1_iilPiilS8_bb,comdat
.Lfunc_end75:
	.size	_ZN9rocsolver6v33100L18getri_kernel_smallILi12E19rocblas_complex_numIfEPKPS3_EEvT1_iilPiilS8_bb, .Lfunc_end75-_ZN9rocsolver6v33100L18getri_kernel_smallILi12E19rocblas_complex_numIfEPKPS3_EEvT1_iilPiilS8_bb
                                        ; -- End function
	.set _ZN9rocsolver6v33100L18getri_kernel_smallILi12E19rocblas_complex_numIfEPKPS3_EEvT1_iilPiilS8_bb.num_vgpr, 82
	.set _ZN9rocsolver6v33100L18getri_kernel_smallILi12E19rocblas_complex_numIfEPKPS3_EEvT1_iilPiilS8_bb.num_agpr, 0
	.set _ZN9rocsolver6v33100L18getri_kernel_smallILi12E19rocblas_complex_numIfEPKPS3_EEvT1_iilPiilS8_bb.numbered_sgpr, 21
	.set _ZN9rocsolver6v33100L18getri_kernel_smallILi12E19rocblas_complex_numIfEPKPS3_EEvT1_iilPiilS8_bb.num_named_barrier, 0
	.set _ZN9rocsolver6v33100L18getri_kernel_smallILi12E19rocblas_complex_numIfEPKPS3_EEvT1_iilPiilS8_bb.private_seg_size, 112
	.set _ZN9rocsolver6v33100L18getri_kernel_smallILi12E19rocblas_complex_numIfEPKPS3_EEvT1_iilPiilS8_bb.uses_vcc, 1
	.set _ZN9rocsolver6v33100L18getri_kernel_smallILi12E19rocblas_complex_numIfEPKPS3_EEvT1_iilPiilS8_bb.uses_flat_scratch, 0
	.set _ZN9rocsolver6v33100L18getri_kernel_smallILi12E19rocblas_complex_numIfEPKPS3_EEvT1_iilPiilS8_bb.has_dyn_sized_stack, 0
	.set _ZN9rocsolver6v33100L18getri_kernel_smallILi12E19rocblas_complex_numIfEPKPS3_EEvT1_iilPiilS8_bb.has_recursion, 0
	.set _ZN9rocsolver6v33100L18getri_kernel_smallILi12E19rocblas_complex_numIfEPKPS3_EEvT1_iilPiilS8_bb.has_indirect_call, 0
	.section	.AMDGPU.csdata,"",@progbits
; Kernel info:
; codeLenInByte = 10428
; TotalNumSgprs: 25
; NumVgprs: 82
; ScratchSize: 112
; MemoryBound: 0
; FloatMode: 240
; IeeeMode: 1
; LDSByteSize: 196 bytes/workgroup (compile time only)
; SGPRBlocks: 3
; VGPRBlocks: 20
; NumSGPRsForWavesPerEU: 25
; NumVGPRsForWavesPerEU: 82
; Occupancy: 3
; WaveLimiterHint : 1
; COMPUTE_PGM_RSRC2:SCRATCH_EN: 1
; COMPUTE_PGM_RSRC2:USER_SGPR: 6
; COMPUTE_PGM_RSRC2:TRAP_HANDLER: 0
; COMPUTE_PGM_RSRC2:TGID_X_EN: 1
; COMPUTE_PGM_RSRC2:TGID_Y_EN: 0
; COMPUTE_PGM_RSRC2:TGID_Z_EN: 0
; COMPUTE_PGM_RSRC2:TIDIG_COMP_CNT: 0
	.section	.text._ZN9rocsolver6v33100L18getri_kernel_smallILi13E19rocblas_complex_numIfEPKPS3_EEvT1_iilPiilS8_bb,"axG",@progbits,_ZN9rocsolver6v33100L18getri_kernel_smallILi13E19rocblas_complex_numIfEPKPS3_EEvT1_iilPiilS8_bb,comdat
	.globl	_ZN9rocsolver6v33100L18getri_kernel_smallILi13E19rocblas_complex_numIfEPKPS3_EEvT1_iilPiilS8_bb ; -- Begin function _ZN9rocsolver6v33100L18getri_kernel_smallILi13E19rocblas_complex_numIfEPKPS3_EEvT1_iilPiilS8_bb
	.p2align	8
	.type	_ZN9rocsolver6v33100L18getri_kernel_smallILi13E19rocblas_complex_numIfEPKPS3_EEvT1_iilPiilS8_bb,@function
_ZN9rocsolver6v33100L18getri_kernel_smallILi13E19rocblas_complex_numIfEPKPS3_EEvT1_iilPiilS8_bb: ; @_ZN9rocsolver6v33100L18getri_kernel_smallILi13E19rocblas_complex_numIfEPKPS3_EEvT1_iilPiilS8_bb
; %bb.0:
	s_add_u32 s0, s0, s7
	s_addc_u32 s1, s1, 0
	v_cmp_gt_u32_e32 vcc, 13, v0
	s_and_saveexec_b64 s[8:9], vcc
	s_cbranch_execz .LBB76_66
; %bb.1:
	s_load_dword s18, s[4:5], 0x38
	s_load_dwordx2 s[12:13], s[4:5], 0x0
	s_load_dwordx4 s[8:11], s[4:5], 0x28
	s_waitcnt lgkmcnt(0)
	s_bitcmp1_b32 s18, 8
	s_cselect_b64 s[14:15], -1, 0
	s_ashr_i32 s7, s6, 31
	s_lshl_b64 s[16:17], s[6:7], 3
	s_add_u32 s12, s12, s16
	s_addc_u32 s13, s13, s17
	s_load_dwordx2 s[16:17], s[12:13], 0x0
	s_bfe_u32 s12, s18, 0x10008
	s_cmp_eq_u32 s12, 0
                                        ; implicit-def: $sgpr12_sgpr13
	s_cbranch_scc1 .LBB76_3
; %bb.2:
	s_load_dword s12, s[4:5], 0x20
	s_load_dwordx2 s[18:19], s[4:5], 0x18
	s_mul_i32 s13, s8, s7
	s_mul_hi_u32 s20, s8, s6
	s_add_i32 s20, s20, s13
	s_mul_i32 s9, s9, s6
	s_add_i32 s9, s20, s9
	s_mul_i32 s8, s8, s6
	s_waitcnt lgkmcnt(0)
	s_ashr_i32 s13, s12, 31
	s_lshl_b64 s[8:9], s[8:9], 2
	s_add_u32 s18, s18, s8
	s_addc_u32 s19, s19, s9
	s_lshl_b64 s[8:9], s[12:13], 2
	s_add_u32 s12, s18, s8
	s_addc_u32 s13, s19, s9
.LBB76_3:
	s_load_dwordx2 s[8:9], s[4:5], 0x8
	s_load_dword s18, s[4:5], 0x38
	v_lshlrev_b32_e32 v29, 3, v0
	s_waitcnt lgkmcnt(0)
	s_ashr_i32 s5, s8, 31
	s_mov_b32 s4, s8
	s_lshl_b64 s[4:5], s[4:5], 3
	s_add_u32 s8, s16, s4
	s_addc_u32 s16, s17, s5
	v_mov_b32_e32 v2, s16
	v_add_co_u32_e32 v1, vcc, s8, v29
	v_addc_co_u32_e32 v2, vcc, 0, v2, vcc
	flat_load_dwordx2 v[5:6], v[1:2]
	s_mov_b32 s4, s9
	s_ashr_i32 s5, s9, 31
	s_lshl_b64 s[4:5], s[4:5], 3
	v_mov_b32_e32 v4, s5
	v_add_co_u32_e32 v3, vcc, s4, v1
	v_addc_co_u32_e32 v4, vcc, v2, v4, vcc
	s_add_i32 s4, s9, s9
	v_add_u32_e32 v9, s4, v0
	v_ashrrev_i32_e32 v10, 31, v9
	v_mov_b32_e32 v11, s16
	v_add_u32_e32 v12, s9, v9
	v_ashrrev_i32_e32 v13, 31, v12
	v_mov_b32_e32 v14, s16
	v_mov_b32_e32 v15, s16
	;; [unrolled: 1-line block ×9, first 2 shown]
	s_bitcmp0_b32 s18, 0
	s_waitcnt vmcnt(0) lgkmcnt(0)
	buffer_store_dword v6, off, s[0:3], 0 offset:4
	buffer_store_dword v5, off, s[0:3], 0
	flat_load_dwordx2 v[7:8], v[3:4]
	v_lshlrev_b64 v[5:6], 3, v[9:10]
	s_waitcnt vmcnt(0) lgkmcnt(0)
	buffer_store_dword v8, off, s[0:3], 0 offset:12
	buffer_store_dword v7, off, s[0:3], 0 offset:8
	v_add_co_u32_e32 v5, vcc, s8, v5
	v_addc_co_u32_e32 v6, vcc, v11, v6, vcc
	flat_load_dwordx2 v[10:11], v[5:6]
	v_lshlrev_b64 v[7:8], 3, v[12:13]
	s_waitcnt vmcnt(0) lgkmcnt(0)
	buffer_store_dword v11, off, s[0:3], 0 offset:20
	buffer_store_dword v10, off, s[0:3], 0 offset:16
	v_add_co_u32_e32 v7, vcc, s8, v7
	v_addc_co_u32_e32 v8, vcc, v14, v8, vcc
	flat_load_dwordx2 v[13:14], v[7:8]
	v_add_u32_e32 v11, s9, v12
	v_ashrrev_i32_e32 v12, 31, v11
	v_lshlrev_b64 v[9:10], 3, v[11:12]
	s_waitcnt vmcnt(0) lgkmcnt(0)
	buffer_store_dword v14, off, s[0:3], 0 offset:28
	buffer_store_dword v13, off, s[0:3], 0 offset:24
	v_add_co_u32_e32 v9, vcc, s8, v9
	v_addc_co_u32_e32 v10, vcc, v15, v10, vcc
	flat_load_dwordx2 v[13:14], v[9:10]
	v_add_u32_e32 v15, s9, v11
	v_ashrrev_i32_e32 v16, 31, v15
	v_lshlrev_b64 v[11:12], 3, v[15:16]
	v_add_u32_e32 v18, s9, v15
	v_add_co_u32_e32 v11, vcc, s8, v11
	v_addc_co_u32_e32 v12, vcc, v17, v12, vcc
	v_ashrrev_i32_e32 v19, 31, v18
	s_waitcnt vmcnt(0) lgkmcnt(0)
	buffer_store_dword v14, off, s[0:3], 0 offset:36
	buffer_store_dword v13, off, s[0:3], 0 offset:32
	flat_load_dwordx2 v[16:17], v[11:12]
	v_lshlrev_b64 v[13:14], 3, v[18:19]
	s_waitcnt vmcnt(0) lgkmcnt(0)
	buffer_store_dword v17, off, s[0:3], 0 offset:44
	buffer_store_dword v16, off, s[0:3], 0 offset:40
	v_add_co_u32_e32 v13, vcc, s8, v13
	v_addc_co_u32_e32 v14, vcc, v20, v14, vcc
	flat_load_dwordx2 v[19:20], v[13:14]
	v_add_u32_e32 v17, s9, v18
	v_ashrrev_i32_e32 v18, 31, v17
	v_lshlrev_b64 v[15:16], 3, v[17:18]
	s_waitcnt vmcnt(0) lgkmcnt(0)
	buffer_store_dword v20, off, s[0:3], 0 offset:52
	buffer_store_dword v19, off, s[0:3], 0 offset:48
	v_add_co_u32_e32 v15, vcc, s8, v15
	v_addc_co_u32_e32 v16, vcc, v21, v16, vcc
	flat_load_dwordx2 v[19:20], v[15:16]
	v_add_u32_e32 v21, s9, v17
	v_ashrrev_i32_e32 v22, 31, v21
	v_lshlrev_b64 v[17:18], 3, v[21:22]
	v_add_u32_e32 v24, s9, v21
	v_add_co_u32_e32 v17, vcc, s8, v17
	v_addc_co_u32_e32 v18, vcc, v23, v18, vcc
	v_ashrrev_i32_e32 v25, 31, v24
	s_waitcnt vmcnt(0) lgkmcnt(0)
	buffer_store_dword v20, off, s[0:3], 0 offset:60
	buffer_store_dword v19, off, s[0:3], 0 offset:56
	flat_load_dwordx2 v[22:23], v[17:18]
	v_lshlrev_b64 v[19:20], 3, v[24:25]
	s_waitcnt vmcnt(0) lgkmcnt(0)
	buffer_store_dword v23, off, s[0:3], 0 offset:68
	buffer_store_dword v22, off, s[0:3], 0 offset:64
	v_add_co_u32_e32 v19, vcc, s8, v19
	v_addc_co_u32_e32 v20, vcc, v26, v20, vcc
	flat_load_dwordx2 v[25:26], v[19:20]
	v_add_u32_e32 v23, s9, v24
	v_ashrrev_i32_e32 v24, 31, v23
	v_lshlrev_b64 v[21:22], 3, v[23:24]
	s_waitcnt vmcnt(0) lgkmcnt(0)
	buffer_store_dword v26, off, s[0:3], 0 offset:76
	buffer_store_dword v25, off, s[0:3], 0 offset:72
	v_add_co_u32_e32 v21, vcc, s8, v21
	v_addc_co_u32_e32 v22, vcc, v27, v22, vcc
	flat_load_dwordx2 v[25:26], v[21:22]
	v_add_u32_e32 v27, s9, v23
	v_ashrrev_i32_e32 v28, 31, v27
	v_lshlrev_b64 v[23:24], 3, v[27:28]
	v_mov_b32_e32 v28, s16
	v_add_co_u32_e32 v23, vcc, s8, v23
	v_addc_co_u32_e32 v24, vcc, v30, v24, vcc
	s_waitcnt vmcnt(0) lgkmcnt(0)
	buffer_store_dword v26, off, s[0:3], 0 offset:84
	buffer_store_dword v25, off, s[0:3], 0 offset:80
	flat_load_dwordx2 v[30:31], v[23:24]
	v_add_u32_e32 v25, s9, v27
	v_ashrrev_i32_e32 v26, 31, v25
	v_lshlrev_b64 v[25:26], 3, v[25:26]
	s_waitcnt vmcnt(0) lgkmcnt(0)
	buffer_store_dword v31, off, s[0:3], 0 offset:92
	buffer_store_dword v30, off, s[0:3], 0 offset:88
	v_add_co_u32_e32 v25, vcc, s8, v25
	v_addc_co_u32_e32 v26, vcc, v28, v26, vcc
	flat_load_dwordx2 v[27:28], v[25:26]
	s_mov_b64 s[8:9], -1
	s_waitcnt vmcnt(0) lgkmcnt(0)
	buffer_store_dword v28, off, s[0:3], 0 offset:100
	buffer_store_dword v27, off, s[0:3], 0 offset:96
	s_cbranch_scc1 .LBB76_64
; %bb.4:
	v_cmp_eq_u32_e64 s[4:5], 0, v0
	s_and_saveexec_b64 s[8:9], s[4:5]
; %bb.5:
	v_mov_b32_e32 v27, 0
	ds_write_b32 v27, v27 offset:104
; %bb.6:
	s_or_b64 exec, exec, s[8:9]
	v_mov_b32_e32 v27, 0
	v_lshl_add_u32 v31, v0, 3, v27
	s_waitcnt lgkmcnt(0)
	; wave barrier
	buffer_load_dword v27, v31, s[0:3], 0 offen
	buffer_load_dword v28, v31, s[0:3], 0 offen offset:4
	s_waitcnt vmcnt(1)
	v_cmp_eq_f32_e32 vcc, 0, v27
	s_waitcnt vmcnt(0)
	v_cmp_eq_f32_e64 s[8:9], 0, v28
	s_and_b64 s[8:9], vcc, s[8:9]
	s_and_saveexec_b64 s[16:17], s[8:9]
	s_cbranch_execz .LBB76_10
; %bb.7:
	v_mov_b32_e32 v27, 0
	ds_read_b32 v30, v27 offset:104
	v_add_u32_e32 v28, 1, v0
	s_waitcnt lgkmcnt(0)
	v_readfirstlane_b32 s8, v30
	s_cmp_eq_u32 s8, 0
	s_cselect_b64 s[18:19], -1, 0
	v_cmp_gt_i32_e32 vcc, s8, v28
	s_or_b64 s[18:19], s[18:19], vcc
	s_and_b64 exec, exec, s[18:19]
	s_cbranch_execz .LBB76_10
; %bb.8:
	s_mov_b64 s[18:19], 0
	v_mov_b32_e32 v30, s8
.LBB76_9:                               ; =>This Inner Loop Header: Depth=1
	ds_cmpst_rtn_b32 v30, v27, v30, v28 offset:104
	s_waitcnt lgkmcnt(0)
	v_cmp_ne_u32_e32 vcc, 0, v30
	v_cmp_le_i32_e64 s[8:9], v30, v28
	s_and_b64 s[8:9], vcc, s[8:9]
	s_and_b64 s[8:9], exec, s[8:9]
	s_or_b64 s[18:19], s[8:9], s[18:19]
	s_andn2_b64 exec, exec, s[18:19]
	s_cbranch_execnz .LBB76_9
.LBB76_10:
	s_or_b64 exec, exec, s[16:17]
	v_mov_b32_e32 v28, 0
	; wave barrier
	ds_read_b32 v27, v28 offset:104
	s_and_saveexec_b64 s[8:9], s[4:5]
	s_cbranch_execz .LBB76_12
; %bb.11:
	s_lshl_b64 s[16:17], s[6:7], 2
	s_add_u32 s16, s10, s16
	s_addc_u32 s17, s11, s17
	s_waitcnt lgkmcnt(0)
	global_store_dword v28, v27, s[16:17]
.LBB76_12:
	s_or_b64 exec, exec, s[8:9]
	s_waitcnt lgkmcnt(0)
	v_cmp_ne_u32_e32 vcc, 0, v27
	s_mov_b64 s[8:9], 0
	s_cbranch_vccnz .LBB76_64
; %bb.13:
	buffer_load_dword v28, v31, s[0:3], 0 offen
	buffer_load_dword v30, v31, s[0:3], 0 offen offset:4
                                        ; implicit-def: $vgpr33
                                        ; implicit-def: $vgpr32
                                        ; implicit-def: $vgpr27
	s_waitcnt vmcnt(0)
	v_cmp_ngt_f32_e64 s[8:9], |v28|, |v30|
	s_and_saveexec_b64 s[16:17], s[8:9]
	s_xor_b64 s[8:9], exec, s[16:17]
	s_cbranch_execz .LBB76_15
; %bb.14:
	v_div_scale_f32 v27, s[16:17], v30, v30, v28
	v_div_scale_f32 v32, vcc, v28, v30, v28
	v_rcp_f32_e32 v33, v27
	v_fma_f32 v34, -v27, v33, 1.0
	v_fmac_f32_e32 v33, v34, v33
	v_mul_f32_e32 v34, v32, v33
	v_fma_f32 v35, -v27, v34, v32
	v_fmac_f32_e32 v34, v35, v33
	v_fma_f32 v27, -v27, v34, v32
	v_div_fmas_f32 v27, v27, v33, v34
	v_div_fixup_f32 v27, v27, v30, v28
	v_fmac_f32_e32 v30, v28, v27
	v_div_scale_f32 v28, s[16:17], v30, v30, 1.0
	v_div_scale_f32 v32, vcc, 1.0, v30, 1.0
	v_rcp_f32_e32 v33, v28
	v_fma_f32 v34, -v28, v33, 1.0
	v_fmac_f32_e32 v33, v34, v33
	v_mul_f32_e32 v34, v32, v33
	v_fma_f32 v35, -v28, v34, v32
	v_fmac_f32_e32 v34, v35, v33
	v_fma_f32 v28, -v28, v34, v32
	v_div_fmas_f32 v28, v28, v33, v34
	v_div_fixup_f32 v28, v28, v30, 1.0
	v_mul_f32_e32 v33, v27, v28
	v_xor_b32_e32 v32, 0x80000000, v28
	v_xor_b32_e32 v27, 0x80000000, v33
                                        ; implicit-def: $vgpr28
                                        ; implicit-def: $vgpr30
.LBB76_15:
	s_andn2_saveexec_b64 s[8:9], s[8:9]
	s_cbranch_execz .LBB76_17
; %bb.16:
	v_div_scale_f32 v27, s[16:17], v28, v28, v30
	v_div_scale_f32 v32, vcc, v30, v28, v30
	v_rcp_f32_e32 v33, v27
	v_fma_f32 v34, -v27, v33, 1.0
	v_fmac_f32_e32 v33, v34, v33
	v_mul_f32_e32 v34, v32, v33
	v_fma_f32 v35, -v27, v34, v32
	v_fmac_f32_e32 v34, v35, v33
	v_fma_f32 v27, -v27, v34, v32
	v_div_fmas_f32 v27, v27, v33, v34
	v_div_fixup_f32 v32, v27, v28, v30
	v_fmac_f32_e32 v28, v30, v32
	v_div_scale_f32 v27, s[16:17], v28, v28, 1.0
	v_div_scale_f32 v30, vcc, 1.0, v28, 1.0
	v_rcp_f32_e32 v33, v27
	v_fma_f32 v34, -v27, v33, 1.0
	v_fmac_f32_e32 v33, v34, v33
	v_mul_f32_e32 v34, v30, v33
	v_fma_f32 v35, -v27, v34, v30
	v_fmac_f32_e32 v34, v35, v33
	v_fma_f32 v27, -v27, v34, v30
	v_div_fmas_f32 v27, v27, v33, v34
	v_div_fixup_f32 v33, v27, v28, 1.0
	v_xor_b32_e32 v27, 0x80000000, v33
	v_mul_f32_e64 v32, v32, -v33
.LBB76_17:
	s_or_b64 exec, exec, s[8:9]
	buffer_store_dword v33, v31, s[0:3], 0 offen
	buffer_store_dword v32, v31, s[0:3], 0 offen offset:4
	buffer_load_dword v34, off, s[0:3], 0 offset:12
	s_nop 0
	buffer_load_dword v33, off, s[0:3], 0 offset:8
	v_xor_b32_e32 v28, 0x80000000, v32
	v_add_u32_e32 v30, 0x70, v29
	s_waitcnt vmcnt(0)
	ds_write2_b64 v29, v[27:28], v[33:34] offset1:14
	s_waitcnt lgkmcnt(0)
	; wave barrier
	s_and_saveexec_b64 s[8:9], s[4:5]
	s_cbranch_execz .LBB76_19
; %bb.18:
	buffer_load_dword v34, v31, s[0:3], 0 offen offset:4
	buffer_load_dword v35, v31, s[0:3], 0 offen
	ds_read_b64 v[27:28], v30
	v_mov_b32_e32 v32, 0
	ds_read_b64 v[32:33], v32 offset:8
	s_waitcnt vmcnt(1) lgkmcnt(1)
	v_mul_f32_e32 v36, v28, v34
	v_mul_f32_e32 v34, v27, v34
	s_waitcnt vmcnt(0)
	v_fmac_f32_e32 v34, v28, v35
	v_fma_f32 v27, v27, v35, -v36
	v_add_f32_e32 v28, 0, v34
	v_add_f32_e32 v27, 0, v27
	s_waitcnt lgkmcnt(0)
	v_mul_f32_e32 v34, v28, v33
	v_mul_f32_e32 v33, v27, v33
	v_fma_f32 v27, v27, v32, -v34
	v_fmac_f32_e32 v33, v28, v32
	buffer_store_dword v27, off, s[0:3], 0 offset:8
	buffer_store_dword v33, off, s[0:3], 0 offset:12
.LBB76_19:
	s_or_b64 exec, exec, s[8:9]
	; wave barrier
	buffer_load_dword v27, off, s[0:3], 0 offset:16
	buffer_load_dword v28, off, s[0:3], 0 offset:20
	v_cmp_gt_u32_e32 vcc, 2, v0
	s_waitcnt vmcnt(0)
	ds_write_b64 v30, v[27:28]
	s_waitcnt lgkmcnt(0)
	; wave barrier
	s_and_saveexec_b64 s[8:9], vcc
	s_cbranch_execz .LBB76_23
; %bb.20:
	buffer_load_dword v32, v31, s[0:3], 0 offen offset:4
	buffer_load_dword v33, v31, s[0:3], 0 offen
	ds_read_b64 v[27:28], v30
	s_waitcnt vmcnt(1) lgkmcnt(0)
	v_mul_f32_e32 v31, v28, v32
	v_mul_f32_e32 v32, v27, v32
	s_waitcnt vmcnt(0)
	v_fma_f32 v27, v27, v33, -v31
	v_fmac_f32_e32 v32, v28, v33
	v_add_f32_e32 v28, 0, v27
	v_add_f32_e32 v27, 0, v32
	s_and_saveexec_b64 s[16:17], s[4:5]
	s_cbranch_execz .LBB76_22
; %bb.21:
	buffer_load_dword v33, off, s[0:3], 0 offset:12
	buffer_load_dword v34, off, s[0:3], 0 offset:8
	v_mov_b32_e32 v31, 0
	ds_read_b64 v[31:32], v31 offset:120
	s_waitcnt vmcnt(1) lgkmcnt(0)
	v_mul_f32_e32 v35, v31, v33
	v_mul_f32_e32 v33, v32, v33
	s_waitcnt vmcnt(0)
	v_fmac_f32_e32 v35, v32, v34
	v_fma_f32 v31, v31, v34, -v33
	v_add_f32_e32 v27, v27, v35
	v_add_f32_e32 v28, v28, v31
.LBB76_22:
	s_or_b64 exec, exec, s[16:17]
	v_mov_b32_e32 v31, 0
	ds_read_b64 v[31:32], v31 offset:16
	s_waitcnt lgkmcnt(0)
	v_mul_f32_e32 v33, v27, v32
	v_mul_f32_e32 v32, v28, v32
	v_fma_f32 v28, v28, v31, -v33
	v_fmac_f32_e32 v32, v27, v31
	buffer_store_dword v28, off, s[0:3], 0 offset:16
	buffer_store_dword v32, off, s[0:3], 0 offset:20
.LBB76_23:
	s_or_b64 exec, exec, s[8:9]
	; wave barrier
	buffer_load_dword v27, off, s[0:3], 0 offset:24
	buffer_load_dword v28, off, s[0:3], 0 offset:28
	v_cmp_gt_u32_e32 vcc, 3, v0
	s_waitcnt vmcnt(0)
	ds_write_b64 v30, v[27:28]
	v_add_u32_e32 v27, -1, v0
	s_waitcnt lgkmcnt(0)
	; wave barrier
	s_and_saveexec_b64 s[4:5], vcc
	s_cbranch_execz .LBB76_27
; %bb.24:
	v_add_u32_e32 v31, -1, v0
	v_add_u32_e32 v32, 0x70, v29
	v_mov_b32_e32 v33, v29
	v_mov_b32_e32 v28, 0
	s_mov_b64 s[8:9], 0
	v_mov_b32_e32 v34, 0
.LBB76_25:                              ; =>This Inner Loop Header: Depth=1
	buffer_load_dword v37, v33, s[0:3], 0 offen offset:4
	buffer_load_dword v38, v33, s[0:3], 0 offen
	ds_read_b64 v[35:36], v32
	v_add_u32_e32 v31, 1, v31
	v_cmp_lt_u32_e32 vcc, 1, v31
	v_add_u32_e32 v32, 8, v32
	v_add_u32_e32 v33, 8, v33
	s_or_b64 s[8:9], vcc, s[8:9]
	s_waitcnt vmcnt(1) lgkmcnt(0)
	v_mul_f32_e32 v39, v36, v37
	v_mul_f32_e32 v37, v35, v37
	s_waitcnt vmcnt(0)
	v_fma_f32 v35, v35, v38, -v39
	v_fmac_f32_e32 v37, v36, v38
	v_add_f32_e32 v34, v34, v35
	v_add_f32_e32 v28, v28, v37
	s_andn2_b64 exec, exec, s[8:9]
	s_cbranch_execnz .LBB76_25
; %bb.26:
	s_or_b64 exec, exec, s[8:9]
	v_mov_b32_e32 v31, 0
	ds_read_b64 v[31:32], v31 offset:24
	s_waitcnt lgkmcnt(0)
	v_mul_f32_e32 v33, v28, v32
	v_mul_f32_e32 v32, v34, v32
	v_fma_f32 v33, v34, v31, -v33
	v_fmac_f32_e32 v32, v28, v31
	buffer_store_dword v33, off, s[0:3], 0 offset:24
	buffer_store_dword v32, off, s[0:3], 0 offset:28
.LBB76_27:
	s_or_b64 exec, exec, s[4:5]
	; wave barrier
	buffer_load_dword v31, off, s[0:3], 0 offset:32
	buffer_load_dword v32, off, s[0:3], 0 offset:36
	v_cmp_gt_u32_e32 vcc, 4, v0
	s_waitcnt vmcnt(0)
	ds_write_b64 v30, v[31:32]
	s_waitcnt lgkmcnt(0)
	; wave barrier
	s_and_saveexec_b64 s[4:5], vcc
	s_cbranch_execz .LBB76_31
; %bb.28:
	v_add_u32_e32 v31, -1, v0
	v_add_u32_e32 v32, 0x70, v29
	v_mov_b32_e32 v33, v29
	v_mov_b32_e32 v28, 0
	s_mov_b64 s[8:9], 0
	v_mov_b32_e32 v34, 0
.LBB76_29:                              ; =>This Inner Loop Header: Depth=1
	buffer_load_dword v37, v33, s[0:3], 0 offen offset:4
	buffer_load_dword v38, v33, s[0:3], 0 offen
	ds_read_b64 v[35:36], v32
	v_add_u32_e32 v31, 1, v31
	v_cmp_lt_u32_e32 vcc, 2, v31
	v_add_u32_e32 v32, 8, v32
	v_add_u32_e32 v33, 8, v33
	s_or_b64 s[8:9], vcc, s[8:9]
	s_waitcnt vmcnt(1) lgkmcnt(0)
	v_mul_f32_e32 v39, v36, v37
	v_mul_f32_e32 v37, v35, v37
	s_waitcnt vmcnt(0)
	v_fma_f32 v35, v35, v38, -v39
	v_fmac_f32_e32 v37, v36, v38
	v_add_f32_e32 v34, v34, v35
	v_add_f32_e32 v28, v28, v37
	s_andn2_b64 exec, exec, s[8:9]
	s_cbranch_execnz .LBB76_29
; %bb.30:
	s_or_b64 exec, exec, s[8:9]
	v_mov_b32_e32 v31, 0
	ds_read_b64 v[31:32], v31 offset:32
	s_waitcnt lgkmcnt(0)
	v_mul_f32_e32 v33, v28, v32
	v_mul_f32_e32 v32, v34, v32
	v_fma_f32 v33, v34, v31, -v33
	v_fmac_f32_e32 v32, v28, v31
	buffer_store_dword v33, off, s[0:3], 0 offset:32
	buffer_store_dword v32, off, s[0:3], 0 offset:36
.LBB76_31:
	s_or_b64 exec, exec, s[4:5]
	; wave barrier
	buffer_load_dword v31, off, s[0:3], 0 offset:40
	buffer_load_dword v32, off, s[0:3], 0 offset:44
	v_cmp_gt_u32_e32 vcc, 5, v0
	s_waitcnt vmcnt(0)
	ds_write_b64 v30, v[31:32]
	;; [unrolled: 49-line block ×8, first 2 shown]
	s_waitcnt lgkmcnt(0)
	; wave barrier
	s_and_saveexec_b64 s[4:5], vcc
	s_cbranch_execz .LBB76_59
; %bb.56:
	v_add_u32_e32 v31, -1, v0
	v_add_u32_e32 v32, 0x70, v29
	v_mov_b32_e32 v33, v29
	v_mov_b32_e32 v28, 0
	s_mov_b64 s[8:9], 0
	v_mov_b32_e32 v34, 0
.LBB76_57:                              ; =>This Inner Loop Header: Depth=1
	buffer_load_dword v37, v33, s[0:3], 0 offen offset:4
	buffer_load_dword v38, v33, s[0:3], 0 offen
	ds_read_b64 v[35:36], v32
	v_add_u32_e32 v31, 1, v31
	v_cmp_lt_u32_e32 vcc, 9, v31
	v_add_u32_e32 v32, 8, v32
	v_add_u32_e32 v33, 8, v33
	s_or_b64 s[8:9], vcc, s[8:9]
	s_waitcnt vmcnt(1) lgkmcnt(0)
	v_mul_f32_e32 v39, v36, v37
	v_mul_f32_e32 v37, v35, v37
	s_waitcnt vmcnt(0)
	v_fma_f32 v35, v35, v38, -v39
	v_fmac_f32_e32 v37, v36, v38
	v_add_f32_e32 v34, v34, v35
	v_add_f32_e32 v28, v28, v37
	s_andn2_b64 exec, exec, s[8:9]
	s_cbranch_execnz .LBB76_57
; %bb.58:
	s_or_b64 exec, exec, s[8:9]
	v_mov_b32_e32 v31, 0
	ds_read_b64 v[31:32], v31 offset:88
	s_waitcnt lgkmcnt(0)
	v_mul_f32_e32 v33, v28, v32
	v_mul_f32_e32 v32, v34, v32
	v_fma_f32 v33, v34, v31, -v33
	v_fmac_f32_e32 v32, v28, v31
	buffer_store_dword v33, off, s[0:3], 0 offset:88
	buffer_store_dword v32, off, s[0:3], 0 offset:92
.LBB76_59:
	s_or_b64 exec, exec, s[4:5]
	; wave barrier
	buffer_load_dword v31, off, s[0:3], 0 offset:96
	buffer_load_dword v32, off, s[0:3], 0 offset:100
	v_cmp_ne_u32_e32 vcc, 12, v0
	s_waitcnt vmcnt(0)
	ds_write_b64 v30, v[31:32]
	s_waitcnt lgkmcnt(0)
	; wave barrier
	s_and_saveexec_b64 s[4:5], vcc
	s_cbranch_execz .LBB76_63
; %bb.60:
	v_add_u32_e32 v30, 0x70, v29
	v_mov_b32_e32 v28, 0
	s_mov_b64 s[8:9], 0
	v_mov_b32_e32 v31, 0
.LBB76_61:                              ; =>This Inner Loop Header: Depth=1
	buffer_load_dword v34, v29, s[0:3], 0 offen offset:4
	buffer_load_dword v35, v29, s[0:3], 0 offen
	ds_read_b64 v[32:33], v30
	v_add_u32_e32 v27, 1, v27
	v_cmp_lt_u32_e32 vcc, 10, v27
	v_add_u32_e32 v30, 8, v30
	v_add_u32_e32 v29, 8, v29
	s_or_b64 s[8:9], vcc, s[8:9]
	s_waitcnt vmcnt(1) lgkmcnt(0)
	v_mul_f32_e32 v36, v33, v34
	v_mul_f32_e32 v34, v32, v34
	s_waitcnt vmcnt(0)
	v_fma_f32 v32, v32, v35, -v36
	v_fmac_f32_e32 v34, v33, v35
	v_add_f32_e32 v31, v31, v32
	v_add_f32_e32 v28, v28, v34
	s_andn2_b64 exec, exec, s[8:9]
	s_cbranch_execnz .LBB76_61
; %bb.62:
	s_or_b64 exec, exec, s[8:9]
	v_mov_b32_e32 v27, 0
	ds_read_b64 v[29:30], v27 offset:96
	s_waitcnt lgkmcnt(0)
	v_mul_f32_e32 v27, v28, v30
	v_mul_f32_e32 v30, v31, v30
	v_fma_f32 v27, v31, v29, -v27
	v_fmac_f32_e32 v30, v28, v29
	buffer_store_dword v27, off, s[0:3], 0 offset:96
	buffer_store_dword v30, off, s[0:3], 0 offset:100
.LBB76_63:
	s_or_b64 exec, exec, s[4:5]
	s_mov_b64 s[8:9], -1
	; wave barrier
.LBB76_64:
	s_and_b64 vcc, exec, s[8:9]
	s_cbranch_vccz .LBB76_66
; %bb.65:
	s_lshl_b64 s[4:5], s[6:7], 2
	s_add_u32 s4, s10, s4
	s_addc_u32 s5, s11, s5
	v_mov_b32_e32 v27, 0
	global_load_dword v27, v27, s[4:5]
	s_waitcnt vmcnt(0)
	v_cmp_ne_u32_e32 vcc, 0, v27
	s_cbranch_vccz .LBB76_67
.LBB76_66:
	s_endpgm
.LBB76_67:
	v_mov_b32_e32 v27, 0x70
	v_lshl_add_u32 v27, v0, 3, v27
	v_cmp_eq_u32_e32 vcc, 12, v0
	s_and_saveexec_b64 s[4:5], vcc
	s_cbranch_execz .LBB76_69
; %bb.68:
	buffer_load_dword v28, off, s[0:3], 0 offset:88
	buffer_load_dword v29, off, s[0:3], 0 offset:92
	v_mov_b32_e32 v30, 0
	buffer_store_dword v30, off, s[0:3], 0 offset:88
	buffer_store_dword v30, off, s[0:3], 0 offset:92
	s_waitcnt vmcnt(2)
	ds_write_b64 v27, v[28:29]
.LBB76_69:
	s_or_b64 exec, exec, s[4:5]
	s_waitcnt lgkmcnt(0)
	; wave barrier
	buffer_load_dword v31, off, s[0:3], 0 offset:100
	buffer_load_dword v32, off, s[0:3], 0 offset:96
	buffer_load_dword v33, off, s[0:3], 0 offset:88
	buffer_load_dword v34, off, s[0:3], 0 offset:92
	v_mov_b32_e32 v28, 0
	ds_read_b64 v[29:30], v28 offset:208
	v_cmp_lt_u32_e32 vcc, 10, v0
	s_waitcnt vmcnt(3) lgkmcnt(0)
	v_mul_f32_e32 v35, v29, v31
	v_mul_f32_e32 v31, v30, v31
	s_waitcnt vmcnt(2)
	v_fma_f32 v29, v29, v32, -v31
	v_fmac_f32_e32 v35, v30, v32
	v_add_f32_e32 v29, 0, v29
	v_add_f32_e32 v30, 0, v35
	s_waitcnt vmcnt(1)
	v_sub_f32_e32 v29, v33, v29
	s_waitcnt vmcnt(0)
	v_sub_f32_e32 v30, v34, v30
	buffer_store_dword v29, off, s[0:3], 0 offset:88
	buffer_store_dword v30, off, s[0:3], 0 offset:92
	s_and_saveexec_b64 s[4:5], vcc
	s_cbranch_execz .LBB76_71
; %bb.70:
	buffer_load_dword v29, off, s[0:3], 0 offset:80
	buffer_load_dword v30, off, s[0:3], 0 offset:84
	s_waitcnt vmcnt(0)
	ds_write_b64 v27, v[29:30]
	buffer_store_dword v28, off, s[0:3], 0 offset:80
	buffer_store_dword v28, off, s[0:3], 0 offset:84
.LBB76_71:
	s_or_b64 exec, exec, s[4:5]
	s_waitcnt lgkmcnt(0)
	; wave barrier
	buffer_load_dword v32, off, s[0:3], 0 offset:92
	buffer_load_dword v33, off, s[0:3], 0 offset:100
	buffer_load_dword v34, off, s[0:3], 0 offset:88
	buffer_load_dword v35, off, s[0:3], 0 offset:96
	buffer_load_dword v36, off, s[0:3], 0 offset:80
	buffer_load_dword v37, off, s[0:3], 0 offset:84
	ds_read2_b64 v[28:31], v28 offset0:25 offset1:26
	v_cmp_lt_u32_e32 vcc, 9, v0
	s_waitcnt vmcnt(5) lgkmcnt(0)
	v_mul_f32_e32 v38, v28, v32
	v_mul_f32_e32 v32, v29, v32
	s_waitcnt vmcnt(4)
	v_mul_f32_e32 v39, v30, v33
	v_mul_f32_e32 v33, v31, v33
	s_waitcnt vmcnt(3)
	v_fma_f32 v28, v28, v34, -v32
	v_fmac_f32_e32 v38, v29, v34
	s_waitcnt vmcnt(2)
	v_fma_f32 v29, v30, v35, -v33
	v_add_f32_e32 v28, 0, v28
	v_fmac_f32_e32 v39, v31, v35
	v_add_f32_e32 v30, 0, v38
	v_add_f32_e32 v28, v28, v29
	;; [unrolled: 1-line block ×3, first 2 shown]
	s_waitcnt vmcnt(1)
	v_sub_f32_e32 v28, v36, v28
	s_waitcnt vmcnt(0)
	v_sub_f32_e32 v29, v37, v30
	buffer_store_dword v28, off, s[0:3], 0 offset:80
	buffer_store_dword v29, off, s[0:3], 0 offset:84
	s_and_saveexec_b64 s[4:5], vcc
	s_cbranch_execz .LBB76_73
; %bb.72:
	buffer_load_dword v28, off, s[0:3], 0 offset:72
	buffer_load_dword v29, off, s[0:3], 0 offset:76
	v_mov_b32_e32 v30, 0
	buffer_store_dword v30, off, s[0:3], 0 offset:72
	buffer_store_dword v30, off, s[0:3], 0 offset:76
	s_waitcnt vmcnt(2)
	ds_write_b64 v27, v[28:29]
.LBB76_73:
	s_or_b64 exec, exec, s[4:5]
	s_waitcnt lgkmcnt(0)
	; wave barrier
	buffer_load_dword v35, off, s[0:3], 0 offset:84
	buffer_load_dword v36, off, s[0:3], 0 offset:92
	;; [unrolled: 1-line block ×8, first 2 shown]
	v_mov_b32_e32 v28, 0
	ds_read_b128 v[29:32], v28 offset:192
	ds_read_b64 v[33:34], v28 offset:208
	v_cmp_lt_u32_e32 vcc, 8, v0
	s_waitcnt vmcnt(7) lgkmcnt(1)
	v_mul_f32_e32 v43, v29, v35
	v_mul_f32_e32 v35, v30, v35
	s_waitcnt vmcnt(6)
	v_mul_f32_e32 v44, v31, v36
	v_mul_f32_e32 v36, v32, v36
	s_waitcnt vmcnt(4)
	v_fma_f32 v29, v29, v38, -v35
	s_waitcnt lgkmcnt(0)
	v_mul_f32_e32 v45, v33, v37
	v_mul_f32_e32 v37, v34, v37
	v_fmac_f32_e32 v43, v30, v38
	s_waitcnt vmcnt(3)
	v_fma_f32 v30, v31, v39, -v36
	v_add_f32_e32 v29, 0, v29
	v_fmac_f32_e32 v44, v32, v39
	s_waitcnt vmcnt(2)
	v_fma_f32 v31, v33, v40, -v37
	v_add_f32_e32 v32, 0, v43
	v_add_f32_e32 v29, v29, v30
	v_fmac_f32_e32 v45, v34, v40
	v_add_f32_e32 v32, v32, v44
	v_add_f32_e32 v29, v29, v31
	v_add_f32_e32 v30, v32, v45
	s_waitcnt vmcnt(1)
	v_sub_f32_e32 v29, v41, v29
	s_waitcnt vmcnt(0)
	v_sub_f32_e32 v30, v42, v30
	buffer_store_dword v29, off, s[0:3], 0 offset:72
	buffer_store_dword v30, off, s[0:3], 0 offset:76
	s_and_saveexec_b64 s[4:5], vcc
	s_cbranch_execz .LBB76_75
; %bb.74:
	buffer_load_dword v29, off, s[0:3], 0 offset:64
	buffer_load_dword v30, off, s[0:3], 0 offset:68
	s_waitcnt vmcnt(0)
	ds_write_b64 v27, v[29:30]
	buffer_store_dword v28, off, s[0:3], 0 offset:64
	buffer_store_dword v28, off, s[0:3], 0 offset:68
.LBB76_75:
	s_or_b64 exec, exec, s[4:5]
	s_waitcnt lgkmcnt(0)
	; wave barrier
	buffer_load_dword v37, off, s[0:3], 0 offset:76
	buffer_load_dword v38, off, s[0:3], 0 offset:84
	;; [unrolled: 1-line block ×10, first 2 shown]
	ds_read2_b64 v[29:32], v28 offset0:23 offset1:24
	ds_read2_b64 v[33:36], v28 offset0:25 offset1:26
	v_cmp_lt_u32_e32 vcc, 7, v0
	s_waitcnt vmcnt(9) lgkmcnt(1)
	v_mul_f32_e32 v28, v29, v37
	v_mul_f32_e32 v37, v30, v37
	s_waitcnt vmcnt(8)
	v_mul_f32_e32 v47, v31, v38
	v_mul_f32_e32 v38, v32, v38
	s_waitcnt vmcnt(5)
	v_fma_f32 v29, v29, v41, -v37
	s_waitcnt lgkmcnt(0)
	v_mul_f32_e32 v48, v33, v39
	v_mul_f32_e32 v39, v34, v39
	v_fmac_f32_e32 v28, v30, v41
	s_waitcnt vmcnt(4)
	v_fma_f32 v30, v31, v42, -v38
	v_add_f32_e32 v29, 0, v29
	v_mul_f32_e32 v49, v35, v40
	v_mul_f32_e32 v40, v36, v40
	v_fmac_f32_e32 v47, v32, v42
	s_waitcnt vmcnt(3)
	v_fma_f32 v31, v33, v43, -v39
	v_add_f32_e32 v28, 0, v28
	v_add_f32_e32 v29, v29, v30
	v_fmac_f32_e32 v48, v34, v43
	s_waitcnt vmcnt(2)
	v_fma_f32 v32, v35, v44, -v40
	v_add_f32_e32 v28, v28, v47
	v_add_f32_e32 v29, v29, v31
	v_fmac_f32_e32 v49, v36, v44
	v_add_f32_e32 v28, v28, v48
	v_add_f32_e32 v29, v29, v32
	;; [unrolled: 1-line block ×3, first 2 shown]
	s_waitcnt vmcnt(1)
	v_sub_f32_e32 v29, v45, v29
	s_waitcnt vmcnt(0)
	v_sub_f32_e32 v28, v46, v28
	buffer_store_dword v29, off, s[0:3], 0 offset:64
	buffer_store_dword v28, off, s[0:3], 0 offset:68
	s_and_saveexec_b64 s[4:5], vcc
	s_cbranch_execz .LBB76_77
; %bb.76:
	buffer_load_dword v28, off, s[0:3], 0 offset:56
	buffer_load_dword v29, off, s[0:3], 0 offset:60
	v_mov_b32_e32 v30, 0
	buffer_store_dword v30, off, s[0:3], 0 offset:56
	buffer_store_dword v30, off, s[0:3], 0 offset:60
	s_waitcnt vmcnt(2)
	ds_write_b64 v27, v[28:29]
.LBB76_77:
	s_or_b64 exec, exec, s[4:5]
	s_waitcnt lgkmcnt(0)
	; wave barrier
	buffer_load_dword v39, off, s[0:3], 0 offset:68
	buffer_load_dword v40, off, s[0:3], 0 offset:76
	buffer_load_dword v41, off, s[0:3], 0 offset:84
	buffer_load_dword v42, off, s[0:3], 0 offset:92
	buffer_load_dword v43, off, s[0:3], 0 offset:100
	buffer_load_dword v44, off, s[0:3], 0 offset:64
	buffer_load_dword v45, off, s[0:3], 0 offset:72
	buffer_load_dword v46, off, s[0:3], 0 offset:80
	buffer_load_dword v47, off, s[0:3], 0 offset:88
	buffer_load_dword v48, off, s[0:3], 0 offset:96
	buffer_load_dword v49, off, s[0:3], 0 offset:56
	buffer_load_dword v50, off, s[0:3], 0 offset:60
	v_mov_b32_e32 v28, 0
	ds_read_b128 v[29:32], v28 offset:176
	ds_read_b128 v[33:36], v28 offset:192
	ds_read_b64 v[37:38], v28 offset:208
	v_cmp_lt_u32_e32 vcc, 6, v0
	s_waitcnt vmcnt(11) lgkmcnt(2)
	v_mul_f32_e32 v51, v29, v39
	v_mul_f32_e32 v39, v30, v39
	s_waitcnt vmcnt(10)
	v_mul_f32_e32 v52, v31, v40
	v_mul_f32_e32 v40, v32, v40
	s_waitcnt vmcnt(9) lgkmcnt(1)
	v_mul_f32_e32 v53, v33, v41
	s_waitcnt vmcnt(6)
	v_fma_f32 v29, v29, v44, -v39
	v_mul_f32_e32 v41, v34, v41
	v_fmac_f32_e32 v51, v30, v44
	s_waitcnt vmcnt(5)
	v_fma_f32 v30, v31, v45, -v40
	v_add_f32_e32 v29, 0, v29
	v_mul_f32_e32 v54, v35, v42
	v_mul_f32_e32 v42, v36, v42
	v_fmac_f32_e32 v52, v32, v45
	s_waitcnt vmcnt(4)
	v_fmac_f32_e32 v53, v34, v46
	v_fma_f32 v31, v33, v46, -v41
	v_add_f32_e32 v34, 0, v51
	v_add_f32_e32 v29, v29, v30
	s_waitcnt lgkmcnt(0)
	v_mul_f32_e32 v55, v37, v43
	v_mul_f32_e32 v43, v38, v43
	s_waitcnt vmcnt(3)
	v_fma_f32 v32, v35, v47, -v42
	v_add_f32_e32 v34, v34, v52
	v_add_f32_e32 v29, v29, v31
	v_fmac_f32_e32 v54, v36, v47
	s_waitcnt vmcnt(2)
	v_fma_f32 v33, v37, v48, -v43
	v_add_f32_e32 v30, v34, v53
	v_add_f32_e32 v29, v29, v32
	v_fmac_f32_e32 v55, v38, v48
	v_add_f32_e32 v30, v30, v54
	v_add_f32_e32 v29, v29, v33
	v_add_f32_e32 v30, v30, v55
	s_waitcnt vmcnt(1)
	v_sub_f32_e32 v29, v49, v29
	s_waitcnt vmcnt(0)
	v_sub_f32_e32 v30, v50, v30
	buffer_store_dword v29, off, s[0:3], 0 offset:56
	buffer_store_dword v30, off, s[0:3], 0 offset:60
	s_and_saveexec_b64 s[4:5], vcc
	s_cbranch_execz .LBB76_79
; %bb.78:
	buffer_load_dword v29, off, s[0:3], 0 offset:48
	buffer_load_dword v30, off, s[0:3], 0 offset:52
	s_waitcnt vmcnt(0)
	ds_write_b64 v27, v[29:30]
	buffer_store_dword v28, off, s[0:3], 0 offset:48
	buffer_store_dword v28, off, s[0:3], 0 offset:52
.LBB76_79:
	s_or_b64 exec, exec, s[4:5]
	s_waitcnt lgkmcnt(0)
	; wave barrier
	buffer_load_dword v41, off, s[0:3], 0 offset:60
	buffer_load_dword v42, off, s[0:3], 0 offset:68
	;; [unrolled: 1-line block ×14, first 2 shown]
	ds_read2_b64 v[29:32], v28 offset0:21 offset1:22
	ds_read2_b64 v[33:36], v28 offset0:23 offset1:24
	;; [unrolled: 1-line block ×3, first 2 shown]
	v_cmp_lt_u32_e32 vcc, 5, v0
	s_waitcnt vmcnt(13) lgkmcnt(2)
	v_mul_f32_e32 v28, v29, v41
	v_mul_f32_e32 v41, v30, v41
	s_waitcnt vmcnt(12)
	v_mul_f32_e32 v55, v31, v42
	v_mul_f32_e32 v42, v32, v42
	s_waitcnt vmcnt(11) lgkmcnt(1)
	v_mul_f32_e32 v56, v33, v43
	v_mul_f32_e32 v43, v34, v43
	s_waitcnt vmcnt(7)
	v_fma_f32 v29, v29, v47, -v41
	v_fmac_f32_e32 v28, v30, v47
	s_waitcnt vmcnt(6)
	v_fma_f32 v30, v31, v48, -v42
	v_add_f32_e32 v29, 0, v29
	v_mul_f32_e32 v57, v35, v44
	v_mul_f32_e32 v44, v36, v44
	v_fmac_f32_e32 v55, v32, v48
	s_waitcnt vmcnt(5)
	v_fma_f32 v31, v33, v49, -v43
	v_add_f32_e32 v28, 0, v28
	v_add_f32_e32 v29, v29, v30
	s_waitcnt lgkmcnt(0)
	v_mul_f32_e32 v58, v37, v45
	v_mul_f32_e32 v45, v38, v45
	v_fmac_f32_e32 v56, v34, v49
	s_waitcnt vmcnt(4)
	v_fma_f32 v32, v35, v50, -v44
	v_add_f32_e32 v28, v28, v55
	v_add_f32_e32 v29, v29, v31
	v_mul_f32_e32 v59, v39, v46
	v_mul_f32_e32 v46, v40, v46
	v_fmac_f32_e32 v57, v36, v50
	s_waitcnt vmcnt(3)
	v_fma_f32 v33, v37, v51, -v45
	v_add_f32_e32 v28, v28, v56
	v_add_f32_e32 v29, v29, v32
	v_fmac_f32_e32 v58, v38, v51
	s_waitcnt vmcnt(2)
	v_fma_f32 v34, v39, v52, -v46
	v_add_f32_e32 v28, v28, v57
	v_add_f32_e32 v29, v29, v33
	v_fmac_f32_e32 v59, v40, v52
	v_add_f32_e32 v28, v28, v58
	v_add_f32_e32 v29, v29, v34
	;; [unrolled: 1-line block ×3, first 2 shown]
	s_waitcnt vmcnt(1)
	v_sub_f32_e32 v29, v53, v29
	s_waitcnt vmcnt(0)
	v_sub_f32_e32 v28, v54, v28
	buffer_store_dword v29, off, s[0:3], 0 offset:48
	buffer_store_dword v28, off, s[0:3], 0 offset:52
	s_and_saveexec_b64 s[4:5], vcc
	s_cbranch_execz .LBB76_81
; %bb.80:
	buffer_load_dword v28, off, s[0:3], 0 offset:40
	buffer_load_dword v29, off, s[0:3], 0 offset:44
	v_mov_b32_e32 v30, 0
	buffer_store_dword v30, off, s[0:3], 0 offset:40
	buffer_store_dword v30, off, s[0:3], 0 offset:44
	s_waitcnt vmcnt(2)
	ds_write_b64 v27, v[28:29]
.LBB76_81:
	s_or_b64 exec, exec, s[4:5]
	v_mov_b32_e32 v28, 0
	s_waitcnt lgkmcnt(0)
	; wave barrier
	ds_read_b128 v[29:32], v28 offset:160
	ds_read_b128 v[33:36], v28 offset:176
	;; [unrolled: 1-line block ×3, first 2 shown]
	ds_read_b64 v[41:42], v28 offset:208
	buffer_load_dword v43, off, s[0:3], 0 offset:40
	buffer_load_dword v44, off, s[0:3], 0 offset:44
	;; [unrolled: 1-line block ×16, first 2 shown]
	v_cmp_lt_u32_e32 vcc, 4, v0
	s_waitcnt vmcnt(12) lgkmcnt(3)
	v_mul_f32_e32 v59, v29, v46
	v_fmac_f32_e32 v59, v30, v45
	v_mul_f32_e32 v30, v30, v46
	v_fma_f32 v29, v29, v45, -v30
	s_waitcnt vmcnt(10)
	v_mul_f32_e32 v30, v32, v48
	v_mul_f32_e32 v60, v31, v48
	v_add_f32_e32 v29, 0, v29
	v_fma_f32 v30, v31, v47, -v30
	v_add_f32_e32 v59, 0, v59
	v_fmac_f32_e32 v60, v32, v47
	v_add_f32_e32 v29, v29, v30
	s_waitcnt vmcnt(8) lgkmcnt(2)
	v_mul_f32_e32 v30, v34, v50
	v_add_f32_e32 v59, v59, v60
	v_mul_f32_e32 v60, v33, v50
	v_fma_f32 v30, v33, v49, -v30
	v_fmac_f32_e32 v60, v34, v49
	v_add_f32_e32 v29, v29, v30
	s_waitcnt vmcnt(6)
	v_mul_f32_e32 v30, v36, v52
	v_add_f32_e32 v59, v59, v60
	v_mul_f32_e32 v60, v35, v52
	v_fma_f32 v30, v35, v51, -v30
	v_fmac_f32_e32 v60, v36, v51
	v_add_f32_e32 v29, v29, v30
	s_waitcnt vmcnt(4) lgkmcnt(1)
	v_mul_f32_e32 v30, v38, v54
	v_add_f32_e32 v59, v59, v60
	v_mul_f32_e32 v60, v37, v54
	v_fma_f32 v30, v37, v53, -v30
	v_fmac_f32_e32 v60, v38, v53
	v_add_f32_e32 v29, v29, v30
	s_waitcnt vmcnt(2)
	v_mul_f32_e32 v30, v40, v56
	v_add_f32_e32 v59, v59, v60
	v_mul_f32_e32 v60, v39, v56
	v_fma_f32 v30, v39, v55, -v30
	v_fmac_f32_e32 v60, v40, v55
	v_add_f32_e32 v29, v29, v30
	s_waitcnt vmcnt(0) lgkmcnt(0)
	v_mul_f32_e32 v30, v42, v58
	v_add_f32_e32 v59, v59, v60
	v_mul_f32_e32 v60, v41, v58
	v_fma_f32 v30, v41, v57, -v30
	v_fmac_f32_e32 v60, v42, v57
	v_add_f32_e32 v29, v29, v30
	v_add_f32_e32 v59, v59, v60
	v_sub_f32_e32 v29, v43, v29
	v_sub_f32_e32 v30, v44, v59
	buffer_store_dword v29, off, s[0:3], 0 offset:40
	buffer_store_dword v30, off, s[0:3], 0 offset:44
	s_and_saveexec_b64 s[4:5], vcc
	s_cbranch_execz .LBB76_83
; %bb.82:
	buffer_load_dword v29, off, s[0:3], 0 offset:32
	buffer_load_dword v30, off, s[0:3], 0 offset:36
	s_waitcnt vmcnt(0)
	ds_write_b64 v27, v[29:30]
	buffer_store_dword v28, off, s[0:3], 0 offset:32
	buffer_store_dword v28, off, s[0:3], 0 offset:36
.LBB76_83:
	s_or_b64 exec, exec, s[4:5]
	s_waitcnt lgkmcnt(0)
	; wave barrier
	buffer_load_dword v45, off, s[0:3], 0 offset:44
	buffer_load_dword v46, off, s[0:3], 0 offset:52
	;; [unrolled: 1-line block ×18, first 2 shown]
	ds_read2_b64 v[29:32], v28 offset0:19 offset1:20
	ds_read2_b64 v[33:36], v28 offset0:21 offset1:22
	;; [unrolled: 1-line block ×4, first 2 shown]
	v_cmp_lt_u32_e32 vcc, 3, v0
	s_waitcnt vmcnt(17) lgkmcnt(3)
	v_mul_f32_e32 v28, v29, v45
	v_mul_f32_e32 v45, v30, v45
	s_waitcnt vmcnt(16)
	v_mul_f32_e32 v63, v31, v46
	v_mul_f32_e32 v46, v32, v46
	s_waitcnt vmcnt(15) lgkmcnt(2)
	v_mul_f32_e32 v64, v33, v47
	v_mul_f32_e32 v47, v34, v47
	s_waitcnt vmcnt(14)
	v_mul_f32_e32 v65, v35, v48
	v_mul_f32_e32 v48, v36, v48
	s_waitcnt vmcnt(9)
	v_fma_f32 v29, v29, v53, -v45
	v_fmac_f32_e32 v28, v30, v53
	s_waitcnt vmcnt(8)
	v_fma_f32 v30, v31, v54, -v46
	v_add_f32_e32 v29, 0, v29
	v_fmac_f32_e32 v63, v32, v54
	s_waitcnt vmcnt(7)
	v_fma_f32 v31, v33, v55, -v47
	v_add_f32_e32 v28, 0, v28
	v_add_f32_e32 v29, v29, v30
	s_waitcnt lgkmcnt(1)
	v_mul_f32_e32 v66, v37, v49
	v_mul_f32_e32 v49, v38, v49
	v_fmac_f32_e32 v64, v34, v55
	s_waitcnt vmcnt(6)
	v_fma_f32 v32, v35, v56, -v48
	v_add_f32_e32 v28, v28, v63
	v_add_f32_e32 v29, v29, v31
	v_mul_f32_e32 v67, v39, v50
	v_mul_f32_e32 v50, v40, v50
	v_fmac_f32_e32 v65, v36, v56
	s_waitcnt vmcnt(5)
	v_fma_f32 v33, v37, v57, -v49
	v_add_f32_e32 v28, v28, v64
	v_add_f32_e32 v29, v29, v32
	s_waitcnt lgkmcnt(0)
	v_mul_f32_e32 v68, v41, v51
	v_mul_f32_e32 v51, v42, v51
	v_fmac_f32_e32 v66, v38, v57
	s_waitcnt vmcnt(4)
	v_fma_f32 v34, v39, v58, -v50
	v_add_f32_e32 v28, v28, v65
	v_add_f32_e32 v29, v29, v33
	v_mul_f32_e32 v69, v43, v52
	v_mul_f32_e32 v52, v44, v52
	v_fmac_f32_e32 v67, v40, v58
	s_waitcnt vmcnt(3)
	v_fma_f32 v35, v41, v59, -v51
	v_add_f32_e32 v28, v28, v66
	v_add_f32_e32 v29, v29, v34
	v_fmac_f32_e32 v68, v42, v59
	s_waitcnt vmcnt(2)
	v_fma_f32 v36, v43, v60, -v52
	v_add_f32_e32 v28, v28, v67
	v_add_f32_e32 v29, v29, v35
	v_fmac_f32_e32 v69, v44, v60
	v_add_f32_e32 v28, v28, v68
	v_add_f32_e32 v29, v29, v36
	;; [unrolled: 1-line block ×3, first 2 shown]
	s_waitcnt vmcnt(1)
	v_sub_f32_e32 v29, v61, v29
	s_waitcnt vmcnt(0)
	v_sub_f32_e32 v28, v62, v28
	buffer_store_dword v29, off, s[0:3], 0 offset:32
	buffer_store_dword v28, off, s[0:3], 0 offset:36
	s_and_saveexec_b64 s[4:5], vcc
	s_cbranch_execz .LBB76_85
; %bb.84:
	buffer_load_dword v28, off, s[0:3], 0 offset:24
	buffer_load_dword v29, off, s[0:3], 0 offset:28
	v_mov_b32_e32 v30, 0
	buffer_store_dword v30, off, s[0:3], 0 offset:24
	buffer_store_dword v30, off, s[0:3], 0 offset:28
	s_waitcnt vmcnt(2)
	ds_write_b64 v27, v[28:29]
.LBB76_85:
	s_or_b64 exec, exec, s[4:5]
	s_waitcnt lgkmcnt(0)
	; wave barrier
	buffer_load_dword v47, off, s[0:3], 0 offset:36
	buffer_load_dword v48, off, s[0:3], 0 offset:44
	;; [unrolled: 1-line block ×20, first 2 shown]
	v_mov_b32_e32 v28, 0
	ds_read_b128 v[29:32], v28 offset:144
	ds_read_b128 v[33:36], v28 offset:160
	;; [unrolled: 1-line block ×4, first 2 shown]
	ds_read_b64 v[45:46], v28 offset:208
	v_cmp_lt_u32_e32 vcc, 2, v0
	s_waitcnt vmcnt(19) lgkmcnt(4)
	v_mul_f32_e32 v67, v29, v47
	v_mul_f32_e32 v47, v30, v47
	s_waitcnt vmcnt(18)
	v_mul_f32_e32 v68, v31, v48
	v_mul_f32_e32 v48, v32, v48
	s_waitcnt vmcnt(17) lgkmcnt(3)
	v_mul_f32_e32 v69, v33, v49
	s_waitcnt vmcnt(15) lgkmcnt(2)
	v_mul_f32_e32 v71, v37, v51
	v_mul_f32_e32 v49, v34, v49
	v_mul_f32_e32 v70, v35, v50
	v_mul_f32_e32 v50, v36, v50
	s_waitcnt vmcnt(10)
	v_fma_f32 v29, v29, v56, -v47
	v_fmac_f32_e32 v67, v30, v56
	s_waitcnt vmcnt(9)
	v_fma_f32 v30, v31, v57, -v48
	v_add_f32_e32 v29, 0, v29
	v_mul_f32_e32 v51, v38, v51
	v_fmac_f32_e32 v68, v32, v57
	s_waitcnt vmcnt(6)
	v_fmac_f32_e32 v71, v38, v60
	v_fma_f32 v31, v33, v58, -v49
	v_add_f32_e32 v38, 0, v67
	v_add_f32_e32 v29, v29, v30
	v_fmac_f32_e32 v69, v34, v58
	v_fma_f32 v32, v35, v59, -v50
	v_add_f32_e32 v38, v38, v68
	v_add_f32_e32 v29, v29, v31
	v_mul_f32_e32 v72, v39, v52
	v_mul_f32_e32 v52, v40, v52
	v_fmac_f32_e32 v70, v36, v59
	v_fma_f32 v33, v37, v60, -v51
	v_add_f32_e32 v30, v38, v69
	v_add_f32_e32 v29, v29, v32
	s_waitcnt lgkmcnt(1)
	v_mul_f32_e32 v73, v41, v53
	v_mul_f32_e32 v53, v42, v53
	s_waitcnt vmcnt(5)
	v_fma_f32 v34, v39, v61, -v52
	v_add_f32_e32 v30, v30, v70
	v_add_f32_e32 v29, v29, v33
	v_mul_f32_e32 v74, v43, v54
	v_mul_f32_e32 v54, v44, v54
	v_fmac_f32_e32 v72, v40, v61
	s_waitcnt vmcnt(4)
	v_fma_f32 v35, v41, v62, -v53
	v_add_f32_e32 v30, v30, v71
	v_add_f32_e32 v29, v29, v34
	s_waitcnt lgkmcnt(0)
	v_mul_f32_e32 v75, v45, v55
	v_mul_f32_e32 v55, v46, v55
	v_fmac_f32_e32 v73, v42, v62
	s_waitcnt vmcnt(3)
	v_fma_f32 v36, v43, v63, -v54
	v_add_f32_e32 v30, v30, v72
	v_add_f32_e32 v29, v29, v35
	v_fmac_f32_e32 v74, v44, v63
	s_waitcnt vmcnt(2)
	v_fma_f32 v37, v45, v64, -v55
	v_add_f32_e32 v30, v30, v73
	v_add_f32_e32 v29, v29, v36
	v_fmac_f32_e32 v75, v46, v64
	v_add_f32_e32 v30, v30, v74
	v_add_f32_e32 v29, v29, v37
	v_add_f32_e32 v30, v30, v75
	s_waitcnt vmcnt(1)
	v_sub_f32_e32 v29, v65, v29
	s_waitcnt vmcnt(0)
	v_sub_f32_e32 v30, v66, v30
	buffer_store_dword v29, off, s[0:3], 0 offset:24
	buffer_store_dword v30, off, s[0:3], 0 offset:28
	s_and_saveexec_b64 s[4:5], vcc
	s_cbranch_execz .LBB76_87
; %bb.86:
	buffer_load_dword v29, off, s[0:3], 0 offset:16
	buffer_load_dword v30, off, s[0:3], 0 offset:20
	s_waitcnt vmcnt(0)
	ds_write_b64 v27, v[29:30]
	buffer_store_dword v28, off, s[0:3], 0 offset:16
	buffer_store_dword v28, off, s[0:3], 0 offset:20
.LBB76_87:
	s_or_b64 exec, exec, s[4:5]
	s_waitcnt lgkmcnt(0)
	; wave barrier
	buffer_load_dword v49, off, s[0:3], 0 offset:28
	buffer_load_dword v50, off, s[0:3], 0 offset:36
	;; [unrolled: 1-line block ×22, first 2 shown]
	ds_read2_b64 v[29:32], v28 offset0:17 offset1:18
	ds_read2_b64 v[33:36], v28 offset0:19 offset1:20
	;; [unrolled: 1-line block ×5, first 2 shown]
	v_cmp_lt_u32_e32 vcc, 1, v0
	s_waitcnt vmcnt(21) lgkmcnt(4)
	v_mul_f32_e32 v28, v29, v49
	v_mul_f32_e32 v49, v30, v49
	s_waitcnt vmcnt(20)
	v_mul_f32_e32 v71, v31, v50
	v_mul_f32_e32 v50, v32, v50
	s_waitcnt vmcnt(19) lgkmcnt(3)
	v_mul_f32_e32 v72, v33, v51
	v_mul_f32_e32 v51, v34, v51
	s_waitcnt vmcnt(18)
	v_mul_f32_e32 v73, v35, v52
	v_mul_f32_e32 v52, v36, v52
	s_waitcnt vmcnt(17) lgkmcnt(2)
	v_mul_f32_e32 v74, v37, v53
	v_mul_f32_e32 v53, v38, v53
	s_waitcnt vmcnt(11)
	v_fma_f32 v29, v29, v59, -v49
	v_fmac_f32_e32 v28, v30, v59
	s_waitcnt vmcnt(10)
	v_fma_f32 v30, v31, v60, -v50
	v_add_f32_e32 v29, 0, v29
	v_fmac_f32_e32 v71, v32, v60
	s_waitcnt vmcnt(9)
	v_fma_f32 v31, v33, v61, -v51
	v_add_f32_e32 v28, 0, v28
	v_add_f32_e32 v29, v29, v30
	v_fmac_f32_e32 v72, v34, v61
	s_waitcnt vmcnt(8)
	v_fma_f32 v32, v35, v62, -v52
	v_add_f32_e32 v28, v28, v71
	v_add_f32_e32 v29, v29, v31
	v_mul_f32_e32 v75, v39, v54
	v_mul_f32_e32 v54, v40, v54
	v_fmac_f32_e32 v73, v36, v62
	s_waitcnt vmcnt(7)
	v_fma_f32 v33, v37, v63, -v53
	v_add_f32_e32 v28, v28, v72
	v_add_f32_e32 v29, v29, v32
	s_waitcnt lgkmcnt(1)
	v_mul_f32_e32 v76, v41, v55
	v_mul_f32_e32 v55, v42, v55
	v_fmac_f32_e32 v74, v38, v63
	s_waitcnt vmcnt(6)
	v_fma_f32 v34, v39, v64, -v54
	v_add_f32_e32 v28, v28, v73
	v_add_f32_e32 v29, v29, v33
	v_mul_f32_e32 v77, v43, v56
	v_mul_f32_e32 v56, v44, v56
	v_fmac_f32_e32 v75, v40, v64
	s_waitcnt vmcnt(5)
	v_fma_f32 v35, v41, v65, -v55
	v_add_f32_e32 v28, v28, v74
	v_add_f32_e32 v29, v29, v34
	s_waitcnt lgkmcnt(0)
	v_mul_f32_e32 v78, v45, v57
	v_mul_f32_e32 v57, v46, v57
	v_fmac_f32_e32 v76, v42, v65
	s_waitcnt vmcnt(4)
	v_fma_f32 v36, v43, v66, -v56
	v_add_f32_e32 v28, v28, v75
	v_add_f32_e32 v29, v29, v35
	v_mul_f32_e32 v79, v47, v58
	v_mul_f32_e32 v58, v48, v58
	v_fmac_f32_e32 v77, v44, v66
	s_waitcnt vmcnt(3)
	v_fma_f32 v37, v45, v67, -v57
	v_add_f32_e32 v28, v28, v76
	v_add_f32_e32 v29, v29, v36
	v_fmac_f32_e32 v78, v46, v67
	s_waitcnt vmcnt(2)
	v_fma_f32 v38, v47, v68, -v58
	v_add_f32_e32 v28, v28, v77
	v_add_f32_e32 v29, v29, v37
	v_fmac_f32_e32 v79, v48, v68
	v_add_f32_e32 v28, v28, v78
	v_add_f32_e32 v29, v29, v38
	;; [unrolled: 1-line block ×3, first 2 shown]
	s_waitcnt vmcnt(1)
	v_sub_f32_e32 v29, v69, v29
	s_waitcnt vmcnt(0)
	v_sub_f32_e32 v28, v70, v28
	buffer_store_dword v29, off, s[0:3], 0 offset:16
	buffer_store_dword v28, off, s[0:3], 0 offset:20
	s_and_saveexec_b64 s[4:5], vcc
	s_cbranch_execz .LBB76_89
; %bb.88:
	buffer_load_dword v28, off, s[0:3], 0 offset:8
	buffer_load_dword v29, off, s[0:3], 0 offset:12
	v_mov_b32_e32 v30, 0
	buffer_store_dword v30, off, s[0:3], 0 offset:8
	buffer_store_dword v30, off, s[0:3], 0 offset:12
	s_waitcnt vmcnt(2)
	ds_write_b64 v27, v[28:29]
.LBB76_89:
	s_or_b64 exec, exec, s[4:5]
	v_mov_b32_e32 v28, 0
	s_waitcnt lgkmcnt(0)
	; wave barrier
	ds_read_b128 v[29:32], v28 offset:128
	ds_read_b128 v[33:36], v28 offset:144
	;; [unrolled: 1-line block ×4, first 2 shown]
	buffer_load_dword v51, off, s[0:3], 0 offset:8
	buffer_load_dword v52, off, s[0:3], 0 offset:12
	;; [unrolled: 1-line block ×18, first 2 shown]
	v_cmp_ne_u32_e32 vcc, 0, v0
	s_waitcnt vmcnt(14) lgkmcnt(3)
	v_mul_f32_e32 v45, v29, v54
	v_fmac_f32_e32 v45, v30, v53
	s_waitcnt vmcnt(12)
	v_mul_f32_e32 v46, v31, v56
	v_add_f32_e32 v45, 0, v45
	v_fmac_f32_e32 v46, v32, v55
	v_add_f32_e32 v45, v45, v46
	s_waitcnt vmcnt(10) lgkmcnt(2)
	v_mul_f32_e32 v46, v33, v58
	v_fmac_f32_e32 v46, v34, v57
	v_add_f32_e32 v45, v45, v46
	s_waitcnt vmcnt(8)
	v_mul_f32_e32 v46, v35, v60
	v_fmac_f32_e32 v46, v36, v59
	v_add_f32_e32 v45, v45, v46
	s_waitcnt vmcnt(6) lgkmcnt(1)
	v_mul_f32_e32 v46, v37, v62
	v_fmac_f32_e32 v46, v38, v61
	v_add_f32_e32 v45, v45, v46
	s_waitcnt vmcnt(4)
	v_mul_f32_e32 v46, v39, v64
	;; [unrolled: 8-line block ×3, first 2 shown]
	v_fmac_f32_e32 v46, v44, v67
	v_add_f32_e32 v49, v45, v46
	ds_read_b128 v[45:48], v28 offset:192
	buffer_load_dword v69, off, s[0:3], 0 offset:80
	buffer_load_dword v70, off, s[0:3], 0 offset:84
	;; [unrolled: 1-line block ×4, first 2 shown]
	v_mul_f32_e32 v30, v30, v54
	v_fma_f32 v29, v29, v53, -v30
	v_mul_f32_e32 v30, v32, v56
	v_add_f32_e32 v29, 0, v29
	v_fma_f32 v30, v31, v55, -v30
	v_add_f32_e32 v29, v29, v30
	v_mul_f32_e32 v30, v34, v58
	v_fma_f32 v30, v33, v57, -v30
	v_add_f32_e32 v29, v29, v30
	v_mul_f32_e32 v30, v36, v60
	;; [unrolled: 3-line block ×6, first 2 shown]
	v_fma_f32 v30, v43, v67, -v30
	v_add_f32_e32 v29, v29, v30
	s_waitcnt vmcnt(2) lgkmcnt(0)
	v_mul_f32_e32 v50, v45, v70
	v_fmac_f32_e32 v50, v46, v69
	v_add_f32_e32 v49, v49, v50
	s_waitcnt vmcnt(0)
	v_mul_f32_e32 v50, v47, v72
	v_fmac_f32_e32 v50, v48, v71
	v_add_f32_e32 v73, v49, v50
	ds_read_b64 v[49:50], v28 offset:208
	buffer_load_dword v74, off, s[0:3], 0 offset:96
	buffer_load_dword v75, off, s[0:3], 0 offset:100
	v_mul_f32_e32 v30, v46, v70
	v_fma_f32 v30, v45, v69, -v30
	v_add_f32_e32 v29, v29, v30
	v_mul_f32_e32 v30, v48, v72
	v_fma_f32 v30, v47, v71, -v30
	v_add_f32_e32 v29, v29, v30
	s_waitcnt vmcnt(0) lgkmcnt(0)
	v_mul_f32_e32 v30, v50, v75
	v_mul_f32_e32 v76, v49, v75
	v_fma_f32 v30, v49, v74, -v30
	v_fmac_f32_e32 v76, v50, v74
	v_add_f32_e32 v29, v29, v30
	v_add_f32_e32 v73, v73, v76
	v_sub_f32_e32 v29, v51, v29
	v_sub_f32_e32 v30, v52, v73
	buffer_store_dword v29, off, s[0:3], 0 offset:8
	buffer_store_dword v30, off, s[0:3], 0 offset:12
	s_and_saveexec_b64 s[4:5], vcc
	s_cbranch_execz .LBB76_91
; %bb.90:
	buffer_load_dword v29, off, s[0:3], 0
	buffer_load_dword v30, off, s[0:3], 0 offset:4
	s_waitcnt vmcnt(0)
	ds_write_b64 v27, v[29:30]
	buffer_store_dword v28, off, s[0:3], 0
	buffer_store_dword v28, off, s[0:3], 0 offset:4
.LBB76_91:
	s_or_b64 exec, exec, s[4:5]
	s_waitcnt lgkmcnt(0)
	; wave barrier
	ds_read2_b64 v[29:32], v28 offset0:15 offset1:16
	buffer_load_dword v53, off, s[0:3], 0
	buffer_load_dword v54, off, s[0:3], 0 offset:4
	buffer_load_dword v55, off, s[0:3], 0 offset:8
	;; [unrolled: 1-line block ×15, first 2 shown]
	ds_read2_b64 v[33:36], v28 offset0:17 offset1:18
	ds_read2_b64 v[37:40], v28 offset0:19 offset1:20
	;; [unrolled: 1-line block ×3, first 2 shown]
	buffer_load_dword v69, off, s[0:3], 0 offset:64
	buffer_load_dword v70, off, s[0:3], 0 offset:68
	ds_read2_b64 v[45:48], v28 offset0:23 offset1:24
	buffer_load_dword v71, off, s[0:3], 0 offset:72
	buffer_load_dword v72, off, s[0:3], 0 offset:76
	;; [unrolled: 1-line block ×4, first 2 shown]
	ds_read2_b64 v[49:52], v28 offset0:25 offset1:26
	s_and_b64 vcc, exec, s[14:15]
	s_waitcnt vmcnt(18) lgkmcnt(5)
	v_mul_f32_e32 v0, v29, v56
	v_fmac_f32_e32 v0, v30, v55
	s_waitcnt vmcnt(16)
	v_mul_f32_e32 v27, v31, v58
	v_add_f32_e32 v0, 0, v0
	v_fmac_f32_e32 v27, v32, v57
	v_add_f32_e32 v0, v0, v27
	s_waitcnt vmcnt(14) lgkmcnt(4)
	v_mul_f32_e32 v27, v33, v60
	v_fmac_f32_e32 v27, v34, v59
	v_add_f32_e32 v0, v0, v27
	s_waitcnt vmcnt(12)
	v_mul_f32_e32 v27, v35, v62
	v_fmac_f32_e32 v27, v36, v61
	v_add_f32_e32 v0, v0, v27
	s_waitcnt vmcnt(10) lgkmcnt(3)
	v_mul_f32_e32 v27, v37, v64
	v_fmac_f32_e32 v27, v38, v63
	v_add_f32_e32 v0, v0, v27
	s_waitcnt vmcnt(8)
	v_mul_f32_e32 v27, v39, v66
	;; [unrolled: 8-line block ×4, first 2 shown]
	v_fmac_f32_e32 v27, v48, v73
	v_add_f32_e32 v75, v0, v27
	buffer_load_dword v0, off, s[0:3], 0 offset:92
	buffer_load_dword v27, off, s[0:3], 0 offset:88
	v_mul_f32_e32 v30, v30, v56
	v_fma_f32 v29, v29, v55, -v30
	v_mul_f32_e32 v30, v32, v58
	v_add_f32_e32 v29, 0, v29
	v_fma_f32 v30, v31, v57, -v30
	v_add_f32_e32 v29, v29, v30
	v_mul_f32_e32 v30, v34, v60
	v_fma_f32 v30, v33, v59, -v30
	v_add_f32_e32 v29, v29, v30
	v_mul_f32_e32 v30, v36, v62
	v_fma_f32 v30, v35, v61, -v30
	v_add_f32_e32 v29, v29, v30
	v_mul_f32_e32 v30, v38, v64
	v_fma_f32 v30, v37, v63, -v30
	v_add_f32_e32 v29, v29, v30
	v_mul_f32_e32 v30, v40, v66
	v_fma_f32 v30, v39, v65, -v30
	v_add_f32_e32 v29, v29, v30
	v_mul_f32_e32 v30, v42, v68
	v_fma_f32 v30, v41, v67, -v30
	v_add_f32_e32 v29, v29, v30
	v_mul_f32_e32 v30, v44, v70
	v_fma_f32 v30, v43, v69, -v30
	v_add_f32_e32 v29, v29, v30
	v_mul_f32_e32 v30, v46, v72
	v_fma_f32 v30, v45, v71, -v30
	v_add_f32_e32 v29, v29, v30
	v_mul_f32_e32 v30, v48, v74
	v_fma_f32 v30, v47, v73, -v30
	v_add_f32_e32 v29, v29, v30
	s_waitcnt vmcnt(1) lgkmcnt(0)
	v_mul_f32_e32 v28, v49, v0
	s_waitcnt vmcnt(0)
	v_fmac_f32_e32 v28, v50, v27
	v_add_f32_e32 v28, v75, v28
	buffer_load_dword v75, off, s[0:3], 0 offset:96
	buffer_load_dword v76, off, s[0:3], 0 offset:100
	v_mul_f32_e32 v30, v50, v0
	v_fma_f32 v30, v49, v27, -v30
	v_add_f32_e32 v29, v29, v30
	s_waitcnt vmcnt(0)
	v_mul_f32_e32 v30, v52, v76
	v_mul_f32_e32 v77, v51, v76
	v_fma_f32 v30, v51, v75, -v30
	v_fmac_f32_e32 v77, v52, v75
	v_add_f32_e32 v29, v29, v30
	v_add_f32_e32 v28, v28, v77
	v_sub_f32_e32 v29, v53, v29
	v_sub_f32_e32 v28, v54, v28
	buffer_store_dword v29, off, s[0:3], 0
	buffer_store_dword v28, off, s[0:3], 0 offset:4
	s_cbranch_vccz .LBB76_116
; %bb.92:
	v_mov_b32_e32 v28, 0
	global_load_dword v29, v28, s[12:13] offset:44
	s_waitcnt vmcnt(0)
	v_add_u32_e32 v29, -1, v29
	v_cmp_ne_u32_e32 vcc, 11, v29
	s_cbranch_vccz .LBB76_94
; %bb.93:
	v_lshlrev_b32_e32 v29, 3, v29
	buffer_load_dword v30, v29, s[0:3], 0 offen
	buffer_load_dword v31, v29, s[0:3], 0 offen offset:4
	s_waitcnt vmcnt(1)
	buffer_store_dword v30, off, s[0:3], 0 offset:88
	s_waitcnt vmcnt(1)
	buffer_store_dword v31, off, s[0:3], 0 offset:92
	buffer_store_dword v27, v29, s[0:3], 0 offen
	buffer_store_dword v0, v29, s[0:3], 0 offen offset:4
.LBB76_94:
	global_load_dword v0, v28, s[12:13] offset:40
	s_waitcnt vmcnt(0)
	v_add_u32_e32 v0, -1, v0
	v_cmp_eq_u32_e32 vcc, 10, v0
	s_cbranch_vccnz .LBB76_96
; %bb.95:
	v_lshlrev_b32_e32 v0, 3, v0
	buffer_load_dword v27, v0, s[0:3], 0 offen
	buffer_load_dword v28, v0, s[0:3], 0 offen offset:4
	buffer_load_dword v29, off, s[0:3], 0 offset:84
	buffer_load_dword v30, off, s[0:3], 0 offset:80
	s_waitcnt vmcnt(3)
	buffer_store_dword v27, off, s[0:3], 0 offset:80
	s_waitcnt vmcnt(3)
	buffer_store_dword v28, off, s[0:3], 0 offset:84
	s_waitcnt vmcnt(3)
	buffer_store_dword v29, v0, s[0:3], 0 offen offset:4
	s_waitcnt vmcnt(3)
	buffer_store_dword v30, v0, s[0:3], 0 offen
.LBB76_96:
	v_mov_b32_e32 v0, 0
	global_load_dword v27, v0, s[12:13] offset:36
	s_waitcnt vmcnt(0)
	v_add_u32_e32 v27, -1, v27
	v_cmp_eq_u32_e32 vcc, 9, v27
	s_cbranch_vccnz .LBB76_98
; %bb.97:
	v_lshlrev_b32_e32 v27, 3, v27
	buffer_load_dword v28, v27, s[0:3], 0 offen
	buffer_load_dword v29, v27, s[0:3], 0 offen offset:4
	buffer_load_dword v30, off, s[0:3], 0 offset:72
	buffer_load_dword v31, off, s[0:3], 0 offset:76
	s_waitcnt vmcnt(3)
	buffer_store_dword v28, off, s[0:3], 0 offset:72
	s_waitcnt vmcnt(3)
	buffer_store_dword v29, off, s[0:3], 0 offset:76
	s_waitcnt vmcnt(3)
	buffer_store_dword v30, v27, s[0:3], 0 offen
	s_waitcnt vmcnt(3)
	buffer_store_dword v31, v27, s[0:3], 0 offen offset:4
.LBB76_98:
	global_load_dword v0, v0, s[12:13] offset:32
	s_waitcnt vmcnt(0)
	v_add_u32_e32 v0, -1, v0
	v_cmp_eq_u32_e32 vcc, 8, v0
	s_cbranch_vccnz .LBB76_100
; %bb.99:
	v_lshlrev_b32_e32 v0, 3, v0
	buffer_load_dword v27, v0, s[0:3], 0 offen
	buffer_load_dword v28, v0, s[0:3], 0 offen offset:4
	buffer_load_dword v29, off, s[0:3], 0 offset:68
	buffer_load_dword v30, off, s[0:3], 0 offset:64
	s_waitcnt vmcnt(3)
	buffer_store_dword v27, off, s[0:3], 0 offset:64
	s_waitcnt vmcnt(3)
	buffer_store_dword v28, off, s[0:3], 0 offset:68
	s_waitcnt vmcnt(3)
	buffer_store_dword v29, v0, s[0:3], 0 offen offset:4
	s_waitcnt vmcnt(3)
	buffer_store_dword v30, v0, s[0:3], 0 offen
.LBB76_100:
	v_mov_b32_e32 v0, 0
	global_load_dword v27, v0, s[12:13] offset:28
	s_waitcnt vmcnt(0)
	v_add_u32_e32 v27, -1, v27
	v_cmp_eq_u32_e32 vcc, 7, v27
	s_cbranch_vccnz .LBB76_102
; %bb.101:
	v_lshlrev_b32_e32 v27, 3, v27
	buffer_load_dword v28, v27, s[0:3], 0 offen
	buffer_load_dword v29, v27, s[0:3], 0 offen offset:4
	buffer_load_dword v30, off, s[0:3], 0 offset:56
	buffer_load_dword v31, off, s[0:3], 0 offset:60
	s_waitcnt vmcnt(3)
	buffer_store_dword v28, off, s[0:3], 0 offset:56
	s_waitcnt vmcnt(3)
	buffer_store_dword v29, off, s[0:3], 0 offset:60
	s_waitcnt vmcnt(3)
	buffer_store_dword v30, v27, s[0:3], 0 offen
	s_waitcnt vmcnt(3)
	buffer_store_dword v31, v27, s[0:3], 0 offen offset:4
.LBB76_102:
	;; [unrolled: 41-line block ×5, first 2 shown]
	global_load_dword v0, v0, s[12:13]
	s_waitcnt vmcnt(0)
	v_add_u32_e32 v0, -1, v0
	v_cmp_eq_u32_e32 vcc, 0, v0
	s_cbranch_vccnz .LBB76_116
; %bb.115:
	v_lshlrev_b32_e32 v0, 3, v0
	buffer_load_dword v27, v0, s[0:3], 0 offen
	buffer_load_dword v28, v0, s[0:3], 0 offen offset:4
	buffer_load_dword v29, off, s[0:3], 0 offset:4
	buffer_load_dword v30, off, s[0:3], 0
	s_waitcnt vmcnt(3)
	buffer_store_dword v27, off, s[0:3], 0
	s_waitcnt vmcnt(3)
	buffer_store_dword v28, off, s[0:3], 0 offset:4
	s_waitcnt vmcnt(3)
	buffer_store_dword v29, v0, s[0:3], 0 offen offset:4
	s_waitcnt vmcnt(3)
	buffer_store_dword v30, v0, s[0:3], 0 offen
.LBB76_116:
	buffer_load_dword v27, off, s[0:3], 0
	buffer_load_dword v28, off, s[0:3], 0 offset:4
	s_waitcnt vmcnt(0)
	flat_store_dwordx2 v[1:2], v[27:28]
	buffer_load_dword v0, off, s[0:3], 0 offset:8
	s_nop 0
	buffer_load_dword v1, off, s[0:3], 0 offset:12
	s_waitcnt vmcnt(0)
	flat_store_dwordx2 v[3:4], v[0:1]
	buffer_load_dword v0, off, s[0:3], 0 offset:16
	s_nop 0
	;; [unrolled: 5-line block ×12, first 2 shown]
	buffer_load_dword v1, off, s[0:3], 0 offset:100
	s_waitcnt vmcnt(0)
	flat_store_dwordx2 v[25:26], v[0:1]
	s_endpgm
	.section	.rodata,"a",@progbits
	.p2align	6, 0x0
	.amdhsa_kernel _ZN9rocsolver6v33100L18getri_kernel_smallILi13E19rocblas_complex_numIfEPKPS3_EEvT1_iilPiilS8_bb
		.amdhsa_group_segment_fixed_size 216
		.amdhsa_private_segment_fixed_size 112
		.amdhsa_kernarg_size 60
		.amdhsa_user_sgpr_count 6
		.amdhsa_user_sgpr_private_segment_buffer 1
		.amdhsa_user_sgpr_dispatch_ptr 0
		.amdhsa_user_sgpr_queue_ptr 0
		.amdhsa_user_sgpr_kernarg_segment_ptr 1
		.amdhsa_user_sgpr_dispatch_id 0
		.amdhsa_user_sgpr_flat_scratch_init 0
		.amdhsa_user_sgpr_private_segment_size 0
		.amdhsa_uses_dynamic_stack 0
		.amdhsa_system_sgpr_private_segment_wavefront_offset 1
		.amdhsa_system_sgpr_workgroup_id_x 1
		.amdhsa_system_sgpr_workgroup_id_y 0
		.amdhsa_system_sgpr_workgroup_id_z 0
		.amdhsa_system_sgpr_workgroup_info 0
		.amdhsa_system_vgpr_workitem_id 0
		.amdhsa_next_free_vgpr 80
		.amdhsa_next_free_sgpr 21
		.amdhsa_reserve_vcc 1
		.amdhsa_reserve_flat_scratch 0
		.amdhsa_float_round_mode_32 0
		.amdhsa_float_round_mode_16_64 0
		.amdhsa_float_denorm_mode_32 3
		.amdhsa_float_denorm_mode_16_64 3
		.amdhsa_dx10_clamp 1
		.amdhsa_ieee_mode 1
		.amdhsa_fp16_overflow 0
		.amdhsa_exception_fp_ieee_invalid_op 0
		.amdhsa_exception_fp_denorm_src 0
		.amdhsa_exception_fp_ieee_div_zero 0
		.amdhsa_exception_fp_ieee_overflow 0
		.amdhsa_exception_fp_ieee_underflow 0
		.amdhsa_exception_fp_ieee_inexact 0
		.amdhsa_exception_int_div_zero 0
	.end_amdhsa_kernel
	.section	.text._ZN9rocsolver6v33100L18getri_kernel_smallILi13E19rocblas_complex_numIfEPKPS3_EEvT1_iilPiilS8_bb,"axG",@progbits,_ZN9rocsolver6v33100L18getri_kernel_smallILi13E19rocblas_complex_numIfEPKPS3_EEvT1_iilPiilS8_bb,comdat
.Lfunc_end76:
	.size	_ZN9rocsolver6v33100L18getri_kernel_smallILi13E19rocblas_complex_numIfEPKPS3_EEvT1_iilPiilS8_bb, .Lfunc_end76-_ZN9rocsolver6v33100L18getri_kernel_smallILi13E19rocblas_complex_numIfEPKPS3_EEvT1_iilPiilS8_bb
                                        ; -- End function
	.set _ZN9rocsolver6v33100L18getri_kernel_smallILi13E19rocblas_complex_numIfEPKPS3_EEvT1_iilPiilS8_bb.num_vgpr, 80
	.set _ZN9rocsolver6v33100L18getri_kernel_smallILi13E19rocblas_complex_numIfEPKPS3_EEvT1_iilPiilS8_bb.num_agpr, 0
	.set _ZN9rocsolver6v33100L18getri_kernel_smallILi13E19rocblas_complex_numIfEPKPS3_EEvT1_iilPiilS8_bb.numbered_sgpr, 21
	.set _ZN9rocsolver6v33100L18getri_kernel_smallILi13E19rocblas_complex_numIfEPKPS3_EEvT1_iilPiilS8_bb.num_named_barrier, 0
	.set _ZN9rocsolver6v33100L18getri_kernel_smallILi13E19rocblas_complex_numIfEPKPS3_EEvT1_iilPiilS8_bb.private_seg_size, 112
	.set _ZN9rocsolver6v33100L18getri_kernel_smallILi13E19rocblas_complex_numIfEPKPS3_EEvT1_iilPiilS8_bb.uses_vcc, 1
	.set _ZN9rocsolver6v33100L18getri_kernel_smallILi13E19rocblas_complex_numIfEPKPS3_EEvT1_iilPiilS8_bb.uses_flat_scratch, 0
	.set _ZN9rocsolver6v33100L18getri_kernel_smallILi13E19rocblas_complex_numIfEPKPS3_EEvT1_iilPiilS8_bb.has_dyn_sized_stack, 0
	.set _ZN9rocsolver6v33100L18getri_kernel_smallILi13E19rocblas_complex_numIfEPKPS3_EEvT1_iilPiilS8_bb.has_recursion, 0
	.set _ZN9rocsolver6v33100L18getri_kernel_smallILi13E19rocblas_complex_numIfEPKPS3_EEvT1_iilPiilS8_bb.has_indirect_call, 0
	.section	.AMDGPU.csdata,"",@progbits
; Kernel info:
; codeLenInByte = 11580
; TotalNumSgprs: 25
; NumVgprs: 80
; ScratchSize: 112
; MemoryBound: 0
; FloatMode: 240
; IeeeMode: 1
; LDSByteSize: 216 bytes/workgroup (compile time only)
; SGPRBlocks: 3
; VGPRBlocks: 19
; NumSGPRsForWavesPerEU: 25
; NumVGPRsForWavesPerEU: 80
; Occupancy: 3
; WaveLimiterHint : 1
; COMPUTE_PGM_RSRC2:SCRATCH_EN: 1
; COMPUTE_PGM_RSRC2:USER_SGPR: 6
; COMPUTE_PGM_RSRC2:TRAP_HANDLER: 0
; COMPUTE_PGM_RSRC2:TGID_X_EN: 1
; COMPUTE_PGM_RSRC2:TGID_Y_EN: 0
; COMPUTE_PGM_RSRC2:TGID_Z_EN: 0
; COMPUTE_PGM_RSRC2:TIDIG_COMP_CNT: 0
	.section	.text._ZN9rocsolver6v33100L18getri_kernel_smallILi14E19rocblas_complex_numIfEPKPS3_EEvT1_iilPiilS8_bb,"axG",@progbits,_ZN9rocsolver6v33100L18getri_kernel_smallILi14E19rocblas_complex_numIfEPKPS3_EEvT1_iilPiilS8_bb,comdat
	.globl	_ZN9rocsolver6v33100L18getri_kernel_smallILi14E19rocblas_complex_numIfEPKPS3_EEvT1_iilPiilS8_bb ; -- Begin function _ZN9rocsolver6v33100L18getri_kernel_smallILi14E19rocblas_complex_numIfEPKPS3_EEvT1_iilPiilS8_bb
	.p2align	8
	.type	_ZN9rocsolver6v33100L18getri_kernel_smallILi14E19rocblas_complex_numIfEPKPS3_EEvT1_iilPiilS8_bb,@function
_ZN9rocsolver6v33100L18getri_kernel_smallILi14E19rocblas_complex_numIfEPKPS3_EEvT1_iilPiilS8_bb: ; @_ZN9rocsolver6v33100L18getri_kernel_smallILi14E19rocblas_complex_numIfEPKPS3_EEvT1_iilPiilS8_bb
; %bb.0:
	s_add_u32 s0, s0, s7
	s_addc_u32 s1, s1, 0
	v_cmp_gt_u32_e32 vcc, 14, v0
	s_and_saveexec_b64 s[8:9], vcc
	s_cbranch_execz .LBB77_70
; %bb.1:
	s_load_dword s18, s[4:5], 0x38
	s_load_dwordx2 s[12:13], s[4:5], 0x0
	s_load_dwordx4 s[8:11], s[4:5], 0x28
	s_waitcnt lgkmcnt(0)
	s_bitcmp1_b32 s18, 8
	s_cselect_b64 s[14:15], -1, 0
	s_ashr_i32 s7, s6, 31
	s_lshl_b64 s[16:17], s[6:7], 3
	s_add_u32 s12, s12, s16
	s_addc_u32 s13, s13, s17
	s_load_dwordx2 s[16:17], s[12:13], 0x0
	s_bfe_u32 s12, s18, 0x10008
	s_cmp_eq_u32 s12, 0
                                        ; implicit-def: $sgpr12_sgpr13
	s_cbranch_scc1 .LBB77_3
; %bb.2:
	s_load_dword s12, s[4:5], 0x20
	s_load_dwordx2 s[18:19], s[4:5], 0x18
	s_mul_i32 s13, s8, s7
	s_mul_hi_u32 s20, s8, s6
	s_add_i32 s20, s20, s13
	s_mul_i32 s9, s9, s6
	s_add_i32 s9, s20, s9
	s_mul_i32 s8, s8, s6
	s_waitcnt lgkmcnt(0)
	s_ashr_i32 s13, s12, 31
	s_lshl_b64 s[8:9], s[8:9], 2
	s_add_u32 s18, s18, s8
	s_addc_u32 s19, s19, s9
	s_lshl_b64 s[8:9], s[12:13], 2
	s_add_u32 s12, s18, s8
	s_addc_u32 s13, s19, s9
.LBB77_3:
	s_load_dwordx2 s[8:9], s[4:5], 0x8
	s_load_dword s18, s[4:5], 0x38
	v_lshlrev_b32_e32 v31, 3, v0
	s_waitcnt lgkmcnt(0)
	s_ashr_i32 s5, s8, 31
	s_mov_b32 s4, s8
	s_lshl_b64 s[4:5], s[4:5], 3
	s_add_u32 s8, s16, s4
	s_addc_u32 s16, s17, s5
	v_mov_b32_e32 v2, s16
	v_add_co_u32_e32 v1, vcc, s8, v31
	v_addc_co_u32_e32 v2, vcc, 0, v2, vcc
	flat_load_dwordx2 v[5:6], v[1:2]
	s_mov_b32 s4, s9
	s_ashr_i32 s5, s9, 31
	s_lshl_b64 s[4:5], s[4:5], 3
	v_mov_b32_e32 v4, s5
	v_add_co_u32_e32 v3, vcc, s4, v1
	v_addc_co_u32_e32 v4, vcc, v2, v4, vcc
	s_add_i32 s4, s9, s9
	v_add_u32_e32 v9, s4, v0
	v_ashrrev_i32_e32 v10, 31, v9
	v_mov_b32_e32 v11, s16
	v_add_u32_e32 v12, s9, v9
	v_ashrrev_i32_e32 v13, 31, v12
	v_mov_b32_e32 v14, s16
	v_mov_b32_e32 v15, s16
	;; [unrolled: 1-line block ×10, first 2 shown]
	s_bitcmp0_b32 s18, 0
	s_waitcnt vmcnt(0) lgkmcnt(0)
	buffer_store_dword v6, off, s[0:3], 0 offset:4
	buffer_store_dword v5, off, s[0:3], 0
	flat_load_dwordx2 v[7:8], v[3:4]
	v_lshlrev_b64 v[5:6], 3, v[9:10]
	s_waitcnt vmcnt(0) lgkmcnt(0)
	buffer_store_dword v8, off, s[0:3], 0 offset:12
	buffer_store_dword v7, off, s[0:3], 0 offset:8
	v_add_co_u32_e32 v5, vcc, s8, v5
	v_addc_co_u32_e32 v6, vcc, v11, v6, vcc
	flat_load_dwordx2 v[10:11], v[5:6]
	v_lshlrev_b64 v[7:8], 3, v[12:13]
	s_waitcnt vmcnt(0) lgkmcnt(0)
	buffer_store_dword v11, off, s[0:3], 0 offset:20
	buffer_store_dword v10, off, s[0:3], 0 offset:16
	v_add_co_u32_e32 v7, vcc, s8, v7
	v_addc_co_u32_e32 v8, vcc, v14, v8, vcc
	flat_load_dwordx2 v[13:14], v[7:8]
	v_add_u32_e32 v11, s9, v12
	v_ashrrev_i32_e32 v12, 31, v11
	v_lshlrev_b64 v[9:10], 3, v[11:12]
	s_waitcnt vmcnt(0) lgkmcnt(0)
	buffer_store_dword v14, off, s[0:3], 0 offset:28
	buffer_store_dword v13, off, s[0:3], 0 offset:24
	v_add_co_u32_e32 v9, vcc, s8, v9
	v_addc_co_u32_e32 v10, vcc, v15, v10, vcc
	flat_load_dwordx2 v[13:14], v[9:10]
	v_add_u32_e32 v15, s9, v11
	v_ashrrev_i32_e32 v16, 31, v15
	v_lshlrev_b64 v[11:12], 3, v[15:16]
	v_add_u32_e32 v18, s9, v15
	v_add_co_u32_e32 v11, vcc, s8, v11
	v_addc_co_u32_e32 v12, vcc, v17, v12, vcc
	v_ashrrev_i32_e32 v19, 31, v18
	s_waitcnt vmcnt(0) lgkmcnt(0)
	buffer_store_dword v14, off, s[0:3], 0 offset:36
	buffer_store_dword v13, off, s[0:3], 0 offset:32
	flat_load_dwordx2 v[16:17], v[11:12]
	v_lshlrev_b64 v[13:14], 3, v[18:19]
	s_waitcnt vmcnt(0) lgkmcnt(0)
	buffer_store_dword v17, off, s[0:3], 0 offset:44
	buffer_store_dword v16, off, s[0:3], 0 offset:40
	v_add_co_u32_e32 v13, vcc, s8, v13
	v_addc_co_u32_e32 v14, vcc, v20, v14, vcc
	flat_load_dwordx2 v[19:20], v[13:14]
	v_add_u32_e32 v17, s9, v18
	v_ashrrev_i32_e32 v18, 31, v17
	v_lshlrev_b64 v[15:16], 3, v[17:18]
	s_waitcnt vmcnt(0) lgkmcnt(0)
	buffer_store_dword v20, off, s[0:3], 0 offset:52
	buffer_store_dword v19, off, s[0:3], 0 offset:48
	v_add_co_u32_e32 v15, vcc, s8, v15
	v_addc_co_u32_e32 v16, vcc, v21, v16, vcc
	flat_load_dwordx2 v[19:20], v[15:16]
	v_add_u32_e32 v21, s9, v17
	v_ashrrev_i32_e32 v22, 31, v21
	v_lshlrev_b64 v[17:18], 3, v[21:22]
	v_add_u32_e32 v24, s9, v21
	v_add_co_u32_e32 v17, vcc, s8, v17
	v_addc_co_u32_e32 v18, vcc, v23, v18, vcc
	v_ashrrev_i32_e32 v25, 31, v24
	s_waitcnt vmcnt(0) lgkmcnt(0)
	buffer_store_dword v20, off, s[0:3], 0 offset:60
	buffer_store_dword v19, off, s[0:3], 0 offset:56
	flat_load_dwordx2 v[22:23], v[17:18]
	v_lshlrev_b64 v[19:20], 3, v[24:25]
	s_waitcnt vmcnt(0) lgkmcnt(0)
	buffer_store_dword v23, off, s[0:3], 0 offset:68
	buffer_store_dword v22, off, s[0:3], 0 offset:64
	v_add_co_u32_e32 v19, vcc, s8, v19
	v_addc_co_u32_e32 v20, vcc, v26, v20, vcc
	flat_load_dwordx2 v[25:26], v[19:20]
	v_add_u32_e32 v23, s9, v24
	v_ashrrev_i32_e32 v24, 31, v23
	v_lshlrev_b64 v[21:22], 3, v[23:24]
	s_waitcnt vmcnt(0) lgkmcnt(0)
	buffer_store_dword v26, off, s[0:3], 0 offset:76
	buffer_store_dword v25, off, s[0:3], 0 offset:72
	v_add_co_u32_e32 v21, vcc, s8, v21
	v_addc_co_u32_e32 v22, vcc, v27, v22, vcc
	flat_load_dwordx2 v[25:26], v[21:22]
	v_add_u32_e32 v27, s9, v23
	v_ashrrev_i32_e32 v28, 31, v27
	v_lshlrev_b64 v[23:24], 3, v[27:28]
	v_add_u32_e32 v32, s9, v27
	v_add_co_u32_e32 v23, vcc, s8, v23
	v_addc_co_u32_e32 v24, vcc, v29, v24, vcc
	v_ashrrev_i32_e32 v33, 31, v32
	v_add_u32_e32 v27, s9, v32
	s_waitcnt vmcnt(0) lgkmcnt(0)
	buffer_store_dword v26, off, s[0:3], 0 offset:84
	buffer_store_dword v25, off, s[0:3], 0 offset:80
	flat_load_dwordx2 v[28:29], v[23:24]
	v_lshlrev_b64 v[25:26], 3, v[32:33]
	v_mov_b32_e32 v33, s16
	v_add_co_u32_e32 v25, vcc, s8, v25
	v_addc_co_u32_e32 v26, vcc, v30, v26, vcc
	s_waitcnt vmcnt(0) lgkmcnt(0)
	buffer_store_dword v29, off, s[0:3], 0 offset:92
	buffer_store_dword v28, off, s[0:3], 0 offset:88
	flat_load_dwordx2 v[29:30], v[25:26]
	v_ashrrev_i32_e32 v28, 31, v27
	v_lshlrev_b64 v[27:28], 3, v[27:28]
	s_waitcnt vmcnt(0) lgkmcnt(0)
	buffer_store_dword v30, off, s[0:3], 0 offset:100
	buffer_store_dword v29, off, s[0:3], 0 offset:96
	v_add_co_u32_e32 v27, vcc, s8, v27
	v_addc_co_u32_e32 v28, vcc, v33, v28, vcc
	flat_load_dwordx2 v[29:30], v[27:28]
	s_mov_b64 s[8:9], -1
	s_waitcnt vmcnt(0) lgkmcnt(0)
	buffer_store_dword v30, off, s[0:3], 0 offset:108
	buffer_store_dword v29, off, s[0:3], 0 offset:104
	s_cbranch_scc1 .LBB77_68
; %bb.4:
	v_cmp_eq_u32_e64 s[4:5], 0, v0
	s_and_saveexec_b64 s[8:9], s[4:5]
; %bb.5:
	v_mov_b32_e32 v29, 0
	ds_write_b32 v29, v29 offset:224
; %bb.6:
	s_or_b64 exec, exec, s[8:9]
	v_mov_b32_e32 v29, 0
	v_lshl_add_u32 v33, v0, 3, v29
	s_waitcnt lgkmcnt(0)
	; wave barrier
	buffer_load_dword v29, v33, s[0:3], 0 offen
	buffer_load_dword v30, v33, s[0:3], 0 offen offset:4
	s_waitcnt vmcnt(1)
	v_cmp_eq_f32_e32 vcc, 0, v29
	s_waitcnt vmcnt(0)
	v_cmp_eq_f32_e64 s[8:9], 0, v30
	s_and_b64 s[8:9], vcc, s[8:9]
	s_and_saveexec_b64 s[16:17], s[8:9]
	s_cbranch_execz .LBB77_10
; %bb.7:
	v_mov_b32_e32 v29, 0
	ds_read_b32 v32, v29 offset:224
	v_add_u32_e32 v30, 1, v0
	s_waitcnt lgkmcnt(0)
	v_readfirstlane_b32 s8, v32
	s_cmp_eq_u32 s8, 0
	s_cselect_b64 s[18:19], -1, 0
	v_cmp_gt_i32_e32 vcc, s8, v30
	s_or_b64 s[18:19], s[18:19], vcc
	s_and_b64 exec, exec, s[18:19]
	s_cbranch_execz .LBB77_10
; %bb.8:
	s_mov_b64 s[18:19], 0
	v_mov_b32_e32 v32, s8
.LBB77_9:                               ; =>This Inner Loop Header: Depth=1
	ds_cmpst_rtn_b32 v32, v29, v32, v30 offset:224
	s_waitcnt lgkmcnt(0)
	v_cmp_ne_u32_e32 vcc, 0, v32
	v_cmp_le_i32_e64 s[8:9], v32, v30
	s_and_b64 s[8:9], vcc, s[8:9]
	s_and_b64 s[8:9], exec, s[8:9]
	s_or_b64 s[18:19], s[8:9], s[18:19]
	s_andn2_b64 exec, exec, s[18:19]
	s_cbranch_execnz .LBB77_9
.LBB77_10:
	s_or_b64 exec, exec, s[16:17]
	v_mov_b32_e32 v30, 0
	; wave barrier
	ds_read_b32 v29, v30 offset:224
	s_and_saveexec_b64 s[8:9], s[4:5]
	s_cbranch_execz .LBB77_12
; %bb.11:
	s_lshl_b64 s[16:17], s[6:7], 2
	s_add_u32 s16, s10, s16
	s_addc_u32 s17, s11, s17
	s_waitcnt lgkmcnt(0)
	global_store_dword v30, v29, s[16:17]
.LBB77_12:
	s_or_b64 exec, exec, s[8:9]
	s_waitcnt lgkmcnt(0)
	v_cmp_ne_u32_e32 vcc, 0, v29
	s_mov_b64 s[8:9], 0
	s_cbranch_vccnz .LBB77_68
; %bb.13:
	buffer_load_dword v30, v33, s[0:3], 0 offen
	buffer_load_dword v32, v33, s[0:3], 0 offen offset:4
                                        ; implicit-def: $vgpr35
                                        ; implicit-def: $vgpr34
                                        ; implicit-def: $vgpr29
	s_waitcnt vmcnt(0)
	v_cmp_ngt_f32_e64 s[8:9], |v30|, |v32|
	s_and_saveexec_b64 s[16:17], s[8:9]
	s_xor_b64 s[8:9], exec, s[16:17]
	s_cbranch_execz .LBB77_15
; %bb.14:
	v_div_scale_f32 v29, s[16:17], v32, v32, v30
	v_div_scale_f32 v34, vcc, v30, v32, v30
	v_rcp_f32_e32 v35, v29
	v_fma_f32 v36, -v29, v35, 1.0
	v_fmac_f32_e32 v35, v36, v35
	v_mul_f32_e32 v36, v34, v35
	v_fma_f32 v37, -v29, v36, v34
	v_fmac_f32_e32 v36, v37, v35
	v_fma_f32 v29, -v29, v36, v34
	v_div_fmas_f32 v29, v29, v35, v36
	v_div_fixup_f32 v29, v29, v32, v30
	v_fmac_f32_e32 v32, v30, v29
	v_div_scale_f32 v30, s[16:17], v32, v32, 1.0
	v_div_scale_f32 v34, vcc, 1.0, v32, 1.0
	v_rcp_f32_e32 v35, v30
	v_fma_f32 v36, -v30, v35, 1.0
	v_fmac_f32_e32 v35, v36, v35
	v_mul_f32_e32 v36, v34, v35
	v_fma_f32 v37, -v30, v36, v34
	v_fmac_f32_e32 v36, v37, v35
	v_fma_f32 v30, -v30, v36, v34
	v_div_fmas_f32 v30, v30, v35, v36
	v_div_fixup_f32 v30, v30, v32, 1.0
	v_mul_f32_e32 v35, v29, v30
	v_xor_b32_e32 v34, 0x80000000, v30
	v_xor_b32_e32 v29, 0x80000000, v35
                                        ; implicit-def: $vgpr30
                                        ; implicit-def: $vgpr32
.LBB77_15:
	s_andn2_saveexec_b64 s[8:9], s[8:9]
	s_cbranch_execz .LBB77_17
; %bb.16:
	v_div_scale_f32 v29, s[16:17], v30, v30, v32
	v_div_scale_f32 v34, vcc, v32, v30, v32
	v_rcp_f32_e32 v35, v29
	v_fma_f32 v36, -v29, v35, 1.0
	v_fmac_f32_e32 v35, v36, v35
	v_mul_f32_e32 v36, v34, v35
	v_fma_f32 v37, -v29, v36, v34
	v_fmac_f32_e32 v36, v37, v35
	v_fma_f32 v29, -v29, v36, v34
	v_div_fmas_f32 v29, v29, v35, v36
	v_div_fixup_f32 v34, v29, v30, v32
	v_fmac_f32_e32 v30, v32, v34
	v_div_scale_f32 v29, s[16:17], v30, v30, 1.0
	v_div_scale_f32 v32, vcc, 1.0, v30, 1.0
	v_rcp_f32_e32 v35, v29
	v_fma_f32 v36, -v29, v35, 1.0
	v_fmac_f32_e32 v35, v36, v35
	v_mul_f32_e32 v36, v32, v35
	v_fma_f32 v37, -v29, v36, v32
	v_fmac_f32_e32 v36, v37, v35
	v_fma_f32 v29, -v29, v36, v32
	v_div_fmas_f32 v29, v29, v35, v36
	v_div_fixup_f32 v35, v29, v30, 1.0
	v_xor_b32_e32 v29, 0x80000000, v35
	v_mul_f32_e64 v34, v34, -v35
.LBB77_17:
	s_or_b64 exec, exec, s[8:9]
	buffer_store_dword v35, v33, s[0:3], 0 offen
	buffer_store_dword v34, v33, s[0:3], 0 offen offset:4
	buffer_load_dword v36, off, s[0:3], 0 offset:12
	s_nop 0
	buffer_load_dword v35, off, s[0:3], 0 offset:8
	v_xor_b32_e32 v30, 0x80000000, v34
	v_add_u32_e32 v32, 0x70, v31
	s_waitcnt vmcnt(0)
	ds_write2_b64 v31, v[29:30], v[35:36] offset1:14
	s_waitcnt lgkmcnt(0)
	; wave barrier
	s_and_saveexec_b64 s[8:9], s[4:5]
	s_cbranch_execz .LBB77_19
; %bb.18:
	buffer_load_dword v36, v33, s[0:3], 0 offen offset:4
	buffer_load_dword v37, v33, s[0:3], 0 offen
	ds_read_b64 v[29:30], v32
	v_mov_b32_e32 v34, 0
	ds_read_b64 v[34:35], v34 offset:8
	s_waitcnt vmcnt(1) lgkmcnt(1)
	v_mul_f32_e32 v38, v30, v36
	v_mul_f32_e32 v36, v29, v36
	s_waitcnt vmcnt(0)
	v_fmac_f32_e32 v36, v30, v37
	v_fma_f32 v29, v29, v37, -v38
	v_add_f32_e32 v30, 0, v36
	v_add_f32_e32 v29, 0, v29
	s_waitcnt lgkmcnt(0)
	v_mul_f32_e32 v36, v30, v35
	v_mul_f32_e32 v35, v29, v35
	v_fma_f32 v29, v29, v34, -v36
	v_fmac_f32_e32 v35, v30, v34
	buffer_store_dword v29, off, s[0:3], 0 offset:8
	buffer_store_dword v35, off, s[0:3], 0 offset:12
.LBB77_19:
	s_or_b64 exec, exec, s[8:9]
	; wave barrier
	buffer_load_dword v29, off, s[0:3], 0 offset:16
	buffer_load_dword v30, off, s[0:3], 0 offset:20
	v_cmp_gt_u32_e32 vcc, 2, v0
	s_waitcnt vmcnt(0)
	ds_write_b64 v32, v[29:30]
	s_waitcnt lgkmcnt(0)
	; wave barrier
	s_and_saveexec_b64 s[8:9], vcc
	s_cbranch_execz .LBB77_23
; %bb.20:
	buffer_load_dword v34, v33, s[0:3], 0 offen offset:4
	buffer_load_dword v35, v33, s[0:3], 0 offen
	ds_read_b64 v[29:30], v32
	s_waitcnt vmcnt(1) lgkmcnt(0)
	v_mul_f32_e32 v33, v30, v34
	v_mul_f32_e32 v34, v29, v34
	s_waitcnt vmcnt(0)
	v_fma_f32 v29, v29, v35, -v33
	v_fmac_f32_e32 v34, v30, v35
	v_add_f32_e32 v30, 0, v29
	v_add_f32_e32 v29, 0, v34
	s_and_saveexec_b64 s[16:17], s[4:5]
	s_cbranch_execz .LBB77_22
; %bb.21:
	buffer_load_dword v35, off, s[0:3], 0 offset:12
	buffer_load_dword v36, off, s[0:3], 0 offset:8
	v_mov_b32_e32 v33, 0
	ds_read_b64 v[33:34], v33 offset:120
	s_waitcnt vmcnt(1) lgkmcnt(0)
	v_mul_f32_e32 v37, v33, v35
	v_mul_f32_e32 v35, v34, v35
	s_waitcnt vmcnt(0)
	v_fmac_f32_e32 v37, v34, v36
	v_fma_f32 v33, v33, v36, -v35
	v_add_f32_e32 v29, v29, v37
	v_add_f32_e32 v30, v30, v33
.LBB77_22:
	s_or_b64 exec, exec, s[16:17]
	v_mov_b32_e32 v33, 0
	ds_read_b64 v[33:34], v33 offset:16
	s_waitcnt lgkmcnt(0)
	v_mul_f32_e32 v35, v29, v34
	v_mul_f32_e32 v34, v30, v34
	v_fma_f32 v30, v30, v33, -v35
	v_fmac_f32_e32 v34, v29, v33
	buffer_store_dword v30, off, s[0:3], 0 offset:16
	buffer_store_dword v34, off, s[0:3], 0 offset:20
.LBB77_23:
	s_or_b64 exec, exec, s[8:9]
	; wave barrier
	buffer_load_dword v29, off, s[0:3], 0 offset:24
	buffer_load_dword v30, off, s[0:3], 0 offset:28
	v_cmp_gt_u32_e32 vcc, 3, v0
	s_waitcnt vmcnt(0)
	ds_write_b64 v32, v[29:30]
	v_add_u32_e32 v29, -1, v0
	s_waitcnt lgkmcnt(0)
	; wave barrier
	s_and_saveexec_b64 s[4:5], vcc
	s_cbranch_execz .LBB77_27
; %bb.24:
	v_add_u32_e32 v33, -1, v0
	v_add_u32_e32 v34, 0x70, v31
	v_mov_b32_e32 v35, v31
	v_mov_b32_e32 v30, 0
	s_mov_b64 s[8:9], 0
	v_mov_b32_e32 v36, 0
.LBB77_25:                              ; =>This Inner Loop Header: Depth=1
	buffer_load_dword v39, v35, s[0:3], 0 offen offset:4
	buffer_load_dword v40, v35, s[0:3], 0 offen
	ds_read_b64 v[37:38], v34
	v_add_u32_e32 v33, 1, v33
	v_cmp_lt_u32_e32 vcc, 1, v33
	v_add_u32_e32 v34, 8, v34
	v_add_u32_e32 v35, 8, v35
	s_or_b64 s[8:9], vcc, s[8:9]
	s_waitcnt vmcnt(1) lgkmcnt(0)
	v_mul_f32_e32 v41, v38, v39
	v_mul_f32_e32 v39, v37, v39
	s_waitcnt vmcnt(0)
	v_fma_f32 v37, v37, v40, -v41
	v_fmac_f32_e32 v39, v38, v40
	v_add_f32_e32 v36, v36, v37
	v_add_f32_e32 v30, v30, v39
	s_andn2_b64 exec, exec, s[8:9]
	s_cbranch_execnz .LBB77_25
; %bb.26:
	s_or_b64 exec, exec, s[8:9]
	v_mov_b32_e32 v33, 0
	ds_read_b64 v[33:34], v33 offset:24
	s_waitcnt lgkmcnt(0)
	v_mul_f32_e32 v35, v30, v34
	v_mul_f32_e32 v34, v36, v34
	v_fma_f32 v35, v36, v33, -v35
	v_fmac_f32_e32 v34, v30, v33
	buffer_store_dword v35, off, s[0:3], 0 offset:24
	buffer_store_dword v34, off, s[0:3], 0 offset:28
.LBB77_27:
	s_or_b64 exec, exec, s[4:5]
	; wave barrier
	buffer_load_dword v33, off, s[0:3], 0 offset:32
	buffer_load_dword v34, off, s[0:3], 0 offset:36
	v_cmp_gt_u32_e32 vcc, 4, v0
	s_waitcnt vmcnt(0)
	ds_write_b64 v32, v[33:34]
	s_waitcnt lgkmcnt(0)
	; wave barrier
	s_and_saveexec_b64 s[4:5], vcc
	s_cbranch_execz .LBB77_31
; %bb.28:
	v_add_u32_e32 v33, -1, v0
	v_add_u32_e32 v34, 0x70, v31
	v_mov_b32_e32 v35, v31
	v_mov_b32_e32 v30, 0
	s_mov_b64 s[8:9], 0
	v_mov_b32_e32 v36, 0
.LBB77_29:                              ; =>This Inner Loop Header: Depth=1
	buffer_load_dword v39, v35, s[0:3], 0 offen offset:4
	buffer_load_dword v40, v35, s[0:3], 0 offen
	ds_read_b64 v[37:38], v34
	v_add_u32_e32 v33, 1, v33
	v_cmp_lt_u32_e32 vcc, 2, v33
	v_add_u32_e32 v34, 8, v34
	v_add_u32_e32 v35, 8, v35
	s_or_b64 s[8:9], vcc, s[8:9]
	s_waitcnt vmcnt(1) lgkmcnt(0)
	v_mul_f32_e32 v41, v38, v39
	v_mul_f32_e32 v39, v37, v39
	s_waitcnt vmcnt(0)
	v_fma_f32 v37, v37, v40, -v41
	v_fmac_f32_e32 v39, v38, v40
	v_add_f32_e32 v36, v36, v37
	v_add_f32_e32 v30, v30, v39
	s_andn2_b64 exec, exec, s[8:9]
	s_cbranch_execnz .LBB77_29
; %bb.30:
	s_or_b64 exec, exec, s[8:9]
	v_mov_b32_e32 v33, 0
	ds_read_b64 v[33:34], v33 offset:32
	s_waitcnt lgkmcnt(0)
	v_mul_f32_e32 v35, v30, v34
	v_mul_f32_e32 v34, v36, v34
	v_fma_f32 v35, v36, v33, -v35
	v_fmac_f32_e32 v34, v30, v33
	buffer_store_dword v35, off, s[0:3], 0 offset:32
	buffer_store_dword v34, off, s[0:3], 0 offset:36
.LBB77_31:
	s_or_b64 exec, exec, s[4:5]
	; wave barrier
	buffer_load_dword v33, off, s[0:3], 0 offset:40
	buffer_load_dword v34, off, s[0:3], 0 offset:44
	v_cmp_gt_u32_e32 vcc, 5, v0
	s_waitcnt vmcnt(0)
	ds_write_b64 v32, v[33:34]
	;; [unrolled: 49-line block ×9, first 2 shown]
	s_waitcnt lgkmcnt(0)
	; wave barrier
	s_and_saveexec_b64 s[4:5], vcc
	s_cbranch_execz .LBB77_63
; %bb.60:
	v_add_u32_e32 v33, -1, v0
	v_add_u32_e32 v34, 0x70, v31
	v_mov_b32_e32 v35, v31
	v_mov_b32_e32 v30, 0
	s_mov_b64 s[8:9], 0
	v_mov_b32_e32 v36, 0
.LBB77_61:                              ; =>This Inner Loop Header: Depth=1
	buffer_load_dword v39, v35, s[0:3], 0 offen offset:4
	buffer_load_dword v40, v35, s[0:3], 0 offen
	ds_read_b64 v[37:38], v34
	v_add_u32_e32 v33, 1, v33
	v_cmp_lt_u32_e32 vcc, 10, v33
	v_add_u32_e32 v34, 8, v34
	v_add_u32_e32 v35, 8, v35
	s_or_b64 s[8:9], vcc, s[8:9]
	s_waitcnt vmcnt(1) lgkmcnt(0)
	v_mul_f32_e32 v41, v38, v39
	v_mul_f32_e32 v39, v37, v39
	s_waitcnt vmcnt(0)
	v_fma_f32 v37, v37, v40, -v41
	v_fmac_f32_e32 v39, v38, v40
	v_add_f32_e32 v36, v36, v37
	v_add_f32_e32 v30, v30, v39
	s_andn2_b64 exec, exec, s[8:9]
	s_cbranch_execnz .LBB77_61
; %bb.62:
	s_or_b64 exec, exec, s[8:9]
	v_mov_b32_e32 v33, 0
	ds_read_b64 v[33:34], v33 offset:96
	s_waitcnt lgkmcnt(0)
	v_mul_f32_e32 v35, v30, v34
	v_mul_f32_e32 v34, v36, v34
	v_fma_f32 v35, v36, v33, -v35
	v_fmac_f32_e32 v34, v30, v33
	buffer_store_dword v35, off, s[0:3], 0 offset:96
	buffer_store_dword v34, off, s[0:3], 0 offset:100
.LBB77_63:
	s_or_b64 exec, exec, s[4:5]
	; wave barrier
	buffer_load_dword v33, off, s[0:3], 0 offset:104
	buffer_load_dword v34, off, s[0:3], 0 offset:108
	v_cmp_ne_u32_e32 vcc, 13, v0
	s_waitcnt vmcnt(0)
	ds_write_b64 v32, v[33:34]
	s_waitcnt lgkmcnt(0)
	; wave barrier
	s_and_saveexec_b64 s[4:5], vcc
	s_cbranch_execz .LBB77_67
; %bb.64:
	v_add_u32_e32 v32, 0x70, v31
	v_mov_b32_e32 v30, 0
	s_mov_b64 s[8:9], 0
	v_mov_b32_e32 v33, 0
.LBB77_65:                              ; =>This Inner Loop Header: Depth=1
	buffer_load_dword v36, v31, s[0:3], 0 offen offset:4
	buffer_load_dword v37, v31, s[0:3], 0 offen
	ds_read_b64 v[34:35], v32
	v_add_u32_e32 v29, 1, v29
	v_cmp_lt_u32_e32 vcc, 11, v29
	v_add_u32_e32 v32, 8, v32
	v_add_u32_e32 v31, 8, v31
	s_or_b64 s[8:9], vcc, s[8:9]
	s_waitcnt vmcnt(1) lgkmcnt(0)
	v_mul_f32_e32 v38, v35, v36
	v_mul_f32_e32 v36, v34, v36
	s_waitcnt vmcnt(0)
	v_fma_f32 v34, v34, v37, -v38
	v_fmac_f32_e32 v36, v35, v37
	v_add_f32_e32 v33, v33, v34
	v_add_f32_e32 v30, v30, v36
	s_andn2_b64 exec, exec, s[8:9]
	s_cbranch_execnz .LBB77_65
; %bb.66:
	s_or_b64 exec, exec, s[8:9]
	v_mov_b32_e32 v29, 0
	ds_read_b64 v[31:32], v29 offset:104
	s_waitcnt lgkmcnt(0)
	v_mul_f32_e32 v29, v30, v32
	v_mul_f32_e32 v32, v33, v32
	v_fma_f32 v29, v33, v31, -v29
	v_fmac_f32_e32 v32, v30, v31
	buffer_store_dword v29, off, s[0:3], 0 offset:104
	buffer_store_dword v32, off, s[0:3], 0 offset:108
.LBB77_67:
	s_or_b64 exec, exec, s[4:5]
	s_mov_b64 s[8:9], -1
	; wave barrier
.LBB77_68:
	s_and_b64 vcc, exec, s[8:9]
	s_cbranch_vccz .LBB77_70
; %bb.69:
	s_lshl_b64 s[4:5], s[6:7], 2
	s_add_u32 s4, s10, s4
	s_addc_u32 s5, s11, s5
	v_mov_b32_e32 v29, 0
	global_load_dword v29, v29, s[4:5]
	s_waitcnt vmcnt(0)
	v_cmp_ne_u32_e32 vcc, 0, v29
	s_cbranch_vccz .LBB77_71
.LBB77_70:
	s_endpgm
.LBB77_71:
	v_mov_b32_e32 v29, 0x70
	v_lshl_add_u32 v29, v0, 3, v29
	v_cmp_eq_u32_e32 vcc, 13, v0
	s_and_saveexec_b64 s[4:5], vcc
	s_cbranch_execz .LBB77_73
; %bb.72:
	buffer_load_dword v30, off, s[0:3], 0 offset:96
	buffer_load_dword v31, off, s[0:3], 0 offset:100
	v_mov_b32_e32 v32, 0
	buffer_store_dword v32, off, s[0:3], 0 offset:96
	buffer_store_dword v32, off, s[0:3], 0 offset:100
	s_waitcnt vmcnt(2)
	ds_write_b64 v29, v[30:31]
.LBB77_73:
	s_or_b64 exec, exec, s[4:5]
	s_waitcnt lgkmcnt(0)
	; wave barrier
	buffer_load_dword v33, off, s[0:3], 0 offset:108
	buffer_load_dword v34, off, s[0:3], 0 offset:104
	;; [unrolled: 1-line block ×4, first 2 shown]
	v_mov_b32_e32 v30, 0
	ds_read_b64 v[31:32], v30 offset:216
	v_cmp_lt_u32_e32 vcc, 11, v0
	s_waitcnt vmcnt(3) lgkmcnt(0)
	v_mul_f32_e32 v37, v31, v33
	v_mul_f32_e32 v33, v32, v33
	s_waitcnt vmcnt(2)
	v_fma_f32 v31, v31, v34, -v33
	v_fmac_f32_e32 v37, v32, v34
	v_add_f32_e32 v31, 0, v31
	v_add_f32_e32 v32, 0, v37
	s_waitcnt vmcnt(1)
	v_sub_f32_e32 v31, v35, v31
	s_waitcnt vmcnt(0)
	v_sub_f32_e32 v32, v36, v32
	buffer_store_dword v31, off, s[0:3], 0 offset:96
	buffer_store_dword v32, off, s[0:3], 0 offset:100
	s_and_saveexec_b64 s[4:5], vcc
	s_cbranch_execz .LBB77_75
; %bb.74:
	buffer_load_dword v31, off, s[0:3], 0 offset:88
	buffer_load_dword v32, off, s[0:3], 0 offset:92
	s_waitcnt vmcnt(0)
	ds_write_b64 v29, v[31:32]
	buffer_store_dword v30, off, s[0:3], 0 offset:88
	buffer_store_dword v30, off, s[0:3], 0 offset:92
.LBB77_75:
	s_or_b64 exec, exec, s[4:5]
	s_waitcnt lgkmcnt(0)
	; wave barrier
	buffer_load_dword v34, off, s[0:3], 0 offset:100
	buffer_load_dword v35, off, s[0:3], 0 offset:108
	;; [unrolled: 1-line block ×6, first 2 shown]
	ds_read_b128 v[30:33], v30 offset:208
	v_cmp_lt_u32_e32 vcc, 10, v0
	s_waitcnt vmcnt(5) lgkmcnt(0)
	v_mul_f32_e32 v40, v30, v34
	v_mul_f32_e32 v34, v31, v34
	s_waitcnt vmcnt(4)
	v_mul_f32_e32 v41, v32, v35
	v_mul_f32_e32 v35, v33, v35
	s_waitcnt vmcnt(3)
	v_fma_f32 v30, v30, v36, -v34
	v_fmac_f32_e32 v40, v31, v36
	s_waitcnt vmcnt(2)
	v_fma_f32 v31, v32, v37, -v35
	v_add_f32_e32 v30, 0, v30
	v_fmac_f32_e32 v41, v33, v37
	v_add_f32_e32 v32, 0, v40
	v_add_f32_e32 v30, v30, v31
	;; [unrolled: 1-line block ×3, first 2 shown]
	s_waitcnt vmcnt(1)
	v_sub_f32_e32 v30, v38, v30
	s_waitcnt vmcnt(0)
	v_sub_f32_e32 v31, v39, v32
	buffer_store_dword v30, off, s[0:3], 0 offset:88
	buffer_store_dword v31, off, s[0:3], 0 offset:92
	s_and_saveexec_b64 s[4:5], vcc
	s_cbranch_execz .LBB77_77
; %bb.76:
	buffer_load_dword v30, off, s[0:3], 0 offset:80
	buffer_load_dword v31, off, s[0:3], 0 offset:84
	v_mov_b32_e32 v32, 0
	buffer_store_dword v32, off, s[0:3], 0 offset:80
	buffer_store_dword v32, off, s[0:3], 0 offset:84
	s_waitcnt vmcnt(2)
	ds_write_b64 v29, v[30:31]
.LBB77_77:
	s_or_b64 exec, exec, s[4:5]
	s_waitcnt lgkmcnt(0)
	; wave barrier
	buffer_load_dword v37, off, s[0:3], 0 offset:92
	buffer_load_dword v38, off, s[0:3], 0 offset:100
	;; [unrolled: 1-line block ×8, first 2 shown]
	v_mov_b32_e32 v30, 0
	ds_read2_b64 v[31:34], v30 offset0:25 offset1:26
	ds_read_b64 v[35:36], v30 offset:216
	v_cmp_lt_u32_e32 vcc, 9, v0
	s_waitcnt vmcnt(7) lgkmcnt(1)
	v_mul_f32_e32 v45, v31, v37
	v_mul_f32_e32 v37, v32, v37
	s_waitcnt vmcnt(6)
	v_mul_f32_e32 v46, v33, v38
	v_mul_f32_e32 v38, v34, v38
	s_waitcnt vmcnt(4)
	v_fma_f32 v31, v31, v40, -v37
	s_waitcnt lgkmcnt(0)
	v_mul_f32_e32 v47, v35, v39
	v_mul_f32_e32 v39, v36, v39
	v_fmac_f32_e32 v45, v32, v40
	s_waitcnt vmcnt(3)
	v_fma_f32 v32, v33, v41, -v38
	v_add_f32_e32 v31, 0, v31
	v_fmac_f32_e32 v46, v34, v41
	s_waitcnt vmcnt(2)
	v_fma_f32 v33, v35, v42, -v39
	v_add_f32_e32 v34, 0, v45
	v_add_f32_e32 v31, v31, v32
	v_fmac_f32_e32 v47, v36, v42
	v_add_f32_e32 v34, v34, v46
	v_add_f32_e32 v31, v31, v33
	;; [unrolled: 1-line block ×3, first 2 shown]
	s_waitcnt vmcnt(1)
	v_sub_f32_e32 v31, v43, v31
	s_waitcnt vmcnt(0)
	v_sub_f32_e32 v32, v44, v32
	buffer_store_dword v31, off, s[0:3], 0 offset:80
	buffer_store_dword v32, off, s[0:3], 0 offset:84
	s_and_saveexec_b64 s[4:5], vcc
	s_cbranch_execz .LBB77_79
; %bb.78:
	buffer_load_dword v31, off, s[0:3], 0 offset:72
	buffer_load_dword v32, off, s[0:3], 0 offset:76
	s_waitcnt vmcnt(0)
	ds_write_b64 v29, v[31:32]
	buffer_store_dword v30, off, s[0:3], 0 offset:72
	buffer_store_dword v30, off, s[0:3], 0 offset:76
.LBB77_79:
	s_or_b64 exec, exec, s[4:5]
	s_waitcnt lgkmcnt(0)
	; wave barrier
	buffer_load_dword v39, off, s[0:3], 0 offset:84
	buffer_load_dword v40, off, s[0:3], 0 offset:92
	;; [unrolled: 1-line block ×10, first 2 shown]
	ds_read_b128 v[31:34], v30 offset:192
	ds_read_b128 v[35:38], v30 offset:208
	v_cmp_lt_u32_e32 vcc, 8, v0
	s_waitcnt vmcnt(9) lgkmcnt(1)
	v_mul_f32_e32 v30, v31, v39
	v_mul_f32_e32 v39, v32, v39
	s_waitcnt vmcnt(8)
	v_mul_f32_e32 v49, v33, v40
	v_mul_f32_e32 v40, v34, v40
	s_waitcnt vmcnt(5)
	v_fma_f32 v31, v31, v43, -v39
	s_waitcnt lgkmcnt(0)
	v_mul_f32_e32 v50, v35, v41
	v_mul_f32_e32 v41, v36, v41
	v_fmac_f32_e32 v30, v32, v43
	s_waitcnt vmcnt(4)
	v_fma_f32 v32, v33, v44, -v40
	v_add_f32_e32 v31, 0, v31
	v_mul_f32_e32 v51, v37, v42
	v_mul_f32_e32 v42, v38, v42
	v_fmac_f32_e32 v49, v34, v44
	s_waitcnt vmcnt(3)
	v_fma_f32 v33, v35, v45, -v41
	v_add_f32_e32 v30, 0, v30
	v_add_f32_e32 v31, v31, v32
	v_fmac_f32_e32 v50, v36, v45
	s_waitcnt vmcnt(2)
	v_fma_f32 v34, v37, v46, -v42
	v_add_f32_e32 v30, v30, v49
	v_add_f32_e32 v31, v31, v33
	v_fmac_f32_e32 v51, v38, v46
	v_add_f32_e32 v30, v30, v50
	v_add_f32_e32 v31, v31, v34
	;; [unrolled: 1-line block ×3, first 2 shown]
	s_waitcnt vmcnt(1)
	v_sub_f32_e32 v31, v47, v31
	s_waitcnt vmcnt(0)
	v_sub_f32_e32 v30, v48, v30
	buffer_store_dword v31, off, s[0:3], 0 offset:72
	buffer_store_dword v30, off, s[0:3], 0 offset:76
	s_and_saveexec_b64 s[4:5], vcc
	s_cbranch_execz .LBB77_81
; %bb.80:
	buffer_load_dword v30, off, s[0:3], 0 offset:64
	buffer_load_dword v31, off, s[0:3], 0 offset:68
	v_mov_b32_e32 v32, 0
	buffer_store_dword v32, off, s[0:3], 0 offset:64
	buffer_store_dword v32, off, s[0:3], 0 offset:68
	s_waitcnt vmcnt(2)
	ds_write_b64 v29, v[30:31]
.LBB77_81:
	s_or_b64 exec, exec, s[4:5]
	s_waitcnt lgkmcnt(0)
	; wave barrier
	buffer_load_dword v41, off, s[0:3], 0 offset:76
	buffer_load_dword v42, off, s[0:3], 0 offset:84
	;; [unrolled: 1-line block ×12, first 2 shown]
	v_mov_b32_e32 v30, 0
	ds_read2_b64 v[31:34], v30 offset0:23 offset1:24
	ds_read2_b64 v[35:38], v30 offset0:25 offset1:26
	ds_read_b64 v[39:40], v30 offset:216
	v_cmp_lt_u32_e32 vcc, 7, v0
	s_waitcnt vmcnt(11) lgkmcnt(2)
	v_mul_f32_e32 v53, v31, v41
	v_mul_f32_e32 v41, v32, v41
	s_waitcnt vmcnt(10)
	v_mul_f32_e32 v54, v33, v42
	v_mul_f32_e32 v42, v34, v42
	s_waitcnt vmcnt(9) lgkmcnt(1)
	v_mul_f32_e32 v55, v35, v43
	s_waitcnt vmcnt(6)
	v_fma_f32 v31, v31, v46, -v41
	v_mul_f32_e32 v43, v36, v43
	v_fmac_f32_e32 v53, v32, v46
	s_waitcnt vmcnt(5)
	v_fma_f32 v32, v33, v47, -v42
	v_add_f32_e32 v31, 0, v31
	v_mul_f32_e32 v56, v37, v44
	v_mul_f32_e32 v44, v38, v44
	v_fmac_f32_e32 v54, v34, v47
	s_waitcnt vmcnt(4)
	v_fmac_f32_e32 v55, v36, v48
	v_fma_f32 v33, v35, v48, -v43
	v_add_f32_e32 v36, 0, v53
	v_add_f32_e32 v31, v31, v32
	s_waitcnt lgkmcnt(0)
	v_mul_f32_e32 v57, v39, v45
	v_mul_f32_e32 v45, v40, v45
	s_waitcnt vmcnt(3)
	v_fma_f32 v34, v37, v49, -v44
	v_add_f32_e32 v36, v36, v54
	v_add_f32_e32 v31, v31, v33
	v_fmac_f32_e32 v56, v38, v49
	s_waitcnt vmcnt(2)
	v_fma_f32 v35, v39, v50, -v45
	v_add_f32_e32 v32, v36, v55
	v_add_f32_e32 v31, v31, v34
	v_fmac_f32_e32 v57, v40, v50
	v_add_f32_e32 v32, v32, v56
	v_add_f32_e32 v31, v31, v35
	;; [unrolled: 1-line block ×3, first 2 shown]
	s_waitcnt vmcnt(1)
	v_sub_f32_e32 v31, v51, v31
	s_waitcnt vmcnt(0)
	v_sub_f32_e32 v32, v52, v32
	buffer_store_dword v31, off, s[0:3], 0 offset:64
	buffer_store_dword v32, off, s[0:3], 0 offset:68
	s_and_saveexec_b64 s[4:5], vcc
	s_cbranch_execz .LBB77_83
; %bb.82:
	buffer_load_dword v31, off, s[0:3], 0 offset:56
	buffer_load_dword v32, off, s[0:3], 0 offset:60
	s_waitcnt vmcnt(0)
	ds_write_b64 v29, v[31:32]
	buffer_store_dword v30, off, s[0:3], 0 offset:56
	buffer_store_dword v30, off, s[0:3], 0 offset:60
.LBB77_83:
	s_or_b64 exec, exec, s[4:5]
	s_waitcnt lgkmcnt(0)
	; wave barrier
	buffer_load_dword v43, off, s[0:3], 0 offset:68
	buffer_load_dword v44, off, s[0:3], 0 offset:76
	;; [unrolled: 1-line block ×14, first 2 shown]
	ds_read_b128 v[31:34], v30 offset:176
	ds_read_b128 v[35:38], v30 offset:192
	;; [unrolled: 1-line block ×3, first 2 shown]
	v_cmp_lt_u32_e32 vcc, 6, v0
	s_waitcnt vmcnt(13) lgkmcnt(2)
	v_mul_f32_e32 v30, v31, v43
	v_mul_f32_e32 v43, v32, v43
	s_waitcnt vmcnt(12)
	v_mul_f32_e32 v57, v33, v44
	v_mul_f32_e32 v44, v34, v44
	s_waitcnt vmcnt(11) lgkmcnt(1)
	v_mul_f32_e32 v58, v35, v45
	v_mul_f32_e32 v45, v36, v45
	s_waitcnt vmcnt(7)
	v_fma_f32 v31, v31, v49, -v43
	v_fmac_f32_e32 v30, v32, v49
	s_waitcnt vmcnt(6)
	v_fma_f32 v32, v33, v50, -v44
	v_add_f32_e32 v31, 0, v31
	v_mul_f32_e32 v59, v37, v46
	v_mul_f32_e32 v46, v38, v46
	v_fmac_f32_e32 v57, v34, v50
	s_waitcnt vmcnt(5)
	v_fma_f32 v33, v35, v51, -v45
	v_add_f32_e32 v30, 0, v30
	v_add_f32_e32 v31, v31, v32
	s_waitcnt lgkmcnt(0)
	v_mul_f32_e32 v60, v39, v47
	v_mul_f32_e32 v47, v40, v47
	v_fmac_f32_e32 v58, v36, v51
	s_waitcnt vmcnt(4)
	v_fma_f32 v34, v37, v52, -v46
	v_add_f32_e32 v30, v30, v57
	v_add_f32_e32 v31, v31, v33
	v_mul_f32_e32 v61, v41, v48
	v_mul_f32_e32 v48, v42, v48
	v_fmac_f32_e32 v59, v38, v52
	s_waitcnt vmcnt(3)
	v_fma_f32 v35, v39, v53, -v47
	v_add_f32_e32 v30, v30, v58
	v_add_f32_e32 v31, v31, v34
	v_fmac_f32_e32 v60, v40, v53
	s_waitcnt vmcnt(2)
	v_fma_f32 v36, v41, v54, -v48
	v_add_f32_e32 v30, v30, v59
	v_add_f32_e32 v31, v31, v35
	v_fmac_f32_e32 v61, v42, v54
	v_add_f32_e32 v30, v30, v60
	v_add_f32_e32 v31, v31, v36
	;; [unrolled: 1-line block ×3, first 2 shown]
	s_waitcnt vmcnt(1)
	v_sub_f32_e32 v31, v55, v31
	s_waitcnt vmcnt(0)
	v_sub_f32_e32 v30, v56, v30
	buffer_store_dword v31, off, s[0:3], 0 offset:56
	buffer_store_dword v30, off, s[0:3], 0 offset:60
	s_and_saveexec_b64 s[4:5], vcc
	s_cbranch_execz .LBB77_85
; %bb.84:
	buffer_load_dword v30, off, s[0:3], 0 offset:48
	buffer_load_dword v31, off, s[0:3], 0 offset:52
	v_mov_b32_e32 v32, 0
	buffer_store_dword v32, off, s[0:3], 0 offset:48
	buffer_store_dword v32, off, s[0:3], 0 offset:52
	s_waitcnt vmcnt(2)
	ds_write_b64 v29, v[30:31]
.LBB77_85:
	s_or_b64 exec, exec, s[4:5]
	v_mov_b32_e32 v30, 0
	s_waitcnt lgkmcnt(0)
	; wave barrier
	ds_read2_b64 v[31:34], v30 offset0:21 offset1:22
	buffer_load_dword v45, off, s[0:3], 0 offset:48
	buffer_load_dword v46, off, s[0:3], 0 offset:52
	;; [unrolled: 1-line block ×16, first 2 shown]
	v_cmp_lt_u32_e32 vcc, 5, v0
	s_waitcnt vmcnt(12) lgkmcnt(0)
	v_mul_f32_e32 v35, v31, v48
	v_fmac_f32_e32 v35, v32, v47
	s_waitcnt vmcnt(10)
	v_mul_f32_e32 v36, v33, v50
	v_add_f32_e32 v35, 0, v35
	v_fmac_f32_e32 v36, v34, v49
	v_add_f32_e32 v39, v35, v36
	ds_read2_b64 v[35:38], v30 offset0:23 offset1:24
	v_mul_f32_e32 v32, v32, v48
	v_fma_f32 v31, v31, v47, -v32
	v_mul_f32_e32 v32, v34, v50
	v_add_f32_e32 v31, 0, v31
	s_waitcnt vmcnt(8) lgkmcnt(0)
	v_mul_f32_e32 v40, v35, v52
	v_fmac_f32_e32 v40, v36, v51
	v_add_f32_e32 v39, v39, v40
	s_waitcnt vmcnt(6)
	v_mul_f32_e32 v40, v37, v54
	v_fmac_f32_e32 v40, v38, v53
	v_add_f32_e32 v43, v39, v40
	ds_read2_b64 v[39:42], v30 offset0:25 offset1:26
	v_fma_f32 v32, v33, v49, -v32
	v_add_f32_e32 v31, v31, v32
	v_mul_f32_e32 v32, v36, v52
	v_fma_f32 v32, v35, v51, -v32
	s_waitcnt vmcnt(4) lgkmcnt(0)
	v_mul_f32_e32 v44, v39, v56
	v_fmac_f32_e32 v44, v40, v55
	v_add_f32_e32 v43, v43, v44
	s_waitcnt vmcnt(2)
	v_mul_f32_e32 v44, v41, v58
	v_fmac_f32_e32 v44, v42, v57
	v_add_f32_e32 v31, v31, v32
	v_mul_f32_e32 v32, v38, v54
	v_add_f32_e32 v61, v43, v44
	ds_read_b64 v[43:44], v30 offset:216
	v_fma_f32 v32, v37, v53, -v32
	v_add_f32_e32 v31, v31, v32
	v_mul_f32_e32 v32, v40, v56
	v_fma_f32 v32, v39, v55, -v32
	v_add_f32_e32 v31, v31, v32
	v_mul_f32_e32 v32, v42, v58
	v_fma_f32 v32, v41, v57, -v32
	v_add_f32_e32 v31, v31, v32
	s_waitcnt vmcnt(0) lgkmcnt(0)
	v_mul_f32_e32 v32, v44, v60
	v_mul_f32_e32 v62, v43, v60
	v_fma_f32 v32, v43, v59, -v32
	v_fmac_f32_e32 v62, v44, v59
	v_add_f32_e32 v31, v31, v32
	v_add_f32_e32 v61, v61, v62
	v_sub_f32_e32 v31, v45, v31
	v_sub_f32_e32 v32, v46, v61
	buffer_store_dword v31, off, s[0:3], 0 offset:48
	buffer_store_dword v32, off, s[0:3], 0 offset:52
	s_and_saveexec_b64 s[4:5], vcc
	s_cbranch_execz .LBB77_87
; %bb.86:
	buffer_load_dword v31, off, s[0:3], 0 offset:40
	buffer_load_dword v32, off, s[0:3], 0 offset:44
	s_waitcnt vmcnt(0)
	ds_write_b64 v29, v[31:32]
	buffer_store_dword v30, off, s[0:3], 0 offset:40
	buffer_store_dword v30, off, s[0:3], 0 offset:44
.LBB77_87:
	s_or_b64 exec, exec, s[4:5]
	s_waitcnt lgkmcnt(0)
	; wave barrier
	buffer_load_dword v47, off, s[0:3], 0 offset:52
	buffer_load_dword v48, off, s[0:3], 0 offset:60
	;; [unrolled: 1-line block ×18, first 2 shown]
	ds_read_b128 v[31:34], v30 offset:160
	ds_read_b128 v[35:38], v30 offset:176
	;; [unrolled: 1-line block ×4, first 2 shown]
	v_cmp_lt_u32_e32 vcc, 4, v0
	s_waitcnt vmcnt(17) lgkmcnt(3)
	v_mul_f32_e32 v30, v31, v47
	v_mul_f32_e32 v47, v32, v47
	s_waitcnt vmcnt(16)
	v_mul_f32_e32 v65, v33, v48
	v_mul_f32_e32 v48, v34, v48
	s_waitcnt vmcnt(15) lgkmcnt(2)
	v_mul_f32_e32 v66, v35, v49
	v_mul_f32_e32 v49, v36, v49
	s_waitcnt vmcnt(14)
	v_mul_f32_e32 v67, v37, v50
	v_mul_f32_e32 v50, v38, v50
	s_waitcnt vmcnt(9)
	v_fma_f32 v31, v31, v55, -v47
	v_fmac_f32_e32 v30, v32, v55
	s_waitcnt vmcnt(8)
	v_fma_f32 v32, v33, v56, -v48
	v_add_f32_e32 v31, 0, v31
	v_fmac_f32_e32 v65, v34, v56
	s_waitcnt vmcnt(7)
	v_fma_f32 v33, v35, v57, -v49
	v_add_f32_e32 v30, 0, v30
	v_add_f32_e32 v31, v31, v32
	s_waitcnt lgkmcnt(1)
	v_mul_f32_e32 v68, v39, v51
	v_mul_f32_e32 v51, v40, v51
	v_fmac_f32_e32 v66, v36, v57
	s_waitcnt vmcnt(6)
	v_fma_f32 v34, v37, v58, -v50
	v_add_f32_e32 v30, v30, v65
	v_add_f32_e32 v31, v31, v33
	v_mul_f32_e32 v69, v41, v52
	v_mul_f32_e32 v52, v42, v52
	v_fmac_f32_e32 v67, v38, v58
	s_waitcnt vmcnt(5)
	v_fma_f32 v35, v39, v59, -v51
	v_add_f32_e32 v30, v30, v66
	v_add_f32_e32 v31, v31, v34
	s_waitcnt lgkmcnt(0)
	v_mul_f32_e32 v70, v43, v53
	v_mul_f32_e32 v53, v44, v53
	v_fmac_f32_e32 v68, v40, v59
	s_waitcnt vmcnt(4)
	v_fma_f32 v36, v41, v60, -v52
	v_add_f32_e32 v30, v30, v67
	v_add_f32_e32 v31, v31, v35
	v_mul_f32_e32 v71, v45, v54
	v_mul_f32_e32 v54, v46, v54
	v_fmac_f32_e32 v69, v42, v60
	s_waitcnt vmcnt(3)
	v_fma_f32 v37, v43, v61, -v53
	v_add_f32_e32 v30, v30, v68
	v_add_f32_e32 v31, v31, v36
	v_fmac_f32_e32 v70, v44, v61
	s_waitcnt vmcnt(2)
	v_fma_f32 v38, v45, v62, -v54
	v_add_f32_e32 v30, v30, v69
	v_add_f32_e32 v31, v31, v37
	v_fmac_f32_e32 v71, v46, v62
	v_add_f32_e32 v30, v30, v70
	v_add_f32_e32 v31, v31, v38
	;; [unrolled: 1-line block ×3, first 2 shown]
	s_waitcnt vmcnt(1)
	v_sub_f32_e32 v31, v63, v31
	s_waitcnt vmcnt(0)
	v_sub_f32_e32 v30, v64, v30
	buffer_store_dword v31, off, s[0:3], 0 offset:40
	buffer_store_dword v30, off, s[0:3], 0 offset:44
	s_and_saveexec_b64 s[4:5], vcc
	s_cbranch_execz .LBB77_89
; %bb.88:
	buffer_load_dword v30, off, s[0:3], 0 offset:32
	buffer_load_dword v31, off, s[0:3], 0 offset:36
	v_mov_b32_e32 v32, 0
	buffer_store_dword v32, off, s[0:3], 0 offset:32
	buffer_store_dword v32, off, s[0:3], 0 offset:36
	s_waitcnt vmcnt(2)
	ds_write_b64 v29, v[30:31]
.LBB77_89:
	s_or_b64 exec, exec, s[4:5]
	s_waitcnt lgkmcnt(0)
	; wave barrier
	buffer_load_dword v49, off, s[0:3], 0 offset:44
	buffer_load_dword v50, off, s[0:3], 0 offset:52
	buffer_load_dword v51, off, s[0:3], 0 offset:60
	buffer_load_dword v52, off, s[0:3], 0 offset:68
	buffer_load_dword v53, off, s[0:3], 0 offset:76
	buffer_load_dword v54, off, s[0:3], 0 offset:84
	buffer_load_dword v55, off, s[0:3], 0 offset:92
	buffer_load_dword v56, off, s[0:3], 0 offset:100
	buffer_load_dword v57, off, s[0:3], 0 offset:108
	buffer_load_dword v58, off, s[0:3], 0 offset:40
	buffer_load_dword v59, off, s[0:3], 0 offset:48
	buffer_load_dword v60, off, s[0:3], 0 offset:56
	buffer_load_dword v61, off, s[0:3], 0 offset:64
	buffer_load_dword v62, off, s[0:3], 0 offset:72
	buffer_load_dword v63, off, s[0:3], 0 offset:80
	buffer_load_dword v64, off, s[0:3], 0 offset:88
	buffer_load_dword v65, off, s[0:3], 0 offset:96
	buffer_load_dword v66, off, s[0:3], 0 offset:104
	buffer_load_dword v67, off, s[0:3], 0 offset:32
	buffer_load_dword v68, off, s[0:3], 0 offset:36
	v_mov_b32_e32 v30, 0
	ds_read2_b64 v[31:34], v30 offset0:19 offset1:20
	ds_read2_b64 v[35:38], v30 offset0:21 offset1:22
	;; [unrolled: 1-line block ×4, first 2 shown]
	ds_read_b64 v[47:48], v30 offset:216
	v_cmp_lt_u32_e32 vcc, 3, v0
	s_waitcnt vmcnt(19) lgkmcnt(4)
	v_mul_f32_e32 v69, v31, v49
	v_mul_f32_e32 v49, v32, v49
	s_waitcnt vmcnt(18)
	v_mul_f32_e32 v70, v33, v50
	v_mul_f32_e32 v50, v34, v50
	s_waitcnt vmcnt(17) lgkmcnt(3)
	v_mul_f32_e32 v71, v35, v51
	s_waitcnt vmcnt(15) lgkmcnt(2)
	v_mul_f32_e32 v73, v39, v53
	v_mul_f32_e32 v51, v36, v51
	;; [unrolled: 1-line block ×4, first 2 shown]
	s_waitcnt vmcnt(10)
	v_fma_f32 v31, v31, v58, -v49
	v_fmac_f32_e32 v69, v32, v58
	s_waitcnt vmcnt(9)
	v_fma_f32 v32, v33, v59, -v50
	v_add_f32_e32 v31, 0, v31
	v_mul_f32_e32 v53, v40, v53
	v_fmac_f32_e32 v70, v34, v59
	s_waitcnt vmcnt(6)
	v_fmac_f32_e32 v73, v40, v62
	v_fma_f32 v33, v35, v60, -v51
	v_add_f32_e32 v40, 0, v69
	v_add_f32_e32 v31, v31, v32
	v_fmac_f32_e32 v71, v36, v60
	v_fma_f32 v34, v37, v61, -v52
	v_add_f32_e32 v40, v40, v70
	v_add_f32_e32 v31, v31, v33
	v_mul_f32_e32 v74, v41, v54
	v_mul_f32_e32 v54, v42, v54
	v_fmac_f32_e32 v72, v38, v61
	v_fma_f32 v35, v39, v62, -v53
	v_add_f32_e32 v32, v40, v71
	v_add_f32_e32 v31, v31, v34
	s_waitcnt lgkmcnt(1)
	v_mul_f32_e32 v75, v43, v55
	v_mul_f32_e32 v55, v44, v55
	s_waitcnt vmcnt(5)
	v_fma_f32 v36, v41, v63, -v54
	v_add_f32_e32 v32, v32, v72
	v_add_f32_e32 v31, v31, v35
	v_mul_f32_e32 v76, v45, v56
	v_mul_f32_e32 v56, v46, v56
	v_fmac_f32_e32 v74, v42, v63
	s_waitcnt vmcnt(4)
	v_fma_f32 v37, v43, v64, -v55
	v_add_f32_e32 v32, v32, v73
	v_add_f32_e32 v31, v31, v36
	s_waitcnt lgkmcnt(0)
	v_mul_f32_e32 v77, v47, v57
	v_mul_f32_e32 v57, v48, v57
	v_fmac_f32_e32 v75, v44, v64
	s_waitcnt vmcnt(3)
	v_fma_f32 v38, v45, v65, -v56
	v_add_f32_e32 v32, v32, v74
	v_add_f32_e32 v31, v31, v37
	v_fmac_f32_e32 v76, v46, v65
	s_waitcnt vmcnt(2)
	v_fma_f32 v39, v47, v66, -v57
	v_add_f32_e32 v32, v32, v75
	v_add_f32_e32 v31, v31, v38
	v_fmac_f32_e32 v77, v48, v66
	v_add_f32_e32 v32, v32, v76
	v_add_f32_e32 v31, v31, v39
	;; [unrolled: 1-line block ×3, first 2 shown]
	s_waitcnt vmcnt(1)
	v_sub_f32_e32 v31, v67, v31
	s_waitcnt vmcnt(0)
	v_sub_f32_e32 v32, v68, v32
	buffer_store_dword v31, off, s[0:3], 0 offset:32
	buffer_store_dword v32, off, s[0:3], 0 offset:36
	s_and_saveexec_b64 s[4:5], vcc
	s_cbranch_execz .LBB77_91
; %bb.90:
	buffer_load_dword v31, off, s[0:3], 0 offset:24
	buffer_load_dword v32, off, s[0:3], 0 offset:28
	s_waitcnt vmcnt(0)
	ds_write_b64 v29, v[31:32]
	buffer_store_dword v30, off, s[0:3], 0 offset:24
	buffer_store_dword v30, off, s[0:3], 0 offset:28
.LBB77_91:
	s_or_b64 exec, exec, s[4:5]
	s_waitcnt lgkmcnt(0)
	; wave barrier
	buffer_load_dword v51, off, s[0:3], 0 offset:36
	buffer_load_dword v52, off, s[0:3], 0 offset:44
	;; [unrolled: 1-line block ×22, first 2 shown]
	ds_read_b128 v[31:34], v30 offset:144
	ds_read_b128 v[35:38], v30 offset:160
	;; [unrolled: 1-line block ×5, first 2 shown]
	v_cmp_lt_u32_e32 vcc, 2, v0
	s_waitcnt vmcnt(21) lgkmcnt(4)
	v_mul_f32_e32 v30, v31, v51
	v_mul_f32_e32 v51, v32, v51
	s_waitcnt vmcnt(20)
	v_mul_f32_e32 v73, v33, v52
	v_mul_f32_e32 v52, v34, v52
	s_waitcnt vmcnt(19) lgkmcnt(3)
	v_mul_f32_e32 v74, v35, v53
	v_mul_f32_e32 v53, v36, v53
	s_waitcnt vmcnt(18)
	v_mul_f32_e32 v75, v37, v54
	v_mul_f32_e32 v54, v38, v54
	s_waitcnt vmcnt(17) lgkmcnt(2)
	v_mul_f32_e32 v76, v39, v55
	v_mul_f32_e32 v55, v40, v55
	s_waitcnt vmcnt(11)
	v_fma_f32 v31, v31, v61, -v51
	v_fmac_f32_e32 v30, v32, v61
	s_waitcnt vmcnt(10)
	v_fma_f32 v32, v33, v62, -v52
	v_add_f32_e32 v31, 0, v31
	v_fmac_f32_e32 v73, v34, v62
	s_waitcnt vmcnt(9)
	v_fma_f32 v33, v35, v63, -v53
	v_add_f32_e32 v30, 0, v30
	v_add_f32_e32 v31, v31, v32
	v_fmac_f32_e32 v74, v36, v63
	s_waitcnt vmcnt(8)
	v_fma_f32 v34, v37, v64, -v54
	v_add_f32_e32 v30, v30, v73
	v_add_f32_e32 v31, v31, v33
	v_mul_f32_e32 v77, v41, v56
	v_mul_f32_e32 v56, v42, v56
	v_fmac_f32_e32 v75, v38, v64
	s_waitcnt vmcnt(7)
	v_fma_f32 v35, v39, v65, -v55
	v_add_f32_e32 v30, v30, v74
	v_add_f32_e32 v31, v31, v34
	s_waitcnt lgkmcnt(1)
	v_mul_f32_e32 v78, v43, v57
	v_mul_f32_e32 v57, v44, v57
	v_fmac_f32_e32 v76, v40, v65
	s_waitcnt vmcnt(6)
	v_fma_f32 v36, v41, v66, -v56
	v_add_f32_e32 v30, v30, v75
	v_add_f32_e32 v31, v31, v35
	v_mul_f32_e32 v79, v45, v58
	v_mul_f32_e32 v58, v46, v58
	v_fmac_f32_e32 v77, v42, v66
	s_waitcnt vmcnt(5)
	v_fma_f32 v37, v43, v67, -v57
	v_add_f32_e32 v30, v30, v76
	v_add_f32_e32 v31, v31, v36
	s_waitcnt lgkmcnt(0)
	v_mul_f32_e32 v80, v47, v59
	v_mul_f32_e32 v59, v48, v59
	v_fmac_f32_e32 v78, v44, v67
	s_waitcnt vmcnt(4)
	v_fma_f32 v38, v45, v68, -v58
	v_add_f32_e32 v30, v30, v77
	v_add_f32_e32 v31, v31, v37
	v_mul_f32_e32 v81, v49, v60
	v_mul_f32_e32 v60, v50, v60
	v_fmac_f32_e32 v79, v46, v68
	s_waitcnt vmcnt(3)
	v_fma_f32 v39, v47, v69, -v59
	v_add_f32_e32 v30, v30, v78
	v_add_f32_e32 v31, v31, v38
	v_fmac_f32_e32 v80, v48, v69
	s_waitcnt vmcnt(2)
	v_fma_f32 v40, v49, v70, -v60
	v_add_f32_e32 v30, v30, v79
	v_add_f32_e32 v31, v31, v39
	v_fmac_f32_e32 v81, v50, v70
	v_add_f32_e32 v30, v30, v80
	v_add_f32_e32 v31, v31, v40
	;; [unrolled: 1-line block ×3, first 2 shown]
	s_waitcnt vmcnt(1)
	v_sub_f32_e32 v31, v71, v31
	s_waitcnt vmcnt(0)
	v_sub_f32_e32 v30, v72, v30
	buffer_store_dword v31, off, s[0:3], 0 offset:24
	buffer_store_dword v30, off, s[0:3], 0 offset:28
	s_and_saveexec_b64 s[4:5], vcc
	s_cbranch_execz .LBB77_93
; %bb.92:
	buffer_load_dword v30, off, s[0:3], 0 offset:16
	buffer_load_dword v31, off, s[0:3], 0 offset:20
	v_mov_b32_e32 v32, 0
	buffer_store_dword v32, off, s[0:3], 0 offset:16
	buffer_store_dword v32, off, s[0:3], 0 offset:20
	s_waitcnt vmcnt(2)
	ds_write_b64 v29, v[30:31]
.LBB77_93:
	s_or_b64 exec, exec, s[4:5]
	v_mov_b32_e32 v30, 0
	s_waitcnt lgkmcnt(0)
	; wave barrier
	ds_read2_b64 v[31:34], v30 offset0:17 offset1:18
	buffer_load_dword v53, off, s[0:3], 0 offset:16
	buffer_load_dword v54, off, s[0:3], 0 offset:20
	;; [unrolled: 1-line block ×16, first 2 shown]
	v_cmp_lt_u32_e32 vcc, 1, v0
	s_waitcnt vmcnt(12) lgkmcnt(0)
	v_mul_f32_e32 v35, v31, v56
	v_fmac_f32_e32 v35, v32, v55
	s_waitcnt vmcnt(10)
	v_mul_f32_e32 v36, v33, v58
	v_add_f32_e32 v35, 0, v35
	v_fmac_f32_e32 v36, v34, v57
	v_add_f32_e32 v39, v35, v36
	ds_read2_b64 v[35:38], v30 offset0:19 offset1:20
	v_mul_f32_e32 v32, v32, v56
	v_fma_f32 v31, v31, v55, -v32
	v_mul_f32_e32 v32, v34, v58
	v_add_f32_e32 v31, 0, v31
	s_waitcnt vmcnt(8) lgkmcnt(0)
	v_mul_f32_e32 v40, v35, v60
	v_fmac_f32_e32 v40, v36, v59
	v_add_f32_e32 v39, v39, v40
	s_waitcnt vmcnt(6)
	v_mul_f32_e32 v40, v37, v62
	v_fmac_f32_e32 v40, v38, v61
	v_add_f32_e32 v43, v39, v40
	ds_read2_b64 v[39:42], v30 offset0:21 offset1:22
	v_fma_f32 v32, v33, v57, -v32
	v_add_f32_e32 v31, v31, v32
	v_mul_f32_e32 v32, v36, v60
	v_fma_f32 v32, v35, v59, -v32
	s_waitcnt vmcnt(4) lgkmcnt(0)
	v_mul_f32_e32 v44, v39, v64
	v_fmac_f32_e32 v44, v40, v63
	v_add_f32_e32 v43, v43, v44
	s_waitcnt vmcnt(2)
	v_mul_f32_e32 v44, v41, v66
	v_fmac_f32_e32 v44, v42, v65
	v_add_f32_e32 v47, v43, v44
	ds_read2_b64 v[43:46], v30 offset0:23 offset1:24
	buffer_load_dword v69, off, s[0:3], 0 offset:80
	buffer_load_dword v70, off, s[0:3], 0 offset:84
	v_add_f32_e32 v31, v31, v32
	v_mul_f32_e32 v32, v38, v62
	v_fma_f32 v32, v37, v61, -v32
	s_waitcnt vmcnt(2) lgkmcnt(0)
	v_mul_f32_e32 v48, v43, v68
	v_fmac_f32_e32 v48, v44, v67
	v_add_f32_e32 v47, v47, v48
	v_add_f32_e32 v31, v31, v32
	v_mul_f32_e32 v32, v40, v64
	v_fma_f32 v32, v39, v63, -v32
	v_add_f32_e32 v31, v31, v32
	v_mul_f32_e32 v32, v42, v66
	v_fma_f32 v32, v41, v65, -v32
	v_add_f32_e32 v31, v31, v32
	v_mul_f32_e32 v32, v44, v68
	v_fma_f32 v32, v43, v67, -v32
	v_add_f32_e32 v31, v31, v32
	s_waitcnt vmcnt(0)
	v_mul_f32_e32 v48, v45, v70
	v_fmac_f32_e32 v48, v46, v69
	v_add_f32_e32 v51, v47, v48
	ds_read2_b64 v[47:50], v30 offset0:25 offset1:26
	buffer_load_dword v71, off, s[0:3], 0 offset:88
	buffer_load_dword v72, off, s[0:3], 0 offset:92
	;; [unrolled: 1-line block ×4, first 2 shown]
	v_mul_f32_e32 v32, v46, v70
	v_fma_f32 v32, v45, v69, -v32
	v_add_f32_e32 v31, v31, v32
	s_waitcnt vmcnt(2) lgkmcnt(0)
	v_mul_f32_e32 v52, v47, v72
	v_fmac_f32_e32 v52, v48, v71
	v_add_f32_e32 v51, v51, v52
	s_waitcnt vmcnt(0)
	v_mul_f32_e32 v52, v49, v74
	v_fmac_f32_e32 v52, v50, v73
	v_add_f32_e32 v75, v51, v52
	ds_read_b64 v[51:52], v30 offset:216
	buffer_load_dword v76, off, s[0:3], 0 offset:104
	buffer_load_dword v77, off, s[0:3], 0 offset:108
	v_mul_f32_e32 v32, v48, v72
	v_fma_f32 v32, v47, v71, -v32
	v_add_f32_e32 v31, v31, v32
	v_mul_f32_e32 v32, v50, v74
	v_fma_f32 v32, v49, v73, -v32
	v_add_f32_e32 v31, v31, v32
	s_waitcnt vmcnt(0) lgkmcnt(0)
	v_mul_f32_e32 v32, v52, v77
	v_mul_f32_e32 v78, v51, v77
	v_fma_f32 v32, v51, v76, -v32
	v_fmac_f32_e32 v78, v52, v76
	v_add_f32_e32 v31, v31, v32
	v_add_f32_e32 v75, v75, v78
	v_sub_f32_e32 v31, v53, v31
	v_sub_f32_e32 v32, v54, v75
	buffer_store_dword v31, off, s[0:3], 0 offset:16
	buffer_store_dword v32, off, s[0:3], 0 offset:20
	s_and_saveexec_b64 s[4:5], vcc
	s_cbranch_execz .LBB77_95
; %bb.94:
	buffer_load_dword v31, off, s[0:3], 0 offset:8
	buffer_load_dword v32, off, s[0:3], 0 offset:12
	s_waitcnt vmcnt(0)
	ds_write_b64 v29, v[31:32]
	buffer_store_dword v30, off, s[0:3], 0 offset:8
	buffer_store_dword v30, off, s[0:3], 0 offset:12
.LBB77_95:
	s_or_b64 exec, exec, s[4:5]
	s_waitcnt lgkmcnt(0)
	; wave barrier
	ds_read_b128 v[31:34], v30 offset:128
	ds_read_b128 v[35:38], v30 offset:144
	ds_read_b128 v[39:42], v30 offset:160
	ds_read_b128 v[43:46], v30 offset:176
	buffer_load_dword v55, off, s[0:3], 0 offset:8
	buffer_load_dword v56, off, s[0:3], 0 offset:12
	;; [unrolled: 1-line block ×18, first 2 shown]
	v_cmp_ne_u32_e32 vcc, 0, v0
	s_waitcnt vmcnt(14) lgkmcnt(3)
	v_mul_f32_e32 v47, v31, v58
	v_fmac_f32_e32 v47, v32, v57
	s_waitcnt vmcnt(12)
	v_mul_f32_e32 v48, v33, v60
	v_add_f32_e32 v47, 0, v47
	v_fmac_f32_e32 v48, v34, v59
	v_add_f32_e32 v47, v47, v48
	s_waitcnt vmcnt(10) lgkmcnt(2)
	v_mul_f32_e32 v48, v35, v62
	v_fmac_f32_e32 v48, v36, v61
	v_add_f32_e32 v47, v47, v48
	s_waitcnt vmcnt(8)
	v_mul_f32_e32 v48, v37, v64
	v_fmac_f32_e32 v48, v38, v63
	v_add_f32_e32 v47, v47, v48
	s_waitcnt vmcnt(6) lgkmcnt(1)
	v_mul_f32_e32 v48, v39, v66
	v_fmac_f32_e32 v48, v40, v65
	v_add_f32_e32 v47, v47, v48
	s_waitcnt vmcnt(4)
	v_mul_f32_e32 v48, v41, v68
	;; [unrolled: 8-line block ×3, first 2 shown]
	v_fmac_f32_e32 v48, v46, v71
	v_add_f32_e32 v51, v47, v48
	ds_read_b128 v[47:50], v30 offset:192
	buffer_load_dword v73, off, s[0:3], 0 offset:80
	buffer_load_dword v74, off, s[0:3], 0 offset:84
	;; [unrolled: 1-line block ×4, first 2 shown]
	v_mul_f32_e32 v32, v32, v58
	v_fma_f32 v31, v31, v57, -v32
	v_mul_f32_e32 v32, v34, v60
	v_add_f32_e32 v31, 0, v31
	v_fma_f32 v32, v33, v59, -v32
	v_add_f32_e32 v31, v31, v32
	v_mul_f32_e32 v32, v36, v62
	v_fma_f32 v32, v35, v61, -v32
	v_add_f32_e32 v31, v31, v32
	v_mul_f32_e32 v32, v38, v64
	;; [unrolled: 3-line block ×6, first 2 shown]
	v_fma_f32 v32, v45, v71, -v32
	v_add_f32_e32 v31, v31, v32
	s_waitcnt vmcnt(2) lgkmcnt(0)
	v_mul_f32_e32 v52, v47, v74
	v_fmac_f32_e32 v52, v48, v73
	v_add_f32_e32 v51, v51, v52
	s_waitcnt vmcnt(0)
	v_mul_f32_e32 v52, v49, v76
	v_fmac_f32_e32 v52, v50, v75
	v_add_f32_e32 v77, v51, v52
	ds_read_b128 v[51:54], v30 offset:208
	buffer_load_dword v30, off, s[0:3], 0 offset:96
	buffer_load_dword v78, off, s[0:3], 0 offset:100
	v_mul_f32_e32 v32, v48, v74
	v_fma_f32 v32, v47, v73, -v32
	v_add_f32_e32 v31, v31, v32
	v_mul_f32_e32 v32, v50, v76
	v_fma_f32 v32, v49, v75, -v32
	v_add_f32_e32 v31, v31, v32
	s_waitcnt vmcnt(0) lgkmcnt(0)
	v_mul_f32_e32 v79, v51, v78
	v_fmac_f32_e32 v79, v52, v30
	v_add_f32_e32 v77, v77, v79
	buffer_load_dword v79, off, s[0:3], 0 offset:104
	buffer_load_dword v80, off, s[0:3], 0 offset:108
	v_mul_f32_e32 v32, v52, v78
	v_fma_f32 v30, v51, v30, -v32
	v_add_f32_e32 v30, v31, v30
	s_waitcnt vmcnt(0)
	v_mul_f32_e32 v31, v54, v80
	v_mul_f32_e32 v81, v53, v80
	v_fma_f32 v31, v53, v79, -v31
	v_fmac_f32_e32 v81, v54, v79
	v_add_f32_e32 v30, v30, v31
	v_add_f32_e32 v77, v77, v81
	v_sub_f32_e32 v30, v55, v30
	v_sub_f32_e32 v31, v56, v77
	buffer_store_dword v30, off, s[0:3], 0 offset:8
	buffer_store_dword v31, off, s[0:3], 0 offset:12
	s_and_saveexec_b64 s[4:5], vcc
	s_cbranch_execz .LBB77_97
; %bb.96:
	buffer_load_dword v30, off, s[0:3], 0
	buffer_load_dword v31, off, s[0:3], 0 offset:4
	v_mov_b32_e32 v0, 0
	buffer_store_dword v0, off, s[0:3], 0
	buffer_store_dword v0, off, s[0:3], 0 offset:4
	s_waitcnt vmcnt(2)
	ds_write_b64 v29, v[30:31]
.LBB77_97:
	s_or_b64 exec, exec, s[4:5]
	s_waitcnt lgkmcnt(0)
	; wave barrier
	buffer_load_dword v57, off, s[0:3], 0 offset:12
	buffer_load_dword v58, off, s[0:3], 0 offset:20
	;; [unrolled: 1-line block ×26, first 2 shown]
	buffer_load_dword v81, off, s[0:3], 0
	buffer_load_dword v82, off, s[0:3], 0 offset:4
	v_mov_b32_e32 v30, 0
	ds_read2_b64 v[31:34], v30 offset0:15 offset1:16
	ds_read2_b64 v[35:38], v30 offset0:17 offset1:18
	;; [unrolled: 1-line block ×6, first 2 shown]
	ds_read_b64 v[55:56], v30 offset:216
	s_and_b64 vcc, exec, s[14:15]
	s_waitcnt vmcnt(27) lgkmcnt(6)
	v_mul_f32_e32 v83, v31, v57
	v_mul_f32_e32 v57, v32, v57
	s_waitcnt vmcnt(26)
	v_mul_f32_e32 v84, v33, v58
	v_mul_f32_e32 v58, v34, v58
	s_waitcnt vmcnt(25) lgkmcnt(5)
	v_mul_f32_e32 v85, v35, v59
	v_mul_f32_e32 v59, v36, v59
	s_waitcnt vmcnt(24)
	v_mul_f32_e32 v86, v37, v60
	v_mul_f32_e32 v60, v38, v60
	;; [unrolled: 6-line block ×3, first 2 shown]
	s_waitcnt vmcnt(21) lgkmcnt(3)
	v_mul_f32_e32 v89, v43, v63
	s_waitcnt vmcnt(14)
	v_fma_f32 v31, v31, v69, -v57
	v_fmac_f32_e32 v83, v32, v69
	s_waitcnt vmcnt(13)
	v_fma_f32 v32, v33, v70, -v58
	v_add_f32_e32 v31, 0, v31
	s_waitcnt vmcnt(12)
	v_fma_f32 v33, v35, v71, -v59
	v_add_f32_e32 v31, v31, v32
	v_fmac_f32_e32 v84, v34, v70
	s_waitcnt vmcnt(11)
	v_fma_f32 v34, v37, v72, -v60
	v_add_f32_e32 v31, v31, v33
	s_waitcnt vmcnt(10)
	v_fma_f32 v35, v39, v73, -v61
	v_add_f32_e32 v31, v31, v34
	v_fmac_f32_e32 v85, v36, v71
	s_waitcnt vmcnt(9)
	v_fma_f32 v36, v41, v74, -v62
	v_add_f32_e32 v31, v31, v35
	v_mul_f32_e32 v33, v44, v63
	v_add_f32_e32 v31, v31, v36
	s_waitcnt vmcnt(8)
	v_fma_f32 v33, v43, v75, -v33
	v_add_f32_e32 v31, v31, v33
	v_mul_f32_e32 v33, v46, v64
	v_add_f32_e32 v37, 0, v83
	s_waitcnt vmcnt(7)
	v_fma_f32 v33, v45, v76, -v33
	v_add_f32_e32 v37, v37, v84
	v_add_f32_e32 v31, v31, v33
	s_waitcnt lgkmcnt(2)
	v_mul_f32_e32 v33, v48, v65
	v_fmac_f32_e32 v86, v38, v72
	v_add_f32_e32 v32, v37, v85
	s_waitcnt vmcnt(6)
	v_fma_f32 v33, v47, v77, -v33
	v_fmac_f32_e32 v87, v40, v73
	v_add_f32_e32 v32, v32, v86
	v_add_f32_e32 v31, v31, v33
	v_mul_f32_e32 v33, v50, v66
	v_fmac_f32_e32 v88, v42, v74
	v_add_f32_e32 v32, v32, v87
	s_waitcnt vmcnt(5)
	v_fma_f32 v33, v49, v78, -v33
	v_mul_f32_e32 v90, v45, v64
	v_fmac_f32_e32 v89, v44, v75
	v_add_f32_e32 v32, v32, v88
	v_add_f32_e32 v31, v31, v33
	s_waitcnt lgkmcnt(1)
	v_mul_f32_e32 v33, v52, v67
	v_mul_f32_e32 v91, v47, v65
	v_fmac_f32_e32 v90, v46, v76
	v_add_f32_e32 v32, v32, v89
	s_waitcnt vmcnt(4)
	v_fma_f32 v33, v51, v79, -v33
	v_mul_f32_e32 v92, v49, v66
	v_fmac_f32_e32 v91, v48, v77
	v_add_f32_e32 v32, v32, v90
	v_add_f32_e32 v31, v31, v33
	v_mul_f32_e32 v33, v54, v0
	v_mul_f32_e32 v93, v51, v67
	v_fmac_f32_e32 v92, v50, v78
	v_add_f32_e32 v32, v32, v91
	s_waitcnt vmcnt(3)
	v_fma_f32 v33, v53, v29, -v33
	v_mul_f32_e32 v94, v53, v0
	v_fmac_f32_e32 v93, v52, v79
	v_add_f32_e32 v32, v32, v92
	v_add_f32_e32 v31, v31, v33
	s_waitcnt lgkmcnt(0)
	v_mul_f32_e32 v33, v56, v68
	v_mul_f32_e32 v95, v55, v68
	v_fmac_f32_e32 v94, v54, v29
	v_add_f32_e32 v32, v32, v93
	s_waitcnt vmcnt(2)
	v_fma_f32 v33, v55, v80, -v33
	v_fmac_f32_e32 v95, v56, v80
	v_add_f32_e32 v32, v32, v94
	v_add_f32_e32 v31, v31, v33
	;; [unrolled: 1-line block ×3, first 2 shown]
	s_waitcnt vmcnt(1)
	v_sub_f32_e32 v31, v81, v31
	s_waitcnt vmcnt(0)
	v_sub_f32_e32 v32, v82, v32
	buffer_store_dword v31, off, s[0:3], 0
	buffer_store_dword v32, off, s[0:3], 0 offset:4
	s_cbranch_vccz .LBB77_124
; %bb.98:
	global_load_dword v30, v30, s[12:13] offset:48
	s_waitcnt vmcnt(0)
	v_add_u32_e32 v30, -1, v30
	v_cmp_ne_u32_e32 vcc, 12, v30
	s_cbranch_vccz .LBB77_100
; %bb.99:
	v_lshlrev_b32_e32 v30, 3, v30
	buffer_load_dword v31, v30, s[0:3], 0 offen offset:4
	buffer_load_dword v32, v30, s[0:3], 0 offen
	s_waitcnt vmcnt(1)
	buffer_store_dword v31, off, s[0:3], 0 offset:100
	s_waitcnt vmcnt(1)
	buffer_store_dword v32, off, s[0:3], 0 offset:96
	buffer_store_dword v0, v30, s[0:3], 0 offen offset:4
	buffer_store_dword v29, v30, s[0:3], 0 offen
.LBB77_100:
	v_mov_b32_e32 v0, 0
	global_load_dword v29, v0, s[12:13] offset:44
	s_waitcnt vmcnt(0)
	v_add_u32_e32 v29, -1, v29
	v_cmp_eq_u32_e32 vcc, 11, v29
	s_cbranch_vccnz .LBB77_102
; %bb.101:
	v_lshlrev_b32_e32 v29, 3, v29
	buffer_load_dword v30, v29, s[0:3], 0 offen
	buffer_load_dword v31, v29, s[0:3], 0 offen offset:4
	buffer_load_dword v32, off, s[0:3], 0 offset:88
	buffer_load_dword v33, off, s[0:3], 0 offset:92
	s_waitcnt vmcnt(3)
	buffer_store_dword v30, off, s[0:3], 0 offset:88
	s_waitcnt vmcnt(3)
	buffer_store_dword v31, off, s[0:3], 0 offset:92
	s_waitcnt vmcnt(3)
	buffer_store_dword v32, v29, s[0:3], 0 offen
	s_waitcnt vmcnt(3)
	buffer_store_dword v33, v29, s[0:3], 0 offen offset:4
.LBB77_102:
	global_load_dword v0, v0, s[12:13] offset:40
	s_waitcnt vmcnt(0)
	v_add_u32_e32 v0, -1, v0
	v_cmp_eq_u32_e32 vcc, 10, v0
	s_cbranch_vccnz .LBB77_104
; %bb.103:
	v_lshlrev_b32_e32 v0, 3, v0
	buffer_load_dword v29, v0, s[0:3], 0 offen
	buffer_load_dword v30, v0, s[0:3], 0 offen offset:4
	buffer_load_dword v31, off, s[0:3], 0 offset:84
	buffer_load_dword v32, off, s[0:3], 0 offset:80
	s_waitcnt vmcnt(3)
	buffer_store_dword v29, off, s[0:3], 0 offset:80
	s_waitcnt vmcnt(3)
	buffer_store_dword v30, off, s[0:3], 0 offset:84
	s_waitcnt vmcnt(3)
	buffer_store_dword v31, v0, s[0:3], 0 offen offset:4
	s_waitcnt vmcnt(3)
	buffer_store_dword v32, v0, s[0:3], 0 offen
.LBB77_104:
	v_mov_b32_e32 v0, 0
	global_load_dword v29, v0, s[12:13] offset:36
	s_waitcnt vmcnt(0)
	v_add_u32_e32 v29, -1, v29
	v_cmp_eq_u32_e32 vcc, 9, v29
	s_cbranch_vccnz .LBB77_106
; %bb.105:
	v_lshlrev_b32_e32 v29, 3, v29
	buffer_load_dword v30, v29, s[0:3], 0 offen
	buffer_load_dword v31, v29, s[0:3], 0 offen offset:4
	buffer_load_dword v32, off, s[0:3], 0 offset:72
	buffer_load_dword v33, off, s[0:3], 0 offset:76
	s_waitcnt vmcnt(3)
	buffer_store_dword v30, off, s[0:3], 0 offset:72
	s_waitcnt vmcnt(3)
	buffer_store_dword v31, off, s[0:3], 0 offset:76
	s_waitcnt vmcnt(3)
	buffer_store_dword v32, v29, s[0:3], 0 offen
	s_waitcnt vmcnt(3)
	buffer_store_dword v33, v29, s[0:3], 0 offen offset:4
.LBB77_106:
	global_load_dword v0, v0, s[12:13] offset:32
	s_waitcnt vmcnt(0)
	v_add_u32_e32 v0, -1, v0
	v_cmp_eq_u32_e32 vcc, 8, v0
	s_cbranch_vccnz .LBB77_108
; %bb.107:
	v_lshlrev_b32_e32 v0, 3, v0
	buffer_load_dword v29, v0, s[0:3], 0 offen
	buffer_load_dword v30, v0, s[0:3], 0 offen offset:4
	buffer_load_dword v31, off, s[0:3], 0 offset:68
	buffer_load_dword v32, off, s[0:3], 0 offset:64
	s_waitcnt vmcnt(3)
	buffer_store_dword v29, off, s[0:3], 0 offset:64
	s_waitcnt vmcnt(3)
	buffer_store_dword v30, off, s[0:3], 0 offset:68
	s_waitcnt vmcnt(3)
	buffer_store_dword v31, v0, s[0:3], 0 offen offset:4
	s_waitcnt vmcnt(3)
	buffer_store_dword v32, v0, s[0:3], 0 offen
.LBB77_108:
	v_mov_b32_e32 v0, 0
	global_load_dword v29, v0, s[12:13] offset:28
	s_waitcnt vmcnt(0)
	v_add_u32_e32 v29, -1, v29
	v_cmp_eq_u32_e32 vcc, 7, v29
	s_cbranch_vccnz .LBB77_110
; %bb.109:
	v_lshlrev_b32_e32 v29, 3, v29
	buffer_load_dword v30, v29, s[0:3], 0 offen
	buffer_load_dword v31, v29, s[0:3], 0 offen offset:4
	buffer_load_dword v32, off, s[0:3], 0 offset:56
	buffer_load_dword v33, off, s[0:3], 0 offset:60
	s_waitcnt vmcnt(3)
	buffer_store_dword v30, off, s[0:3], 0 offset:56
	s_waitcnt vmcnt(3)
	buffer_store_dword v31, off, s[0:3], 0 offset:60
	s_waitcnt vmcnt(3)
	buffer_store_dword v32, v29, s[0:3], 0 offen
	s_waitcnt vmcnt(3)
	buffer_store_dword v33, v29, s[0:3], 0 offen offset:4
.LBB77_110:
	global_load_dword v0, v0, s[12:13] offset:24
	s_waitcnt vmcnt(0)
	v_add_u32_e32 v0, -1, v0
	v_cmp_eq_u32_e32 vcc, 6, v0
	s_cbranch_vccnz .LBB77_112
; %bb.111:
	v_lshlrev_b32_e32 v0, 3, v0
	buffer_load_dword v29, v0, s[0:3], 0 offen
	buffer_load_dword v30, v0, s[0:3], 0 offen offset:4
	buffer_load_dword v31, off, s[0:3], 0 offset:52
	buffer_load_dword v32, off, s[0:3], 0 offset:48
	s_waitcnt vmcnt(3)
	buffer_store_dword v29, off, s[0:3], 0 offset:48
	s_waitcnt vmcnt(3)
	buffer_store_dword v30, off, s[0:3], 0 offset:52
	s_waitcnt vmcnt(3)
	buffer_store_dword v31, v0, s[0:3], 0 offen offset:4
	s_waitcnt vmcnt(3)
	buffer_store_dword v32, v0, s[0:3], 0 offen
.LBB77_112:
	v_mov_b32_e32 v0, 0
	global_load_dword v29, v0, s[12:13] offset:20
	s_waitcnt vmcnt(0)
	v_add_u32_e32 v29, -1, v29
	v_cmp_eq_u32_e32 vcc, 5, v29
	s_cbranch_vccnz .LBB77_114
; %bb.113:
	v_lshlrev_b32_e32 v29, 3, v29
	buffer_load_dword v30, v29, s[0:3], 0 offen
	buffer_load_dword v31, v29, s[0:3], 0 offen offset:4
	buffer_load_dword v32, off, s[0:3], 0 offset:40
	buffer_load_dword v33, off, s[0:3], 0 offset:44
	s_waitcnt vmcnt(3)
	buffer_store_dword v30, off, s[0:3], 0 offset:40
	s_waitcnt vmcnt(3)
	buffer_store_dword v31, off, s[0:3], 0 offset:44
	s_waitcnt vmcnt(3)
	buffer_store_dword v32, v29, s[0:3], 0 offen
	s_waitcnt vmcnt(3)
	buffer_store_dword v33, v29, s[0:3], 0 offen offset:4
.LBB77_114:
	global_load_dword v0, v0, s[12:13] offset:16
	s_waitcnt vmcnt(0)
	v_add_u32_e32 v0, -1, v0
	v_cmp_eq_u32_e32 vcc, 4, v0
	s_cbranch_vccnz .LBB77_116
; %bb.115:
	v_lshlrev_b32_e32 v0, 3, v0
	buffer_load_dword v29, v0, s[0:3], 0 offen
	buffer_load_dword v30, v0, s[0:3], 0 offen offset:4
	buffer_load_dword v31, off, s[0:3], 0 offset:36
	buffer_load_dword v32, off, s[0:3], 0 offset:32
	s_waitcnt vmcnt(3)
	buffer_store_dword v29, off, s[0:3], 0 offset:32
	s_waitcnt vmcnt(3)
	buffer_store_dword v30, off, s[0:3], 0 offset:36
	s_waitcnt vmcnt(3)
	buffer_store_dword v31, v0, s[0:3], 0 offen offset:4
	s_waitcnt vmcnt(3)
	buffer_store_dword v32, v0, s[0:3], 0 offen
.LBB77_116:
	v_mov_b32_e32 v0, 0
	global_load_dword v29, v0, s[12:13] offset:12
	s_waitcnt vmcnt(0)
	v_add_u32_e32 v29, -1, v29
	v_cmp_eq_u32_e32 vcc, 3, v29
	s_cbranch_vccnz .LBB77_118
; %bb.117:
	v_lshlrev_b32_e32 v29, 3, v29
	buffer_load_dword v30, v29, s[0:3], 0 offen
	buffer_load_dword v31, v29, s[0:3], 0 offen offset:4
	buffer_load_dword v32, off, s[0:3], 0 offset:24
	buffer_load_dword v33, off, s[0:3], 0 offset:28
	s_waitcnt vmcnt(3)
	buffer_store_dword v30, off, s[0:3], 0 offset:24
	s_waitcnt vmcnt(3)
	buffer_store_dword v31, off, s[0:3], 0 offset:28
	s_waitcnt vmcnt(3)
	buffer_store_dword v32, v29, s[0:3], 0 offen
	s_waitcnt vmcnt(3)
	buffer_store_dword v33, v29, s[0:3], 0 offen offset:4
.LBB77_118:
	global_load_dword v0, v0, s[12:13] offset:8
	s_waitcnt vmcnt(0)
	v_add_u32_e32 v0, -1, v0
	v_cmp_eq_u32_e32 vcc, 2, v0
	s_cbranch_vccnz .LBB77_120
; %bb.119:
	v_lshlrev_b32_e32 v0, 3, v0
	buffer_load_dword v29, v0, s[0:3], 0 offen
	buffer_load_dword v30, v0, s[0:3], 0 offen offset:4
	buffer_load_dword v31, off, s[0:3], 0 offset:20
	buffer_load_dword v32, off, s[0:3], 0 offset:16
	s_waitcnt vmcnt(3)
	buffer_store_dword v29, off, s[0:3], 0 offset:16
	s_waitcnt vmcnt(3)
	buffer_store_dword v30, off, s[0:3], 0 offset:20
	s_waitcnt vmcnt(3)
	buffer_store_dword v31, v0, s[0:3], 0 offen offset:4
	s_waitcnt vmcnt(3)
	buffer_store_dword v32, v0, s[0:3], 0 offen
.LBB77_120:
	v_mov_b32_e32 v0, 0
	global_load_dword v29, v0, s[12:13] offset:4
	s_waitcnt vmcnt(0)
	v_add_u32_e32 v29, -1, v29
	v_cmp_eq_u32_e32 vcc, 1, v29
	s_cbranch_vccnz .LBB77_122
; %bb.121:
	v_lshlrev_b32_e32 v29, 3, v29
	buffer_load_dword v30, v29, s[0:3], 0 offen
	buffer_load_dword v31, v29, s[0:3], 0 offen offset:4
	buffer_load_dword v32, off, s[0:3], 0 offset:8
	buffer_load_dword v33, off, s[0:3], 0 offset:12
	s_waitcnt vmcnt(3)
	buffer_store_dword v30, off, s[0:3], 0 offset:8
	s_waitcnt vmcnt(3)
	buffer_store_dword v31, off, s[0:3], 0 offset:12
	s_waitcnt vmcnt(3)
	buffer_store_dword v32, v29, s[0:3], 0 offen
	s_waitcnt vmcnt(3)
	buffer_store_dword v33, v29, s[0:3], 0 offen offset:4
.LBB77_122:
	global_load_dword v0, v0, s[12:13]
	s_waitcnt vmcnt(0)
	v_add_u32_e32 v0, -1, v0
	v_cmp_eq_u32_e32 vcc, 0, v0
	s_cbranch_vccnz .LBB77_124
; %bb.123:
	v_lshlrev_b32_e32 v0, 3, v0
	buffer_load_dword v29, v0, s[0:3], 0 offen
	buffer_load_dword v30, v0, s[0:3], 0 offen offset:4
	buffer_load_dword v31, off, s[0:3], 0 offset:4
	buffer_load_dword v32, off, s[0:3], 0
	s_waitcnt vmcnt(3)
	buffer_store_dword v29, off, s[0:3], 0
	s_waitcnt vmcnt(3)
	buffer_store_dword v30, off, s[0:3], 0 offset:4
	s_waitcnt vmcnt(3)
	buffer_store_dword v31, v0, s[0:3], 0 offen offset:4
	s_waitcnt vmcnt(3)
	buffer_store_dword v32, v0, s[0:3], 0 offen
.LBB77_124:
	buffer_load_dword v29, off, s[0:3], 0
	buffer_load_dword v30, off, s[0:3], 0 offset:4
	s_waitcnt vmcnt(0)
	flat_store_dwordx2 v[1:2], v[29:30]
	buffer_load_dword v0, off, s[0:3], 0 offset:8
	s_nop 0
	buffer_load_dword v1, off, s[0:3], 0 offset:12
	s_waitcnt vmcnt(0)
	flat_store_dwordx2 v[3:4], v[0:1]
	buffer_load_dword v0, off, s[0:3], 0 offset:16
	s_nop 0
	;; [unrolled: 5-line block ×13, first 2 shown]
	buffer_load_dword v1, off, s[0:3], 0 offset:108
	s_waitcnt vmcnt(0)
	flat_store_dwordx2 v[27:28], v[0:1]
	s_endpgm
	.section	.rodata,"a",@progbits
	.p2align	6, 0x0
	.amdhsa_kernel _ZN9rocsolver6v33100L18getri_kernel_smallILi14E19rocblas_complex_numIfEPKPS3_EEvT1_iilPiilS8_bb
		.amdhsa_group_segment_fixed_size 228
		.amdhsa_private_segment_fixed_size 128
		.amdhsa_kernarg_size 60
		.amdhsa_user_sgpr_count 6
		.amdhsa_user_sgpr_private_segment_buffer 1
		.amdhsa_user_sgpr_dispatch_ptr 0
		.amdhsa_user_sgpr_queue_ptr 0
		.amdhsa_user_sgpr_kernarg_segment_ptr 1
		.amdhsa_user_sgpr_dispatch_id 0
		.amdhsa_user_sgpr_flat_scratch_init 0
		.amdhsa_user_sgpr_private_segment_size 0
		.amdhsa_uses_dynamic_stack 0
		.amdhsa_system_sgpr_private_segment_wavefront_offset 1
		.amdhsa_system_sgpr_workgroup_id_x 1
		.amdhsa_system_sgpr_workgroup_id_y 0
		.amdhsa_system_sgpr_workgroup_id_z 0
		.amdhsa_system_sgpr_workgroup_info 0
		.amdhsa_system_vgpr_workitem_id 0
		.amdhsa_next_free_vgpr 96
		.amdhsa_next_free_sgpr 21
		.amdhsa_reserve_vcc 1
		.amdhsa_reserve_flat_scratch 0
		.amdhsa_float_round_mode_32 0
		.amdhsa_float_round_mode_16_64 0
		.amdhsa_float_denorm_mode_32 3
		.amdhsa_float_denorm_mode_16_64 3
		.amdhsa_dx10_clamp 1
		.amdhsa_ieee_mode 1
		.amdhsa_fp16_overflow 0
		.amdhsa_exception_fp_ieee_invalid_op 0
		.amdhsa_exception_fp_denorm_src 0
		.amdhsa_exception_fp_ieee_div_zero 0
		.amdhsa_exception_fp_ieee_overflow 0
		.amdhsa_exception_fp_ieee_underflow 0
		.amdhsa_exception_fp_ieee_inexact 0
		.amdhsa_exception_int_div_zero 0
	.end_amdhsa_kernel
	.section	.text._ZN9rocsolver6v33100L18getri_kernel_smallILi14E19rocblas_complex_numIfEPKPS3_EEvT1_iilPiilS8_bb,"axG",@progbits,_ZN9rocsolver6v33100L18getri_kernel_smallILi14E19rocblas_complex_numIfEPKPS3_EEvT1_iilPiilS8_bb,comdat
.Lfunc_end77:
	.size	_ZN9rocsolver6v33100L18getri_kernel_smallILi14E19rocblas_complex_numIfEPKPS3_EEvT1_iilPiilS8_bb, .Lfunc_end77-_ZN9rocsolver6v33100L18getri_kernel_smallILi14E19rocblas_complex_numIfEPKPS3_EEvT1_iilPiilS8_bb
                                        ; -- End function
	.set _ZN9rocsolver6v33100L18getri_kernel_smallILi14E19rocblas_complex_numIfEPKPS3_EEvT1_iilPiilS8_bb.num_vgpr, 96
	.set _ZN9rocsolver6v33100L18getri_kernel_smallILi14E19rocblas_complex_numIfEPKPS3_EEvT1_iilPiilS8_bb.num_agpr, 0
	.set _ZN9rocsolver6v33100L18getri_kernel_smallILi14E19rocblas_complex_numIfEPKPS3_EEvT1_iilPiilS8_bb.numbered_sgpr, 21
	.set _ZN9rocsolver6v33100L18getri_kernel_smallILi14E19rocblas_complex_numIfEPKPS3_EEvT1_iilPiilS8_bb.num_named_barrier, 0
	.set _ZN9rocsolver6v33100L18getri_kernel_smallILi14E19rocblas_complex_numIfEPKPS3_EEvT1_iilPiilS8_bb.private_seg_size, 128
	.set _ZN9rocsolver6v33100L18getri_kernel_smallILi14E19rocblas_complex_numIfEPKPS3_EEvT1_iilPiilS8_bb.uses_vcc, 1
	.set _ZN9rocsolver6v33100L18getri_kernel_smallILi14E19rocblas_complex_numIfEPKPS3_EEvT1_iilPiilS8_bb.uses_flat_scratch, 0
	.set _ZN9rocsolver6v33100L18getri_kernel_smallILi14E19rocblas_complex_numIfEPKPS3_EEvT1_iilPiilS8_bb.has_dyn_sized_stack, 0
	.set _ZN9rocsolver6v33100L18getri_kernel_smallILi14E19rocblas_complex_numIfEPKPS3_EEvT1_iilPiilS8_bb.has_recursion, 0
	.set _ZN9rocsolver6v33100L18getri_kernel_smallILi14E19rocblas_complex_numIfEPKPS3_EEvT1_iilPiilS8_bb.has_indirect_call, 0
	.section	.AMDGPU.csdata,"",@progbits
; Kernel info:
; codeLenInByte = 12832
; TotalNumSgprs: 25
; NumVgprs: 96
; ScratchSize: 128
; MemoryBound: 0
; FloatMode: 240
; IeeeMode: 1
; LDSByteSize: 228 bytes/workgroup (compile time only)
; SGPRBlocks: 3
; VGPRBlocks: 23
; NumSGPRsForWavesPerEU: 25
; NumVGPRsForWavesPerEU: 96
; Occupancy: 2
; WaveLimiterHint : 1
; COMPUTE_PGM_RSRC2:SCRATCH_EN: 1
; COMPUTE_PGM_RSRC2:USER_SGPR: 6
; COMPUTE_PGM_RSRC2:TRAP_HANDLER: 0
; COMPUTE_PGM_RSRC2:TGID_X_EN: 1
; COMPUTE_PGM_RSRC2:TGID_Y_EN: 0
; COMPUTE_PGM_RSRC2:TGID_Z_EN: 0
; COMPUTE_PGM_RSRC2:TIDIG_COMP_CNT: 0
	.section	.text._ZN9rocsolver6v33100L18getri_kernel_smallILi15E19rocblas_complex_numIfEPKPS3_EEvT1_iilPiilS8_bb,"axG",@progbits,_ZN9rocsolver6v33100L18getri_kernel_smallILi15E19rocblas_complex_numIfEPKPS3_EEvT1_iilPiilS8_bb,comdat
	.globl	_ZN9rocsolver6v33100L18getri_kernel_smallILi15E19rocblas_complex_numIfEPKPS3_EEvT1_iilPiilS8_bb ; -- Begin function _ZN9rocsolver6v33100L18getri_kernel_smallILi15E19rocblas_complex_numIfEPKPS3_EEvT1_iilPiilS8_bb
	.p2align	8
	.type	_ZN9rocsolver6v33100L18getri_kernel_smallILi15E19rocblas_complex_numIfEPKPS3_EEvT1_iilPiilS8_bb,@function
_ZN9rocsolver6v33100L18getri_kernel_smallILi15E19rocblas_complex_numIfEPKPS3_EEvT1_iilPiilS8_bb: ; @_ZN9rocsolver6v33100L18getri_kernel_smallILi15E19rocblas_complex_numIfEPKPS3_EEvT1_iilPiilS8_bb
; %bb.0:
	s_add_u32 s0, s0, s7
	s_addc_u32 s1, s1, 0
	v_cmp_gt_u32_e32 vcc, 15, v0
	s_and_saveexec_b64 s[8:9], vcc
	s_cbranch_execz .LBB78_74
; %bb.1:
	s_load_dword s18, s[4:5], 0x38
	s_load_dwordx2 s[12:13], s[4:5], 0x0
	s_load_dwordx4 s[8:11], s[4:5], 0x28
	s_waitcnt lgkmcnt(0)
	s_bitcmp1_b32 s18, 8
	s_cselect_b64 s[14:15], -1, 0
	s_ashr_i32 s7, s6, 31
	s_lshl_b64 s[16:17], s[6:7], 3
	s_add_u32 s12, s12, s16
	s_addc_u32 s13, s13, s17
	s_load_dwordx2 s[16:17], s[12:13], 0x0
	s_bfe_u32 s12, s18, 0x10008
	s_cmp_eq_u32 s12, 0
                                        ; implicit-def: $sgpr12_sgpr13
	s_cbranch_scc1 .LBB78_3
; %bb.2:
	s_load_dword s12, s[4:5], 0x20
	s_load_dwordx2 s[18:19], s[4:5], 0x18
	s_mul_i32 s13, s8, s7
	s_mul_hi_u32 s20, s8, s6
	s_add_i32 s20, s20, s13
	s_mul_i32 s9, s9, s6
	s_add_i32 s9, s20, s9
	s_mul_i32 s8, s8, s6
	s_waitcnt lgkmcnt(0)
	s_ashr_i32 s13, s12, 31
	s_lshl_b64 s[8:9], s[8:9], 2
	s_add_u32 s18, s18, s8
	s_addc_u32 s19, s19, s9
	s_lshl_b64 s[8:9], s[12:13], 2
	s_add_u32 s12, s18, s8
	s_addc_u32 s13, s19, s9
.LBB78_3:
	s_load_dwordx2 s[8:9], s[4:5], 0x8
	s_load_dword s18, s[4:5], 0x38
	v_lshlrev_b32_e32 v33, 3, v0
	s_waitcnt lgkmcnt(0)
	s_ashr_i32 s5, s8, 31
	s_mov_b32 s4, s8
	s_lshl_b64 s[4:5], s[4:5], 3
	s_add_u32 s8, s16, s4
	s_addc_u32 s16, s17, s5
	v_mov_b32_e32 v2, s16
	v_add_co_u32_e32 v1, vcc, s8, v33
	v_addc_co_u32_e32 v2, vcc, 0, v2, vcc
	flat_load_dwordx2 v[5:6], v[1:2]
	s_mov_b32 s4, s9
	s_ashr_i32 s5, s9, 31
	s_lshl_b64 s[4:5], s[4:5], 3
	v_mov_b32_e32 v4, s5
	v_add_co_u32_e32 v3, vcc, s4, v1
	v_addc_co_u32_e32 v4, vcc, v2, v4, vcc
	s_add_i32 s4, s9, s9
	v_add_u32_e32 v9, s4, v0
	v_ashrrev_i32_e32 v10, 31, v9
	v_mov_b32_e32 v11, s16
	v_add_u32_e32 v12, s9, v9
	v_ashrrev_i32_e32 v13, 31, v12
	v_mov_b32_e32 v14, s16
	v_mov_b32_e32 v15, s16
	;; [unrolled: 1-line block ×11, first 2 shown]
	s_bitcmp0_b32 s18, 0
	s_waitcnt vmcnt(0) lgkmcnt(0)
	buffer_store_dword v6, off, s[0:3], 0 offset:4
	buffer_store_dword v5, off, s[0:3], 0
	flat_load_dwordx2 v[7:8], v[3:4]
	v_lshlrev_b64 v[5:6], 3, v[9:10]
	s_waitcnt vmcnt(0) lgkmcnt(0)
	buffer_store_dword v8, off, s[0:3], 0 offset:12
	buffer_store_dword v7, off, s[0:3], 0 offset:8
	v_add_co_u32_e32 v5, vcc, s8, v5
	v_addc_co_u32_e32 v6, vcc, v11, v6, vcc
	flat_load_dwordx2 v[10:11], v[5:6]
	v_lshlrev_b64 v[7:8], 3, v[12:13]
	s_waitcnt vmcnt(0) lgkmcnt(0)
	buffer_store_dword v11, off, s[0:3], 0 offset:20
	buffer_store_dword v10, off, s[0:3], 0 offset:16
	v_add_co_u32_e32 v7, vcc, s8, v7
	v_addc_co_u32_e32 v8, vcc, v14, v8, vcc
	flat_load_dwordx2 v[13:14], v[7:8]
	v_add_u32_e32 v11, s9, v12
	v_ashrrev_i32_e32 v12, 31, v11
	v_lshlrev_b64 v[9:10], 3, v[11:12]
	s_waitcnt vmcnt(0) lgkmcnt(0)
	buffer_store_dword v14, off, s[0:3], 0 offset:28
	buffer_store_dword v13, off, s[0:3], 0 offset:24
	v_add_co_u32_e32 v9, vcc, s8, v9
	v_addc_co_u32_e32 v10, vcc, v15, v10, vcc
	flat_load_dwordx2 v[13:14], v[9:10]
	v_add_u32_e32 v15, s9, v11
	v_ashrrev_i32_e32 v16, 31, v15
	v_lshlrev_b64 v[11:12], 3, v[15:16]
	v_add_u32_e32 v18, s9, v15
	v_add_co_u32_e32 v11, vcc, s8, v11
	v_addc_co_u32_e32 v12, vcc, v17, v12, vcc
	v_ashrrev_i32_e32 v19, 31, v18
	s_waitcnt vmcnt(0) lgkmcnt(0)
	buffer_store_dword v14, off, s[0:3], 0 offset:36
	buffer_store_dword v13, off, s[0:3], 0 offset:32
	flat_load_dwordx2 v[16:17], v[11:12]
	v_lshlrev_b64 v[13:14], 3, v[18:19]
	s_waitcnt vmcnt(0) lgkmcnt(0)
	buffer_store_dword v17, off, s[0:3], 0 offset:44
	buffer_store_dword v16, off, s[0:3], 0 offset:40
	v_add_co_u32_e32 v13, vcc, s8, v13
	v_addc_co_u32_e32 v14, vcc, v20, v14, vcc
	flat_load_dwordx2 v[19:20], v[13:14]
	v_add_u32_e32 v17, s9, v18
	v_ashrrev_i32_e32 v18, 31, v17
	v_lshlrev_b64 v[15:16], 3, v[17:18]
	s_waitcnt vmcnt(0) lgkmcnt(0)
	buffer_store_dword v20, off, s[0:3], 0 offset:52
	buffer_store_dword v19, off, s[0:3], 0 offset:48
	v_add_co_u32_e32 v15, vcc, s8, v15
	v_addc_co_u32_e32 v16, vcc, v21, v16, vcc
	flat_load_dwordx2 v[19:20], v[15:16]
	v_add_u32_e32 v21, s9, v17
	v_ashrrev_i32_e32 v22, 31, v21
	v_lshlrev_b64 v[17:18], 3, v[21:22]
	v_add_u32_e32 v24, s9, v21
	v_add_co_u32_e32 v17, vcc, s8, v17
	v_addc_co_u32_e32 v18, vcc, v23, v18, vcc
	v_ashrrev_i32_e32 v25, 31, v24
	s_waitcnt vmcnt(0) lgkmcnt(0)
	buffer_store_dword v20, off, s[0:3], 0 offset:60
	buffer_store_dword v19, off, s[0:3], 0 offset:56
	;; [unrolled: 27-line block ×3, first 2 shown]
	flat_load_dwordx2 v[28:29], v[23:24]
	v_lshlrev_b64 v[25:26], 3, v[30:31]
	s_waitcnt vmcnt(0) lgkmcnt(0)
	buffer_store_dword v29, off, s[0:3], 0 offset:92
	buffer_store_dword v28, off, s[0:3], 0 offset:88
	v_add_co_u32_e32 v25, vcc, s8, v25
	v_addc_co_u32_e32 v26, vcc, v32, v26, vcc
	flat_load_dwordx2 v[31:32], v[25:26]
	v_add_u32_e32 v29, s9, v30
	v_ashrrev_i32_e32 v30, 31, v29
	v_lshlrev_b64 v[27:28], 3, v[29:30]
	v_add_u32_e32 v29, s9, v29
	v_add_co_u32_e32 v27, vcc, s8, v27
	v_addc_co_u32_e32 v28, vcc, v34, v28, vcc
	v_ashrrev_i32_e32 v30, 31, v29
	v_lshlrev_b64 v[29:30], 3, v[29:30]
	s_waitcnt vmcnt(0) lgkmcnt(0)
	buffer_store_dword v32, off, s[0:3], 0 offset:100
	buffer_store_dword v31, off, s[0:3], 0 offset:96
	flat_load_dwordx2 v[31:32], v[27:28]
	v_add_co_u32_e32 v29, vcc, s8, v29
	v_addc_co_u32_e32 v30, vcc, v34, v30, vcc
	s_mov_b64 s[8:9], -1
	s_waitcnt vmcnt(0) lgkmcnt(0)
	buffer_store_dword v32, off, s[0:3], 0 offset:108
	buffer_store_dword v31, off, s[0:3], 0 offset:104
	flat_load_dwordx2 v[31:32], v[29:30]
	s_waitcnt vmcnt(0) lgkmcnt(0)
	buffer_store_dword v32, off, s[0:3], 0 offset:116
	buffer_store_dword v31, off, s[0:3], 0 offset:112
	s_cbranch_scc1 .LBB78_72
; %bb.4:
	v_cmp_eq_u32_e64 s[4:5], 0, v0
	s_and_saveexec_b64 s[8:9], s[4:5]
; %bb.5:
	v_mov_b32_e32 v31, 0
	ds_write_b32 v31, v31 offset:120
; %bb.6:
	s_or_b64 exec, exec, s[8:9]
	v_mov_b32_e32 v31, 0
	v_lshl_add_u32 v35, v0, 3, v31
	s_waitcnt lgkmcnt(0)
	; wave barrier
	buffer_load_dword v31, v35, s[0:3], 0 offen
	buffer_load_dword v32, v35, s[0:3], 0 offen offset:4
	s_waitcnt vmcnt(1)
	v_cmp_eq_f32_e32 vcc, 0, v31
	s_waitcnt vmcnt(0)
	v_cmp_eq_f32_e64 s[8:9], 0, v32
	s_and_b64 s[8:9], vcc, s[8:9]
	s_and_saveexec_b64 s[16:17], s[8:9]
	s_cbranch_execz .LBB78_10
; %bb.7:
	v_mov_b32_e32 v31, 0
	ds_read_b32 v34, v31 offset:120
	v_add_u32_e32 v32, 1, v0
	s_waitcnt lgkmcnt(0)
	v_readfirstlane_b32 s8, v34
	s_cmp_eq_u32 s8, 0
	s_cselect_b64 s[18:19], -1, 0
	v_cmp_gt_i32_e32 vcc, s8, v32
	s_or_b64 s[18:19], s[18:19], vcc
	s_and_b64 exec, exec, s[18:19]
	s_cbranch_execz .LBB78_10
; %bb.8:
	s_mov_b64 s[18:19], 0
	v_mov_b32_e32 v34, s8
.LBB78_9:                               ; =>This Inner Loop Header: Depth=1
	ds_cmpst_rtn_b32 v34, v31, v34, v32 offset:120
	s_waitcnt lgkmcnt(0)
	v_cmp_ne_u32_e32 vcc, 0, v34
	v_cmp_le_i32_e64 s[8:9], v34, v32
	s_and_b64 s[8:9], vcc, s[8:9]
	s_and_b64 s[8:9], exec, s[8:9]
	s_or_b64 s[18:19], s[8:9], s[18:19]
	s_andn2_b64 exec, exec, s[18:19]
	s_cbranch_execnz .LBB78_9
.LBB78_10:
	s_or_b64 exec, exec, s[16:17]
	v_mov_b32_e32 v32, 0
	; wave barrier
	ds_read_b32 v31, v32 offset:120
	s_and_saveexec_b64 s[8:9], s[4:5]
	s_cbranch_execz .LBB78_12
; %bb.11:
	s_lshl_b64 s[16:17], s[6:7], 2
	s_add_u32 s16, s10, s16
	s_addc_u32 s17, s11, s17
	s_waitcnt lgkmcnt(0)
	global_store_dword v32, v31, s[16:17]
.LBB78_12:
	s_or_b64 exec, exec, s[8:9]
	s_waitcnt lgkmcnt(0)
	v_cmp_ne_u32_e32 vcc, 0, v31
	s_mov_b64 s[8:9], 0
	s_cbranch_vccnz .LBB78_72
; %bb.13:
	buffer_load_dword v32, v35, s[0:3], 0 offen
	buffer_load_dword v34, v35, s[0:3], 0 offen offset:4
                                        ; implicit-def: $vgpr37
                                        ; implicit-def: $vgpr36
                                        ; implicit-def: $vgpr31
	s_waitcnt vmcnt(0)
	v_cmp_ngt_f32_e64 s[8:9], |v32|, |v34|
	s_and_saveexec_b64 s[16:17], s[8:9]
	s_xor_b64 s[8:9], exec, s[16:17]
	s_cbranch_execz .LBB78_15
; %bb.14:
	v_div_scale_f32 v31, s[16:17], v34, v34, v32
	v_div_scale_f32 v36, vcc, v32, v34, v32
	v_rcp_f32_e32 v37, v31
	v_fma_f32 v38, -v31, v37, 1.0
	v_fmac_f32_e32 v37, v38, v37
	v_mul_f32_e32 v38, v36, v37
	v_fma_f32 v39, -v31, v38, v36
	v_fmac_f32_e32 v38, v39, v37
	v_fma_f32 v31, -v31, v38, v36
	v_div_fmas_f32 v31, v31, v37, v38
	v_div_fixup_f32 v31, v31, v34, v32
	v_fmac_f32_e32 v34, v32, v31
	v_div_scale_f32 v32, s[16:17], v34, v34, 1.0
	v_div_scale_f32 v36, vcc, 1.0, v34, 1.0
	v_rcp_f32_e32 v37, v32
	v_fma_f32 v38, -v32, v37, 1.0
	v_fmac_f32_e32 v37, v38, v37
	v_mul_f32_e32 v38, v36, v37
	v_fma_f32 v39, -v32, v38, v36
	v_fmac_f32_e32 v38, v39, v37
	v_fma_f32 v32, -v32, v38, v36
	v_div_fmas_f32 v32, v32, v37, v38
	v_div_fixup_f32 v32, v32, v34, 1.0
	v_mul_f32_e32 v37, v31, v32
	v_xor_b32_e32 v36, 0x80000000, v32
	v_xor_b32_e32 v31, 0x80000000, v37
                                        ; implicit-def: $vgpr32
                                        ; implicit-def: $vgpr34
.LBB78_15:
	s_andn2_saveexec_b64 s[8:9], s[8:9]
	s_cbranch_execz .LBB78_17
; %bb.16:
	v_div_scale_f32 v31, s[16:17], v32, v32, v34
	v_div_scale_f32 v36, vcc, v34, v32, v34
	v_rcp_f32_e32 v37, v31
	v_fma_f32 v38, -v31, v37, 1.0
	v_fmac_f32_e32 v37, v38, v37
	v_mul_f32_e32 v38, v36, v37
	v_fma_f32 v39, -v31, v38, v36
	v_fmac_f32_e32 v38, v39, v37
	v_fma_f32 v31, -v31, v38, v36
	v_div_fmas_f32 v31, v31, v37, v38
	v_div_fixup_f32 v36, v31, v32, v34
	v_fmac_f32_e32 v32, v34, v36
	v_div_scale_f32 v31, s[16:17], v32, v32, 1.0
	v_div_scale_f32 v34, vcc, 1.0, v32, 1.0
	v_rcp_f32_e32 v37, v31
	v_fma_f32 v38, -v31, v37, 1.0
	v_fmac_f32_e32 v37, v38, v37
	v_mul_f32_e32 v38, v34, v37
	v_fma_f32 v39, -v31, v38, v34
	v_fmac_f32_e32 v38, v39, v37
	v_fma_f32 v31, -v31, v38, v34
	v_div_fmas_f32 v31, v31, v37, v38
	v_div_fixup_f32 v37, v31, v32, 1.0
	v_xor_b32_e32 v31, 0x80000000, v37
	v_mul_f32_e64 v36, v36, -v37
.LBB78_17:
	s_or_b64 exec, exec, s[8:9]
	buffer_store_dword v37, v35, s[0:3], 0 offen
	buffer_store_dword v36, v35, s[0:3], 0 offen offset:4
	buffer_load_dword v38, off, s[0:3], 0 offset:12
	s_nop 0
	buffer_load_dword v37, off, s[0:3], 0 offset:8
	v_xor_b32_e32 v32, 0x80000000, v36
	v_add_u32_e32 v34, 0x80, v33
	s_waitcnt vmcnt(0)
	ds_write2_b64 v33, v[31:32], v[37:38] offset1:16
	s_waitcnt lgkmcnt(0)
	; wave barrier
	s_and_saveexec_b64 s[8:9], s[4:5]
	s_cbranch_execz .LBB78_19
; %bb.18:
	buffer_load_dword v38, v35, s[0:3], 0 offen offset:4
	buffer_load_dword v39, v35, s[0:3], 0 offen
	ds_read_b64 v[31:32], v34
	v_mov_b32_e32 v36, 0
	ds_read_b64 v[36:37], v36 offset:8
	s_waitcnt vmcnt(1) lgkmcnt(1)
	v_mul_f32_e32 v40, v32, v38
	v_mul_f32_e32 v38, v31, v38
	s_waitcnt vmcnt(0)
	v_fmac_f32_e32 v38, v32, v39
	v_fma_f32 v31, v31, v39, -v40
	v_add_f32_e32 v32, 0, v38
	v_add_f32_e32 v31, 0, v31
	s_waitcnt lgkmcnt(0)
	v_mul_f32_e32 v38, v32, v37
	v_mul_f32_e32 v37, v31, v37
	v_fma_f32 v31, v31, v36, -v38
	v_fmac_f32_e32 v37, v32, v36
	buffer_store_dword v31, off, s[0:3], 0 offset:8
	buffer_store_dword v37, off, s[0:3], 0 offset:12
.LBB78_19:
	s_or_b64 exec, exec, s[8:9]
	; wave barrier
	buffer_load_dword v31, off, s[0:3], 0 offset:16
	buffer_load_dword v32, off, s[0:3], 0 offset:20
	v_cmp_gt_u32_e32 vcc, 2, v0
	s_waitcnt vmcnt(0)
	ds_write_b64 v34, v[31:32]
	s_waitcnt lgkmcnt(0)
	; wave barrier
	s_and_saveexec_b64 s[8:9], vcc
	s_cbranch_execz .LBB78_23
; %bb.20:
	buffer_load_dword v36, v35, s[0:3], 0 offen offset:4
	buffer_load_dword v37, v35, s[0:3], 0 offen
	ds_read_b64 v[31:32], v34
	s_waitcnt vmcnt(1) lgkmcnt(0)
	v_mul_f32_e32 v35, v32, v36
	v_mul_f32_e32 v36, v31, v36
	s_waitcnt vmcnt(0)
	v_fma_f32 v31, v31, v37, -v35
	v_fmac_f32_e32 v36, v32, v37
	v_add_f32_e32 v32, 0, v31
	v_add_f32_e32 v31, 0, v36
	s_and_saveexec_b64 s[16:17], s[4:5]
	s_cbranch_execz .LBB78_22
; %bb.21:
	buffer_load_dword v37, off, s[0:3], 0 offset:12
	buffer_load_dword v38, off, s[0:3], 0 offset:8
	v_mov_b32_e32 v35, 0
	ds_read_b64 v[35:36], v35 offset:136
	s_waitcnt vmcnt(1) lgkmcnt(0)
	v_mul_f32_e32 v39, v35, v37
	v_mul_f32_e32 v37, v36, v37
	s_waitcnt vmcnt(0)
	v_fmac_f32_e32 v39, v36, v38
	v_fma_f32 v35, v35, v38, -v37
	v_add_f32_e32 v31, v31, v39
	v_add_f32_e32 v32, v32, v35
.LBB78_22:
	s_or_b64 exec, exec, s[16:17]
	v_mov_b32_e32 v35, 0
	ds_read_b64 v[35:36], v35 offset:16
	s_waitcnt lgkmcnt(0)
	v_mul_f32_e32 v37, v31, v36
	v_mul_f32_e32 v36, v32, v36
	v_fma_f32 v32, v32, v35, -v37
	v_fmac_f32_e32 v36, v31, v35
	buffer_store_dword v32, off, s[0:3], 0 offset:16
	buffer_store_dword v36, off, s[0:3], 0 offset:20
.LBB78_23:
	s_or_b64 exec, exec, s[8:9]
	; wave barrier
	buffer_load_dword v31, off, s[0:3], 0 offset:24
	buffer_load_dword v32, off, s[0:3], 0 offset:28
	v_cmp_gt_u32_e32 vcc, 3, v0
	s_waitcnt vmcnt(0)
	ds_write_b64 v34, v[31:32]
	v_add_u32_e32 v31, -1, v0
	s_waitcnt lgkmcnt(0)
	; wave barrier
	s_and_saveexec_b64 s[4:5], vcc
	s_cbranch_execz .LBB78_27
; %bb.24:
	v_add_u32_e32 v35, -1, v0
	v_add_u32_e32 v36, 0x80, v33
	v_mov_b32_e32 v37, v33
	v_mov_b32_e32 v32, 0
	s_mov_b64 s[8:9], 0
	v_mov_b32_e32 v38, 0
.LBB78_25:                              ; =>This Inner Loop Header: Depth=1
	buffer_load_dword v41, v37, s[0:3], 0 offen offset:4
	buffer_load_dword v42, v37, s[0:3], 0 offen
	ds_read_b64 v[39:40], v36
	v_add_u32_e32 v35, 1, v35
	v_cmp_lt_u32_e32 vcc, 1, v35
	v_add_u32_e32 v36, 8, v36
	v_add_u32_e32 v37, 8, v37
	s_or_b64 s[8:9], vcc, s[8:9]
	s_waitcnt vmcnt(1) lgkmcnt(0)
	v_mul_f32_e32 v43, v40, v41
	v_mul_f32_e32 v41, v39, v41
	s_waitcnt vmcnt(0)
	v_fma_f32 v39, v39, v42, -v43
	v_fmac_f32_e32 v41, v40, v42
	v_add_f32_e32 v38, v38, v39
	v_add_f32_e32 v32, v32, v41
	s_andn2_b64 exec, exec, s[8:9]
	s_cbranch_execnz .LBB78_25
; %bb.26:
	s_or_b64 exec, exec, s[8:9]
	v_mov_b32_e32 v35, 0
	ds_read_b64 v[35:36], v35 offset:24
	s_waitcnt lgkmcnt(0)
	v_mul_f32_e32 v37, v32, v36
	v_mul_f32_e32 v36, v38, v36
	v_fma_f32 v37, v38, v35, -v37
	v_fmac_f32_e32 v36, v32, v35
	buffer_store_dword v37, off, s[0:3], 0 offset:24
	buffer_store_dword v36, off, s[0:3], 0 offset:28
.LBB78_27:
	s_or_b64 exec, exec, s[4:5]
	; wave barrier
	buffer_load_dword v35, off, s[0:3], 0 offset:32
	buffer_load_dword v36, off, s[0:3], 0 offset:36
	v_cmp_gt_u32_e32 vcc, 4, v0
	s_waitcnt vmcnt(0)
	ds_write_b64 v34, v[35:36]
	s_waitcnt lgkmcnt(0)
	; wave barrier
	s_and_saveexec_b64 s[4:5], vcc
	s_cbranch_execz .LBB78_31
; %bb.28:
	v_add_u32_e32 v35, -1, v0
	v_add_u32_e32 v36, 0x80, v33
	v_mov_b32_e32 v37, v33
	v_mov_b32_e32 v32, 0
	s_mov_b64 s[8:9], 0
	v_mov_b32_e32 v38, 0
.LBB78_29:                              ; =>This Inner Loop Header: Depth=1
	buffer_load_dword v41, v37, s[0:3], 0 offen offset:4
	buffer_load_dword v42, v37, s[0:3], 0 offen
	ds_read_b64 v[39:40], v36
	v_add_u32_e32 v35, 1, v35
	v_cmp_lt_u32_e32 vcc, 2, v35
	v_add_u32_e32 v36, 8, v36
	v_add_u32_e32 v37, 8, v37
	s_or_b64 s[8:9], vcc, s[8:9]
	s_waitcnt vmcnt(1) lgkmcnt(0)
	v_mul_f32_e32 v43, v40, v41
	v_mul_f32_e32 v41, v39, v41
	s_waitcnt vmcnt(0)
	v_fma_f32 v39, v39, v42, -v43
	v_fmac_f32_e32 v41, v40, v42
	v_add_f32_e32 v38, v38, v39
	v_add_f32_e32 v32, v32, v41
	s_andn2_b64 exec, exec, s[8:9]
	s_cbranch_execnz .LBB78_29
; %bb.30:
	s_or_b64 exec, exec, s[8:9]
	v_mov_b32_e32 v35, 0
	ds_read_b64 v[35:36], v35 offset:32
	s_waitcnt lgkmcnt(0)
	v_mul_f32_e32 v37, v32, v36
	v_mul_f32_e32 v36, v38, v36
	v_fma_f32 v37, v38, v35, -v37
	v_fmac_f32_e32 v36, v32, v35
	buffer_store_dword v37, off, s[0:3], 0 offset:32
	buffer_store_dword v36, off, s[0:3], 0 offset:36
.LBB78_31:
	s_or_b64 exec, exec, s[4:5]
	; wave barrier
	buffer_load_dword v35, off, s[0:3], 0 offset:40
	buffer_load_dword v36, off, s[0:3], 0 offset:44
	v_cmp_gt_u32_e32 vcc, 5, v0
	s_waitcnt vmcnt(0)
	ds_write_b64 v34, v[35:36]
	;; [unrolled: 49-line block ×10, first 2 shown]
	s_waitcnt lgkmcnt(0)
	; wave barrier
	s_and_saveexec_b64 s[4:5], vcc
	s_cbranch_execz .LBB78_67
; %bb.64:
	v_add_u32_e32 v35, -1, v0
	v_add_u32_e32 v36, 0x80, v33
	v_mov_b32_e32 v37, v33
	v_mov_b32_e32 v32, 0
	s_mov_b64 s[8:9], 0
	v_mov_b32_e32 v38, 0
.LBB78_65:                              ; =>This Inner Loop Header: Depth=1
	buffer_load_dword v41, v37, s[0:3], 0 offen offset:4
	buffer_load_dword v42, v37, s[0:3], 0 offen
	ds_read_b64 v[39:40], v36
	v_add_u32_e32 v35, 1, v35
	v_cmp_lt_u32_e32 vcc, 11, v35
	v_add_u32_e32 v36, 8, v36
	v_add_u32_e32 v37, 8, v37
	s_or_b64 s[8:9], vcc, s[8:9]
	s_waitcnt vmcnt(1) lgkmcnt(0)
	v_mul_f32_e32 v43, v40, v41
	v_mul_f32_e32 v41, v39, v41
	s_waitcnt vmcnt(0)
	v_fma_f32 v39, v39, v42, -v43
	v_fmac_f32_e32 v41, v40, v42
	v_add_f32_e32 v38, v38, v39
	v_add_f32_e32 v32, v32, v41
	s_andn2_b64 exec, exec, s[8:9]
	s_cbranch_execnz .LBB78_65
; %bb.66:
	s_or_b64 exec, exec, s[8:9]
	v_mov_b32_e32 v35, 0
	ds_read_b64 v[35:36], v35 offset:104
	s_waitcnt lgkmcnt(0)
	v_mul_f32_e32 v37, v32, v36
	v_mul_f32_e32 v36, v38, v36
	v_fma_f32 v37, v38, v35, -v37
	v_fmac_f32_e32 v36, v32, v35
	buffer_store_dword v37, off, s[0:3], 0 offset:104
	buffer_store_dword v36, off, s[0:3], 0 offset:108
.LBB78_67:
	s_or_b64 exec, exec, s[4:5]
	; wave barrier
	buffer_load_dword v35, off, s[0:3], 0 offset:112
	buffer_load_dword v36, off, s[0:3], 0 offset:116
	v_cmp_ne_u32_e32 vcc, 14, v0
	s_waitcnt vmcnt(0)
	ds_write_b64 v34, v[35:36]
	s_waitcnt lgkmcnt(0)
	; wave barrier
	s_and_saveexec_b64 s[4:5], vcc
	s_cbranch_execz .LBB78_71
; %bb.68:
	v_add_u32_e32 v34, 0x80, v33
	v_mov_b32_e32 v32, 0
	s_mov_b64 s[8:9], 0
	v_mov_b32_e32 v35, 0
.LBB78_69:                              ; =>This Inner Loop Header: Depth=1
	buffer_load_dword v38, v33, s[0:3], 0 offen offset:4
	buffer_load_dword v39, v33, s[0:3], 0 offen
	ds_read_b64 v[36:37], v34
	v_add_u32_e32 v31, 1, v31
	v_cmp_lt_u32_e32 vcc, 12, v31
	v_add_u32_e32 v34, 8, v34
	v_add_u32_e32 v33, 8, v33
	s_or_b64 s[8:9], vcc, s[8:9]
	s_waitcnt vmcnt(1) lgkmcnt(0)
	v_mul_f32_e32 v40, v37, v38
	v_mul_f32_e32 v38, v36, v38
	s_waitcnt vmcnt(0)
	v_fma_f32 v36, v36, v39, -v40
	v_fmac_f32_e32 v38, v37, v39
	v_add_f32_e32 v35, v35, v36
	v_add_f32_e32 v32, v32, v38
	s_andn2_b64 exec, exec, s[8:9]
	s_cbranch_execnz .LBB78_69
; %bb.70:
	s_or_b64 exec, exec, s[8:9]
	v_mov_b32_e32 v31, 0
	ds_read_b64 v[33:34], v31 offset:112
	s_waitcnt lgkmcnt(0)
	v_mul_f32_e32 v31, v32, v34
	v_mul_f32_e32 v34, v35, v34
	v_fma_f32 v31, v35, v33, -v31
	v_fmac_f32_e32 v34, v32, v33
	buffer_store_dword v31, off, s[0:3], 0 offset:112
	buffer_store_dword v34, off, s[0:3], 0 offset:116
.LBB78_71:
	s_or_b64 exec, exec, s[4:5]
	s_mov_b64 s[8:9], -1
	; wave barrier
.LBB78_72:
	s_and_b64 vcc, exec, s[8:9]
	s_cbranch_vccz .LBB78_74
; %bb.73:
	s_lshl_b64 s[4:5], s[6:7], 2
	s_add_u32 s4, s10, s4
	s_addc_u32 s5, s11, s5
	v_mov_b32_e32 v31, 0
	global_load_dword v31, v31, s[4:5]
	s_waitcnt vmcnt(0)
	v_cmp_ne_u32_e32 vcc, 0, v31
	s_cbranch_vccz .LBB78_75
.LBB78_74:
	s_endpgm
.LBB78_75:
	v_mov_b32_e32 v31, 0x80
	v_lshl_add_u32 v31, v0, 3, v31
	v_cmp_eq_u32_e32 vcc, 14, v0
	s_and_saveexec_b64 s[4:5], vcc
	s_cbranch_execz .LBB78_77
; %bb.76:
	buffer_load_dword v32, off, s[0:3], 0 offset:104
	buffer_load_dword v33, off, s[0:3], 0 offset:108
	v_mov_b32_e32 v34, 0
	buffer_store_dword v34, off, s[0:3], 0 offset:104
	buffer_store_dword v34, off, s[0:3], 0 offset:108
	s_waitcnt vmcnt(2)
	ds_write_b64 v31, v[32:33]
.LBB78_77:
	s_or_b64 exec, exec, s[4:5]
	s_waitcnt lgkmcnt(0)
	; wave barrier
	buffer_load_dword v35, off, s[0:3], 0 offset:116
	buffer_load_dword v36, off, s[0:3], 0 offset:112
	;; [unrolled: 1-line block ×4, first 2 shown]
	v_mov_b32_e32 v32, 0
	ds_read_b64 v[33:34], v32 offset:240
	v_cmp_lt_u32_e32 vcc, 12, v0
	s_waitcnt vmcnt(3) lgkmcnt(0)
	v_mul_f32_e32 v39, v33, v35
	v_mul_f32_e32 v35, v34, v35
	s_waitcnt vmcnt(2)
	v_fma_f32 v33, v33, v36, -v35
	v_fmac_f32_e32 v39, v34, v36
	v_add_f32_e32 v33, 0, v33
	v_add_f32_e32 v34, 0, v39
	s_waitcnt vmcnt(1)
	v_sub_f32_e32 v33, v37, v33
	s_waitcnt vmcnt(0)
	v_sub_f32_e32 v34, v38, v34
	buffer_store_dword v33, off, s[0:3], 0 offset:104
	buffer_store_dword v34, off, s[0:3], 0 offset:108
	s_and_saveexec_b64 s[4:5], vcc
	s_cbranch_execz .LBB78_79
; %bb.78:
	buffer_load_dword v33, off, s[0:3], 0 offset:96
	buffer_load_dword v34, off, s[0:3], 0 offset:100
	s_waitcnt vmcnt(0)
	ds_write_b64 v31, v[33:34]
	buffer_store_dword v32, off, s[0:3], 0 offset:96
	buffer_store_dword v32, off, s[0:3], 0 offset:100
.LBB78_79:
	s_or_b64 exec, exec, s[4:5]
	s_waitcnt lgkmcnt(0)
	; wave barrier
	buffer_load_dword v36, off, s[0:3], 0 offset:108
	buffer_load_dword v37, off, s[0:3], 0 offset:116
	;; [unrolled: 1-line block ×6, first 2 shown]
	ds_read2_b64 v[32:35], v32 offset0:29 offset1:30
	v_cmp_lt_u32_e32 vcc, 11, v0
	s_waitcnt vmcnt(5) lgkmcnt(0)
	v_mul_f32_e32 v42, v32, v36
	v_mul_f32_e32 v36, v33, v36
	s_waitcnt vmcnt(4)
	v_mul_f32_e32 v43, v34, v37
	v_mul_f32_e32 v37, v35, v37
	s_waitcnt vmcnt(3)
	v_fma_f32 v32, v32, v38, -v36
	v_fmac_f32_e32 v42, v33, v38
	s_waitcnt vmcnt(2)
	v_fma_f32 v33, v34, v39, -v37
	v_add_f32_e32 v32, 0, v32
	v_fmac_f32_e32 v43, v35, v39
	v_add_f32_e32 v34, 0, v42
	v_add_f32_e32 v32, v32, v33
	;; [unrolled: 1-line block ×3, first 2 shown]
	s_waitcnt vmcnt(1)
	v_sub_f32_e32 v32, v40, v32
	s_waitcnt vmcnt(0)
	v_sub_f32_e32 v33, v41, v34
	buffer_store_dword v32, off, s[0:3], 0 offset:96
	buffer_store_dword v33, off, s[0:3], 0 offset:100
	s_and_saveexec_b64 s[4:5], vcc
	s_cbranch_execz .LBB78_81
; %bb.80:
	buffer_load_dword v32, off, s[0:3], 0 offset:88
	buffer_load_dword v33, off, s[0:3], 0 offset:92
	v_mov_b32_e32 v34, 0
	buffer_store_dword v34, off, s[0:3], 0 offset:88
	buffer_store_dword v34, off, s[0:3], 0 offset:92
	s_waitcnt vmcnt(2)
	ds_write_b64 v31, v[32:33]
.LBB78_81:
	s_or_b64 exec, exec, s[4:5]
	s_waitcnt lgkmcnt(0)
	; wave barrier
	buffer_load_dword v39, off, s[0:3], 0 offset:100
	buffer_load_dword v40, off, s[0:3], 0 offset:108
	;; [unrolled: 1-line block ×8, first 2 shown]
	v_mov_b32_e32 v32, 0
	ds_read_b128 v[33:36], v32 offset:224
	ds_read_b64 v[37:38], v32 offset:240
	v_cmp_lt_u32_e32 vcc, 10, v0
	s_waitcnt vmcnt(7) lgkmcnt(1)
	v_mul_f32_e32 v47, v33, v39
	v_mul_f32_e32 v39, v34, v39
	s_waitcnt vmcnt(6)
	v_mul_f32_e32 v48, v35, v40
	v_mul_f32_e32 v40, v36, v40
	s_waitcnt vmcnt(4)
	v_fma_f32 v33, v33, v42, -v39
	s_waitcnt lgkmcnt(0)
	v_mul_f32_e32 v49, v37, v41
	v_mul_f32_e32 v41, v38, v41
	v_fmac_f32_e32 v47, v34, v42
	s_waitcnt vmcnt(3)
	v_fma_f32 v34, v35, v43, -v40
	v_add_f32_e32 v33, 0, v33
	v_fmac_f32_e32 v48, v36, v43
	s_waitcnt vmcnt(2)
	v_fma_f32 v35, v37, v44, -v41
	v_add_f32_e32 v36, 0, v47
	v_add_f32_e32 v33, v33, v34
	v_fmac_f32_e32 v49, v38, v44
	v_add_f32_e32 v36, v36, v48
	v_add_f32_e32 v33, v33, v35
	;; [unrolled: 1-line block ×3, first 2 shown]
	s_waitcnt vmcnt(1)
	v_sub_f32_e32 v33, v45, v33
	s_waitcnt vmcnt(0)
	v_sub_f32_e32 v34, v46, v34
	buffer_store_dword v33, off, s[0:3], 0 offset:88
	buffer_store_dword v34, off, s[0:3], 0 offset:92
	s_and_saveexec_b64 s[4:5], vcc
	s_cbranch_execz .LBB78_83
; %bb.82:
	buffer_load_dword v33, off, s[0:3], 0 offset:80
	buffer_load_dword v34, off, s[0:3], 0 offset:84
	s_waitcnt vmcnt(0)
	ds_write_b64 v31, v[33:34]
	buffer_store_dword v32, off, s[0:3], 0 offset:80
	buffer_store_dword v32, off, s[0:3], 0 offset:84
.LBB78_83:
	s_or_b64 exec, exec, s[4:5]
	s_waitcnt lgkmcnt(0)
	; wave barrier
	buffer_load_dword v41, off, s[0:3], 0 offset:92
	buffer_load_dword v42, off, s[0:3], 0 offset:100
	;; [unrolled: 1-line block ×10, first 2 shown]
	ds_read2_b64 v[33:36], v32 offset0:27 offset1:28
	ds_read2_b64 v[37:40], v32 offset0:29 offset1:30
	v_cmp_lt_u32_e32 vcc, 9, v0
	s_waitcnt vmcnt(9) lgkmcnt(1)
	v_mul_f32_e32 v32, v33, v41
	v_mul_f32_e32 v41, v34, v41
	s_waitcnt vmcnt(8)
	v_mul_f32_e32 v51, v35, v42
	v_mul_f32_e32 v42, v36, v42
	s_waitcnt vmcnt(5)
	v_fma_f32 v33, v33, v45, -v41
	s_waitcnt lgkmcnt(0)
	v_mul_f32_e32 v52, v37, v43
	v_mul_f32_e32 v43, v38, v43
	v_fmac_f32_e32 v32, v34, v45
	s_waitcnt vmcnt(4)
	v_fma_f32 v34, v35, v46, -v42
	v_add_f32_e32 v33, 0, v33
	v_mul_f32_e32 v53, v39, v44
	v_mul_f32_e32 v44, v40, v44
	v_fmac_f32_e32 v51, v36, v46
	s_waitcnt vmcnt(3)
	v_fma_f32 v35, v37, v47, -v43
	v_add_f32_e32 v32, 0, v32
	v_add_f32_e32 v33, v33, v34
	v_fmac_f32_e32 v52, v38, v47
	s_waitcnt vmcnt(2)
	v_fma_f32 v36, v39, v48, -v44
	v_add_f32_e32 v32, v32, v51
	v_add_f32_e32 v33, v33, v35
	v_fmac_f32_e32 v53, v40, v48
	v_add_f32_e32 v32, v32, v52
	v_add_f32_e32 v33, v33, v36
	;; [unrolled: 1-line block ×3, first 2 shown]
	s_waitcnt vmcnt(1)
	v_sub_f32_e32 v33, v49, v33
	s_waitcnt vmcnt(0)
	v_sub_f32_e32 v32, v50, v32
	buffer_store_dword v33, off, s[0:3], 0 offset:80
	buffer_store_dword v32, off, s[0:3], 0 offset:84
	s_and_saveexec_b64 s[4:5], vcc
	s_cbranch_execz .LBB78_85
; %bb.84:
	buffer_load_dword v32, off, s[0:3], 0 offset:72
	buffer_load_dword v33, off, s[0:3], 0 offset:76
	v_mov_b32_e32 v34, 0
	buffer_store_dword v34, off, s[0:3], 0 offset:72
	buffer_store_dword v34, off, s[0:3], 0 offset:76
	s_waitcnt vmcnt(2)
	ds_write_b64 v31, v[32:33]
.LBB78_85:
	s_or_b64 exec, exec, s[4:5]
	s_waitcnt lgkmcnt(0)
	; wave barrier
	buffer_load_dword v43, off, s[0:3], 0 offset:84
	buffer_load_dword v44, off, s[0:3], 0 offset:92
	;; [unrolled: 1-line block ×12, first 2 shown]
	v_mov_b32_e32 v32, 0
	ds_read_b128 v[33:36], v32 offset:208
	ds_read_b128 v[37:40], v32 offset:224
	ds_read_b64 v[41:42], v32 offset:240
	v_cmp_lt_u32_e32 vcc, 8, v0
	s_waitcnt vmcnt(11) lgkmcnt(2)
	v_mul_f32_e32 v55, v33, v43
	v_mul_f32_e32 v43, v34, v43
	s_waitcnt vmcnt(10)
	v_mul_f32_e32 v56, v35, v44
	v_mul_f32_e32 v44, v36, v44
	s_waitcnt vmcnt(9) lgkmcnt(1)
	v_mul_f32_e32 v57, v37, v45
	s_waitcnt vmcnt(6)
	v_fma_f32 v33, v33, v48, -v43
	v_mul_f32_e32 v45, v38, v45
	v_fmac_f32_e32 v55, v34, v48
	s_waitcnt vmcnt(5)
	v_fma_f32 v34, v35, v49, -v44
	v_add_f32_e32 v33, 0, v33
	v_mul_f32_e32 v58, v39, v46
	v_mul_f32_e32 v46, v40, v46
	v_fmac_f32_e32 v56, v36, v49
	s_waitcnt vmcnt(4)
	v_fmac_f32_e32 v57, v38, v50
	v_fma_f32 v35, v37, v50, -v45
	v_add_f32_e32 v38, 0, v55
	v_add_f32_e32 v33, v33, v34
	s_waitcnt lgkmcnt(0)
	v_mul_f32_e32 v59, v41, v47
	v_mul_f32_e32 v47, v42, v47
	s_waitcnt vmcnt(3)
	v_fma_f32 v36, v39, v51, -v46
	v_add_f32_e32 v38, v38, v56
	v_add_f32_e32 v33, v33, v35
	v_fmac_f32_e32 v58, v40, v51
	s_waitcnt vmcnt(2)
	v_fma_f32 v37, v41, v52, -v47
	v_add_f32_e32 v34, v38, v57
	v_add_f32_e32 v33, v33, v36
	v_fmac_f32_e32 v59, v42, v52
	v_add_f32_e32 v34, v34, v58
	v_add_f32_e32 v33, v33, v37
	;; [unrolled: 1-line block ×3, first 2 shown]
	s_waitcnt vmcnt(1)
	v_sub_f32_e32 v33, v53, v33
	s_waitcnt vmcnt(0)
	v_sub_f32_e32 v34, v54, v34
	buffer_store_dword v33, off, s[0:3], 0 offset:72
	buffer_store_dword v34, off, s[0:3], 0 offset:76
	s_and_saveexec_b64 s[4:5], vcc
	s_cbranch_execz .LBB78_87
; %bb.86:
	buffer_load_dword v33, off, s[0:3], 0 offset:64
	buffer_load_dword v34, off, s[0:3], 0 offset:68
	s_waitcnt vmcnt(0)
	ds_write_b64 v31, v[33:34]
	buffer_store_dword v32, off, s[0:3], 0 offset:64
	buffer_store_dword v32, off, s[0:3], 0 offset:68
.LBB78_87:
	s_or_b64 exec, exec, s[4:5]
	s_waitcnt lgkmcnt(0)
	; wave barrier
	ds_read2_b64 v[33:36], v32 offset0:25 offset1:26
	buffer_load_dword v45, off, s[0:3], 0 offset:64
	buffer_load_dword v46, off, s[0:3], 0 offset:68
	;; [unrolled: 1-line block ×14, first 2 shown]
	v_cmp_lt_u32_e32 vcc, 7, v0
	s_waitcnt vmcnt(10) lgkmcnt(0)
	v_mul_f32_e32 v37, v33, v48
	v_fmac_f32_e32 v37, v34, v47
	s_waitcnt vmcnt(8)
	v_mul_f32_e32 v38, v35, v50
	v_add_f32_e32 v37, 0, v37
	v_fmac_f32_e32 v38, v36, v49
	v_add_f32_e32 v41, v37, v38
	ds_read2_b64 v[37:40], v32 offset0:27 offset1:28
	v_mul_f32_e32 v34, v34, v48
	v_fma_f32 v33, v33, v47, -v34
	v_mul_f32_e32 v34, v36, v50
	v_add_f32_e32 v33, 0, v33
	s_waitcnt vmcnt(6) lgkmcnt(0)
	v_mul_f32_e32 v42, v37, v52
	v_fmac_f32_e32 v42, v38, v51
	v_add_f32_e32 v41, v41, v42
	s_waitcnt vmcnt(4)
	v_mul_f32_e32 v42, v39, v54
	v_fmac_f32_e32 v42, v40, v53
	v_add_f32_e32 v59, v41, v42
	ds_read2_b64 v[41:44], v32 offset0:29 offset1:30
	v_fma_f32 v34, v35, v49, -v34
	v_add_f32_e32 v33, v33, v34
	v_mul_f32_e32 v34, v38, v52
	v_fma_f32 v34, v37, v51, -v34
	v_add_f32_e32 v33, v33, v34
	v_mul_f32_e32 v34, v40, v54
	v_fma_f32 v34, v39, v53, -v34
	v_add_f32_e32 v33, v33, v34
	s_waitcnt vmcnt(2) lgkmcnt(0)
	v_mul_f32_e32 v34, v42, v56
	v_mul_f32_e32 v32, v41, v56
	v_fma_f32 v34, v41, v55, -v34
	v_fmac_f32_e32 v32, v42, v55
	v_add_f32_e32 v33, v33, v34
	s_waitcnt vmcnt(0)
	v_mul_f32_e32 v34, v44, v58
	v_add_f32_e32 v32, v59, v32
	v_mul_f32_e32 v59, v43, v58
	v_fma_f32 v34, v43, v57, -v34
	v_fmac_f32_e32 v59, v44, v57
	v_add_f32_e32 v33, v33, v34
	v_add_f32_e32 v32, v32, v59
	v_sub_f32_e32 v33, v45, v33
	v_sub_f32_e32 v32, v46, v32
	buffer_store_dword v33, off, s[0:3], 0 offset:64
	buffer_store_dword v32, off, s[0:3], 0 offset:68
	s_and_saveexec_b64 s[4:5], vcc
	s_cbranch_execz .LBB78_89
; %bb.88:
	buffer_load_dword v32, off, s[0:3], 0 offset:56
	buffer_load_dword v33, off, s[0:3], 0 offset:60
	v_mov_b32_e32 v34, 0
	buffer_store_dword v34, off, s[0:3], 0 offset:56
	buffer_store_dword v34, off, s[0:3], 0 offset:60
	s_waitcnt vmcnt(2)
	ds_write_b64 v31, v[32:33]
.LBB78_89:
	s_or_b64 exec, exec, s[4:5]
	s_waitcnt lgkmcnt(0)
	; wave barrier
	buffer_load_dword v47, off, s[0:3], 0 offset:68
	buffer_load_dword v48, off, s[0:3], 0 offset:76
	buffer_load_dword v49, off, s[0:3], 0 offset:84
	buffer_load_dword v50, off, s[0:3], 0 offset:92
	buffer_load_dword v51, off, s[0:3], 0 offset:100
	buffer_load_dword v52, off, s[0:3], 0 offset:108
	buffer_load_dword v53, off, s[0:3], 0 offset:116
	buffer_load_dword v54, off, s[0:3], 0 offset:64
	buffer_load_dword v55, off, s[0:3], 0 offset:72
	buffer_load_dword v56, off, s[0:3], 0 offset:80
	buffer_load_dword v57, off, s[0:3], 0 offset:88
	buffer_load_dword v58, off, s[0:3], 0 offset:96
	buffer_load_dword v59, off, s[0:3], 0 offset:104
	buffer_load_dword v60, off, s[0:3], 0 offset:112
	buffer_load_dword v61, off, s[0:3], 0 offset:56
	buffer_load_dword v62, off, s[0:3], 0 offset:60
	v_mov_b32_e32 v32, 0
	ds_read_b128 v[33:36], v32 offset:192
	ds_read_b128 v[37:40], v32 offset:208
	;; [unrolled: 1-line block ×3, first 2 shown]
	ds_read_b64 v[45:46], v32 offset:240
	v_cmp_lt_u32_e32 vcc, 6, v0
	s_waitcnt vmcnt(15) lgkmcnt(3)
	v_mul_f32_e32 v63, v33, v47
	v_mul_f32_e32 v47, v34, v47
	s_waitcnt vmcnt(14)
	v_mul_f32_e32 v64, v35, v48
	v_mul_f32_e32 v48, v36, v48
	s_waitcnt vmcnt(13) lgkmcnt(2)
	v_mul_f32_e32 v65, v37, v49
	s_waitcnt vmcnt(12)
	v_mul_f32_e32 v66, v39, v50
	v_mul_f32_e32 v49, v38, v49
	s_waitcnt vmcnt(8)
	v_fma_f32 v33, v33, v54, -v47
	v_fmac_f32_e32 v63, v34, v54
	s_waitcnt vmcnt(7)
	v_fma_f32 v34, v35, v55, -v48
	v_add_f32_e32 v33, 0, v33
	v_mul_f32_e32 v50, v40, v50
	v_fmac_f32_e32 v64, v36, v55
	s_waitcnt vmcnt(5)
	v_fmac_f32_e32 v66, v40, v57
	v_fma_f32 v35, v37, v56, -v49
	v_add_f32_e32 v40, 0, v63
	v_add_f32_e32 v33, v33, v34
	s_waitcnt lgkmcnt(1)
	v_mul_f32_e32 v67, v41, v51
	v_mul_f32_e32 v51, v42, v51
	v_fmac_f32_e32 v65, v38, v56
	v_fma_f32 v36, v39, v57, -v50
	v_add_f32_e32 v40, v40, v64
	v_add_f32_e32 v33, v33, v35
	v_mul_f32_e32 v68, v43, v52
	v_mul_f32_e32 v52, v44, v52
	s_waitcnt vmcnt(4)
	v_fma_f32 v37, v41, v58, -v51
	v_add_f32_e32 v34, v40, v65
	v_add_f32_e32 v33, v33, v36
	s_waitcnt lgkmcnt(0)
	v_mul_f32_e32 v69, v45, v53
	v_mul_f32_e32 v53, v46, v53
	v_fmac_f32_e32 v67, v42, v58
	s_waitcnt vmcnt(3)
	v_fma_f32 v38, v43, v59, -v52
	v_add_f32_e32 v34, v34, v66
	v_add_f32_e32 v33, v33, v37
	v_fmac_f32_e32 v68, v44, v59
	s_waitcnt vmcnt(2)
	v_fma_f32 v39, v45, v60, -v53
	v_add_f32_e32 v34, v34, v67
	v_add_f32_e32 v33, v33, v38
	v_fmac_f32_e32 v69, v46, v60
	v_add_f32_e32 v34, v34, v68
	v_add_f32_e32 v33, v33, v39
	;; [unrolled: 1-line block ×3, first 2 shown]
	s_waitcnt vmcnt(1)
	v_sub_f32_e32 v33, v61, v33
	s_waitcnt vmcnt(0)
	v_sub_f32_e32 v34, v62, v34
	buffer_store_dword v33, off, s[0:3], 0 offset:56
	buffer_store_dword v34, off, s[0:3], 0 offset:60
	s_and_saveexec_b64 s[4:5], vcc
	s_cbranch_execz .LBB78_91
; %bb.90:
	buffer_load_dword v33, off, s[0:3], 0 offset:48
	buffer_load_dword v34, off, s[0:3], 0 offset:52
	s_waitcnt vmcnt(0)
	ds_write_b64 v31, v[33:34]
	buffer_store_dword v32, off, s[0:3], 0 offset:48
	buffer_store_dword v32, off, s[0:3], 0 offset:52
.LBB78_91:
	s_or_b64 exec, exec, s[4:5]
	s_waitcnt lgkmcnt(0)
	; wave barrier
	buffer_load_dword v49, off, s[0:3], 0 offset:60
	buffer_load_dword v50, off, s[0:3], 0 offset:68
	;; [unrolled: 1-line block ×18, first 2 shown]
	ds_read2_b64 v[33:36], v32 offset0:23 offset1:24
	ds_read2_b64 v[37:40], v32 offset0:25 offset1:26
	;; [unrolled: 1-line block ×4, first 2 shown]
	v_cmp_lt_u32_e32 vcc, 5, v0
	s_waitcnt vmcnt(17) lgkmcnt(3)
	v_mul_f32_e32 v32, v33, v49
	v_mul_f32_e32 v49, v34, v49
	s_waitcnt vmcnt(16)
	v_mul_f32_e32 v67, v35, v50
	v_mul_f32_e32 v50, v36, v50
	s_waitcnt vmcnt(15) lgkmcnt(2)
	v_mul_f32_e32 v68, v37, v51
	v_mul_f32_e32 v51, v38, v51
	s_waitcnt vmcnt(14)
	v_mul_f32_e32 v69, v39, v52
	v_mul_f32_e32 v52, v40, v52
	s_waitcnt vmcnt(9)
	v_fma_f32 v33, v33, v57, -v49
	v_fmac_f32_e32 v32, v34, v57
	s_waitcnt vmcnt(8)
	v_fma_f32 v34, v35, v58, -v50
	v_add_f32_e32 v33, 0, v33
	v_fmac_f32_e32 v67, v36, v58
	s_waitcnt vmcnt(7)
	v_fma_f32 v35, v37, v59, -v51
	v_add_f32_e32 v32, 0, v32
	v_add_f32_e32 v33, v33, v34
	s_waitcnt lgkmcnt(1)
	v_mul_f32_e32 v70, v41, v53
	v_mul_f32_e32 v53, v42, v53
	v_fmac_f32_e32 v68, v38, v59
	s_waitcnt vmcnt(6)
	v_fma_f32 v36, v39, v60, -v52
	v_add_f32_e32 v32, v32, v67
	v_add_f32_e32 v33, v33, v35
	v_mul_f32_e32 v71, v43, v54
	v_mul_f32_e32 v54, v44, v54
	v_fmac_f32_e32 v69, v40, v60
	s_waitcnt vmcnt(5)
	v_fma_f32 v37, v41, v61, -v53
	v_add_f32_e32 v32, v32, v68
	v_add_f32_e32 v33, v33, v36
	s_waitcnt lgkmcnt(0)
	v_mul_f32_e32 v72, v45, v55
	v_mul_f32_e32 v55, v46, v55
	v_fmac_f32_e32 v70, v42, v61
	s_waitcnt vmcnt(4)
	v_fma_f32 v38, v43, v62, -v54
	v_add_f32_e32 v32, v32, v69
	v_add_f32_e32 v33, v33, v37
	v_mul_f32_e32 v73, v47, v56
	v_mul_f32_e32 v56, v48, v56
	v_fmac_f32_e32 v71, v44, v62
	s_waitcnt vmcnt(3)
	v_fma_f32 v39, v45, v63, -v55
	v_add_f32_e32 v32, v32, v70
	v_add_f32_e32 v33, v33, v38
	v_fmac_f32_e32 v72, v46, v63
	s_waitcnt vmcnt(2)
	v_fma_f32 v40, v47, v64, -v56
	v_add_f32_e32 v32, v32, v71
	v_add_f32_e32 v33, v33, v39
	v_fmac_f32_e32 v73, v48, v64
	v_add_f32_e32 v32, v32, v72
	v_add_f32_e32 v33, v33, v40
	;; [unrolled: 1-line block ×3, first 2 shown]
	s_waitcnt vmcnt(1)
	v_sub_f32_e32 v33, v65, v33
	s_waitcnt vmcnt(0)
	v_sub_f32_e32 v32, v66, v32
	buffer_store_dword v33, off, s[0:3], 0 offset:48
	buffer_store_dword v32, off, s[0:3], 0 offset:52
	s_and_saveexec_b64 s[4:5], vcc
	s_cbranch_execz .LBB78_93
; %bb.92:
	buffer_load_dword v32, off, s[0:3], 0 offset:40
	buffer_load_dword v33, off, s[0:3], 0 offset:44
	v_mov_b32_e32 v34, 0
	buffer_store_dword v34, off, s[0:3], 0 offset:40
	buffer_store_dword v34, off, s[0:3], 0 offset:44
	s_waitcnt vmcnt(2)
	ds_write_b64 v31, v[32:33]
.LBB78_93:
	s_or_b64 exec, exec, s[4:5]
	s_waitcnt lgkmcnt(0)
	; wave barrier
	buffer_load_dword v51, off, s[0:3], 0 offset:52
	buffer_load_dword v52, off, s[0:3], 0 offset:60
	;; [unrolled: 1-line block ×20, first 2 shown]
	v_mov_b32_e32 v32, 0
	ds_read_b128 v[33:36], v32 offset:176
	ds_read_b128 v[37:40], v32 offset:192
	;; [unrolled: 1-line block ×4, first 2 shown]
	ds_read_b64 v[49:50], v32 offset:240
	v_cmp_lt_u32_e32 vcc, 4, v0
	s_waitcnt vmcnt(19) lgkmcnt(4)
	v_mul_f32_e32 v71, v33, v51
	v_mul_f32_e32 v51, v34, v51
	s_waitcnt vmcnt(18)
	v_mul_f32_e32 v72, v35, v52
	v_mul_f32_e32 v52, v36, v52
	s_waitcnt vmcnt(17) lgkmcnt(3)
	v_mul_f32_e32 v73, v37, v53
	s_waitcnt vmcnt(15) lgkmcnt(2)
	v_mul_f32_e32 v75, v41, v55
	v_mul_f32_e32 v53, v38, v53
	;; [unrolled: 1-line block ×4, first 2 shown]
	s_waitcnt vmcnt(10)
	v_fma_f32 v33, v33, v60, -v51
	v_fmac_f32_e32 v71, v34, v60
	s_waitcnt vmcnt(9)
	v_fma_f32 v34, v35, v61, -v52
	v_add_f32_e32 v33, 0, v33
	v_mul_f32_e32 v55, v42, v55
	v_fmac_f32_e32 v72, v36, v61
	s_waitcnt vmcnt(6)
	v_fmac_f32_e32 v75, v42, v64
	v_fma_f32 v35, v37, v62, -v53
	v_add_f32_e32 v42, 0, v71
	v_add_f32_e32 v33, v33, v34
	v_fmac_f32_e32 v73, v38, v62
	v_fma_f32 v36, v39, v63, -v54
	v_add_f32_e32 v42, v42, v72
	v_add_f32_e32 v33, v33, v35
	v_mul_f32_e32 v76, v43, v56
	v_mul_f32_e32 v56, v44, v56
	v_fmac_f32_e32 v74, v40, v63
	v_fma_f32 v37, v41, v64, -v55
	v_add_f32_e32 v34, v42, v73
	v_add_f32_e32 v33, v33, v36
	s_waitcnt lgkmcnt(1)
	v_mul_f32_e32 v77, v45, v57
	v_mul_f32_e32 v57, v46, v57
	s_waitcnt vmcnt(5)
	v_fma_f32 v38, v43, v65, -v56
	v_add_f32_e32 v34, v34, v74
	v_add_f32_e32 v33, v33, v37
	v_mul_f32_e32 v78, v47, v58
	v_mul_f32_e32 v58, v48, v58
	v_fmac_f32_e32 v76, v44, v65
	s_waitcnt vmcnt(4)
	v_fma_f32 v39, v45, v66, -v57
	v_add_f32_e32 v34, v34, v75
	v_add_f32_e32 v33, v33, v38
	s_waitcnt lgkmcnt(0)
	v_mul_f32_e32 v79, v49, v59
	v_mul_f32_e32 v59, v50, v59
	v_fmac_f32_e32 v77, v46, v66
	s_waitcnt vmcnt(3)
	v_fma_f32 v40, v47, v67, -v58
	v_add_f32_e32 v34, v34, v76
	v_add_f32_e32 v33, v33, v39
	v_fmac_f32_e32 v78, v48, v67
	s_waitcnt vmcnt(2)
	v_fma_f32 v41, v49, v68, -v59
	v_add_f32_e32 v34, v34, v77
	v_add_f32_e32 v33, v33, v40
	v_fmac_f32_e32 v79, v50, v68
	v_add_f32_e32 v34, v34, v78
	v_add_f32_e32 v33, v33, v41
	;; [unrolled: 1-line block ×3, first 2 shown]
	s_waitcnt vmcnt(1)
	v_sub_f32_e32 v33, v69, v33
	s_waitcnt vmcnt(0)
	v_sub_f32_e32 v34, v70, v34
	buffer_store_dword v33, off, s[0:3], 0 offset:40
	buffer_store_dword v34, off, s[0:3], 0 offset:44
	s_and_saveexec_b64 s[4:5], vcc
	s_cbranch_execz .LBB78_95
; %bb.94:
	buffer_load_dword v33, off, s[0:3], 0 offset:32
	buffer_load_dword v34, off, s[0:3], 0 offset:36
	s_waitcnt vmcnt(0)
	ds_write_b64 v31, v[33:34]
	buffer_store_dword v32, off, s[0:3], 0 offset:32
	buffer_store_dword v32, off, s[0:3], 0 offset:36
.LBB78_95:
	s_or_b64 exec, exec, s[4:5]
	s_waitcnt lgkmcnt(0)
	; wave barrier
	ds_read2_b64 v[33:36], v32 offset0:21 offset1:22
	buffer_load_dword v53, off, s[0:3], 0 offset:32
	buffer_load_dword v54, off, s[0:3], 0 offset:36
	;; [unrolled: 1-line block ×16, first 2 shown]
	v_cmp_lt_u32_e32 vcc, 3, v0
	s_waitcnt vmcnt(12) lgkmcnt(0)
	v_mul_f32_e32 v37, v33, v56
	v_fmac_f32_e32 v37, v34, v55
	s_waitcnt vmcnt(10)
	v_mul_f32_e32 v38, v35, v58
	v_add_f32_e32 v37, 0, v37
	v_fmac_f32_e32 v38, v36, v57
	v_add_f32_e32 v41, v37, v38
	ds_read2_b64 v[37:40], v32 offset0:23 offset1:24
	v_mul_f32_e32 v34, v34, v56
	v_fma_f32 v33, v33, v55, -v34
	v_mul_f32_e32 v34, v36, v58
	v_add_f32_e32 v33, 0, v33
	s_waitcnt vmcnt(8) lgkmcnt(0)
	v_mul_f32_e32 v42, v37, v60
	v_fmac_f32_e32 v42, v38, v59
	v_add_f32_e32 v41, v41, v42
	s_waitcnt vmcnt(6)
	v_mul_f32_e32 v42, v39, v62
	v_fmac_f32_e32 v42, v40, v61
	v_add_f32_e32 v45, v41, v42
	ds_read2_b64 v[41:44], v32 offset0:25 offset1:26
	v_fma_f32 v34, v35, v57, -v34
	v_add_f32_e32 v33, v33, v34
	v_mul_f32_e32 v34, v38, v60
	v_fma_f32 v34, v37, v59, -v34
	s_waitcnt vmcnt(4) lgkmcnt(0)
	v_mul_f32_e32 v46, v41, v64
	v_fmac_f32_e32 v46, v42, v63
	v_add_f32_e32 v45, v45, v46
	s_waitcnt vmcnt(2)
	v_mul_f32_e32 v46, v43, v66
	v_fmac_f32_e32 v46, v44, v65
	v_add_f32_e32 v49, v45, v46
	ds_read2_b64 v[45:48], v32 offset0:27 offset1:28
	buffer_load_dword v69, off, s[0:3], 0 offset:96
	buffer_load_dword v70, off, s[0:3], 0 offset:100
	v_add_f32_e32 v33, v33, v34
	v_mul_f32_e32 v34, v40, v62
	v_fma_f32 v34, v39, v61, -v34
	s_waitcnt vmcnt(2) lgkmcnt(0)
	v_mul_f32_e32 v50, v45, v68
	v_fmac_f32_e32 v50, v46, v67
	v_add_f32_e32 v49, v49, v50
	v_add_f32_e32 v33, v33, v34
	v_mul_f32_e32 v34, v42, v64
	v_fma_f32 v34, v41, v63, -v34
	v_add_f32_e32 v33, v33, v34
	v_mul_f32_e32 v34, v44, v66
	v_fma_f32 v34, v43, v65, -v34
	;; [unrolled: 3-line block ×3, first 2 shown]
	v_add_f32_e32 v33, v33, v34
	s_waitcnt vmcnt(0)
	v_mul_f32_e32 v50, v47, v70
	v_fmac_f32_e32 v50, v48, v69
	v_add_f32_e32 v71, v49, v50
	ds_read2_b64 v[49:52], v32 offset0:29 offset1:30
	buffer_load_dword v32, off, s[0:3], 0 offset:104
	buffer_load_dword v72, off, s[0:3], 0 offset:108
	v_mul_f32_e32 v34, v48, v70
	v_fma_f32 v34, v47, v69, -v34
	v_add_f32_e32 v33, v33, v34
	s_waitcnt vmcnt(0) lgkmcnt(0)
	v_mul_f32_e32 v73, v49, v72
	v_fmac_f32_e32 v73, v50, v32
	v_add_f32_e32 v71, v71, v73
	buffer_load_dword v73, off, s[0:3], 0 offset:112
	buffer_load_dword v74, off, s[0:3], 0 offset:116
	v_mul_f32_e32 v34, v50, v72
	v_fma_f32 v32, v49, v32, -v34
	v_add_f32_e32 v32, v33, v32
	s_waitcnt vmcnt(0)
	v_mul_f32_e32 v33, v52, v74
	v_mul_f32_e32 v75, v51, v74
	v_fma_f32 v33, v51, v73, -v33
	v_fmac_f32_e32 v75, v52, v73
	v_add_f32_e32 v32, v32, v33
	v_add_f32_e32 v71, v71, v75
	v_sub_f32_e32 v32, v53, v32
	v_sub_f32_e32 v33, v54, v71
	buffer_store_dword v32, off, s[0:3], 0 offset:32
	buffer_store_dword v33, off, s[0:3], 0 offset:36
	s_and_saveexec_b64 s[4:5], vcc
	s_cbranch_execz .LBB78_97
; %bb.96:
	buffer_load_dword v32, off, s[0:3], 0 offset:24
	buffer_load_dword v33, off, s[0:3], 0 offset:28
	v_mov_b32_e32 v34, 0
	buffer_store_dword v34, off, s[0:3], 0 offset:24
	buffer_store_dword v34, off, s[0:3], 0 offset:28
	s_waitcnt vmcnt(2)
	ds_write_b64 v31, v[32:33]
.LBB78_97:
	s_or_b64 exec, exec, s[4:5]
	v_mov_b32_e32 v32, 0
	s_waitcnt lgkmcnt(0)
	; wave barrier
	ds_read_b128 v[33:36], v32 offset:160
	ds_read_b128 v[37:40], v32 offset:176
	;; [unrolled: 1-line block ×4, first 2 shown]
	buffer_load_dword v55, off, s[0:3], 0 offset:24
	buffer_load_dword v56, off, s[0:3], 0 offset:28
	;; [unrolled: 1-line block ×18, first 2 shown]
	v_cmp_lt_u32_e32 vcc, 2, v0
	s_waitcnt vmcnt(14) lgkmcnt(3)
	v_mul_f32_e32 v49, v33, v58
	v_fmac_f32_e32 v49, v34, v57
	s_waitcnt vmcnt(12)
	v_mul_f32_e32 v50, v35, v60
	v_add_f32_e32 v49, 0, v49
	v_fmac_f32_e32 v50, v36, v59
	v_add_f32_e32 v49, v49, v50
	s_waitcnt vmcnt(10) lgkmcnt(2)
	v_mul_f32_e32 v50, v37, v62
	v_fmac_f32_e32 v50, v38, v61
	v_add_f32_e32 v49, v49, v50
	s_waitcnt vmcnt(8)
	v_mul_f32_e32 v50, v39, v64
	v_fmac_f32_e32 v50, v40, v63
	v_add_f32_e32 v49, v49, v50
	s_waitcnt vmcnt(6) lgkmcnt(1)
	v_mul_f32_e32 v50, v41, v66
	v_fmac_f32_e32 v50, v42, v65
	v_add_f32_e32 v49, v49, v50
	s_waitcnt vmcnt(4)
	v_mul_f32_e32 v50, v43, v68
	;; [unrolled: 8-line block ×3, first 2 shown]
	v_fmac_f32_e32 v50, v48, v71
	v_add_f32_e32 v53, v49, v50
	ds_read_b128 v[49:52], v32 offset:224
	buffer_load_dword v73, off, s[0:3], 0 offset:96
	buffer_load_dword v74, off, s[0:3], 0 offset:100
	buffer_load_dword v75, off, s[0:3], 0 offset:104
	buffer_load_dword v76, off, s[0:3], 0 offset:108
	v_mul_f32_e32 v34, v34, v58
	v_fma_f32 v33, v33, v57, -v34
	v_mul_f32_e32 v34, v36, v60
	v_add_f32_e32 v33, 0, v33
	v_fma_f32 v34, v35, v59, -v34
	v_add_f32_e32 v33, v33, v34
	v_mul_f32_e32 v34, v38, v62
	v_fma_f32 v34, v37, v61, -v34
	v_add_f32_e32 v33, v33, v34
	v_mul_f32_e32 v34, v40, v64
	;; [unrolled: 3-line block ×6, first 2 shown]
	v_fma_f32 v34, v47, v71, -v34
	v_add_f32_e32 v33, v33, v34
	s_waitcnt vmcnt(2) lgkmcnt(0)
	v_mul_f32_e32 v54, v49, v74
	v_fmac_f32_e32 v54, v50, v73
	v_add_f32_e32 v53, v53, v54
	s_waitcnt vmcnt(0)
	v_mul_f32_e32 v54, v51, v76
	v_fmac_f32_e32 v54, v52, v75
	v_add_f32_e32 v77, v53, v54
	ds_read_b64 v[53:54], v32 offset:240
	buffer_load_dword v78, off, s[0:3], 0 offset:112
	buffer_load_dword v79, off, s[0:3], 0 offset:116
	v_mul_f32_e32 v34, v50, v74
	v_fma_f32 v34, v49, v73, -v34
	v_add_f32_e32 v33, v33, v34
	v_mul_f32_e32 v34, v52, v76
	v_fma_f32 v34, v51, v75, -v34
	v_add_f32_e32 v33, v33, v34
	s_waitcnt vmcnt(0) lgkmcnt(0)
	v_mul_f32_e32 v34, v54, v79
	v_mul_f32_e32 v80, v53, v79
	v_fma_f32 v34, v53, v78, -v34
	v_fmac_f32_e32 v80, v54, v78
	v_add_f32_e32 v33, v33, v34
	v_add_f32_e32 v77, v77, v80
	v_sub_f32_e32 v33, v55, v33
	v_sub_f32_e32 v34, v56, v77
	buffer_store_dword v33, off, s[0:3], 0 offset:24
	buffer_store_dword v34, off, s[0:3], 0 offset:28
	s_and_saveexec_b64 s[4:5], vcc
	s_cbranch_execz .LBB78_99
; %bb.98:
	buffer_load_dword v33, off, s[0:3], 0 offset:16
	buffer_load_dword v34, off, s[0:3], 0 offset:20
	s_waitcnt vmcnt(0)
	ds_write_b64 v31, v[33:34]
	buffer_store_dword v32, off, s[0:3], 0 offset:16
	buffer_store_dword v32, off, s[0:3], 0 offset:20
.LBB78_99:
	s_or_b64 exec, exec, s[4:5]
	s_waitcnt lgkmcnt(0)
	; wave barrier
	buffer_load_dword v57, off, s[0:3], 0 offset:28
	buffer_load_dword v58, off, s[0:3], 0 offset:36
	;; [unrolled: 1-line block ×26, first 2 shown]
	ds_read2_b64 v[33:36], v32 offset0:19 offset1:20
	ds_read2_b64 v[37:40], v32 offset0:21 offset1:22
	;; [unrolled: 1-line block ×6, first 2 shown]
	v_cmp_lt_u32_e32 vcc, 1, v0
	s_waitcnt vmcnt(25) lgkmcnt(5)
	v_mul_f32_e32 v32, v33, v57
	v_mul_f32_e32 v57, v34, v57
	s_waitcnt vmcnt(24)
	v_mul_f32_e32 v83, v35, v58
	v_mul_f32_e32 v58, v36, v58
	s_waitcnt vmcnt(23) lgkmcnt(4)
	v_mul_f32_e32 v84, v37, v59
	v_mul_f32_e32 v59, v38, v59
	s_waitcnt vmcnt(22)
	v_mul_f32_e32 v85, v39, v60
	v_mul_f32_e32 v60, v40, v60
	;; [unrolled: 6-line block ×3, first 2 shown]
	s_waitcnt vmcnt(13)
	v_fma_f32 v33, v33, v69, -v57
	v_fmac_f32_e32 v32, v34, v69
	s_waitcnt vmcnt(12)
	v_fma_f32 v34, v35, v70, -v58
	v_add_f32_e32 v33, 0, v33
	s_waitcnt vmcnt(11)
	v_fma_f32 v35, v37, v71, -v59
	v_add_f32_e32 v33, v33, v34
	v_fmac_f32_e32 v83, v36, v70
	s_waitcnt vmcnt(10)
	v_fma_f32 v36, v39, v72, -v60
	v_add_f32_e32 v33, v33, v35
	s_waitcnt vmcnt(9)
	v_fma_f32 v37, v41, v73, -v61
	v_add_f32_e32 v33, v33, v36
	s_waitcnt lgkmcnt(2)
	v_mul_f32_e32 v88, v45, v63
	v_mul_f32_e32 v63, v46, v63
	v_fmac_f32_e32 v84, v38, v71
	s_waitcnt vmcnt(8)
	v_fma_f32 v38, v43, v74, -v62
	v_add_f32_e32 v32, 0, v32
	v_add_f32_e32 v33, v33, v37
	v_mul_f32_e32 v89, v47, v64
	v_mul_f32_e32 v64, v48, v64
	s_waitcnt vmcnt(7)
	v_fma_f32 v39, v45, v75, -v63
	v_add_f32_e32 v32, v32, v83
	v_add_f32_e32 v33, v33, v38
	v_fmac_f32_e32 v85, v40, v72
	s_waitcnt vmcnt(6)
	v_fma_f32 v40, v47, v76, -v64
	v_add_f32_e32 v32, v32, v84
	v_add_f32_e32 v33, v33, v39
	s_waitcnt lgkmcnt(1)
	v_mul_f32_e32 v34, v50, v65
	v_fmac_f32_e32 v86, v42, v73
	v_add_f32_e32 v32, v32, v85
	v_add_f32_e32 v33, v33, v40
	s_waitcnt vmcnt(5)
	v_fma_f32 v34, v49, v77, -v34
	v_fmac_f32_e32 v87, v44, v74
	v_add_f32_e32 v32, v32, v86
	v_add_f32_e32 v33, v33, v34
	v_mul_f32_e32 v34, v52, v66
	v_fmac_f32_e32 v88, v46, v75
	v_add_f32_e32 v32, v32, v87
	s_waitcnt vmcnt(4)
	v_fma_f32 v34, v51, v78, -v34
	v_mul_f32_e32 v90, v49, v65
	v_fmac_f32_e32 v89, v48, v76
	v_add_f32_e32 v32, v32, v88
	v_add_f32_e32 v33, v33, v34
	s_waitcnt lgkmcnt(0)
	v_mul_f32_e32 v34, v54, v67
	v_mul_f32_e32 v91, v51, v66
	v_fmac_f32_e32 v90, v50, v77
	v_add_f32_e32 v32, v32, v89
	s_waitcnt vmcnt(3)
	v_fma_f32 v34, v53, v79, -v34
	v_mul_f32_e32 v92, v53, v67
	v_fmac_f32_e32 v91, v52, v78
	v_add_f32_e32 v32, v32, v90
	v_add_f32_e32 v33, v33, v34
	v_mul_f32_e32 v34, v56, v68
	v_mul_f32_e32 v93, v55, v68
	v_fmac_f32_e32 v92, v54, v79
	v_add_f32_e32 v32, v32, v91
	s_waitcnt vmcnt(2)
	v_fma_f32 v34, v55, v80, -v34
	v_fmac_f32_e32 v93, v56, v80
	v_add_f32_e32 v32, v32, v92
	v_add_f32_e32 v33, v33, v34
	;; [unrolled: 1-line block ×3, first 2 shown]
	s_waitcnt vmcnt(1)
	v_sub_f32_e32 v33, v81, v33
	s_waitcnt vmcnt(0)
	v_sub_f32_e32 v32, v82, v32
	buffer_store_dword v33, off, s[0:3], 0 offset:16
	buffer_store_dword v32, off, s[0:3], 0 offset:20
	s_and_saveexec_b64 s[4:5], vcc
	s_cbranch_execz .LBB78_101
; %bb.100:
	buffer_load_dword v32, off, s[0:3], 0 offset:8
	buffer_load_dword v33, off, s[0:3], 0 offset:12
	v_mov_b32_e32 v34, 0
	buffer_store_dword v34, off, s[0:3], 0 offset:8
	buffer_store_dword v34, off, s[0:3], 0 offset:12
	s_waitcnt vmcnt(2)
	ds_write_b64 v31, v[32:33]
.LBB78_101:
	s_or_b64 exec, exec, s[4:5]
	s_waitcnt lgkmcnt(0)
	; wave barrier
	buffer_load_dword v59, off, s[0:3], 0 offset:20
	buffer_load_dword v60, off, s[0:3], 0 offset:28
	;; [unrolled: 1-line block ×28, first 2 shown]
	v_mov_b32_e32 v32, 0
	ds_read_b128 v[33:36], v32 offset:144
	ds_read_b128 v[37:40], v32 offset:160
	;; [unrolled: 1-line block ×6, first 2 shown]
	ds_read_b64 v[57:58], v32 offset:240
	v_cmp_ne_u32_e32 vcc, 0, v0
	s_waitcnt vmcnt(27) lgkmcnt(6)
	v_mul_f32_e32 v87, v33, v59
	v_mul_f32_e32 v59, v34, v59
	s_waitcnt vmcnt(26)
	v_mul_f32_e32 v88, v35, v60
	v_mul_f32_e32 v60, v36, v60
	s_waitcnt vmcnt(25) lgkmcnt(5)
	v_mul_f32_e32 v89, v37, v61
	v_mul_f32_e32 v61, v38, v61
	s_waitcnt vmcnt(24)
	v_mul_f32_e32 v90, v39, v62
	v_mul_f32_e32 v62, v40, v62
	;; [unrolled: 6-line block ×3, first 2 shown]
	s_waitcnt vmcnt(21) lgkmcnt(3)
	v_mul_f32_e32 v93, v45, v65
	s_waitcnt vmcnt(14)
	v_fma_f32 v33, v33, v72, -v59
	v_fmac_f32_e32 v87, v34, v72
	s_waitcnt vmcnt(13)
	v_fma_f32 v34, v35, v73, -v60
	v_add_f32_e32 v33, 0, v33
	s_waitcnt vmcnt(12)
	v_fma_f32 v35, v37, v74, -v61
	v_add_f32_e32 v33, v33, v34
	v_fmac_f32_e32 v88, v36, v73
	s_waitcnt vmcnt(11)
	v_fma_f32 v36, v39, v75, -v62
	v_add_f32_e32 v33, v33, v35
	s_waitcnt vmcnt(10)
	v_fma_f32 v37, v41, v76, -v63
	v_add_f32_e32 v33, v33, v36
	v_fmac_f32_e32 v89, v38, v74
	s_waitcnt vmcnt(9)
	v_fma_f32 v38, v43, v77, -v64
	v_add_f32_e32 v33, v33, v37
	v_mul_f32_e32 v35, v46, v65
	v_add_f32_e32 v33, v33, v38
	s_waitcnt vmcnt(8)
	v_fma_f32 v35, v45, v78, -v35
	v_add_f32_e32 v33, v33, v35
	v_mul_f32_e32 v35, v48, v66
	v_add_f32_e32 v39, 0, v87
	s_waitcnt vmcnt(7)
	v_fma_f32 v35, v47, v79, -v35
	v_add_f32_e32 v39, v39, v88
	v_add_f32_e32 v33, v33, v35
	s_waitcnt lgkmcnt(2)
	v_mul_f32_e32 v35, v50, v67
	v_fmac_f32_e32 v90, v40, v75
	v_add_f32_e32 v34, v39, v89
	s_waitcnt vmcnt(6)
	v_fma_f32 v35, v49, v80, -v35
	v_fmac_f32_e32 v91, v42, v76
	v_add_f32_e32 v34, v34, v90
	v_add_f32_e32 v33, v33, v35
	v_mul_f32_e32 v35, v52, v68
	v_fmac_f32_e32 v92, v44, v77
	v_add_f32_e32 v34, v34, v91
	s_waitcnt vmcnt(5)
	v_fma_f32 v35, v51, v81, -v35
	v_mul_f32_e32 v94, v47, v66
	v_fmac_f32_e32 v93, v46, v78
	v_add_f32_e32 v34, v34, v92
	v_add_f32_e32 v33, v33, v35
	s_waitcnt lgkmcnt(1)
	v_mul_f32_e32 v35, v54, v69
	v_mul_f32_e32 v95, v49, v67
	v_fmac_f32_e32 v94, v48, v79
	v_add_f32_e32 v34, v34, v93
	s_waitcnt vmcnt(4)
	v_fma_f32 v35, v53, v82, -v35
	v_mul_f32_e32 v96, v51, v68
	v_fmac_f32_e32 v95, v50, v80
	v_add_f32_e32 v34, v34, v94
	v_add_f32_e32 v33, v33, v35
	v_mul_f32_e32 v35, v56, v70
	v_mul_f32_e32 v97, v53, v69
	v_fmac_f32_e32 v96, v52, v81
	v_add_f32_e32 v34, v34, v95
	s_waitcnt vmcnt(3)
	v_fma_f32 v35, v55, v83, -v35
	v_mul_f32_e32 v98, v55, v70
	v_fmac_f32_e32 v97, v54, v82
	v_add_f32_e32 v34, v34, v96
	v_add_f32_e32 v33, v33, v35
	s_waitcnt lgkmcnt(0)
	v_mul_f32_e32 v35, v58, v71
	v_mul_f32_e32 v99, v57, v71
	v_fmac_f32_e32 v98, v56, v83
	v_add_f32_e32 v34, v34, v97
	s_waitcnt vmcnt(2)
	v_fma_f32 v35, v57, v84, -v35
	v_fmac_f32_e32 v99, v58, v84
	v_add_f32_e32 v34, v34, v98
	v_add_f32_e32 v33, v33, v35
	v_add_f32_e32 v34, v34, v99
	s_waitcnt vmcnt(1)
	v_sub_f32_e32 v33, v85, v33
	s_waitcnt vmcnt(0)
	v_sub_f32_e32 v34, v86, v34
	buffer_store_dword v33, off, s[0:3], 0 offset:8
	buffer_store_dword v34, off, s[0:3], 0 offset:12
	s_and_saveexec_b64 s[4:5], vcc
	s_cbranch_execz .LBB78_103
; %bb.102:
	buffer_load_dword v33, off, s[0:3], 0
	buffer_load_dword v34, off, s[0:3], 0 offset:4
	s_waitcnt vmcnt(0)
	ds_write_b64 v31, v[33:34]
	buffer_store_dword v32, off, s[0:3], 0
	buffer_store_dword v32, off, s[0:3], 0 offset:4
.LBB78_103:
	s_or_b64 exec, exec, s[4:5]
	s_waitcnt lgkmcnt(0)
	; wave barrier
	buffer_load_dword v61, off, s[0:3], 0 offset:12
	buffer_load_dword v62, off, s[0:3], 0 offset:20
	buffer_load_dword v63, off, s[0:3], 0 offset:28
	buffer_load_dword v64, off, s[0:3], 0 offset:36
	buffer_load_dword v65, off, s[0:3], 0 offset:44
	buffer_load_dword v66, off, s[0:3], 0 offset:52
	buffer_load_dword v67, off, s[0:3], 0 offset:60
	buffer_load_dword v68, off, s[0:3], 0 offset:68
	buffer_load_dword v69, off, s[0:3], 0 offset:76
	buffer_load_dword v70, off, s[0:3], 0 offset:84
	buffer_load_dword v71, off, s[0:3], 0 offset:92
	buffer_load_dword v72, off, s[0:3], 0 offset:100
	buffer_load_dword v0, off, s[0:3], 0 offset:108
	buffer_load_dword v73, off, s[0:3], 0 offset:116
	buffer_load_dword v74, off, s[0:3], 0 offset:8
	buffer_load_dword v75, off, s[0:3], 0 offset:16
	buffer_load_dword v76, off, s[0:3], 0 offset:24
	buffer_load_dword v77, off, s[0:3], 0 offset:32
	buffer_load_dword v78, off, s[0:3], 0 offset:40
	buffer_load_dword v79, off, s[0:3], 0 offset:48
	buffer_load_dword v80, off, s[0:3], 0 offset:56
	buffer_load_dword v81, off, s[0:3], 0 offset:64
	buffer_load_dword v82, off, s[0:3], 0 offset:72
	buffer_load_dword v83, off, s[0:3], 0 offset:80
	buffer_load_dword v84, off, s[0:3], 0 offset:88
	buffer_load_dword v85, off, s[0:3], 0 offset:96
	buffer_load_dword v86, off, s[0:3], 0 offset:112
	buffer_load_dword v31, off, s[0:3], 0 offset:104
	buffer_load_dword v87, off, s[0:3], 0
	buffer_load_dword v88, off, s[0:3], 0 offset:4
	ds_read2_b64 v[33:36], v32 offset0:17 offset1:18
	ds_read2_b64 v[37:40], v32 offset0:19 offset1:20
	;; [unrolled: 1-line block ×7, first 2 shown]
	s_and_b64 vcc, exec, s[14:15]
	s_waitcnt vmcnt(29) lgkmcnt(6)
	v_mul_f32_e32 v32, v33, v61
	v_mul_f32_e32 v61, v34, v61
	s_waitcnt vmcnt(28)
	v_mul_f32_e32 v89, v35, v62
	v_mul_f32_e32 v62, v36, v62
	s_waitcnt vmcnt(27) lgkmcnt(5)
	v_mul_f32_e32 v90, v37, v63
	v_mul_f32_e32 v63, v38, v63
	s_waitcnt vmcnt(26)
	v_mul_f32_e32 v91, v39, v64
	v_mul_f32_e32 v64, v40, v64
	s_waitcnt vmcnt(25) lgkmcnt(4)
	v_mul_f32_e32 v92, v41, v65
	v_mul_f32_e32 v65, v42, v65
	s_waitcnt vmcnt(24)
	v_mul_f32_e32 v93, v43, v66
	s_waitcnt vmcnt(23) lgkmcnt(3)
	v_mul_f32_e32 v94, v45, v67
	s_waitcnt vmcnt(22)
	v_mul_f32_e32 v95, v47, v68
	s_waitcnt vmcnt(21) lgkmcnt(2)
	v_mul_f32_e32 v96, v49, v69
	s_waitcnt vmcnt(15)
	v_fma_f32 v33, v33, v74, -v61
	v_fmac_f32_e32 v32, v34, v74
	s_waitcnt vmcnt(14)
	v_fma_f32 v34, v35, v75, -v62
	v_add_f32_e32 v33, 0, v33
	s_waitcnt vmcnt(13)
	v_fma_f32 v35, v37, v76, -v63
	v_add_f32_e32 v33, v33, v34
	v_fmac_f32_e32 v89, v36, v75
	s_waitcnt vmcnt(12)
	v_fma_f32 v36, v39, v77, -v64
	v_add_f32_e32 v33, v33, v35
	s_waitcnt vmcnt(11)
	v_fma_f32 v37, v41, v78, -v65
	v_add_f32_e32 v33, v33, v36
	v_mul_f32_e32 v34, v44, v66
	v_add_f32_e32 v33, v33, v37
	s_waitcnt vmcnt(10)
	v_fma_f32 v34, v43, v79, -v34
	v_add_f32_e32 v33, v33, v34
	v_mul_f32_e32 v34, v46, v67
	s_waitcnt vmcnt(9)
	v_fma_f32 v34, v45, v80, -v34
	v_add_f32_e32 v33, v33, v34
	v_mul_f32_e32 v34, v48, v68
	s_waitcnt vmcnt(8)
	v_fma_f32 v34, v47, v81, -v34
	v_add_f32_e32 v32, 0, v32
	v_add_f32_e32 v33, v33, v34
	v_mul_f32_e32 v34, v50, v69
	v_fmac_f32_e32 v90, v38, v76
	v_add_f32_e32 v32, v32, v89
	s_waitcnt vmcnt(7)
	v_fma_f32 v34, v49, v82, -v34
	v_fmac_f32_e32 v91, v40, v77
	v_add_f32_e32 v32, v32, v90
	v_add_f32_e32 v33, v33, v34
	v_mul_f32_e32 v34, v52, v70
	v_fmac_f32_e32 v92, v42, v78
	v_add_f32_e32 v32, v32, v91
	s_waitcnt vmcnt(6)
	v_fma_f32 v34, v51, v83, -v34
	v_fmac_f32_e32 v93, v44, v79
	v_add_f32_e32 v32, v32, v92
	v_add_f32_e32 v33, v33, v34
	s_waitcnt lgkmcnt(1)
	v_mul_f32_e32 v34, v54, v71
	v_fmac_f32_e32 v94, v46, v80
	v_add_f32_e32 v32, v32, v93
	s_waitcnt vmcnt(5)
	v_fma_f32 v34, v53, v84, -v34
	v_fmac_f32_e32 v95, v48, v81
	v_add_f32_e32 v32, v32, v94
	v_add_f32_e32 v33, v33, v34
	v_mul_f32_e32 v34, v56, v72
	v_mul_f32_e32 v97, v51, v70
	v_fmac_f32_e32 v96, v50, v82
	v_add_f32_e32 v32, v32, v95
	s_waitcnt vmcnt(4)
	v_fma_f32 v34, v55, v85, -v34
	v_mul_f32_e32 v98, v53, v71
	v_fmac_f32_e32 v97, v52, v83
	v_add_f32_e32 v32, v32, v96
	v_add_f32_e32 v33, v33, v34
	s_waitcnt lgkmcnt(0)
	v_mul_f32_e32 v34, v58, v0
	v_mul_f32_e32 v99, v55, v72
	v_fmac_f32_e32 v98, v54, v84
	v_add_f32_e32 v32, v32, v97
	s_waitcnt vmcnt(2)
	v_fma_f32 v34, v57, v31, -v34
	v_mul_f32_e32 v100, v57, v0
	v_fmac_f32_e32 v99, v56, v85
	v_add_f32_e32 v32, v32, v98
	v_add_f32_e32 v33, v33, v34
	v_mul_f32_e32 v34, v60, v73
	v_mul_f32_e32 v101, v59, v73
	v_fmac_f32_e32 v100, v58, v31
	v_add_f32_e32 v32, v32, v99
	v_fma_f32 v34, v59, v86, -v34
	v_fmac_f32_e32 v101, v60, v86
	v_add_f32_e32 v32, v32, v100
	v_add_f32_e32 v33, v33, v34
	;; [unrolled: 1-line block ×3, first 2 shown]
	s_waitcnt vmcnt(1)
	v_sub_f32_e32 v33, v87, v33
	s_waitcnt vmcnt(0)
	v_sub_f32_e32 v32, v88, v32
	buffer_store_dword v33, off, s[0:3], 0
	buffer_store_dword v32, off, s[0:3], 0 offset:4
	s_cbranch_vccz .LBB78_132
; %bb.104:
	v_mov_b32_e32 v32, 0
	global_load_dword v33, v32, s[12:13] offset:52
	s_waitcnt vmcnt(0)
	v_add_u32_e32 v33, -1, v33
	v_cmp_ne_u32_e32 vcc, 13, v33
	s_cbranch_vccz .LBB78_106
; %bb.105:
	v_lshlrev_b32_e32 v33, 3, v33
	buffer_load_dword v34, v33, s[0:3], 0 offen
	buffer_load_dword v35, v33, s[0:3], 0 offen offset:4
	s_waitcnt vmcnt(1)
	buffer_store_dword v34, off, s[0:3], 0 offset:104
	s_waitcnt vmcnt(1)
	buffer_store_dword v35, off, s[0:3], 0 offset:108
	buffer_store_dword v31, v33, s[0:3], 0 offen
	buffer_store_dword v0, v33, s[0:3], 0 offen offset:4
.LBB78_106:
	global_load_dword v0, v32, s[12:13] offset:48
	s_waitcnt vmcnt(0)
	v_add_u32_e32 v0, -1, v0
	v_cmp_eq_u32_e32 vcc, 12, v0
	s_cbranch_vccnz .LBB78_108
; %bb.107:
	v_lshlrev_b32_e32 v0, 3, v0
	buffer_load_dword v31, v0, s[0:3], 0 offen
	buffer_load_dword v32, v0, s[0:3], 0 offen offset:4
	buffer_load_dword v33, off, s[0:3], 0 offset:100
	buffer_load_dword v34, off, s[0:3], 0 offset:96
	s_waitcnt vmcnt(3)
	buffer_store_dword v31, off, s[0:3], 0 offset:96
	s_waitcnt vmcnt(3)
	buffer_store_dword v32, off, s[0:3], 0 offset:100
	s_waitcnt vmcnt(3)
	buffer_store_dword v33, v0, s[0:3], 0 offen offset:4
	s_waitcnt vmcnt(3)
	buffer_store_dword v34, v0, s[0:3], 0 offen
.LBB78_108:
	v_mov_b32_e32 v0, 0
	global_load_dword v31, v0, s[12:13] offset:44
	s_waitcnt vmcnt(0)
	v_add_u32_e32 v31, -1, v31
	v_cmp_eq_u32_e32 vcc, 11, v31
	s_cbranch_vccnz .LBB78_110
; %bb.109:
	v_lshlrev_b32_e32 v31, 3, v31
	buffer_load_dword v32, v31, s[0:3], 0 offen
	buffer_load_dword v33, v31, s[0:3], 0 offen offset:4
	buffer_load_dword v34, off, s[0:3], 0 offset:88
	buffer_load_dword v35, off, s[0:3], 0 offset:92
	s_waitcnt vmcnt(3)
	buffer_store_dword v32, off, s[0:3], 0 offset:88
	s_waitcnt vmcnt(3)
	buffer_store_dword v33, off, s[0:3], 0 offset:92
	s_waitcnt vmcnt(3)
	buffer_store_dword v34, v31, s[0:3], 0 offen
	s_waitcnt vmcnt(3)
	buffer_store_dword v35, v31, s[0:3], 0 offen offset:4
.LBB78_110:
	global_load_dword v0, v0, s[12:13] offset:40
	s_waitcnt vmcnt(0)
	v_add_u32_e32 v0, -1, v0
	v_cmp_eq_u32_e32 vcc, 10, v0
	s_cbranch_vccnz .LBB78_112
; %bb.111:
	v_lshlrev_b32_e32 v0, 3, v0
	buffer_load_dword v31, v0, s[0:3], 0 offen
	buffer_load_dword v32, v0, s[0:3], 0 offen offset:4
	buffer_load_dword v33, off, s[0:3], 0 offset:84
	buffer_load_dword v34, off, s[0:3], 0 offset:80
	s_waitcnt vmcnt(3)
	buffer_store_dword v31, off, s[0:3], 0 offset:80
	s_waitcnt vmcnt(3)
	buffer_store_dword v32, off, s[0:3], 0 offset:84
	s_waitcnt vmcnt(3)
	buffer_store_dword v33, v0, s[0:3], 0 offen offset:4
	s_waitcnt vmcnt(3)
	buffer_store_dword v34, v0, s[0:3], 0 offen
.LBB78_112:
	v_mov_b32_e32 v0, 0
	global_load_dword v31, v0, s[12:13] offset:36
	s_waitcnt vmcnt(0)
	v_add_u32_e32 v31, -1, v31
	v_cmp_eq_u32_e32 vcc, 9, v31
	s_cbranch_vccnz .LBB78_114
; %bb.113:
	v_lshlrev_b32_e32 v31, 3, v31
	buffer_load_dword v32, v31, s[0:3], 0 offen
	buffer_load_dword v33, v31, s[0:3], 0 offen offset:4
	buffer_load_dword v34, off, s[0:3], 0 offset:72
	buffer_load_dword v35, off, s[0:3], 0 offset:76
	s_waitcnt vmcnt(3)
	buffer_store_dword v32, off, s[0:3], 0 offset:72
	s_waitcnt vmcnt(3)
	buffer_store_dword v33, off, s[0:3], 0 offset:76
	s_waitcnt vmcnt(3)
	buffer_store_dword v34, v31, s[0:3], 0 offen
	s_waitcnt vmcnt(3)
	buffer_store_dword v35, v31, s[0:3], 0 offen offset:4
.LBB78_114:
	;; [unrolled: 41-line block ×6, first 2 shown]
	global_load_dword v0, v0, s[12:13]
	s_waitcnt vmcnt(0)
	v_add_u32_e32 v0, -1, v0
	v_cmp_eq_u32_e32 vcc, 0, v0
	s_cbranch_vccnz .LBB78_132
; %bb.131:
	v_lshlrev_b32_e32 v0, 3, v0
	buffer_load_dword v31, v0, s[0:3], 0 offen
	buffer_load_dword v32, v0, s[0:3], 0 offen offset:4
	buffer_load_dword v33, off, s[0:3], 0 offset:4
	buffer_load_dword v34, off, s[0:3], 0
	s_waitcnt vmcnt(3)
	buffer_store_dword v31, off, s[0:3], 0
	s_waitcnt vmcnt(3)
	buffer_store_dword v32, off, s[0:3], 0 offset:4
	s_waitcnt vmcnt(3)
	buffer_store_dword v33, v0, s[0:3], 0 offen offset:4
	s_waitcnt vmcnt(3)
	buffer_store_dword v34, v0, s[0:3], 0 offen
.LBB78_132:
	buffer_load_dword v31, off, s[0:3], 0
	buffer_load_dword v32, off, s[0:3], 0 offset:4
	s_waitcnt vmcnt(0)
	flat_store_dwordx2 v[1:2], v[31:32]
	buffer_load_dword v0, off, s[0:3], 0 offset:8
	s_nop 0
	buffer_load_dword v1, off, s[0:3], 0 offset:12
	s_waitcnt vmcnt(0)
	flat_store_dwordx2 v[3:4], v[0:1]
	buffer_load_dword v0, off, s[0:3], 0 offset:16
	s_nop 0
	;; [unrolled: 5-line block ×14, first 2 shown]
	buffer_load_dword v1, off, s[0:3], 0 offset:116
	s_waitcnt vmcnt(0)
	flat_store_dwordx2 v[29:30], v[0:1]
	s_endpgm
	.section	.rodata,"a",@progbits
	.p2align	6, 0x0
	.amdhsa_kernel _ZN9rocsolver6v33100L18getri_kernel_smallILi15E19rocblas_complex_numIfEPKPS3_EEvT1_iilPiilS8_bb
		.amdhsa_group_segment_fixed_size 248
		.amdhsa_private_segment_fixed_size 128
		.amdhsa_kernarg_size 60
		.amdhsa_user_sgpr_count 6
		.amdhsa_user_sgpr_private_segment_buffer 1
		.amdhsa_user_sgpr_dispatch_ptr 0
		.amdhsa_user_sgpr_queue_ptr 0
		.amdhsa_user_sgpr_kernarg_segment_ptr 1
		.amdhsa_user_sgpr_dispatch_id 0
		.amdhsa_user_sgpr_flat_scratch_init 0
		.amdhsa_user_sgpr_private_segment_size 0
		.amdhsa_uses_dynamic_stack 0
		.amdhsa_system_sgpr_private_segment_wavefront_offset 1
		.amdhsa_system_sgpr_workgroup_id_x 1
		.amdhsa_system_sgpr_workgroup_id_y 0
		.amdhsa_system_sgpr_workgroup_id_z 0
		.amdhsa_system_sgpr_workgroup_info 0
		.amdhsa_system_vgpr_workitem_id 0
		.amdhsa_next_free_vgpr 102
		.amdhsa_next_free_sgpr 21
		.amdhsa_reserve_vcc 1
		.amdhsa_reserve_flat_scratch 0
		.amdhsa_float_round_mode_32 0
		.amdhsa_float_round_mode_16_64 0
		.amdhsa_float_denorm_mode_32 3
		.amdhsa_float_denorm_mode_16_64 3
		.amdhsa_dx10_clamp 1
		.amdhsa_ieee_mode 1
		.amdhsa_fp16_overflow 0
		.amdhsa_exception_fp_ieee_invalid_op 0
		.amdhsa_exception_fp_denorm_src 0
		.amdhsa_exception_fp_ieee_div_zero 0
		.amdhsa_exception_fp_ieee_overflow 0
		.amdhsa_exception_fp_ieee_underflow 0
		.amdhsa_exception_fp_ieee_inexact 0
		.amdhsa_exception_int_div_zero 0
	.end_amdhsa_kernel
	.section	.text._ZN9rocsolver6v33100L18getri_kernel_smallILi15E19rocblas_complex_numIfEPKPS3_EEvT1_iilPiilS8_bb,"axG",@progbits,_ZN9rocsolver6v33100L18getri_kernel_smallILi15E19rocblas_complex_numIfEPKPS3_EEvT1_iilPiilS8_bb,comdat
.Lfunc_end78:
	.size	_ZN9rocsolver6v33100L18getri_kernel_smallILi15E19rocblas_complex_numIfEPKPS3_EEvT1_iilPiilS8_bb, .Lfunc_end78-_ZN9rocsolver6v33100L18getri_kernel_smallILi15E19rocblas_complex_numIfEPKPS3_EEvT1_iilPiilS8_bb
                                        ; -- End function
	.set _ZN9rocsolver6v33100L18getri_kernel_smallILi15E19rocblas_complex_numIfEPKPS3_EEvT1_iilPiilS8_bb.num_vgpr, 102
	.set _ZN9rocsolver6v33100L18getri_kernel_smallILi15E19rocblas_complex_numIfEPKPS3_EEvT1_iilPiilS8_bb.num_agpr, 0
	.set _ZN9rocsolver6v33100L18getri_kernel_smallILi15E19rocblas_complex_numIfEPKPS3_EEvT1_iilPiilS8_bb.numbered_sgpr, 21
	.set _ZN9rocsolver6v33100L18getri_kernel_smallILi15E19rocblas_complex_numIfEPKPS3_EEvT1_iilPiilS8_bb.num_named_barrier, 0
	.set _ZN9rocsolver6v33100L18getri_kernel_smallILi15E19rocblas_complex_numIfEPKPS3_EEvT1_iilPiilS8_bb.private_seg_size, 128
	.set _ZN9rocsolver6v33100L18getri_kernel_smallILi15E19rocblas_complex_numIfEPKPS3_EEvT1_iilPiilS8_bb.uses_vcc, 1
	.set _ZN9rocsolver6v33100L18getri_kernel_smallILi15E19rocblas_complex_numIfEPKPS3_EEvT1_iilPiilS8_bb.uses_flat_scratch, 0
	.set _ZN9rocsolver6v33100L18getri_kernel_smallILi15E19rocblas_complex_numIfEPKPS3_EEvT1_iilPiilS8_bb.has_dyn_sized_stack, 0
	.set _ZN9rocsolver6v33100L18getri_kernel_smallILi15E19rocblas_complex_numIfEPKPS3_EEvT1_iilPiilS8_bb.has_recursion, 0
	.set _ZN9rocsolver6v33100L18getri_kernel_smallILi15E19rocblas_complex_numIfEPKPS3_EEvT1_iilPiilS8_bb.has_indirect_call, 0
	.section	.AMDGPU.csdata,"",@progbits
; Kernel info:
; codeLenInByte = 14140
; TotalNumSgprs: 25
; NumVgprs: 102
; ScratchSize: 128
; MemoryBound: 0
; FloatMode: 240
; IeeeMode: 1
; LDSByteSize: 248 bytes/workgroup (compile time only)
; SGPRBlocks: 3
; VGPRBlocks: 25
; NumSGPRsForWavesPerEU: 25
; NumVGPRsForWavesPerEU: 102
; Occupancy: 2
; WaveLimiterHint : 1
; COMPUTE_PGM_RSRC2:SCRATCH_EN: 1
; COMPUTE_PGM_RSRC2:USER_SGPR: 6
; COMPUTE_PGM_RSRC2:TRAP_HANDLER: 0
; COMPUTE_PGM_RSRC2:TGID_X_EN: 1
; COMPUTE_PGM_RSRC2:TGID_Y_EN: 0
; COMPUTE_PGM_RSRC2:TGID_Z_EN: 0
; COMPUTE_PGM_RSRC2:TIDIG_COMP_CNT: 0
	.section	.text._ZN9rocsolver6v33100L18getri_kernel_smallILi16E19rocblas_complex_numIfEPKPS3_EEvT1_iilPiilS8_bb,"axG",@progbits,_ZN9rocsolver6v33100L18getri_kernel_smallILi16E19rocblas_complex_numIfEPKPS3_EEvT1_iilPiilS8_bb,comdat
	.globl	_ZN9rocsolver6v33100L18getri_kernel_smallILi16E19rocblas_complex_numIfEPKPS3_EEvT1_iilPiilS8_bb ; -- Begin function _ZN9rocsolver6v33100L18getri_kernel_smallILi16E19rocblas_complex_numIfEPKPS3_EEvT1_iilPiilS8_bb
	.p2align	8
	.type	_ZN9rocsolver6v33100L18getri_kernel_smallILi16E19rocblas_complex_numIfEPKPS3_EEvT1_iilPiilS8_bb,@function
_ZN9rocsolver6v33100L18getri_kernel_smallILi16E19rocblas_complex_numIfEPKPS3_EEvT1_iilPiilS8_bb: ; @_ZN9rocsolver6v33100L18getri_kernel_smallILi16E19rocblas_complex_numIfEPKPS3_EEvT1_iilPiilS8_bb
; %bb.0:
	s_add_u32 s0, s0, s7
	s_addc_u32 s1, s1, 0
	v_cmp_gt_u32_e32 vcc, 16, v0
	s_and_saveexec_b64 s[8:9], vcc
	s_cbranch_execz .LBB79_78
; %bb.1:
	s_load_dword s18, s[4:5], 0x38
	s_load_dwordx2 s[12:13], s[4:5], 0x0
	s_load_dwordx4 s[8:11], s[4:5], 0x28
	s_waitcnt lgkmcnt(0)
	s_bitcmp1_b32 s18, 8
	s_cselect_b64 s[14:15], -1, 0
	s_ashr_i32 s7, s6, 31
	s_lshl_b64 s[16:17], s[6:7], 3
	s_add_u32 s12, s12, s16
	s_addc_u32 s13, s13, s17
	s_load_dwordx2 s[16:17], s[12:13], 0x0
	s_bfe_u32 s12, s18, 0x10008
	s_cmp_eq_u32 s12, 0
                                        ; implicit-def: $sgpr12_sgpr13
	s_cbranch_scc1 .LBB79_3
; %bb.2:
	s_load_dword s12, s[4:5], 0x20
	s_load_dwordx2 s[18:19], s[4:5], 0x18
	s_mul_i32 s13, s8, s7
	s_mul_hi_u32 s20, s8, s6
	s_add_i32 s20, s20, s13
	s_mul_i32 s9, s9, s6
	s_add_i32 s9, s20, s9
	s_mul_i32 s8, s8, s6
	s_waitcnt lgkmcnt(0)
	s_ashr_i32 s13, s12, 31
	s_lshl_b64 s[8:9], s[8:9], 2
	s_add_u32 s18, s18, s8
	s_addc_u32 s19, s19, s9
	s_lshl_b64 s[8:9], s[12:13], 2
	s_add_u32 s12, s18, s8
	s_addc_u32 s13, s19, s9
.LBB79_3:
	s_load_dwordx2 s[8:9], s[4:5], 0x8
	s_load_dword s18, s[4:5], 0x38
	v_lshlrev_b32_e32 v35, 3, v0
	s_waitcnt lgkmcnt(0)
	s_ashr_i32 s5, s8, 31
	s_mov_b32 s4, s8
	s_lshl_b64 s[4:5], s[4:5], 3
	s_add_u32 s8, s16, s4
	s_addc_u32 s16, s17, s5
	v_mov_b32_e32 v2, s16
	v_add_co_u32_e32 v1, vcc, s8, v35
	v_addc_co_u32_e32 v2, vcc, 0, v2, vcc
	flat_load_dwordx2 v[5:6], v[1:2]
	s_mov_b32 s4, s9
	s_ashr_i32 s5, s9, 31
	s_lshl_b64 s[4:5], s[4:5], 3
	v_mov_b32_e32 v4, s5
	v_add_co_u32_e32 v3, vcc, s4, v1
	v_addc_co_u32_e32 v4, vcc, v2, v4, vcc
	s_add_i32 s4, s9, s9
	v_add_u32_e32 v9, s4, v0
	v_ashrrev_i32_e32 v10, 31, v9
	v_mov_b32_e32 v11, s16
	v_add_u32_e32 v12, s9, v9
	v_ashrrev_i32_e32 v13, 31, v12
	v_mov_b32_e32 v14, s16
	v_mov_b32_e32 v15, s16
	;; [unrolled: 1-line block ×12, first 2 shown]
	s_bitcmp0_b32 s18, 0
	s_waitcnt vmcnt(0) lgkmcnt(0)
	buffer_store_dword v6, off, s[0:3], 0 offset:4
	buffer_store_dword v5, off, s[0:3], 0
	flat_load_dwordx2 v[7:8], v[3:4]
	v_lshlrev_b64 v[5:6], 3, v[9:10]
	s_waitcnt vmcnt(0) lgkmcnt(0)
	buffer_store_dword v8, off, s[0:3], 0 offset:12
	buffer_store_dword v7, off, s[0:3], 0 offset:8
	v_add_co_u32_e32 v5, vcc, s8, v5
	v_addc_co_u32_e32 v6, vcc, v11, v6, vcc
	flat_load_dwordx2 v[10:11], v[5:6]
	v_lshlrev_b64 v[7:8], 3, v[12:13]
	s_waitcnt vmcnt(0) lgkmcnt(0)
	buffer_store_dword v11, off, s[0:3], 0 offset:20
	buffer_store_dword v10, off, s[0:3], 0 offset:16
	v_add_co_u32_e32 v7, vcc, s8, v7
	v_addc_co_u32_e32 v8, vcc, v14, v8, vcc
	flat_load_dwordx2 v[13:14], v[7:8]
	v_add_u32_e32 v11, s9, v12
	v_ashrrev_i32_e32 v12, 31, v11
	v_lshlrev_b64 v[9:10], 3, v[11:12]
	s_waitcnt vmcnt(0) lgkmcnt(0)
	buffer_store_dword v14, off, s[0:3], 0 offset:28
	buffer_store_dword v13, off, s[0:3], 0 offset:24
	v_add_co_u32_e32 v9, vcc, s8, v9
	v_addc_co_u32_e32 v10, vcc, v15, v10, vcc
	flat_load_dwordx2 v[13:14], v[9:10]
	v_add_u32_e32 v15, s9, v11
	v_ashrrev_i32_e32 v16, 31, v15
	v_lshlrev_b64 v[11:12], 3, v[15:16]
	v_add_u32_e32 v18, s9, v15
	v_add_co_u32_e32 v11, vcc, s8, v11
	v_addc_co_u32_e32 v12, vcc, v17, v12, vcc
	v_ashrrev_i32_e32 v19, 31, v18
	s_waitcnt vmcnt(0) lgkmcnt(0)
	buffer_store_dword v14, off, s[0:3], 0 offset:36
	buffer_store_dword v13, off, s[0:3], 0 offset:32
	flat_load_dwordx2 v[16:17], v[11:12]
	v_lshlrev_b64 v[13:14], 3, v[18:19]
	s_waitcnt vmcnt(0) lgkmcnt(0)
	buffer_store_dword v17, off, s[0:3], 0 offset:44
	buffer_store_dword v16, off, s[0:3], 0 offset:40
	v_add_co_u32_e32 v13, vcc, s8, v13
	v_addc_co_u32_e32 v14, vcc, v20, v14, vcc
	flat_load_dwordx2 v[19:20], v[13:14]
	v_add_u32_e32 v17, s9, v18
	v_ashrrev_i32_e32 v18, 31, v17
	v_lshlrev_b64 v[15:16], 3, v[17:18]
	s_waitcnt vmcnt(0) lgkmcnt(0)
	buffer_store_dword v20, off, s[0:3], 0 offset:52
	buffer_store_dword v19, off, s[0:3], 0 offset:48
	v_add_co_u32_e32 v15, vcc, s8, v15
	v_addc_co_u32_e32 v16, vcc, v21, v16, vcc
	flat_load_dwordx2 v[19:20], v[15:16]
	v_add_u32_e32 v21, s9, v17
	v_ashrrev_i32_e32 v22, 31, v21
	v_lshlrev_b64 v[17:18], 3, v[21:22]
	v_add_u32_e32 v24, s9, v21
	v_add_co_u32_e32 v17, vcc, s8, v17
	v_addc_co_u32_e32 v18, vcc, v23, v18, vcc
	v_ashrrev_i32_e32 v25, 31, v24
	s_waitcnt vmcnt(0) lgkmcnt(0)
	buffer_store_dword v20, off, s[0:3], 0 offset:60
	buffer_store_dword v19, off, s[0:3], 0 offset:56
	;; [unrolled: 27-line block ×3, first 2 shown]
	flat_load_dwordx2 v[28:29], v[23:24]
	v_lshlrev_b64 v[25:26], 3, v[30:31]
	s_waitcnt vmcnt(0) lgkmcnt(0)
	buffer_store_dword v29, off, s[0:3], 0 offset:92
	buffer_store_dword v28, off, s[0:3], 0 offset:88
	v_add_co_u32_e32 v25, vcc, s8, v25
	v_addc_co_u32_e32 v26, vcc, v32, v26, vcc
	flat_load_dwordx2 v[31:32], v[25:26]
	v_add_u32_e32 v29, s9, v30
	v_ashrrev_i32_e32 v30, 31, v29
	v_lshlrev_b64 v[27:28], 3, v[29:30]
	s_waitcnt vmcnt(0) lgkmcnt(0)
	buffer_store_dword v32, off, s[0:3], 0 offset:100
	buffer_store_dword v31, off, s[0:3], 0 offset:96
	v_add_co_u32_e32 v27, vcc, s8, v27
	v_addc_co_u32_e32 v28, vcc, v33, v28, vcc
	flat_load_dwordx2 v[31:32], v[27:28]
	v_add_u32_e32 v33, s9, v29
	v_ashrrev_i32_e32 v34, 31, v33
	v_lshlrev_b64 v[29:30], 3, v[33:34]
	v_mov_b32_e32 v34, s16
	v_add_co_u32_e32 v29, vcc, s8, v29
	v_addc_co_u32_e32 v30, vcc, v36, v30, vcc
	s_waitcnt vmcnt(0) lgkmcnt(0)
	buffer_store_dword v32, off, s[0:3], 0 offset:108
	buffer_store_dword v31, off, s[0:3], 0 offset:104
	flat_load_dwordx2 v[36:37], v[29:30]
	v_add_u32_e32 v31, s9, v33
	v_ashrrev_i32_e32 v32, 31, v31
	v_lshlrev_b64 v[31:32], 3, v[31:32]
	s_waitcnt vmcnt(0) lgkmcnt(0)
	buffer_store_dword v37, off, s[0:3], 0 offset:116
	buffer_store_dword v36, off, s[0:3], 0 offset:112
	v_add_co_u32_e32 v31, vcc, s8, v31
	v_addc_co_u32_e32 v32, vcc, v34, v32, vcc
	flat_load_dwordx2 v[33:34], v[31:32]
	s_mov_b64 s[8:9], -1
	s_waitcnt vmcnt(0) lgkmcnt(0)
	buffer_store_dword v34, off, s[0:3], 0 offset:124
	buffer_store_dword v33, off, s[0:3], 0 offset:120
	s_cbranch_scc1 .LBB79_76
; %bb.4:
	v_cmp_eq_u32_e64 s[4:5], 0, v0
	s_and_saveexec_b64 s[8:9], s[4:5]
; %bb.5:
	v_mov_b32_e32 v33, 0
	ds_write_b32 v33, v33 offset:256
; %bb.6:
	s_or_b64 exec, exec, s[8:9]
	v_mov_b32_e32 v33, 0
	v_lshl_add_u32 v37, v0, 3, v33
	s_waitcnt lgkmcnt(0)
	; wave barrier
	buffer_load_dword v33, v37, s[0:3], 0 offen
	buffer_load_dword v34, v37, s[0:3], 0 offen offset:4
	s_waitcnt vmcnt(1)
	v_cmp_eq_f32_e32 vcc, 0, v33
	s_waitcnt vmcnt(0)
	v_cmp_eq_f32_e64 s[8:9], 0, v34
	s_and_b64 s[8:9], vcc, s[8:9]
	s_and_saveexec_b64 s[16:17], s[8:9]
	s_cbranch_execz .LBB79_10
; %bb.7:
	v_mov_b32_e32 v33, 0
	ds_read_b32 v36, v33 offset:256
	v_add_u32_e32 v34, 1, v0
	s_waitcnt lgkmcnt(0)
	v_readfirstlane_b32 s8, v36
	s_cmp_eq_u32 s8, 0
	s_cselect_b64 s[18:19], -1, 0
	v_cmp_gt_i32_e32 vcc, s8, v34
	s_or_b64 s[18:19], s[18:19], vcc
	s_and_b64 exec, exec, s[18:19]
	s_cbranch_execz .LBB79_10
; %bb.8:
	s_mov_b64 s[18:19], 0
	v_mov_b32_e32 v36, s8
.LBB79_9:                               ; =>This Inner Loop Header: Depth=1
	ds_cmpst_rtn_b32 v36, v33, v36, v34 offset:256
	s_waitcnt lgkmcnt(0)
	v_cmp_ne_u32_e32 vcc, 0, v36
	v_cmp_le_i32_e64 s[8:9], v36, v34
	s_and_b64 s[8:9], vcc, s[8:9]
	s_and_b64 s[8:9], exec, s[8:9]
	s_or_b64 s[18:19], s[8:9], s[18:19]
	s_andn2_b64 exec, exec, s[18:19]
	s_cbranch_execnz .LBB79_9
.LBB79_10:
	s_or_b64 exec, exec, s[16:17]
	v_mov_b32_e32 v34, 0
	; wave barrier
	ds_read_b32 v33, v34 offset:256
	s_and_saveexec_b64 s[8:9], s[4:5]
	s_cbranch_execz .LBB79_12
; %bb.11:
	s_lshl_b64 s[16:17], s[6:7], 2
	s_add_u32 s16, s10, s16
	s_addc_u32 s17, s11, s17
	s_waitcnt lgkmcnt(0)
	global_store_dword v34, v33, s[16:17]
.LBB79_12:
	s_or_b64 exec, exec, s[8:9]
	s_waitcnt lgkmcnt(0)
	v_cmp_ne_u32_e32 vcc, 0, v33
	s_mov_b64 s[8:9], 0
	s_cbranch_vccnz .LBB79_76
; %bb.13:
	buffer_load_dword v34, v37, s[0:3], 0 offen
	buffer_load_dword v36, v37, s[0:3], 0 offen offset:4
                                        ; implicit-def: $vgpr39
                                        ; implicit-def: $vgpr38
                                        ; implicit-def: $vgpr33
	s_waitcnt vmcnt(0)
	v_cmp_ngt_f32_e64 s[8:9], |v34|, |v36|
	s_and_saveexec_b64 s[16:17], s[8:9]
	s_xor_b64 s[8:9], exec, s[16:17]
	s_cbranch_execz .LBB79_15
; %bb.14:
	v_div_scale_f32 v33, s[16:17], v36, v36, v34
	v_div_scale_f32 v38, vcc, v34, v36, v34
	v_rcp_f32_e32 v39, v33
	v_fma_f32 v40, -v33, v39, 1.0
	v_fmac_f32_e32 v39, v40, v39
	v_mul_f32_e32 v40, v38, v39
	v_fma_f32 v41, -v33, v40, v38
	v_fmac_f32_e32 v40, v41, v39
	v_fma_f32 v33, -v33, v40, v38
	v_div_fmas_f32 v33, v33, v39, v40
	v_div_fixup_f32 v33, v33, v36, v34
	v_fmac_f32_e32 v36, v34, v33
	v_div_scale_f32 v34, s[16:17], v36, v36, 1.0
	v_div_scale_f32 v38, vcc, 1.0, v36, 1.0
	v_rcp_f32_e32 v39, v34
	v_fma_f32 v40, -v34, v39, 1.0
	v_fmac_f32_e32 v39, v40, v39
	v_mul_f32_e32 v40, v38, v39
	v_fma_f32 v41, -v34, v40, v38
	v_fmac_f32_e32 v40, v41, v39
	v_fma_f32 v34, -v34, v40, v38
	v_div_fmas_f32 v34, v34, v39, v40
	v_div_fixup_f32 v34, v34, v36, 1.0
	v_mul_f32_e32 v39, v33, v34
	v_xor_b32_e32 v38, 0x80000000, v34
	v_xor_b32_e32 v33, 0x80000000, v39
                                        ; implicit-def: $vgpr34
                                        ; implicit-def: $vgpr36
.LBB79_15:
	s_andn2_saveexec_b64 s[8:9], s[8:9]
	s_cbranch_execz .LBB79_17
; %bb.16:
	v_div_scale_f32 v33, s[16:17], v34, v34, v36
	v_div_scale_f32 v38, vcc, v36, v34, v36
	v_rcp_f32_e32 v39, v33
	v_fma_f32 v40, -v33, v39, 1.0
	v_fmac_f32_e32 v39, v40, v39
	v_mul_f32_e32 v40, v38, v39
	v_fma_f32 v41, -v33, v40, v38
	v_fmac_f32_e32 v40, v41, v39
	v_fma_f32 v33, -v33, v40, v38
	v_div_fmas_f32 v33, v33, v39, v40
	v_div_fixup_f32 v38, v33, v34, v36
	v_fmac_f32_e32 v34, v36, v38
	v_div_scale_f32 v33, s[16:17], v34, v34, 1.0
	v_div_scale_f32 v36, vcc, 1.0, v34, 1.0
	v_rcp_f32_e32 v39, v33
	v_fma_f32 v40, -v33, v39, 1.0
	v_fmac_f32_e32 v39, v40, v39
	v_mul_f32_e32 v40, v36, v39
	v_fma_f32 v41, -v33, v40, v36
	v_fmac_f32_e32 v40, v41, v39
	v_fma_f32 v33, -v33, v40, v36
	v_div_fmas_f32 v33, v33, v39, v40
	v_div_fixup_f32 v39, v33, v34, 1.0
	v_xor_b32_e32 v33, 0x80000000, v39
	v_mul_f32_e64 v38, v38, -v39
.LBB79_17:
	s_or_b64 exec, exec, s[8:9]
	buffer_store_dword v39, v37, s[0:3], 0 offen
	buffer_store_dword v38, v37, s[0:3], 0 offen offset:4
	buffer_load_dword v40, off, s[0:3], 0 offset:12
	s_nop 0
	buffer_load_dword v39, off, s[0:3], 0 offset:8
	v_xor_b32_e32 v34, 0x80000000, v38
	v_add_u32_e32 v36, 0x80, v35
	s_waitcnt vmcnt(0)
	ds_write2_b64 v35, v[33:34], v[39:40] offset1:16
	s_waitcnt lgkmcnt(0)
	; wave barrier
	s_and_saveexec_b64 s[8:9], s[4:5]
	s_cbranch_execz .LBB79_19
; %bb.18:
	buffer_load_dword v40, v37, s[0:3], 0 offen offset:4
	buffer_load_dword v41, v37, s[0:3], 0 offen
	ds_read_b64 v[33:34], v36
	v_mov_b32_e32 v38, 0
	ds_read_b64 v[38:39], v38 offset:8
	s_waitcnt vmcnt(1) lgkmcnt(1)
	v_mul_f32_e32 v42, v34, v40
	v_mul_f32_e32 v40, v33, v40
	s_waitcnt vmcnt(0)
	v_fmac_f32_e32 v40, v34, v41
	v_fma_f32 v33, v33, v41, -v42
	v_add_f32_e32 v34, 0, v40
	v_add_f32_e32 v33, 0, v33
	s_waitcnt lgkmcnt(0)
	v_mul_f32_e32 v40, v34, v39
	v_mul_f32_e32 v39, v33, v39
	v_fma_f32 v33, v33, v38, -v40
	v_fmac_f32_e32 v39, v34, v38
	buffer_store_dword v33, off, s[0:3], 0 offset:8
	buffer_store_dword v39, off, s[0:3], 0 offset:12
.LBB79_19:
	s_or_b64 exec, exec, s[8:9]
	; wave barrier
	buffer_load_dword v33, off, s[0:3], 0 offset:16
	buffer_load_dword v34, off, s[0:3], 0 offset:20
	v_cmp_gt_u32_e32 vcc, 2, v0
	s_waitcnt vmcnt(0)
	ds_write_b64 v36, v[33:34]
	s_waitcnt lgkmcnt(0)
	; wave barrier
	s_and_saveexec_b64 s[8:9], vcc
	s_cbranch_execz .LBB79_23
; %bb.20:
	buffer_load_dword v38, v37, s[0:3], 0 offen offset:4
	buffer_load_dword v39, v37, s[0:3], 0 offen
	ds_read_b64 v[33:34], v36
	s_waitcnt vmcnt(1) lgkmcnt(0)
	v_mul_f32_e32 v37, v34, v38
	v_mul_f32_e32 v38, v33, v38
	s_waitcnt vmcnt(0)
	v_fma_f32 v33, v33, v39, -v37
	v_fmac_f32_e32 v38, v34, v39
	v_add_f32_e32 v34, 0, v33
	v_add_f32_e32 v33, 0, v38
	s_and_saveexec_b64 s[16:17], s[4:5]
	s_cbranch_execz .LBB79_22
; %bb.21:
	buffer_load_dword v39, off, s[0:3], 0 offset:12
	buffer_load_dword v40, off, s[0:3], 0 offset:8
	v_mov_b32_e32 v37, 0
	ds_read_b64 v[37:38], v37 offset:136
	s_waitcnt vmcnt(1) lgkmcnt(0)
	v_mul_f32_e32 v41, v37, v39
	v_mul_f32_e32 v39, v38, v39
	s_waitcnt vmcnt(0)
	v_fmac_f32_e32 v41, v38, v40
	v_fma_f32 v37, v37, v40, -v39
	v_add_f32_e32 v33, v33, v41
	v_add_f32_e32 v34, v34, v37
.LBB79_22:
	s_or_b64 exec, exec, s[16:17]
	v_mov_b32_e32 v37, 0
	ds_read_b64 v[37:38], v37 offset:16
	s_waitcnt lgkmcnt(0)
	v_mul_f32_e32 v39, v33, v38
	v_mul_f32_e32 v38, v34, v38
	v_fma_f32 v34, v34, v37, -v39
	v_fmac_f32_e32 v38, v33, v37
	buffer_store_dword v34, off, s[0:3], 0 offset:16
	buffer_store_dword v38, off, s[0:3], 0 offset:20
.LBB79_23:
	s_or_b64 exec, exec, s[8:9]
	; wave barrier
	buffer_load_dword v33, off, s[0:3], 0 offset:24
	buffer_load_dword v34, off, s[0:3], 0 offset:28
	v_cmp_gt_u32_e32 vcc, 3, v0
	s_waitcnt vmcnt(0)
	ds_write_b64 v36, v[33:34]
	v_add_u32_e32 v33, -1, v0
	s_waitcnt lgkmcnt(0)
	; wave barrier
	s_and_saveexec_b64 s[4:5], vcc
	s_cbranch_execz .LBB79_27
; %bb.24:
	v_add_u32_e32 v37, -1, v0
	v_add_u32_e32 v38, 0x80, v35
	v_mov_b32_e32 v39, v35
	v_mov_b32_e32 v34, 0
	s_mov_b64 s[8:9], 0
	v_mov_b32_e32 v40, 0
.LBB79_25:                              ; =>This Inner Loop Header: Depth=1
	buffer_load_dword v43, v39, s[0:3], 0 offen offset:4
	buffer_load_dword v44, v39, s[0:3], 0 offen
	ds_read_b64 v[41:42], v38
	v_add_u32_e32 v37, 1, v37
	v_cmp_lt_u32_e32 vcc, 1, v37
	v_add_u32_e32 v38, 8, v38
	v_add_u32_e32 v39, 8, v39
	s_or_b64 s[8:9], vcc, s[8:9]
	s_waitcnt vmcnt(1) lgkmcnt(0)
	v_mul_f32_e32 v45, v42, v43
	v_mul_f32_e32 v43, v41, v43
	s_waitcnt vmcnt(0)
	v_fma_f32 v41, v41, v44, -v45
	v_fmac_f32_e32 v43, v42, v44
	v_add_f32_e32 v40, v40, v41
	v_add_f32_e32 v34, v34, v43
	s_andn2_b64 exec, exec, s[8:9]
	s_cbranch_execnz .LBB79_25
; %bb.26:
	s_or_b64 exec, exec, s[8:9]
	v_mov_b32_e32 v37, 0
	ds_read_b64 v[37:38], v37 offset:24
	s_waitcnt lgkmcnt(0)
	v_mul_f32_e32 v39, v34, v38
	v_mul_f32_e32 v38, v40, v38
	v_fma_f32 v39, v40, v37, -v39
	v_fmac_f32_e32 v38, v34, v37
	buffer_store_dword v39, off, s[0:3], 0 offset:24
	buffer_store_dword v38, off, s[0:3], 0 offset:28
.LBB79_27:
	s_or_b64 exec, exec, s[4:5]
	; wave barrier
	buffer_load_dword v37, off, s[0:3], 0 offset:32
	buffer_load_dword v38, off, s[0:3], 0 offset:36
	v_cmp_gt_u32_e32 vcc, 4, v0
	s_waitcnt vmcnt(0)
	ds_write_b64 v36, v[37:38]
	s_waitcnt lgkmcnt(0)
	; wave barrier
	s_and_saveexec_b64 s[4:5], vcc
	s_cbranch_execz .LBB79_31
; %bb.28:
	v_add_u32_e32 v37, -1, v0
	v_add_u32_e32 v38, 0x80, v35
	v_mov_b32_e32 v39, v35
	v_mov_b32_e32 v34, 0
	s_mov_b64 s[8:9], 0
	v_mov_b32_e32 v40, 0
.LBB79_29:                              ; =>This Inner Loop Header: Depth=1
	buffer_load_dword v43, v39, s[0:3], 0 offen offset:4
	buffer_load_dword v44, v39, s[0:3], 0 offen
	ds_read_b64 v[41:42], v38
	v_add_u32_e32 v37, 1, v37
	v_cmp_lt_u32_e32 vcc, 2, v37
	v_add_u32_e32 v38, 8, v38
	v_add_u32_e32 v39, 8, v39
	s_or_b64 s[8:9], vcc, s[8:9]
	s_waitcnt vmcnt(1) lgkmcnt(0)
	v_mul_f32_e32 v45, v42, v43
	v_mul_f32_e32 v43, v41, v43
	s_waitcnt vmcnt(0)
	v_fma_f32 v41, v41, v44, -v45
	v_fmac_f32_e32 v43, v42, v44
	v_add_f32_e32 v40, v40, v41
	v_add_f32_e32 v34, v34, v43
	s_andn2_b64 exec, exec, s[8:9]
	s_cbranch_execnz .LBB79_29
; %bb.30:
	s_or_b64 exec, exec, s[8:9]
	v_mov_b32_e32 v37, 0
	ds_read_b64 v[37:38], v37 offset:32
	s_waitcnt lgkmcnt(0)
	v_mul_f32_e32 v39, v34, v38
	v_mul_f32_e32 v38, v40, v38
	v_fma_f32 v39, v40, v37, -v39
	v_fmac_f32_e32 v38, v34, v37
	buffer_store_dword v39, off, s[0:3], 0 offset:32
	buffer_store_dword v38, off, s[0:3], 0 offset:36
.LBB79_31:
	s_or_b64 exec, exec, s[4:5]
	; wave barrier
	buffer_load_dword v37, off, s[0:3], 0 offset:40
	buffer_load_dword v38, off, s[0:3], 0 offset:44
	v_cmp_gt_u32_e32 vcc, 5, v0
	s_waitcnt vmcnt(0)
	ds_write_b64 v36, v[37:38]
	s_waitcnt lgkmcnt(0)
	; wave barrier
	s_and_saveexec_b64 s[4:5], vcc
	s_cbranch_execz .LBB79_35
; %bb.32:
	v_add_u32_e32 v37, -1, v0
	v_add_u32_e32 v38, 0x80, v35
	v_mov_b32_e32 v39, v35
	v_mov_b32_e32 v34, 0
	s_mov_b64 s[8:9], 0
	v_mov_b32_e32 v40, 0
.LBB79_33:                              ; =>This Inner Loop Header: Depth=1
	buffer_load_dword v43, v39, s[0:3], 0 offen offset:4
	buffer_load_dword v44, v39, s[0:3], 0 offen
	ds_read_b64 v[41:42], v38
	v_add_u32_e32 v37, 1, v37
	v_cmp_lt_u32_e32 vcc, 3, v37
	v_add_u32_e32 v38, 8, v38
	v_add_u32_e32 v39, 8, v39
	s_or_b64 s[8:9], vcc, s[8:9]
	s_waitcnt vmcnt(1) lgkmcnt(0)
	v_mul_f32_e32 v45, v42, v43
	v_mul_f32_e32 v43, v41, v43
	s_waitcnt vmcnt(0)
	v_fma_f32 v41, v41, v44, -v45
	v_fmac_f32_e32 v43, v42, v44
	v_add_f32_e32 v40, v40, v41
	v_add_f32_e32 v34, v34, v43
	s_andn2_b64 exec, exec, s[8:9]
	s_cbranch_execnz .LBB79_33
; %bb.34:
	s_or_b64 exec, exec, s[8:9]
	v_mov_b32_e32 v37, 0
	ds_read_b64 v[37:38], v37 offset:40
	s_waitcnt lgkmcnt(0)
	v_mul_f32_e32 v39, v34, v38
	v_mul_f32_e32 v38, v40, v38
	v_fma_f32 v39, v40, v37, -v39
	v_fmac_f32_e32 v38, v34, v37
	buffer_store_dword v39, off, s[0:3], 0 offset:40
	buffer_store_dword v38, off, s[0:3], 0 offset:44
.LBB79_35:
	s_or_b64 exec, exec, s[4:5]
	; wave barrier
	buffer_load_dword v37, off, s[0:3], 0 offset:48
	buffer_load_dword v38, off, s[0:3], 0 offset:52
	v_cmp_gt_u32_e32 vcc, 6, v0
	s_waitcnt vmcnt(0)
	ds_write_b64 v36, v[37:38]
	s_waitcnt lgkmcnt(0)
	; wave barrier
	s_and_saveexec_b64 s[4:5], vcc
	s_cbranch_execz .LBB79_39
; %bb.36:
	v_add_u32_e32 v37, -1, v0
	v_add_u32_e32 v38, 0x80, v35
	v_mov_b32_e32 v39, v35
	v_mov_b32_e32 v34, 0
	s_mov_b64 s[8:9], 0
	v_mov_b32_e32 v40, 0
.LBB79_37:                              ; =>This Inner Loop Header: Depth=1
	buffer_load_dword v43, v39, s[0:3], 0 offen offset:4
	buffer_load_dword v44, v39, s[0:3], 0 offen
	ds_read_b64 v[41:42], v38
	v_add_u32_e32 v37, 1, v37
	v_cmp_lt_u32_e32 vcc, 4, v37
	v_add_u32_e32 v38, 8, v38
	v_add_u32_e32 v39, 8, v39
	s_or_b64 s[8:9], vcc, s[8:9]
	s_waitcnt vmcnt(1) lgkmcnt(0)
	v_mul_f32_e32 v45, v42, v43
	v_mul_f32_e32 v43, v41, v43
	s_waitcnt vmcnt(0)
	v_fma_f32 v41, v41, v44, -v45
	v_fmac_f32_e32 v43, v42, v44
	v_add_f32_e32 v40, v40, v41
	v_add_f32_e32 v34, v34, v43
	s_andn2_b64 exec, exec, s[8:9]
	s_cbranch_execnz .LBB79_37
; %bb.38:
	s_or_b64 exec, exec, s[8:9]
	v_mov_b32_e32 v37, 0
	ds_read_b64 v[37:38], v37 offset:48
	s_waitcnt lgkmcnt(0)
	v_mul_f32_e32 v39, v34, v38
	v_mul_f32_e32 v38, v40, v38
	v_fma_f32 v39, v40, v37, -v39
	v_fmac_f32_e32 v38, v34, v37
	buffer_store_dword v39, off, s[0:3], 0 offset:48
	buffer_store_dword v38, off, s[0:3], 0 offset:52
.LBB79_39:
	s_or_b64 exec, exec, s[4:5]
	; wave barrier
	buffer_load_dword v37, off, s[0:3], 0 offset:56
	buffer_load_dword v38, off, s[0:3], 0 offset:60
	v_cmp_gt_u32_e32 vcc, 7, v0
	s_waitcnt vmcnt(0)
	ds_write_b64 v36, v[37:38]
	s_waitcnt lgkmcnt(0)
	; wave barrier
	s_and_saveexec_b64 s[4:5], vcc
	s_cbranch_execz .LBB79_43
; %bb.40:
	v_add_u32_e32 v37, -1, v0
	v_add_u32_e32 v38, 0x80, v35
	v_mov_b32_e32 v39, v35
	v_mov_b32_e32 v34, 0
	s_mov_b64 s[8:9], 0
	v_mov_b32_e32 v40, 0
.LBB79_41:                              ; =>This Inner Loop Header: Depth=1
	buffer_load_dword v43, v39, s[0:3], 0 offen offset:4
	buffer_load_dword v44, v39, s[0:3], 0 offen
	ds_read_b64 v[41:42], v38
	v_add_u32_e32 v37, 1, v37
	v_cmp_lt_u32_e32 vcc, 5, v37
	v_add_u32_e32 v38, 8, v38
	v_add_u32_e32 v39, 8, v39
	s_or_b64 s[8:9], vcc, s[8:9]
	s_waitcnt vmcnt(1) lgkmcnt(0)
	v_mul_f32_e32 v45, v42, v43
	v_mul_f32_e32 v43, v41, v43
	s_waitcnt vmcnt(0)
	v_fma_f32 v41, v41, v44, -v45
	v_fmac_f32_e32 v43, v42, v44
	v_add_f32_e32 v40, v40, v41
	v_add_f32_e32 v34, v34, v43
	s_andn2_b64 exec, exec, s[8:9]
	s_cbranch_execnz .LBB79_41
; %bb.42:
	s_or_b64 exec, exec, s[8:9]
	v_mov_b32_e32 v37, 0
	ds_read_b64 v[37:38], v37 offset:56
	s_waitcnt lgkmcnt(0)
	v_mul_f32_e32 v39, v34, v38
	v_mul_f32_e32 v38, v40, v38
	v_fma_f32 v39, v40, v37, -v39
	v_fmac_f32_e32 v38, v34, v37
	buffer_store_dword v39, off, s[0:3], 0 offset:56
	buffer_store_dword v38, off, s[0:3], 0 offset:60
.LBB79_43:
	s_or_b64 exec, exec, s[4:5]
	; wave barrier
	buffer_load_dword v37, off, s[0:3], 0 offset:64
	buffer_load_dword v38, off, s[0:3], 0 offset:68
	v_cmp_gt_u32_e32 vcc, 8, v0
	s_waitcnt vmcnt(0)
	ds_write_b64 v36, v[37:38]
	s_waitcnt lgkmcnt(0)
	; wave barrier
	s_and_saveexec_b64 s[4:5], vcc
	s_cbranch_execz .LBB79_47
; %bb.44:
	v_add_u32_e32 v37, -1, v0
	v_add_u32_e32 v38, 0x80, v35
	v_mov_b32_e32 v39, v35
	v_mov_b32_e32 v34, 0
	s_mov_b64 s[8:9], 0
	v_mov_b32_e32 v40, 0
.LBB79_45:                              ; =>This Inner Loop Header: Depth=1
	buffer_load_dword v43, v39, s[0:3], 0 offen offset:4
	buffer_load_dword v44, v39, s[0:3], 0 offen
	ds_read_b64 v[41:42], v38
	v_add_u32_e32 v37, 1, v37
	v_cmp_lt_u32_e32 vcc, 6, v37
	v_add_u32_e32 v38, 8, v38
	v_add_u32_e32 v39, 8, v39
	s_or_b64 s[8:9], vcc, s[8:9]
	s_waitcnt vmcnt(1) lgkmcnt(0)
	v_mul_f32_e32 v45, v42, v43
	v_mul_f32_e32 v43, v41, v43
	s_waitcnt vmcnt(0)
	v_fma_f32 v41, v41, v44, -v45
	v_fmac_f32_e32 v43, v42, v44
	v_add_f32_e32 v40, v40, v41
	v_add_f32_e32 v34, v34, v43
	s_andn2_b64 exec, exec, s[8:9]
	s_cbranch_execnz .LBB79_45
; %bb.46:
	s_or_b64 exec, exec, s[8:9]
	v_mov_b32_e32 v37, 0
	ds_read_b64 v[37:38], v37 offset:64
	s_waitcnt lgkmcnt(0)
	v_mul_f32_e32 v39, v34, v38
	v_mul_f32_e32 v38, v40, v38
	v_fma_f32 v39, v40, v37, -v39
	v_fmac_f32_e32 v38, v34, v37
	buffer_store_dword v39, off, s[0:3], 0 offset:64
	buffer_store_dword v38, off, s[0:3], 0 offset:68
.LBB79_47:
	s_or_b64 exec, exec, s[4:5]
	; wave barrier
	buffer_load_dword v37, off, s[0:3], 0 offset:72
	buffer_load_dword v38, off, s[0:3], 0 offset:76
	v_cmp_gt_u32_e32 vcc, 9, v0
	s_waitcnt vmcnt(0)
	ds_write_b64 v36, v[37:38]
	s_waitcnt lgkmcnt(0)
	; wave barrier
	s_and_saveexec_b64 s[4:5], vcc
	s_cbranch_execz .LBB79_51
; %bb.48:
	v_add_u32_e32 v37, -1, v0
	v_add_u32_e32 v38, 0x80, v35
	v_mov_b32_e32 v39, v35
	v_mov_b32_e32 v34, 0
	s_mov_b64 s[8:9], 0
	v_mov_b32_e32 v40, 0
.LBB79_49:                              ; =>This Inner Loop Header: Depth=1
	buffer_load_dword v43, v39, s[0:3], 0 offen offset:4
	buffer_load_dword v44, v39, s[0:3], 0 offen
	ds_read_b64 v[41:42], v38
	v_add_u32_e32 v37, 1, v37
	v_cmp_lt_u32_e32 vcc, 7, v37
	v_add_u32_e32 v38, 8, v38
	v_add_u32_e32 v39, 8, v39
	s_or_b64 s[8:9], vcc, s[8:9]
	s_waitcnt vmcnt(1) lgkmcnt(0)
	v_mul_f32_e32 v45, v42, v43
	v_mul_f32_e32 v43, v41, v43
	s_waitcnt vmcnt(0)
	v_fma_f32 v41, v41, v44, -v45
	v_fmac_f32_e32 v43, v42, v44
	v_add_f32_e32 v40, v40, v41
	v_add_f32_e32 v34, v34, v43
	s_andn2_b64 exec, exec, s[8:9]
	s_cbranch_execnz .LBB79_49
; %bb.50:
	s_or_b64 exec, exec, s[8:9]
	v_mov_b32_e32 v37, 0
	ds_read_b64 v[37:38], v37 offset:72
	s_waitcnt lgkmcnt(0)
	v_mul_f32_e32 v39, v34, v38
	v_mul_f32_e32 v38, v40, v38
	v_fma_f32 v39, v40, v37, -v39
	v_fmac_f32_e32 v38, v34, v37
	buffer_store_dword v39, off, s[0:3], 0 offset:72
	buffer_store_dword v38, off, s[0:3], 0 offset:76
.LBB79_51:
	s_or_b64 exec, exec, s[4:5]
	; wave barrier
	buffer_load_dword v37, off, s[0:3], 0 offset:80
	buffer_load_dword v38, off, s[0:3], 0 offset:84
	v_cmp_gt_u32_e32 vcc, 10, v0
	s_waitcnt vmcnt(0)
	ds_write_b64 v36, v[37:38]
	s_waitcnt lgkmcnt(0)
	; wave barrier
	s_and_saveexec_b64 s[4:5], vcc
	s_cbranch_execz .LBB79_55
; %bb.52:
	v_add_u32_e32 v37, -1, v0
	v_add_u32_e32 v38, 0x80, v35
	v_mov_b32_e32 v39, v35
	v_mov_b32_e32 v34, 0
	s_mov_b64 s[8:9], 0
	v_mov_b32_e32 v40, 0
.LBB79_53:                              ; =>This Inner Loop Header: Depth=1
	buffer_load_dword v43, v39, s[0:3], 0 offen offset:4
	buffer_load_dword v44, v39, s[0:3], 0 offen
	ds_read_b64 v[41:42], v38
	v_add_u32_e32 v37, 1, v37
	v_cmp_lt_u32_e32 vcc, 8, v37
	v_add_u32_e32 v38, 8, v38
	v_add_u32_e32 v39, 8, v39
	s_or_b64 s[8:9], vcc, s[8:9]
	s_waitcnt vmcnt(1) lgkmcnt(0)
	v_mul_f32_e32 v45, v42, v43
	v_mul_f32_e32 v43, v41, v43
	s_waitcnt vmcnt(0)
	v_fma_f32 v41, v41, v44, -v45
	v_fmac_f32_e32 v43, v42, v44
	v_add_f32_e32 v40, v40, v41
	v_add_f32_e32 v34, v34, v43
	s_andn2_b64 exec, exec, s[8:9]
	s_cbranch_execnz .LBB79_53
; %bb.54:
	s_or_b64 exec, exec, s[8:9]
	v_mov_b32_e32 v37, 0
	ds_read_b64 v[37:38], v37 offset:80
	s_waitcnt lgkmcnt(0)
	v_mul_f32_e32 v39, v34, v38
	v_mul_f32_e32 v38, v40, v38
	v_fma_f32 v39, v40, v37, -v39
	v_fmac_f32_e32 v38, v34, v37
	buffer_store_dword v39, off, s[0:3], 0 offset:80
	buffer_store_dword v38, off, s[0:3], 0 offset:84
.LBB79_55:
	s_or_b64 exec, exec, s[4:5]
	; wave barrier
	buffer_load_dword v37, off, s[0:3], 0 offset:88
	buffer_load_dword v38, off, s[0:3], 0 offset:92
	v_cmp_gt_u32_e32 vcc, 11, v0
	s_waitcnt vmcnt(0)
	ds_write_b64 v36, v[37:38]
	s_waitcnt lgkmcnt(0)
	; wave barrier
	s_and_saveexec_b64 s[4:5], vcc
	s_cbranch_execz .LBB79_59
; %bb.56:
	v_add_u32_e32 v37, -1, v0
	v_add_u32_e32 v38, 0x80, v35
	v_mov_b32_e32 v39, v35
	v_mov_b32_e32 v34, 0
	s_mov_b64 s[8:9], 0
	v_mov_b32_e32 v40, 0
.LBB79_57:                              ; =>This Inner Loop Header: Depth=1
	buffer_load_dword v43, v39, s[0:3], 0 offen offset:4
	buffer_load_dword v44, v39, s[0:3], 0 offen
	ds_read_b64 v[41:42], v38
	v_add_u32_e32 v37, 1, v37
	v_cmp_lt_u32_e32 vcc, 9, v37
	v_add_u32_e32 v38, 8, v38
	v_add_u32_e32 v39, 8, v39
	s_or_b64 s[8:9], vcc, s[8:9]
	s_waitcnt vmcnt(1) lgkmcnt(0)
	v_mul_f32_e32 v45, v42, v43
	v_mul_f32_e32 v43, v41, v43
	s_waitcnt vmcnt(0)
	v_fma_f32 v41, v41, v44, -v45
	v_fmac_f32_e32 v43, v42, v44
	v_add_f32_e32 v40, v40, v41
	v_add_f32_e32 v34, v34, v43
	s_andn2_b64 exec, exec, s[8:9]
	s_cbranch_execnz .LBB79_57
; %bb.58:
	s_or_b64 exec, exec, s[8:9]
	v_mov_b32_e32 v37, 0
	ds_read_b64 v[37:38], v37 offset:88
	s_waitcnt lgkmcnt(0)
	v_mul_f32_e32 v39, v34, v38
	v_mul_f32_e32 v38, v40, v38
	v_fma_f32 v39, v40, v37, -v39
	v_fmac_f32_e32 v38, v34, v37
	buffer_store_dword v39, off, s[0:3], 0 offset:88
	buffer_store_dword v38, off, s[0:3], 0 offset:92
.LBB79_59:
	s_or_b64 exec, exec, s[4:5]
	; wave barrier
	buffer_load_dword v37, off, s[0:3], 0 offset:96
	buffer_load_dword v38, off, s[0:3], 0 offset:100
	v_cmp_gt_u32_e32 vcc, 12, v0
	s_waitcnt vmcnt(0)
	ds_write_b64 v36, v[37:38]
	s_waitcnt lgkmcnt(0)
	; wave barrier
	s_and_saveexec_b64 s[4:5], vcc
	s_cbranch_execz .LBB79_63
; %bb.60:
	v_add_u32_e32 v37, -1, v0
	v_add_u32_e32 v38, 0x80, v35
	v_mov_b32_e32 v39, v35
	v_mov_b32_e32 v34, 0
	s_mov_b64 s[8:9], 0
	v_mov_b32_e32 v40, 0
.LBB79_61:                              ; =>This Inner Loop Header: Depth=1
	buffer_load_dword v43, v39, s[0:3], 0 offen offset:4
	buffer_load_dword v44, v39, s[0:3], 0 offen
	ds_read_b64 v[41:42], v38
	v_add_u32_e32 v37, 1, v37
	v_cmp_lt_u32_e32 vcc, 10, v37
	v_add_u32_e32 v38, 8, v38
	v_add_u32_e32 v39, 8, v39
	s_or_b64 s[8:9], vcc, s[8:9]
	s_waitcnt vmcnt(1) lgkmcnt(0)
	v_mul_f32_e32 v45, v42, v43
	v_mul_f32_e32 v43, v41, v43
	s_waitcnt vmcnt(0)
	v_fma_f32 v41, v41, v44, -v45
	v_fmac_f32_e32 v43, v42, v44
	v_add_f32_e32 v40, v40, v41
	v_add_f32_e32 v34, v34, v43
	s_andn2_b64 exec, exec, s[8:9]
	s_cbranch_execnz .LBB79_61
; %bb.62:
	s_or_b64 exec, exec, s[8:9]
	v_mov_b32_e32 v37, 0
	ds_read_b64 v[37:38], v37 offset:96
	s_waitcnt lgkmcnt(0)
	v_mul_f32_e32 v39, v34, v38
	v_mul_f32_e32 v38, v40, v38
	v_fma_f32 v39, v40, v37, -v39
	v_fmac_f32_e32 v38, v34, v37
	buffer_store_dword v39, off, s[0:3], 0 offset:96
	buffer_store_dword v38, off, s[0:3], 0 offset:100
.LBB79_63:
	s_or_b64 exec, exec, s[4:5]
	; wave barrier
	buffer_load_dword v37, off, s[0:3], 0 offset:104
	buffer_load_dword v38, off, s[0:3], 0 offset:108
	v_cmp_gt_u32_e32 vcc, 13, v0
	s_waitcnt vmcnt(0)
	ds_write_b64 v36, v[37:38]
	s_waitcnt lgkmcnt(0)
	; wave barrier
	s_and_saveexec_b64 s[4:5], vcc
	s_cbranch_execz .LBB79_67
; %bb.64:
	v_add_u32_e32 v37, -1, v0
	v_add_u32_e32 v38, 0x80, v35
	v_mov_b32_e32 v39, v35
	v_mov_b32_e32 v34, 0
	s_mov_b64 s[8:9], 0
	v_mov_b32_e32 v40, 0
.LBB79_65:                              ; =>This Inner Loop Header: Depth=1
	buffer_load_dword v43, v39, s[0:3], 0 offen offset:4
	buffer_load_dword v44, v39, s[0:3], 0 offen
	ds_read_b64 v[41:42], v38
	v_add_u32_e32 v37, 1, v37
	v_cmp_lt_u32_e32 vcc, 11, v37
	v_add_u32_e32 v38, 8, v38
	v_add_u32_e32 v39, 8, v39
	s_or_b64 s[8:9], vcc, s[8:9]
	s_waitcnt vmcnt(1) lgkmcnt(0)
	v_mul_f32_e32 v45, v42, v43
	v_mul_f32_e32 v43, v41, v43
	s_waitcnt vmcnt(0)
	v_fma_f32 v41, v41, v44, -v45
	v_fmac_f32_e32 v43, v42, v44
	v_add_f32_e32 v40, v40, v41
	v_add_f32_e32 v34, v34, v43
	s_andn2_b64 exec, exec, s[8:9]
	s_cbranch_execnz .LBB79_65
; %bb.66:
	s_or_b64 exec, exec, s[8:9]
	v_mov_b32_e32 v37, 0
	ds_read_b64 v[37:38], v37 offset:104
	s_waitcnt lgkmcnt(0)
	v_mul_f32_e32 v39, v34, v38
	v_mul_f32_e32 v38, v40, v38
	v_fma_f32 v39, v40, v37, -v39
	v_fmac_f32_e32 v38, v34, v37
	buffer_store_dword v39, off, s[0:3], 0 offset:104
	buffer_store_dword v38, off, s[0:3], 0 offset:108
.LBB79_67:
	s_or_b64 exec, exec, s[4:5]
	; wave barrier
	buffer_load_dword v37, off, s[0:3], 0 offset:112
	buffer_load_dword v38, off, s[0:3], 0 offset:116
	v_cmp_gt_u32_e32 vcc, 14, v0
	s_waitcnt vmcnt(0)
	ds_write_b64 v36, v[37:38]
	s_waitcnt lgkmcnt(0)
	; wave barrier
	s_and_saveexec_b64 s[4:5], vcc
	s_cbranch_execz .LBB79_71
; %bb.68:
	v_add_u32_e32 v37, -1, v0
	v_add_u32_e32 v38, 0x80, v35
	v_mov_b32_e32 v39, v35
	v_mov_b32_e32 v34, 0
	s_mov_b64 s[8:9], 0
	v_mov_b32_e32 v40, 0
.LBB79_69:                              ; =>This Inner Loop Header: Depth=1
	buffer_load_dword v43, v39, s[0:3], 0 offen offset:4
	buffer_load_dword v44, v39, s[0:3], 0 offen
	ds_read_b64 v[41:42], v38
	v_add_u32_e32 v37, 1, v37
	v_cmp_lt_u32_e32 vcc, 12, v37
	v_add_u32_e32 v38, 8, v38
	v_add_u32_e32 v39, 8, v39
	s_or_b64 s[8:9], vcc, s[8:9]
	s_waitcnt vmcnt(1) lgkmcnt(0)
	v_mul_f32_e32 v45, v42, v43
	v_mul_f32_e32 v43, v41, v43
	s_waitcnt vmcnt(0)
	v_fma_f32 v41, v41, v44, -v45
	v_fmac_f32_e32 v43, v42, v44
	v_add_f32_e32 v40, v40, v41
	v_add_f32_e32 v34, v34, v43
	s_andn2_b64 exec, exec, s[8:9]
	s_cbranch_execnz .LBB79_69
; %bb.70:
	s_or_b64 exec, exec, s[8:9]
	v_mov_b32_e32 v37, 0
	ds_read_b64 v[37:38], v37 offset:112
	s_waitcnt lgkmcnt(0)
	v_mul_f32_e32 v39, v34, v38
	v_mul_f32_e32 v38, v40, v38
	v_fma_f32 v39, v40, v37, -v39
	v_fmac_f32_e32 v38, v34, v37
	buffer_store_dword v39, off, s[0:3], 0 offset:112
	buffer_store_dword v38, off, s[0:3], 0 offset:116
.LBB79_71:
	s_or_b64 exec, exec, s[4:5]
	; wave barrier
	buffer_load_dword v37, off, s[0:3], 0 offset:120
	buffer_load_dword v38, off, s[0:3], 0 offset:124
	v_cmp_ne_u32_e32 vcc, 15, v0
	s_waitcnt vmcnt(0)
	ds_write_b64 v36, v[37:38]
	s_waitcnt lgkmcnt(0)
	; wave barrier
	s_and_saveexec_b64 s[4:5], vcc
	s_cbranch_execz .LBB79_75
; %bb.72:
	v_add_u32_e32 v36, 0x80, v35
	v_mov_b32_e32 v34, 0
	s_mov_b64 s[8:9], 0
	v_mov_b32_e32 v37, 0
.LBB79_73:                              ; =>This Inner Loop Header: Depth=1
	buffer_load_dword v40, v35, s[0:3], 0 offen offset:4
	buffer_load_dword v41, v35, s[0:3], 0 offen
	ds_read_b64 v[38:39], v36
	v_add_u32_e32 v33, 1, v33
	v_cmp_lt_u32_e32 vcc, 13, v33
	v_add_u32_e32 v36, 8, v36
	v_add_u32_e32 v35, 8, v35
	s_or_b64 s[8:9], vcc, s[8:9]
	s_waitcnt vmcnt(1) lgkmcnt(0)
	v_mul_f32_e32 v42, v39, v40
	v_mul_f32_e32 v40, v38, v40
	s_waitcnt vmcnt(0)
	v_fma_f32 v38, v38, v41, -v42
	v_fmac_f32_e32 v40, v39, v41
	v_add_f32_e32 v37, v37, v38
	v_add_f32_e32 v34, v34, v40
	s_andn2_b64 exec, exec, s[8:9]
	s_cbranch_execnz .LBB79_73
; %bb.74:
	s_or_b64 exec, exec, s[8:9]
	v_mov_b32_e32 v33, 0
	ds_read_b64 v[35:36], v33 offset:120
	s_waitcnt lgkmcnt(0)
	v_mul_f32_e32 v33, v34, v36
	v_mul_f32_e32 v36, v37, v36
	v_fma_f32 v33, v37, v35, -v33
	v_fmac_f32_e32 v36, v34, v35
	buffer_store_dword v33, off, s[0:3], 0 offset:120
	buffer_store_dword v36, off, s[0:3], 0 offset:124
.LBB79_75:
	s_or_b64 exec, exec, s[4:5]
	s_mov_b64 s[8:9], -1
	; wave barrier
.LBB79_76:
	s_and_b64 vcc, exec, s[8:9]
	s_cbranch_vccz .LBB79_78
; %bb.77:
	s_lshl_b64 s[4:5], s[6:7], 2
	s_add_u32 s4, s10, s4
	s_addc_u32 s5, s11, s5
	v_mov_b32_e32 v33, 0
	global_load_dword v33, v33, s[4:5]
	s_waitcnt vmcnt(0)
	v_cmp_ne_u32_e32 vcc, 0, v33
	s_cbranch_vccz .LBB79_79
.LBB79_78:
	s_endpgm
.LBB79_79:
	v_mov_b32_e32 v33, 0x80
	v_lshl_add_u32 v33, v0, 3, v33
	v_cmp_eq_u32_e32 vcc, 15, v0
	s_and_saveexec_b64 s[4:5], vcc
	s_cbranch_execz .LBB79_81
; %bb.80:
	buffer_load_dword v34, off, s[0:3], 0 offset:112
	buffer_load_dword v35, off, s[0:3], 0 offset:116
	v_mov_b32_e32 v36, 0
	buffer_store_dword v36, off, s[0:3], 0 offset:112
	buffer_store_dword v36, off, s[0:3], 0 offset:116
	s_waitcnt vmcnt(2)
	ds_write_b64 v33, v[34:35]
.LBB79_81:
	s_or_b64 exec, exec, s[4:5]
	s_waitcnt lgkmcnt(0)
	; wave barrier
	buffer_load_dword v37, off, s[0:3], 0 offset:124
	buffer_load_dword v38, off, s[0:3], 0 offset:120
	buffer_load_dword v39, off, s[0:3], 0 offset:112
	buffer_load_dword v40, off, s[0:3], 0 offset:116
	v_mov_b32_e32 v34, 0
	ds_read_b64 v[35:36], v34 offset:248
	v_cmp_lt_u32_e32 vcc, 13, v0
	s_waitcnt vmcnt(3) lgkmcnt(0)
	v_mul_f32_e32 v41, v35, v37
	v_mul_f32_e32 v37, v36, v37
	s_waitcnt vmcnt(2)
	v_fma_f32 v35, v35, v38, -v37
	v_fmac_f32_e32 v41, v36, v38
	v_add_f32_e32 v35, 0, v35
	v_add_f32_e32 v36, 0, v41
	s_waitcnt vmcnt(1)
	v_sub_f32_e32 v35, v39, v35
	s_waitcnt vmcnt(0)
	v_sub_f32_e32 v36, v40, v36
	buffer_store_dword v35, off, s[0:3], 0 offset:112
	buffer_store_dword v36, off, s[0:3], 0 offset:116
	s_and_saveexec_b64 s[4:5], vcc
	s_cbranch_execz .LBB79_83
; %bb.82:
	buffer_load_dword v35, off, s[0:3], 0 offset:104
	buffer_load_dword v36, off, s[0:3], 0 offset:108
	s_waitcnt vmcnt(0)
	ds_write_b64 v33, v[35:36]
	buffer_store_dword v34, off, s[0:3], 0 offset:104
	buffer_store_dword v34, off, s[0:3], 0 offset:108
.LBB79_83:
	s_or_b64 exec, exec, s[4:5]
	s_waitcnt lgkmcnt(0)
	; wave barrier
	buffer_load_dword v38, off, s[0:3], 0 offset:116
	buffer_load_dword v39, off, s[0:3], 0 offset:124
	;; [unrolled: 1-line block ×6, first 2 shown]
	ds_read_b128 v[34:37], v34 offset:240
	v_cmp_lt_u32_e32 vcc, 12, v0
	s_waitcnt vmcnt(5) lgkmcnt(0)
	v_mul_f32_e32 v44, v34, v38
	v_mul_f32_e32 v38, v35, v38
	s_waitcnt vmcnt(4)
	v_mul_f32_e32 v45, v36, v39
	v_mul_f32_e32 v39, v37, v39
	s_waitcnt vmcnt(3)
	v_fma_f32 v34, v34, v40, -v38
	v_fmac_f32_e32 v44, v35, v40
	s_waitcnt vmcnt(2)
	v_fma_f32 v35, v36, v41, -v39
	v_add_f32_e32 v34, 0, v34
	v_fmac_f32_e32 v45, v37, v41
	v_add_f32_e32 v36, 0, v44
	v_add_f32_e32 v34, v34, v35
	;; [unrolled: 1-line block ×3, first 2 shown]
	s_waitcnt vmcnt(1)
	v_sub_f32_e32 v34, v42, v34
	s_waitcnt vmcnt(0)
	v_sub_f32_e32 v35, v43, v36
	buffer_store_dword v34, off, s[0:3], 0 offset:104
	buffer_store_dword v35, off, s[0:3], 0 offset:108
	s_and_saveexec_b64 s[4:5], vcc
	s_cbranch_execz .LBB79_85
; %bb.84:
	buffer_load_dword v34, off, s[0:3], 0 offset:96
	buffer_load_dword v35, off, s[0:3], 0 offset:100
	v_mov_b32_e32 v36, 0
	buffer_store_dword v36, off, s[0:3], 0 offset:96
	buffer_store_dword v36, off, s[0:3], 0 offset:100
	s_waitcnt vmcnt(2)
	ds_write_b64 v33, v[34:35]
.LBB79_85:
	s_or_b64 exec, exec, s[4:5]
	s_waitcnt lgkmcnt(0)
	; wave barrier
	buffer_load_dword v41, off, s[0:3], 0 offset:108
	buffer_load_dword v42, off, s[0:3], 0 offset:116
	;; [unrolled: 1-line block ×8, first 2 shown]
	v_mov_b32_e32 v34, 0
	ds_read2_b64 v[35:38], v34 offset0:29 offset1:30
	ds_read_b64 v[39:40], v34 offset:248
	v_cmp_lt_u32_e32 vcc, 11, v0
	s_waitcnt vmcnt(7) lgkmcnt(1)
	v_mul_f32_e32 v49, v35, v41
	v_mul_f32_e32 v41, v36, v41
	s_waitcnt vmcnt(6)
	v_mul_f32_e32 v50, v37, v42
	v_mul_f32_e32 v42, v38, v42
	s_waitcnt vmcnt(4)
	v_fma_f32 v35, v35, v44, -v41
	s_waitcnt lgkmcnt(0)
	v_mul_f32_e32 v51, v39, v43
	v_mul_f32_e32 v43, v40, v43
	v_fmac_f32_e32 v49, v36, v44
	s_waitcnt vmcnt(3)
	v_fma_f32 v36, v37, v45, -v42
	v_add_f32_e32 v35, 0, v35
	v_fmac_f32_e32 v50, v38, v45
	s_waitcnt vmcnt(2)
	v_fma_f32 v37, v39, v46, -v43
	v_add_f32_e32 v38, 0, v49
	v_add_f32_e32 v35, v35, v36
	v_fmac_f32_e32 v51, v40, v46
	v_add_f32_e32 v38, v38, v50
	v_add_f32_e32 v35, v35, v37
	;; [unrolled: 1-line block ×3, first 2 shown]
	s_waitcnt vmcnt(1)
	v_sub_f32_e32 v35, v47, v35
	s_waitcnt vmcnt(0)
	v_sub_f32_e32 v36, v48, v36
	buffer_store_dword v35, off, s[0:3], 0 offset:96
	buffer_store_dword v36, off, s[0:3], 0 offset:100
	s_and_saveexec_b64 s[4:5], vcc
	s_cbranch_execz .LBB79_87
; %bb.86:
	buffer_load_dword v35, off, s[0:3], 0 offset:88
	buffer_load_dword v36, off, s[0:3], 0 offset:92
	s_waitcnt vmcnt(0)
	ds_write_b64 v33, v[35:36]
	buffer_store_dword v34, off, s[0:3], 0 offset:88
	buffer_store_dword v34, off, s[0:3], 0 offset:92
.LBB79_87:
	s_or_b64 exec, exec, s[4:5]
	s_waitcnt lgkmcnt(0)
	; wave barrier
	buffer_load_dword v43, off, s[0:3], 0 offset:100
	buffer_load_dword v44, off, s[0:3], 0 offset:108
	buffer_load_dword v45, off, s[0:3], 0 offset:116
	buffer_load_dword v46, off, s[0:3], 0 offset:124
	buffer_load_dword v47, off, s[0:3], 0 offset:96
	buffer_load_dword v48, off, s[0:3], 0 offset:104
	buffer_load_dword v49, off, s[0:3], 0 offset:112
	buffer_load_dword v50, off, s[0:3], 0 offset:120
	buffer_load_dword v51, off, s[0:3], 0 offset:88
	buffer_load_dword v52, off, s[0:3], 0 offset:92
	ds_read_b128 v[35:38], v34 offset:224
	ds_read_b128 v[39:42], v34 offset:240
	v_cmp_lt_u32_e32 vcc, 10, v0
	s_waitcnt vmcnt(9) lgkmcnt(1)
	v_mul_f32_e32 v34, v35, v43
	v_mul_f32_e32 v43, v36, v43
	s_waitcnt vmcnt(8)
	v_mul_f32_e32 v53, v37, v44
	v_mul_f32_e32 v44, v38, v44
	s_waitcnt vmcnt(5)
	v_fma_f32 v35, v35, v47, -v43
	s_waitcnt lgkmcnt(0)
	v_mul_f32_e32 v54, v39, v45
	v_mul_f32_e32 v45, v40, v45
	v_fmac_f32_e32 v34, v36, v47
	s_waitcnt vmcnt(4)
	v_fma_f32 v36, v37, v48, -v44
	v_add_f32_e32 v35, 0, v35
	v_mul_f32_e32 v55, v41, v46
	v_mul_f32_e32 v46, v42, v46
	v_fmac_f32_e32 v53, v38, v48
	s_waitcnt vmcnt(3)
	v_fma_f32 v37, v39, v49, -v45
	v_add_f32_e32 v34, 0, v34
	v_add_f32_e32 v35, v35, v36
	v_fmac_f32_e32 v54, v40, v49
	s_waitcnt vmcnt(2)
	v_fma_f32 v38, v41, v50, -v46
	v_add_f32_e32 v34, v34, v53
	v_add_f32_e32 v35, v35, v37
	v_fmac_f32_e32 v55, v42, v50
	v_add_f32_e32 v34, v34, v54
	v_add_f32_e32 v35, v35, v38
	;; [unrolled: 1-line block ×3, first 2 shown]
	s_waitcnt vmcnt(1)
	v_sub_f32_e32 v35, v51, v35
	s_waitcnt vmcnt(0)
	v_sub_f32_e32 v34, v52, v34
	buffer_store_dword v35, off, s[0:3], 0 offset:88
	buffer_store_dword v34, off, s[0:3], 0 offset:92
	s_and_saveexec_b64 s[4:5], vcc
	s_cbranch_execz .LBB79_89
; %bb.88:
	buffer_load_dword v34, off, s[0:3], 0 offset:80
	buffer_load_dword v35, off, s[0:3], 0 offset:84
	v_mov_b32_e32 v36, 0
	buffer_store_dword v36, off, s[0:3], 0 offset:80
	buffer_store_dword v36, off, s[0:3], 0 offset:84
	s_waitcnt vmcnt(2)
	ds_write_b64 v33, v[34:35]
.LBB79_89:
	s_or_b64 exec, exec, s[4:5]
	s_waitcnt lgkmcnt(0)
	; wave barrier
	buffer_load_dword v45, off, s[0:3], 0 offset:92
	buffer_load_dword v46, off, s[0:3], 0 offset:100
	buffer_load_dword v47, off, s[0:3], 0 offset:108
	buffer_load_dword v48, off, s[0:3], 0 offset:116
	buffer_load_dword v49, off, s[0:3], 0 offset:124
	buffer_load_dword v50, off, s[0:3], 0 offset:88
	buffer_load_dword v51, off, s[0:3], 0 offset:96
	buffer_load_dword v52, off, s[0:3], 0 offset:104
	buffer_load_dword v53, off, s[0:3], 0 offset:112
	buffer_load_dword v54, off, s[0:3], 0 offset:120
	buffer_load_dword v55, off, s[0:3], 0 offset:80
	buffer_load_dword v56, off, s[0:3], 0 offset:84
	v_mov_b32_e32 v34, 0
	ds_read2_b64 v[35:38], v34 offset0:27 offset1:28
	ds_read2_b64 v[39:42], v34 offset0:29 offset1:30
	ds_read_b64 v[43:44], v34 offset:248
	v_cmp_lt_u32_e32 vcc, 9, v0
	s_waitcnt vmcnt(11) lgkmcnt(2)
	v_mul_f32_e32 v57, v35, v45
	v_mul_f32_e32 v45, v36, v45
	s_waitcnt vmcnt(10)
	v_mul_f32_e32 v58, v37, v46
	v_mul_f32_e32 v46, v38, v46
	s_waitcnt vmcnt(9) lgkmcnt(1)
	v_mul_f32_e32 v59, v39, v47
	s_waitcnt vmcnt(6)
	v_fma_f32 v35, v35, v50, -v45
	v_mul_f32_e32 v47, v40, v47
	v_fmac_f32_e32 v57, v36, v50
	s_waitcnt vmcnt(5)
	v_fma_f32 v36, v37, v51, -v46
	v_add_f32_e32 v35, 0, v35
	v_mul_f32_e32 v60, v41, v48
	v_mul_f32_e32 v48, v42, v48
	v_fmac_f32_e32 v58, v38, v51
	s_waitcnt vmcnt(4)
	v_fmac_f32_e32 v59, v40, v52
	v_fma_f32 v37, v39, v52, -v47
	v_add_f32_e32 v40, 0, v57
	v_add_f32_e32 v35, v35, v36
	s_waitcnt lgkmcnt(0)
	v_mul_f32_e32 v61, v43, v49
	v_mul_f32_e32 v49, v44, v49
	s_waitcnt vmcnt(3)
	v_fma_f32 v38, v41, v53, -v48
	v_add_f32_e32 v40, v40, v58
	v_add_f32_e32 v35, v35, v37
	v_fmac_f32_e32 v60, v42, v53
	s_waitcnt vmcnt(2)
	v_fma_f32 v39, v43, v54, -v49
	v_add_f32_e32 v36, v40, v59
	v_add_f32_e32 v35, v35, v38
	v_fmac_f32_e32 v61, v44, v54
	v_add_f32_e32 v36, v36, v60
	v_add_f32_e32 v35, v35, v39
	;; [unrolled: 1-line block ×3, first 2 shown]
	s_waitcnt vmcnt(1)
	v_sub_f32_e32 v35, v55, v35
	s_waitcnt vmcnt(0)
	v_sub_f32_e32 v36, v56, v36
	buffer_store_dword v35, off, s[0:3], 0 offset:80
	buffer_store_dword v36, off, s[0:3], 0 offset:84
	s_and_saveexec_b64 s[4:5], vcc
	s_cbranch_execz .LBB79_91
; %bb.90:
	buffer_load_dword v35, off, s[0:3], 0 offset:72
	buffer_load_dword v36, off, s[0:3], 0 offset:76
	s_waitcnt vmcnt(0)
	ds_write_b64 v33, v[35:36]
	buffer_store_dword v34, off, s[0:3], 0 offset:72
	buffer_store_dword v34, off, s[0:3], 0 offset:76
.LBB79_91:
	s_or_b64 exec, exec, s[4:5]
	s_waitcnt lgkmcnt(0)
	; wave barrier
	ds_read_b128 v[35:38], v34 offset:208
	ds_read_b128 v[39:42], v34 offset:224
	;; [unrolled: 1-line block ×3, first 2 shown]
	buffer_load_dword v34, off, s[0:3], 0 offset:72
	buffer_load_dword v47, off, s[0:3], 0 offset:76
	;; [unrolled: 1-line block ×14, first 2 shown]
	v_cmp_lt_u32_e32 vcc, 8, v0
	s_waitcnt vmcnt(10) lgkmcnt(2)
	v_mul_f32_e32 v60, v35, v49
	v_fmac_f32_e32 v60, v36, v48
	v_mul_f32_e32 v36, v36, v49
	v_fma_f32 v35, v35, v48, -v36
	s_waitcnt vmcnt(8)
	v_mul_f32_e32 v36, v38, v51
	v_mul_f32_e32 v61, v37, v51
	v_add_f32_e32 v35, 0, v35
	v_fma_f32 v36, v37, v50, -v36
	v_add_f32_e32 v60, 0, v60
	v_fmac_f32_e32 v61, v38, v50
	v_add_f32_e32 v35, v35, v36
	s_waitcnt vmcnt(6) lgkmcnt(1)
	v_mul_f32_e32 v36, v40, v53
	v_add_f32_e32 v60, v60, v61
	v_mul_f32_e32 v61, v39, v53
	v_fma_f32 v36, v39, v52, -v36
	v_fmac_f32_e32 v61, v40, v52
	v_add_f32_e32 v35, v35, v36
	s_waitcnt vmcnt(4)
	v_mul_f32_e32 v36, v42, v55
	v_add_f32_e32 v60, v60, v61
	v_mul_f32_e32 v61, v41, v55
	v_fma_f32 v36, v41, v54, -v36
	v_fmac_f32_e32 v61, v42, v54
	v_add_f32_e32 v35, v35, v36
	s_waitcnt vmcnt(2) lgkmcnt(0)
	v_mul_f32_e32 v36, v44, v57
	v_add_f32_e32 v60, v60, v61
	v_mul_f32_e32 v61, v43, v57
	v_fma_f32 v36, v43, v56, -v36
	v_fmac_f32_e32 v61, v44, v56
	v_add_f32_e32 v35, v35, v36
	s_waitcnt vmcnt(0)
	v_mul_f32_e32 v36, v46, v59
	v_add_f32_e32 v60, v60, v61
	v_mul_f32_e32 v61, v45, v59
	v_fma_f32 v36, v45, v58, -v36
	v_fmac_f32_e32 v61, v46, v58
	v_add_f32_e32 v35, v35, v36
	v_add_f32_e32 v60, v60, v61
	v_sub_f32_e32 v34, v34, v35
	v_sub_f32_e32 v35, v47, v60
	buffer_store_dword v34, off, s[0:3], 0 offset:72
	buffer_store_dword v35, off, s[0:3], 0 offset:76
	s_and_saveexec_b64 s[4:5], vcc
	s_cbranch_execz .LBB79_93
; %bb.92:
	buffer_load_dword v34, off, s[0:3], 0 offset:64
	buffer_load_dword v35, off, s[0:3], 0 offset:68
	v_mov_b32_e32 v36, 0
	buffer_store_dword v36, off, s[0:3], 0 offset:64
	buffer_store_dword v36, off, s[0:3], 0 offset:68
	s_waitcnt vmcnt(2)
	ds_write_b64 v33, v[34:35]
.LBB79_93:
	s_or_b64 exec, exec, s[4:5]
	s_waitcnt lgkmcnt(0)
	; wave barrier
	buffer_load_dword v49, off, s[0:3], 0 offset:76
	buffer_load_dword v50, off, s[0:3], 0 offset:84
	;; [unrolled: 1-line block ×16, first 2 shown]
	v_mov_b32_e32 v34, 0
	ds_read2_b64 v[35:38], v34 offset0:25 offset1:26
	ds_read2_b64 v[39:42], v34 offset0:27 offset1:28
	;; [unrolled: 1-line block ×3, first 2 shown]
	ds_read_b64 v[47:48], v34 offset:248
	v_cmp_lt_u32_e32 vcc, 7, v0
	s_waitcnt vmcnt(15) lgkmcnt(3)
	v_mul_f32_e32 v65, v35, v49
	v_mul_f32_e32 v49, v36, v49
	s_waitcnt vmcnt(14)
	v_mul_f32_e32 v66, v37, v50
	v_mul_f32_e32 v50, v38, v50
	s_waitcnt vmcnt(13) lgkmcnt(2)
	v_mul_f32_e32 v67, v39, v51
	s_waitcnt vmcnt(12)
	v_mul_f32_e32 v68, v41, v52
	v_mul_f32_e32 v51, v40, v51
	s_waitcnt vmcnt(8)
	v_fma_f32 v35, v35, v56, -v49
	v_fmac_f32_e32 v65, v36, v56
	s_waitcnt vmcnt(7)
	v_fma_f32 v36, v37, v57, -v50
	v_add_f32_e32 v35, 0, v35
	v_mul_f32_e32 v52, v42, v52
	v_fmac_f32_e32 v66, v38, v57
	s_waitcnt vmcnt(5)
	v_fmac_f32_e32 v68, v42, v59
	v_fma_f32 v37, v39, v58, -v51
	v_add_f32_e32 v42, 0, v65
	v_add_f32_e32 v35, v35, v36
	s_waitcnt lgkmcnt(1)
	v_mul_f32_e32 v69, v43, v53
	v_mul_f32_e32 v53, v44, v53
	v_fmac_f32_e32 v67, v40, v58
	v_fma_f32 v38, v41, v59, -v52
	v_add_f32_e32 v42, v42, v66
	v_add_f32_e32 v35, v35, v37
	v_mul_f32_e32 v70, v45, v54
	v_mul_f32_e32 v54, v46, v54
	s_waitcnt vmcnt(4)
	v_fma_f32 v39, v43, v60, -v53
	v_add_f32_e32 v36, v42, v67
	v_add_f32_e32 v35, v35, v38
	s_waitcnt lgkmcnt(0)
	v_mul_f32_e32 v71, v47, v55
	v_mul_f32_e32 v55, v48, v55
	v_fmac_f32_e32 v69, v44, v60
	s_waitcnt vmcnt(3)
	v_fma_f32 v40, v45, v61, -v54
	v_add_f32_e32 v36, v36, v68
	v_add_f32_e32 v35, v35, v39
	v_fmac_f32_e32 v70, v46, v61
	s_waitcnt vmcnt(2)
	v_fma_f32 v41, v47, v62, -v55
	v_add_f32_e32 v36, v36, v69
	v_add_f32_e32 v35, v35, v40
	v_fmac_f32_e32 v71, v48, v62
	v_add_f32_e32 v36, v36, v70
	v_add_f32_e32 v35, v35, v41
	;; [unrolled: 1-line block ×3, first 2 shown]
	s_waitcnt vmcnt(1)
	v_sub_f32_e32 v35, v63, v35
	s_waitcnt vmcnt(0)
	v_sub_f32_e32 v36, v64, v36
	buffer_store_dword v35, off, s[0:3], 0 offset:64
	buffer_store_dword v36, off, s[0:3], 0 offset:68
	s_and_saveexec_b64 s[4:5], vcc
	s_cbranch_execz .LBB79_95
; %bb.94:
	buffer_load_dword v35, off, s[0:3], 0 offset:56
	buffer_load_dword v36, off, s[0:3], 0 offset:60
	s_waitcnt vmcnt(0)
	ds_write_b64 v33, v[35:36]
	buffer_store_dword v34, off, s[0:3], 0 offset:56
	buffer_store_dword v34, off, s[0:3], 0 offset:60
.LBB79_95:
	s_or_b64 exec, exec, s[4:5]
	s_waitcnt lgkmcnt(0)
	; wave barrier
	buffer_load_dword v51, off, s[0:3], 0 offset:68
	buffer_load_dword v52, off, s[0:3], 0 offset:76
	;; [unrolled: 1-line block ×18, first 2 shown]
	ds_read_b128 v[35:38], v34 offset:192
	ds_read_b128 v[39:42], v34 offset:208
	;; [unrolled: 1-line block ×4, first 2 shown]
	v_cmp_lt_u32_e32 vcc, 6, v0
	s_waitcnt vmcnt(17) lgkmcnt(3)
	v_mul_f32_e32 v34, v35, v51
	v_mul_f32_e32 v51, v36, v51
	s_waitcnt vmcnt(16)
	v_mul_f32_e32 v69, v37, v52
	v_mul_f32_e32 v52, v38, v52
	s_waitcnt vmcnt(15) lgkmcnt(2)
	v_mul_f32_e32 v70, v39, v53
	v_mul_f32_e32 v53, v40, v53
	s_waitcnt vmcnt(14)
	v_mul_f32_e32 v71, v41, v54
	v_mul_f32_e32 v54, v42, v54
	s_waitcnt vmcnt(9)
	v_fma_f32 v35, v35, v59, -v51
	v_fmac_f32_e32 v34, v36, v59
	s_waitcnt vmcnt(8)
	v_fma_f32 v36, v37, v60, -v52
	v_add_f32_e32 v35, 0, v35
	v_fmac_f32_e32 v69, v38, v60
	s_waitcnt vmcnt(7)
	v_fma_f32 v37, v39, v61, -v53
	v_add_f32_e32 v34, 0, v34
	v_add_f32_e32 v35, v35, v36
	s_waitcnt lgkmcnt(1)
	v_mul_f32_e32 v72, v43, v55
	v_mul_f32_e32 v55, v44, v55
	v_fmac_f32_e32 v70, v40, v61
	s_waitcnt vmcnt(6)
	v_fma_f32 v38, v41, v62, -v54
	v_add_f32_e32 v34, v34, v69
	v_add_f32_e32 v35, v35, v37
	v_mul_f32_e32 v73, v45, v56
	v_mul_f32_e32 v56, v46, v56
	v_fmac_f32_e32 v71, v42, v62
	s_waitcnt vmcnt(5)
	v_fma_f32 v39, v43, v63, -v55
	v_add_f32_e32 v34, v34, v70
	v_add_f32_e32 v35, v35, v38
	s_waitcnt lgkmcnt(0)
	v_mul_f32_e32 v74, v47, v57
	v_mul_f32_e32 v57, v48, v57
	v_fmac_f32_e32 v72, v44, v63
	s_waitcnt vmcnt(4)
	v_fma_f32 v40, v45, v64, -v56
	v_add_f32_e32 v34, v34, v71
	v_add_f32_e32 v35, v35, v39
	v_mul_f32_e32 v75, v49, v58
	v_mul_f32_e32 v58, v50, v58
	v_fmac_f32_e32 v73, v46, v64
	s_waitcnt vmcnt(3)
	v_fma_f32 v41, v47, v65, -v57
	v_add_f32_e32 v34, v34, v72
	v_add_f32_e32 v35, v35, v40
	v_fmac_f32_e32 v74, v48, v65
	s_waitcnt vmcnt(2)
	v_fma_f32 v42, v49, v66, -v58
	v_add_f32_e32 v34, v34, v73
	v_add_f32_e32 v35, v35, v41
	v_fmac_f32_e32 v75, v50, v66
	v_add_f32_e32 v34, v34, v74
	v_add_f32_e32 v35, v35, v42
	;; [unrolled: 1-line block ×3, first 2 shown]
	s_waitcnt vmcnt(1)
	v_sub_f32_e32 v35, v67, v35
	s_waitcnt vmcnt(0)
	v_sub_f32_e32 v34, v68, v34
	buffer_store_dword v35, off, s[0:3], 0 offset:56
	buffer_store_dword v34, off, s[0:3], 0 offset:60
	s_and_saveexec_b64 s[4:5], vcc
	s_cbranch_execz .LBB79_97
; %bb.96:
	buffer_load_dword v34, off, s[0:3], 0 offset:48
	buffer_load_dword v35, off, s[0:3], 0 offset:52
	v_mov_b32_e32 v36, 0
	buffer_store_dword v36, off, s[0:3], 0 offset:48
	buffer_store_dword v36, off, s[0:3], 0 offset:52
	s_waitcnt vmcnt(2)
	ds_write_b64 v33, v[34:35]
.LBB79_97:
	s_or_b64 exec, exec, s[4:5]
	s_waitcnt lgkmcnt(0)
	; wave barrier
	buffer_load_dword v53, off, s[0:3], 0 offset:60
	buffer_load_dword v54, off, s[0:3], 0 offset:68
	;; [unrolled: 1-line block ×20, first 2 shown]
	v_mov_b32_e32 v34, 0
	ds_read2_b64 v[35:38], v34 offset0:23 offset1:24
	ds_read2_b64 v[39:42], v34 offset0:25 offset1:26
	;; [unrolled: 1-line block ×4, first 2 shown]
	ds_read_b64 v[51:52], v34 offset:248
	v_cmp_lt_u32_e32 vcc, 5, v0
	s_waitcnt vmcnt(19) lgkmcnt(4)
	v_mul_f32_e32 v73, v35, v53
	v_mul_f32_e32 v53, v36, v53
	s_waitcnt vmcnt(18)
	v_mul_f32_e32 v74, v37, v54
	v_mul_f32_e32 v54, v38, v54
	s_waitcnt vmcnt(17) lgkmcnt(3)
	v_mul_f32_e32 v75, v39, v55
	s_waitcnt vmcnt(15) lgkmcnt(2)
	v_mul_f32_e32 v77, v43, v57
	v_mul_f32_e32 v55, v40, v55
	;; [unrolled: 1-line block ×4, first 2 shown]
	s_waitcnt vmcnt(10)
	v_fma_f32 v35, v35, v62, -v53
	v_fmac_f32_e32 v73, v36, v62
	s_waitcnt vmcnt(9)
	v_fma_f32 v36, v37, v63, -v54
	v_add_f32_e32 v35, 0, v35
	v_mul_f32_e32 v57, v44, v57
	v_fmac_f32_e32 v74, v38, v63
	s_waitcnt vmcnt(6)
	v_fmac_f32_e32 v77, v44, v66
	v_fma_f32 v37, v39, v64, -v55
	v_add_f32_e32 v44, 0, v73
	v_add_f32_e32 v35, v35, v36
	v_fmac_f32_e32 v75, v40, v64
	v_fma_f32 v38, v41, v65, -v56
	v_add_f32_e32 v44, v44, v74
	v_add_f32_e32 v35, v35, v37
	v_mul_f32_e32 v78, v45, v58
	v_mul_f32_e32 v58, v46, v58
	v_fmac_f32_e32 v76, v42, v65
	v_fma_f32 v39, v43, v66, -v57
	v_add_f32_e32 v36, v44, v75
	v_add_f32_e32 v35, v35, v38
	s_waitcnt lgkmcnt(1)
	v_mul_f32_e32 v79, v47, v59
	v_mul_f32_e32 v59, v48, v59
	s_waitcnt vmcnt(5)
	v_fma_f32 v40, v45, v67, -v58
	v_add_f32_e32 v36, v36, v76
	v_add_f32_e32 v35, v35, v39
	v_mul_f32_e32 v80, v49, v60
	v_mul_f32_e32 v60, v50, v60
	v_fmac_f32_e32 v78, v46, v67
	s_waitcnt vmcnt(4)
	v_fma_f32 v41, v47, v68, -v59
	v_add_f32_e32 v36, v36, v77
	v_add_f32_e32 v35, v35, v40
	s_waitcnt lgkmcnt(0)
	v_mul_f32_e32 v81, v51, v61
	v_mul_f32_e32 v61, v52, v61
	v_fmac_f32_e32 v79, v48, v68
	s_waitcnt vmcnt(3)
	v_fma_f32 v42, v49, v69, -v60
	v_add_f32_e32 v36, v36, v78
	v_add_f32_e32 v35, v35, v41
	v_fmac_f32_e32 v80, v50, v69
	s_waitcnt vmcnt(2)
	v_fma_f32 v43, v51, v70, -v61
	v_add_f32_e32 v36, v36, v79
	v_add_f32_e32 v35, v35, v42
	v_fmac_f32_e32 v81, v52, v70
	v_add_f32_e32 v36, v36, v80
	v_add_f32_e32 v35, v35, v43
	;; [unrolled: 1-line block ×3, first 2 shown]
	s_waitcnt vmcnt(1)
	v_sub_f32_e32 v35, v71, v35
	s_waitcnt vmcnt(0)
	v_sub_f32_e32 v36, v72, v36
	buffer_store_dword v35, off, s[0:3], 0 offset:48
	buffer_store_dword v36, off, s[0:3], 0 offset:52
	s_and_saveexec_b64 s[4:5], vcc
	s_cbranch_execz .LBB79_99
; %bb.98:
	buffer_load_dword v35, off, s[0:3], 0 offset:40
	buffer_load_dword v36, off, s[0:3], 0 offset:44
	s_waitcnt vmcnt(0)
	ds_write_b64 v33, v[35:36]
	buffer_store_dword v34, off, s[0:3], 0 offset:40
	buffer_store_dword v34, off, s[0:3], 0 offset:44
.LBB79_99:
	s_or_b64 exec, exec, s[4:5]
	s_waitcnt lgkmcnt(0)
	; wave barrier
	ds_read_b128 v[35:38], v34 offset:176
	ds_read_b128 v[39:42], v34 offset:192
	;; [unrolled: 1-line block ×4, first 2 shown]
	buffer_load_dword v55, off, s[0:3], 0 offset:40
	buffer_load_dword v56, off, s[0:3], 0 offset:44
	;; [unrolled: 1-line block ×18, first 2 shown]
	v_cmp_lt_u32_e32 vcc, 4, v0
	s_waitcnt vmcnt(14) lgkmcnt(3)
	v_mul_f32_e32 v51, v35, v58
	v_fmac_f32_e32 v51, v36, v57
	s_waitcnt vmcnt(12)
	v_mul_f32_e32 v52, v37, v60
	v_add_f32_e32 v51, 0, v51
	v_fmac_f32_e32 v52, v38, v59
	v_add_f32_e32 v51, v51, v52
	s_waitcnt vmcnt(10) lgkmcnt(2)
	v_mul_f32_e32 v52, v39, v62
	v_fmac_f32_e32 v52, v40, v61
	v_add_f32_e32 v51, v51, v52
	s_waitcnt vmcnt(8)
	v_mul_f32_e32 v52, v41, v64
	v_fmac_f32_e32 v52, v42, v63
	v_add_f32_e32 v51, v51, v52
	s_waitcnt vmcnt(6) lgkmcnt(1)
	v_mul_f32_e32 v52, v43, v66
	v_fmac_f32_e32 v52, v44, v65
	v_add_f32_e32 v51, v51, v52
	s_waitcnt vmcnt(4)
	v_mul_f32_e32 v52, v45, v68
	;; [unrolled: 8-line block ×3, first 2 shown]
	v_fmac_f32_e32 v52, v50, v71
	v_add_f32_e32 v73, v51, v52
	ds_read_b128 v[51:54], v34 offset:240
	buffer_load_dword v34, off, s[0:3], 0 offset:112
	buffer_load_dword v74, off, s[0:3], 0 offset:116
	v_mul_f32_e32 v36, v36, v58
	v_fma_f32 v35, v35, v57, -v36
	v_mul_f32_e32 v36, v38, v60
	v_add_f32_e32 v35, 0, v35
	v_fma_f32 v36, v37, v59, -v36
	v_add_f32_e32 v35, v35, v36
	v_mul_f32_e32 v36, v40, v62
	v_fma_f32 v36, v39, v61, -v36
	v_add_f32_e32 v35, v35, v36
	v_mul_f32_e32 v36, v42, v64
	v_fma_f32 v36, v41, v63, -v36
	v_add_f32_e32 v35, v35, v36
	v_mul_f32_e32 v36, v44, v66
	v_fma_f32 v36, v43, v65, -v36
	v_add_f32_e32 v35, v35, v36
	v_mul_f32_e32 v36, v46, v68
	v_fma_f32 v36, v45, v67, -v36
	v_add_f32_e32 v35, v35, v36
	v_mul_f32_e32 v36, v48, v70
	v_fma_f32 v36, v47, v69, -v36
	v_add_f32_e32 v35, v35, v36
	v_mul_f32_e32 v36, v50, v72
	v_fma_f32 v36, v49, v71, -v36
	v_add_f32_e32 v35, v35, v36
	s_waitcnt vmcnt(0) lgkmcnt(0)
	v_mul_f32_e32 v75, v51, v74
	v_fmac_f32_e32 v75, v52, v34
	v_add_f32_e32 v73, v73, v75
	buffer_load_dword v75, off, s[0:3], 0 offset:120
	buffer_load_dword v76, off, s[0:3], 0 offset:124
	v_mul_f32_e32 v36, v52, v74
	v_fma_f32 v34, v51, v34, -v36
	v_add_f32_e32 v34, v35, v34
	s_waitcnt vmcnt(0)
	v_mul_f32_e32 v35, v54, v76
	v_mul_f32_e32 v77, v53, v76
	v_fma_f32 v35, v53, v75, -v35
	v_fmac_f32_e32 v77, v54, v75
	v_add_f32_e32 v34, v34, v35
	v_add_f32_e32 v73, v73, v77
	v_sub_f32_e32 v34, v55, v34
	v_sub_f32_e32 v35, v56, v73
	buffer_store_dword v34, off, s[0:3], 0 offset:40
	buffer_store_dword v35, off, s[0:3], 0 offset:44
	s_and_saveexec_b64 s[4:5], vcc
	s_cbranch_execz .LBB79_101
; %bb.100:
	buffer_load_dword v34, off, s[0:3], 0 offset:32
	buffer_load_dword v35, off, s[0:3], 0 offset:36
	v_mov_b32_e32 v36, 0
	buffer_store_dword v36, off, s[0:3], 0 offset:32
	buffer_store_dword v36, off, s[0:3], 0 offset:36
	s_waitcnt vmcnt(2)
	ds_write_b64 v33, v[34:35]
.LBB79_101:
	s_or_b64 exec, exec, s[4:5]
	v_mov_b32_e32 v34, 0
	s_waitcnt lgkmcnt(0)
	; wave barrier
	ds_read2_b64 v[35:38], v34 offset0:21 offset1:22
	buffer_load_dword v57, off, s[0:3], 0 offset:32
	buffer_load_dword v58, off, s[0:3], 0 offset:36
	;; [unrolled: 1-line block ×16, first 2 shown]
	v_cmp_lt_u32_e32 vcc, 3, v0
	s_waitcnt vmcnt(12) lgkmcnt(0)
	v_mul_f32_e32 v39, v35, v60
	v_fmac_f32_e32 v39, v36, v59
	s_waitcnt vmcnt(10)
	v_mul_f32_e32 v40, v37, v62
	v_add_f32_e32 v39, 0, v39
	v_fmac_f32_e32 v40, v38, v61
	v_add_f32_e32 v43, v39, v40
	ds_read2_b64 v[39:42], v34 offset0:23 offset1:24
	v_mul_f32_e32 v36, v36, v60
	v_fma_f32 v35, v35, v59, -v36
	v_mul_f32_e32 v36, v38, v62
	v_add_f32_e32 v35, 0, v35
	s_waitcnt vmcnt(8) lgkmcnt(0)
	v_mul_f32_e32 v44, v39, v64
	v_fmac_f32_e32 v44, v40, v63
	v_add_f32_e32 v43, v43, v44
	s_waitcnt vmcnt(6)
	v_mul_f32_e32 v44, v41, v66
	v_fmac_f32_e32 v44, v42, v65
	v_add_f32_e32 v47, v43, v44
	ds_read2_b64 v[43:46], v34 offset0:25 offset1:26
	v_fma_f32 v36, v37, v61, -v36
	v_add_f32_e32 v35, v35, v36
	v_mul_f32_e32 v36, v40, v64
	v_fma_f32 v36, v39, v63, -v36
	s_waitcnt vmcnt(4) lgkmcnt(0)
	v_mul_f32_e32 v48, v43, v68
	v_fmac_f32_e32 v48, v44, v67
	v_add_f32_e32 v47, v47, v48
	s_waitcnt vmcnt(2)
	v_mul_f32_e32 v48, v45, v70
	v_fmac_f32_e32 v48, v46, v69
	v_add_f32_e32 v51, v47, v48
	ds_read2_b64 v[47:50], v34 offset0:27 offset1:28
	buffer_load_dword v73, off, s[0:3], 0 offset:96
	buffer_load_dword v74, off, s[0:3], 0 offset:100
	v_add_f32_e32 v35, v35, v36
	v_mul_f32_e32 v36, v42, v66
	v_fma_f32 v36, v41, v65, -v36
	s_waitcnt vmcnt(2) lgkmcnt(0)
	v_mul_f32_e32 v52, v47, v72
	v_fmac_f32_e32 v52, v48, v71
	v_add_f32_e32 v51, v51, v52
	v_add_f32_e32 v35, v35, v36
	v_mul_f32_e32 v36, v44, v68
	v_fma_f32 v36, v43, v67, -v36
	v_add_f32_e32 v35, v35, v36
	v_mul_f32_e32 v36, v46, v70
	v_fma_f32 v36, v45, v69, -v36
	;; [unrolled: 3-line block ×3, first 2 shown]
	v_add_f32_e32 v35, v35, v36
	s_waitcnt vmcnt(0)
	v_mul_f32_e32 v52, v49, v74
	v_fmac_f32_e32 v52, v50, v73
	v_add_f32_e32 v55, v51, v52
	ds_read2_b64 v[51:54], v34 offset0:29 offset1:30
	buffer_load_dword v75, off, s[0:3], 0 offset:104
	buffer_load_dword v76, off, s[0:3], 0 offset:108
	;; [unrolled: 1-line block ×4, first 2 shown]
	v_mul_f32_e32 v36, v50, v74
	v_fma_f32 v36, v49, v73, -v36
	v_add_f32_e32 v35, v35, v36
	s_waitcnt vmcnt(2) lgkmcnt(0)
	v_mul_f32_e32 v56, v51, v76
	v_fmac_f32_e32 v56, v52, v75
	v_add_f32_e32 v55, v55, v56
	s_waitcnt vmcnt(0)
	v_mul_f32_e32 v56, v53, v78
	v_fmac_f32_e32 v56, v54, v77
	v_add_f32_e32 v79, v55, v56
	ds_read_b64 v[55:56], v34 offset:248
	buffer_load_dword v80, off, s[0:3], 0 offset:120
	buffer_load_dword v81, off, s[0:3], 0 offset:124
	v_mul_f32_e32 v36, v52, v76
	v_fma_f32 v36, v51, v75, -v36
	v_add_f32_e32 v35, v35, v36
	v_mul_f32_e32 v36, v54, v78
	v_fma_f32 v36, v53, v77, -v36
	v_add_f32_e32 v35, v35, v36
	s_waitcnt vmcnt(0) lgkmcnt(0)
	v_mul_f32_e32 v36, v56, v81
	v_mul_f32_e32 v82, v55, v81
	v_fma_f32 v36, v55, v80, -v36
	v_fmac_f32_e32 v82, v56, v80
	v_add_f32_e32 v35, v35, v36
	v_add_f32_e32 v79, v79, v82
	v_sub_f32_e32 v35, v57, v35
	v_sub_f32_e32 v36, v58, v79
	buffer_store_dword v35, off, s[0:3], 0 offset:32
	buffer_store_dword v36, off, s[0:3], 0 offset:36
	s_and_saveexec_b64 s[4:5], vcc
	s_cbranch_execz .LBB79_103
; %bb.102:
	buffer_load_dword v35, off, s[0:3], 0 offset:24
	buffer_load_dword v36, off, s[0:3], 0 offset:28
	s_waitcnt vmcnt(0)
	ds_write_b64 v33, v[35:36]
	buffer_store_dword v34, off, s[0:3], 0 offset:24
	buffer_store_dword v34, off, s[0:3], 0 offset:28
.LBB79_103:
	s_or_b64 exec, exec, s[4:5]
	s_waitcnt lgkmcnt(0)
	; wave barrier
	buffer_load_dword v59, off, s[0:3], 0 offset:36
	buffer_load_dword v60, off, s[0:3], 0 offset:44
	;; [unrolled: 1-line block ×26, first 2 shown]
	ds_read_b128 v[35:38], v34 offset:160
	ds_read_b128 v[39:42], v34 offset:176
	;; [unrolled: 1-line block ×6, first 2 shown]
	v_cmp_lt_u32_e32 vcc, 2, v0
	s_waitcnt vmcnt(25) lgkmcnt(5)
	v_mul_f32_e32 v34, v35, v59
	v_mul_f32_e32 v59, v36, v59
	s_waitcnt vmcnt(24)
	v_mul_f32_e32 v85, v37, v60
	v_mul_f32_e32 v60, v38, v60
	s_waitcnt vmcnt(23) lgkmcnt(4)
	v_mul_f32_e32 v86, v39, v61
	v_mul_f32_e32 v61, v40, v61
	s_waitcnt vmcnt(22)
	v_mul_f32_e32 v87, v41, v62
	v_mul_f32_e32 v62, v42, v62
	;; [unrolled: 6-line block ×3, first 2 shown]
	s_waitcnt vmcnt(13)
	v_fma_f32 v35, v35, v71, -v59
	v_fmac_f32_e32 v34, v36, v71
	s_waitcnt vmcnt(12)
	v_fma_f32 v36, v37, v72, -v60
	v_add_f32_e32 v35, 0, v35
	s_waitcnt vmcnt(11)
	v_fma_f32 v37, v39, v73, -v61
	v_add_f32_e32 v35, v35, v36
	v_fmac_f32_e32 v85, v38, v72
	s_waitcnt vmcnt(10)
	v_fma_f32 v38, v41, v74, -v62
	v_add_f32_e32 v35, v35, v37
	s_waitcnt vmcnt(9)
	v_fma_f32 v39, v43, v75, -v63
	v_add_f32_e32 v35, v35, v38
	s_waitcnt lgkmcnt(2)
	v_mul_f32_e32 v90, v47, v65
	v_mul_f32_e32 v65, v48, v65
	v_fmac_f32_e32 v86, v40, v73
	s_waitcnt vmcnt(8)
	v_fma_f32 v40, v45, v76, -v64
	v_add_f32_e32 v34, 0, v34
	v_add_f32_e32 v35, v35, v39
	v_mul_f32_e32 v91, v49, v66
	v_mul_f32_e32 v66, v50, v66
	s_waitcnt vmcnt(7)
	v_fma_f32 v41, v47, v77, -v65
	v_add_f32_e32 v34, v34, v85
	v_add_f32_e32 v35, v35, v40
	v_fmac_f32_e32 v87, v42, v74
	s_waitcnt vmcnt(6)
	v_fma_f32 v42, v49, v78, -v66
	v_add_f32_e32 v34, v34, v86
	v_add_f32_e32 v35, v35, v41
	s_waitcnt lgkmcnt(1)
	v_mul_f32_e32 v36, v52, v67
	v_fmac_f32_e32 v88, v44, v75
	v_add_f32_e32 v34, v34, v87
	v_add_f32_e32 v35, v35, v42
	s_waitcnt vmcnt(5)
	v_fma_f32 v36, v51, v79, -v36
	v_fmac_f32_e32 v89, v46, v76
	v_add_f32_e32 v34, v34, v88
	v_add_f32_e32 v35, v35, v36
	v_mul_f32_e32 v36, v54, v68
	v_fmac_f32_e32 v90, v48, v77
	v_add_f32_e32 v34, v34, v89
	s_waitcnt vmcnt(4)
	v_fma_f32 v36, v53, v80, -v36
	v_mul_f32_e32 v92, v51, v67
	v_fmac_f32_e32 v91, v50, v78
	v_add_f32_e32 v34, v34, v90
	v_add_f32_e32 v35, v35, v36
	s_waitcnt lgkmcnt(0)
	v_mul_f32_e32 v36, v56, v69
	v_mul_f32_e32 v93, v53, v68
	v_fmac_f32_e32 v92, v52, v79
	v_add_f32_e32 v34, v34, v91
	s_waitcnt vmcnt(3)
	v_fma_f32 v36, v55, v81, -v36
	v_mul_f32_e32 v94, v55, v69
	v_fmac_f32_e32 v93, v54, v80
	v_add_f32_e32 v34, v34, v92
	v_add_f32_e32 v35, v35, v36
	v_mul_f32_e32 v36, v58, v70
	v_mul_f32_e32 v95, v57, v70
	v_fmac_f32_e32 v94, v56, v81
	v_add_f32_e32 v34, v34, v93
	s_waitcnt vmcnt(2)
	v_fma_f32 v36, v57, v82, -v36
	v_fmac_f32_e32 v95, v58, v82
	v_add_f32_e32 v34, v34, v94
	v_add_f32_e32 v35, v35, v36
	;; [unrolled: 1-line block ×3, first 2 shown]
	s_waitcnt vmcnt(1)
	v_sub_f32_e32 v35, v83, v35
	s_waitcnt vmcnt(0)
	v_sub_f32_e32 v34, v84, v34
	buffer_store_dword v35, off, s[0:3], 0 offset:24
	buffer_store_dword v34, off, s[0:3], 0 offset:28
	s_and_saveexec_b64 s[4:5], vcc
	s_cbranch_execz .LBB79_105
; %bb.104:
	buffer_load_dword v34, off, s[0:3], 0 offset:16
	buffer_load_dword v35, off, s[0:3], 0 offset:20
	v_mov_b32_e32 v36, 0
	buffer_store_dword v36, off, s[0:3], 0 offset:16
	buffer_store_dword v36, off, s[0:3], 0 offset:20
	s_waitcnt vmcnt(2)
	ds_write_b64 v33, v[34:35]
.LBB79_105:
	s_or_b64 exec, exec, s[4:5]
	s_waitcnt lgkmcnt(0)
	; wave barrier
	buffer_load_dword v61, off, s[0:3], 0 offset:28
	buffer_load_dword v62, off, s[0:3], 0 offset:36
	;; [unrolled: 1-line block ×28, first 2 shown]
	v_mov_b32_e32 v34, 0
	ds_read2_b64 v[35:38], v34 offset0:19 offset1:20
	ds_read2_b64 v[39:42], v34 offset0:21 offset1:22
	;; [unrolled: 1-line block ×6, first 2 shown]
	ds_read_b64 v[59:60], v34 offset:248
	v_cmp_lt_u32_e32 vcc, 1, v0
	s_waitcnt vmcnt(27) lgkmcnt(6)
	v_mul_f32_e32 v89, v35, v61
	v_mul_f32_e32 v61, v36, v61
	s_waitcnt vmcnt(26)
	v_mul_f32_e32 v90, v37, v62
	v_mul_f32_e32 v62, v38, v62
	s_waitcnt vmcnt(25) lgkmcnt(5)
	v_mul_f32_e32 v91, v39, v63
	v_mul_f32_e32 v63, v40, v63
	s_waitcnt vmcnt(24)
	v_mul_f32_e32 v92, v41, v64
	v_mul_f32_e32 v64, v42, v64
	;; [unrolled: 6-line block ×3, first 2 shown]
	s_waitcnt vmcnt(21) lgkmcnt(3)
	v_mul_f32_e32 v95, v47, v67
	s_waitcnt vmcnt(14)
	v_fma_f32 v35, v35, v74, -v61
	v_fmac_f32_e32 v89, v36, v74
	s_waitcnt vmcnt(13)
	v_fma_f32 v36, v37, v75, -v62
	v_add_f32_e32 v35, 0, v35
	s_waitcnt vmcnt(12)
	v_fma_f32 v37, v39, v76, -v63
	v_add_f32_e32 v35, v35, v36
	v_fmac_f32_e32 v90, v38, v75
	s_waitcnt vmcnt(11)
	v_fma_f32 v38, v41, v77, -v64
	v_add_f32_e32 v35, v35, v37
	s_waitcnt vmcnt(10)
	v_fma_f32 v39, v43, v78, -v65
	v_add_f32_e32 v35, v35, v38
	v_fmac_f32_e32 v91, v40, v76
	s_waitcnt vmcnt(9)
	v_fma_f32 v40, v45, v79, -v66
	v_add_f32_e32 v35, v35, v39
	v_mul_f32_e32 v37, v48, v67
	v_add_f32_e32 v35, v35, v40
	s_waitcnt vmcnt(8)
	v_fma_f32 v37, v47, v80, -v37
	v_add_f32_e32 v35, v35, v37
	v_mul_f32_e32 v37, v50, v68
	v_add_f32_e32 v41, 0, v89
	s_waitcnt vmcnt(7)
	v_fma_f32 v37, v49, v81, -v37
	v_add_f32_e32 v41, v41, v90
	v_add_f32_e32 v35, v35, v37
	s_waitcnt lgkmcnt(2)
	v_mul_f32_e32 v37, v52, v69
	v_fmac_f32_e32 v92, v42, v77
	v_add_f32_e32 v36, v41, v91
	s_waitcnt vmcnt(6)
	v_fma_f32 v37, v51, v82, -v37
	v_fmac_f32_e32 v93, v44, v78
	v_add_f32_e32 v36, v36, v92
	v_add_f32_e32 v35, v35, v37
	v_mul_f32_e32 v37, v54, v70
	v_fmac_f32_e32 v94, v46, v79
	v_add_f32_e32 v36, v36, v93
	s_waitcnt vmcnt(5)
	v_fma_f32 v37, v53, v83, -v37
	v_mul_f32_e32 v96, v49, v68
	v_fmac_f32_e32 v95, v48, v80
	v_add_f32_e32 v36, v36, v94
	v_add_f32_e32 v35, v35, v37
	s_waitcnt lgkmcnt(1)
	v_mul_f32_e32 v37, v56, v71
	v_mul_f32_e32 v97, v51, v69
	v_fmac_f32_e32 v96, v50, v81
	v_add_f32_e32 v36, v36, v95
	s_waitcnt vmcnt(4)
	v_fma_f32 v37, v55, v84, -v37
	v_mul_f32_e32 v98, v53, v70
	v_fmac_f32_e32 v97, v52, v82
	v_add_f32_e32 v36, v36, v96
	v_add_f32_e32 v35, v35, v37
	v_mul_f32_e32 v37, v58, v72
	v_mul_f32_e32 v99, v55, v71
	v_fmac_f32_e32 v98, v54, v83
	v_add_f32_e32 v36, v36, v97
	s_waitcnt vmcnt(3)
	v_fma_f32 v37, v57, v85, -v37
	v_mul_f32_e32 v100, v57, v72
	v_fmac_f32_e32 v99, v56, v84
	v_add_f32_e32 v36, v36, v98
	v_add_f32_e32 v35, v35, v37
	s_waitcnt lgkmcnt(0)
	v_mul_f32_e32 v37, v60, v73
	v_mul_f32_e32 v101, v59, v73
	v_fmac_f32_e32 v100, v58, v85
	v_add_f32_e32 v36, v36, v99
	s_waitcnt vmcnt(2)
	v_fma_f32 v37, v59, v86, -v37
	v_fmac_f32_e32 v101, v60, v86
	v_add_f32_e32 v36, v36, v100
	v_add_f32_e32 v35, v35, v37
	;; [unrolled: 1-line block ×3, first 2 shown]
	s_waitcnt vmcnt(1)
	v_sub_f32_e32 v35, v87, v35
	s_waitcnt vmcnt(0)
	v_sub_f32_e32 v36, v88, v36
	buffer_store_dword v35, off, s[0:3], 0 offset:16
	buffer_store_dword v36, off, s[0:3], 0 offset:20
	s_and_saveexec_b64 s[4:5], vcc
	s_cbranch_execz .LBB79_107
; %bb.106:
	buffer_load_dword v35, off, s[0:3], 0 offset:8
	buffer_load_dword v36, off, s[0:3], 0 offset:12
	s_waitcnt vmcnt(0)
	ds_write_b64 v33, v[35:36]
	buffer_store_dword v34, off, s[0:3], 0 offset:8
	buffer_store_dword v34, off, s[0:3], 0 offset:12
.LBB79_107:
	s_or_b64 exec, exec, s[4:5]
	s_waitcnt lgkmcnt(0)
	; wave barrier
	buffer_load_dword v63, off, s[0:3], 0 offset:20
	buffer_load_dword v64, off, s[0:3], 0 offset:28
	;; [unrolled: 1-line block ×30, first 2 shown]
	ds_read_b128 v[35:38], v34 offset:144
	ds_read_b128 v[39:42], v34 offset:160
	;; [unrolled: 1-line block ×7, first 2 shown]
	v_cmp_ne_u32_e32 vcc, 0, v0
	s_waitcnt vmcnt(29) lgkmcnt(6)
	v_mul_f32_e32 v34, v35, v63
	v_mul_f32_e32 v63, v36, v63
	s_waitcnt vmcnt(28)
	v_mul_f32_e32 v93, v37, v64
	v_mul_f32_e32 v64, v38, v64
	s_waitcnt vmcnt(27) lgkmcnt(5)
	v_mul_f32_e32 v94, v39, v65
	v_mul_f32_e32 v65, v40, v65
	s_waitcnt vmcnt(26)
	v_mul_f32_e32 v95, v41, v66
	v_mul_f32_e32 v66, v42, v66
	s_waitcnt vmcnt(25) lgkmcnt(4)
	v_mul_f32_e32 v96, v43, v67
	v_mul_f32_e32 v67, v44, v67
	s_waitcnt vmcnt(24)
	v_mul_f32_e32 v97, v45, v68
	s_waitcnt vmcnt(23) lgkmcnt(3)
	v_mul_f32_e32 v98, v47, v69
	s_waitcnt vmcnt(22)
	v_mul_f32_e32 v99, v49, v70
	s_waitcnt vmcnt(21) lgkmcnt(2)
	v_mul_f32_e32 v100, v51, v71
	s_waitcnt vmcnt(15)
	v_fma_f32 v35, v35, v77, -v63
	v_fmac_f32_e32 v34, v36, v77
	s_waitcnt vmcnt(14)
	v_fma_f32 v36, v37, v78, -v64
	v_add_f32_e32 v35, 0, v35
	s_waitcnt vmcnt(13)
	v_fma_f32 v37, v39, v79, -v65
	v_add_f32_e32 v35, v35, v36
	v_fmac_f32_e32 v93, v38, v78
	s_waitcnt vmcnt(12)
	v_fma_f32 v38, v41, v80, -v66
	v_add_f32_e32 v35, v35, v37
	s_waitcnt vmcnt(11)
	v_fma_f32 v39, v43, v81, -v67
	v_add_f32_e32 v35, v35, v38
	v_mul_f32_e32 v36, v46, v68
	v_add_f32_e32 v35, v35, v39
	s_waitcnt vmcnt(10)
	v_fma_f32 v36, v45, v82, -v36
	v_add_f32_e32 v35, v35, v36
	v_mul_f32_e32 v36, v48, v69
	s_waitcnt vmcnt(9)
	v_fma_f32 v36, v47, v83, -v36
	v_add_f32_e32 v35, v35, v36
	v_mul_f32_e32 v36, v50, v70
	s_waitcnt vmcnt(8)
	v_fma_f32 v36, v49, v84, -v36
	v_add_f32_e32 v34, 0, v34
	v_add_f32_e32 v35, v35, v36
	v_mul_f32_e32 v36, v52, v71
	v_fmac_f32_e32 v94, v40, v79
	v_add_f32_e32 v34, v34, v93
	s_waitcnt vmcnt(7)
	v_fma_f32 v36, v51, v85, -v36
	v_fmac_f32_e32 v95, v42, v80
	v_add_f32_e32 v34, v34, v94
	v_add_f32_e32 v35, v35, v36
	v_mul_f32_e32 v36, v54, v72
	v_fmac_f32_e32 v96, v44, v81
	v_add_f32_e32 v34, v34, v95
	s_waitcnt vmcnt(6)
	v_fma_f32 v36, v53, v86, -v36
	v_fmac_f32_e32 v97, v46, v82
	v_add_f32_e32 v34, v34, v96
	v_add_f32_e32 v35, v35, v36
	s_waitcnt lgkmcnt(1)
	v_mul_f32_e32 v36, v56, v73
	v_fmac_f32_e32 v98, v48, v83
	v_add_f32_e32 v34, v34, v97
	s_waitcnt vmcnt(5)
	v_fma_f32 v36, v55, v87, -v36
	v_fmac_f32_e32 v99, v50, v84
	v_add_f32_e32 v34, v34, v98
	v_add_f32_e32 v35, v35, v36
	v_mul_f32_e32 v36, v58, v74
	v_mul_f32_e32 v101, v53, v72
	v_fmac_f32_e32 v100, v52, v85
	v_add_f32_e32 v34, v34, v99
	s_waitcnt vmcnt(4)
	v_fma_f32 v36, v57, v88, -v36
	v_mul_f32_e32 v102, v55, v73
	v_fmac_f32_e32 v101, v54, v86
	v_add_f32_e32 v34, v34, v100
	v_add_f32_e32 v35, v35, v36
	s_waitcnt lgkmcnt(0)
	v_mul_f32_e32 v36, v60, v75
	v_mul_f32_e32 v103, v57, v74
	v_fmac_f32_e32 v102, v56, v87
	v_add_f32_e32 v34, v34, v101
	s_waitcnt vmcnt(3)
	v_fma_f32 v36, v59, v89, -v36
	v_mul_f32_e32 v104, v59, v75
	v_fmac_f32_e32 v103, v58, v88
	v_add_f32_e32 v34, v34, v102
	v_add_f32_e32 v35, v35, v36
	v_mul_f32_e32 v36, v62, v76
	v_mul_f32_e32 v105, v61, v76
	v_fmac_f32_e32 v104, v60, v89
	v_add_f32_e32 v34, v34, v103
	s_waitcnt vmcnt(2)
	v_fma_f32 v36, v61, v90, -v36
	v_fmac_f32_e32 v105, v62, v90
	v_add_f32_e32 v34, v34, v104
	v_add_f32_e32 v35, v35, v36
	;; [unrolled: 1-line block ×3, first 2 shown]
	s_waitcnt vmcnt(1)
	v_sub_f32_e32 v35, v91, v35
	s_waitcnt vmcnt(0)
	v_sub_f32_e32 v34, v92, v34
	buffer_store_dword v35, off, s[0:3], 0 offset:8
	buffer_store_dword v34, off, s[0:3], 0 offset:12
	s_and_saveexec_b64 s[4:5], vcc
	s_cbranch_execz .LBB79_109
; %bb.108:
	buffer_load_dword v34, off, s[0:3], 0
	buffer_load_dword v35, off, s[0:3], 0 offset:4
	v_mov_b32_e32 v0, 0
	buffer_store_dword v0, off, s[0:3], 0
	buffer_store_dword v0, off, s[0:3], 0 offset:4
	s_waitcnt vmcnt(2)
	ds_write_b64 v33, v[34:35]
.LBB79_109:
	s_or_b64 exec, exec, s[4:5]
	s_waitcnt lgkmcnt(0)
	; wave barrier
	buffer_load_dword v65, off, s[0:3], 0 offset:12
	buffer_load_dword v66, off, s[0:3], 0 offset:20
	;; [unrolled: 1-line block ×30, first 2 shown]
	buffer_load_dword v93, off, s[0:3], 0
	buffer_load_dword v94, off, s[0:3], 0 offset:4
	v_mov_b32_e32 v34, 0
	ds_read2_b64 v[35:38], v34 offset0:17 offset1:18
	ds_read2_b64 v[39:42], v34 offset0:19 offset1:20
	;; [unrolled: 1-line block ×7, first 2 shown]
	ds_read_b64 v[63:64], v34 offset:248
	s_and_b64 vcc, exec, s[14:15]
	s_waitcnt vmcnt(31) lgkmcnt(7)
	v_mul_f32_e32 v95, v35, v65
	v_mul_f32_e32 v65, v36, v65
	s_waitcnt vmcnt(30)
	v_mul_f32_e32 v96, v37, v66
	v_mul_f32_e32 v66, v38, v66
	s_waitcnt vmcnt(29) lgkmcnt(6)
	v_mul_f32_e32 v97, v39, v67
	v_mul_f32_e32 v67, v40, v67
	s_waitcnt vmcnt(28)
	v_mul_f32_e32 v98, v41, v68
	s_waitcnt vmcnt(27) lgkmcnt(5)
	v_mul_f32_e32 v99, v43, v69
	s_waitcnt vmcnt(26)
	v_mul_f32_e32 v100, v45, v70
	s_waitcnt vmcnt(25) lgkmcnt(4)
	;; [unrolled: 4-line block ×4, first 2 shown]
	v_mul_f32_e32 v105, v55, v75
	s_waitcnt vmcnt(20)
	v_mul_f32_e32 v106, v57, v76
	s_waitcnt vmcnt(16)
	v_fma_f32 v35, v35, v79, -v65
	v_fmac_f32_e32 v95, v36, v79
	s_waitcnt vmcnt(15)
	v_fma_f32 v36, v37, v80, -v66
	v_add_f32_e32 v35, 0, v35
	s_waitcnt vmcnt(14)
	v_fma_f32 v37, v39, v81, -v67
	v_add_f32_e32 v35, v35, v36
	v_add_f32_e32 v35, v35, v37
	v_mul_f32_e32 v37, v42, v68
	s_waitcnt vmcnt(13)
	v_fma_f32 v37, v41, v82, -v37
	v_add_f32_e32 v35, v35, v37
	v_mul_f32_e32 v37, v44, v69
	s_waitcnt vmcnt(12)
	v_fma_f32 v37, v43, v83, -v37
	;; [unrolled: 4-line block ×5, first 2 shown]
	v_add_f32_e32 v35, v35, v37
	v_mul_f32_e32 v37, v52, v73
	v_fmac_f32_e32 v96, v38, v80
	v_add_f32_e32 v38, 0, v95
	s_waitcnt vmcnt(8)
	v_fma_f32 v37, v51, v87, -v37
	v_fmac_f32_e32 v97, v40, v81
	v_add_f32_e32 v38, v38, v96
	v_add_f32_e32 v35, v35, v37
	v_mul_f32_e32 v37, v54, v74
	v_fmac_f32_e32 v98, v42, v82
	v_add_f32_e32 v36, v38, v97
	s_waitcnt vmcnt(7)
	v_fma_f32 v37, v53, v88, -v37
	v_fmac_f32_e32 v99, v44, v83
	v_add_f32_e32 v36, v36, v98
	;; [unrolled: 8-line block ×4, first 2 shown]
	v_add_f32_e32 v35, v35, v37
	s_waitcnt lgkmcnt(1)
	v_mul_f32_e32 v37, v60, v77
	v_fmac_f32_e32 v104, v54, v88
	v_add_f32_e32 v36, v36, v103
	s_waitcnt vmcnt(4)
	v_fma_f32 v37, v59, v91, -v37
	v_fmac_f32_e32 v105, v56, v89
	v_add_f32_e32 v36, v36, v104
	v_add_f32_e32 v35, v35, v37
	v_mul_f32_e32 v37, v62, v0
	v_mul_f32_e32 v107, v59, v77
	v_fmac_f32_e32 v106, v58, v90
	v_add_f32_e32 v36, v36, v105
	s_waitcnt vmcnt(2)
	v_fma_f32 v37, v61, v33, -v37
	v_mul_f32_e32 v108, v61, v0
	v_fmac_f32_e32 v107, v60, v91
	v_add_f32_e32 v36, v36, v106
	v_add_f32_e32 v35, v35, v37
	s_waitcnt lgkmcnt(0)
	v_mul_f32_e32 v37, v64, v78
	v_mul_f32_e32 v109, v63, v78
	v_fmac_f32_e32 v108, v62, v33
	v_add_f32_e32 v36, v36, v107
	v_fma_f32 v37, v63, v92, -v37
	v_fmac_f32_e32 v109, v64, v92
	v_add_f32_e32 v36, v36, v108
	v_add_f32_e32 v35, v35, v37
	;; [unrolled: 1-line block ×3, first 2 shown]
	s_waitcnt vmcnt(1)
	v_sub_f32_e32 v35, v93, v35
	s_waitcnt vmcnt(0)
	v_sub_f32_e32 v36, v94, v36
	buffer_store_dword v35, off, s[0:3], 0
	buffer_store_dword v36, off, s[0:3], 0 offset:4
	s_cbranch_vccz .LBB79_140
; %bb.110:
	global_load_dword v34, v34, s[12:13] offset:56
	s_waitcnt vmcnt(0)
	v_add_u32_e32 v34, -1, v34
	v_cmp_ne_u32_e32 vcc, 14, v34
	s_cbranch_vccz .LBB79_112
; %bb.111:
	v_lshlrev_b32_e32 v34, 3, v34
	buffer_load_dword v35, v34, s[0:3], 0 offen offset:4
	buffer_load_dword v36, v34, s[0:3], 0 offen
	s_waitcnt vmcnt(1)
	buffer_store_dword v35, off, s[0:3], 0 offset:116
	s_waitcnt vmcnt(1)
	buffer_store_dword v36, off, s[0:3], 0 offset:112
	buffer_store_dword v0, v34, s[0:3], 0 offen offset:4
	buffer_store_dword v33, v34, s[0:3], 0 offen
.LBB79_112:
	v_mov_b32_e32 v0, 0
	global_load_dword v33, v0, s[12:13] offset:52
	s_waitcnt vmcnt(0)
	v_add_u32_e32 v33, -1, v33
	v_cmp_eq_u32_e32 vcc, 13, v33
	s_cbranch_vccnz .LBB79_114
; %bb.113:
	v_lshlrev_b32_e32 v33, 3, v33
	buffer_load_dword v34, v33, s[0:3], 0 offen
	buffer_load_dword v35, v33, s[0:3], 0 offen offset:4
	buffer_load_dword v36, off, s[0:3], 0 offset:104
	buffer_load_dword v37, off, s[0:3], 0 offset:108
	s_waitcnt vmcnt(3)
	buffer_store_dword v34, off, s[0:3], 0 offset:104
	s_waitcnt vmcnt(3)
	buffer_store_dword v35, off, s[0:3], 0 offset:108
	s_waitcnt vmcnt(3)
	buffer_store_dword v36, v33, s[0:3], 0 offen
	s_waitcnt vmcnt(3)
	buffer_store_dword v37, v33, s[0:3], 0 offen offset:4
.LBB79_114:
	global_load_dword v0, v0, s[12:13] offset:48
	s_waitcnt vmcnt(0)
	v_add_u32_e32 v0, -1, v0
	v_cmp_eq_u32_e32 vcc, 12, v0
	s_cbranch_vccnz .LBB79_116
; %bb.115:
	v_lshlrev_b32_e32 v0, 3, v0
	buffer_load_dword v33, v0, s[0:3], 0 offen
	buffer_load_dword v34, v0, s[0:3], 0 offen offset:4
	buffer_load_dword v35, off, s[0:3], 0 offset:100
	buffer_load_dword v36, off, s[0:3], 0 offset:96
	s_waitcnt vmcnt(3)
	buffer_store_dword v33, off, s[0:3], 0 offset:96
	s_waitcnt vmcnt(3)
	buffer_store_dword v34, off, s[0:3], 0 offset:100
	s_waitcnt vmcnt(3)
	buffer_store_dword v35, v0, s[0:3], 0 offen offset:4
	s_waitcnt vmcnt(3)
	buffer_store_dword v36, v0, s[0:3], 0 offen
.LBB79_116:
	v_mov_b32_e32 v0, 0
	global_load_dword v33, v0, s[12:13] offset:44
	s_waitcnt vmcnt(0)
	v_add_u32_e32 v33, -1, v33
	v_cmp_eq_u32_e32 vcc, 11, v33
	s_cbranch_vccnz .LBB79_118
; %bb.117:
	v_lshlrev_b32_e32 v33, 3, v33
	buffer_load_dword v34, v33, s[0:3], 0 offen
	buffer_load_dword v35, v33, s[0:3], 0 offen offset:4
	buffer_load_dword v36, off, s[0:3], 0 offset:88
	buffer_load_dword v37, off, s[0:3], 0 offset:92
	s_waitcnt vmcnt(3)
	buffer_store_dword v34, off, s[0:3], 0 offset:88
	s_waitcnt vmcnt(3)
	buffer_store_dword v35, off, s[0:3], 0 offset:92
	s_waitcnt vmcnt(3)
	buffer_store_dword v36, v33, s[0:3], 0 offen
	s_waitcnt vmcnt(3)
	buffer_store_dword v37, v33, s[0:3], 0 offen offset:4
.LBB79_118:
	global_load_dword v0, v0, s[12:13] offset:40
	s_waitcnt vmcnt(0)
	v_add_u32_e32 v0, -1, v0
	v_cmp_eq_u32_e32 vcc, 10, v0
	s_cbranch_vccnz .LBB79_120
; %bb.119:
	v_lshlrev_b32_e32 v0, 3, v0
	buffer_load_dword v33, v0, s[0:3], 0 offen
	buffer_load_dword v34, v0, s[0:3], 0 offen offset:4
	buffer_load_dword v35, off, s[0:3], 0 offset:84
	buffer_load_dword v36, off, s[0:3], 0 offset:80
	s_waitcnt vmcnt(3)
	buffer_store_dword v33, off, s[0:3], 0 offset:80
	s_waitcnt vmcnt(3)
	buffer_store_dword v34, off, s[0:3], 0 offset:84
	s_waitcnt vmcnt(3)
	buffer_store_dword v35, v0, s[0:3], 0 offen offset:4
	s_waitcnt vmcnt(3)
	buffer_store_dword v36, v0, s[0:3], 0 offen
.LBB79_120:
	;; [unrolled: 41-line block ×6, first 2 shown]
	v_mov_b32_e32 v0, 0
	global_load_dword v33, v0, s[12:13] offset:4
	s_waitcnt vmcnt(0)
	v_add_u32_e32 v33, -1, v33
	v_cmp_eq_u32_e32 vcc, 1, v33
	s_cbranch_vccnz .LBB79_138
; %bb.137:
	v_lshlrev_b32_e32 v33, 3, v33
	buffer_load_dword v34, v33, s[0:3], 0 offen
	buffer_load_dword v35, v33, s[0:3], 0 offen offset:4
	buffer_load_dword v36, off, s[0:3], 0 offset:8
	buffer_load_dword v37, off, s[0:3], 0 offset:12
	s_waitcnt vmcnt(3)
	buffer_store_dword v34, off, s[0:3], 0 offset:8
	s_waitcnt vmcnt(3)
	buffer_store_dword v35, off, s[0:3], 0 offset:12
	s_waitcnt vmcnt(3)
	buffer_store_dword v36, v33, s[0:3], 0 offen
	s_waitcnt vmcnt(3)
	buffer_store_dword v37, v33, s[0:3], 0 offen offset:4
.LBB79_138:
	global_load_dword v0, v0, s[12:13]
	s_waitcnt vmcnt(0)
	v_add_u32_e32 v0, -1, v0
	v_cmp_eq_u32_e32 vcc, 0, v0
	s_cbranch_vccnz .LBB79_140
; %bb.139:
	v_lshlrev_b32_e32 v0, 3, v0
	buffer_load_dword v33, v0, s[0:3], 0 offen
	buffer_load_dword v34, v0, s[0:3], 0 offen offset:4
	buffer_load_dword v35, off, s[0:3], 0 offset:4
	buffer_load_dword v36, off, s[0:3], 0
	s_waitcnt vmcnt(3)
	buffer_store_dword v33, off, s[0:3], 0
	s_waitcnt vmcnt(3)
	buffer_store_dword v34, off, s[0:3], 0 offset:4
	s_waitcnt vmcnt(3)
	buffer_store_dword v35, v0, s[0:3], 0 offen offset:4
	s_waitcnt vmcnt(3)
	buffer_store_dword v36, v0, s[0:3], 0 offen
.LBB79_140:
	buffer_load_dword v33, off, s[0:3], 0
	buffer_load_dword v34, off, s[0:3], 0 offset:4
	s_waitcnt vmcnt(0)
	flat_store_dwordx2 v[1:2], v[33:34]
	buffer_load_dword v0, off, s[0:3], 0 offset:8
	s_nop 0
	buffer_load_dword v1, off, s[0:3], 0 offset:12
	s_waitcnt vmcnt(0)
	flat_store_dwordx2 v[3:4], v[0:1]
	buffer_load_dword v0, off, s[0:3], 0 offset:16
	s_nop 0
	;; [unrolled: 5-line block ×15, first 2 shown]
	buffer_load_dword v1, off, s[0:3], 0 offset:124
	s_waitcnt vmcnt(0)
	flat_store_dwordx2 v[31:32], v[0:1]
	s_endpgm
	.section	.rodata,"a",@progbits
	.p2align	6, 0x0
	.amdhsa_kernel _ZN9rocsolver6v33100L18getri_kernel_smallILi16E19rocblas_complex_numIfEPKPS3_EEvT1_iilPiilS8_bb
		.amdhsa_group_segment_fixed_size 260
		.amdhsa_private_segment_fixed_size 144
		.amdhsa_kernarg_size 60
		.amdhsa_user_sgpr_count 6
		.amdhsa_user_sgpr_private_segment_buffer 1
		.amdhsa_user_sgpr_dispatch_ptr 0
		.amdhsa_user_sgpr_queue_ptr 0
		.amdhsa_user_sgpr_kernarg_segment_ptr 1
		.amdhsa_user_sgpr_dispatch_id 0
		.amdhsa_user_sgpr_flat_scratch_init 0
		.amdhsa_user_sgpr_private_segment_size 0
		.amdhsa_uses_dynamic_stack 0
		.amdhsa_system_sgpr_private_segment_wavefront_offset 1
		.amdhsa_system_sgpr_workgroup_id_x 1
		.amdhsa_system_sgpr_workgroup_id_y 0
		.amdhsa_system_sgpr_workgroup_id_z 0
		.amdhsa_system_sgpr_workgroup_info 0
		.amdhsa_system_vgpr_workitem_id 0
		.amdhsa_next_free_vgpr 110
		.amdhsa_next_free_sgpr 21
		.amdhsa_reserve_vcc 1
		.amdhsa_reserve_flat_scratch 0
		.amdhsa_float_round_mode_32 0
		.amdhsa_float_round_mode_16_64 0
		.amdhsa_float_denorm_mode_32 3
		.amdhsa_float_denorm_mode_16_64 3
		.amdhsa_dx10_clamp 1
		.amdhsa_ieee_mode 1
		.amdhsa_fp16_overflow 0
		.amdhsa_exception_fp_ieee_invalid_op 0
		.amdhsa_exception_fp_denorm_src 0
		.amdhsa_exception_fp_ieee_div_zero 0
		.amdhsa_exception_fp_ieee_overflow 0
		.amdhsa_exception_fp_ieee_underflow 0
		.amdhsa_exception_fp_ieee_inexact 0
		.amdhsa_exception_int_div_zero 0
	.end_amdhsa_kernel
	.section	.text._ZN9rocsolver6v33100L18getri_kernel_smallILi16E19rocblas_complex_numIfEPKPS3_EEvT1_iilPiilS8_bb,"axG",@progbits,_ZN9rocsolver6v33100L18getri_kernel_smallILi16E19rocblas_complex_numIfEPKPS3_EEvT1_iilPiilS8_bb,comdat
.Lfunc_end79:
	.size	_ZN9rocsolver6v33100L18getri_kernel_smallILi16E19rocblas_complex_numIfEPKPS3_EEvT1_iilPiilS8_bb, .Lfunc_end79-_ZN9rocsolver6v33100L18getri_kernel_smallILi16E19rocblas_complex_numIfEPKPS3_EEvT1_iilPiilS8_bb
                                        ; -- End function
	.set _ZN9rocsolver6v33100L18getri_kernel_smallILi16E19rocblas_complex_numIfEPKPS3_EEvT1_iilPiilS8_bb.num_vgpr, 110
	.set _ZN9rocsolver6v33100L18getri_kernel_smallILi16E19rocblas_complex_numIfEPKPS3_EEvT1_iilPiilS8_bb.num_agpr, 0
	.set _ZN9rocsolver6v33100L18getri_kernel_smallILi16E19rocblas_complex_numIfEPKPS3_EEvT1_iilPiilS8_bb.numbered_sgpr, 21
	.set _ZN9rocsolver6v33100L18getri_kernel_smallILi16E19rocblas_complex_numIfEPKPS3_EEvT1_iilPiilS8_bb.num_named_barrier, 0
	.set _ZN9rocsolver6v33100L18getri_kernel_smallILi16E19rocblas_complex_numIfEPKPS3_EEvT1_iilPiilS8_bb.private_seg_size, 144
	.set _ZN9rocsolver6v33100L18getri_kernel_smallILi16E19rocblas_complex_numIfEPKPS3_EEvT1_iilPiilS8_bb.uses_vcc, 1
	.set _ZN9rocsolver6v33100L18getri_kernel_smallILi16E19rocblas_complex_numIfEPKPS3_EEvT1_iilPiilS8_bb.uses_flat_scratch, 0
	.set _ZN9rocsolver6v33100L18getri_kernel_smallILi16E19rocblas_complex_numIfEPKPS3_EEvT1_iilPiilS8_bb.has_dyn_sized_stack, 0
	.set _ZN9rocsolver6v33100L18getri_kernel_smallILi16E19rocblas_complex_numIfEPKPS3_EEvT1_iilPiilS8_bb.has_recursion, 0
	.set _ZN9rocsolver6v33100L18getri_kernel_smallILi16E19rocblas_complex_numIfEPKPS3_EEvT1_iilPiilS8_bb.has_indirect_call, 0
	.section	.AMDGPU.csdata,"",@progbits
; Kernel info:
; codeLenInByte = 15520
; TotalNumSgprs: 25
; NumVgprs: 110
; ScratchSize: 144
; MemoryBound: 0
; FloatMode: 240
; IeeeMode: 1
; LDSByteSize: 260 bytes/workgroup (compile time only)
; SGPRBlocks: 3
; VGPRBlocks: 27
; NumSGPRsForWavesPerEU: 25
; NumVGPRsForWavesPerEU: 110
; Occupancy: 2
; WaveLimiterHint : 1
; COMPUTE_PGM_RSRC2:SCRATCH_EN: 1
; COMPUTE_PGM_RSRC2:USER_SGPR: 6
; COMPUTE_PGM_RSRC2:TRAP_HANDLER: 0
; COMPUTE_PGM_RSRC2:TGID_X_EN: 1
; COMPUTE_PGM_RSRC2:TGID_Y_EN: 0
; COMPUTE_PGM_RSRC2:TGID_Z_EN: 0
; COMPUTE_PGM_RSRC2:TIDIG_COMP_CNT: 0
	.section	.text._ZN9rocsolver6v33100L18getri_kernel_smallILi17E19rocblas_complex_numIfEPKPS3_EEvT1_iilPiilS8_bb,"axG",@progbits,_ZN9rocsolver6v33100L18getri_kernel_smallILi17E19rocblas_complex_numIfEPKPS3_EEvT1_iilPiilS8_bb,comdat
	.globl	_ZN9rocsolver6v33100L18getri_kernel_smallILi17E19rocblas_complex_numIfEPKPS3_EEvT1_iilPiilS8_bb ; -- Begin function _ZN9rocsolver6v33100L18getri_kernel_smallILi17E19rocblas_complex_numIfEPKPS3_EEvT1_iilPiilS8_bb
	.p2align	8
	.type	_ZN9rocsolver6v33100L18getri_kernel_smallILi17E19rocblas_complex_numIfEPKPS3_EEvT1_iilPiilS8_bb,@function
_ZN9rocsolver6v33100L18getri_kernel_smallILi17E19rocblas_complex_numIfEPKPS3_EEvT1_iilPiilS8_bb: ; @_ZN9rocsolver6v33100L18getri_kernel_smallILi17E19rocblas_complex_numIfEPKPS3_EEvT1_iilPiilS8_bb
; %bb.0:
	s_add_u32 s0, s0, s7
	s_addc_u32 s1, s1, 0
	v_cmp_gt_u32_e32 vcc, 17, v0
	s_and_saveexec_b64 s[8:9], vcc
	s_cbranch_execz .LBB80_82
; %bb.1:
	s_load_dword s18, s[4:5], 0x38
	s_load_dwordx2 s[12:13], s[4:5], 0x0
	s_load_dwordx4 s[8:11], s[4:5], 0x28
	s_waitcnt lgkmcnt(0)
	s_bitcmp1_b32 s18, 8
	s_cselect_b64 s[14:15], -1, 0
	s_ashr_i32 s7, s6, 31
	s_lshl_b64 s[16:17], s[6:7], 3
	s_add_u32 s12, s12, s16
	s_addc_u32 s13, s13, s17
	s_load_dwordx2 s[16:17], s[12:13], 0x0
	s_bfe_u32 s12, s18, 0x10008
	s_cmp_eq_u32 s12, 0
                                        ; implicit-def: $sgpr12_sgpr13
	s_cbranch_scc1 .LBB80_3
; %bb.2:
	s_load_dword s12, s[4:5], 0x20
	s_load_dwordx2 s[18:19], s[4:5], 0x18
	s_mul_i32 s13, s8, s7
	s_mul_hi_u32 s20, s8, s6
	s_add_i32 s20, s20, s13
	s_mul_i32 s9, s9, s6
	s_add_i32 s9, s20, s9
	s_mul_i32 s8, s8, s6
	s_waitcnt lgkmcnt(0)
	s_ashr_i32 s13, s12, 31
	s_lshl_b64 s[8:9], s[8:9], 2
	s_add_u32 s18, s18, s8
	s_addc_u32 s19, s19, s9
	s_lshl_b64 s[8:9], s[12:13], 2
	s_add_u32 s12, s18, s8
	s_addc_u32 s13, s19, s9
.LBB80_3:
	s_load_dwordx2 s[8:9], s[4:5], 0x8
	s_load_dword s18, s[4:5], 0x38
	v_lshlrev_b32_e32 v37, 3, v0
	s_waitcnt lgkmcnt(0)
	s_ashr_i32 s5, s8, 31
	s_mov_b32 s4, s8
	s_lshl_b64 s[4:5], s[4:5], 3
	s_add_u32 s8, s16, s4
	s_addc_u32 s16, s17, s5
	v_mov_b32_e32 v2, s16
	v_add_co_u32_e32 v1, vcc, s8, v37
	v_addc_co_u32_e32 v2, vcc, 0, v2, vcc
	flat_load_dwordx2 v[5:6], v[1:2]
	s_mov_b32 s4, s9
	s_ashr_i32 s5, s9, 31
	s_lshl_b64 s[4:5], s[4:5], 3
	v_mov_b32_e32 v4, s5
	v_add_co_u32_e32 v3, vcc, s4, v1
	v_addc_co_u32_e32 v4, vcc, v2, v4, vcc
	s_add_i32 s4, s9, s9
	v_add_u32_e32 v9, s4, v0
	v_ashrrev_i32_e32 v10, 31, v9
	v_mov_b32_e32 v11, s16
	v_add_u32_e32 v12, s9, v9
	v_ashrrev_i32_e32 v13, 31, v12
	v_mov_b32_e32 v14, s16
	v_mov_b32_e32 v15, s16
	;; [unrolled: 1-line block ×13, first 2 shown]
	s_bitcmp0_b32 s18, 0
	s_waitcnt vmcnt(0) lgkmcnt(0)
	buffer_store_dword v6, off, s[0:3], 0 offset:4
	buffer_store_dword v5, off, s[0:3], 0
	flat_load_dwordx2 v[7:8], v[3:4]
	v_lshlrev_b64 v[5:6], 3, v[9:10]
	s_waitcnt vmcnt(0) lgkmcnt(0)
	buffer_store_dword v8, off, s[0:3], 0 offset:12
	buffer_store_dword v7, off, s[0:3], 0 offset:8
	v_add_co_u32_e32 v5, vcc, s8, v5
	v_addc_co_u32_e32 v6, vcc, v11, v6, vcc
	flat_load_dwordx2 v[10:11], v[5:6]
	v_lshlrev_b64 v[7:8], 3, v[12:13]
	s_waitcnt vmcnt(0) lgkmcnt(0)
	buffer_store_dword v11, off, s[0:3], 0 offset:20
	buffer_store_dword v10, off, s[0:3], 0 offset:16
	v_add_co_u32_e32 v7, vcc, s8, v7
	v_addc_co_u32_e32 v8, vcc, v14, v8, vcc
	flat_load_dwordx2 v[13:14], v[7:8]
	v_add_u32_e32 v11, s9, v12
	v_ashrrev_i32_e32 v12, 31, v11
	v_lshlrev_b64 v[9:10], 3, v[11:12]
	s_waitcnt vmcnt(0) lgkmcnt(0)
	buffer_store_dword v14, off, s[0:3], 0 offset:28
	buffer_store_dword v13, off, s[0:3], 0 offset:24
	v_add_co_u32_e32 v9, vcc, s8, v9
	v_addc_co_u32_e32 v10, vcc, v15, v10, vcc
	flat_load_dwordx2 v[13:14], v[9:10]
	v_add_u32_e32 v15, s9, v11
	v_ashrrev_i32_e32 v16, 31, v15
	v_lshlrev_b64 v[11:12], 3, v[15:16]
	v_add_u32_e32 v18, s9, v15
	v_add_co_u32_e32 v11, vcc, s8, v11
	v_addc_co_u32_e32 v12, vcc, v17, v12, vcc
	v_ashrrev_i32_e32 v19, 31, v18
	s_waitcnt vmcnt(0) lgkmcnt(0)
	buffer_store_dword v14, off, s[0:3], 0 offset:36
	buffer_store_dword v13, off, s[0:3], 0 offset:32
	flat_load_dwordx2 v[16:17], v[11:12]
	v_lshlrev_b64 v[13:14], 3, v[18:19]
	s_waitcnt vmcnt(0) lgkmcnt(0)
	buffer_store_dword v17, off, s[0:3], 0 offset:44
	buffer_store_dword v16, off, s[0:3], 0 offset:40
	v_add_co_u32_e32 v13, vcc, s8, v13
	v_addc_co_u32_e32 v14, vcc, v20, v14, vcc
	flat_load_dwordx2 v[19:20], v[13:14]
	v_add_u32_e32 v17, s9, v18
	v_ashrrev_i32_e32 v18, 31, v17
	v_lshlrev_b64 v[15:16], 3, v[17:18]
	s_waitcnt vmcnt(0) lgkmcnt(0)
	buffer_store_dword v20, off, s[0:3], 0 offset:52
	buffer_store_dword v19, off, s[0:3], 0 offset:48
	v_add_co_u32_e32 v15, vcc, s8, v15
	v_addc_co_u32_e32 v16, vcc, v21, v16, vcc
	flat_load_dwordx2 v[19:20], v[15:16]
	v_add_u32_e32 v21, s9, v17
	v_ashrrev_i32_e32 v22, 31, v21
	v_lshlrev_b64 v[17:18], 3, v[21:22]
	v_add_u32_e32 v24, s9, v21
	v_add_co_u32_e32 v17, vcc, s8, v17
	v_addc_co_u32_e32 v18, vcc, v23, v18, vcc
	v_ashrrev_i32_e32 v25, 31, v24
	s_waitcnt vmcnt(0) lgkmcnt(0)
	buffer_store_dword v20, off, s[0:3], 0 offset:60
	buffer_store_dword v19, off, s[0:3], 0 offset:56
	;; [unrolled: 27-line block ×3, first 2 shown]
	flat_load_dwordx2 v[28:29], v[23:24]
	v_lshlrev_b64 v[25:26], 3, v[30:31]
	s_waitcnt vmcnt(0) lgkmcnt(0)
	buffer_store_dword v29, off, s[0:3], 0 offset:92
	buffer_store_dword v28, off, s[0:3], 0 offset:88
	v_add_co_u32_e32 v25, vcc, s8, v25
	v_addc_co_u32_e32 v26, vcc, v32, v26, vcc
	flat_load_dwordx2 v[31:32], v[25:26]
	v_add_u32_e32 v29, s9, v30
	v_ashrrev_i32_e32 v30, 31, v29
	v_lshlrev_b64 v[27:28], 3, v[29:30]
	s_waitcnt vmcnt(0) lgkmcnt(0)
	buffer_store_dword v32, off, s[0:3], 0 offset:100
	buffer_store_dword v31, off, s[0:3], 0 offset:96
	v_add_co_u32_e32 v27, vcc, s8, v27
	v_addc_co_u32_e32 v28, vcc, v33, v28, vcc
	flat_load_dwordx2 v[31:32], v[27:28]
	v_add_u32_e32 v33, s9, v29
	v_ashrrev_i32_e32 v34, 31, v33
	v_lshlrev_b64 v[29:30], 3, v[33:34]
	v_add_u32_e32 v38, s9, v33
	v_add_co_u32_e32 v29, vcc, s8, v29
	v_addc_co_u32_e32 v30, vcc, v35, v30, vcc
	v_ashrrev_i32_e32 v39, 31, v38
	v_add_u32_e32 v33, s9, v38
	s_waitcnt vmcnt(0) lgkmcnt(0)
	buffer_store_dword v32, off, s[0:3], 0 offset:108
	buffer_store_dword v31, off, s[0:3], 0 offset:104
	flat_load_dwordx2 v[34:35], v[29:30]
	v_lshlrev_b64 v[31:32], 3, v[38:39]
	v_mov_b32_e32 v39, s16
	v_add_co_u32_e32 v31, vcc, s8, v31
	v_addc_co_u32_e32 v32, vcc, v36, v32, vcc
	s_waitcnt vmcnt(0) lgkmcnt(0)
	buffer_store_dword v35, off, s[0:3], 0 offset:116
	buffer_store_dword v34, off, s[0:3], 0 offset:112
	flat_load_dwordx2 v[35:36], v[31:32]
	v_ashrrev_i32_e32 v34, 31, v33
	v_lshlrev_b64 v[33:34], 3, v[33:34]
	s_waitcnt vmcnt(0) lgkmcnt(0)
	buffer_store_dword v36, off, s[0:3], 0 offset:124
	buffer_store_dword v35, off, s[0:3], 0 offset:120
	v_add_co_u32_e32 v33, vcc, s8, v33
	v_addc_co_u32_e32 v34, vcc, v39, v34, vcc
	flat_load_dwordx2 v[35:36], v[33:34]
	s_mov_b64 s[8:9], -1
	s_waitcnt vmcnt(0) lgkmcnt(0)
	buffer_store_dword v36, off, s[0:3], 0 offset:132
	buffer_store_dword v35, off, s[0:3], 0 offset:128
	s_cbranch_scc1 .LBB80_80
; %bb.4:
	v_cmp_eq_u32_e64 s[4:5], 0, v0
	s_and_saveexec_b64 s[8:9], s[4:5]
; %bb.5:
	v_mov_b32_e32 v35, 0
	ds_write_b32 v35, v35 offset:136
; %bb.6:
	s_or_b64 exec, exec, s[8:9]
	v_mov_b32_e32 v35, 0
	v_lshl_add_u32 v39, v0, 3, v35
	s_waitcnt lgkmcnt(0)
	; wave barrier
	buffer_load_dword v35, v39, s[0:3], 0 offen
	buffer_load_dword v36, v39, s[0:3], 0 offen offset:4
	s_waitcnt vmcnt(1)
	v_cmp_eq_f32_e32 vcc, 0, v35
	s_waitcnt vmcnt(0)
	v_cmp_eq_f32_e64 s[8:9], 0, v36
	s_and_b64 s[8:9], vcc, s[8:9]
	s_and_saveexec_b64 s[16:17], s[8:9]
	s_cbranch_execz .LBB80_10
; %bb.7:
	v_mov_b32_e32 v35, 0
	ds_read_b32 v38, v35 offset:136
	v_add_u32_e32 v36, 1, v0
	s_waitcnt lgkmcnt(0)
	v_readfirstlane_b32 s8, v38
	s_cmp_eq_u32 s8, 0
	s_cselect_b64 s[18:19], -1, 0
	v_cmp_gt_i32_e32 vcc, s8, v36
	s_or_b64 s[18:19], s[18:19], vcc
	s_and_b64 exec, exec, s[18:19]
	s_cbranch_execz .LBB80_10
; %bb.8:
	s_mov_b64 s[18:19], 0
	v_mov_b32_e32 v38, s8
.LBB80_9:                               ; =>This Inner Loop Header: Depth=1
	ds_cmpst_rtn_b32 v38, v35, v38, v36 offset:136
	s_waitcnt lgkmcnt(0)
	v_cmp_ne_u32_e32 vcc, 0, v38
	v_cmp_le_i32_e64 s[8:9], v38, v36
	s_and_b64 s[8:9], vcc, s[8:9]
	s_and_b64 s[8:9], exec, s[8:9]
	s_or_b64 s[18:19], s[8:9], s[18:19]
	s_andn2_b64 exec, exec, s[18:19]
	s_cbranch_execnz .LBB80_9
.LBB80_10:
	s_or_b64 exec, exec, s[16:17]
	v_mov_b32_e32 v36, 0
	; wave barrier
	ds_read_b32 v35, v36 offset:136
	s_and_saveexec_b64 s[8:9], s[4:5]
	s_cbranch_execz .LBB80_12
; %bb.11:
	s_lshl_b64 s[16:17], s[6:7], 2
	s_add_u32 s16, s10, s16
	s_addc_u32 s17, s11, s17
	s_waitcnt lgkmcnt(0)
	global_store_dword v36, v35, s[16:17]
.LBB80_12:
	s_or_b64 exec, exec, s[8:9]
	s_waitcnt lgkmcnt(0)
	v_cmp_ne_u32_e32 vcc, 0, v35
	s_mov_b64 s[8:9], 0
	s_cbranch_vccnz .LBB80_80
; %bb.13:
	buffer_load_dword v36, v39, s[0:3], 0 offen
	buffer_load_dword v38, v39, s[0:3], 0 offen offset:4
                                        ; implicit-def: $vgpr41
                                        ; implicit-def: $vgpr40
                                        ; implicit-def: $vgpr35
	s_waitcnt vmcnt(0)
	v_cmp_ngt_f32_e64 s[8:9], |v36|, |v38|
	s_and_saveexec_b64 s[16:17], s[8:9]
	s_xor_b64 s[8:9], exec, s[16:17]
	s_cbranch_execz .LBB80_15
; %bb.14:
	v_div_scale_f32 v35, s[16:17], v38, v38, v36
	v_div_scale_f32 v40, vcc, v36, v38, v36
	v_rcp_f32_e32 v41, v35
	v_fma_f32 v42, -v35, v41, 1.0
	v_fmac_f32_e32 v41, v42, v41
	v_mul_f32_e32 v42, v40, v41
	v_fma_f32 v43, -v35, v42, v40
	v_fmac_f32_e32 v42, v43, v41
	v_fma_f32 v35, -v35, v42, v40
	v_div_fmas_f32 v35, v35, v41, v42
	v_div_fixup_f32 v35, v35, v38, v36
	v_fmac_f32_e32 v38, v36, v35
	v_div_scale_f32 v36, s[16:17], v38, v38, 1.0
	v_div_scale_f32 v40, vcc, 1.0, v38, 1.0
	v_rcp_f32_e32 v41, v36
	v_fma_f32 v42, -v36, v41, 1.0
	v_fmac_f32_e32 v41, v42, v41
	v_mul_f32_e32 v42, v40, v41
	v_fma_f32 v43, -v36, v42, v40
	v_fmac_f32_e32 v42, v43, v41
	v_fma_f32 v36, -v36, v42, v40
	v_div_fmas_f32 v36, v36, v41, v42
	v_div_fixup_f32 v36, v36, v38, 1.0
	v_mul_f32_e32 v41, v35, v36
	v_xor_b32_e32 v40, 0x80000000, v36
	v_xor_b32_e32 v35, 0x80000000, v41
                                        ; implicit-def: $vgpr36
                                        ; implicit-def: $vgpr38
.LBB80_15:
	s_andn2_saveexec_b64 s[8:9], s[8:9]
	s_cbranch_execz .LBB80_17
; %bb.16:
	v_div_scale_f32 v35, s[16:17], v36, v36, v38
	v_div_scale_f32 v40, vcc, v38, v36, v38
	v_rcp_f32_e32 v41, v35
	v_fma_f32 v42, -v35, v41, 1.0
	v_fmac_f32_e32 v41, v42, v41
	v_mul_f32_e32 v42, v40, v41
	v_fma_f32 v43, -v35, v42, v40
	v_fmac_f32_e32 v42, v43, v41
	v_fma_f32 v35, -v35, v42, v40
	v_div_fmas_f32 v35, v35, v41, v42
	v_div_fixup_f32 v40, v35, v36, v38
	v_fmac_f32_e32 v36, v38, v40
	v_div_scale_f32 v35, s[16:17], v36, v36, 1.0
	v_div_scale_f32 v38, vcc, 1.0, v36, 1.0
	v_rcp_f32_e32 v41, v35
	v_fma_f32 v42, -v35, v41, 1.0
	v_fmac_f32_e32 v41, v42, v41
	v_mul_f32_e32 v42, v38, v41
	v_fma_f32 v43, -v35, v42, v38
	v_fmac_f32_e32 v42, v43, v41
	v_fma_f32 v35, -v35, v42, v38
	v_div_fmas_f32 v35, v35, v41, v42
	v_div_fixup_f32 v41, v35, v36, 1.0
	v_xor_b32_e32 v35, 0x80000000, v41
	v_mul_f32_e64 v40, v40, -v41
.LBB80_17:
	s_or_b64 exec, exec, s[8:9]
	buffer_store_dword v41, v39, s[0:3], 0 offen
	buffer_store_dword v40, v39, s[0:3], 0 offen offset:4
	buffer_load_dword v42, off, s[0:3], 0 offset:12
	s_nop 0
	buffer_load_dword v41, off, s[0:3], 0 offset:8
	v_xor_b32_e32 v36, 0x80000000, v40
	v_add_u32_e32 v38, 0x90, v37
	s_waitcnt vmcnt(0)
	ds_write2_b64 v37, v[35:36], v[41:42] offset1:18
	s_waitcnt lgkmcnt(0)
	; wave barrier
	s_and_saveexec_b64 s[8:9], s[4:5]
	s_cbranch_execz .LBB80_19
; %bb.18:
	buffer_load_dword v42, v39, s[0:3], 0 offen offset:4
	buffer_load_dword v43, v39, s[0:3], 0 offen
	ds_read_b64 v[35:36], v38
	v_mov_b32_e32 v40, 0
	ds_read_b64 v[40:41], v40 offset:8
	s_waitcnt vmcnt(1) lgkmcnt(1)
	v_mul_f32_e32 v44, v36, v42
	v_mul_f32_e32 v42, v35, v42
	s_waitcnt vmcnt(0)
	v_fmac_f32_e32 v42, v36, v43
	v_fma_f32 v35, v35, v43, -v44
	v_add_f32_e32 v36, 0, v42
	v_add_f32_e32 v35, 0, v35
	s_waitcnt lgkmcnt(0)
	v_mul_f32_e32 v42, v36, v41
	v_mul_f32_e32 v41, v35, v41
	v_fma_f32 v35, v35, v40, -v42
	v_fmac_f32_e32 v41, v36, v40
	buffer_store_dword v35, off, s[0:3], 0 offset:8
	buffer_store_dword v41, off, s[0:3], 0 offset:12
.LBB80_19:
	s_or_b64 exec, exec, s[8:9]
	; wave barrier
	buffer_load_dword v35, off, s[0:3], 0 offset:16
	buffer_load_dword v36, off, s[0:3], 0 offset:20
	v_cmp_gt_u32_e32 vcc, 2, v0
	s_waitcnt vmcnt(0)
	ds_write_b64 v38, v[35:36]
	s_waitcnt lgkmcnt(0)
	; wave barrier
	s_and_saveexec_b64 s[8:9], vcc
	s_cbranch_execz .LBB80_23
; %bb.20:
	buffer_load_dword v40, v39, s[0:3], 0 offen offset:4
	buffer_load_dword v41, v39, s[0:3], 0 offen
	ds_read_b64 v[35:36], v38
	s_waitcnt vmcnt(1) lgkmcnt(0)
	v_mul_f32_e32 v39, v36, v40
	v_mul_f32_e32 v40, v35, v40
	s_waitcnt vmcnt(0)
	v_fma_f32 v35, v35, v41, -v39
	v_fmac_f32_e32 v40, v36, v41
	v_add_f32_e32 v36, 0, v35
	v_add_f32_e32 v35, 0, v40
	s_and_saveexec_b64 s[16:17], s[4:5]
	s_cbranch_execz .LBB80_22
; %bb.21:
	buffer_load_dword v41, off, s[0:3], 0 offset:12
	buffer_load_dword v42, off, s[0:3], 0 offset:8
	v_mov_b32_e32 v39, 0
	ds_read_b64 v[39:40], v39 offset:152
	s_waitcnt vmcnt(1) lgkmcnt(0)
	v_mul_f32_e32 v43, v39, v41
	v_mul_f32_e32 v41, v40, v41
	s_waitcnt vmcnt(0)
	v_fmac_f32_e32 v43, v40, v42
	v_fma_f32 v39, v39, v42, -v41
	v_add_f32_e32 v35, v35, v43
	v_add_f32_e32 v36, v36, v39
.LBB80_22:
	s_or_b64 exec, exec, s[16:17]
	v_mov_b32_e32 v39, 0
	ds_read_b64 v[39:40], v39 offset:16
	s_waitcnt lgkmcnt(0)
	v_mul_f32_e32 v41, v35, v40
	v_mul_f32_e32 v40, v36, v40
	v_fma_f32 v36, v36, v39, -v41
	v_fmac_f32_e32 v40, v35, v39
	buffer_store_dword v36, off, s[0:3], 0 offset:16
	buffer_store_dword v40, off, s[0:3], 0 offset:20
.LBB80_23:
	s_or_b64 exec, exec, s[8:9]
	; wave barrier
	buffer_load_dword v35, off, s[0:3], 0 offset:24
	buffer_load_dword v36, off, s[0:3], 0 offset:28
	v_cmp_gt_u32_e32 vcc, 3, v0
	s_waitcnt vmcnt(0)
	ds_write_b64 v38, v[35:36]
	v_add_u32_e32 v35, -1, v0
	s_waitcnt lgkmcnt(0)
	; wave barrier
	s_and_saveexec_b64 s[4:5], vcc
	s_cbranch_execz .LBB80_27
; %bb.24:
	v_add_u32_e32 v39, -1, v0
	v_add_u32_e32 v40, 0x90, v37
	v_mov_b32_e32 v41, v37
	v_mov_b32_e32 v36, 0
	s_mov_b64 s[8:9], 0
	v_mov_b32_e32 v42, 0
.LBB80_25:                              ; =>This Inner Loop Header: Depth=1
	buffer_load_dword v45, v41, s[0:3], 0 offen offset:4
	buffer_load_dword v46, v41, s[0:3], 0 offen
	ds_read_b64 v[43:44], v40
	v_add_u32_e32 v39, 1, v39
	v_cmp_lt_u32_e32 vcc, 1, v39
	v_add_u32_e32 v40, 8, v40
	v_add_u32_e32 v41, 8, v41
	s_or_b64 s[8:9], vcc, s[8:9]
	s_waitcnt vmcnt(1) lgkmcnt(0)
	v_mul_f32_e32 v47, v44, v45
	v_mul_f32_e32 v45, v43, v45
	s_waitcnt vmcnt(0)
	v_fma_f32 v43, v43, v46, -v47
	v_fmac_f32_e32 v45, v44, v46
	v_add_f32_e32 v42, v42, v43
	v_add_f32_e32 v36, v36, v45
	s_andn2_b64 exec, exec, s[8:9]
	s_cbranch_execnz .LBB80_25
; %bb.26:
	s_or_b64 exec, exec, s[8:9]
	v_mov_b32_e32 v39, 0
	ds_read_b64 v[39:40], v39 offset:24
	s_waitcnt lgkmcnt(0)
	v_mul_f32_e32 v41, v36, v40
	v_mul_f32_e32 v40, v42, v40
	v_fma_f32 v41, v42, v39, -v41
	v_fmac_f32_e32 v40, v36, v39
	buffer_store_dword v41, off, s[0:3], 0 offset:24
	buffer_store_dword v40, off, s[0:3], 0 offset:28
.LBB80_27:
	s_or_b64 exec, exec, s[4:5]
	; wave barrier
	buffer_load_dword v39, off, s[0:3], 0 offset:32
	buffer_load_dword v40, off, s[0:3], 0 offset:36
	v_cmp_gt_u32_e32 vcc, 4, v0
	s_waitcnt vmcnt(0)
	ds_write_b64 v38, v[39:40]
	s_waitcnt lgkmcnt(0)
	; wave barrier
	s_and_saveexec_b64 s[4:5], vcc
	s_cbranch_execz .LBB80_31
; %bb.28:
	v_add_u32_e32 v39, -1, v0
	v_add_u32_e32 v40, 0x90, v37
	v_mov_b32_e32 v41, v37
	v_mov_b32_e32 v36, 0
	s_mov_b64 s[8:9], 0
	v_mov_b32_e32 v42, 0
.LBB80_29:                              ; =>This Inner Loop Header: Depth=1
	buffer_load_dword v45, v41, s[0:3], 0 offen offset:4
	buffer_load_dword v46, v41, s[0:3], 0 offen
	ds_read_b64 v[43:44], v40
	v_add_u32_e32 v39, 1, v39
	v_cmp_lt_u32_e32 vcc, 2, v39
	v_add_u32_e32 v40, 8, v40
	v_add_u32_e32 v41, 8, v41
	s_or_b64 s[8:9], vcc, s[8:9]
	s_waitcnt vmcnt(1) lgkmcnt(0)
	v_mul_f32_e32 v47, v44, v45
	v_mul_f32_e32 v45, v43, v45
	s_waitcnt vmcnt(0)
	v_fma_f32 v43, v43, v46, -v47
	v_fmac_f32_e32 v45, v44, v46
	v_add_f32_e32 v42, v42, v43
	v_add_f32_e32 v36, v36, v45
	s_andn2_b64 exec, exec, s[8:9]
	s_cbranch_execnz .LBB80_29
; %bb.30:
	s_or_b64 exec, exec, s[8:9]
	v_mov_b32_e32 v39, 0
	ds_read_b64 v[39:40], v39 offset:32
	s_waitcnt lgkmcnt(0)
	v_mul_f32_e32 v41, v36, v40
	v_mul_f32_e32 v40, v42, v40
	v_fma_f32 v41, v42, v39, -v41
	v_fmac_f32_e32 v40, v36, v39
	buffer_store_dword v41, off, s[0:3], 0 offset:32
	buffer_store_dword v40, off, s[0:3], 0 offset:36
.LBB80_31:
	s_or_b64 exec, exec, s[4:5]
	; wave barrier
	buffer_load_dword v39, off, s[0:3], 0 offset:40
	buffer_load_dword v40, off, s[0:3], 0 offset:44
	v_cmp_gt_u32_e32 vcc, 5, v0
	s_waitcnt vmcnt(0)
	ds_write_b64 v38, v[39:40]
	;; [unrolled: 49-line block ×12, first 2 shown]
	s_waitcnt lgkmcnt(0)
	; wave barrier
	s_and_saveexec_b64 s[4:5], vcc
	s_cbranch_execz .LBB80_75
; %bb.72:
	v_add_u32_e32 v39, -1, v0
	v_add_u32_e32 v40, 0x90, v37
	v_mov_b32_e32 v41, v37
	v_mov_b32_e32 v36, 0
	s_mov_b64 s[8:9], 0
	v_mov_b32_e32 v42, 0
.LBB80_73:                              ; =>This Inner Loop Header: Depth=1
	buffer_load_dword v45, v41, s[0:3], 0 offen offset:4
	buffer_load_dword v46, v41, s[0:3], 0 offen
	ds_read_b64 v[43:44], v40
	v_add_u32_e32 v39, 1, v39
	v_cmp_lt_u32_e32 vcc, 13, v39
	v_add_u32_e32 v40, 8, v40
	v_add_u32_e32 v41, 8, v41
	s_or_b64 s[8:9], vcc, s[8:9]
	s_waitcnt vmcnt(1) lgkmcnt(0)
	v_mul_f32_e32 v47, v44, v45
	v_mul_f32_e32 v45, v43, v45
	s_waitcnt vmcnt(0)
	v_fma_f32 v43, v43, v46, -v47
	v_fmac_f32_e32 v45, v44, v46
	v_add_f32_e32 v42, v42, v43
	v_add_f32_e32 v36, v36, v45
	s_andn2_b64 exec, exec, s[8:9]
	s_cbranch_execnz .LBB80_73
; %bb.74:
	s_or_b64 exec, exec, s[8:9]
	v_mov_b32_e32 v39, 0
	ds_read_b64 v[39:40], v39 offset:120
	s_waitcnt lgkmcnt(0)
	v_mul_f32_e32 v41, v36, v40
	v_mul_f32_e32 v40, v42, v40
	v_fma_f32 v41, v42, v39, -v41
	v_fmac_f32_e32 v40, v36, v39
	buffer_store_dword v41, off, s[0:3], 0 offset:120
	buffer_store_dword v40, off, s[0:3], 0 offset:124
.LBB80_75:
	s_or_b64 exec, exec, s[4:5]
	; wave barrier
	buffer_load_dword v39, off, s[0:3], 0 offset:128
	buffer_load_dword v40, off, s[0:3], 0 offset:132
	v_cmp_ne_u32_e32 vcc, 16, v0
	s_waitcnt vmcnt(0)
	ds_write_b64 v38, v[39:40]
	s_waitcnt lgkmcnt(0)
	; wave barrier
	s_and_saveexec_b64 s[4:5], vcc
	s_cbranch_execz .LBB80_79
; %bb.76:
	v_add_u32_e32 v38, 0x90, v37
	v_mov_b32_e32 v36, 0
	s_mov_b64 s[8:9], 0
	v_mov_b32_e32 v39, 0
.LBB80_77:                              ; =>This Inner Loop Header: Depth=1
	buffer_load_dword v42, v37, s[0:3], 0 offen offset:4
	buffer_load_dword v43, v37, s[0:3], 0 offen
	ds_read_b64 v[40:41], v38
	v_add_u32_e32 v35, 1, v35
	v_cmp_lt_u32_e32 vcc, 14, v35
	v_add_u32_e32 v38, 8, v38
	v_add_u32_e32 v37, 8, v37
	s_or_b64 s[8:9], vcc, s[8:9]
	s_waitcnt vmcnt(1) lgkmcnt(0)
	v_mul_f32_e32 v44, v41, v42
	v_mul_f32_e32 v42, v40, v42
	s_waitcnt vmcnt(0)
	v_fma_f32 v40, v40, v43, -v44
	v_fmac_f32_e32 v42, v41, v43
	v_add_f32_e32 v39, v39, v40
	v_add_f32_e32 v36, v36, v42
	s_andn2_b64 exec, exec, s[8:9]
	s_cbranch_execnz .LBB80_77
; %bb.78:
	s_or_b64 exec, exec, s[8:9]
	v_mov_b32_e32 v35, 0
	ds_read_b64 v[37:38], v35 offset:128
	s_waitcnt lgkmcnt(0)
	v_mul_f32_e32 v35, v36, v38
	v_mul_f32_e32 v38, v39, v38
	v_fma_f32 v35, v39, v37, -v35
	v_fmac_f32_e32 v38, v36, v37
	buffer_store_dword v35, off, s[0:3], 0 offset:128
	buffer_store_dword v38, off, s[0:3], 0 offset:132
.LBB80_79:
	s_or_b64 exec, exec, s[4:5]
	s_mov_b64 s[8:9], -1
	; wave barrier
.LBB80_80:
	s_and_b64 vcc, exec, s[8:9]
	s_cbranch_vccz .LBB80_82
; %bb.81:
	s_lshl_b64 s[4:5], s[6:7], 2
	s_add_u32 s4, s10, s4
	s_addc_u32 s5, s11, s5
	v_mov_b32_e32 v35, 0
	global_load_dword v35, v35, s[4:5]
	s_waitcnt vmcnt(0)
	v_cmp_ne_u32_e32 vcc, 0, v35
	s_cbranch_vccz .LBB80_83
.LBB80_82:
	s_endpgm
.LBB80_83:
	v_mov_b32_e32 v35, 0x90
	v_lshl_add_u32 v35, v0, 3, v35
	v_cmp_eq_u32_e32 vcc, 16, v0
	s_and_saveexec_b64 s[4:5], vcc
	s_cbranch_execz .LBB80_85
; %bb.84:
	buffer_load_dword v36, off, s[0:3], 0 offset:120
	buffer_load_dword v37, off, s[0:3], 0 offset:124
	v_mov_b32_e32 v38, 0
	buffer_store_dword v38, off, s[0:3], 0 offset:120
	buffer_store_dword v38, off, s[0:3], 0 offset:124
	s_waitcnt vmcnt(2)
	ds_write_b64 v35, v[36:37]
.LBB80_85:
	s_or_b64 exec, exec, s[4:5]
	s_waitcnt lgkmcnt(0)
	; wave barrier
	buffer_load_dword v39, off, s[0:3], 0 offset:132
	buffer_load_dword v40, off, s[0:3], 0 offset:128
	;; [unrolled: 1-line block ×4, first 2 shown]
	v_mov_b32_e32 v36, 0
	ds_read_b64 v[37:38], v36 offset:272
	v_cmp_lt_u32_e32 vcc, 14, v0
	s_waitcnt vmcnt(3) lgkmcnt(0)
	v_mul_f32_e32 v43, v37, v39
	v_mul_f32_e32 v39, v38, v39
	s_waitcnt vmcnt(2)
	v_fma_f32 v37, v37, v40, -v39
	v_fmac_f32_e32 v43, v38, v40
	v_add_f32_e32 v37, 0, v37
	v_add_f32_e32 v38, 0, v43
	s_waitcnt vmcnt(1)
	v_sub_f32_e32 v37, v41, v37
	s_waitcnt vmcnt(0)
	v_sub_f32_e32 v38, v42, v38
	buffer_store_dword v37, off, s[0:3], 0 offset:120
	buffer_store_dword v38, off, s[0:3], 0 offset:124
	s_and_saveexec_b64 s[4:5], vcc
	s_cbranch_execz .LBB80_87
; %bb.86:
	buffer_load_dword v37, off, s[0:3], 0 offset:112
	buffer_load_dword v38, off, s[0:3], 0 offset:116
	s_waitcnt vmcnt(0)
	ds_write_b64 v35, v[37:38]
	buffer_store_dword v36, off, s[0:3], 0 offset:112
	buffer_store_dword v36, off, s[0:3], 0 offset:116
.LBB80_87:
	s_or_b64 exec, exec, s[4:5]
	s_waitcnt lgkmcnt(0)
	; wave barrier
	buffer_load_dword v40, off, s[0:3], 0 offset:124
	buffer_load_dword v41, off, s[0:3], 0 offset:132
	;; [unrolled: 1-line block ×6, first 2 shown]
	ds_read2_b64 v[36:39], v36 offset0:33 offset1:34
	v_cmp_lt_u32_e32 vcc, 13, v0
	s_waitcnt vmcnt(5) lgkmcnt(0)
	v_mul_f32_e32 v46, v36, v40
	v_mul_f32_e32 v40, v37, v40
	s_waitcnt vmcnt(4)
	v_mul_f32_e32 v47, v38, v41
	v_mul_f32_e32 v41, v39, v41
	s_waitcnt vmcnt(3)
	v_fma_f32 v36, v36, v42, -v40
	v_fmac_f32_e32 v46, v37, v42
	s_waitcnt vmcnt(2)
	v_fma_f32 v37, v38, v43, -v41
	v_add_f32_e32 v36, 0, v36
	v_fmac_f32_e32 v47, v39, v43
	v_add_f32_e32 v38, 0, v46
	v_add_f32_e32 v36, v36, v37
	;; [unrolled: 1-line block ×3, first 2 shown]
	s_waitcnt vmcnt(1)
	v_sub_f32_e32 v36, v44, v36
	s_waitcnt vmcnt(0)
	v_sub_f32_e32 v37, v45, v38
	buffer_store_dword v36, off, s[0:3], 0 offset:112
	buffer_store_dword v37, off, s[0:3], 0 offset:116
	s_and_saveexec_b64 s[4:5], vcc
	s_cbranch_execz .LBB80_89
; %bb.88:
	buffer_load_dword v36, off, s[0:3], 0 offset:104
	buffer_load_dword v37, off, s[0:3], 0 offset:108
	v_mov_b32_e32 v38, 0
	buffer_store_dword v38, off, s[0:3], 0 offset:104
	buffer_store_dword v38, off, s[0:3], 0 offset:108
	s_waitcnt vmcnt(2)
	ds_write_b64 v35, v[36:37]
.LBB80_89:
	s_or_b64 exec, exec, s[4:5]
	s_waitcnt lgkmcnt(0)
	; wave barrier
	buffer_load_dword v43, off, s[0:3], 0 offset:116
	buffer_load_dword v44, off, s[0:3], 0 offset:124
	;; [unrolled: 1-line block ×8, first 2 shown]
	v_mov_b32_e32 v36, 0
	ds_read_b128 v[37:40], v36 offset:256
	ds_read_b64 v[41:42], v36 offset:272
	v_cmp_lt_u32_e32 vcc, 12, v0
	s_waitcnt vmcnt(7) lgkmcnt(1)
	v_mul_f32_e32 v51, v37, v43
	v_mul_f32_e32 v43, v38, v43
	s_waitcnt vmcnt(6)
	v_mul_f32_e32 v52, v39, v44
	v_mul_f32_e32 v44, v40, v44
	s_waitcnt vmcnt(4)
	v_fma_f32 v37, v37, v46, -v43
	s_waitcnt lgkmcnt(0)
	v_mul_f32_e32 v53, v41, v45
	v_mul_f32_e32 v45, v42, v45
	v_fmac_f32_e32 v51, v38, v46
	s_waitcnt vmcnt(3)
	v_fma_f32 v38, v39, v47, -v44
	v_add_f32_e32 v37, 0, v37
	v_fmac_f32_e32 v52, v40, v47
	s_waitcnt vmcnt(2)
	v_fma_f32 v39, v41, v48, -v45
	v_add_f32_e32 v40, 0, v51
	v_add_f32_e32 v37, v37, v38
	v_fmac_f32_e32 v53, v42, v48
	v_add_f32_e32 v40, v40, v52
	v_add_f32_e32 v37, v37, v39
	;; [unrolled: 1-line block ×3, first 2 shown]
	s_waitcnt vmcnt(1)
	v_sub_f32_e32 v37, v49, v37
	s_waitcnt vmcnt(0)
	v_sub_f32_e32 v38, v50, v38
	buffer_store_dword v37, off, s[0:3], 0 offset:104
	buffer_store_dword v38, off, s[0:3], 0 offset:108
	s_and_saveexec_b64 s[4:5], vcc
	s_cbranch_execz .LBB80_91
; %bb.90:
	buffer_load_dword v37, off, s[0:3], 0 offset:96
	buffer_load_dword v38, off, s[0:3], 0 offset:100
	s_waitcnt vmcnt(0)
	ds_write_b64 v35, v[37:38]
	buffer_store_dword v36, off, s[0:3], 0 offset:96
	buffer_store_dword v36, off, s[0:3], 0 offset:100
.LBB80_91:
	s_or_b64 exec, exec, s[4:5]
	s_waitcnt lgkmcnt(0)
	; wave barrier
	buffer_load_dword v45, off, s[0:3], 0 offset:108
	buffer_load_dword v46, off, s[0:3], 0 offset:116
	;; [unrolled: 1-line block ×10, first 2 shown]
	ds_read2_b64 v[37:40], v36 offset0:31 offset1:32
	ds_read2_b64 v[41:44], v36 offset0:33 offset1:34
	v_cmp_lt_u32_e32 vcc, 11, v0
	s_waitcnt vmcnt(9) lgkmcnt(1)
	v_mul_f32_e32 v36, v37, v45
	v_mul_f32_e32 v45, v38, v45
	s_waitcnt vmcnt(8)
	v_mul_f32_e32 v55, v39, v46
	v_mul_f32_e32 v46, v40, v46
	s_waitcnt vmcnt(5)
	v_fma_f32 v37, v37, v49, -v45
	s_waitcnt lgkmcnt(0)
	v_mul_f32_e32 v56, v41, v47
	v_mul_f32_e32 v47, v42, v47
	v_fmac_f32_e32 v36, v38, v49
	s_waitcnt vmcnt(4)
	v_fma_f32 v38, v39, v50, -v46
	v_add_f32_e32 v37, 0, v37
	v_mul_f32_e32 v57, v43, v48
	v_mul_f32_e32 v48, v44, v48
	v_fmac_f32_e32 v55, v40, v50
	s_waitcnt vmcnt(3)
	v_fma_f32 v39, v41, v51, -v47
	v_add_f32_e32 v36, 0, v36
	v_add_f32_e32 v37, v37, v38
	v_fmac_f32_e32 v56, v42, v51
	s_waitcnt vmcnt(2)
	v_fma_f32 v40, v43, v52, -v48
	v_add_f32_e32 v36, v36, v55
	v_add_f32_e32 v37, v37, v39
	v_fmac_f32_e32 v57, v44, v52
	v_add_f32_e32 v36, v36, v56
	v_add_f32_e32 v37, v37, v40
	;; [unrolled: 1-line block ×3, first 2 shown]
	s_waitcnt vmcnt(1)
	v_sub_f32_e32 v37, v53, v37
	s_waitcnt vmcnt(0)
	v_sub_f32_e32 v36, v54, v36
	buffer_store_dword v37, off, s[0:3], 0 offset:96
	buffer_store_dword v36, off, s[0:3], 0 offset:100
	s_and_saveexec_b64 s[4:5], vcc
	s_cbranch_execz .LBB80_93
; %bb.92:
	buffer_load_dword v36, off, s[0:3], 0 offset:88
	buffer_load_dword v37, off, s[0:3], 0 offset:92
	v_mov_b32_e32 v38, 0
	buffer_store_dword v38, off, s[0:3], 0 offset:88
	buffer_store_dword v38, off, s[0:3], 0 offset:92
	s_waitcnt vmcnt(2)
	ds_write_b64 v35, v[36:37]
.LBB80_93:
	s_or_b64 exec, exec, s[4:5]
	v_mov_b32_e32 v36, 0
	s_waitcnt lgkmcnt(0)
	; wave barrier
	ds_read_b128 v[37:40], v36 offset:240
	ds_read_b128 v[41:44], v36 offset:256
	ds_read_b64 v[45:46], v36 offset:272
	buffer_load_dword v47, off, s[0:3], 0 offset:88
	buffer_load_dword v48, off, s[0:3], 0 offset:92
	;; [unrolled: 1-line block ×12, first 2 shown]
	v_cmp_lt_u32_e32 vcc, 10, v0
	s_waitcnt vmcnt(8) lgkmcnt(2)
	v_mul_f32_e32 v59, v37, v50
	v_fmac_f32_e32 v59, v38, v49
	v_mul_f32_e32 v38, v38, v50
	v_fma_f32 v37, v37, v49, -v38
	s_waitcnt vmcnt(6)
	v_mul_f32_e32 v38, v40, v52
	v_mul_f32_e32 v60, v39, v52
	v_add_f32_e32 v37, 0, v37
	v_fma_f32 v38, v39, v51, -v38
	v_add_f32_e32 v59, 0, v59
	v_fmac_f32_e32 v60, v40, v51
	v_add_f32_e32 v37, v37, v38
	s_waitcnt vmcnt(4) lgkmcnt(1)
	v_mul_f32_e32 v38, v42, v54
	v_add_f32_e32 v59, v59, v60
	v_mul_f32_e32 v60, v41, v54
	v_fma_f32 v38, v41, v53, -v38
	v_fmac_f32_e32 v60, v42, v53
	v_add_f32_e32 v37, v37, v38
	s_waitcnt vmcnt(2)
	v_mul_f32_e32 v38, v44, v56
	v_add_f32_e32 v59, v59, v60
	v_mul_f32_e32 v60, v43, v56
	v_fma_f32 v38, v43, v55, -v38
	v_fmac_f32_e32 v60, v44, v55
	v_add_f32_e32 v37, v37, v38
	s_waitcnt vmcnt(0) lgkmcnt(0)
	v_mul_f32_e32 v38, v46, v58
	v_add_f32_e32 v59, v59, v60
	v_mul_f32_e32 v60, v45, v58
	v_fma_f32 v38, v45, v57, -v38
	v_fmac_f32_e32 v60, v46, v57
	v_add_f32_e32 v37, v37, v38
	v_add_f32_e32 v59, v59, v60
	v_sub_f32_e32 v37, v47, v37
	v_sub_f32_e32 v38, v48, v59
	buffer_store_dword v37, off, s[0:3], 0 offset:88
	buffer_store_dword v38, off, s[0:3], 0 offset:92
	s_and_saveexec_b64 s[4:5], vcc
	s_cbranch_execz .LBB80_95
; %bb.94:
	buffer_load_dword v37, off, s[0:3], 0 offset:80
	buffer_load_dword v38, off, s[0:3], 0 offset:84
	s_waitcnt vmcnt(0)
	ds_write_b64 v35, v[37:38]
	buffer_store_dword v36, off, s[0:3], 0 offset:80
	buffer_store_dword v36, off, s[0:3], 0 offset:84
.LBB80_95:
	s_or_b64 exec, exec, s[4:5]
	s_waitcnt lgkmcnt(0)
	; wave barrier
	buffer_load_dword v49, off, s[0:3], 0 offset:92
	buffer_load_dword v50, off, s[0:3], 0 offset:100
	;; [unrolled: 1-line block ×14, first 2 shown]
	ds_read2_b64 v[37:40], v36 offset0:29 offset1:30
	ds_read2_b64 v[41:44], v36 offset0:31 offset1:32
	;; [unrolled: 1-line block ×3, first 2 shown]
	v_cmp_lt_u32_e32 vcc, 9, v0
	s_waitcnt vmcnt(13) lgkmcnt(2)
	v_mul_f32_e32 v36, v37, v49
	v_mul_f32_e32 v49, v38, v49
	s_waitcnt vmcnt(12)
	v_mul_f32_e32 v63, v39, v50
	v_mul_f32_e32 v50, v40, v50
	s_waitcnt vmcnt(11) lgkmcnt(1)
	v_mul_f32_e32 v64, v41, v51
	v_mul_f32_e32 v51, v42, v51
	s_waitcnt vmcnt(7)
	v_fma_f32 v37, v37, v55, -v49
	v_fmac_f32_e32 v36, v38, v55
	s_waitcnt vmcnt(6)
	v_fma_f32 v38, v39, v56, -v50
	v_add_f32_e32 v37, 0, v37
	v_mul_f32_e32 v65, v43, v52
	v_mul_f32_e32 v52, v44, v52
	v_fmac_f32_e32 v63, v40, v56
	s_waitcnt vmcnt(5)
	v_fma_f32 v39, v41, v57, -v51
	v_add_f32_e32 v36, 0, v36
	v_add_f32_e32 v37, v37, v38
	s_waitcnt lgkmcnt(0)
	v_mul_f32_e32 v66, v45, v53
	v_mul_f32_e32 v53, v46, v53
	v_fmac_f32_e32 v64, v42, v57
	s_waitcnt vmcnt(4)
	v_fma_f32 v40, v43, v58, -v52
	v_add_f32_e32 v36, v36, v63
	v_add_f32_e32 v37, v37, v39
	v_mul_f32_e32 v67, v47, v54
	v_mul_f32_e32 v54, v48, v54
	v_fmac_f32_e32 v65, v44, v58
	s_waitcnt vmcnt(3)
	v_fma_f32 v41, v45, v59, -v53
	v_add_f32_e32 v36, v36, v64
	v_add_f32_e32 v37, v37, v40
	v_fmac_f32_e32 v66, v46, v59
	s_waitcnt vmcnt(2)
	v_fma_f32 v42, v47, v60, -v54
	v_add_f32_e32 v36, v36, v65
	v_add_f32_e32 v37, v37, v41
	v_fmac_f32_e32 v67, v48, v60
	v_add_f32_e32 v36, v36, v66
	v_add_f32_e32 v37, v37, v42
	;; [unrolled: 1-line block ×3, first 2 shown]
	s_waitcnt vmcnt(1)
	v_sub_f32_e32 v37, v61, v37
	s_waitcnt vmcnt(0)
	v_sub_f32_e32 v36, v62, v36
	buffer_store_dword v37, off, s[0:3], 0 offset:80
	buffer_store_dword v36, off, s[0:3], 0 offset:84
	s_and_saveexec_b64 s[4:5], vcc
	s_cbranch_execz .LBB80_97
; %bb.96:
	buffer_load_dword v36, off, s[0:3], 0 offset:72
	buffer_load_dword v37, off, s[0:3], 0 offset:76
	v_mov_b32_e32 v38, 0
	buffer_store_dword v38, off, s[0:3], 0 offset:72
	buffer_store_dword v38, off, s[0:3], 0 offset:76
	s_waitcnt vmcnt(2)
	ds_write_b64 v35, v[36:37]
.LBB80_97:
	s_or_b64 exec, exec, s[4:5]
	s_waitcnt lgkmcnt(0)
	; wave barrier
	buffer_load_dword v51, off, s[0:3], 0 offset:84
	buffer_load_dword v52, off, s[0:3], 0 offset:92
	;; [unrolled: 1-line block ×16, first 2 shown]
	v_mov_b32_e32 v36, 0
	ds_read_b128 v[37:40], v36 offset:224
	ds_read_b128 v[41:44], v36 offset:240
	;; [unrolled: 1-line block ×3, first 2 shown]
	ds_read_b64 v[49:50], v36 offset:272
	v_cmp_lt_u32_e32 vcc, 8, v0
	s_waitcnt vmcnt(15) lgkmcnt(3)
	v_mul_f32_e32 v67, v37, v51
	v_mul_f32_e32 v51, v38, v51
	s_waitcnt vmcnt(14)
	v_mul_f32_e32 v68, v39, v52
	v_mul_f32_e32 v52, v40, v52
	s_waitcnt vmcnt(13) lgkmcnt(2)
	v_mul_f32_e32 v69, v41, v53
	s_waitcnt vmcnt(12)
	v_mul_f32_e32 v70, v43, v54
	v_mul_f32_e32 v53, v42, v53
	s_waitcnt vmcnt(8)
	v_fma_f32 v37, v37, v58, -v51
	v_fmac_f32_e32 v67, v38, v58
	s_waitcnt vmcnt(7)
	v_fma_f32 v38, v39, v59, -v52
	v_add_f32_e32 v37, 0, v37
	v_mul_f32_e32 v54, v44, v54
	v_fmac_f32_e32 v68, v40, v59
	s_waitcnt vmcnt(5)
	v_fmac_f32_e32 v70, v44, v61
	v_fma_f32 v39, v41, v60, -v53
	v_add_f32_e32 v44, 0, v67
	v_add_f32_e32 v37, v37, v38
	s_waitcnt lgkmcnt(1)
	v_mul_f32_e32 v71, v45, v55
	v_mul_f32_e32 v55, v46, v55
	v_fmac_f32_e32 v69, v42, v60
	v_fma_f32 v40, v43, v61, -v54
	v_add_f32_e32 v44, v44, v68
	v_add_f32_e32 v37, v37, v39
	v_mul_f32_e32 v72, v47, v56
	v_mul_f32_e32 v56, v48, v56
	s_waitcnt vmcnt(4)
	v_fma_f32 v41, v45, v62, -v55
	v_add_f32_e32 v38, v44, v69
	v_add_f32_e32 v37, v37, v40
	s_waitcnt lgkmcnt(0)
	v_mul_f32_e32 v73, v49, v57
	v_mul_f32_e32 v57, v50, v57
	v_fmac_f32_e32 v71, v46, v62
	s_waitcnt vmcnt(3)
	v_fma_f32 v42, v47, v63, -v56
	v_add_f32_e32 v38, v38, v70
	v_add_f32_e32 v37, v37, v41
	v_fmac_f32_e32 v72, v48, v63
	s_waitcnt vmcnt(2)
	v_fma_f32 v43, v49, v64, -v57
	v_add_f32_e32 v38, v38, v71
	v_add_f32_e32 v37, v37, v42
	v_fmac_f32_e32 v73, v50, v64
	v_add_f32_e32 v38, v38, v72
	v_add_f32_e32 v37, v37, v43
	;; [unrolled: 1-line block ×3, first 2 shown]
	s_waitcnt vmcnt(1)
	v_sub_f32_e32 v37, v65, v37
	s_waitcnt vmcnt(0)
	v_sub_f32_e32 v38, v66, v38
	buffer_store_dword v37, off, s[0:3], 0 offset:72
	buffer_store_dword v38, off, s[0:3], 0 offset:76
	s_and_saveexec_b64 s[4:5], vcc
	s_cbranch_execz .LBB80_99
; %bb.98:
	buffer_load_dword v37, off, s[0:3], 0 offset:64
	buffer_load_dword v38, off, s[0:3], 0 offset:68
	s_waitcnt vmcnt(0)
	ds_write_b64 v35, v[37:38]
	buffer_store_dword v36, off, s[0:3], 0 offset:64
	buffer_store_dword v36, off, s[0:3], 0 offset:68
.LBB80_99:
	s_or_b64 exec, exec, s[4:5]
	s_waitcnt lgkmcnt(0)
	; wave barrier
	buffer_load_dword v53, off, s[0:3], 0 offset:76
	buffer_load_dword v54, off, s[0:3], 0 offset:84
	;; [unrolled: 1-line block ×18, first 2 shown]
	ds_read2_b64 v[37:40], v36 offset0:27 offset1:28
	ds_read2_b64 v[41:44], v36 offset0:29 offset1:30
	ds_read2_b64 v[45:48], v36 offset0:31 offset1:32
	ds_read2_b64 v[49:52], v36 offset0:33 offset1:34
	v_cmp_lt_u32_e32 vcc, 7, v0
	s_waitcnt vmcnt(17) lgkmcnt(3)
	v_mul_f32_e32 v36, v37, v53
	v_mul_f32_e32 v53, v38, v53
	s_waitcnt vmcnt(16)
	v_mul_f32_e32 v71, v39, v54
	v_mul_f32_e32 v54, v40, v54
	s_waitcnt vmcnt(15) lgkmcnt(2)
	v_mul_f32_e32 v72, v41, v55
	v_mul_f32_e32 v55, v42, v55
	s_waitcnt vmcnt(14)
	v_mul_f32_e32 v73, v43, v56
	v_mul_f32_e32 v56, v44, v56
	s_waitcnt vmcnt(9)
	v_fma_f32 v37, v37, v61, -v53
	v_fmac_f32_e32 v36, v38, v61
	s_waitcnt vmcnt(8)
	v_fma_f32 v38, v39, v62, -v54
	v_add_f32_e32 v37, 0, v37
	v_fmac_f32_e32 v71, v40, v62
	s_waitcnt vmcnt(7)
	v_fma_f32 v39, v41, v63, -v55
	v_add_f32_e32 v36, 0, v36
	v_add_f32_e32 v37, v37, v38
	s_waitcnt lgkmcnt(1)
	v_mul_f32_e32 v74, v45, v57
	v_mul_f32_e32 v57, v46, v57
	v_fmac_f32_e32 v72, v42, v63
	s_waitcnt vmcnt(6)
	v_fma_f32 v40, v43, v64, -v56
	v_add_f32_e32 v36, v36, v71
	v_add_f32_e32 v37, v37, v39
	v_mul_f32_e32 v75, v47, v58
	v_mul_f32_e32 v58, v48, v58
	v_fmac_f32_e32 v73, v44, v64
	s_waitcnt vmcnt(5)
	v_fma_f32 v41, v45, v65, -v57
	v_add_f32_e32 v36, v36, v72
	v_add_f32_e32 v37, v37, v40
	s_waitcnt lgkmcnt(0)
	v_mul_f32_e32 v76, v49, v59
	v_mul_f32_e32 v59, v50, v59
	v_fmac_f32_e32 v74, v46, v65
	s_waitcnt vmcnt(4)
	v_fma_f32 v42, v47, v66, -v58
	v_add_f32_e32 v36, v36, v73
	v_add_f32_e32 v37, v37, v41
	v_mul_f32_e32 v77, v51, v60
	v_mul_f32_e32 v60, v52, v60
	v_fmac_f32_e32 v75, v48, v66
	s_waitcnt vmcnt(3)
	v_fma_f32 v43, v49, v67, -v59
	v_add_f32_e32 v36, v36, v74
	v_add_f32_e32 v37, v37, v42
	v_fmac_f32_e32 v76, v50, v67
	s_waitcnt vmcnt(2)
	v_fma_f32 v44, v51, v68, -v60
	v_add_f32_e32 v36, v36, v75
	v_add_f32_e32 v37, v37, v43
	v_fmac_f32_e32 v77, v52, v68
	v_add_f32_e32 v36, v36, v76
	v_add_f32_e32 v37, v37, v44
	;; [unrolled: 1-line block ×3, first 2 shown]
	s_waitcnt vmcnt(1)
	v_sub_f32_e32 v37, v69, v37
	s_waitcnt vmcnt(0)
	v_sub_f32_e32 v36, v70, v36
	buffer_store_dword v37, off, s[0:3], 0 offset:64
	buffer_store_dword v36, off, s[0:3], 0 offset:68
	s_and_saveexec_b64 s[4:5], vcc
	s_cbranch_execz .LBB80_101
; %bb.100:
	buffer_load_dword v36, off, s[0:3], 0 offset:56
	buffer_load_dword v37, off, s[0:3], 0 offset:60
	v_mov_b32_e32 v38, 0
	buffer_store_dword v38, off, s[0:3], 0 offset:56
	buffer_store_dword v38, off, s[0:3], 0 offset:60
	s_waitcnt vmcnt(2)
	ds_write_b64 v35, v[36:37]
.LBB80_101:
	s_or_b64 exec, exec, s[4:5]
	v_mov_b32_e32 v36, 0
	s_waitcnt lgkmcnt(0)
	; wave barrier
	ds_read_b128 v[37:40], v36 offset:208
	ds_read_b128 v[41:44], v36 offset:224
	;; [unrolled: 1-line block ×4, first 2 shown]
	buffer_load_dword v55, off, s[0:3], 0 offset:56
	buffer_load_dword v56, off, s[0:3], 0 offset:60
	;; [unrolled: 1-line block ×18, first 2 shown]
	v_cmp_lt_u32_e32 vcc, 6, v0
	s_waitcnt vmcnt(14) lgkmcnt(3)
	v_mul_f32_e32 v53, v37, v58
	v_fmac_f32_e32 v53, v38, v57
	s_waitcnt vmcnt(12)
	v_mul_f32_e32 v54, v39, v60
	v_add_f32_e32 v53, 0, v53
	v_fmac_f32_e32 v54, v40, v59
	v_add_f32_e32 v53, v53, v54
	s_waitcnt vmcnt(10) lgkmcnt(2)
	v_mul_f32_e32 v54, v41, v62
	v_fmac_f32_e32 v54, v42, v61
	v_add_f32_e32 v53, v53, v54
	s_waitcnt vmcnt(8)
	v_mul_f32_e32 v54, v43, v64
	v_fmac_f32_e32 v54, v44, v63
	v_add_f32_e32 v53, v53, v54
	s_waitcnt vmcnt(6) lgkmcnt(1)
	v_mul_f32_e32 v54, v45, v66
	v_fmac_f32_e32 v54, v46, v65
	v_add_f32_e32 v53, v53, v54
	s_waitcnt vmcnt(4)
	v_mul_f32_e32 v54, v47, v68
	;; [unrolled: 8-line block ×3, first 2 shown]
	v_fmac_f32_e32 v54, v52, v71
	v_add_f32_e32 v73, v53, v54
	ds_read_b64 v[53:54], v36 offset:272
	buffer_load_dword v74, off, s[0:3], 0 offset:128
	buffer_load_dword v75, off, s[0:3], 0 offset:132
	v_mul_f32_e32 v38, v38, v58
	v_fma_f32 v37, v37, v57, -v38
	v_mul_f32_e32 v38, v40, v60
	v_add_f32_e32 v37, 0, v37
	v_fma_f32 v38, v39, v59, -v38
	v_add_f32_e32 v37, v37, v38
	v_mul_f32_e32 v38, v42, v62
	v_fma_f32 v38, v41, v61, -v38
	v_add_f32_e32 v37, v37, v38
	v_mul_f32_e32 v38, v44, v64
	;; [unrolled: 3-line block ×6, first 2 shown]
	v_fma_f32 v38, v51, v71, -v38
	v_add_f32_e32 v37, v37, v38
	s_waitcnt vmcnt(0) lgkmcnt(0)
	v_mul_f32_e32 v38, v54, v75
	v_mul_f32_e32 v76, v53, v75
	v_fma_f32 v38, v53, v74, -v38
	v_fmac_f32_e32 v76, v54, v74
	v_add_f32_e32 v37, v37, v38
	v_add_f32_e32 v73, v73, v76
	v_sub_f32_e32 v37, v55, v37
	v_sub_f32_e32 v38, v56, v73
	buffer_store_dword v37, off, s[0:3], 0 offset:56
	buffer_store_dword v38, off, s[0:3], 0 offset:60
	s_and_saveexec_b64 s[4:5], vcc
	s_cbranch_execz .LBB80_103
; %bb.102:
	buffer_load_dword v37, off, s[0:3], 0 offset:48
	buffer_load_dword v38, off, s[0:3], 0 offset:52
	s_waitcnt vmcnt(0)
	ds_write_b64 v35, v[37:38]
	buffer_store_dword v36, off, s[0:3], 0 offset:48
	buffer_store_dword v36, off, s[0:3], 0 offset:52
.LBB80_103:
	s_or_b64 exec, exec, s[4:5]
	s_waitcnt lgkmcnt(0)
	; wave barrier
	ds_read2_b64 v[37:40], v36 offset0:25 offset1:26
	buffer_load_dword v57, off, s[0:3], 0 offset:48
	buffer_load_dword v58, off, s[0:3], 0 offset:52
	;; [unrolled: 1-line block ×16, first 2 shown]
	v_cmp_lt_u32_e32 vcc, 5, v0
	s_waitcnt vmcnt(12) lgkmcnt(0)
	v_mul_f32_e32 v41, v37, v60
	v_fmac_f32_e32 v41, v38, v59
	s_waitcnt vmcnt(10)
	v_mul_f32_e32 v42, v39, v62
	v_add_f32_e32 v41, 0, v41
	v_fmac_f32_e32 v42, v40, v61
	v_add_f32_e32 v45, v41, v42
	ds_read2_b64 v[41:44], v36 offset0:27 offset1:28
	v_mul_f32_e32 v38, v38, v60
	v_fma_f32 v37, v37, v59, -v38
	v_mul_f32_e32 v38, v40, v62
	v_add_f32_e32 v37, 0, v37
	s_waitcnt vmcnt(8) lgkmcnt(0)
	v_mul_f32_e32 v46, v41, v64
	v_fmac_f32_e32 v46, v42, v63
	v_add_f32_e32 v45, v45, v46
	s_waitcnt vmcnt(6)
	v_mul_f32_e32 v46, v43, v66
	v_fmac_f32_e32 v46, v44, v65
	v_add_f32_e32 v49, v45, v46
	ds_read2_b64 v[45:48], v36 offset0:29 offset1:30
	v_fma_f32 v38, v39, v61, -v38
	v_add_f32_e32 v37, v37, v38
	v_mul_f32_e32 v38, v42, v64
	v_fma_f32 v38, v41, v63, -v38
	s_waitcnt vmcnt(4) lgkmcnt(0)
	v_mul_f32_e32 v50, v45, v68
	v_fmac_f32_e32 v50, v46, v67
	v_add_f32_e32 v49, v49, v50
	s_waitcnt vmcnt(2)
	v_mul_f32_e32 v50, v47, v70
	v_fmac_f32_e32 v50, v48, v69
	v_add_f32_e32 v53, v49, v50
	ds_read2_b64 v[49:52], v36 offset0:31 offset1:32
	buffer_load_dword v73, off, s[0:3], 0 offset:112
	buffer_load_dword v74, off, s[0:3], 0 offset:116
	v_add_f32_e32 v37, v37, v38
	v_mul_f32_e32 v38, v44, v66
	v_fma_f32 v38, v43, v65, -v38
	s_waitcnt vmcnt(2) lgkmcnt(0)
	v_mul_f32_e32 v54, v49, v72
	v_fmac_f32_e32 v54, v50, v71
	v_add_f32_e32 v53, v53, v54
	v_add_f32_e32 v37, v37, v38
	v_mul_f32_e32 v38, v46, v68
	v_fma_f32 v38, v45, v67, -v38
	v_add_f32_e32 v37, v37, v38
	v_mul_f32_e32 v38, v48, v70
	v_fma_f32 v38, v47, v69, -v38
	v_add_f32_e32 v37, v37, v38
	v_mul_f32_e32 v38, v50, v72
	v_fma_f32 v38, v49, v71, -v38
	v_add_f32_e32 v37, v37, v38
	s_waitcnt vmcnt(0)
	v_mul_f32_e32 v54, v51, v74
	v_fmac_f32_e32 v54, v52, v73
	v_add_f32_e32 v75, v53, v54
	ds_read2_b64 v[53:56], v36 offset0:33 offset1:34
	buffer_load_dword v36, off, s[0:3], 0 offset:120
	buffer_load_dword v76, off, s[0:3], 0 offset:124
	v_mul_f32_e32 v38, v52, v74
	v_fma_f32 v38, v51, v73, -v38
	v_add_f32_e32 v37, v37, v38
	s_waitcnt vmcnt(0) lgkmcnt(0)
	v_mul_f32_e32 v77, v53, v76
	v_fmac_f32_e32 v77, v54, v36
	v_add_f32_e32 v75, v75, v77
	buffer_load_dword v77, off, s[0:3], 0 offset:128
	buffer_load_dword v78, off, s[0:3], 0 offset:132
	v_mul_f32_e32 v38, v54, v76
	v_fma_f32 v36, v53, v36, -v38
	v_add_f32_e32 v36, v37, v36
	s_waitcnt vmcnt(0)
	v_mul_f32_e32 v37, v56, v78
	v_mul_f32_e32 v79, v55, v78
	v_fma_f32 v37, v55, v77, -v37
	v_fmac_f32_e32 v79, v56, v77
	v_add_f32_e32 v36, v36, v37
	v_add_f32_e32 v75, v75, v79
	v_sub_f32_e32 v36, v57, v36
	v_sub_f32_e32 v37, v58, v75
	buffer_store_dword v36, off, s[0:3], 0 offset:48
	buffer_store_dword v37, off, s[0:3], 0 offset:52
	s_and_saveexec_b64 s[4:5], vcc
	s_cbranch_execz .LBB80_105
; %bb.104:
	buffer_load_dword v36, off, s[0:3], 0 offset:40
	buffer_load_dword v37, off, s[0:3], 0 offset:44
	v_mov_b32_e32 v38, 0
	buffer_store_dword v38, off, s[0:3], 0 offset:40
	buffer_store_dword v38, off, s[0:3], 0 offset:44
	s_waitcnt vmcnt(2)
	ds_write_b64 v35, v[36:37]
.LBB80_105:
	s_or_b64 exec, exec, s[4:5]
	s_waitcnt lgkmcnt(0)
	; wave barrier
	buffer_load_dword v59, off, s[0:3], 0 offset:52
	buffer_load_dword v60, off, s[0:3], 0 offset:60
	;; [unrolled: 1-line block ×24, first 2 shown]
	v_mov_b32_e32 v36, 0
	ds_read_b128 v[37:40], v36 offset:192
	ds_read_b128 v[41:44], v36 offset:208
	;; [unrolled: 1-line block ×5, first 2 shown]
	ds_read_b64 v[57:58], v36 offset:272
	v_cmp_lt_u32_e32 vcc, 4, v0
	s_waitcnt vmcnt(23) lgkmcnt(5)
	v_mul_f32_e32 v83, v37, v59
	v_mul_f32_e32 v59, v38, v59
	s_waitcnt vmcnt(22)
	v_mul_f32_e32 v84, v39, v60
	v_mul_f32_e32 v60, v40, v60
	s_waitcnt vmcnt(21) lgkmcnt(4)
	v_mul_f32_e32 v85, v41, v61
	v_mul_f32_e32 v61, v42, v61
	s_waitcnt vmcnt(20)
	v_mul_f32_e32 v86, v43, v62
	s_waitcnt vmcnt(19) lgkmcnt(3)
	v_mul_f32_e32 v87, v45, v63
	v_mul_f32_e32 v62, v44, v62
	;; [unrolled: 1-line block ×3, first 2 shown]
	s_waitcnt vmcnt(18)
	v_mul_f32_e32 v88, v47, v64
	s_waitcnt vmcnt(12)
	v_fma_f32 v37, v37, v70, -v59
	v_fmac_f32_e32 v83, v38, v70
	s_waitcnt vmcnt(11)
	v_fma_f32 v38, v39, v71, -v60
	v_add_f32_e32 v37, 0, v37
	s_waitcnt vmcnt(10)
	v_fma_f32 v39, v41, v72, -v61
	v_add_f32_e32 v37, v37, v38
	v_fmac_f32_e32 v84, v40, v71
	s_waitcnt vmcnt(8)
	v_fmac_f32_e32 v87, v46, v74
	v_fma_f32 v40, v43, v73, -v62
	v_add_f32_e32 v46, 0, v83
	v_add_f32_e32 v37, v37, v39
	v_mul_f32_e32 v64, v48, v64
	v_fmac_f32_e32 v85, v42, v72
	v_fma_f32 v41, v45, v74, -v63
	v_add_f32_e32 v46, v46, v84
	v_add_f32_e32 v37, v37, v40
	s_waitcnt lgkmcnt(2)
	v_mul_f32_e32 v89, v49, v65
	v_mul_f32_e32 v65, v50, v65
	v_fmac_f32_e32 v86, v44, v73
	s_waitcnt vmcnt(7)
	v_fma_f32 v42, v47, v75, -v64
	v_add_f32_e32 v38, v46, v85
	v_add_f32_e32 v37, v37, v41
	v_mul_f32_e32 v90, v51, v66
	v_mul_f32_e32 v66, v52, v66
	s_waitcnt vmcnt(6)
	v_fma_f32 v43, v49, v76, -v65
	v_add_f32_e32 v38, v38, v86
	v_add_f32_e32 v37, v37, v42
	s_waitcnt lgkmcnt(1)
	v_mul_f32_e32 v91, v53, v67
	v_mul_f32_e32 v67, v54, v67
	v_fmac_f32_e32 v88, v48, v75
	s_waitcnt vmcnt(5)
	v_fma_f32 v44, v51, v77, -v66
	v_add_f32_e32 v38, v38, v87
	v_add_f32_e32 v37, v37, v43
	v_fmac_f32_e32 v89, v50, v76
	s_waitcnt vmcnt(4)
	v_fma_f32 v45, v53, v78, -v67
	v_add_f32_e32 v38, v38, v88
	v_add_f32_e32 v37, v37, v44
	v_mul_f32_e32 v39, v56, v68
	v_fmac_f32_e32 v90, v52, v77
	v_add_f32_e32 v38, v38, v89
	v_add_f32_e32 v37, v37, v45
	s_waitcnt vmcnt(3)
	v_fma_f32 v39, v55, v79, -v39
	v_mul_f32_e32 v92, v55, v68
	v_fmac_f32_e32 v91, v54, v78
	v_add_f32_e32 v38, v38, v90
	v_add_f32_e32 v37, v37, v39
	s_waitcnt lgkmcnt(0)
	v_mul_f32_e32 v39, v58, v69
	v_mul_f32_e32 v93, v57, v69
	v_fmac_f32_e32 v92, v56, v79
	v_add_f32_e32 v38, v38, v91
	s_waitcnt vmcnt(2)
	v_fma_f32 v39, v57, v80, -v39
	v_fmac_f32_e32 v93, v58, v80
	v_add_f32_e32 v38, v38, v92
	v_add_f32_e32 v37, v37, v39
	;; [unrolled: 1-line block ×3, first 2 shown]
	s_waitcnt vmcnt(1)
	v_sub_f32_e32 v37, v81, v37
	s_waitcnt vmcnt(0)
	v_sub_f32_e32 v38, v82, v38
	buffer_store_dword v37, off, s[0:3], 0 offset:40
	buffer_store_dword v38, off, s[0:3], 0 offset:44
	s_and_saveexec_b64 s[4:5], vcc
	s_cbranch_execz .LBB80_107
; %bb.106:
	buffer_load_dword v37, off, s[0:3], 0 offset:32
	buffer_load_dword v38, off, s[0:3], 0 offset:36
	s_waitcnt vmcnt(0)
	ds_write_b64 v35, v[37:38]
	buffer_store_dword v36, off, s[0:3], 0 offset:32
	buffer_store_dword v36, off, s[0:3], 0 offset:36
.LBB80_107:
	s_or_b64 exec, exec, s[4:5]
	s_waitcnt lgkmcnt(0)
	; wave barrier
	buffer_load_dword v61, off, s[0:3], 0 offset:44
	buffer_load_dword v62, off, s[0:3], 0 offset:52
	;; [unrolled: 1-line block ×26, first 2 shown]
	ds_read2_b64 v[37:40], v36 offset0:23 offset1:24
	ds_read2_b64 v[41:44], v36 offset0:25 offset1:26
	ds_read2_b64 v[45:48], v36 offset0:27 offset1:28
	ds_read2_b64 v[49:52], v36 offset0:29 offset1:30
	ds_read2_b64 v[53:56], v36 offset0:31 offset1:32
	ds_read2_b64 v[57:60], v36 offset0:33 offset1:34
	v_cmp_lt_u32_e32 vcc, 3, v0
	s_waitcnt vmcnt(25) lgkmcnt(5)
	v_mul_f32_e32 v36, v37, v61
	v_mul_f32_e32 v61, v38, v61
	s_waitcnt vmcnt(24)
	v_mul_f32_e32 v87, v39, v62
	v_mul_f32_e32 v62, v40, v62
	s_waitcnt vmcnt(23) lgkmcnt(4)
	v_mul_f32_e32 v88, v41, v63
	v_mul_f32_e32 v63, v42, v63
	s_waitcnt vmcnt(22)
	v_mul_f32_e32 v89, v43, v64
	v_mul_f32_e32 v64, v44, v64
	;; [unrolled: 6-line block ×3, first 2 shown]
	s_waitcnt vmcnt(13)
	v_fma_f32 v37, v37, v73, -v61
	v_fmac_f32_e32 v36, v38, v73
	s_waitcnt vmcnt(12)
	v_fma_f32 v38, v39, v74, -v62
	v_add_f32_e32 v37, 0, v37
	s_waitcnt vmcnt(11)
	v_fma_f32 v39, v41, v75, -v63
	v_add_f32_e32 v37, v37, v38
	v_fmac_f32_e32 v87, v40, v74
	s_waitcnt vmcnt(10)
	v_fma_f32 v40, v43, v76, -v64
	v_add_f32_e32 v37, v37, v39
	s_waitcnt vmcnt(9)
	v_fma_f32 v41, v45, v77, -v65
	v_add_f32_e32 v37, v37, v40
	s_waitcnt lgkmcnt(2)
	v_mul_f32_e32 v92, v49, v67
	v_mul_f32_e32 v67, v50, v67
	v_fmac_f32_e32 v88, v42, v75
	s_waitcnt vmcnt(8)
	v_fma_f32 v42, v47, v78, -v66
	v_add_f32_e32 v36, 0, v36
	v_add_f32_e32 v37, v37, v41
	v_mul_f32_e32 v93, v51, v68
	v_mul_f32_e32 v68, v52, v68
	s_waitcnt vmcnt(7)
	v_fma_f32 v43, v49, v79, -v67
	v_add_f32_e32 v36, v36, v87
	v_add_f32_e32 v37, v37, v42
	v_fmac_f32_e32 v89, v44, v76
	s_waitcnt vmcnt(6)
	v_fma_f32 v44, v51, v80, -v68
	v_add_f32_e32 v36, v36, v88
	v_add_f32_e32 v37, v37, v43
	s_waitcnt lgkmcnt(1)
	v_mul_f32_e32 v38, v54, v69
	v_fmac_f32_e32 v90, v46, v77
	v_add_f32_e32 v36, v36, v89
	v_add_f32_e32 v37, v37, v44
	s_waitcnt vmcnt(5)
	v_fma_f32 v38, v53, v81, -v38
	v_fmac_f32_e32 v91, v48, v78
	v_add_f32_e32 v36, v36, v90
	v_add_f32_e32 v37, v37, v38
	v_mul_f32_e32 v38, v56, v70
	v_fmac_f32_e32 v92, v50, v79
	v_add_f32_e32 v36, v36, v91
	s_waitcnt vmcnt(4)
	v_fma_f32 v38, v55, v82, -v38
	v_mul_f32_e32 v94, v53, v69
	v_fmac_f32_e32 v93, v52, v80
	v_add_f32_e32 v36, v36, v92
	v_add_f32_e32 v37, v37, v38
	s_waitcnt lgkmcnt(0)
	v_mul_f32_e32 v38, v58, v71
	v_mul_f32_e32 v95, v55, v70
	v_fmac_f32_e32 v94, v54, v81
	v_add_f32_e32 v36, v36, v93
	s_waitcnt vmcnt(3)
	v_fma_f32 v38, v57, v83, -v38
	v_mul_f32_e32 v96, v57, v71
	v_fmac_f32_e32 v95, v56, v82
	v_add_f32_e32 v36, v36, v94
	v_add_f32_e32 v37, v37, v38
	v_mul_f32_e32 v38, v60, v72
	v_mul_f32_e32 v97, v59, v72
	v_fmac_f32_e32 v96, v58, v83
	v_add_f32_e32 v36, v36, v95
	s_waitcnt vmcnt(2)
	v_fma_f32 v38, v59, v84, -v38
	v_fmac_f32_e32 v97, v60, v84
	v_add_f32_e32 v36, v36, v96
	v_add_f32_e32 v37, v37, v38
	;; [unrolled: 1-line block ×3, first 2 shown]
	s_waitcnt vmcnt(1)
	v_sub_f32_e32 v37, v85, v37
	s_waitcnt vmcnt(0)
	v_sub_f32_e32 v36, v86, v36
	buffer_store_dword v37, off, s[0:3], 0 offset:32
	buffer_store_dword v36, off, s[0:3], 0 offset:36
	s_and_saveexec_b64 s[4:5], vcc
	s_cbranch_execz .LBB80_109
; %bb.108:
	buffer_load_dword v36, off, s[0:3], 0 offset:24
	buffer_load_dword v37, off, s[0:3], 0 offset:28
	v_mov_b32_e32 v38, 0
	buffer_store_dword v38, off, s[0:3], 0 offset:24
	buffer_store_dword v38, off, s[0:3], 0 offset:28
	s_waitcnt vmcnt(2)
	ds_write_b64 v35, v[36:37]
.LBB80_109:
	s_or_b64 exec, exec, s[4:5]
	s_waitcnt lgkmcnt(0)
	; wave barrier
	buffer_load_dword v63, off, s[0:3], 0 offset:36
	buffer_load_dword v64, off, s[0:3], 0 offset:44
	;; [unrolled: 1-line block ×28, first 2 shown]
	v_mov_b32_e32 v36, 0
	ds_read_b128 v[37:40], v36 offset:176
	ds_read_b128 v[41:44], v36 offset:192
	;; [unrolled: 1-line block ×6, first 2 shown]
	ds_read_b64 v[61:62], v36 offset:272
	v_cmp_lt_u32_e32 vcc, 2, v0
	s_waitcnt vmcnt(27) lgkmcnt(6)
	v_mul_f32_e32 v91, v37, v63
	v_mul_f32_e32 v63, v38, v63
	s_waitcnt vmcnt(26)
	v_mul_f32_e32 v92, v39, v64
	v_mul_f32_e32 v64, v40, v64
	s_waitcnt vmcnt(25) lgkmcnt(5)
	v_mul_f32_e32 v93, v41, v65
	v_mul_f32_e32 v65, v42, v65
	s_waitcnt vmcnt(24)
	v_mul_f32_e32 v94, v43, v66
	v_mul_f32_e32 v66, v44, v66
	;; [unrolled: 6-line block ×3, first 2 shown]
	s_waitcnt vmcnt(21) lgkmcnt(3)
	v_mul_f32_e32 v97, v49, v69
	s_waitcnt vmcnt(14)
	v_fma_f32 v37, v37, v76, -v63
	v_fmac_f32_e32 v91, v38, v76
	s_waitcnt vmcnt(13)
	v_fma_f32 v38, v39, v77, -v64
	v_add_f32_e32 v37, 0, v37
	s_waitcnt vmcnt(12)
	v_fma_f32 v39, v41, v78, -v65
	v_add_f32_e32 v37, v37, v38
	v_fmac_f32_e32 v92, v40, v77
	s_waitcnt vmcnt(11)
	v_fma_f32 v40, v43, v79, -v66
	v_add_f32_e32 v37, v37, v39
	s_waitcnt vmcnt(10)
	v_fma_f32 v41, v45, v80, -v67
	v_add_f32_e32 v37, v37, v40
	v_fmac_f32_e32 v93, v42, v78
	s_waitcnt vmcnt(9)
	v_fma_f32 v42, v47, v81, -v68
	v_add_f32_e32 v37, v37, v41
	v_mul_f32_e32 v39, v50, v69
	v_add_f32_e32 v37, v37, v42
	s_waitcnt vmcnt(8)
	v_fma_f32 v39, v49, v82, -v39
	v_add_f32_e32 v37, v37, v39
	v_mul_f32_e32 v39, v52, v70
	v_add_f32_e32 v43, 0, v91
	s_waitcnt vmcnt(7)
	v_fma_f32 v39, v51, v83, -v39
	v_add_f32_e32 v43, v43, v92
	v_add_f32_e32 v37, v37, v39
	s_waitcnt lgkmcnt(2)
	v_mul_f32_e32 v39, v54, v71
	v_fmac_f32_e32 v94, v44, v79
	v_add_f32_e32 v38, v43, v93
	s_waitcnt vmcnt(6)
	v_fma_f32 v39, v53, v84, -v39
	v_fmac_f32_e32 v95, v46, v80
	v_add_f32_e32 v38, v38, v94
	v_add_f32_e32 v37, v37, v39
	v_mul_f32_e32 v39, v56, v72
	v_fmac_f32_e32 v96, v48, v81
	v_add_f32_e32 v38, v38, v95
	s_waitcnt vmcnt(5)
	v_fma_f32 v39, v55, v85, -v39
	v_mul_f32_e32 v98, v51, v70
	v_fmac_f32_e32 v97, v50, v82
	v_add_f32_e32 v38, v38, v96
	v_add_f32_e32 v37, v37, v39
	s_waitcnt lgkmcnt(1)
	v_mul_f32_e32 v39, v58, v73
	v_mul_f32_e32 v99, v53, v71
	v_fmac_f32_e32 v98, v52, v83
	v_add_f32_e32 v38, v38, v97
	s_waitcnt vmcnt(4)
	v_fma_f32 v39, v57, v86, -v39
	v_mul_f32_e32 v100, v55, v72
	v_fmac_f32_e32 v99, v54, v84
	v_add_f32_e32 v38, v38, v98
	v_add_f32_e32 v37, v37, v39
	v_mul_f32_e32 v39, v60, v74
	v_mul_f32_e32 v101, v57, v73
	v_fmac_f32_e32 v100, v56, v85
	v_add_f32_e32 v38, v38, v99
	s_waitcnt vmcnt(3)
	v_fma_f32 v39, v59, v87, -v39
	v_mul_f32_e32 v102, v59, v74
	v_fmac_f32_e32 v101, v58, v86
	v_add_f32_e32 v38, v38, v100
	v_add_f32_e32 v37, v37, v39
	s_waitcnt lgkmcnt(0)
	v_mul_f32_e32 v39, v62, v75
	v_mul_f32_e32 v103, v61, v75
	v_fmac_f32_e32 v102, v60, v87
	v_add_f32_e32 v38, v38, v101
	s_waitcnt vmcnt(2)
	v_fma_f32 v39, v61, v88, -v39
	v_fmac_f32_e32 v103, v62, v88
	v_add_f32_e32 v38, v38, v102
	v_add_f32_e32 v37, v37, v39
	;; [unrolled: 1-line block ×3, first 2 shown]
	s_waitcnt vmcnt(1)
	v_sub_f32_e32 v37, v89, v37
	s_waitcnt vmcnt(0)
	v_sub_f32_e32 v38, v90, v38
	buffer_store_dword v37, off, s[0:3], 0 offset:24
	buffer_store_dword v38, off, s[0:3], 0 offset:28
	s_and_saveexec_b64 s[4:5], vcc
	s_cbranch_execz .LBB80_111
; %bb.110:
	buffer_load_dword v37, off, s[0:3], 0 offset:16
	buffer_load_dword v38, off, s[0:3], 0 offset:20
	s_waitcnt vmcnt(0)
	ds_write_b64 v35, v[37:38]
	buffer_store_dword v36, off, s[0:3], 0 offset:16
	buffer_store_dword v36, off, s[0:3], 0 offset:20
.LBB80_111:
	s_or_b64 exec, exec, s[4:5]
	s_waitcnt lgkmcnt(0)
	; wave barrier
	buffer_load_dword v65, off, s[0:3], 0 offset:28
	buffer_load_dword v66, off, s[0:3], 0 offset:36
	;; [unrolled: 1-line block ×30, first 2 shown]
	ds_read2_b64 v[37:40], v36 offset0:21 offset1:22
	ds_read2_b64 v[41:44], v36 offset0:23 offset1:24
	;; [unrolled: 1-line block ×7, first 2 shown]
	v_cmp_lt_u32_e32 vcc, 1, v0
	s_waitcnt vmcnt(29) lgkmcnt(6)
	v_mul_f32_e32 v36, v37, v65
	v_mul_f32_e32 v65, v38, v65
	s_waitcnt vmcnt(28)
	v_mul_f32_e32 v95, v39, v66
	v_mul_f32_e32 v66, v40, v66
	s_waitcnt vmcnt(27) lgkmcnt(5)
	v_mul_f32_e32 v96, v41, v67
	v_mul_f32_e32 v67, v42, v67
	s_waitcnt vmcnt(26)
	v_mul_f32_e32 v97, v43, v68
	v_mul_f32_e32 v68, v44, v68
	s_waitcnt vmcnt(25) lgkmcnt(4)
	v_mul_f32_e32 v98, v45, v69
	v_mul_f32_e32 v69, v46, v69
	s_waitcnt vmcnt(24)
	v_mul_f32_e32 v99, v47, v70
	s_waitcnt vmcnt(23) lgkmcnt(3)
	v_mul_f32_e32 v100, v49, v71
	s_waitcnt vmcnt(22)
	v_mul_f32_e32 v101, v51, v72
	s_waitcnt vmcnt(21) lgkmcnt(2)
	v_mul_f32_e32 v102, v53, v73
	s_waitcnt vmcnt(15)
	v_fma_f32 v37, v37, v79, -v65
	v_fmac_f32_e32 v36, v38, v79
	s_waitcnt vmcnt(14)
	v_fma_f32 v38, v39, v80, -v66
	v_add_f32_e32 v37, 0, v37
	s_waitcnt vmcnt(13)
	v_fma_f32 v39, v41, v81, -v67
	v_add_f32_e32 v37, v37, v38
	v_fmac_f32_e32 v95, v40, v80
	s_waitcnt vmcnt(12)
	v_fma_f32 v40, v43, v82, -v68
	v_add_f32_e32 v37, v37, v39
	s_waitcnt vmcnt(11)
	v_fma_f32 v41, v45, v83, -v69
	v_add_f32_e32 v37, v37, v40
	v_mul_f32_e32 v38, v48, v70
	v_add_f32_e32 v37, v37, v41
	s_waitcnt vmcnt(10)
	v_fma_f32 v38, v47, v84, -v38
	v_add_f32_e32 v37, v37, v38
	v_mul_f32_e32 v38, v50, v71
	s_waitcnt vmcnt(9)
	v_fma_f32 v38, v49, v85, -v38
	v_add_f32_e32 v37, v37, v38
	v_mul_f32_e32 v38, v52, v72
	s_waitcnt vmcnt(8)
	v_fma_f32 v38, v51, v86, -v38
	v_add_f32_e32 v36, 0, v36
	v_add_f32_e32 v37, v37, v38
	v_mul_f32_e32 v38, v54, v73
	v_fmac_f32_e32 v96, v42, v81
	v_add_f32_e32 v36, v36, v95
	s_waitcnt vmcnt(7)
	v_fma_f32 v38, v53, v87, -v38
	v_fmac_f32_e32 v97, v44, v82
	v_add_f32_e32 v36, v36, v96
	v_add_f32_e32 v37, v37, v38
	v_mul_f32_e32 v38, v56, v74
	v_fmac_f32_e32 v98, v46, v83
	v_add_f32_e32 v36, v36, v97
	s_waitcnt vmcnt(6)
	v_fma_f32 v38, v55, v88, -v38
	v_fmac_f32_e32 v99, v48, v84
	v_add_f32_e32 v36, v36, v98
	v_add_f32_e32 v37, v37, v38
	s_waitcnt lgkmcnt(1)
	v_mul_f32_e32 v38, v58, v75
	v_fmac_f32_e32 v100, v50, v85
	v_add_f32_e32 v36, v36, v99
	s_waitcnt vmcnt(5)
	v_fma_f32 v38, v57, v89, -v38
	v_fmac_f32_e32 v101, v52, v86
	v_add_f32_e32 v36, v36, v100
	v_add_f32_e32 v37, v37, v38
	v_mul_f32_e32 v38, v60, v76
	v_mul_f32_e32 v103, v55, v74
	v_fmac_f32_e32 v102, v54, v87
	v_add_f32_e32 v36, v36, v101
	s_waitcnt vmcnt(4)
	v_fma_f32 v38, v59, v90, -v38
	v_mul_f32_e32 v104, v57, v75
	v_fmac_f32_e32 v103, v56, v88
	v_add_f32_e32 v36, v36, v102
	v_add_f32_e32 v37, v37, v38
	s_waitcnt lgkmcnt(0)
	v_mul_f32_e32 v38, v62, v77
	v_mul_f32_e32 v105, v59, v76
	v_fmac_f32_e32 v104, v58, v89
	v_add_f32_e32 v36, v36, v103
	s_waitcnt vmcnt(3)
	v_fma_f32 v38, v61, v91, -v38
	v_mul_f32_e32 v106, v61, v77
	v_fmac_f32_e32 v105, v60, v90
	v_add_f32_e32 v36, v36, v104
	v_add_f32_e32 v37, v37, v38
	v_mul_f32_e32 v38, v64, v78
	v_mul_f32_e32 v107, v63, v78
	v_fmac_f32_e32 v106, v62, v91
	v_add_f32_e32 v36, v36, v105
	s_waitcnt vmcnt(2)
	v_fma_f32 v38, v63, v92, -v38
	v_fmac_f32_e32 v107, v64, v92
	v_add_f32_e32 v36, v36, v106
	v_add_f32_e32 v37, v37, v38
	v_add_f32_e32 v36, v36, v107
	s_waitcnt vmcnt(1)
	v_sub_f32_e32 v37, v93, v37
	s_waitcnt vmcnt(0)
	v_sub_f32_e32 v36, v94, v36
	buffer_store_dword v37, off, s[0:3], 0 offset:16
	buffer_store_dword v36, off, s[0:3], 0 offset:20
	s_and_saveexec_b64 s[4:5], vcc
	s_cbranch_execz .LBB80_113
; %bb.112:
	buffer_load_dword v36, off, s[0:3], 0 offset:8
	buffer_load_dword v37, off, s[0:3], 0 offset:12
	v_mov_b32_e32 v38, 0
	buffer_store_dword v38, off, s[0:3], 0 offset:8
	buffer_store_dword v38, off, s[0:3], 0 offset:12
	s_waitcnt vmcnt(2)
	ds_write_b64 v35, v[36:37]
.LBB80_113:
	s_or_b64 exec, exec, s[4:5]
	s_waitcnt lgkmcnt(0)
	; wave barrier
	buffer_load_dword v67, off, s[0:3], 0 offset:20
	buffer_load_dword v68, off, s[0:3], 0 offset:28
	;; [unrolled: 1-line block ×32, first 2 shown]
	v_mov_b32_e32 v36, 0
	ds_read_b128 v[37:40], v36 offset:160
	ds_read_b128 v[41:44], v36 offset:176
	;; [unrolled: 1-line block ×7, first 2 shown]
	ds_read_b64 v[65:66], v36 offset:272
	v_cmp_ne_u32_e32 vcc, 0, v0
	s_waitcnt vmcnt(31) lgkmcnt(7)
	v_mul_f32_e32 v99, v37, v67
	v_mul_f32_e32 v67, v38, v67
	s_waitcnt vmcnt(30)
	v_mul_f32_e32 v100, v39, v68
	v_mul_f32_e32 v68, v40, v68
	s_waitcnt vmcnt(29) lgkmcnt(6)
	v_mul_f32_e32 v101, v41, v69
	v_mul_f32_e32 v69, v42, v69
	s_waitcnt vmcnt(28)
	v_mul_f32_e32 v102, v43, v70
	s_waitcnt vmcnt(27) lgkmcnt(5)
	v_mul_f32_e32 v103, v45, v71
	s_waitcnt vmcnt(26)
	v_mul_f32_e32 v104, v47, v72
	s_waitcnt vmcnt(25) lgkmcnt(4)
	;; [unrolled: 4-line block ×4, first 2 shown]
	v_mul_f32_e32 v109, v57, v77
	s_waitcnt vmcnt(20)
	v_mul_f32_e32 v110, v59, v78
	s_waitcnt vmcnt(16)
	v_fma_f32 v37, v37, v82, -v67
	v_fmac_f32_e32 v99, v38, v82
	s_waitcnt vmcnt(15)
	v_fma_f32 v38, v39, v83, -v68
	v_add_f32_e32 v37, 0, v37
	s_waitcnt vmcnt(14)
	v_fma_f32 v39, v41, v84, -v69
	v_add_f32_e32 v37, v37, v38
	v_add_f32_e32 v37, v37, v39
	v_mul_f32_e32 v39, v44, v70
	s_waitcnt vmcnt(13)
	v_fma_f32 v39, v43, v85, -v39
	v_add_f32_e32 v37, v37, v39
	v_mul_f32_e32 v39, v46, v71
	s_waitcnt vmcnt(12)
	v_fma_f32 v39, v45, v86, -v39
	;; [unrolled: 4-line block ×5, first 2 shown]
	v_add_f32_e32 v37, v37, v39
	v_mul_f32_e32 v39, v54, v75
	v_fmac_f32_e32 v100, v40, v83
	v_add_f32_e32 v40, 0, v99
	s_waitcnt vmcnt(8)
	v_fma_f32 v39, v53, v90, -v39
	v_fmac_f32_e32 v101, v42, v84
	v_add_f32_e32 v40, v40, v100
	v_add_f32_e32 v37, v37, v39
	v_mul_f32_e32 v39, v56, v76
	v_fmac_f32_e32 v102, v44, v85
	v_add_f32_e32 v38, v40, v101
	s_waitcnt vmcnt(7)
	v_fma_f32 v39, v55, v91, -v39
	v_fmac_f32_e32 v103, v46, v86
	v_add_f32_e32 v38, v38, v102
	;; [unrolled: 8-line block ×4, first 2 shown]
	v_add_f32_e32 v37, v37, v39
	s_waitcnt lgkmcnt(1)
	v_mul_f32_e32 v39, v62, v79
	v_fmac_f32_e32 v108, v56, v91
	v_add_f32_e32 v38, v38, v107
	s_waitcnt vmcnt(4)
	v_fma_f32 v39, v61, v94, -v39
	v_fmac_f32_e32 v109, v58, v92
	v_add_f32_e32 v38, v38, v108
	v_add_f32_e32 v37, v37, v39
	v_mul_f32_e32 v39, v64, v80
	v_mul_f32_e32 v111, v61, v79
	v_fmac_f32_e32 v110, v60, v93
	v_add_f32_e32 v38, v38, v109
	s_waitcnt vmcnt(3)
	v_fma_f32 v39, v63, v95, -v39
	v_mul_f32_e32 v112, v63, v80
	v_fmac_f32_e32 v111, v62, v94
	v_add_f32_e32 v38, v38, v110
	v_add_f32_e32 v37, v37, v39
	s_waitcnt lgkmcnt(0)
	v_mul_f32_e32 v39, v66, v81
	v_mul_f32_e32 v113, v65, v81
	v_fmac_f32_e32 v112, v64, v95
	v_add_f32_e32 v38, v38, v111
	s_waitcnt vmcnt(2)
	v_fma_f32 v39, v65, v96, -v39
	v_fmac_f32_e32 v113, v66, v96
	v_add_f32_e32 v38, v38, v112
	v_add_f32_e32 v37, v37, v39
	v_add_f32_e32 v38, v38, v113
	s_waitcnt vmcnt(1)
	v_sub_f32_e32 v37, v97, v37
	s_waitcnt vmcnt(0)
	v_sub_f32_e32 v38, v98, v38
	buffer_store_dword v37, off, s[0:3], 0 offset:8
	buffer_store_dword v38, off, s[0:3], 0 offset:12
	s_and_saveexec_b64 s[4:5], vcc
	s_cbranch_execz .LBB80_115
; %bb.114:
	buffer_load_dword v37, off, s[0:3], 0
	buffer_load_dword v38, off, s[0:3], 0 offset:4
	s_waitcnt vmcnt(0)
	ds_write_b64 v35, v[37:38]
	buffer_store_dword v36, off, s[0:3], 0
	buffer_store_dword v36, off, s[0:3], 0 offset:4
.LBB80_115:
	s_or_b64 exec, exec, s[4:5]
	s_waitcnt lgkmcnt(0)
	; wave barrier
	buffer_load_dword v69, off, s[0:3], 0 offset:12
	buffer_load_dword v70, off, s[0:3], 0 offset:20
	;; [unrolled: 1-line block ×32, first 2 shown]
	buffer_load_dword v99, off, s[0:3], 0
	buffer_load_dword v100, off, s[0:3], 0 offset:4
	ds_read2_b64 v[37:40], v36 offset0:19 offset1:20
	ds_read2_b64 v[41:44], v36 offset0:21 offset1:22
	;; [unrolled: 1-line block ×8, first 2 shown]
	s_and_b64 vcc, exec, s[14:15]
	s_waitcnt vmcnt(33) lgkmcnt(7)
	v_mul_f32_e32 v36, v37, v69
	v_mul_f32_e32 v69, v38, v69
	s_waitcnt vmcnt(32)
	v_mul_f32_e32 v101, v39, v70
	v_mul_f32_e32 v70, v40, v70
	s_waitcnt vmcnt(31) lgkmcnt(6)
	v_mul_f32_e32 v102, v41, v71
	s_waitcnt vmcnt(30)
	v_mul_f32_e32 v103, v43, v72
	s_waitcnt vmcnt(29) lgkmcnt(5)
	v_mul_f32_e32 v104, v45, v73
	s_waitcnt vmcnt(28)
	;; [unrolled: 4-line block ×6, first 2 shown]
	v_mul_f32_e32 v113, v63, v82
	s_waitcnt vmcnt(17)
	v_fma_f32 v37, v37, v84, -v69
	v_fmac_f32_e32 v36, v38, v84
	s_waitcnt vmcnt(16)
	v_fma_f32 v38, v39, v85, -v70
	v_add_f32_e32 v37, 0, v37
	v_add_f32_e32 v37, v37, v38
	v_mul_f32_e32 v38, v42, v71
	s_waitcnt vmcnt(15)
	v_fma_f32 v38, v41, v86, -v38
	v_add_f32_e32 v37, v37, v38
	v_mul_f32_e32 v38, v44, v72
	s_waitcnt vmcnt(14)
	v_fma_f32 v38, v43, v87, -v38
	;; [unrolled: 4-line block ×7, first 2 shown]
	v_fmac_f32_e32 v101, v40, v85
	v_add_f32_e32 v36, 0, v36
	v_add_f32_e32 v37, v37, v38
	v_mul_f32_e32 v38, v56, v78
	v_fmac_f32_e32 v102, v42, v86
	v_add_f32_e32 v36, v36, v101
	s_waitcnt vmcnt(8)
	v_fma_f32 v38, v55, v93, -v38
	v_fmac_f32_e32 v103, v44, v87
	v_add_f32_e32 v36, v36, v102
	v_add_f32_e32 v37, v37, v38
	v_mul_f32_e32 v38, v58, v79
	v_fmac_f32_e32 v104, v46, v88
	v_add_f32_e32 v36, v36, v103
	s_waitcnt vmcnt(7)
	v_fma_f32 v38, v57, v94, -v38
	;; [unrolled: 8-line block ×5, first 2 shown]
	v_fmac_f32_e32 v111, v60, v95
	v_add_f32_e32 v36, v36, v110
	v_add_f32_e32 v37, v37, v38
	s_waitcnt lgkmcnt(0)
	v_mul_f32_e32 v38, v66, v0
	v_fmac_f32_e32 v112, v62, v96
	v_add_f32_e32 v36, v36, v111
	s_waitcnt vmcnt(3)
	v_fma_f32 v38, v65, v35, -v38
	v_mul_f32_e32 v114, v65, v0
	v_fmac_f32_e32 v113, v64, v97
	v_add_f32_e32 v36, v36, v112
	v_add_f32_e32 v37, v37, v38
	v_mul_f32_e32 v38, v68, v83
	v_mul_f32_e32 v115, v67, v83
	v_fmac_f32_e32 v114, v66, v35
	v_add_f32_e32 v36, v36, v113
	s_waitcnt vmcnt(2)
	v_fma_f32 v38, v67, v98, -v38
	v_fmac_f32_e32 v115, v68, v98
	v_add_f32_e32 v36, v36, v114
	v_add_f32_e32 v37, v37, v38
	;; [unrolled: 1-line block ×3, first 2 shown]
	s_waitcnt vmcnt(1)
	v_sub_f32_e32 v37, v99, v37
	s_waitcnt vmcnt(0)
	v_sub_f32_e32 v36, v100, v36
	buffer_store_dword v37, off, s[0:3], 0
	buffer_store_dword v36, off, s[0:3], 0 offset:4
	s_cbranch_vccz .LBB80_148
; %bb.116:
	v_mov_b32_e32 v36, 0
	global_load_dword v37, v36, s[12:13] offset:60
	s_waitcnt vmcnt(0)
	v_add_u32_e32 v37, -1, v37
	v_cmp_ne_u32_e32 vcc, 15, v37
	s_cbranch_vccz .LBB80_118
; %bb.117:
	v_lshlrev_b32_e32 v37, 3, v37
	buffer_load_dword v38, v37, s[0:3], 0 offen
	buffer_load_dword v39, v37, s[0:3], 0 offen offset:4
	s_waitcnt vmcnt(1)
	buffer_store_dword v38, off, s[0:3], 0 offset:120
	s_waitcnt vmcnt(1)
	buffer_store_dword v39, off, s[0:3], 0 offset:124
	buffer_store_dword v35, v37, s[0:3], 0 offen
	buffer_store_dword v0, v37, s[0:3], 0 offen offset:4
.LBB80_118:
	global_load_dword v0, v36, s[12:13] offset:56
	s_waitcnt vmcnt(0)
	v_add_u32_e32 v0, -1, v0
	v_cmp_eq_u32_e32 vcc, 14, v0
	s_cbranch_vccnz .LBB80_120
; %bb.119:
	v_lshlrev_b32_e32 v0, 3, v0
	buffer_load_dword v35, v0, s[0:3], 0 offen
	buffer_load_dword v36, v0, s[0:3], 0 offen offset:4
	buffer_load_dword v37, off, s[0:3], 0 offset:116
	buffer_load_dword v38, off, s[0:3], 0 offset:112
	s_waitcnt vmcnt(3)
	buffer_store_dword v35, off, s[0:3], 0 offset:112
	s_waitcnt vmcnt(3)
	buffer_store_dword v36, off, s[0:3], 0 offset:116
	s_waitcnt vmcnt(3)
	buffer_store_dword v37, v0, s[0:3], 0 offen offset:4
	s_waitcnt vmcnt(3)
	buffer_store_dword v38, v0, s[0:3], 0 offen
.LBB80_120:
	v_mov_b32_e32 v0, 0
	global_load_dword v35, v0, s[12:13] offset:52
	s_waitcnt vmcnt(0)
	v_add_u32_e32 v35, -1, v35
	v_cmp_eq_u32_e32 vcc, 13, v35
	s_cbranch_vccnz .LBB80_122
; %bb.121:
	v_lshlrev_b32_e32 v35, 3, v35
	buffer_load_dword v36, v35, s[0:3], 0 offen
	buffer_load_dword v37, v35, s[0:3], 0 offen offset:4
	buffer_load_dword v38, off, s[0:3], 0 offset:104
	buffer_load_dword v39, off, s[0:3], 0 offset:108
	s_waitcnt vmcnt(3)
	buffer_store_dword v36, off, s[0:3], 0 offset:104
	s_waitcnt vmcnt(3)
	buffer_store_dword v37, off, s[0:3], 0 offset:108
	s_waitcnt vmcnt(3)
	buffer_store_dword v38, v35, s[0:3], 0 offen
	s_waitcnt vmcnt(3)
	buffer_store_dword v39, v35, s[0:3], 0 offen offset:4
.LBB80_122:
	global_load_dword v0, v0, s[12:13] offset:48
	s_waitcnt vmcnt(0)
	v_add_u32_e32 v0, -1, v0
	v_cmp_eq_u32_e32 vcc, 12, v0
	s_cbranch_vccnz .LBB80_124
; %bb.123:
	v_lshlrev_b32_e32 v0, 3, v0
	buffer_load_dword v35, v0, s[0:3], 0 offen
	buffer_load_dword v36, v0, s[0:3], 0 offen offset:4
	buffer_load_dword v37, off, s[0:3], 0 offset:100
	buffer_load_dword v38, off, s[0:3], 0 offset:96
	s_waitcnt vmcnt(3)
	buffer_store_dword v35, off, s[0:3], 0 offset:96
	s_waitcnt vmcnt(3)
	buffer_store_dword v36, off, s[0:3], 0 offset:100
	s_waitcnt vmcnt(3)
	buffer_store_dword v37, v0, s[0:3], 0 offen offset:4
	s_waitcnt vmcnt(3)
	buffer_store_dword v38, v0, s[0:3], 0 offen
.LBB80_124:
	v_mov_b32_e32 v0, 0
	global_load_dword v35, v0, s[12:13] offset:44
	s_waitcnt vmcnt(0)
	v_add_u32_e32 v35, -1, v35
	v_cmp_eq_u32_e32 vcc, 11, v35
	s_cbranch_vccnz .LBB80_126
; %bb.125:
	v_lshlrev_b32_e32 v35, 3, v35
	buffer_load_dword v36, v35, s[0:3], 0 offen
	buffer_load_dword v37, v35, s[0:3], 0 offen offset:4
	buffer_load_dword v38, off, s[0:3], 0 offset:88
	buffer_load_dword v39, off, s[0:3], 0 offset:92
	s_waitcnt vmcnt(3)
	buffer_store_dword v36, off, s[0:3], 0 offset:88
	s_waitcnt vmcnt(3)
	buffer_store_dword v37, off, s[0:3], 0 offset:92
	s_waitcnt vmcnt(3)
	buffer_store_dword v38, v35, s[0:3], 0 offen
	s_waitcnt vmcnt(3)
	buffer_store_dword v39, v35, s[0:3], 0 offen offset:4
.LBB80_126:
	;; [unrolled: 41-line block ×7, first 2 shown]
	global_load_dword v0, v0, s[12:13]
	s_waitcnt vmcnt(0)
	v_add_u32_e32 v0, -1, v0
	v_cmp_eq_u32_e32 vcc, 0, v0
	s_cbranch_vccnz .LBB80_148
; %bb.147:
	v_lshlrev_b32_e32 v0, 3, v0
	buffer_load_dword v35, v0, s[0:3], 0 offen
	buffer_load_dword v36, v0, s[0:3], 0 offen offset:4
	buffer_load_dword v37, off, s[0:3], 0 offset:4
	buffer_load_dword v38, off, s[0:3], 0
	s_waitcnt vmcnt(3)
	buffer_store_dword v35, off, s[0:3], 0
	s_waitcnt vmcnt(3)
	buffer_store_dword v36, off, s[0:3], 0 offset:4
	s_waitcnt vmcnt(3)
	buffer_store_dword v37, v0, s[0:3], 0 offen offset:4
	s_waitcnt vmcnt(3)
	buffer_store_dword v38, v0, s[0:3], 0 offen
.LBB80_148:
	buffer_load_dword v35, off, s[0:3], 0
	buffer_load_dword v36, off, s[0:3], 0 offset:4
	s_waitcnt vmcnt(0)
	flat_store_dwordx2 v[1:2], v[35:36]
	buffer_load_dword v0, off, s[0:3], 0 offset:8
	s_nop 0
	buffer_load_dword v1, off, s[0:3], 0 offset:12
	s_waitcnt vmcnt(0)
	flat_store_dwordx2 v[3:4], v[0:1]
	buffer_load_dword v0, off, s[0:3], 0 offset:16
	s_nop 0
	;; [unrolled: 5-line block ×16, first 2 shown]
	buffer_load_dword v1, off, s[0:3], 0 offset:132
	s_waitcnt vmcnt(0)
	flat_store_dwordx2 v[33:34], v[0:1]
	s_endpgm
	.section	.rodata,"a",@progbits
	.p2align	6, 0x0
	.amdhsa_kernel _ZN9rocsolver6v33100L18getri_kernel_smallILi17E19rocblas_complex_numIfEPKPS3_EEvT1_iilPiilS8_bb
		.amdhsa_group_segment_fixed_size 280
		.amdhsa_private_segment_fixed_size 144
		.amdhsa_kernarg_size 60
		.amdhsa_user_sgpr_count 6
		.amdhsa_user_sgpr_private_segment_buffer 1
		.amdhsa_user_sgpr_dispatch_ptr 0
		.amdhsa_user_sgpr_queue_ptr 0
		.amdhsa_user_sgpr_kernarg_segment_ptr 1
		.amdhsa_user_sgpr_dispatch_id 0
		.amdhsa_user_sgpr_flat_scratch_init 0
		.amdhsa_user_sgpr_private_segment_size 0
		.amdhsa_uses_dynamic_stack 0
		.amdhsa_system_sgpr_private_segment_wavefront_offset 1
		.amdhsa_system_sgpr_workgroup_id_x 1
		.amdhsa_system_sgpr_workgroup_id_y 0
		.amdhsa_system_sgpr_workgroup_id_z 0
		.amdhsa_system_sgpr_workgroup_info 0
		.amdhsa_system_vgpr_workitem_id 0
		.amdhsa_next_free_vgpr 116
		.amdhsa_next_free_sgpr 21
		.amdhsa_reserve_vcc 1
		.amdhsa_reserve_flat_scratch 0
		.amdhsa_float_round_mode_32 0
		.amdhsa_float_round_mode_16_64 0
		.amdhsa_float_denorm_mode_32 3
		.amdhsa_float_denorm_mode_16_64 3
		.amdhsa_dx10_clamp 1
		.amdhsa_ieee_mode 1
		.amdhsa_fp16_overflow 0
		.amdhsa_exception_fp_ieee_invalid_op 0
		.amdhsa_exception_fp_denorm_src 0
		.amdhsa_exception_fp_ieee_div_zero 0
		.amdhsa_exception_fp_ieee_overflow 0
		.amdhsa_exception_fp_ieee_underflow 0
		.amdhsa_exception_fp_ieee_inexact 0
		.amdhsa_exception_int_div_zero 0
	.end_amdhsa_kernel
	.section	.text._ZN9rocsolver6v33100L18getri_kernel_smallILi17E19rocblas_complex_numIfEPKPS3_EEvT1_iilPiilS8_bb,"axG",@progbits,_ZN9rocsolver6v33100L18getri_kernel_smallILi17E19rocblas_complex_numIfEPKPS3_EEvT1_iilPiilS8_bb,comdat
.Lfunc_end80:
	.size	_ZN9rocsolver6v33100L18getri_kernel_smallILi17E19rocblas_complex_numIfEPKPS3_EEvT1_iilPiilS8_bb, .Lfunc_end80-_ZN9rocsolver6v33100L18getri_kernel_smallILi17E19rocblas_complex_numIfEPKPS3_EEvT1_iilPiilS8_bb
                                        ; -- End function
	.set _ZN9rocsolver6v33100L18getri_kernel_smallILi17E19rocblas_complex_numIfEPKPS3_EEvT1_iilPiilS8_bb.num_vgpr, 116
	.set _ZN9rocsolver6v33100L18getri_kernel_smallILi17E19rocblas_complex_numIfEPKPS3_EEvT1_iilPiilS8_bb.num_agpr, 0
	.set _ZN9rocsolver6v33100L18getri_kernel_smallILi17E19rocblas_complex_numIfEPKPS3_EEvT1_iilPiilS8_bb.numbered_sgpr, 21
	.set _ZN9rocsolver6v33100L18getri_kernel_smallILi17E19rocblas_complex_numIfEPKPS3_EEvT1_iilPiilS8_bb.num_named_barrier, 0
	.set _ZN9rocsolver6v33100L18getri_kernel_smallILi17E19rocblas_complex_numIfEPKPS3_EEvT1_iilPiilS8_bb.private_seg_size, 144
	.set _ZN9rocsolver6v33100L18getri_kernel_smallILi17E19rocblas_complex_numIfEPKPS3_EEvT1_iilPiilS8_bb.uses_vcc, 1
	.set _ZN9rocsolver6v33100L18getri_kernel_smallILi17E19rocblas_complex_numIfEPKPS3_EEvT1_iilPiilS8_bb.uses_flat_scratch, 0
	.set _ZN9rocsolver6v33100L18getri_kernel_smallILi17E19rocblas_complex_numIfEPKPS3_EEvT1_iilPiilS8_bb.has_dyn_sized_stack, 0
	.set _ZN9rocsolver6v33100L18getri_kernel_smallILi17E19rocblas_complex_numIfEPKPS3_EEvT1_iilPiilS8_bb.has_recursion, 0
	.set _ZN9rocsolver6v33100L18getri_kernel_smallILi17E19rocblas_complex_numIfEPKPS3_EEvT1_iilPiilS8_bb.has_indirect_call, 0
	.section	.AMDGPU.csdata,"",@progbits
; Kernel info:
; codeLenInByte = 16964
; TotalNumSgprs: 25
; NumVgprs: 116
; ScratchSize: 144
; MemoryBound: 0
; FloatMode: 240
; IeeeMode: 1
; LDSByteSize: 280 bytes/workgroup (compile time only)
; SGPRBlocks: 3
; VGPRBlocks: 28
; NumSGPRsForWavesPerEU: 25
; NumVGPRsForWavesPerEU: 116
; Occupancy: 2
; WaveLimiterHint : 1
; COMPUTE_PGM_RSRC2:SCRATCH_EN: 1
; COMPUTE_PGM_RSRC2:USER_SGPR: 6
; COMPUTE_PGM_RSRC2:TRAP_HANDLER: 0
; COMPUTE_PGM_RSRC2:TGID_X_EN: 1
; COMPUTE_PGM_RSRC2:TGID_Y_EN: 0
; COMPUTE_PGM_RSRC2:TGID_Z_EN: 0
; COMPUTE_PGM_RSRC2:TIDIG_COMP_CNT: 0
	.section	.text._ZN9rocsolver6v33100L18getri_kernel_smallILi18E19rocblas_complex_numIfEPKPS3_EEvT1_iilPiilS8_bb,"axG",@progbits,_ZN9rocsolver6v33100L18getri_kernel_smallILi18E19rocblas_complex_numIfEPKPS3_EEvT1_iilPiilS8_bb,comdat
	.globl	_ZN9rocsolver6v33100L18getri_kernel_smallILi18E19rocblas_complex_numIfEPKPS3_EEvT1_iilPiilS8_bb ; -- Begin function _ZN9rocsolver6v33100L18getri_kernel_smallILi18E19rocblas_complex_numIfEPKPS3_EEvT1_iilPiilS8_bb
	.p2align	8
	.type	_ZN9rocsolver6v33100L18getri_kernel_smallILi18E19rocblas_complex_numIfEPKPS3_EEvT1_iilPiilS8_bb,@function
_ZN9rocsolver6v33100L18getri_kernel_smallILi18E19rocblas_complex_numIfEPKPS3_EEvT1_iilPiilS8_bb: ; @_ZN9rocsolver6v33100L18getri_kernel_smallILi18E19rocblas_complex_numIfEPKPS3_EEvT1_iilPiilS8_bb
; %bb.0:
	s_add_u32 s0, s0, s7
	s_addc_u32 s1, s1, 0
	v_cmp_gt_u32_e32 vcc, 18, v0
	s_and_saveexec_b64 s[8:9], vcc
	s_cbranch_execz .LBB81_86
; %bb.1:
	s_load_dword s18, s[4:5], 0x38
	s_load_dwordx2 s[12:13], s[4:5], 0x0
	s_load_dwordx4 s[8:11], s[4:5], 0x28
	s_waitcnt lgkmcnt(0)
	s_bitcmp1_b32 s18, 8
	s_cselect_b64 s[14:15], -1, 0
	s_ashr_i32 s7, s6, 31
	s_lshl_b64 s[16:17], s[6:7], 3
	s_add_u32 s12, s12, s16
	s_addc_u32 s13, s13, s17
	s_load_dwordx2 s[16:17], s[12:13], 0x0
	s_bfe_u32 s12, s18, 0x10008
	s_cmp_eq_u32 s12, 0
                                        ; implicit-def: $sgpr12_sgpr13
	s_cbranch_scc1 .LBB81_3
; %bb.2:
	s_load_dword s12, s[4:5], 0x20
	s_load_dwordx2 s[18:19], s[4:5], 0x18
	s_mul_i32 s13, s8, s7
	s_mul_hi_u32 s20, s8, s6
	s_add_i32 s20, s20, s13
	s_mul_i32 s9, s9, s6
	s_add_i32 s9, s20, s9
	s_mul_i32 s8, s8, s6
	s_waitcnt lgkmcnt(0)
	s_ashr_i32 s13, s12, 31
	s_lshl_b64 s[8:9], s[8:9], 2
	s_add_u32 s18, s18, s8
	s_addc_u32 s19, s19, s9
	s_lshl_b64 s[8:9], s[12:13], 2
	s_add_u32 s12, s18, s8
	s_addc_u32 s13, s19, s9
.LBB81_3:
	s_load_dwordx2 s[8:9], s[4:5], 0x8
	s_load_dword s18, s[4:5], 0x38
	v_lshlrev_b32_e32 v39, 3, v0
	s_waitcnt lgkmcnt(0)
	s_ashr_i32 s5, s8, 31
	s_mov_b32 s4, s8
	s_lshl_b64 s[4:5], s[4:5], 3
	s_add_u32 s8, s16, s4
	s_addc_u32 s16, s17, s5
	v_mov_b32_e32 v2, s16
	v_add_co_u32_e32 v1, vcc, s8, v39
	v_addc_co_u32_e32 v2, vcc, 0, v2, vcc
	flat_load_dwordx2 v[5:6], v[1:2]
	s_mov_b32 s4, s9
	s_ashr_i32 s5, s9, 31
	s_lshl_b64 s[4:5], s[4:5], 3
	v_mov_b32_e32 v4, s5
	v_add_co_u32_e32 v3, vcc, s4, v1
	v_addc_co_u32_e32 v4, vcc, v2, v4, vcc
	s_add_i32 s4, s9, s9
	v_add_u32_e32 v9, s4, v0
	v_ashrrev_i32_e32 v10, 31, v9
	v_mov_b32_e32 v11, s16
	v_add_u32_e32 v12, s9, v9
	v_ashrrev_i32_e32 v13, 31, v12
	v_mov_b32_e32 v14, s16
	v_mov_b32_e32 v15, s16
	;; [unrolled: 1-line block ×14, first 2 shown]
	s_bitcmp0_b32 s18, 0
	s_waitcnt vmcnt(0) lgkmcnt(0)
	buffer_store_dword v6, off, s[0:3], 0 offset:4
	buffer_store_dword v5, off, s[0:3], 0
	flat_load_dwordx2 v[7:8], v[3:4]
	v_lshlrev_b64 v[5:6], 3, v[9:10]
	s_waitcnt vmcnt(0) lgkmcnt(0)
	buffer_store_dword v8, off, s[0:3], 0 offset:12
	buffer_store_dword v7, off, s[0:3], 0 offset:8
	v_add_co_u32_e32 v5, vcc, s8, v5
	v_addc_co_u32_e32 v6, vcc, v11, v6, vcc
	flat_load_dwordx2 v[10:11], v[5:6]
	v_lshlrev_b64 v[7:8], 3, v[12:13]
	s_waitcnt vmcnt(0) lgkmcnt(0)
	buffer_store_dword v11, off, s[0:3], 0 offset:20
	buffer_store_dword v10, off, s[0:3], 0 offset:16
	v_add_co_u32_e32 v7, vcc, s8, v7
	v_addc_co_u32_e32 v8, vcc, v14, v8, vcc
	flat_load_dwordx2 v[13:14], v[7:8]
	v_add_u32_e32 v11, s9, v12
	v_ashrrev_i32_e32 v12, 31, v11
	v_lshlrev_b64 v[9:10], 3, v[11:12]
	s_waitcnt vmcnt(0) lgkmcnt(0)
	buffer_store_dword v14, off, s[0:3], 0 offset:28
	buffer_store_dword v13, off, s[0:3], 0 offset:24
	v_add_co_u32_e32 v9, vcc, s8, v9
	v_addc_co_u32_e32 v10, vcc, v15, v10, vcc
	flat_load_dwordx2 v[13:14], v[9:10]
	v_add_u32_e32 v15, s9, v11
	v_ashrrev_i32_e32 v16, 31, v15
	v_lshlrev_b64 v[11:12], 3, v[15:16]
	v_add_u32_e32 v18, s9, v15
	v_add_co_u32_e32 v11, vcc, s8, v11
	v_addc_co_u32_e32 v12, vcc, v17, v12, vcc
	v_ashrrev_i32_e32 v19, 31, v18
	s_waitcnt vmcnt(0) lgkmcnt(0)
	buffer_store_dword v14, off, s[0:3], 0 offset:36
	buffer_store_dword v13, off, s[0:3], 0 offset:32
	flat_load_dwordx2 v[16:17], v[11:12]
	v_lshlrev_b64 v[13:14], 3, v[18:19]
	s_waitcnt vmcnt(0) lgkmcnt(0)
	buffer_store_dword v17, off, s[0:3], 0 offset:44
	buffer_store_dword v16, off, s[0:3], 0 offset:40
	v_add_co_u32_e32 v13, vcc, s8, v13
	v_addc_co_u32_e32 v14, vcc, v20, v14, vcc
	flat_load_dwordx2 v[19:20], v[13:14]
	v_add_u32_e32 v17, s9, v18
	v_ashrrev_i32_e32 v18, 31, v17
	v_lshlrev_b64 v[15:16], 3, v[17:18]
	s_waitcnt vmcnt(0) lgkmcnt(0)
	buffer_store_dword v20, off, s[0:3], 0 offset:52
	buffer_store_dword v19, off, s[0:3], 0 offset:48
	v_add_co_u32_e32 v15, vcc, s8, v15
	v_addc_co_u32_e32 v16, vcc, v21, v16, vcc
	flat_load_dwordx2 v[19:20], v[15:16]
	v_add_u32_e32 v21, s9, v17
	v_ashrrev_i32_e32 v22, 31, v21
	v_lshlrev_b64 v[17:18], 3, v[21:22]
	v_add_u32_e32 v24, s9, v21
	v_add_co_u32_e32 v17, vcc, s8, v17
	v_addc_co_u32_e32 v18, vcc, v23, v18, vcc
	v_ashrrev_i32_e32 v25, 31, v24
	s_waitcnt vmcnt(0) lgkmcnt(0)
	buffer_store_dword v20, off, s[0:3], 0 offset:60
	buffer_store_dword v19, off, s[0:3], 0 offset:56
	;; [unrolled: 27-line block ×4, first 2 shown]
	flat_load_dwordx2 v[34:35], v[29:30]
	v_lshlrev_b64 v[31:32], 3, v[36:37]
	s_waitcnt vmcnt(0) lgkmcnt(0)
	buffer_store_dword v35, off, s[0:3], 0 offset:116
	buffer_store_dword v34, off, s[0:3], 0 offset:112
	v_add_co_u32_e32 v31, vcc, s8, v31
	v_addc_co_u32_e32 v32, vcc, v38, v32, vcc
	flat_load_dwordx2 v[37:38], v[31:32]
	v_add_u32_e32 v35, s9, v36
	v_ashrrev_i32_e32 v36, 31, v35
	v_lshlrev_b64 v[33:34], 3, v[35:36]
	v_add_u32_e32 v35, s9, v35
	v_add_co_u32_e32 v33, vcc, s8, v33
	v_addc_co_u32_e32 v34, vcc, v40, v34, vcc
	v_ashrrev_i32_e32 v36, 31, v35
	v_lshlrev_b64 v[35:36], 3, v[35:36]
	s_waitcnt vmcnt(0) lgkmcnt(0)
	buffer_store_dword v38, off, s[0:3], 0 offset:124
	buffer_store_dword v37, off, s[0:3], 0 offset:120
	flat_load_dwordx2 v[37:38], v[33:34]
	v_add_co_u32_e32 v35, vcc, s8, v35
	v_addc_co_u32_e32 v36, vcc, v40, v36, vcc
	s_mov_b64 s[8:9], -1
	s_waitcnt vmcnt(0) lgkmcnt(0)
	buffer_store_dword v38, off, s[0:3], 0 offset:132
	buffer_store_dword v37, off, s[0:3], 0 offset:128
	flat_load_dwordx2 v[37:38], v[35:36]
	s_waitcnt vmcnt(0) lgkmcnt(0)
	buffer_store_dword v38, off, s[0:3], 0 offset:140
	buffer_store_dword v37, off, s[0:3], 0 offset:136
	s_cbranch_scc1 .LBB81_84
; %bb.4:
	v_cmp_eq_u32_e64 s[4:5], 0, v0
	s_and_saveexec_b64 s[8:9], s[4:5]
; %bb.5:
	v_mov_b32_e32 v37, 0
	ds_write_b32 v37, v37 offset:288
; %bb.6:
	s_or_b64 exec, exec, s[8:9]
	v_mov_b32_e32 v37, 0
	v_lshl_add_u32 v41, v0, 3, v37
	s_waitcnt lgkmcnt(0)
	; wave barrier
	buffer_load_dword v37, v41, s[0:3], 0 offen
	buffer_load_dword v38, v41, s[0:3], 0 offen offset:4
	s_waitcnt vmcnt(1)
	v_cmp_eq_f32_e32 vcc, 0, v37
	s_waitcnt vmcnt(0)
	v_cmp_eq_f32_e64 s[8:9], 0, v38
	s_and_b64 s[8:9], vcc, s[8:9]
	s_and_saveexec_b64 s[16:17], s[8:9]
	s_cbranch_execz .LBB81_10
; %bb.7:
	v_mov_b32_e32 v37, 0
	ds_read_b32 v40, v37 offset:288
	v_add_u32_e32 v38, 1, v0
	s_waitcnt lgkmcnt(0)
	v_readfirstlane_b32 s8, v40
	s_cmp_eq_u32 s8, 0
	s_cselect_b64 s[18:19], -1, 0
	v_cmp_gt_i32_e32 vcc, s8, v38
	s_or_b64 s[18:19], s[18:19], vcc
	s_and_b64 exec, exec, s[18:19]
	s_cbranch_execz .LBB81_10
; %bb.8:
	s_mov_b64 s[18:19], 0
	v_mov_b32_e32 v40, s8
.LBB81_9:                               ; =>This Inner Loop Header: Depth=1
	ds_cmpst_rtn_b32 v40, v37, v40, v38 offset:288
	s_waitcnt lgkmcnt(0)
	v_cmp_ne_u32_e32 vcc, 0, v40
	v_cmp_le_i32_e64 s[8:9], v40, v38
	s_and_b64 s[8:9], vcc, s[8:9]
	s_and_b64 s[8:9], exec, s[8:9]
	s_or_b64 s[18:19], s[8:9], s[18:19]
	s_andn2_b64 exec, exec, s[18:19]
	s_cbranch_execnz .LBB81_9
.LBB81_10:
	s_or_b64 exec, exec, s[16:17]
	v_mov_b32_e32 v38, 0
	; wave barrier
	ds_read_b32 v37, v38 offset:288
	s_and_saveexec_b64 s[8:9], s[4:5]
	s_cbranch_execz .LBB81_12
; %bb.11:
	s_lshl_b64 s[16:17], s[6:7], 2
	s_add_u32 s16, s10, s16
	s_addc_u32 s17, s11, s17
	s_waitcnt lgkmcnt(0)
	global_store_dword v38, v37, s[16:17]
.LBB81_12:
	s_or_b64 exec, exec, s[8:9]
	s_waitcnt lgkmcnt(0)
	v_cmp_ne_u32_e32 vcc, 0, v37
	s_mov_b64 s[8:9], 0
	s_cbranch_vccnz .LBB81_84
; %bb.13:
	buffer_load_dword v38, v41, s[0:3], 0 offen
	buffer_load_dword v40, v41, s[0:3], 0 offen offset:4
                                        ; implicit-def: $vgpr43
                                        ; implicit-def: $vgpr42
                                        ; implicit-def: $vgpr37
	s_waitcnt vmcnt(0)
	v_cmp_ngt_f32_e64 s[8:9], |v38|, |v40|
	s_and_saveexec_b64 s[16:17], s[8:9]
	s_xor_b64 s[8:9], exec, s[16:17]
	s_cbranch_execz .LBB81_15
; %bb.14:
	v_div_scale_f32 v37, s[16:17], v40, v40, v38
	v_div_scale_f32 v42, vcc, v38, v40, v38
	v_rcp_f32_e32 v43, v37
	v_fma_f32 v44, -v37, v43, 1.0
	v_fmac_f32_e32 v43, v44, v43
	v_mul_f32_e32 v44, v42, v43
	v_fma_f32 v45, -v37, v44, v42
	v_fmac_f32_e32 v44, v45, v43
	v_fma_f32 v37, -v37, v44, v42
	v_div_fmas_f32 v37, v37, v43, v44
	v_div_fixup_f32 v37, v37, v40, v38
	v_fmac_f32_e32 v40, v38, v37
	v_div_scale_f32 v38, s[16:17], v40, v40, 1.0
	v_div_scale_f32 v42, vcc, 1.0, v40, 1.0
	v_rcp_f32_e32 v43, v38
	v_fma_f32 v44, -v38, v43, 1.0
	v_fmac_f32_e32 v43, v44, v43
	v_mul_f32_e32 v44, v42, v43
	v_fma_f32 v45, -v38, v44, v42
	v_fmac_f32_e32 v44, v45, v43
	v_fma_f32 v38, -v38, v44, v42
	v_div_fmas_f32 v38, v38, v43, v44
	v_div_fixup_f32 v38, v38, v40, 1.0
	v_mul_f32_e32 v43, v37, v38
	v_xor_b32_e32 v42, 0x80000000, v38
	v_xor_b32_e32 v37, 0x80000000, v43
                                        ; implicit-def: $vgpr38
                                        ; implicit-def: $vgpr40
.LBB81_15:
	s_andn2_saveexec_b64 s[8:9], s[8:9]
	s_cbranch_execz .LBB81_17
; %bb.16:
	v_div_scale_f32 v37, s[16:17], v38, v38, v40
	v_div_scale_f32 v42, vcc, v40, v38, v40
	v_rcp_f32_e32 v43, v37
	v_fma_f32 v44, -v37, v43, 1.0
	v_fmac_f32_e32 v43, v44, v43
	v_mul_f32_e32 v44, v42, v43
	v_fma_f32 v45, -v37, v44, v42
	v_fmac_f32_e32 v44, v45, v43
	v_fma_f32 v37, -v37, v44, v42
	v_div_fmas_f32 v37, v37, v43, v44
	v_div_fixup_f32 v42, v37, v38, v40
	v_fmac_f32_e32 v38, v40, v42
	v_div_scale_f32 v37, s[16:17], v38, v38, 1.0
	v_div_scale_f32 v40, vcc, 1.0, v38, 1.0
	v_rcp_f32_e32 v43, v37
	v_fma_f32 v44, -v37, v43, 1.0
	v_fmac_f32_e32 v43, v44, v43
	v_mul_f32_e32 v44, v40, v43
	v_fma_f32 v45, -v37, v44, v40
	v_fmac_f32_e32 v44, v45, v43
	v_fma_f32 v37, -v37, v44, v40
	v_div_fmas_f32 v37, v37, v43, v44
	v_div_fixup_f32 v43, v37, v38, 1.0
	v_xor_b32_e32 v37, 0x80000000, v43
	v_mul_f32_e64 v42, v42, -v43
.LBB81_17:
	s_or_b64 exec, exec, s[8:9]
	buffer_store_dword v43, v41, s[0:3], 0 offen
	buffer_store_dword v42, v41, s[0:3], 0 offen offset:4
	buffer_load_dword v44, off, s[0:3], 0 offset:12
	s_nop 0
	buffer_load_dword v43, off, s[0:3], 0 offset:8
	v_xor_b32_e32 v38, 0x80000000, v42
	v_add_u32_e32 v40, 0x90, v39
	s_waitcnt vmcnt(0)
	ds_write2_b64 v39, v[37:38], v[43:44] offset1:18
	s_waitcnt lgkmcnt(0)
	; wave barrier
	s_and_saveexec_b64 s[8:9], s[4:5]
	s_cbranch_execz .LBB81_19
; %bb.18:
	buffer_load_dword v44, v41, s[0:3], 0 offen offset:4
	buffer_load_dword v45, v41, s[0:3], 0 offen
	ds_read_b64 v[37:38], v40
	v_mov_b32_e32 v42, 0
	ds_read_b64 v[42:43], v42 offset:8
	s_waitcnt vmcnt(1) lgkmcnt(1)
	v_mul_f32_e32 v46, v38, v44
	v_mul_f32_e32 v44, v37, v44
	s_waitcnt vmcnt(0)
	v_fmac_f32_e32 v44, v38, v45
	v_fma_f32 v37, v37, v45, -v46
	v_add_f32_e32 v38, 0, v44
	v_add_f32_e32 v37, 0, v37
	s_waitcnt lgkmcnt(0)
	v_mul_f32_e32 v44, v38, v43
	v_mul_f32_e32 v43, v37, v43
	v_fma_f32 v37, v37, v42, -v44
	v_fmac_f32_e32 v43, v38, v42
	buffer_store_dword v37, off, s[0:3], 0 offset:8
	buffer_store_dword v43, off, s[0:3], 0 offset:12
.LBB81_19:
	s_or_b64 exec, exec, s[8:9]
	; wave barrier
	buffer_load_dword v37, off, s[0:3], 0 offset:16
	buffer_load_dword v38, off, s[0:3], 0 offset:20
	v_cmp_gt_u32_e32 vcc, 2, v0
	s_waitcnt vmcnt(0)
	ds_write_b64 v40, v[37:38]
	s_waitcnt lgkmcnt(0)
	; wave barrier
	s_and_saveexec_b64 s[8:9], vcc
	s_cbranch_execz .LBB81_23
; %bb.20:
	buffer_load_dword v42, v41, s[0:3], 0 offen offset:4
	buffer_load_dword v43, v41, s[0:3], 0 offen
	ds_read_b64 v[37:38], v40
	s_waitcnt vmcnt(1) lgkmcnt(0)
	v_mul_f32_e32 v41, v38, v42
	v_mul_f32_e32 v42, v37, v42
	s_waitcnt vmcnt(0)
	v_fma_f32 v37, v37, v43, -v41
	v_fmac_f32_e32 v42, v38, v43
	v_add_f32_e32 v38, 0, v37
	v_add_f32_e32 v37, 0, v42
	s_and_saveexec_b64 s[16:17], s[4:5]
	s_cbranch_execz .LBB81_22
; %bb.21:
	buffer_load_dword v43, off, s[0:3], 0 offset:12
	buffer_load_dword v44, off, s[0:3], 0 offset:8
	v_mov_b32_e32 v41, 0
	ds_read_b64 v[41:42], v41 offset:152
	s_waitcnt vmcnt(1) lgkmcnt(0)
	v_mul_f32_e32 v45, v41, v43
	v_mul_f32_e32 v43, v42, v43
	s_waitcnt vmcnt(0)
	v_fmac_f32_e32 v45, v42, v44
	v_fma_f32 v41, v41, v44, -v43
	v_add_f32_e32 v37, v37, v45
	v_add_f32_e32 v38, v38, v41
.LBB81_22:
	s_or_b64 exec, exec, s[16:17]
	v_mov_b32_e32 v41, 0
	ds_read_b64 v[41:42], v41 offset:16
	s_waitcnt lgkmcnt(0)
	v_mul_f32_e32 v43, v37, v42
	v_mul_f32_e32 v42, v38, v42
	v_fma_f32 v38, v38, v41, -v43
	v_fmac_f32_e32 v42, v37, v41
	buffer_store_dword v38, off, s[0:3], 0 offset:16
	buffer_store_dword v42, off, s[0:3], 0 offset:20
.LBB81_23:
	s_or_b64 exec, exec, s[8:9]
	; wave barrier
	buffer_load_dword v37, off, s[0:3], 0 offset:24
	buffer_load_dword v38, off, s[0:3], 0 offset:28
	v_cmp_gt_u32_e32 vcc, 3, v0
	s_waitcnt vmcnt(0)
	ds_write_b64 v40, v[37:38]
	v_add_u32_e32 v37, -1, v0
	s_waitcnt lgkmcnt(0)
	; wave barrier
	s_and_saveexec_b64 s[4:5], vcc
	s_cbranch_execz .LBB81_27
; %bb.24:
	v_add_u32_e32 v41, -1, v0
	v_add_u32_e32 v42, 0x90, v39
	v_mov_b32_e32 v43, v39
	v_mov_b32_e32 v38, 0
	s_mov_b64 s[8:9], 0
	v_mov_b32_e32 v44, 0
.LBB81_25:                              ; =>This Inner Loop Header: Depth=1
	buffer_load_dword v47, v43, s[0:3], 0 offen offset:4
	buffer_load_dword v48, v43, s[0:3], 0 offen
	ds_read_b64 v[45:46], v42
	v_add_u32_e32 v41, 1, v41
	v_cmp_lt_u32_e32 vcc, 1, v41
	v_add_u32_e32 v42, 8, v42
	v_add_u32_e32 v43, 8, v43
	s_or_b64 s[8:9], vcc, s[8:9]
	s_waitcnt vmcnt(1) lgkmcnt(0)
	v_mul_f32_e32 v49, v46, v47
	v_mul_f32_e32 v47, v45, v47
	s_waitcnt vmcnt(0)
	v_fma_f32 v45, v45, v48, -v49
	v_fmac_f32_e32 v47, v46, v48
	v_add_f32_e32 v44, v44, v45
	v_add_f32_e32 v38, v38, v47
	s_andn2_b64 exec, exec, s[8:9]
	s_cbranch_execnz .LBB81_25
; %bb.26:
	s_or_b64 exec, exec, s[8:9]
	v_mov_b32_e32 v41, 0
	ds_read_b64 v[41:42], v41 offset:24
	s_waitcnt lgkmcnt(0)
	v_mul_f32_e32 v43, v38, v42
	v_mul_f32_e32 v42, v44, v42
	v_fma_f32 v43, v44, v41, -v43
	v_fmac_f32_e32 v42, v38, v41
	buffer_store_dword v43, off, s[0:3], 0 offset:24
	buffer_store_dword v42, off, s[0:3], 0 offset:28
.LBB81_27:
	s_or_b64 exec, exec, s[4:5]
	; wave barrier
	buffer_load_dword v41, off, s[0:3], 0 offset:32
	buffer_load_dword v42, off, s[0:3], 0 offset:36
	v_cmp_gt_u32_e32 vcc, 4, v0
	s_waitcnt vmcnt(0)
	ds_write_b64 v40, v[41:42]
	s_waitcnt lgkmcnt(0)
	; wave barrier
	s_and_saveexec_b64 s[4:5], vcc
	s_cbranch_execz .LBB81_31
; %bb.28:
	v_add_u32_e32 v41, -1, v0
	v_add_u32_e32 v42, 0x90, v39
	v_mov_b32_e32 v43, v39
	v_mov_b32_e32 v38, 0
	s_mov_b64 s[8:9], 0
	v_mov_b32_e32 v44, 0
.LBB81_29:                              ; =>This Inner Loop Header: Depth=1
	buffer_load_dword v47, v43, s[0:3], 0 offen offset:4
	buffer_load_dword v48, v43, s[0:3], 0 offen
	ds_read_b64 v[45:46], v42
	v_add_u32_e32 v41, 1, v41
	v_cmp_lt_u32_e32 vcc, 2, v41
	v_add_u32_e32 v42, 8, v42
	v_add_u32_e32 v43, 8, v43
	s_or_b64 s[8:9], vcc, s[8:9]
	s_waitcnt vmcnt(1) lgkmcnt(0)
	v_mul_f32_e32 v49, v46, v47
	v_mul_f32_e32 v47, v45, v47
	s_waitcnt vmcnt(0)
	v_fma_f32 v45, v45, v48, -v49
	v_fmac_f32_e32 v47, v46, v48
	v_add_f32_e32 v44, v44, v45
	v_add_f32_e32 v38, v38, v47
	s_andn2_b64 exec, exec, s[8:9]
	s_cbranch_execnz .LBB81_29
; %bb.30:
	s_or_b64 exec, exec, s[8:9]
	v_mov_b32_e32 v41, 0
	ds_read_b64 v[41:42], v41 offset:32
	s_waitcnt lgkmcnt(0)
	v_mul_f32_e32 v43, v38, v42
	v_mul_f32_e32 v42, v44, v42
	v_fma_f32 v43, v44, v41, -v43
	v_fmac_f32_e32 v42, v38, v41
	buffer_store_dword v43, off, s[0:3], 0 offset:32
	buffer_store_dword v42, off, s[0:3], 0 offset:36
.LBB81_31:
	s_or_b64 exec, exec, s[4:5]
	; wave barrier
	buffer_load_dword v41, off, s[0:3], 0 offset:40
	buffer_load_dword v42, off, s[0:3], 0 offset:44
	v_cmp_gt_u32_e32 vcc, 5, v0
	s_waitcnt vmcnt(0)
	ds_write_b64 v40, v[41:42]
	;; [unrolled: 49-line block ×13, first 2 shown]
	s_waitcnt lgkmcnt(0)
	; wave barrier
	s_and_saveexec_b64 s[4:5], vcc
	s_cbranch_execz .LBB81_79
; %bb.76:
	v_add_u32_e32 v41, -1, v0
	v_add_u32_e32 v42, 0x90, v39
	v_mov_b32_e32 v43, v39
	v_mov_b32_e32 v38, 0
	s_mov_b64 s[8:9], 0
	v_mov_b32_e32 v44, 0
.LBB81_77:                              ; =>This Inner Loop Header: Depth=1
	buffer_load_dword v47, v43, s[0:3], 0 offen offset:4
	buffer_load_dword v48, v43, s[0:3], 0 offen
	ds_read_b64 v[45:46], v42
	v_add_u32_e32 v41, 1, v41
	v_cmp_lt_u32_e32 vcc, 14, v41
	v_add_u32_e32 v42, 8, v42
	v_add_u32_e32 v43, 8, v43
	s_or_b64 s[8:9], vcc, s[8:9]
	s_waitcnt vmcnt(1) lgkmcnt(0)
	v_mul_f32_e32 v49, v46, v47
	v_mul_f32_e32 v47, v45, v47
	s_waitcnt vmcnt(0)
	v_fma_f32 v45, v45, v48, -v49
	v_fmac_f32_e32 v47, v46, v48
	v_add_f32_e32 v44, v44, v45
	v_add_f32_e32 v38, v38, v47
	s_andn2_b64 exec, exec, s[8:9]
	s_cbranch_execnz .LBB81_77
; %bb.78:
	s_or_b64 exec, exec, s[8:9]
	v_mov_b32_e32 v41, 0
	ds_read_b64 v[41:42], v41 offset:128
	s_waitcnt lgkmcnt(0)
	v_mul_f32_e32 v43, v38, v42
	v_mul_f32_e32 v42, v44, v42
	v_fma_f32 v43, v44, v41, -v43
	v_fmac_f32_e32 v42, v38, v41
	buffer_store_dword v43, off, s[0:3], 0 offset:128
	buffer_store_dword v42, off, s[0:3], 0 offset:132
.LBB81_79:
	s_or_b64 exec, exec, s[4:5]
	; wave barrier
	buffer_load_dword v41, off, s[0:3], 0 offset:136
	buffer_load_dword v42, off, s[0:3], 0 offset:140
	v_cmp_ne_u32_e32 vcc, 17, v0
	s_waitcnt vmcnt(0)
	ds_write_b64 v40, v[41:42]
	s_waitcnt lgkmcnt(0)
	; wave barrier
	s_and_saveexec_b64 s[4:5], vcc
	s_cbranch_execz .LBB81_83
; %bb.80:
	v_add_u32_e32 v40, 0x90, v39
	v_mov_b32_e32 v38, 0
	s_mov_b64 s[8:9], 0
	v_mov_b32_e32 v41, 0
.LBB81_81:                              ; =>This Inner Loop Header: Depth=1
	buffer_load_dword v44, v39, s[0:3], 0 offen offset:4
	buffer_load_dword v45, v39, s[0:3], 0 offen
	ds_read_b64 v[42:43], v40
	v_add_u32_e32 v37, 1, v37
	v_cmp_lt_u32_e32 vcc, 15, v37
	v_add_u32_e32 v40, 8, v40
	v_add_u32_e32 v39, 8, v39
	s_or_b64 s[8:9], vcc, s[8:9]
	s_waitcnt vmcnt(1) lgkmcnt(0)
	v_mul_f32_e32 v46, v43, v44
	v_mul_f32_e32 v44, v42, v44
	s_waitcnt vmcnt(0)
	v_fma_f32 v42, v42, v45, -v46
	v_fmac_f32_e32 v44, v43, v45
	v_add_f32_e32 v41, v41, v42
	v_add_f32_e32 v38, v38, v44
	s_andn2_b64 exec, exec, s[8:9]
	s_cbranch_execnz .LBB81_81
; %bb.82:
	s_or_b64 exec, exec, s[8:9]
	v_mov_b32_e32 v37, 0
	ds_read_b64 v[39:40], v37 offset:136
	s_waitcnt lgkmcnt(0)
	v_mul_f32_e32 v37, v38, v40
	v_mul_f32_e32 v40, v41, v40
	v_fma_f32 v37, v41, v39, -v37
	v_fmac_f32_e32 v40, v38, v39
	buffer_store_dword v37, off, s[0:3], 0 offset:136
	buffer_store_dword v40, off, s[0:3], 0 offset:140
.LBB81_83:
	s_or_b64 exec, exec, s[4:5]
	s_mov_b64 s[8:9], -1
	; wave barrier
.LBB81_84:
	s_and_b64 vcc, exec, s[8:9]
	s_cbranch_vccz .LBB81_86
; %bb.85:
	s_lshl_b64 s[4:5], s[6:7], 2
	s_add_u32 s4, s10, s4
	s_addc_u32 s5, s11, s5
	v_mov_b32_e32 v37, 0
	global_load_dword v37, v37, s[4:5]
	s_waitcnt vmcnt(0)
	v_cmp_ne_u32_e32 vcc, 0, v37
	s_cbranch_vccz .LBB81_87
.LBB81_86:
	s_endpgm
.LBB81_87:
	v_mov_b32_e32 v37, 0x90
	v_lshl_add_u32 v37, v0, 3, v37
	v_cmp_eq_u32_e32 vcc, 17, v0
	s_and_saveexec_b64 s[4:5], vcc
	s_cbranch_execz .LBB81_89
; %bb.88:
	buffer_load_dword v38, off, s[0:3], 0 offset:128
	buffer_load_dword v39, off, s[0:3], 0 offset:132
	v_mov_b32_e32 v40, 0
	buffer_store_dword v40, off, s[0:3], 0 offset:128
	buffer_store_dword v40, off, s[0:3], 0 offset:132
	s_waitcnt vmcnt(2)
	ds_write_b64 v37, v[38:39]
.LBB81_89:
	s_or_b64 exec, exec, s[4:5]
	s_waitcnt lgkmcnt(0)
	; wave barrier
	buffer_load_dword v41, off, s[0:3], 0 offset:140
	buffer_load_dword v42, off, s[0:3], 0 offset:136
	buffer_load_dword v43, off, s[0:3], 0 offset:128
	buffer_load_dword v44, off, s[0:3], 0 offset:132
	v_mov_b32_e32 v38, 0
	ds_read_b64 v[39:40], v38 offset:280
	v_cmp_lt_u32_e32 vcc, 15, v0
	s_waitcnt vmcnt(3) lgkmcnt(0)
	v_mul_f32_e32 v45, v39, v41
	v_mul_f32_e32 v41, v40, v41
	s_waitcnt vmcnt(2)
	v_fma_f32 v39, v39, v42, -v41
	v_fmac_f32_e32 v45, v40, v42
	v_add_f32_e32 v39, 0, v39
	v_add_f32_e32 v40, 0, v45
	s_waitcnt vmcnt(1)
	v_sub_f32_e32 v39, v43, v39
	s_waitcnt vmcnt(0)
	v_sub_f32_e32 v40, v44, v40
	buffer_store_dword v39, off, s[0:3], 0 offset:128
	buffer_store_dword v40, off, s[0:3], 0 offset:132
	s_and_saveexec_b64 s[4:5], vcc
	s_cbranch_execz .LBB81_91
; %bb.90:
	buffer_load_dword v39, off, s[0:3], 0 offset:120
	buffer_load_dword v40, off, s[0:3], 0 offset:124
	s_waitcnt vmcnt(0)
	ds_write_b64 v37, v[39:40]
	buffer_store_dword v38, off, s[0:3], 0 offset:120
	buffer_store_dword v38, off, s[0:3], 0 offset:124
.LBB81_91:
	s_or_b64 exec, exec, s[4:5]
	s_waitcnt lgkmcnt(0)
	; wave barrier
	buffer_load_dword v42, off, s[0:3], 0 offset:132
	buffer_load_dword v43, off, s[0:3], 0 offset:140
	;; [unrolled: 1-line block ×6, first 2 shown]
	ds_read_b128 v[38:41], v38 offset:272
	v_cmp_lt_u32_e32 vcc, 14, v0
	s_waitcnt vmcnt(5) lgkmcnt(0)
	v_mul_f32_e32 v48, v38, v42
	v_mul_f32_e32 v42, v39, v42
	s_waitcnt vmcnt(4)
	v_mul_f32_e32 v49, v40, v43
	v_mul_f32_e32 v43, v41, v43
	s_waitcnt vmcnt(3)
	v_fma_f32 v38, v38, v44, -v42
	v_fmac_f32_e32 v48, v39, v44
	s_waitcnt vmcnt(2)
	v_fma_f32 v39, v40, v45, -v43
	v_add_f32_e32 v38, 0, v38
	v_fmac_f32_e32 v49, v41, v45
	v_add_f32_e32 v40, 0, v48
	v_add_f32_e32 v38, v38, v39
	;; [unrolled: 1-line block ×3, first 2 shown]
	s_waitcnt vmcnt(1)
	v_sub_f32_e32 v38, v46, v38
	s_waitcnt vmcnt(0)
	v_sub_f32_e32 v39, v47, v40
	buffer_store_dword v38, off, s[0:3], 0 offset:120
	buffer_store_dword v39, off, s[0:3], 0 offset:124
	s_and_saveexec_b64 s[4:5], vcc
	s_cbranch_execz .LBB81_93
; %bb.92:
	buffer_load_dword v38, off, s[0:3], 0 offset:112
	buffer_load_dword v39, off, s[0:3], 0 offset:116
	v_mov_b32_e32 v40, 0
	buffer_store_dword v40, off, s[0:3], 0 offset:112
	buffer_store_dword v40, off, s[0:3], 0 offset:116
	s_waitcnt vmcnt(2)
	ds_write_b64 v37, v[38:39]
.LBB81_93:
	s_or_b64 exec, exec, s[4:5]
	s_waitcnt lgkmcnt(0)
	; wave barrier
	buffer_load_dword v45, off, s[0:3], 0 offset:124
	buffer_load_dword v46, off, s[0:3], 0 offset:132
	;; [unrolled: 1-line block ×8, first 2 shown]
	v_mov_b32_e32 v38, 0
	ds_read2_b64 v[39:42], v38 offset0:33 offset1:34
	ds_read_b64 v[43:44], v38 offset:280
	v_cmp_lt_u32_e32 vcc, 13, v0
	s_waitcnt vmcnt(7) lgkmcnt(1)
	v_mul_f32_e32 v53, v39, v45
	v_mul_f32_e32 v45, v40, v45
	s_waitcnt vmcnt(6)
	v_mul_f32_e32 v54, v41, v46
	v_mul_f32_e32 v46, v42, v46
	s_waitcnt vmcnt(4)
	v_fma_f32 v39, v39, v48, -v45
	s_waitcnt lgkmcnt(0)
	v_mul_f32_e32 v55, v43, v47
	v_mul_f32_e32 v47, v44, v47
	v_fmac_f32_e32 v53, v40, v48
	s_waitcnt vmcnt(3)
	v_fma_f32 v40, v41, v49, -v46
	v_add_f32_e32 v39, 0, v39
	v_fmac_f32_e32 v54, v42, v49
	s_waitcnt vmcnt(2)
	v_fma_f32 v41, v43, v50, -v47
	v_add_f32_e32 v42, 0, v53
	v_add_f32_e32 v39, v39, v40
	v_fmac_f32_e32 v55, v44, v50
	v_add_f32_e32 v42, v42, v54
	v_add_f32_e32 v39, v39, v41
	;; [unrolled: 1-line block ×3, first 2 shown]
	s_waitcnt vmcnt(1)
	v_sub_f32_e32 v39, v51, v39
	s_waitcnt vmcnt(0)
	v_sub_f32_e32 v40, v52, v40
	buffer_store_dword v39, off, s[0:3], 0 offset:112
	buffer_store_dword v40, off, s[0:3], 0 offset:116
	s_and_saveexec_b64 s[4:5], vcc
	s_cbranch_execz .LBB81_95
; %bb.94:
	buffer_load_dword v39, off, s[0:3], 0 offset:104
	buffer_load_dword v40, off, s[0:3], 0 offset:108
	s_waitcnt vmcnt(0)
	ds_write_b64 v37, v[39:40]
	buffer_store_dword v38, off, s[0:3], 0 offset:104
	buffer_store_dword v38, off, s[0:3], 0 offset:108
.LBB81_95:
	s_or_b64 exec, exec, s[4:5]
	s_waitcnt lgkmcnt(0)
	; wave barrier
	buffer_load_dword v47, off, s[0:3], 0 offset:116
	buffer_load_dword v48, off, s[0:3], 0 offset:124
	;; [unrolled: 1-line block ×10, first 2 shown]
	ds_read_b128 v[39:42], v38 offset:256
	ds_read_b128 v[43:46], v38 offset:272
	v_cmp_lt_u32_e32 vcc, 12, v0
	s_waitcnt vmcnt(9) lgkmcnt(1)
	v_mul_f32_e32 v38, v39, v47
	v_mul_f32_e32 v47, v40, v47
	s_waitcnt vmcnt(8)
	v_mul_f32_e32 v57, v41, v48
	v_mul_f32_e32 v48, v42, v48
	s_waitcnt vmcnt(5)
	v_fma_f32 v39, v39, v51, -v47
	s_waitcnt lgkmcnt(0)
	v_mul_f32_e32 v58, v43, v49
	v_mul_f32_e32 v49, v44, v49
	v_fmac_f32_e32 v38, v40, v51
	s_waitcnt vmcnt(4)
	v_fma_f32 v40, v41, v52, -v48
	v_add_f32_e32 v39, 0, v39
	v_mul_f32_e32 v59, v45, v50
	v_mul_f32_e32 v50, v46, v50
	v_fmac_f32_e32 v57, v42, v52
	s_waitcnt vmcnt(3)
	v_fma_f32 v41, v43, v53, -v49
	v_add_f32_e32 v38, 0, v38
	v_add_f32_e32 v39, v39, v40
	v_fmac_f32_e32 v58, v44, v53
	s_waitcnt vmcnt(2)
	v_fma_f32 v42, v45, v54, -v50
	v_add_f32_e32 v38, v38, v57
	v_add_f32_e32 v39, v39, v41
	v_fmac_f32_e32 v59, v46, v54
	v_add_f32_e32 v38, v38, v58
	v_add_f32_e32 v39, v39, v42
	;; [unrolled: 1-line block ×3, first 2 shown]
	s_waitcnt vmcnt(1)
	v_sub_f32_e32 v39, v55, v39
	s_waitcnt vmcnt(0)
	v_sub_f32_e32 v38, v56, v38
	buffer_store_dword v39, off, s[0:3], 0 offset:104
	buffer_store_dword v38, off, s[0:3], 0 offset:108
	s_and_saveexec_b64 s[4:5], vcc
	s_cbranch_execz .LBB81_97
; %bb.96:
	buffer_load_dword v38, off, s[0:3], 0 offset:96
	buffer_load_dword v39, off, s[0:3], 0 offset:100
	v_mov_b32_e32 v40, 0
	buffer_store_dword v40, off, s[0:3], 0 offset:96
	buffer_store_dword v40, off, s[0:3], 0 offset:100
	s_waitcnt vmcnt(2)
	ds_write_b64 v37, v[38:39]
.LBB81_97:
	s_or_b64 exec, exec, s[4:5]
	v_mov_b32_e32 v38, 0
	s_waitcnt lgkmcnt(0)
	; wave barrier
	ds_read2_b64 v[39:42], v38 offset0:31 offset1:32
	buffer_load_dword v49, off, s[0:3], 0 offset:96
	buffer_load_dword v50, off, s[0:3], 0 offset:100
	;; [unrolled: 1-line block ×12, first 2 shown]
	v_cmp_lt_u32_e32 vcc, 11, v0
	s_waitcnt vmcnt(8) lgkmcnt(0)
	v_mul_f32_e32 v43, v39, v52
	v_fmac_f32_e32 v43, v40, v51
	s_waitcnt vmcnt(6)
	v_mul_f32_e32 v44, v41, v54
	v_add_f32_e32 v43, 0, v43
	v_fmac_f32_e32 v44, v42, v53
	v_add_f32_e32 v47, v43, v44
	ds_read2_b64 v[43:46], v38 offset0:33 offset1:34
	v_mul_f32_e32 v40, v40, v52
	v_fma_f32 v39, v39, v51, -v40
	v_mul_f32_e32 v40, v42, v54
	v_add_f32_e32 v39, 0, v39
	s_waitcnt vmcnt(4) lgkmcnt(0)
	v_mul_f32_e32 v48, v43, v56
	v_fmac_f32_e32 v48, v44, v55
	v_add_f32_e32 v47, v47, v48
	s_waitcnt vmcnt(2)
	v_mul_f32_e32 v48, v45, v58
	v_fmac_f32_e32 v48, v46, v57
	v_add_f32_e32 v61, v47, v48
	ds_read_b64 v[47:48], v38 offset:280
	v_fma_f32 v40, v41, v53, -v40
	v_add_f32_e32 v39, v39, v40
	v_mul_f32_e32 v40, v44, v56
	v_fma_f32 v40, v43, v55, -v40
	v_add_f32_e32 v39, v39, v40
	v_mul_f32_e32 v40, v46, v58
	v_fma_f32 v40, v45, v57, -v40
	v_add_f32_e32 v39, v39, v40
	s_waitcnt vmcnt(0) lgkmcnt(0)
	v_mul_f32_e32 v40, v48, v60
	v_mul_f32_e32 v62, v47, v60
	v_fma_f32 v40, v47, v59, -v40
	v_fmac_f32_e32 v62, v48, v59
	v_add_f32_e32 v39, v39, v40
	v_add_f32_e32 v61, v61, v62
	v_sub_f32_e32 v39, v49, v39
	v_sub_f32_e32 v40, v50, v61
	buffer_store_dword v39, off, s[0:3], 0 offset:96
	buffer_store_dword v40, off, s[0:3], 0 offset:100
	s_and_saveexec_b64 s[4:5], vcc
	s_cbranch_execz .LBB81_99
; %bb.98:
	buffer_load_dword v39, off, s[0:3], 0 offset:88
	buffer_load_dword v40, off, s[0:3], 0 offset:92
	s_waitcnt vmcnt(0)
	ds_write_b64 v37, v[39:40]
	buffer_store_dword v38, off, s[0:3], 0 offset:88
	buffer_store_dword v38, off, s[0:3], 0 offset:92
.LBB81_99:
	s_or_b64 exec, exec, s[4:5]
	s_waitcnt lgkmcnt(0)
	; wave barrier
	buffer_load_dword v51, off, s[0:3], 0 offset:100
	buffer_load_dword v52, off, s[0:3], 0 offset:108
	;; [unrolled: 1-line block ×14, first 2 shown]
	ds_read_b128 v[39:42], v38 offset:240
	ds_read_b128 v[43:46], v38 offset:256
	;; [unrolled: 1-line block ×3, first 2 shown]
	v_cmp_lt_u32_e32 vcc, 10, v0
	s_waitcnt vmcnt(13) lgkmcnt(2)
	v_mul_f32_e32 v38, v39, v51
	v_mul_f32_e32 v51, v40, v51
	s_waitcnt vmcnt(12)
	v_mul_f32_e32 v65, v41, v52
	v_mul_f32_e32 v52, v42, v52
	s_waitcnt vmcnt(11) lgkmcnt(1)
	v_mul_f32_e32 v66, v43, v53
	v_mul_f32_e32 v53, v44, v53
	s_waitcnt vmcnt(7)
	v_fma_f32 v39, v39, v57, -v51
	v_fmac_f32_e32 v38, v40, v57
	s_waitcnt vmcnt(6)
	v_fma_f32 v40, v41, v58, -v52
	v_add_f32_e32 v39, 0, v39
	v_mul_f32_e32 v67, v45, v54
	v_mul_f32_e32 v54, v46, v54
	v_fmac_f32_e32 v65, v42, v58
	s_waitcnt vmcnt(5)
	v_fma_f32 v41, v43, v59, -v53
	v_add_f32_e32 v38, 0, v38
	v_add_f32_e32 v39, v39, v40
	s_waitcnt lgkmcnt(0)
	v_mul_f32_e32 v68, v47, v55
	v_mul_f32_e32 v55, v48, v55
	v_fmac_f32_e32 v66, v44, v59
	s_waitcnt vmcnt(4)
	v_fma_f32 v42, v45, v60, -v54
	v_add_f32_e32 v38, v38, v65
	v_add_f32_e32 v39, v39, v41
	v_mul_f32_e32 v69, v49, v56
	v_mul_f32_e32 v56, v50, v56
	v_fmac_f32_e32 v67, v46, v60
	s_waitcnt vmcnt(3)
	v_fma_f32 v43, v47, v61, -v55
	v_add_f32_e32 v38, v38, v66
	v_add_f32_e32 v39, v39, v42
	v_fmac_f32_e32 v68, v48, v61
	s_waitcnt vmcnt(2)
	v_fma_f32 v44, v49, v62, -v56
	v_add_f32_e32 v38, v38, v67
	v_add_f32_e32 v39, v39, v43
	v_fmac_f32_e32 v69, v50, v62
	v_add_f32_e32 v38, v38, v68
	v_add_f32_e32 v39, v39, v44
	;; [unrolled: 1-line block ×3, first 2 shown]
	s_waitcnt vmcnt(1)
	v_sub_f32_e32 v39, v63, v39
	s_waitcnt vmcnt(0)
	v_sub_f32_e32 v38, v64, v38
	buffer_store_dword v39, off, s[0:3], 0 offset:88
	buffer_store_dword v38, off, s[0:3], 0 offset:92
	s_and_saveexec_b64 s[4:5], vcc
	s_cbranch_execz .LBB81_101
; %bb.100:
	buffer_load_dword v38, off, s[0:3], 0 offset:80
	buffer_load_dword v39, off, s[0:3], 0 offset:84
	v_mov_b32_e32 v40, 0
	buffer_store_dword v40, off, s[0:3], 0 offset:80
	buffer_store_dword v40, off, s[0:3], 0 offset:84
	s_waitcnt vmcnt(2)
	ds_write_b64 v37, v[38:39]
.LBB81_101:
	s_or_b64 exec, exec, s[4:5]
	s_waitcnt lgkmcnt(0)
	; wave barrier
	buffer_load_dword v53, off, s[0:3], 0 offset:92
	buffer_load_dword v54, off, s[0:3], 0 offset:100
	;; [unrolled: 1-line block ×16, first 2 shown]
	v_mov_b32_e32 v38, 0
	ds_read2_b64 v[39:42], v38 offset0:29 offset1:30
	ds_read2_b64 v[43:46], v38 offset0:31 offset1:32
	;; [unrolled: 1-line block ×3, first 2 shown]
	ds_read_b64 v[51:52], v38 offset:280
	v_cmp_lt_u32_e32 vcc, 9, v0
	s_waitcnt vmcnt(15) lgkmcnt(3)
	v_mul_f32_e32 v69, v39, v53
	v_mul_f32_e32 v53, v40, v53
	s_waitcnt vmcnt(14)
	v_mul_f32_e32 v70, v41, v54
	v_mul_f32_e32 v54, v42, v54
	s_waitcnt vmcnt(13) lgkmcnt(2)
	v_mul_f32_e32 v71, v43, v55
	s_waitcnt vmcnt(12)
	v_mul_f32_e32 v72, v45, v56
	v_mul_f32_e32 v55, v44, v55
	s_waitcnt vmcnt(8)
	v_fma_f32 v39, v39, v60, -v53
	v_fmac_f32_e32 v69, v40, v60
	s_waitcnt vmcnt(7)
	v_fma_f32 v40, v41, v61, -v54
	v_add_f32_e32 v39, 0, v39
	v_mul_f32_e32 v56, v46, v56
	v_fmac_f32_e32 v70, v42, v61
	s_waitcnt vmcnt(5)
	v_fmac_f32_e32 v72, v46, v63
	v_fma_f32 v41, v43, v62, -v55
	v_add_f32_e32 v46, 0, v69
	v_add_f32_e32 v39, v39, v40
	s_waitcnt lgkmcnt(1)
	v_mul_f32_e32 v73, v47, v57
	v_mul_f32_e32 v57, v48, v57
	v_fmac_f32_e32 v71, v44, v62
	v_fma_f32 v42, v45, v63, -v56
	v_add_f32_e32 v46, v46, v70
	v_add_f32_e32 v39, v39, v41
	v_mul_f32_e32 v74, v49, v58
	v_mul_f32_e32 v58, v50, v58
	s_waitcnt vmcnt(4)
	v_fma_f32 v43, v47, v64, -v57
	v_add_f32_e32 v40, v46, v71
	v_add_f32_e32 v39, v39, v42
	s_waitcnt lgkmcnt(0)
	v_mul_f32_e32 v75, v51, v59
	v_mul_f32_e32 v59, v52, v59
	v_fmac_f32_e32 v73, v48, v64
	s_waitcnt vmcnt(3)
	v_fma_f32 v44, v49, v65, -v58
	v_add_f32_e32 v40, v40, v72
	v_add_f32_e32 v39, v39, v43
	v_fmac_f32_e32 v74, v50, v65
	s_waitcnt vmcnt(2)
	v_fma_f32 v45, v51, v66, -v59
	v_add_f32_e32 v40, v40, v73
	v_add_f32_e32 v39, v39, v44
	v_fmac_f32_e32 v75, v52, v66
	v_add_f32_e32 v40, v40, v74
	v_add_f32_e32 v39, v39, v45
	;; [unrolled: 1-line block ×3, first 2 shown]
	s_waitcnt vmcnt(1)
	v_sub_f32_e32 v39, v67, v39
	s_waitcnt vmcnt(0)
	v_sub_f32_e32 v40, v68, v40
	buffer_store_dword v39, off, s[0:3], 0 offset:80
	buffer_store_dword v40, off, s[0:3], 0 offset:84
	s_and_saveexec_b64 s[4:5], vcc
	s_cbranch_execz .LBB81_103
; %bb.102:
	buffer_load_dword v39, off, s[0:3], 0 offset:72
	buffer_load_dword v40, off, s[0:3], 0 offset:76
	s_waitcnt vmcnt(0)
	ds_write_b64 v37, v[39:40]
	buffer_store_dword v38, off, s[0:3], 0 offset:72
	buffer_store_dword v38, off, s[0:3], 0 offset:76
.LBB81_103:
	s_or_b64 exec, exec, s[4:5]
	s_waitcnt lgkmcnt(0)
	; wave barrier
	buffer_load_dword v55, off, s[0:3], 0 offset:84
	buffer_load_dword v56, off, s[0:3], 0 offset:92
	;; [unrolled: 1-line block ×18, first 2 shown]
	ds_read_b128 v[39:42], v38 offset:224
	ds_read_b128 v[43:46], v38 offset:240
	;; [unrolled: 1-line block ×4, first 2 shown]
	v_cmp_lt_u32_e32 vcc, 8, v0
	s_waitcnt vmcnt(17) lgkmcnt(3)
	v_mul_f32_e32 v38, v39, v55
	v_mul_f32_e32 v55, v40, v55
	s_waitcnt vmcnt(16)
	v_mul_f32_e32 v73, v41, v56
	v_mul_f32_e32 v56, v42, v56
	s_waitcnt vmcnt(15) lgkmcnt(2)
	v_mul_f32_e32 v74, v43, v57
	v_mul_f32_e32 v57, v44, v57
	s_waitcnt vmcnt(14)
	v_mul_f32_e32 v75, v45, v58
	v_mul_f32_e32 v58, v46, v58
	s_waitcnt vmcnt(9)
	v_fma_f32 v39, v39, v63, -v55
	v_fmac_f32_e32 v38, v40, v63
	s_waitcnt vmcnt(8)
	v_fma_f32 v40, v41, v64, -v56
	v_add_f32_e32 v39, 0, v39
	v_fmac_f32_e32 v73, v42, v64
	s_waitcnt vmcnt(7)
	v_fma_f32 v41, v43, v65, -v57
	v_add_f32_e32 v38, 0, v38
	v_add_f32_e32 v39, v39, v40
	s_waitcnt lgkmcnt(1)
	v_mul_f32_e32 v76, v47, v59
	v_mul_f32_e32 v59, v48, v59
	v_fmac_f32_e32 v74, v44, v65
	s_waitcnt vmcnt(6)
	v_fma_f32 v42, v45, v66, -v58
	v_add_f32_e32 v38, v38, v73
	v_add_f32_e32 v39, v39, v41
	v_mul_f32_e32 v77, v49, v60
	v_mul_f32_e32 v60, v50, v60
	v_fmac_f32_e32 v75, v46, v66
	s_waitcnt vmcnt(5)
	v_fma_f32 v43, v47, v67, -v59
	v_add_f32_e32 v38, v38, v74
	v_add_f32_e32 v39, v39, v42
	s_waitcnt lgkmcnt(0)
	v_mul_f32_e32 v78, v51, v61
	v_mul_f32_e32 v61, v52, v61
	v_fmac_f32_e32 v76, v48, v67
	s_waitcnt vmcnt(4)
	v_fma_f32 v44, v49, v68, -v60
	v_add_f32_e32 v38, v38, v75
	v_add_f32_e32 v39, v39, v43
	v_mul_f32_e32 v79, v53, v62
	v_mul_f32_e32 v62, v54, v62
	v_fmac_f32_e32 v77, v50, v68
	s_waitcnt vmcnt(3)
	v_fma_f32 v45, v51, v69, -v61
	v_add_f32_e32 v38, v38, v76
	v_add_f32_e32 v39, v39, v44
	v_fmac_f32_e32 v78, v52, v69
	s_waitcnt vmcnt(2)
	v_fma_f32 v46, v53, v70, -v62
	v_add_f32_e32 v38, v38, v77
	v_add_f32_e32 v39, v39, v45
	v_fmac_f32_e32 v79, v54, v70
	v_add_f32_e32 v38, v38, v78
	v_add_f32_e32 v39, v39, v46
	;; [unrolled: 1-line block ×3, first 2 shown]
	s_waitcnt vmcnt(1)
	v_sub_f32_e32 v39, v71, v39
	s_waitcnt vmcnt(0)
	v_sub_f32_e32 v38, v72, v38
	buffer_store_dword v39, off, s[0:3], 0 offset:72
	buffer_store_dword v38, off, s[0:3], 0 offset:76
	s_and_saveexec_b64 s[4:5], vcc
	s_cbranch_execz .LBB81_105
; %bb.104:
	buffer_load_dword v38, off, s[0:3], 0 offset:64
	buffer_load_dword v39, off, s[0:3], 0 offset:68
	v_mov_b32_e32 v40, 0
	buffer_store_dword v40, off, s[0:3], 0 offset:64
	buffer_store_dword v40, off, s[0:3], 0 offset:68
	s_waitcnt vmcnt(2)
	ds_write_b64 v37, v[38:39]
.LBB81_105:
	s_or_b64 exec, exec, s[4:5]
	v_mov_b32_e32 v38, 0
	s_waitcnt lgkmcnt(0)
	; wave barrier
	ds_read2_b64 v[39:42], v38 offset0:27 offset1:28
	buffer_load_dword v57, off, s[0:3], 0 offset:64
	buffer_load_dword v58, off, s[0:3], 0 offset:68
	;; [unrolled: 1-line block ×16, first 2 shown]
	v_cmp_lt_u32_e32 vcc, 7, v0
	s_waitcnt vmcnt(12) lgkmcnt(0)
	v_mul_f32_e32 v43, v39, v60
	v_fmac_f32_e32 v43, v40, v59
	s_waitcnt vmcnt(10)
	v_mul_f32_e32 v44, v41, v62
	v_add_f32_e32 v43, 0, v43
	v_fmac_f32_e32 v44, v42, v61
	v_add_f32_e32 v47, v43, v44
	ds_read2_b64 v[43:46], v38 offset0:29 offset1:30
	v_mul_f32_e32 v40, v40, v60
	v_fma_f32 v39, v39, v59, -v40
	v_mul_f32_e32 v40, v42, v62
	v_add_f32_e32 v39, 0, v39
	s_waitcnt vmcnt(8) lgkmcnt(0)
	v_mul_f32_e32 v48, v43, v64
	v_fmac_f32_e32 v48, v44, v63
	v_add_f32_e32 v47, v47, v48
	s_waitcnt vmcnt(6)
	v_mul_f32_e32 v48, v45, v66
	v_fmac_f32_e32 v48, v46, v65
	v_add_f32_e32 v51, v47, v48
	ds_read2_b64 v[47:50], v38 offset0:31 offset1:32
	v_fma_f32 v40, v41, v61, -v40
	v_add_f32_e32 v39, v39, v40
	v_mul_f32_e32 v40, v44, v64
	v_fma_f32 v40, v43, v63, -v40
	s_waitcnt vmcnt(4) lgkmcnt(0)
	v_mul_f32_e32 v52, v47, v68
	v_fmac_f32_e32 v52, v48, v67
	v_add_f32_e32 v51, v51, v52
	s_waitcnt vmcnt(2)
	v_mul_f32_e32 v52, v49, v70
	v_fmac_f32_e32 v52, v50, v69
	v_add_f32_e32 v55, v51, v52
	ds_read2_b64 v[51:54], v38 offset0:33 offset1:34
	buffer_load_dword v73, off, s[0:3], 0 offset:128
	buffer_load_dword v74, off, s[0:3], 0 offset:132
	v_add_f32_e32 v39, v39, v40
	v_mul_f32_e32 v40, v46, v66
	v_fma_f32 v40, v45, v65, -v40
	s_waitcnt vmcnt(2) lgkmcnt(0)
	v_mul_f32_e32 v56, v51, v72
	v_fmac_f32_e32 v56, v52, v71
	v_add_f32_e32 v55, v55, v56
	v_add_f32_e32 v39, v39, v40
	v_mul_f32_e32 v40, v48, v68
	v_fma_f32 v40, v47, v67, -v40
	v_add_f32_e32 v39, v39, v40
	v_mul_f32_e32 v40, v50, v70
	v_fma_f32 v40, v49, v69, -v40
	;; [unrolled: 3-line block ×3, first 2 shown]
	v_add_f32_e32 v39, v39, v40
	s_waitcnt vmcnt(0)
	v_mul_f32_e32 v56, v53, v74
	v_fmac_f32_e32 v56, v54, v73
	v_add_f32_e32 v75, v55, v56
	ds_read_b64 v[55:56], v38 offset:280
	buffer_load_dword v76, off, s[0:3], 0 offset:136
	buffer_load_dword v77, off, s[0:3], 0 offset:140
	v_mul_f32_e32 v40, v54, v74
	v_fma_f32 v40, v53, v73, -v40
	v_add_f32_e32 v39, v39, v40
	s_waitcnt vmcnt(0) lgkmcnt(0)
	v_mul_f32_e32 v40, v56, v77
	v_mul_f32_e32 v78, v55, v77
	v_fma_f32 v40, v55, v76, -v40
	v_fmac_f32_e32 v78, v56, v76
	v_add_f32_e32 v39, v39, v40
	v_add_f32_e32 v75, v75, v78
	v_sub_f32_e32 v39, v57, v39
	v_sub_f32_e32 v40, v58, v75
	buffer_store_dword v39, off, s[0:3], 0 offset:64
	buffer_store_dword v40, off, s[0:3], 0 offset:68
	s_and_saveexec_b64 s[4:5], vcc
	s_cbranch_execz .LBB81_107
; %bb.106:
	buffer_load_dword v39, off, s[0:3], 0 offset:56
	buffer_load_dword v40, off, s[0:3], 0 offset:60
	s_waitcnt vmcnt(0)
	ds_write_b64 v37, v[39:40]
	buffer_store_dword v38, off, s[0:3], 0 offset:56
	buffer_store_dword v38, off, s[0:3], 0 offset:60
.LBB81_107:
	s_or_b64 exec, exec, s[4:5]
	s_waitcnt lgkmcnt(0)
	; wave barrier
	ds_read_b128 v[39:42], v38 offset:208
	ds_read_b128 v[43:46], v38 offset:224
	;; [unrolled: 1-line block ×4, first 2 shown]
	buffer_load_dword v59, off, s[0:3], 0 offset:56
	buffer_load_dword v60, off, s[0:3], 0 offset:60
	;; [unrolled: 1-line block ×18, first 2 shown]
	v_cmp_lt_u32_e32 vcc, 6, v0
	s_waitcnt vmcnt(14) lgkmcnt(3)
	v_mul_f32_e32 v55, v39, v62
	v_fmac_f32_e32 v55, v40, v61
	s_waitcnt vmcnt(12)
	v_mul_f32_e32 v56, v41, v64
	v_add_f32_e32 v55, 0, v55
	v_fmac_f32_e32 v56, v42, v63
	v_add_f32_e32 v55, v55, v56
	s_waitcnt vmcnt(10) lgkmcnt(2)
	v_mul_f32_e32 v56, v43, v66
	v_fmac_f32_e32 v56, v44, v65
	v_add_f32_e32 v55, v55, v56
	s_waitcnt vmcnt(8)
	v_mul_f32_e32 v56, v45, v68
	v_fmac_f32_e32 v56, v46, v67
	v_add_f32_e32 v55, v55, v56
	s_waitcnt vmcnt(6) lgkmcnt(1)
	v_mul_f32_e32 v56, v47, v70
	v_fmac_f32_e32 v56, v48, v69
	v_add_f32_e32 v55, v55, v56
	s_waitcnt vmcnt(4)
	v_mul_f32_e32 v56, v49, v72
	;; [unrolled: 8-line block ×3, first 2 shown]
	v_fmac_f32_e32 v56, v54, v75
	v_add_f32_e32 v77, v55, v56
	ds_read_b128 v[55:58], v38 offset:272
	buffer_load_dword v38, off, s[0:3], 0 offset:128
	buffer_load_dword v78, off, s[0:3], 0 offset:132
	v_mul_f32_e32 v40, v40, v62
	v_fma_f32 v39, v39, v61, -v40
	v_mul_f32_e32 v40, v42, v64
	v_add_f32_e32 v39, 0, v39
	v_fma_f32 v40, v41, v63, -v40
	v_add_f32_e32 v39, v39, v40
	v_mul_f32_e32 v40, v44, v66
	v_fma_f32 v40, v43, v65, -v40
	v_add_f32_e32 v39, v39, v40
	v_mul_f32_e32 v40, v46, v68
	;; [unrolled: 3-line block ×6, first 2 shown]
	v_fma_f32 v40, v53, v75, -v40
	v_add_f32_e32 v39, v39, v40
	s_waitcnt vmcnt(0) lgkmcnt(0)
	v_mul_f32_e32 v79, v55, v78
	v_fmac_f32_e32 v79, v56, v38
	v_add_f32_e32 v77, v77, v79
	buffer_load_dword v79, off, s[0:3], 0 offset:136
	buffer_load_dword v80, off, s[0:3], 0 offset:140
	v_mul_f32_e32 v40, v56, v78
	v_fma_f32 v38, v55, v38, -v40
	v_add_f32_e32 v38, v39, v38
	s_waitcnt vmcnt(0)
	v_mul_f32_e32 v39, v58, v80
	v_mul_f32_e32 v81, v57, v80
	v_fma_f32 v39, v57, v79, -v39
	v_fmac_f32_e32 v81, v58, v79
	v_add_f32_e32 v38, v38, v39
	v_add_f32_e32 v77, v77, v81
	v_sub_f32_e32 v38, v59, v38
	v_sub_f32_e32 v39, v60, v77
	buffer_store_dword v38, off, s[0:3], 0 offset:56
	buffer_store_dword v39, off, s[0:3], 0 offset:60
	s_and_saveexec_b64 s[4:5], vcc
	s_cbranch_execz .LBB81_109
; %bb.108:
	buffer_load_dword v38, off, s[0:3], 0 offset:48
	buffer_load_dword v39, off, s[0:3], 0 offset:52
	v_mov_b32_e32 v40, 0
	buffer_store_dword v40, off, s[0:3], 0 offset:48
	buffer_store_dword v40, off, s[0:3], 0 offset:52
	s_waitcnt vmcnt(2)
	ds_write_b64 v37, v[38:39]
.LBB81_109:
	s_or_b64 exec, exec, s[4:5]
	s_waitcnt lgkmcnt(0)
	; wave barrier
	buffer_load_dword v61, off, s[0:3], 0 offset:60
	buffer_load_dword v62, off, s[0:3], 0 offset:68
	;; [unrolled: 1-line block ×24, first 2 shown]
	v_mov_b32_e32 v38, 0
	ds_read2_b64 v[39:42], v38 offset0:25 offset1:26
	ds_read2_b64 v[43:46], v38 offset0:27 offset1:28
	;; [unrolled: 1-line block ×5, first 2 shown]
	ds_read_b64 v[59:60], v38 offset:280
	v_cmp_lt_u32_e32 vcc, 5, v0
	s_waitcnt vmcnt(23) lgkmcnt(5)
	v_mul_f32_e32 v85, v39, v61
	v_mul_f32_e32 v61, v40, v61
	s_waitcnt vmcnt(22)
	v_mul_f32_e32 v86, v41, v62
	v_mul_f32_e32 v62, v42, v62
	s_waitcnt vmcnt(21) lgkmcnt(4)
	v_mul_f32_e32 v87, v43, v63
	v_mul_f32_e32 v63, v44, v63
	s_waitcnt vmcnt(20)
	v_mul_f32_e32 v88, v45, v64
	s_waitcnt vmcnt(19) lgkmcnt(3)
	v_mul_f32_e32 v89, v47, v65
	v_mul_f32_e32 v64, v46, v64
	;; [unrolled: 1-line block ×3, first 2 shown]
	s_waitcnt vmcnt(18)
	v_mul_f32_e32 v90, v49, v66
	s_waitcnt vmcnt(12)
	v_fma_f32 v39, v39, v72, -v61
	v_fmac_f32_e32 v85, v40, v72
	s_waitcnt vmcnt(11)
	v_fma_f32 v40, v41, v73, -v62
	v_add_f32_e32 v39, 0, v39
	s_waitcnt vmcnt(10)
	v_fma_f32 v41, v43, v74, -v63
	v_add_f32_e32 v39, v39, v40
	v_fmac_f32_e32 v86, v42, v73
	s_waitcnt vmcnt(8)
	v_fmac_f32_e32 v89, v48, v76
	v_fma_f32 v42, v45, v75, -v64
	v_add_f32_e32 v48, 0, v85
	v_add_f32_e32 v39, v39, v41
	v_mul_f32_e32 v66, v50, v66
	v_fmac_f32_e32 v87, v44, v74
	v_fma_f32 v43, v47, v76, -v65
	v_add_f32_e32 v48, v48, v86
	v_add_f32_e32 v39, v39, v42
	s_waitcnt lgkmcnt(2)
	v_mul_f32_e32 v91, v51, v67
	v_mul_f32_e32 v67, v52, v67
	v_fmac_f32_e32 v88, v46, v75
	s_waitcnt vmcnt(7)
	v_fma_f32 v44, v49, v77, -v66
	v_add_f32_e32 v40, v48, v87
	v_add_f32_e32 v39, v39, v43
	v_mul_f32_e32 v92, v53, v68
	v_mul_f32_e32 v68, v54, v68
	s_waitcnt vmcnt(6)
	v_fma_f32 v45, v51, v78, -v67
	v_add_f32_e32 v40, v40, v88
	v_add_f32_e32 v39, v39, v44
	s_waitcnt lgkmcnt(1)
	v_mul_f32_e32 v93, v55, v69
	v_mul_f32_e32 v69, v56, v69
	v_fmac_f32_e32 v90, v50, v77
	s_waitcnt vmcnt(5)
	v_fma_f32 v46, v53, v79, -v68
	v_add_f32_e32 v40, v40, v89
	v_add_f32_e32 v39, v39, v45
	v_fmac_f32_e32 v91, v52, v78
	s_waitcnt vmcnt(4)
	v_fma_f32 v47, v55, v80, -v69
	v_add_f32_e32 v40, v40, v90
	v_add_f32_e32 v39, v39, v46
	v_mul_f32_e32 v41, v58, v70
	v_fmac_f32_e32 v92, v54, v79
	v_add_f32_e32 v40, v40, v91
	v_add_f32_e32 v39, v39, v47
	s_waitcnt vmcnt(3)
	v_fma_f32 v41, v57, v81, -v41
	v_mul_f32_e32 v94, v57, v70
	v_fmac_f32_e32 v93, v56, v80
	v_add_f32_e32 v40, v40, v92
	v_add_f32_e32 v39, v39, v41
	s_waitcnt lgkmcnt(0)
	v_mul_f32_e32 v41, v60, v71
	v_mul_f32_e32 v95, v59, v71
	v_fmac_f32_e32 v94, v58, v81
	v_add_f32_e32 v40, v40, v93
	s_waitcnt vmcnt(2)
	v_fma_f32 v41, v59, v82, -v41
	v_fmac_f32_e32 v95, v60, v82
	v_add_f32_e32 v40, v40, v94
	v_add_f32_e32 v39, v39, v41
	v_add_f32_e32 v40, v40, v95
	s_waitcnt vmcnt(1)
	v_sub_f32_e32 v39, v83, v39
	s_waitcnt vmcnt(0)
	v_sub_f32_e32 v40, v84, v40
	buffer_store_dword v39, off, s[0:3], 0 offset:48
	buffer_store_dword v40, off, s[0:3], 0 offset:52
	s_and_saveexec_b64 s[4:5], vcc
	s_cbranch_execz .LBB81_111
; %bb.110:
	buffer_load_dword v39, off, s[0:3], 0 offset:40
	buffer_load_dword v40, off, s[0:3], 0 offset:44
	s_waitcnt vmcnt(0)
	ds_write_b64 v37, v[39:40]
	buffer_store_dword v38, off, s[0:3], 0 offset:40
	buffer_store_dword v38, off, s[0:3], 0 offset:44
.LBB81_111:
	s_or_b64 exec, exec, s[4:5]
	s_waitcnt lgkmcnt(0)
	; wave barrier
	buffer_load_dword v63, off, s[0:3], 0 offset:52
	buffer_load_dword v64, off, s[0:3], 0 offset:60
	buffer_load_dword v65, off, s[0:3], 0 offset:68
	buffer_load_dword v66, off, s[0:3], 0 offset:76
	buffer_load_dword v67, off, s[0:3], 0 offset:84
	buffer_load_dword v68, off, s[0:3], 0 offset:92
	buffer_load_dword v69, off, s[0:3], 0 offset:100
	buffer_load_dword v70, off, s[0:3], 0 offset:108
	buffer_load_dword v71, off, s[0:3], 0 offset:116
	buffer_load_dword v72, off, s[0:3], 0 offset:124
	buffer_load_dword v73, off, s[0:3], 0 offset:132
	buffer_load_dword v74, off, s[0:3], 0 offset:140
	buffer_load_dword v75, off, s[0:3], 0 offset:48
	buffer_load_dword v76, off, s[0:3], 0 offset:56
	buffer_load_dword v77, off, s[0:3], 0 offset:64
	buffer_load_dword v78, off, s[0:3], 0 offset:72
	buffer_load_dword v79, off, s[0:3], 0 offset:80
	buffer_load_dword v80, off, s[0:3], 0 offset:88
	buffer_load_dword v81, off, s[0:3], 0 offset:96
	buffer_load_dword v82, off, s[0:3], 0 offset:104
	buffer_load_dword v83, off, s[0:3], 0 offset:112
	buffer_load_dword v84, off, s[0:3], 0 offset:120
	buffer_load_dword v85, off, s[0:3], 0 offset:128
	buffer_load_dword v86, off, s[0:3], 0 offset:136
	buffer_load_dword v87, off, s[0:3], 0 offset:40
	buffer_load_dword v88, off, s[0:3], 0 offset:44
	ds_read_b128 v[39:42], v38 offset:192
	ds_read_b128 v[43:46], v38 offset:208
	;; [unrolled: 1-line block ×6, first 2 shown]
	v_cmp_lt_u32_e32 vcc, 4, v0
	s_waitcnt vmcnt(25) lgkmcnt(5)
	v_mul_f32_e32 v38, v39, v63
	v_mul_f32_e32 v63, v40, v63
	s_waitcnt vmcnt(24)
	v_mul_f32_e32 v89, v41, v64
	v_mul_f32_e32 v64, v42, v64
	s_waitcnt vmcnt(23) lgkmcnt(4)
	v_mul_f32_e32 v90, v43, v65
	v_mul_f32_e32 v65, v44, v65
	s_waitcnt vmcnt(22)
	v_mul_f32_e32 v91, v45, v66
	v_mul_f32_e32 v66, v46, v66
	;; [unrolled: 6-line block ×3, first 2 shown]
	s_waitcnt vmcnt(13)
	v_fma_f32 v39, v39, v75, -v63
	v_fmac_f32_e32 v38, v40, v75
	s_waitcnt vmcnt(12)
	v_fma_f32 v40, v41, v76, -v64
	v_add_f32_e32 v39, 0, v39
	s_waitcnt vmcnt(11)
	v_fma_f32 v41, v43, v77, -v65
	v_add_f32_e32 v39, v39, v40
	v_fmac_f32_e32 v89, v42, v76
	s_waitcnt vmcnt(10)
	v_fma_f32 v42, v45, v78, -v66
	v_add_f32_e32 v39, v39, v41
	s_waitcnt vmcnt(9)
	v_fma_f32 v43, v47, v79, -v67
	v_add_f32_e32 v39, v39, v42
	s_waitcnt lgkmcnt(2)
	v_mul_f32_e32 v94, v51, v69
	v_mul_f32_e32 v69, v52, v69
	v_fmac_f32_e32 v90, v44, v77
	s_waitcnt vmcnt(8)
	v_fma_f32 v44, v49, v80, -v68
	v_add_f32_e32 v38, 0, v38
	v_add_f32_e32 v39, v39, v43
	v_mul_f32_e32 v95, v53, v70
	v_mul_f32_e32 v70, v54, v70
	s_waitcnt vmcnt(7)
	v_fma_f32 v45, v51, v81, -v69
	v_add_f32_e32 v38, v38, v89
	v_add_f32_e32 v39, v39, v44
	v_fmac_f32_e32 v91, v46, v78
	s_waitcnt vmcnt(6)
	v_fma_f32 v46, v53, v82, -v70
	v_add_f32_e32 v38, v38, v90
	v_add_f32_e32 v39, v39, v45
	s_waitcnt lgkmcnt(1)
	v_mul_f32_e32 v40, v56, v71
	v_fmac_f32_e32 v92, v48, v79
	v_add_f32_e32 v38, v38, v91
	v_add_f32_e32 v39, v39, v46
	s_waitcnt vmcnt(5)
	v_fma_f32 v40, v55, v83, -v40
	v_fmac_f32_e32 v93, v50, v80
	v_add_f32_e32 v38, v38, v92
	v_add_f32_e32 v39, v39, v40
	v_mul_f32_e32 v40, v58, v72
	v_fmac_f32_e32 v94, v52, v81
	v_add_f32_e32 v38, v38, v93
	s_waitcnt vmcnt(4)
	v_fma_f32 v40, v57, v84, -v40
	v_mul_f32_e32 v96, v55, v71
	v_fmac_f32_e32 v95, v54, v82
	v_add_f32_e32 v38, v38, v94
	v_add_f32_e32 v39, v39, v40
	s_waitcnt lgkmcnt(0)
	v_mul_f32_e32 v40, v60, v73
	v_mul_f32_e32 v97, v57, v72
	v_fmac_f32_e32 v96, v56, v83
	v_add_f32_e32 v38, v38, v95
	s_waitcnt vmcnt(3)
	v_fma_f32 v40, v59, v85, -v40
	v_mul_f32_e32 v98, v59, v73
	v_fmac_f32_e32 v97, v58, v84
	v_add_f32_e32 v38, v38, v96
	v_add_f32_e32 v39, v39, v40
	v_mul_f32_e32 v40, v62, v74
	v_mul_f32_e32 v99, v61, v74
	v_fmac_f32_e32 v98, v60, v85
	v_add_f32_e32 v38, v38, v97
	s_waitcnt vmcnt(2)
	v_fma_f32 v40, v61, v86, -v40
	v_fmac_f32_e32 v99, v62, v86
	v_add_f32_e32 v38, v38, v98
	v_add_f32_e32 v39, v39, v40
	;; [unrolled: 1-line block ×3, first 2 shown]
	s_waitcnt vmcnt(1)
	v_sub_f32_e32 v39, v87, v39
	s_waitcnt vmcnt(0)
	v_sub_f32_e32 v38, v88, v38
	buffer_store_dword v39, off, s[0:3], 0 offset:40
	buffer_store_dword v38, off, s[0:3], 0 offset:44
	s_and_saveexec_b64 s[4:5], vcc
	s_cbranch_execz .LBB81_113
; %bb.112:
	buffer_load_dword v38, off, s[0:3], 0 offset:32
	buffer_load_dword v39, off, s[0:3], 0 offset:36
	v_mov_b32_e32 v40, 0
	buffer_store_dword v40, off, s[0:3], 0 offset:32
	buffer_store_dword v40, off, s[0:3], 0 offset:36
	s_waitcnt vmcnt(2)
	ds_write_b64 v37, v[38:39]
.LBB81_113:
	s_or_b64 exec, exec, s[4:5]
	s_waitcnt lgkmcnt(0)
	; wave barrier
	buffer_load_dword v65, off, s[0:3], 0 offset:44
	buffer_load_dword v66, off, s[0:3], 0 offset:52
	;; [unrolled: 1-line block ×28, first 2 shown]
	v_mov_b32_e32 v38, 0
	ds_read2_b64 v[39:42], v38 offset0:23 offset1:24
	ds_read2_b64 v[43:46], v38 offset0:25 offset1:26
	;; [unrolled: 1-line block ×6, first 2 shown]
	ds_read_b64 v[63:64], v38 offset:280
	v_cmp_lt_u32_e32 vcc, 3, v0
	s_waitcnt vmcnt(27) lgkmcnt(6)
	v_mul_f32_e32 v93, v39, v65
	v_mul_f32_e32 v65, v40, v65
	s_waitcnt vmcnt(26)
	v_mul_f32_e32 v94, v41, v66
	v_mul_f32_e32 v66, v42, v66
	s_waitcnt vmcnt(25) lgkmcnt(5)
	v_mul_f32_e32 v95, v43, v67
	v_mul_f32_e32 v67, v44, v67
	s_waitcnt vmcnt(24)
	v_mul_f32_e32 v96, v45, v68
	v_mul_f32_e32 v68, v46, v68
	;; [unrolled: 6-line block ×3, first 2 shown]
	s_waitcnt vmcnt(21) lgkmcnt(3)
	v_mul_f32_e32 v99, v51, v71
	s_waitcnt vmcnt(14)
	v_fma_f32 v39, v39, v78, -v65
	v_fmac_f32_e32 v93, v40, v78
	s_waitcnt vmcnt(13)
	v_fma_f32 v40, v41, v79, -v66
	v_add_f32_e32 v39, 0, v39
	s_waitcnt vmcnt(12)
	v_fma_f32 v41, v43, v80, -v67
	v_add_f32_e32 v39, v39, v40
	v_fmac_f32_e32 v94, v42, v79
	s_waitcnt vmcnt(11)
	v_fma_f32 v42, v45, v81, -v68
	v_add_f32_e32 v39, v39, v41
	s_waitcnt vmcnt(10)
	v_fma_f32 v43, v47, v82, -v69
	v_add_f32_e32 v39, v39, v42
	v_fmac_f32_e32 v95, v44, v80
	s_waitcnt vmcnt(9)
	v_fma_f32 v44, v49, v83, -v70
	v_add_f32_e32 v39, v39, v43
	v_mul_f32_e32 v41, v52, v71
	v_add_f32_e32 v39, v39, v44
	s_waitcnt vmcnt(8)
	v_fma_f32 v41, v51, v84, -v41
	v_add_f32_e32 v39, v39, v41
	v_mul_f32_e32 v41, v54, v72
	v_add_f32_e32 v45, 0, v93
	s_waitcnt vmcnt(7)
	v_fma_f32 v41, v53, v85, -v41
	v_add_f32_e32 v45, v45, v94
	v_add_f32_e32 v39, v39, v41
	s_waitcnt lgkmcnt(2)
	v_mul_f32_e32 v41, v56, v73
	v_fmac_f32_e32 v96, v46, v81
	v_add_f32_e32 v40, v45, v95
	s_waitcnt vmcnt(6)
	v_fma_f32 v41, v55, v86, -v41
	v_fmac_f32_e32 v97, v48, v82
	v_add_f32_e32 v40, v40, v96
	v_add_f32_e32 v39, v39, v41
	v_mul_f32_e32 v41, v58, v74
	v_fmac_f32_e32 v98, v50, v83
	v_add_f32_e32 v40, v40, v97
	s_waitcnt vmcnt(5)
	v_fma_f32 v41, v57, v87, -v41
	v_mul_f32_e32 v100, v53, v72
	v_fmac_f32_e32 v99, v52, v84
	v_add_f32_e32 v40, v40, v98
	v_add_f32_e32 v39, v39, v41
	s_waitcnt lgkmcnt(1)
	v_mul_f32_e32 v41, v60, v75
	v_mul_f32_e32 v101, v55, v73
	v_fmac_f32_e32 v100, v54, v85
	v_add_f32_e32 v40, v40, v99
	s_waitcnt vmcnt(4)
	v_fma_f32 v41, v59, v88, -v41
	v_mul_f32_e32 v102, v57, v74
	v_fmac_f32_e32 v101, v56, v86
	v_add_f32_e32 v40, v40, v100
	v_add_f32_e32 v39, v39, v41
	v_mul_f32_e32 v41, v62, v76
	v_mul_f32_e32 v103, v59, v75
	v_fmac_f32_e32 v102, v58, v87
	v_add_f32_e32 v40, v40, v101
	s_waitcnt vmcnt(3)
	v_fma_f32 v41, v61, v89, -v41
	v_mul_f32_e32 v104, v61, v76
	v_fmac_f32_e32 v103, v60, v88
	v_add_f32_e32 v40, v40, v102
	v_add_f32_e32 v39, v39, v41
	s_waitcnt lgkmcnt(0)
	v_mul_f32_e32 v41, v64, v77
	v_mul_f32_e32 v105, v63, v77
	v_fmac_f32_e32 v104, v62, v89
	v_add_f32_e32 v40, v40, v103
	s_waitcnt vmcnt(2)
	v_fma_f32 v41, v63, v90, -v41
	v_fmac_f32_e32 v105, v64, v90
	v_add_f32_e32 v40, v40, v104
	v_add_f32_e32 v39, v39, v41
	;; [unrolled: 1-line block ×3, first 2 shown]
	s_waitcnt vmcnt(1)
	v_sub_f32_e32 v39, v91, v39
	s_waitcnt vmcnt(0)
	v_sub_f32_e32 v40, v92, v40
	buffer_store_dword v39, off, s[0:3], 0 offset:32
	buffer_store_dword v40, off, s[0:3], 0 offset:36
	s_and_saveexec_b64 s[4:5], vcc
	s_cbranch_execz .LBB81_115
; %bb.114:
	buffer_load_dword v39, off, s[0:3], 0 offset:24
	buffer_load_dword v40, off, s[0:3], 0 offset:28
	s_waitcnt vmcnt(0)
	ds_write_b64 v37, v[39:40]
	buffer_store_dword v38, off, s[0:3], 0 offset:24
	buffer_store_dword v38, off, s[0:3], 0 offset:28
.LBB81_115:
	s_or_b64 exec, exec, s[4:5]
	s_waitcnt lgkmcnt(0)
	; wave barrier
	buffer_load_dword v67, off, s[0:3], 0 offset:36
	buffer_load_dword v68, off, s[0:3], 0 offset:44
	;; [unrolled: 1-line block ×30, first 2 shown]
	ds_read_b128 v[39:42], v38 offset:176
	ds_read_b128 v[43:46], v38 offset:192
	ds_read_b128 v[47:50], v38 offset:208
	ds_read_b128 v[51:54], v38 offset:224
	ds_read_b128 v[55:58], v38 offset:240
	ds_read_b128 v[59:62], v38 offset:256
	ds_read_b128 v[63:66], v38 offset:272
	v_cmp_lt_u32_e32 vcc, 2, v0
	s_waitcnt vmcnt(29) lgkmcnt(6)
	v_mul_f32_e32 v38, v39, v67
	v_mul_f32_e32 v67, v40, v67
	s_waitcnt vmcnt(28)
	v_mul_f32_e32 v97, v41, v68
	v_mul_f32_e32 v68, v42, v68
	s_waitcnt vmcnt(27) lgkmcnt(5)
	v_mul_f32_e32 v98, v43, v69
	v_mul_f32_e32 v69, v44, v69
	s_waitcnt vmcnt(26)
	v_mul_f32_e32 v99, v45, v70
	v_mul_f32_e32 v70, v46, v70
	s_waitcnt vmcnt(25) lgkmcnt(4)
	v_mul_f32_e32 v100, v47, v71
	v_mul_f32_e32 v71, v48, v71
	s_waitcnt vmcnt(24)
	v_mul_f32_e32 v101, v49, v72
	s_waitcnt vmcnt(23) lgkmcnt(3)
	v_mul_f32_e32 v102, v51, v73
	s_waitcnt vmcnt(22)
	v_mul_f32_e32 v103, v53, v74
	s_waitcnt vmcnt(21) lgkmcnt(2)
	v_mul_f32_e32 v104, v55, v75
	s_waitcnt vmcnt(15)
	v_fma_f32 v39, v39, v81, -v67
	v_fmac_f32_e32 v38, v40, v81
	s_waitcnt vmcnt(14)
	v_fma_f32 v40, v41, v82, -v68
	v_add_f32_e32 v39, 0, v39
	s_waitcnt vmcnt(13)
	v_fma_f32 v41, v43, v83, -v69
	v_add_f32_e32 v39, v39, v40
	v_fmac_f32_e32 v97, v42, v82
	s_waitcnt vmcnt(12)
	v_fma_f32 v42, v45, v84, -v70
	v_add_f32_e32 v39, v39, v41
	s_waitcnt vmcnt(11)
	v_fma_f32 v43, v47, v85, -v71
	v_add_f32_e32 v39, v39, v42
	v_mul_f32_e32 v40, v50, v72
	v_add_f32_e32 v39, v39, v43
	s_waitcnt vmcnt(10)
	v_fma_f32 v40, v49, v86, -v40
	v_add_f32_e32 v39, v39, v40
	v_mul_f32_e32 v40, v52, v73
	s_waitcnt vmcnt(9)
	v_fma_f32 v40, v51, v87, -v40
	v_add_f32_e32 v39, v39, v40
	v_mul_f32_e32 v40, v54, v74
	s_waitcnt vmcnt(8)
	v_fma_f32 v40, v53, v88, -v40
	v_add_f32_e32 v38, 0, v38
	v_add_f32_e32 v39, v39, v40
	v_mul_f32_e32 v40, v56, v75
	v_fmac_f32_e32 v98, v44, v83
	v_add_f32_e32 v38, v38, v97
	s_waitcnt vmcnt(7)
	v_fma_f32 v40, v55, v89, -v40
	v_fmac_f32_e32 v99, v46, v84
	v_add_f32_e32 v38, v38, v98
	v_add_f32_e32 v39, v39, v40
	v_mul_f32_e32 v40, v58, v76
	v_fmac_f32_e32 v100, v48, v85
	v_add_f32_e32 v38, v38, v99
	s_waitcnt vmcnt(6)
	v_fma_f32 v40, v57, v90, -v40
	v_fmac_f32_e32 v101, v50, v86
	v_add_f32_e32 v38, v38, v100
	v_add_f32_e32 v39, v39, v40
	s_waitcnt lgkmcnt(1)
	v_mul_f32_e32 v40, v60, v77
	v_fmac_f32_e32 v102, v52, v87
	v_add_f32_e32 v38, v38, v101
	s_waitcnt vmcnt(5)
	v_fma_f32 v40, v59, v91, -v40
	v_fmac_f32_e32 v103, v54, v88
	v_add_f32_e32 v38, v38, v102
	v_add_f32_e32 v39, v39, v40
	v_mul_f32_e32 v40, v62, v78
	v_mul_f32_e32 v105, v57, v76
	v_fmac_f32_e32 v104, v56, v89
	v_add_f32_e32 v38, v38, v103
	s_waitcnt vmcnt(4)
	v_fma_f32 v40, v61, v92, -v40
	v_mul_f32_e32 v106, v59, v77
	v_fmac_f32_e32 v105, v58, v90
	v_add_f32_e32 v38, v38, v104
	v_add_f32_e32 v39, v39, v40
	s_waitcnt lgkmcnt(0)
	v_mul_f32_e32 v40, v64, v79
	v_mul_f32_e32 v107, v61, v78
	v_fmac_f32_e32 v106, v60, v91
	v_add_f32_e32 v38, v38, v105
	s_waitcnt vmcnt(3)
	v_fma_f32 v40, v63, v93, -v40
	v_mul_f32_e32 v108, v63, v79
	v_fmac_f32_e32 v107, v62, v92
	v_add_f32_e32 v38, v38, v106
	v_add_f32_e32 v39, v39, v40
	v_mul_f32_e32 v40, v66, v80
	v_mul_f32_e32 v109, v65, v80
	v_fmac_f32_e32 v108, v64, v93
	v_add_f32_e32 v38, v38, v107
	s_waitcnt vmcnt(2)
	v_fma_f32 v40, v65, v94, -v40
	v_fmac_f32_e32 v109, v66, v94
	v_add_f32_e32 v38, v38, v108
	v_add_f32_e32 v39, v39, v40
	;; [unrolled: 1-line block ×3, first 2 shown]
	s_waitcnt vmcnt(1)
	v_sub_f32_e32 v39, v95, v39
	s_waitcnt vmcnt(0)
	v_sub_f32_e32 v38, v96, v38
	buffer_store_dword v39, off, s[0:3], 0 offset:24
	buffer_store_dword v38, off, s[0:3], 0 offset:28
	s_and_saveexec_b64 s[4:5], vcc
	s_cbranch_execz .LBB81_117
; %bb.116:
	buffer_load_dword v38, off, s[0:3], 0 offset:16
	buffer_load_dword v39, off, s[0:3], 0 offset:20
	v_mov_b32_e32 v40, 0
	buffer_store_dword v40, off, s[0:3], 0 offset:16
	buffer_store_dword v40, off, s[0:3], 0 offset:20
	s_waitcnt vmcnt(2)
	ds_write_b64 v37, v[38:39]
.LBB81_117:
	s_or_b64 exec, exec, s[4:5]
	s_waitcnt lgkmcnt(0)
	; wave barrier
	buffer_load_dword v69, off, s[0:3], 0 offset:28
	buffer_load_dword v70, off, s[0:3], 0 offset:36
	buffer_load_dword v71, off, s[0:3], 0 offset:44
	buffer_load_dword v72, off, s[0:3], 0 offset:52
	buffer_load_dword v73, off, s[0:3], 0 offset:60
	buffer_load_dword v74, off, s[0:3], 0 offset:68
	buffer_load_dword v75, off, s[0:3], 0 offset:76
	buffer_load_dword v76, off, s[0:3], 0 offset:84
	buffer_load_dword v77, off, s[0:3], 0 offset:92
	buffer_load_dword v78, off, s[0:3], 0 offset:100
	buffer_load_dword v79, off, s[0:3], 0 offset:108
	buffer_load_dword v80, off, s[0:3], 0 offset:116
	buffer_load_dword v81, off, s[0:3], 0 offset:124
	buffer_load_dword v82, off, s[0:3], 0 offset:132
	buffer_load_dword v83, off, s[0:3], 0 offset:140
	buffer_load_dword v84, off, s[0:3], 0 offset:24
	buffer_load_dword v85, off, s[0:3], 0 offset:32
	buffer_load_dword v86, off, s[0:3], 0 offset:40
	buffer_load_dword v87, off, s[0:3], 0 offset:48
	buffer_load_dword v88, off, s[0:3], 0 offset:56
	buffer_load_dword v89, off, s[0:3], 0 offset:64
	buffer_load_dword v90, off, s[0:3], 0 offset:72
	buffer_load_dword v91, off, s[0:3], 0 offset:80
	buffer_load_dword v92, off, s[0:3], 0 offset:88
	buffer_load_dword v93, off, s[0:3], 0 offset:96
	buffer_load_dword v94, off, s[0:3], 0 offset:104
	buffer_load_dword v95, off, s[0:3], 0 offset:112
	buffer_load_dword v96, off, s[0:3], 0 offset:120
	buffer_load_dword v97, off, s[0:3], 0 offset:128
	buffer_load_dword v98, off, s[0:3], 0 offset:136
	buffer_load_dword v99, off, s[0:3], 0 offset:16
	buffer_load_dword v100, off, s[0:3], 0 offset:20
	v_mov_b32_e32 v38, 0
	ds_read2_b64 v[39:42], v38 offset0:21 offset1:22
	ds_read2_b64 v[43:46], v38 offset0:23 offset1:24
	;; [unrolled: 1-line block ×7, first 2 shown]
	ds_read_b64 v[67:68], v38 offset:280
	v_cmp_lt_u32_e32 vcc, 1, v0
	s_waitcnt vmcnt(31) lgkmcnt(7)
	v_mul_f32_e32 v101, v39, v69
	v_mul_f32_e32 v69, v40, v69
	s_waitcnt vmcnt(30)
	v_mul_f32_e32 v102, v41, v70
	v_mul_f32_e32 v70, v42, v70
	s_waitcnt vmcnt(29) lgkmcnt(6)
	v_mul_f32_e32 v103, v43, v71
	v_mul_f32_e32 v71, v44, v71
	s_waitcnt vmcnt(28)
	v_mul_f32_e32 v104, v45, v72
	s_waitcnt vmcnt(27) lgkmcnt(5)
	v_mul_f32_e32 v105, v47, v73
	s_waitcnt vmcnt(26)
	v_mul_f32_e32 v106, v49, v74
	s_waitcnt vmcnt(25) lgkmcnt(4)
	;; [unrolled: 4-line block ×4, first 2 shown]
	v_mul_f32_e32 v111, v59, v79
	s_waitcnt vmcnt(20)
	v_mul_f32_e32 v112, v61, v80
	s_waitcnt vmcnt(16)
	v_fma_f32 v39, v39, v84, -v69
	v_fmac_f32_e32 v101, v40, v84
	s_waitcnt vmcnt(15)
	v_fma_f32 v40, v41, v85, -v70
	v_add_f32_e32 v39, 0, v39
	s_waitcnt vmcnt(14)
	v_fma_f32 v41, v43, v86, -v71
	v_add_f32_e32 v39, v39, v40
	v_add_f32_e32 v39, v39, v41
	v_mul_f32_e32 v41, v46, v72
	s_waitcnt vmcnt(13)
	v_fma_f32 v41, v45, v87, -v41
	v_add_f32_e32 v39, v39, v41
	v_mul_f32_e32 v41, v48, v73
	s_waitcnt vmcnt(12)
	v_fma_f32 v41, v47, v88, -v41
	;; [unrolled: 4-line block ×5, first 2 shown]
	v_add_f32_e32 v39, v39, v41
	v_mul_f32_e32 v41, v56, v77
	v_fmac_f32_e32 v102, v42, v85
	v_add_f32_e32 v42, 0, v101
	s_waitcnt vmcnt(8)
	v_fma_f32 v41, v55, v92, -v41
	v_fmac_f32_e32 v103, v44, v86
	v_add_f32_e32 v42, v42, v102
	v_add_f32_e32 v39, v39, v41
	v_mul_f32_e32 v41, v58, v78
	v_fmac_f32_e32 v104, v46, v87
	v_add_f32_e32 v40, v42, v103
	s_waitcnt vmcnt(7)
	v_fma_f32 v41, v57, v93, -v41
	v_fmac_f32_e32 v105, v48, v88
	v_add_f32_e32 v40, v40, v104
	;; [unrolled: 8-line block ×4, first 2 shown]
	v_add_f32_e32 v39, v39, v41
	s_waitcnt lgkmcnt(1)
	v_mul_f32_e32 v41, v64, v81
	v_fmac_f32_e32 v110, v58, v93
	v_add_f32_e32 v40, v40, v109
	s_waitcnt vmcnt(4)
	v_fma_f32 v41, v63, v96, -v41
	v_fmac_f32_e32 v111, v60, v94
	v_add_f32_e32 v40, v40, v110
	v_add_f32_e32 v39, v39, v41
	v_mul_f32_e32 v41, v66, v82
	v_mul_f32_e32 v113, v63, v81
	v_fmac_f32_e32 v112, v62, v95
	v_add_f32_e32 v40, v40, v111
	s_waitcnt vmcnt(3)
	v_fma_f32 v41, v65, v97, -v41
	v_mul_f32_e32 v114, v65, v82
	v_fmac_f32_e32 v113, v64, v96
	v_add_f32_e32 v40, v40, v112
	v_add_f32_e32 v39, v39, v41
	s_waitcnt lgkmcnt(0)
	v_mul_f32_e32 v41, v68, v83
	v_mul_f32_e32 v115, v67, v83
	v_fmac_f32_e32 v114, v66, v97
	v_add_f32_e32 v40, v40, v113
	s_waitcnt vmcnt(2)
	v_fma_f32 v41, v67, v98, -v41
	v_fmac_f32_e32 v115, v68, v98
	v_add_f32_e32 v40, v40, v114
	v_add_f32_e32 v39, v39, v41
	v_add_f32_e32 v40, v40, v115
	s_waitcnt vmcnt(1)
	v_sub_f32_e32 v39, v99, v39
	s_waitcnt vmcnt(0)
	v_sub_f32_e32 v40, v100, v40
	buffer_store_dword v39, off, s[0:3], 0 offset:16
	buffer_store_dword v40, off, s[0:3], 0 offset:20
	s_and_saveexec_b64 s[4:5], vcc
	s_cbranch_execz .LBB81_119
; %bb.118:
	buffer_load_dword v39, off, s[0:3], 0 offset:8
	buffer_load_dword v40, off, s[0:3], 0 offset:12
	s_waitcnt vmcnt(0)
	ds_write_b64 v37, v[39:40]
	buffer_store_dword v38, off, s[0:3], 0 offset:8
	buffer_store_dword v38, off, s[0:3], 0 offset:12
.LBB81_119:
	s_or_b64 exec, exec, s[4:5]
	s_waitcnt lgkmcnt(0)
	; wave barrier
	buffer_load_dword v71, off, s[0:3], 0 offset:20
	buffer_load_dword v72, off, s[0:3], 0 offset:28
	;; [unrolled: 1-line block ×34, first 2 shown]
	ds_read_b128 v[39:42], v38 offset:160
	ds_read_b128 v[43:46], v38 offset:176
	;; [unrolled: 1-line block ×8, first 2 shown]
	v_cmp_ne_u32_e32 vcc, 0, v0
	s_waitcnt vmcnt(33) lgkmcnt(7)
	v_mul_f32_e32 v38, v39, v71
	v_mul_f32_e32 v71, v40, v71
	s_waitcnt vmcnt(32)
	v_mul_f32_e32 v105, v41, v72
	v_mul_f32_e32 v72, v42, v72
	s_waitcnt vmcnt(31) lgkmcnt(6)
	v_mul_f32_e32 v106, v43, v73
	s_waitcnt vmcnt(30)
	v_mul_f32_e32 v107, v45, v74
	s_waitcnt vmcnt(29) lgkmcnt(5)
	v_mul_f32_e32 v108, v47, v75
	s_waitcnt vmcnt(28)
	;; [unrolled: 4-line block ×6, first 2 shown]
	v_mul_f32_e32 v117, v65, v84
	s_waitcnt vmcnt(17)
	v_fma_f32 v39, v39, v87, -v71
	v_fmac_f32_e32 v38, v40, v87
	s_waitcnt vmcnt(16)
	v_fma_f32 v40, v41, v88, -v72
	v_add_f32_e32 v39, 0, v39
	v_add_f32_e32 v39, v39, v40
	v_mul_f32_e32 v40, v44, v73
	s_waitcnt vmcnt(15)
	v_fma_f32 v40, v43, v89, -v40
	v_add_f32_e32 v39, v39, v40
	v_mul_f32_e32 v40, v46, v74
	s_waitcnt vmcnt(14)
	v_fma_f32 v40, v45, v90, -v40
	;; [unrolled: 4-line block ×7, first 2 shown]
	v_fmac_f32_e32 v105, v42, v88
	v_add_f32_e32 v38, 0, v38
	v_add_f32_e32 v39, v39, v40
	v_mul_f32_e32 v40, v58, v80
	v_fmac_f32_e32 v106, v44, v89
	v_add_f32_e32 v38, v38, v105
	s_waitcnt vmcnt(8)
	v_fma_f32 v40, v57, v96, -v40
	v_fmac_f32_e32 v107, v46, v90
	v_add_f32_e32 v38, v38, v106
	v_add_f32_e32 v39, v39, v40
	v_mul_f32_e32 v40, v60, v81
	v_fmac_f32_e32 v108, v48, v91
	v_add_f32_e32 v38, v38, v107
	s_waitcnt vmcnt(7)
	v_fma_f32 v40, v59, v97, -v40
	;; [unrolled: 8-line block ×5, first 2 shown]
	v_fmac_f32_e32 v115, v62, v98
	v_add_f32_e32 v38, v38, v114
	v_add_f32_e32 v39, v39, v40
	s_waitcnt lgkmcnt(0)
	v_mul_f32_e32 v40, v68, v85
	v_fmac_f32_e32 v116, v64, v99
	v_add_f32_e32 v38, v38, v115
	s_waitcnt vmcnt(3)
	v_fma_f32 v40, v67, v101, -v40
	v_mul_f32_e32 v118, v67, v85
	v_fmac_f32_e32 v117, v66, v100
	v_add_f32_e32 v38, v38, v116
	v_add_f32_e32 v39, v39, v40
	v_mul_f32_e32 v40, v70, v86
	v_mul_f32_e32 v119, v69, v86
	v_fmac_f32_e32 v118, v68, v101
	v_add_f32_e32 v38, v38, v117
	s_waitcnt vmcnt(2)
	v_fma_f32 v40, v69, v102, -v40
	v_fmac_f32_e32 v119, v70, v102
	v_add_f32_e32 v38, v38, v118
	v_add_f32_e32 v39, v39, v40
	;; [unrolled: 1-line block ×3, first 2 shown]
	s_waitcnt vmcnt(1)
	v_sub_f32_e32 v39, v103, v39
	s_waitcnt vmcnt(0)
	v_sub_f32_e32 v38, v104, v38
	buffer_store_dword v39, off, s[0:3], 0 offset:8
	buffer_store_dword v38, off, s[0:3], 0 offset:12
	s_and_saveexec_b64 s[4:5], vcc
	s_cbranch_execz .LBB81_121
; %bb.120:
	buffer_load_dword v38, off, s[0:3], 0
	buffer_load_dword v39, off, s[0:3], 0 offset:4
	v_mov_b32_e32 v0, 0
	buffer_store_dword v0, off, s[0:3], 0
	buffer_store_dword v0, off, s[0:3], 0 offset:4
	s_waitcnt vmcnt(2)
	ds_write_b64 v37, v[38:39]
.LBB81_121:
	s_or_b64 exec, exec, s[4:5]
	s_waitcnt lgkmcnt(0)
	; wave barrier
	buffer_load_dword v73, off, s[0:3], 0 offset:12
	buffer_load_dword v74, off, s[0:3], 0 offset:20
	;; [unrolled: 1-line block ×34, first 2 shown]
	buffer_load_dword v105, off, s[0:3], 0
	buffer_load_dword v106, off, s[0:3], 0 offset:4
	v_mov_b32_e32 v38, 0
	ds_read2_b64 v[39:42], v38 offset0:19 offset1:20
	ds_read2_b64 v[43:46], v38 offset0:21 offset1:22
	;; [unrolled: 1-line block ×8, first 2 shown]
	ds_read_b64 v[71:72], v38 offset:280
	s_and_b64 vcc, exec, s[14:15]
	s_waitcnt vmcnt(35) lgkmcnt(8)
	v_mul_f32_e32 v107, v39, v73
	s_waitcnt vmcnt(34)
	v_mul_f32_e32 v108, v41, v74
	s_waitcnt vmcnt(33) lgkmcnt(7)
	v_mul_f32_e32 v109, v43, v75
	s_waitcnt vmcnt(32)
	v_mul_f32_e32 v110, v45, v76
	;; [unrolled: 4-line block ×8, first 2 shown]
	s_waitcnt vmcnt(19) lgkmcnt(0)
	v_mul_f32_e32 v123, v71, v88
	s_waitcnt vmcnt(18)
	v_fmac_f32_e32 v107, v40, v89
	v_mul_f32_e32 v40, v40, v73
	v_fma_f32 v39, v39, v89, -v40
	v_mul_f32_e32 v40, v42, v74
	v_add_f32_e32 v39, 0, v39
	s_waitcnt vmcnt(17)
	v_fma_f32 v40, v41, v90, -v40
	v_add_f32_e32 v39, v39, v40
	v_mul_f32_e32 v40, v44, v75
	s_waitcnt vmcnt(16)
	v_fma_f32 v40, v43, v91, -v40
	v_add_f32_e32 v39, v39, v40
	v_mul_f32_e32 v40, v46, v76
	;; [unrolled: 4-line block ×8, first 2 shown]
	v_fmac_f32_e32 v108, v42, v90
	v_add_f32_e32 v107, 0, v107
	s_waitcnt vmcnt(9)
	v_fma_f32 v40, v57, v98, -v40
	v_fmac_f32_e32 v109, v44, v91
	v_add_f32_e32 v107, v107, v108
	v_add_f32_e32 v39, v39, v40
	v_mul_f32_e32 v40, v60, v83
	v_fmac_f32_e32 v110, v46, v92
	v_add_f32_e32 v107, v107, v109
	s_waitcnt vmcnt(8)
	v_fma_f32 v40, v59, v99, -v40
	v_fmac_f32_e32 v111, v48, v93
	v_add_f32_e32 v107, v107, v110
	v_add_f32_e32 v39, v39, v40
	v_mul_f32_e32 v40, v62, v84
	;; [unrolled: 8-line block ×7, first 2 shown]
	v_fmac_f32_e32 v122, v70, v37
	v_add_f32_e32 v107, v107, v121
	v_fma_f32 v40, v71, v104, -v40
	v_fmac_f32_e32 v123, v72, v104
	v_add_f32_e32 v107, v107, v122
	v_add_f32_e32 v39, v39, v40
	;; [unrolled: 1-line block ×3, first 2 shown]
	s_waitcnt vmcnt(1)
	v_sub_f32_e32 v39, v105, v39
	s_waitcnt vmcnt(0)
	v_sub_f32_e32 v40, v106, v107
	buffer_store_dword v39, off, s[0:3], 0
	buffer_store_dword v40, off, s[0:3], 0 offset:4
	s_cbranch_vccz .LBB81_156
; %bb.122:
	global_load_dword v38, v38, s[12:13] offset:64
	s_waitcnt vmcnt(0)
	v_add_u32_e32 v38, -1, v38
	v_cmp_ne_u32_e32 vcc, 16, v38
	s_cbranch_vccz .LBB81_124
; %bb.123:
	v_lshlrev_b32_e32 v38, 3, v38
	buffer_load_dword v39, v38, s[0:3], 0 offen offset:4
	buffer_load_dword v40, v38, s[0:3], 0 offen
	s_waitcnt vmcnt(1)
	buffer_store_dword v39, off, s[0:3], 0 offset:132
	s_waitcnt vmcnt(1)
	buffer_store_dword v40, off, s[0:3], 0 offset:128
	buffer_store_dword v0, v38, s[0:3], 0 offen offset:4
	buffer_store_dword v37, v38, s[0:3], 0 offen
.LBB81_124:
	v_mov_b32_e32 v0, 0
	global_load_dword v37, v0, s[12:13] offset:60
	s_waitcnt vmcnt(0)
	v_add_u32_e32 v37, -1, v37
	v_cmp_eq_u32_e32 vcc, 15, v37
	s_cbranch_vccnz .LBB81_126
; %bb.125:
	v_lshlrev_b32_e32 v37, 3, v37
	buffer_load_dword v38, v37, s[0:3], 0 offen
	buffer_load_dword v39, v37, s[0:3], 0 offen offset:4
	buffer_load_dword v40, off, s[0:3], 0 offset:120
	buffer_load_dword v41, off, s[0:3], 0 offset:124
	s_waitcnt vmcnt(3)
	buffer_store_dword v38, off, s[0:3], 0 offset:120
	s_waitcnt vmcnt(3)
	buffer_store_dword v39, off, s[0:3], 0 offset:124
	s_waitcnt vmcnt(3)
	buffer_store_dword v40, v37, s[0:3], 0 offen
	s_waitcnt vmcnt(3)
	buffer_store_dword v41, v37, s[0:3], 0 offen offset:4
.LBB81_126:
	global_load_dword v0, v0, s[12:13] offset:56
	s_waitcnt vmcnt(0)
	v_add_u32_e32 v0, -1, v0
	v_cmp_eq_u32_e32 vcc, 14, v0
	s_cbranch_vccnz .LBB81_128
; %bb.127:
	v_lshlrev_b32_e32 v0, 3, v0
	buffer_load_dword v37, v0, s[0:3], 0 offen
	buffer_load_dword v38, v0, s[0:3], 0 offen offset:4
	buffer_load_dword v39, off, s[0:3], 0 offset:116
	buffer_load_dword v40, off, s[0:3], 0 offset:112
	s_waitcnt vmcnt(3)
	buffer_store_dword v37, off, s[0:3], 0 offset:112
	s_waitcnt vmcnt(3)
	buffer_store_dword v38, off, s[0:3], 0 offset:116
	s_waitcnt vmcnt(3)
	buffer_store_dword v39, v0, s[0:3], 0 offen offset:4
	s_waitcnt vmcnt(3)
	buffer_store_dword v40, v0, s[0:3], 0 offen
.LBB81_128:
	v_mov_b32_e32 v0, 0
	global_load_dword v37, v0, s[12:13] offset:52
	s_waitcnt vmcnt(0)
	v_add_u32_e32 v37, -1, v37
	v_cmp_eq_u32_e32 vcc, 13, v37
	s_cbranch_vccnz .LBB81_130
; %bb.129:
	v_lshlrev_b32_e32 v37, 3, v37
	buffer_load_dword v38, v37, s[0:3], 0 offen
	buffer_load_dword v39, v37, s[0:3], 0 offen offset:4
	buffer_load_dword v40, off, s[0:3], 0 offset:104
	buffer_load_dword v41, off, s[0:3], 0 offset:108
	s_waitcnt vmcnt(3)
	buffer_store_dword v38, off, s[0:3], 0 offset:104
	s_waitcnt vmcnt(3)
	buffer_store_dword v39, off, s[0:3], 0 offset:108
	s_waitcnt vmcnt(3)
	buffer_store_dword v40, v37, s[0:3], 0 offen
	s_waitcnt vmcnt(3)
	buffer_store_dword v41, v37, s[0:3], 0 offen offset:4
.LBB81_130:
	global_load_dword v0, v0, s[12:13] offset:48
	s_waitcnt vmcnt(0)
	v_add_u32_e32 v0, -1, v0
	v_cmp_eq_u32_e32 vcc, 12, v0
	s_cbranch_vccnz .LBB81_132
; %bb.131:
	v_lshlrev_b32_e32 v0, 3, v0
	buffer_load_dword v37, v0, s[0:3], 0 offen
	buffer_load_dword v38, v0, s[0:3], 0 offen offset:4
	buffer_load_dword v39, off, s[0:3], 0 offset:100
	buffer_load_dword v40, off, s[0:3], 0 offset:96
	s_waitcnt vmcnt(3)
	buffer_store_dword v37, off, s[0:3], 0 offset:96
	s_waitcnt vmcnt(3)
	buffer_store_dword v38, off, s[0:3], 0 offset:100
	s_waitcnt vmcnt(3)
	buffer_store_dword v39, v0, s[0:3], 0 offen offset:4
	s_waitcnt vmcnt(3)
	buffer_store_dword v40, v0, s[0:3], 0 offen
.LBB81_132:
	v_mov_b32_e32 v0, 0
	global_load_dword v37, v0, s[12:13] offset:44
	s_waitcnt vmcnt(0)
	v_add_u32_e32 v37, -1, v37
	v_cmp_eq_u32_e32 vcc, 11, v37
	s_cbranch_vccnz .LBB81_134
; %bb.133:
	v_lshlrev_b32_e32 v37, 3, v37
	buffer_load_dword v38, v37, s[0:3], 0 offen
	buffer_load_dword v39, v37, s[0:3], 0 offen offset:4
	buffer_load_dword v40, off, s[0:3], 0 offset:88
	buffer_load_dword v41, off, s[0:3], 0 offset:92
	s_waitcnt vmcnt(3)
	buffer_store_dword v38, off, s[0:3], 0 offset:88
	s_waitcnt vmcnt(3)
	buffer_store_dword v39, off, s[0:3], 0 offset:92
	s_waitcnt vmcnt(3)
	buffer_store_dword v40, v37, s[0:3], 0 offen
	s_waitcnt vmcnt(3)
	buffer_store_dword v41, v37, s[0:3], 0 offen offset:4
.LBB81_134:
	global_load_dword v0, v0, s[12:13] offset:40
	s_waitcnt vmcnt(0)
	v_add_u32_e32 v0, -1, v0
	v_cmp_eq_u32_e32 vcc, 10, v0
	s_cbranch_vccnz .LBB81_136
; %bb.135:
	v_lshlrev_b32_e32 v0, 3, v0
	buffer_load_dword v37, v0, s[0:3], 0 offen
	buffer_load_dword v38, v0, s[0:3], 0 offen offset:4
	buffer_load_dword v39, off, s[0:3], 0 offset:84
	buffer_load_dword v40, off, s[0:3], 0 offset:80
	s_waitcnt vmcnt(3)
	buffer_store_dword v37, off, s[0:3], 0 offset:80
	s_waitcnt vmcnt(3)
	buffer_store_dword v38, off, s[0:3], 0 offset:84
	s_waitcnt vmcnt(3)
	buffer_store_dword v39, v0, s[0:3], 0 offen offset:4
	s_waitcnt vmcnt(3)
	buffer_store_dword v40, v0, s[0:3], 0 offen
.LBB81_136:
	v_mov_b32_e32 v0, 0
	global_load_dword v37, v0, s[12:13] offset:36
	s_waitcnt vmcnt(0)
	v_add_u32_e32 v37, -1, v37
	v_cmp_eq_u32_e32 vcc, 9, v37
	s_cbranch_vccnz .LBB81_138
; %bb.137:
	v_lshlrev_b32_e32 v37, 3, v37
	buffer_load_dword v38, v37, s[0:3], 0 offen
	buffer_load_dword v39, v37, s[0:3], 0 offen offset:4
	buffer_load_dword v40, off, s[0:3], 0 offset:72
	buffer_load_dword v41, off, s[0:3], 0 offset:76
	s_waitcnt vmcnt(3)
	buffer_store_dword v38, off, s[0:3], 0 offset:72
	s_waitcnt vmcnt(3)
	buffer_store_dword v39, off, s[0:3], 0 offset:76
	s_waitcnt vmcnt(3)
	buffer_store_dword v40, v37, s[0:3], 0 offen
	s_waitcnt vmcnt(3)
	buffer_store_dword v41, v37, s[0:3], 0 offen offset:4
.LBB81_138:
	global_load_dword v0, v0, s[12:13] offset:32
	s_waitcnt vmcnt(0)
	v_add_u32_e32 v0, -1, v0
	v_cmp_eq_u32_e32 vcc, 8, v0
	s_cbranch_vccnz .LBB81_140
; %bb.139:
	v_lshlrev_b32_e32 v0, 3, v0
	buffer_load_dword v37, v0, s[0:3], 0 offen
	buffer_load_dword v38, v0, s[0:3], 0 offen offset:4
	buffer_load_dword v39, off, s[0:3], 0 offset:68
	buffer_load_dword v40, off, s[0:3], 0 offset:64
	s_waitcnt vmcnt(3)
	buffer_store_dword v37, off, s[0:3], 0 offset:64
	s_waitcnt vmcnt(3)
	buffer_store_dword v38, off, s[0:3], 0 offset:68
	s_waitcnt vmcnt(3)
	buffer_store_dword v39, v0, s[0:3], 0 offen offset:4
	s_waitcnt vmcnt(3)
	buffer_store_dword v40, v0, s[0:3], 0 offen
.LBB81_140:
	v_mov_b32_e32 v0, 0
	global_load_dword v37, v0, s[12:13] offset:28
	s_waitcnt vmcnt(0)
	v_add_u32_e32 v37, -1, v37
	v_cmp_eq_u32_e32 vcc, 7, v37
	s_cbranch_vccnz .LBB81_142
; %bb.141:
	v_lshlrev_b32_e32 v37, 3, v37
	buffer_load_dword v38, v37, s[0:3], 0 offen
	buffer_load_dword v39, v37, s[0:3], 0 offen offset:4
	buffer_load_dword v40, off, s[0:3], 0 offset:56
	buffer_load_dword v41, off, s[0:3], 0 offset:60
	s_waitcnt vmcnt(3)
	buffer_store_dword v38, off, s[0:3], 0 offset:56
	s_waitcnt vmcnt(3)
	buffer_store_dword v39, off, s[0:3], 0 offset:60
	s_waitcnt vmcnt(3)
	buffer_store_dword v40, v37, s[0:3], 0 offen
	s_waitcnt vmcnt(3)
	buffer_store_dword v41, v37, s[0:3], 0 offen offset:4
.LBB81_142:
	global_load_dword v0, v0, s[12:13] offset:24
	s_waitcnt vmcnt(0)
	v_add_u32_e32 v0, -1, v0
	v_cmp_eq_u32_e32 vcc, 6, v0
	s_cbranch_vccnz .LBB81_144
; %bb.143:
	v_lshlrev_b32_e32 v0, 3, v0
	buffer_load_dword v37, v0, s[0:3], 0 offen
	buffer_load_dword v38, v0, s[0:3], 0 offen offset:4
	buffer_load_dword v39, off, s[0:3], 0 offset:52
	buffer_load_dword v40, off, s[0:3], 0 offset:48
	s_waitcnt vmcnt(3)
	buffer_store_dword v37, off, s[0:3], 0 offset:48
	s_waitcnt vmcnt(3)
	buffer_store_dword v38, off, s[0:3], 0 offset:52
	s_waitcnt vmcnt(3)
	buffer_store_dword v39, v0, s[0:3], 0 offen offset:4
	s_waitcnt vmcnt(3)
	buffer_store_dword v40, v0, s[0:3], 0 offen
.LBB81_144:
	v_mov_b32_e32 v0, 0
	global_load_dword v37, v0, s[12:13] offset:20
	s_waitcnt vmcnt(0)
	v_add_u32_e32 v37, -1, v37
	v_cmp_eq_u32_e32 vcc, 5, v37
	s_cbranch_vccnz .LBB81_146
; %bb.145:
	v_lshlrev_b32_e32 v37, 3, v37
	buffer_load_dword v38, v37, s[0:3], 0 offen
	buffer_load_dword v39, v37, s[0:3], 0 offen offset:4
	buffer_load_dword v40, off, s[0:3], 0 offset:40
	buffer_load_dword v41, off, s[0:3], 0 offset:44
	s_waitcnt vmcnt(3)
	buffer_store_dword v38, off, s[0:3], 0 offset:40
	s_waitcnt vmcnt(3)
	buffer_store_dword v39, off, s[0:3], 0 offset:44
	s_waitcnt vmcnt(3)
	buffer_store_dword v40, v37, s[0:3], 0 offen
	s_waitcnt vmcnt(3)
	buffer_store_dword v41, v37, s[0:3], 0 offen offset:4
.LBB81_146:
	global_load_dword v0, v0, s[12:13] offset:16
	s_waitcnt vmcnt(0)
	v_add_u32_e32 v0, -1, v0
	v_cmp_eq_u32_e32 vcc, 4, v0
	s_cbranch_vccnz .LBB81_148
; %bb.147:
	v_lshlrev_b32_e32 v0, 3, v0
	buffer_load_dword v37, v0, s[0:3], 0 offen
	buffer_load_dword v38, v0, s[0:3], 0 offen offset:4
	buffer_load_dword v39, off, s[0:3], 0 offset:36
	buffer_load_dword v40, off, s[0:3], 0 offset:32
	s_waitcnt vmcnt(3)
	buffer_store_dword v37, off, s[0:3], 0 offset:32
	s_waitcnt vmcnt(3)
	buffer_store_dword v38, off, s[0:3], 0 offset:36
	s_waitcnt vmcnt(3)
	buffer_store_dword v39, v0, s[0:3], 0 offen offset:4
	s_waitcnt vmcnt(3)
	buffer_store_dword v40, v0, s[0:3], 0 offen
.LBB81_148:
	v_mov_b32_e32 v0, 0
	global_load_dword v37, v0, s[12:13] offset:12
	s_waitcnt vmcnt(0)
	v_add_u32_e32 v37, -1, v37
	v_cmp_eq_u32_e32 vcc, 3, v37
	s_cbranch_vccnz .LBB81_150
; %bb.149:
	v_lshlrev_b32_e32 v37, 3, v37
	buffer_load_dword v38, v37, s[0:3], 0 offen
	buffer_load_dword v39, v37, s[0:3], 0 offen offset:4
	buffer_load_dword v40, off, s[0:3], 0 offset:24
	buffer_load_dword v41, off, s[0:3], 0 offset:28
	s_waitcnt vmcnt(3)
	buffer_store_dword v38, off, s[0:3], 0 offset:24
	s_waitcnt vmcnt(3)
	buffer_store_dword v39, off, s[0:3], 0 offset:28
	s_waitcnt vmcnt(3)
	buffer_store_dword v40, v37, s[0:3], 0 offen
	s_waitcnt vmcnt(3)
	buffer_store_dword v41, v37, s[0:3], 0 offen offset:4
.LBB81_150:
	global_load_dword v0, v0, s[12:13] offset:8
	s_waitcnt vmcnt(0)
	v_add_u32_e32 v0, -1, v0
	v_cmp_eq_u32_e32 vcc, 2, v0
	s_cbranch_vccnz .LBB81_152
; %bb.151:
	v_lshlrev_b32_e32 v0, 3, v0
	buffer_load_dword v37, v0, s[0:3], 0 offen
	buffer_load_dword v38, v0, s[0:3], 0 offen offset:4
	buffer_load_dword v39, off, s[0:3], 0 offset:20
	buffer_load_dword v40, off, s[0:3], 0 offset:16
	s_waitcnt vmcnt(3)
	buffer_store_dword v37, off, s[0:3], 0 offset:16
	s_waitcnt vmcnt(3)
	buffer_store_dword v38, off, s[0:3], 0 offset:20
	s_waitcnt vmcnt(3)
	buffer_store_dword v39, v0, s[0:3], 0 offen offset:4
	s_waitcnt vmcnt(3)
	buffer_store_dword v40, v0, s[0:3], 0 offen
.LBB81_152:
	v_mov_b32_e32 v0, 0
	global_load_dword v37, v0, s[12:13] offset:4
	s_waitcnt vmcnt(0)
	v_add_u32_e32 v37, -1, v37
	v_cmp_eq_u32_e32 vcc, 1, v37
	s_cbranch_vccnz .LBB81_154
; %bb.153:
	v_lshlrev_b32_e32 v37, 3, v37
	buffer_load_dword v38, v37, s[0:3], 0 offen
	buffer_load_dword v39, v37, s[0:3], 0 offen offset:4
	buffer_load_dword v40, off, s[0:3], 0 offset:8
	buffer_load_dword v41, off, s[0:3], 0 offset:12
	s_waitcnt vmcnt(3)
	buffer_store_dword v38, off, s[0:3], 0 offset:8
	s_waitcnt vmcnt(3)
	buffer_store_dword v39, off, s[0:3], 0 offset:12
	s_waitcnt vmcnt(3)
	buffer_store_dword v40, v37, s[0:3], 0 offen
	s_waitcnt vmcnt(3)
	buffer_store_dword v41, v37, s[0:3], 0 offen offset:4
.LBB81_154:
	global_load_dword v0, v0, s[12:13]
	s_waitcnt vmcnt(0)
	v_add_u32_e32 v0, -1, v0
	v_cmp_eq_u32_e32 vcc, 0, v0
	s_cbranch_vccnz .LBB81_156
; %bb.155:
	v_lshlrev_b32_e32 v0, 3, v0
	buffer_load_dword v37, v0, s[0:3], 0 offen
	buffer_load_dword v38, v0, s[0:3], 0 offen offset:4
	buffer_load_dword v39, off, s[0:3], 0 offset:4
	buffer_load_dword v40, off, s[0:3], 0
	s_waitcnt vmcnt(3)
	buffer_store_dword v37, off, s[0:3], 0
	s_waitcnt vmcnt(3)
	buffer_store_dword v38, off, s[0:3], 0 offset:4
	s_waitcnt vmcnt(3)
	buffer_store_dword v39, v0, s[0:3], 0 offen offset:4
	s_waitcnt vmcnt(3)
	buffer_store_dword v40, v0, s[0:3], 0 offen
.LBB81_156:
	buffer_load_dword v37, off, s[0:3], 0
	buffer_load_dword v38, off, s[0:3], 0 offset:4
	s_waitcnt vmcnt(0)
	flat_store_dwordx2 v[1:2], v[37:38]
	buffer_load_dword v0, off, s[0:3], 0 offset:8
	s_nop 0
	buffer_load_dword v1, off, s[0:3], 0 offset:12
	s_waitcnt vmcnt(0)
	flat_store_dwordx2 v[3:4], v[0:1]
	buffer_load_dword v0, off, s[0:3], 0 offset:16
	s_nop 0
	;; [unrolled: 5-line block ×17, first 2 shown]
	buffer_load_dword v1, off, s[0:3], 0 offset:140
	s_waitcnt vmcnt(0)
	flat_store_dwordx2 v[35:36], v[0:1]
	s_endpgm
	.section	.rodata,"a",@progbits
	.p2align	6, 0x0
	.amdhsa_kernel _ZN9rocsolver6v33100L18getri_kernel_smallILi18E19rocblas_complex_numIfEPKPS3_EEvT1_iilPiilS8_bb
		.amdhsa_group_segment_fixed_size 292
		.amdhsa_private_segment_fixed_size 160
		.amdhsa_kernarg_size 60
		.amdhsa_user_sgpr_count 6
		.amdhsa_user_sgpr_private_segment_buffer 1
		.amdhsa_user_sgpr_dispatch_ptr 0
		.amdhsa_user_sgpr_queue_ptr 0
		.amdhsa_user_sgpr_kernarg_segment_ptr 1
		.amdhsa_user_sgpr_dispatch_id 0
		.amdhsa_user_sgpr_flat_scratch_init 0
		.amdhsa_user_sgpr_private_segment_size 0
		.amdhsa_uses_dynamic_stack 0
		.amdhsa_system_sgpr_private_segment_wavefront_offset 1
		.amdhsa_system_sgpr_workgroup_id_x 1
		.amdhsa_system_sgpr_workgroup_id_y 0
		.amdhsa_system_sgpr_workgroup_id_z 0
		.amdhsa_system_sgpr_workgroup_info 0
		.amdhsa_system_vgpr_workitem_id 0
		.amdhsa_next_free_vgpr 124
		.amdhsa_next_free_sgpr 21
		.amdhsa_reserve_vcc 1
		.amdhsa_reserve_flat_scratch 0
		.amdhsa_float_round_mode_32 0
		.amdhsa_float_round_mode_16_64 0
		.amdhsa_float_denorm_mode_32 3
		.amdhsa_float_denorm_mode_16_64 3
		.amdhsa_dx10_clamp 1
		.amdhsa_ieee_mode 1
		.amdhsa_fp16_overflow 0
		.amdhsa_exception_fp_ieee_invalid_op 0
		.amdhsa_exception_fp_denorm_src 0
		.amdhsa_exception_fp_ieee_div_zero 0
		.amdhsa_exception_fp_ieee_overflow 0
		.amdhsa_exception_fp_ieee_underflow 0
		.amdhsa_exception_fp_ieee_inexact 0
		.amdhsa_exception_int_div_zero 0
	.end_amdhsa_kernel
	.section	.text._ZN9rocsolver6v33100L18getri_kernel_smallILi18E19rocblas_complex_numIfEPKPS3_EEvT1_iilPiilS8_bb,"axG",@progbits,_ZN9rocsolver6v33100L18getri_kernel_smallILi18E19rocblas_complex_numIfEPKPS3_EEvT1_iilPiilS8_bb,comdat
.Lfunc_end81:
	.size	_ZN9rocsolver6v33100L18getri_kernel_smallILi18E19rocblas_complex_numIfEPKPS3_EEvT1_iilPiilS8_bb, .Lfunc_end81-_ZN9rocsolver6v33100L18getri_kernel_smallILi18E19rocblas_complex_numIfEPKPS3_EEvT1_iilPiilS8_bb
                                        ; -- End function
	.set _ZN9rocsolver6v33100L18getri_kernel_smallILi18E19rocblas_complex_numIfEPKPS3_EEvT1_iilPiilS8_bb.num_vgpr, 124
	.set _ZN9rocsolver6v33100L18getri_kernel_smallILi18E19rocblas_complex_numIfEPKPS3_EEvT1_iilPiilS8_bb.num_agpr, 0
	.set _ZN9rocsolver6v33100L18getri_kernel_smallILi18E19rocblas_complex_numIfEPKPS3_EEvT1_iilPiilS8_bb.numbered_sgpr, 21
	.set _ZN9rocsolver6v33100L18getri_kernel_smallILi18E19rocblas_complex_numIfEPKPS3_EEvT1_iilPiilS8_bb.num_named_barrier, 0
	.set _ZN9rocsolver6v33100L18getri_kernel_smallILi18E19rocblas_complex_numIfEPKPS3_EEvT1_iilPiilS8_bb.private_seg_size, 160
	.set _ZN9rocsolver6v33100L18getri_kernel_smallILi18E19rocblas_complex_numIfEPKPS3_EEvT1_iilPiilS8_bb.uses_vcc, 1
	.set _ZN9rocsolver6v33100L18getri_kernel_smallILi18E19rocblas_complex_numIfEPKPS3_EEvT1_iilPiilS8_bb.uses_flat_scratch, 0
	.set _ZN9rocsolver6v33100L18getri_kernel_smallILi18E19rocblas_complex_numIfEPKPS3_EEvT1_iilPiilS8_bb.has_dyn_sized_stack, 0
	.set _ZN9rocsolver6v33100L18getri_kernel_smallILi18E19rocblas_complex_numIfEPKPS3_EEvT1_iilPiilS8_bb.has_recursion, 0
	.set _ZN9rocsolver6v33100L18getri_kernel_smallILi18E19rocblas_complex_numIfEPKPS3_EEvT1_iilPiilS8_bb.has_indirect_call, 0
	.section	.AMDGPU.csdata,"",@progbits
; Kernel info:
; codeLenInByte = 18448
; TotalNumSgprs: 25
; NumVgprs: 124
; ScratchSize: 160
; MemoryBound: 0
; FloatMode: 240
; IeeeMode: 1
; LDSByteSize: 292 bytes/workgroup (compile time only)
; SGPRBlocks: 3
; VGPRBlocks: 30
; NumSGPRsForWavesPerEU: 25
; NumVGPRsForWavesPerEU: 124
; Occupancy: 2
; WaveLimiterHint : 1
; COMPUTE_PGM_RSRC2:SCRATCH_EN: 1
; COMPUTE_PGM_RSRC2:USER_SGPR: 6
; COMPUTE_PGM_RSRC2:TRAP_HANDLER: 0
; COMPUTE_PGM_RSRC2:TGID_X_EN: 1
; COMPUTE_PGM_RSRC2:TGID_Y_EN: 0
; COMPUTE_PGM_RSRC2:TGID_Z_EN: 0
; COMPUTE_PGM_RSRC2:TIDIG_COMP_CNT: 0
	.section	.text._ZN9rocsolver6v33100L18getri_kernel_smallILi19E19rocblas_complex_numIfEPKPS3_EEvT1_iilPiilS8_bb,"axG",@progbits,_ZN9rocsolver6v33100L18getri_kernel_smallILi19E19rocblas_complex_numIfEPKPS3_EEvT1_iilPiilS8_bb,comdat
	.globl	_ZN9rocsolver6v33100L18getri_kernel_smallILi19E19rocblas_complex_numIfEPKPS3_EEvT1_iilPiilS8_bb ; -- Begin function _ZN9rocsolver6v33100L18getri_kernel_smallILi19E19rocblas_complex_numIfEPKPS3_EEvT1_iilPiilS8_bb
	.p2align	8
	.type	_ZN9rocsolver6v33100L18getri_kernel_smallILi19E19rocblas_complex_numIfEPKPS3_EEvT1_iilPiilS8_bb,@function
_ZN9rocsolver6v33100L18getri_kernel_smallILi19E19rocblas_complex_numIfEPKPS3_EEvT1_iilPiilS8_bb: ; @_ZN9rocsolver6v33100L18getri_kernel_smallILi19E19rocblas_complex_numIfEPKPS3_EEvT1_iilPiilS8_bb
; %bb.0:
	s_add_u32 s0, s0, s7
	s_addc_u32 s1, s1, 0
	v_cmp_gt_u32_e32 vcc, 19, v0
	s_and_saveexec_b64 s[8:9], vcc
	s_cbranch_execz .LBB82_90
; %bb.1:
	s_load_dword s18, s[4:5], 0x38
	s_load_dwordx2 s[12:13], s[4:5], 0x0
	s_load_dwordx4 s[8:11], s[4:5], 0x28
	s_waitcnt lgkmcnt(0)
	s_bitcmp1_b32 s18, 8
	s_cselect_b64 s[14:15], -1, 0
	s_ashr_i32 s7, s6, 31
	s_lshl_b64 s[16:17], s[6:7], 3
	s_add_u32 s12, s12, s16
	s_addc_u32 s13, s13, s17
	s_load_dwordx2 s[16:17], s[12:13], 0x0
	s_bfe_u32 s12, s18, 0x10008
	s_cmp_eq_u32 s12, 0
                                        ; implicit-def: $sgpr12_sgpr13
	s_cbranch_scc1 .LBB82_3
; %bb.2:
	s_load_dword s12, s[4:5], 0x20
	s_load_dwordx2 s[18:19], s[4:5], 0x18
	s_mul_i32 s13, s8, s7
	s_mul_hi_u32 s20, s8, s6
	s_add_i32 s20, s20, s13
	s_mul_i32 s9, s9, s6
	s_add_i32 s9, s20, s9
	s_mul_i32 s8, s8, s6
	s_waitcnt lgkmcnt(0)
	s_ashr_i32 s13, s12, 31
	s_lshl_b64 s[8:9], s[8:9], 2
	s_add_u32 s18, s18, s8
	s_addc_u32 s19, s19, s9
	s_lshl_b64 s[8:9], s[12:13], 2
	s_add_u32 s12, s18, s8
	s_addc_u32 s13, s19, s9
.LBB82_3:
	s_load_dwordx2 s[8:9], s[4:5], 0x8
	s_load_dword s18, s[4:5], 0x38
	v_lshlrev_b32_e32 v41, 3, v0
	s_waitcnt lgkmcnt(0)
	s_ashr_i32 s5, s8, 31
	s_mov_b32 s4, s8
	s_lshl_b64 s[4:5], s[4:5], 3
	s_add_u32 s8, s16, s4
	s_addc_u32 s16, s17, s5
	v_mov_b32_e32 v2, s16
	v_add_co_u32_e32 v1, vcc, s8, v41
	v_addc_co_u32_e32 v2, vcc, 0, v2, vcc
	flat_load_dwordx2 v[5:6], v[1:2]
	s_mov_b32 s4, s9
	s_ashr_i32 s5, s9, 31
	s_lshl_b64 s[4:5], s[4:5], 3
	v_mov_b32_e32 v4, s5
	v_add_co_u32_e32 v3, vcc, s4, v1
	v_addc_co_u32_e32 v4, vcc, v2, v4, vcc
	s_add_i32 s4, s9, s9
	v_add_u32_e32 v9, s4, v0
	v_ashrrev_i32_e32 v10, 31, v9
	v_mov_b32_e32 v11, s16
	v_add_u32_e32 v12, s9, v9
	v_ashrrev_i32_e32 v13, 31, v12
	v_mov_b32_e32 v14, s16
	v_mov_b32_e32 v15, s16
	;; [unrolled: 1-line block ×15, first 2 shown]
	s_bitcmp0_b32 s18, 0
	s_waitcnt vmcnt(0) lgkmcnt(0)
	buffer_store_dword v6, off, s[0:3], 0 offset:4
	buffer_store_dword v5, off, s[0:3], 0
	flat_load_dwordx2 v[7:8], v[3:4]
	v_lshlrev_b64 v[5:6], 3, v[9:10]
	s_waitcnt vmcnt(0) lgkmcnt(0)
	buffer_store_dword v8, off, s[0:3], 0 offset:12
	buffer_store_dword v7, off, s[0:3], 0 offset:8
	v_add_co_u32_e32 v5, vcc, s8, v5
	v_addc_co_u32_e32 v6, vcc, v11, v6, vcc
	flat_load_dwordx2 v[10:11], v[5:6]
	v_lshlrev_b64 v[7:8], 3, v[12:13]
	s_waitcnt vmcnt(0) lgkmcnt(0)
	buffer_store_dword v11, off, s[0:3], 0 offset:20
	buffer_store_dword v10, off, s[0:3], 0 offset:16
	v_add_co_u32_e32 v7, vcc, s8, v7
	v_addc_co_u32_e32 v8, vcc, v14, v8, vcc
	flat_load_dwordx2 v[13:14], v[7:8]
	v_add_u32_e32 v11, s9, v12
	v_ashrrev_i32_e32 v12, 31, v11
	v_lshlrev_b64 v[9:10], 3, v[11:12]
	s_waitcnt vmcnt(0) lgkmcnt(0)
	buffer_store_dword v14, off, s[0:3], 0 offset:28
	buffer_store_dword v13, off, s[0:3], 0 offset:24
	v_add_co_u32_e32 v9, vcc, s8, v9
	v_addc_co_u32_e32 v10, vcc, v15, v10, vcc
	flat_load_dwordx2 v[13:14], v[9:10]
	v_add_u32_e32 v15, s9, v11
	v_ashrrev_i32_e32 v16, 31, v15
	v_lshlrev_b64 v[11:12], 3, v[15:16]
	v_add_u32_e32 v18, s9, v15
	v_add_co_u32_e32 v11, vcc, s8, v11
	v_addc_co_u32_e32 v12, vcc, v17, v12, vcc
	v_ashrrev_i32_e32 v19, 31, v18
	s_waitcnt vmcnt(0) lgkmcnt(0)
	buffer_store_dword v14, off, s[0:3], 0 offset:36
	buffer_store_dword v13, off, s[0:3], 0 offset:32
	flat_load_dwordx2 v[16:17], v[11:12]
	v_lshlrev_b64 v[13:14], 3, v[18:19]
	s_waitcnt vmcnt(0) lgkmcnt(0)
	buffer_store_dword v17, off, s[0:3], 0 offset:44
	buffer_store_dword v16, off, s[0:3], 0 offset:40
	v_add_co_u32_e32 v13, vcc, s8, v13
	v_addc_co_u32_e32 v14, vcc, v20, v14, vcc
	flat_load_dwordx2 v[19:20], v[13:14]
	v_add_u32_e32 v17, s9, v18
	v_ashrrev_i32_e32 v18, 31, v17
	v_lshlrev_b64 v[15:16], 3, v[17:18]
	s_waitcnt vmcnt(0) lgkmcnt(0)
	buffer_store_dword v20, off, s[0:3], 0 offset:52
	buffer_store_dword v19, off, s[0:3], 0 offset:48
	v_add_co_u32_e32 v15, vcc, s8, v15
	v_addc_co_u32_e32 v16, vcc, v21, v16, vcc
	flat_load_dwordx2 v[19:20], v[15:16]
	v_add_u32_e32 v21, s9, v17
	v_ashrrev_i32_e32 v22, 31, v21
	v_lshlrev_b64 v[17:18], 3, v[21:22]
	v_add_u32_e32 v24, s9, v21
	v_add_co_u32_e32 v17, vcc, s8, v17
	v_addc_co_u32_e32 v18, vcc, v23, v18, vcc
	v_ashrrev_i32_e32 v25, 31, v24
	s_waitcnt vmcnt(0) lgkmcnt(0)
	buffer_store_dword v20, off, s[0:3], 0 offset:60
	buffer_store_dword v19, off, s[0:3], 0 offset:56
	;; [unrolled: 27-line block ×4, first 2 shown]
	flat_load_dwordx2 v[34:35], v[29:30]
	v_lshlrev_b64 v[31:32], 3, v[36:37]
	s_waitcnt vmcnt(0) lgkmcnt(0)
	buffer_store_dword v35, off, s[0:3], 0 offset:116
	buffer_store_dword v34, off, s[0:3], 0 offset:112
	v_add_co_u32_e32 v31, vcc, s8, v31
	v_addc_co_u32_e32 v32, vcc, v38, v32, vcc
	flat_load_dwordx2 v[37:38], v[31:32]
	v_add_u32_e32 v35, s9, v36
	v_ashrrev_i32_e32 v36, 31, v35
	v_lshlrev_b64 v[33:34], 3, v[35:36]
	s_waitcnt vmcnt(0) lgkmcnt(0)
	buffer_store_dword v38, off, s[0:3], 0 offset:124
	buffer_store_dword v37, off, s[0:3], 0 offset:120
	v_add_co_u32_e32 v33, vcc, s8, v33
	v_addc_co_u32_e32 v34, vcc, v39, v34, vcc
	flat_load_dwordx2 v[37:38], v[33:34]
	v_add_u32_e32 v39, s9, v35
	v_ashrrev_i32_e32 v40, 31, v39
	v_lshlrev_b64 v[35:36], 3, v[39:40]
	v_mov_b32_e32 v40, s16
	v_add_co_u32_e32 v35, vcc, s8, v35
	v_addc_co_u32_e32 v36, vcc, v42, v36, vcc
	s_waitcnt vmcnt(0) lgkmcnt(0)
	buffer_store_dword v38, off, s[0:3], 0 offset:132
	buffer_store_dword v37, off, s[0:3], 0 offset:128
	flat_load_dwordx2 v[42:43], v[35:36]
	v_add_u32_e32 v37, s9, v39
	v_ashrrev_i32_e32 v38, 31, v37
	v_lshlrev_b64 v[37:38], 3, v[37:38]
	s_waitcnt vmcnt(0) lgkmcnt(0)
	buffer_store_dword v43, off, s[0:3], 0 offset:140
	buffer_store_dword v42, off, s[0:3], 0 offset:136
	v_add_co_u32_e32 v37, vcc, s8, v37
	v_addc_co_u32_e32 v38, vcc, v40, v38, vcc
	flat_load_dwordx2 v[39:40], v[37:38]
	s_mov_b64 s[8:9], -1
	s_waitcnt vmcnt(0) lgkmcnt(0)
	buffer_store_dword v40, off, s[0:3], 0 offset:148
	buffer_store_dword v39, off, s[0:3], 0 offset:144
	s_cbranch_scc1 .LBB82_88
; %bb.4:
	v_cmp_eq_u32_e64 s[4:5], 0, v0
	s_and_saveexec_b64 s[8:9], s[4:5]
; %bb.5:
	v_mov_b32_e32 v39, 0
	ds_write_b32 v39, v39 offset:152
; %bb.6:
	s_or_b64 exec, exec, s[8:9]
	v_mov_b32_e32 v39, 0
	v_lshl_add_u32 v43, v0, 3, v39
	s_waitcnt lgkmcnt(0)
	; wave barrier
	buffer_load_dword v39, v43, s[0:3], 0 offen
	buffer_load_dword v40, v43, s[0:3], 0 offen offset:4
	s_waitcnt vmcnt(1)
	v_cmp_eq_f32_e32 vcc, 0, v39
	s_waitcnt vmcnt(0)
	v_cmp_eq_f32_e64 s[8:9], 0, v40
	s_and_b64 s[8:9], vcc, s[8:9]
	s_and_saveexec_b64 s[16:17], s[8:9]
	s_cbranch_execz .LBB82_10
; %bb.7:
	v_mov_b32_e32 v39, 0
	ds_read_b32 v42, v39 offset:152
	v_add_u32_e32 v40, 1, v0
	s_waitcnt lgkmcnt(0)
	v_readfirstlane_b32 s8, v42
	s_cmp_eq_u32 s8, 0
	s_cselect_b64 s[18:19], -1, 0
	v_cmp_gt_i32_e32 vcc, s8, v40
	s_or_b64 s[18:19], s[18:19], vcc
	s_and_b64 exec, exec, s[18:19]
	s_cbranch_execz .LBB82_10
; %bb.8:
	s_mov_b64 s[18:19], 0
	v_mov_b32_e32 v42, s8
.LBB82_9:                               ; =>This Inner Loop Header: Depth=1
	ds_cmpst_rtn_b32 v42, v39, v42, v40 offset:152
	s_waitcnt lgkmcnt(0)
	v_cmp_ne_u32_e32 vcc, 0, v42
	v_cmp_le_i32_e64 s[8:9], v42, v40
	s_and_b64 s[8:9], vcc, s[8:9]
	s_and_b64 s[8:9], exec, s[8:9]
	s_or_b64 s[18:19], s[8:9], s[18:19]
	s_andn2_b64 exec, exec, s[18:19]
	s_cbranch_execnz .LBB82_9
.LBB82_10:
	s_or_b64 exec, exec, s[16:17]
	v_mov_b32_e32 v40, 0
	; wave barrier
	ds_read_b32 v39, v40 offset:152
	s_and_saveexec_b64 s[8:9], s[4:5]
	s_cbranch_execz .LBB82_12
; %bb.11:
	s_lshl_b64 s[16:17], s[6:7], 2
	s_add_u32 s16, s10, s16
	s_addc_u32 s17, s11, s17
	s_waitcnt lgkmcnt(0)
	global_store_dword v40, v39, s[16:17]
.LBB82_12:
	s_or_b64 exec, exec, s[8:9]
	s_waitcnt lgkmcnt(0)
	v_cmp_ne_u32_e32 vcc, 0, v39
	s_mov_b64 s[8:9], 0
	s_cbranch_vccnz .LBB82_88
; %bb.13:
	buffer_load_dword v40, v43, s[0:3], 0 offen
	buffer_load_dword v42, v43, s[0:3], 0 offen offset:4
                                        ; implicit-def: $vgpr45
                                        ; implicit-def: $vgpr44
                                        ; implicit-def: $vgpr39
	s_waitcnt vmcnt(0)
	v_cmp_ngt_f32_e64 s[8:9], |v40|, |v42|
	s_and_saveexec_b64 s[16:17], s[8:9]
	s_xor_b64 s[8:9], exec, s[16:17]
	s_cbranch_execz .LBB82_15
; %bb.14:
	v_div_scale_f32 v39, s[16:17], v42, v42, v40
	v_div_scale_f32 v44, vcc, v40, v42, v40
	v_rcp_f32_e32 v45, v39
	v_fma_f32 v46, -v39, v45, 1.0
	v_fmac_f32_e32 v45, v46, v45
	v_mul_f32_e32 v46, v44, v45
	v_fma_f32 v47, -v39, v46, v44
	v_fmac_f32_e32 v46, v47, v45
	v_fma_f32 v39, -v39, v46, v44
	v_div_fmas_f32 v39, v39, v45, v46
	v_div_fixup_f32 v39, v39, v42, v40
	v_fmac_f32_e32 v42, v40, v39
	v_div_scale_f32 v40, s[16:17], v42, v42, 1.0
	v_div_scale_f32 v44, vcc, 1.0, v42, 1.0
	v_rcp_f32_e32 v45, v40
	v_fma_f32 v46, -v40, v45, 1.0
	v_fmac_f32_e32 v45, v46, v45
	v_mul_f32_e32 v46, v44, v45
	v_fma_f32 v47, -v40, v46, v44
	v_fmac_f32_e32 v46, v47, v45
	v_fma_f32 v40, -v40, v46, v44
	v_div_fmas_f32 v40, v40, v45, v46
	v_div_fixup_f32 v40, v40, v42, 1.0
	v_mul_f32_e32 v45, v39, v40
	v_xor_b32_e32 v44, 0x80000000, v40
	v_xor_b32_e32 v39, 0x80000000, v45
                                        ; implicit-def: $vgpr40
                                        ; implicit-def: $vgpr42
.LBB82_15:
	s_andn2_saveexec_b64 s[8:9], s[8:9]
	s_cbranch_execz .LBB82_17
; %bb.16:
	v_div_scale_f32 v39, s[16:17], v40, v40, v42
	v_div_scale_f32 v44, vcc, v42, v40, v42
	v_rcp_f32_e32 v45, v39
	v_fma_f32 v46, -v39, v45, 1.0
	v_fmac_f32_e32 v45, v46, v45
	v_mul_f32_e32 v46, v44, v45
	v_fma_f32 v47, -v39, v46, v44
	v_fmac_f32_e32 v46, v47, v45
	v_fma_f32 v39, -v39, v46, v44
	v_div_fmas_f32 v39, v39, v45, v46
	v_div_fixup_f32 v44, v39, v40, v42
	v_fmac_f32_e32 v40, v42, v44
	v_div_scale_f32 v39, s[16:17], v40, v40, 1.0
	v_div_scale_f32 v42, vcc, 1.0, v40, 1.0
	v_rcp_f32_e32 v45, v39
	v_fma_f32 v46, -v39, v45, 1.0
	v_fmac_f32_e32 v45, v46, v45
	v_mul_f32_e32 v46, v42, v45
	v_fma_f32 v47, -v39, v46, v42
	v_fmac_f32_e32 v46, v47, v45
	v_fma_f32 v39, -v39, v46, v42
	v_div_fmas_f32 v39, v39, v45, v46
	v_div_fixup_f32 v45, v39, v40, 1.0
	v_xor_b32_e32 v39, 0x80000000, v45
	v_mul_f32_e64 v44, v44, -v45
.LBB82_17:
	s_or_b64 exec, exec, s[8:9]
	buffer_store_dword v45, v43, s[0:3], 0 offen
	buffer_store_dword v44, v43, s[0:3], 0 offen offset:4
	buffer_load_dword v46, off, s[0:3], 0 offset:12
	s_nop 0
	buffer_load_dword v45, off, s[0:3], 0 offset:8
	v_xor_b32_e32 v40, 0x80000000, v44
	v_add_u32_e32 v42, 0xa0, v41
	s_waitcnt vmcnt(0)
	ds_write2_b64 v41, v[39:40], v[45:46] offset1:20
	s_waitcnt lgkmcnt(0)
	; wave barrier
	s_and_saveexec_b64 s[8:9], s[4:5]
	s_cbranch_execz .LBB82_19
; %bb.18:
	buffer_load_dword v46, v43, s[0:3], 0 offen offset:4
	buffer_load_dword v47, v43, s[0:3], 0 offen
	ds_read_b64 v[39:40], v42
	v_mov_b32_e32 v44, 0
	ds_read_b64 v[44:45], v44 offset:8
	s_waitcnt vmcnt(1) lgkmcnt(1)
	v_mul_f32_e32 v48, v40, v46
	v_mul_f32_e32 v46, v39, v46
	s_waitcnt vmcnt(0)
	v_fmac_f32_e32 v46, v40, v47
	v_fma_f32 v39, v39, v47, -v48
	v_add_f32_e32 v40, 0, v46
	v_add_f32_e32 v39, 0, v39
	s_waitcnt lgkmcnt(0)
	v_mul_f32_e32 v46, v40, v45
	v_mul_f32_e32 v45, v39, v45
	v_fma_f32 v39, v39, v44, -v46
	v_fmac_f32_e32 v45, v40, v44
	buffer_store_dword v39, off, s[0:3], 0 offset:8
	buffer_store_dword v45, off, s[0:3], 0 offset:12
.LBB82_19:
	s_or_b64 exec, exec, s[8:9]
	; wave barrier
	buffer_load_dword v39, off, s[0:3], 0 offset:16
	buffer_load_dword v40, off, s[0:3], 0 offset:20
	v_cmp_gt_u32_e32 vcc, 2, v0
	s_waitcnt vmcnt(0)
	ds_write_b64 v42, v[39:40]
	s_waitcnt lgkmcnt(0)
	; wave barrier
	s_and_saveexec_b64 s[8:9], vcc
	s_cbranch_execz .LBB82_23
; %bb.20:
	buffer_load_dword v44, v43, s[0:3], 0 offen offset:4
	buffer_load_dword v45, v43, s[0:3], 0 offen
	ds_read_b64 v[39:40], v42
	s_waitcnt vmcnt(1) lgkmcnt(0)
	v_mul_f32_e32 v43, v40, v44
	v_mul_f32_e32 v44, v39, v44
	s_waitcnt vmcnt(0)
	v_fma_f32 v39, v39, v45, -v43
	v_fmac_f32_e32 v44, v40, v45
	v_add_f32_e32 v40, 0, v39
	v_add_f32_e32 v39, 0, v44
	s_and_saveexec_b64 s[16:17], s[4:5]
	s_cbranch_execz .LBB82_22
; %bb.21:
	buffer_load_dword v45, off, s[0:3], 0 offset:12
	buffer_load_dword v46, off, s[0:3], 0 offset:8
	v_mov_b32_e32 v43, 0
	ds_read_b64 v[43:44], v43 offset:168
	s_waitcnt vmcnt(1) lgkmcnt(0)
	v_mul_f32_e32 v47, v43, v45
	v_mul_f32_e32 v45, v44, v45
	s_waitcnt vmcnt(0)
	v_fmac_f32_e32 v47, v44, v46
	v_fma_f32 v43, v43, v46, -v45
	v_add_f32_e32 v39, v39, v47
	v_add_f32_e32 v40, v40, v43
.LBB82_22:
	s_or_b64 exec, exec, s[16:17]
	v_mov_b32_e32 v43, 0
	ds_read_b64 v[43:44], v43 offset:16
	s_waitcnt lgkmcnt(0)
	v_mul_f32_e32 v45, v39, v44
	v_mul_f32_e32 v44, v40, v44
	v_fma_f32 v40, v40, v43, -v45
	v_fmac_f32_e32 v44, v39, v43
	buffer_store_dword v40, off, s[0:3], 0 offset:16
	buffer_store_dword v44, off, s[0:3], 0 offset:20
.LBB82_23:
	s_or_b64 exec, exec, s[8:9]
	; wave barrier
	buffer_load_dword v39, off, s[0:3], 0 offset:24
	buffer_load_dword v40, off, s[0:3], 0 offset:28
	v_cmp_gt_u32_e32 vcc, 3, v0
	s_waitcnt vmcnt(0)
	ds_write_b64 v42, v[39:40]
	v_add_u32_e32 v39, -1, v0
	s_waitcnt lgkmcnt(0)
	; wave barrier
	s_and_saveexec_b64 s[4:5], vcc
	s_cbranch_execz .LBB82_27
; %bb.24:
	v_add_u32_e32 v43, -1, v0
	v_add_u32_e32 v44, 0xa0, v41
	v_mov_b32_e32 v45, v41
	v_mov_b32_e32 v40, 0
	s_mov_b64 s[8:9], 0
	v_mov_b32_e32 v46, 0
.LBB82_25:                              ; =>This Inner Loop Header: Depth=1
	buffer_load_dword v49, v45, s[0:3], 0 offen offset:4
	buffer_load_dword v50, v45, s[0:3], 0 offen
	ds_read_b64 v[47:48], v44
	v_add_u32_e32 v43, 1, v43
	v_cmp_lt_u32_e32 vcc, 1, v43
	v_add_u32_e32 v44, 8, v44
	v_add_u32_e32 v45, 8, v45
	s_or_b64 s[8:9], vcc, s[8:9]
	s_waitcnt vmcnt(1) lgkmcnt(0)
	v_mul_f32_e32 v51, v48, v49
	v_mul_f32_e32 v49, v47, v49
	s_waitcnt vmcnt(0)
	v_fma_f32 v47, v47, v50, -v51
	v_fmac_f32_e32 v49, v48, v50
	v_add_f32_e32 v46, v46, v47
	v_add_f32_e32 v40, v40, v49
	s_andn2_b64 exec, exec, s[8:9]
	s_cbranch_execnz .LBB82_25
; %bb.26:
	s_or_b64 exec, exec, s[8:9]
	v_mov_b32_e32 v43, 0
	ds_read_b64 v[43:44], v43 offset:24
	s_waitcnt lgkmcnt(0)
	v_mul_f32_e32 v45, v40, v44
	v_mul_f32_e32 v44, v46, v44
	v_fma_f32 v45, v46, v43, -v45
	v_fmac_f32_e32 v44, v40, v43
	buffer_store_dword v45, off, s[0:3], 0 offset:24
	buffer_store_dword v44, off, s[0:3], 0 offset:28
.LBB82_27:
	s_or_b64 exec, exec, s[4:5]
	; wave barrier
	buffer_load_dword v43, off, s[0:3], 0 offset:32
	buffer_load_dword v44, off, s[0:3], 0 offset:36
	v_cmp_gt_u32_e32 vcc, 4, v0
	s_waitcnt vmcnt(0)
	ds_write_b64 v42, v[43:44]
	s_waitcnt lgkmcnt(0)
	; wave barrier
	s_and_saveexec_b64 s[4:5], vcc
	s_cbranch_execz .LBB82_31
; %bb.28:
	v_add_u32_e32 v43, -1, v0
	v_add_u32_e32 v44, 0xa0, v41
	v_mov_b32_e32 v45, v41
	v_mov_b32_e32 v40, 0
	s_mov_b64 s[8:9], 0
	v_mov_b32_e32 v46, 0
.LBB82_29:                              ; =>This Inner Loop Header: Depth=1
	buffer_load_dword v49, v45, s[0:3], 0 offen offset:4
	buffer_load_dword v50, v45, s[0:3], 0 offen
	ds_read_b64 v[47:48], v44
	v_add_u32_e32 v43, 1, v43
	v_cmp_lt_u32_e32 vcc, 2, v43
	v_add_u32_e32 v44, 8, v44
	v_add_u32_e32 v45, 8, v45
	s_or_b64 s[8:9], vcc, s[8:9]
	s_waitcnt vmcnt(1) lgkmcnt(0)
	v_mul_f32_e32 v51, v48, v49
	v_mul_f32_e32 v49, v47, v49
	s_waitcnt vmcnt(0)
	v_fma_f32 v47, v47, v50, -v51
	v_fmac_f32_e32 v49, v48, v50
	v_add_f32_e32 v46, v46, v47
	v_add_f32_e32 v40, v40, v49
	s_andn2_b64 exec, exec, s[8:9]
	s_cbranch_execnz .LBB82_29
; %bb.30:
	s_or_b64 exec, exec, s[8:9]
	v_mov_b32_e32 v43, 0
	ds_read_b64 v[43:44], v43 offset:32
	s_waitcnt lgkmcnt(0)
	v_mul_f32_e32 v45, v40, v44
	v_mul_f32_e32 v44, v46, v44
	v_fma_f32 v45, v46, v43, -v45
	v_fmac_f32_e32 v44, v40, v43
	buffer_store_dword v45, off, s[0:3], 0 offset:32
	buffer_store_dword v44, off, s[0:3], 0 offset:36
.LBB82_31:
	s_or_b64 exec, exec, s[4:5]
	; wave barrier
	buffer_load_dword v43, off, s[0:3], 0 offset:40
	buffer_load_dword v44, off, s[0:3], 0 offset:44
	v_cmp_gt_u32_e32 vcc, 5, v0
	s_waitcnt vmcnt(0)
	ds_write_b64 v42, v[43:44]
	s_waitcnt lgkmcnt(0)
	; wave barrier
	s_and_saveexec_b64 s[4:5], vcc
	s_cbranch_execz .LBB82_35
; %bb.32:
	v_add_u32_e32 v43, -1, v0
	v_add_u32_e32 v44, 0xa0, v41
	v_mov_b32_e32 v45, v41
	v_mov_b32_e32 v40, 0
	s_mov_b64 s[8:9], 0
	v_mov_b32_e32 v46, 0
.LBB82_33:                              ; =>This Inner Loop Header: Depth=1
	buffer_load_dword v49, v45, s[0:3], 0 offen offset:4
	buffer_load_dword v50, v45, s[0:3], 0 offen
	ds_read_b64 v[47:48], v44
	v_add_u32_e32 v43, 1, v43
	v_cmp_lt_u32_e32 vcc, 3, v43
	v_add_u32_e32 v44, 8, v44
	v_add_u32_e32 v45, 8, v45
	s_or_b64 s[8:9], vcc, s[8:9]
	s_waitcnt vmcnt(1) lgkmcnt(0)
	v_mul_f32_e32 v51, v48, v49
	v_mul_f32_e32 v49, v47, v49
	s_waitcnt vmcnt(0)
	v_fma_f32 v47, v47, v50, -v51
	v_fmac_f32_e32 v49, v48, v50
	v_add_f32_e32 v46, v46, v47
	v_add_f32_e32 v40, v40, v49
	s_andn2_b64 exec, exec, s[8:9]
	s_cbranch_execnz .LBB82_33
; %bb.34:
	s_or_b64 exec, exec, s[8:9]
	v_mov_b32_e32 v43, 0
	ds_read_b64 v[43:44], v43 offset:40
	s_waitcnt lgkmcnt(0)
	v_mul_f32_e32 v45, v40, v44
	v_mul_f32_e32 v44, v46, v44
	v_fma_f32 v45, v46, v43, -v45
	v_fmac_f32_e32 v44, v40, v43
	buffer_store_dword v45, off, s[0:3], 0 offset:40
	buffer_store_dword v44, off, s[0:3], 0 offset:44
.LBB82_35:
	s_or_b64 exec, exec, s[4:5]
	; wave barrier
	buffer_load_dword v43, off, s[0:3], 0 offset:48
	buffer_load_dword v44, off, s[0:3], 0 offset:52
	v_cmp_gt_u32_e32 vcc, 6, v0
	s_waitcnt vmcnt(0)
	ds_write_b64 v42, v[43:44]
	s_waitcnt lgkmcnt(0)
	; wave barrier
	s_and_saveexec_b64 s[4:5], vcc
	s_cbranch_execz .LBB82_39
; %bb.36:
	v_add_u32_e32 v43, -1, v0
	v_add_u32_e32 v44, 0xa0, v41
	v_mov_b32_e32 v45, v41
	v_mov_b32_e32 v40, 0
	s_mov_b64 s[8:9], 0
	v_mov_b32_e32 v46, 0
.LBB82_37:                              ; =>This Inner Loop Header: Depth=1
	buffer_load_dword v49, v45, s[0:3], 0 offen offset:4
	buffer_load_dword v50, v45, s[0:3], 0 offen
	ds_read_b64 v[47:48], v44
	v_add_u32_e32 v43, 1, v43
	v_cmp_lt_u32_e32 vcc, 4, v43
	v_add_u32_e32 v44, 8, v44
	v_add_u32_e32 v45, 8, v45
	s_or_b64 s[8:9], vcc, s[8:9]
	s_waitcnt vmcnt(1) lgkmcnt(0)
	v_mul_f32_e32 v51, v48, v49
	v_mul_f32_e32 v49, v47, v49
	s_waitcnt vmcnt(0)
	v_fma_f32 v47, v47, v50, -v51
	v_fmac_f32_e32 v49, v48, v50
	v_add_f32_e32 v46, v46, v47
	v_add_f32_e32 v40, v40, v49
	s_andn2_b64 exec, exec, s[8:9]
	s_cbranch_execnz .LBB82_37
; %bb.38:
	s_or_b64 exec, exec, s[8:9]
	v_mov_b32_e32 v43, 0
	ds_read_b64 v[43:44], v43 offset:48
	s_waitcnt lgkmcnt(0)
	v_mul_f32_e32 v45, v40, v44
	v_mul_f32_e32 v44, v46, v44
	v_fma_f32 v45, v46, v43, -v45
	v_fmac_f32_e32 v44, v40, v43
	buffer_store_dword v45, off, s[0:3], 0 offset:48
	buffer_store_dword v44, off, s[0:3], 0 offset:52
.LBB82_39:
	s_or_b64 exec, exec, s[4:5]
	; wave barrier
	buffer_load_dword v43, off, s[0:3], 0 offset:56
	buffer_load_dword v44, off, s[0:3], 0 offset:60
	v_cmp_gt_u32_e32 vcc, 7, v0
	s_waitcnt vmcnt(0)
	ds_write_b64 v42, v[43:44]
	s_waitcnt lgkmcnt(0)
	; wave barrier
	s_and_saveexec_b64 s[4:5], vcc
	s_cbranch_execz .LBB82_43
; %bb.40:
	v_add_u32_e32 v43, -1, v0
	v_add_u32_e32 v44, 0xa0, v41
	v_mov_b32_e32 v45, v41
	v_mov_b32_e32 v40, 0
	s_mov_b64 s[8:9], 0
	v_mov_b32_e32 v46, 0
.LBB82_41:                              ; =>This Inner Loop Header: Depth=1
	buffer_load_dword v49, v45, s[0:3], 0 offen offset:4
	buffer_load_dword v50, v45, s[0:3], 0 offen
	ds_read_b64 v[47:48], v44
	v_add_u32_e32 v43, 1, v43
	v_cmp_lt_u32_e32 vcc, 5, v43
	v_add_u32_e32 v44, 8, v44
	v_add_u32_e32 v45, 8, v45
	s_or_b64 s[8:9], vcc, s[8:9]
	s_waitcnt vmcnt(1) lgkmcnt(0)
	v_mul_f32_e32 v51, v48, v49
	v_mul_f32_e32 v49, v47, v49
	s_waitcnt vmcnt(0)
	v_fma_f32 v47, v47, v50, -v51
	v_fmac_f32_e32 v49, v48, v50
	v_add_f32_e32 v46, v46, v47
	v_add_f32_e32 v40, v40, v49
	s_andn2_b64 exec, exec, s[8:9]
	s_cbranch_execnz .LBB82_41
; %bb.42:
	s_or_b64 exec, exec, s[8:9]
	v_mov_b32_e32 v43, 0
	ds_read_b64 v[43:44], v43 offset:56
	s_waitcnt lgkmcnt(0)
	v_mul_f32_e32 v45, v40, v44
	v_mul_f32_e32 v44, v46, v44
	v_fma_f32 v45, v46, v43, -v45
	v_fmac_f32_e32 v44, v40, v43
	buffer_store_dword v45, off, s[0:3], 0 offset:56
	buffer_store_dword v44, off, s[0:3], 0 offset:60
.LBB82_43:
	s_or_b64 exec, exec, s[4:5]
	; wave barrier
	buffer_load_dword v43, off, s[0:3], 0 offset:64
	buffer_load_dword v44, off, s[0:3], 0 offset:68
	v_cmp_gt_u32_e32 vcc, 8, v0
	s_waitcnt vmcnt(0)
	ds_write_b64 v42, v[43:44]
	s_waitcnt lgkmcnt(0)
	; wave barrier
	s_and_saveexec_b64 s[4:5], vcc
	s_cbranch_execz .LBB82_47
; %bb.44:
	v_add_u32_e32 v43, -1, v0
	v_add_u32_e32 v44, 0xa0, v41
	v_mov_b32_e32 v45, v41
	v_mov_b32_e32 v40, 0
	s_mov_b64 s[8:9], 0
	v_mov_b32_e32 v46, 0
.LBB82_45:                              ; =>This Inner Loop Header: Depth=1
	buffer_load_dword v49, v45, s[0:3], 0 offen offset:4
	buffer_load_dword v50, v45, s[0:3], 0 offen
	ds_read_b64 v[47:48], v44
	v_add_u32_e32 v43, 1, v43
	v_cmp_lt_u32_e32 vcc, 6, v43
	v_add_u32_e32 v44, 8, v44
	v_add_u32_e32 v45, 8, v45
	s_or_b64 s[8:9], vcc, s[8:9]
	s_waitcnt vmcnt(1) lgkmcnt(0)
	v_mul_f32_e32 v51, v48, v49
	v_mul_f32_e32 v49, v47, v49
	s_waitcnt vmcnt(0)
	v_fma_f32 v47, v47, v50, -v51
	v_fmac_f32_e32 v49, v48, v50
	v_add_f32_e32 v46, v46, v47
	v_add_f32_e32 v40, v40, v49
	s_andn2_b64 exec, exec, s[8:9]
	s_cbranch_execnz .LBB82_45
; %bb.46:
	s_or_b64 exec, exec, s[8:9]
	v_mov_b32_e32 v43, 0
	ds_read_b64 v[43:44], v43 offset:64
	s_waitcnt lgkmcnt(0)
	v_mul_f32_e32 v45, v40, v44
	v_mul_f32_e32 v44, v46, v44
	v_fma_f32 v45, v46, v43, -v45
	v_fmac_f32_e32 v44, v40, v43
	buffer_store_dword v45, off, s[0:3], 0 offset:64
	buffer_store_dword v44, off, s[0:3], 0 offset:68
.LBB82_47:
	s_or_b64 exec, exec, s[4:5]
	; wave barrier
	buffer_load_dword v43, off, s[0:3], 0 offset:72
	buffer_load_dword v44, off, s[0:3], 0 offset:76
	v_cmp_gt_u32_e32 vcc, 9, v0
	s_waitcnt vmcnt(0)
	ds_write_b64 v42, v[43:44]
	s_waitcnt lgkmcnt(0)
	; wave barrier
	s_and_saveexec_b64 s[4:5], vcc
	s_cbranch_execz .LBB82_51
; %bb.48:
	v_add_u32_e32 v43, -1, v0
	v_add_u32_e32 v44, 0xa0, v41
	v_mov_b32_e32 v45, v41
	v_mov_b32_e32 v40, 0
	s_mov_b64 s[8:9], 0
	v_mov_b32_e32 v46, 0
.LBB82_49:                              ; =>This Inner Loop Header: Depth=1
	buffer_load_dword v49, v45, s[0:3], 0 offen offset:4
	buffer_load_dword v50, v45, s[0:3], 0 offen
	ds_read_b64 v[47:48], v44
	v_add_u32_e32 v43, 1, v43
	v_cmp_lt_u32_e32 vcc, 7, v43
	v_add_u32_e32 v44, 8, v44
	v_add_u32_e32 v45, 8, v45
	s_or_b64 s[8:9], vcc, s[8:9]
	s_waitcnt vmcnt(1) lgkmcnt(0)
	v_mul_f32_e32 v51, v48, v49
	v_mul_f32_e32 v49, v47, v49
	s_waitcnt vmcnt(0)
	v_fma_f32 v47, v47, v50, -v51
	v_fmac_f32_e32 v49, v48, v50
	v_add_f32_e32 v46, v46, v47
	v_add_f32_e32 v40, v40, v49
	s_andn2_b64 exec, exec, s[8:9]
	s_cbranch_execnz .LBB82_49
; %bb.50:
	s_or_b64 exec, exec, s[8:9]
	v_mov_b32_e32 v43, 0
	ds_read_b64 v[43:44], v43 offset:72
	s_waitcnt lgkmcnt(0)
	v_mul_f32_e32 v45, v40, v44
	v_mul_f32_e32 v44, v46, v44
	v_fma_f32 v45, v46, v43, -v45
	v_fmac_f32_e32 v44, v40, v43
	buffer_store_dword v45, off, s[0:3], 0 offset:72
	buffer_store_dword v44, off, s[0:3], 0 offset:76
.LBB82_51:
	s_or_b64 exec, exec, s[4:5]
	; wave barrier
	buffer_load_dword v43, off, s[0:3], 0 offset:80
	buffer_load_dword v44, off, s[0:3], 0 offset:84
	v_cmp_gt_u32_e32 vcc, 10, v0
	s_waitcnt vmcnt(0)
	ds_write_b64 v42, v[43:44]
	s_waitcnt lgkmcnt(0)
	; wave barrier
	s_and_saveexec_b64 s[4:5], vcc
	s_cbranch_execz .LBB82_55
; %bb.52:
	v_add_u32_e32 v43, -1, v0
	v_add_u32_e32 v44, 0xa0, v41
	v_mov_b32_e32 v45, v41
	v_mov_b32_e32 v40, 0
	s_mov_b64 s[8:9], 0
	v_mov_b32_e32 v46, 0
.LBB82_53:                              ; =>This Inner Loop Header: Depth=1
	buffer_load_dword v49, v45, s[0:3], 0 offen offset:4
	buffer_load_dword v50, v45, s[0:3], 0 offen
	ds_read_b64 v[47:48], v44
	v_add_u32_e32 v43, 1, v43
	v_cmp_lt_u32_e32 vcc, 8, v43
	v_add_u32_e32 v44, 8, v44
	v_add_u32_e32 v45, 8, v45
	s_or_b64 s[8:9], vcc, s[8:9]
	s_waitcnt vmcnt(1) lgkmcnt(0)
	v_mul_f32_e32 v51, v48, v49
	v_mul_f32_e32 v49, v47, v49
	s_waitcnt vmcnt(0)
	v_fma_f32 v47, v47, v50, -v51
	v_fmac_f32_e32 v49, v48, v50
	v_add_f32_e32 v46, v46, v47
	v_add_f32_e32 v40, v40, v49
	s_andn2_b64 exec, exec, s[8:9]
	s_cbranch_execnz .LBB82_53
; %bb.54:
	s_or_b64 exec, exec, s[8:9]
	v_mov_b32_e32 v43, 0
	ds_read_b64 v[43:44], v43 offset:80
	s_waitcnt lgkmcnt(0)
	v_mul_f32_e32 v45, v40, v44
	v_mul_f32_e32 v44, v46, v44
	v_fma_f32 v45, v46, v43, -v45
	v_fmac_f32_e32 v44, v40, v43
	buffer_store_dword v45, off, s[0:3], 0 offset:80
	buffer_store_dword v44, off, s[0:3], 0 offset:84
.LBB82_55:
	s_or_b64 exec, exec, s[4:5]
	; wave barrier
	buffer_load_dword v43, off, s[0:3], 0 offset:88
	buffer_load_dword v44, off, s[0:3], 0 offset:92
	v_cmp_gt_u32_e32 vcc, 11, v0
	s_waitcnt vmcnt(0)
	ds_write_b64 v42, v[43:44]
	s_waitcnt lgkmcnt(0)
	; wave barrier
	s_and_saveexec_b64 s[4:5], vcc
	s_cbranch_execz .LBB82_59
; %bb.56:
	v_add_u32_e32 v43, -1, v0
	v_add_u32_e32 v44, 0xa0, v41
	v_mov_b32_e32 v45, v41
	v_mov_b32_e32 v40, 0
	s_mov_b64 s[8:9], 0
	v_mov_b32_e32 v46, 0
.LBB82_57:                              ; =>This Inner Loop Header: Depth=1
	buffer_load_dword v49, v45, s[0:3], 0 offen offset:4
	buffer_load_dword v50, v45, s[0:3], 0 offen
	ds_read_b64 v[47:48], v44
	v_add_u32_e32 v43, 1, v43
	v_cmp_lt_u32_e32 vcc, 9, v43
	v_add_u32_e32 v44, 8, v44
	v_add_u32_e32 v45, 8, v45
	s_or_b64 s[8:9], vcc, s[8:9]
	s_waitcnt vmcnt(1) lgkmcnt(0)
	v_mul_f32_e32 v51, v48, v49
	v_mul_f32_e32 v49, v47, v49
	s_waitcnt vmcnt(0)
	v_fma_f32 v47, v47, v50, -v51
	v_fmac_f32_e32 v49, v48, v50
	v_add_f32_e32 v46, v46, v47
	v_add_f32_e32 v40, v40, v49
	s_andn2_b64 exec, exec, s[8:9]
	s_cbranch_execnz .LBB82_57
; %bb.58:
	s_or_b64 exec, exec, s[8:9]
	v_mov_b32_e32 v43, 0
	ds_read_b64 v[43:44], v43 offset:88
	s_waitcnt lgkmcnt(0)
	v_mul_f32_e32 v45, v40, v44
	v_mul_f32_e32 v44, v46, v44
	v_fma_f32 v45, v46, v43, -v45
	v_fmac_f32_e32 v44, v40, v43
	buffer_store_dword v45, off, s[0:3], 0 offset:88
	buffer_store_dword v44, off, s[0:3], 0 offset:92
.LBB82_59:
	s_or_b64 exec, exec, s[4:5]
	; wave barrier
	buffer_load_dword v43, off, s[0:3], 0 offset:96
	buffer_load_dword v44, off, s[0:3], 0 offset:100
	v_cmp_gt_u32_e32 vcc, 12, v0
	s_waitcnt vmcnt(0)
	ds_write_b64 v42, v[43:44]
	s_waitcnt lgkmcnt(0)
	; wave barrier
	s_and_saveexec_b64 s[4:5], vcc
	s_cbranch_execz .LBB82_63
; %bb.60:
	v_add_u32_e32 v43, -1, v0
	v_add_u32_e32 v44, 0xa0, v41
	v_mov_b32_e32 v45, v41
	v_mov_b32_e32 v40, 0
	s_mov_b64 s[8:9], 0
	v_mov_b32_e32 v46, 0
.LBB82_61:                              ; =>This Inner Loop Header: Depth=1
	buffer_load_dword v49, v45, s[0:3], 0 offen offset:4
	buffer_load_dword v50, v45, s[0:3], 0 offen
	ds_read_b64 v[47:48], v44
	v_add_u32_e32 v43, 1, v43
	v_cmp_lt_u32_e32 vcc, 10, v43
	v_add_u32_e32 v44, 8, v44
	v_add_u32_e32 v45, 8, v45
	s_or_b64 s[8:9], vcc, s[8:9]
	s_waitcnt vmcnt(1) lgkmcnt(0)
	v_mul_f32_e32 v51, v48, v49
	v_mul_f32_e32 v49, v47, v49
	s_waitcnt vmcnt(0)
	v_fma_f32 v47, v47, v50, -v51
	v_fmac_f32_e32 v49, v48, v50
	v_add_f32_e32 v46, v46, v47
	v_add_f32_e32 v40, v40, v49
	s_andn2_b64 exec, exec, s[8:9]
	s_cbranch_execnz .LBB82_61
; %bb.62:
	s_or_b64 exec, exec, s[8:9]
	v_mov_b32_e32 v43, 0
	ds_read_b64 v[43:44], v43 offset:96
	s_waitcnt lgkmcnt(0)
	v_mul_f32_e32 v45, v40, v44
	v_mul_f32_e32 v44, v46, v44
	v_fma_f32 v45, v46, v43, -v45
	v_fmac_f32_e32 v44, v40, v43
	buffer_store_dword v45, off, s[0:3], 0 offset:96
	buffer_store_dword v44, off, s[0:3], 0 offset:100
.LBB82_63:
	s_or_b64 exec, exec, s[4:5]
	; wave barrier
	buffer_load_dword v43, off, s[0:3], 0 offset:104
	buffer_load_dword v44, off, s[0:3], 0 offset:108
	v_cmp_gt_u32_e32 vcc, 13, v0
	s_waitcnt vmcnt(0)
	ds_write_b64 v42, v[43:44]
	s_waitcnt lgkmcnt(0)
	; wave barrier
	s_and_saveexec_b64 s[4:5], vcc
	s_cbranch_execz .LBB82_67
; %bb.64:
	v_add_u32_e32 v43, -1, v0
	v_add_u32_e32 v44, 0xa0, v41
	v_mov_b32_e32 v45, v41
	v_mov_b32_e32 v40, 0
	s_mov_b64 s[8:9], 0
	v_mov_b32_e32 v46, 0
.LBB82_65:                              ; =>This Inner Loop Header: Depth=1
	buffer_load_dword v49, v45, s[0:3], 0 offen offset:4
	buffer_load_dword v50, v45, s[0:3], 0 offen
	ds_read_b64 v[47:48], v44
	v_add_u32_e32 v43, 1, v43
	v_cmp_lt_u32_e32 vcc, 11, v43
	v_add_u32_e32 v44, 8, v44
	v_add_u32_e32 v45, 8, v45
	s_or_b64 s[8:9], vcc, s[8:9]
	s_waitcnt vmcnt(1) lgkmcnt(0)
	v_mul_f32_e32 v51, v48, v49
	v_mul_f32_e32 v49, v47, v49
	s_waitcnt vmcnt(0)
	v_fma_f32 v47, v47, v50, -v51
	v_fmac_f32_e32 v49, v48, v50
	v_add_f32_e32 v46, v46, v47
	v_add_f32_e32 v40, v40, v49
	s_andn2_b64 exec, exec, s[8:9]
	s_cbranch_execnz .LBB82_65
; %bb.66:
	s_or_b64 exec, exec, s[8:9]
	v_mov_b32_e32 v43, 0
	ds_read_b64 v[43:44], v43 offset:104
	s_waitcnt lgkmcnt(0)
	v_mul_f32_e32 v45, v40, v44
	v_mul_f32_e32 v44, v46, v44
	v_fma_f32 v45, v46, v43, -v45
	v_fmac_f32_e32 v44, v40, v43
	buffer_store_dword v45, off, s[0:3], 0 offset:104
	buffer_store_dword v44, off, s[0:3], 0 offset:108
.LBB82_67:
	s_or_b64 exec, exec, s[4:5]
	; wave barrier
	buffer_load_dword v43, off, s[0:3], 0 offset:112
	buffer_load_dword v44, off, s[0:3], 0 offset:116
	v_cmp_gt_u32_e32 vcc, 14, v0
	s_waitcnt vmcnt(0)
	ds_write_b64 v42, v[43:44]
	s_waitcnt lgkmcnt(0)
	; wave barrier
	s_and_saveexec_b64 s[4:5], vcc
	s_cbranch_execz .LBB82_71
; %bb.68:
	v_add_u32_e32 v43, -1, v0
	v_add_u32_e32 v44, 0xa0, v41
	v_mov_b32_e32 v45, v41
	v_mov_b32_e32 v40, 0
	s_mov_b64 s[8:9], 0
	v_mov_b32_e32 v46, 0
.LBB82_69:                              ; =>This Inner Loop Header: Depth=1
	buffer_load_dword v49, v45, s[0:3], 0 offen offset:4
	buffer_load_dword v50, v45, s[0:3], 0 offen
	ds_read_b64 v[47:48], v44
	v_add_u32_e32 v43, 1, v43
	v_cmp_lt_u32_e32 vcc, 12, v43
	v_add_u32_e32 v44, 8, v44
	v_add_u32_e32 v45, 8, v45
	s_or_b64 s[8:9], vcc, s[8:9]
	s_waitcnt vmcnt(1) lgkmcnt(0)
	v_mul_f32_e32 v51, v48, v49
	v_mul_f32_e32 v49, v47, v49
	s_waitcnt vmcnt(0)
	v_fma_f32 v47, v47, v50, -v51
	v_fmac_f32_e32 v49, v48, v50
	v_add_f32_e32 v46, v46, v47
	v_add_f32_e32 v40, v40, v49
	s_andn2_b64 exec, exec, s[8:9]
	s_cbranch_execnz .LBB82_69
; %bb.70:
	s_or_b64 exec, exec, s[8:9]
	v_mov_b32_e32 v43, 0
	ds_read_b64 v[43:44], v43 offset:112
	s_waitcnt lgkmcnt(0)
	v_mul_f32_e32 v45, v40, v44
	v_mul_f32_e32 v44, v46, v44
	v_fma_f32 v45, v46, v43, -v45
	v_fmac_f32_e32 v44, v40, v43
	buffer_store_dword v45, off, s[0:3], 0 offset:112
	buffer_store_dword v44, off, s[0:3], 0 offset:116
.LBB82_71:
	s_or_b64 exec, exec, s[4:5]
	; wave barrier
	buffer_load_dword v43, off, s[0:3], 0 offset:120
	buffer_load_dword v44, off, s[0:3], 0 offset:124
	v_cmp_gt_u32_e32 vcc, 15, v0
	s_waitcnt vmcnt(0)
	ds_write_b64 v42, v[43:44]
	s_waitcnt lgkmcnt(0)
	; wave barrier
	s_and_saveexec_b64 s[4:5], vcc
	s_cbranch_execz .LBB82_75
; %bb.72:
	v_add_u32_e32 v43, -1, v0
	v_add_u32_e32 v44, 0xa0, v41
	v_mov_b32_e32 v45, v41
	v_mov_b32_e32 v40, 0
	s_mov_b64 s[8:9], 0
	v_mov_b32_e32 v46, 0
.LBB82_73:                              ; =>This Inner Loop Header: Depth=1
	buffer_load_dword v49, v45, s[0:3], 0 offen offset:4
	buffer_load_dword v50, v45, s[0:3], 0 offen
	ds_read_b64 v[47:48], v44
	v_add_u32_e32 v43, 1, v43
	v_cmp_lt_u32_e32 vcc, 13, v43
	v_add_u32_e32 v44, 8, v44
	v_add_u32_e32 v45, 8, v45
	s_or_b64 s[8:9], vcc, s[8:9]
	s_waitcnt vmcnt(1) lgkmcnt(0)
	v_mul_f32_e32 v51, v48, v49
	v_mul_f32_e32 v49, v47, v49
	s_waitcnt vmcnt(0)
	v_fma_f32 v47, v47, v50, -v51
	v_fmac_f32_e32 v49, v48, v50
	v_add_f32_e32 v46, v46, v47
	v_add_f32_e32 v40, v40, v49
	s_andn2_b64 exec, exec, s[8:9]
	s_cbranch_execnz .LBB82_73
; %bb.74:
	s_or_b64 exec, exec, s[8:9]
	v_mov_b32_e32 v43, 0
	ds_read_b64 v[43:44], v43 offset:120
	s_waitcnt lgkmcnt(0)
	v_mul_f32_e32 v45, v40, v44
	v_mul_f32_e32 v44, v46, v44
	v_fma_f32 v45, v46, v43, -v45
	v_fmac_f32_e32 v44, v40, v43
	buffer_store_dword v45, off, s[0:3], 0 offset:120
	buffer_store_dword v44, off, s[0:3], 0 offset:124
.LBB82_75:
	s_or_b64 exec, exec, s[4:5]
	; wave barrier
	buffer_load_dword v43, off, s[0:3], 0 offset:128
	buffer_load_dword v44, off, s[0:3], 0 offset:132
	v_cmp_gt_u32_e32 vcc, 16, v0
	s_waitcnt vmcnt(0)
	ds_write_b64 v42, v[43:44]
	s_waitcnt lgkmcnt(0)
	; wave barrier
	s_and_saveexec_b64 s[4:5], vcc
	s_cbranch_execz .LBB82_79
; %bb.76:
	v_add_u32_e32 v43, -1, v0
	v_add_u32_e32 v44, 0xa0, v41
	v_mov_b32_e32 v45, v41
	v_mov_b32_e32 v40, 0
	s_mov_b64 s[8:9], 0
	v_mov_b32_e32 v46, 0
.LBB82_77:                              ; =>This Inner Loop Header: Depth=1
	buffer_load_dword v49, v45, s[0:3], 0 offen offset:4
	buffer_load_dword v50, v45, s[0:3], 0 offen
	ds_read_b64 v[47:48], v44
	v_add_u32_e32 v43, 1, v43
	v_cmp_lt_u32_e32 vcc, 14, v43
	v_add_u32_e32 v44, 8, v44
	v_add_u32_e32 v45, 8, v45
	s_or_b64 s[8:9], vcc, s[8:9]
	s_waitcnt vmcnt(1) lgkmcnt(0)
	v_mul_f32_e32 v51, v48, v49
	v_mul_f32_e32 v49, v47, v49
	s_waitcnt vmcnt(0)
	v_fma_f32 v47, v47, v50, -v51
	v_fmac_f32_e32 v49, v48, v50
	v_add_f32_e32 v46, v46, v47
	v_add_f32_e32 v40, v40, v49
	s_andn2_b64 exec, exec, s[8:9]
	s_cbranch_execnz .LBB82_77
; %bb.78:
	s_or_b64 exec, exec, s[8:9]
	v_mov_b32_e32 v43, 0
	ds_read_b64 v[43:44], v43 offset:128
	s_waitcnt lgkmcnt(0)
	v_mul_f32_e32 v45, v40, v44
	v_mul_f32_e32 v44, v46, v44
	v_fma_f32 v45, v46, v43, -v45
	v_fmac_f32_e32 v44, v40, v43
	buffer_store_dword v45, off, s[0:3], 0 offset:128
	buffer_store_dword v44, off, s[0:3], 0 offset:132
.LBB82_79:
	s_or_b64 exec, exec, s[4:5]
	; wave barrier
	buffer_load_dword v43, off, s[0:3], 0 offset:136
	buffer_load_dword v44, off, s[0:3], 0 offset:140
	v_cmp_gt_u32_e32 vcc, 17, v0
	s_waitcnt vmcnt(0)
	ds_write_b64 v42, v[43:44]
	s_waitcnt lgkmcnt(0)
	; wave barrier
	s_and_saveexec_b64 s[4:5], vcc
	s_cbranch_execz .LBB82_83
; %bb.80:
	v_add_u32_e32 v43, -1, v0
	v_add_u32_e32 v44, 0xa0, v41
	v_mov_b32_e32 v45, v41
	v_mov_b32_e32 v40, 0
	s_mov_b64 s[8:9], 0
	v_mov_b32_e32 v46, 0
.LBB82_81:                              ; =>This Inner Loop Header: Depth=1
	buffer_load_dword v49, v45, s[0:3], 0 offen offset:4
	buffer_load_dword v50, v45, s[0:3], 0 offen
	ds_read_b64 v[47:48], v44
	v_add_u32_e32 v43, 1, v43
	v_cmp_lt_u32_e32 vcc, 15, v43
	v_add_u32_e32 v44, 8, v44
	v_add_u32_e32 v45, 8, v45
	s_or_b64 s[8:9], vcc, s[8:9]
	s_waitcnt vmcnt(1) lgkmcnt(0)
	v_mul_f32_e32 v51, v48, v49
	v_mul_f32_e32 v49, v47, v49
	s_waitcnt vmcnt(0)
	v_fma_f32 v47, v47, v50, -v51
	v_fmac_f32_e32 v49, v48, v50
	v_add_f32_e32 v46, v46, v47
	v_add_f32_e32 v40, v40, v49
	s_andn2_b64 exec, exec, s[8:9]
	s_cbranch_execnz .LBB82_81
; %bb.82:
	s_or_b64 exec, exec, s[8:9]
	v_mov_b32_e32 v43, 0
	ds_read_b64 v[43:44], v43 offset:136
	s_waitcnt lgkmcnt(0)
	v_mul_f32_e32 v45, v40, v44
	v_mul_f32_e32 v44, v46, v44
	v_fma_f32 v45, v46, v43, -v45
	v_fmac_f32_e32 v44, v40, v43
	buffer_store_dword v45, off, s[0:3], 0 offset:136
	buffer_store_dword v44, off, s[0:3], 0 offset:140
.LBB82_83:
	s_or_b64 exec, exec, s[4:5]
	; wave barrier
	buffer_load_dword v43, off, s[0:3], 0 offset:144
	buffer_load_dword v44, off, s[0:3], 0 offset:148
	v_cmp_ne_u32_e32 vcc, 18, v0
	s_waitcnt vmcnt(0)
	ds_write_b64 v42, v[43:44]
	s_waitcnt lgkmcnt(0)
	; wave barrier
	s_and_saveexec_b64 s[4:5], vcc
	s_cbranch_execz .LBB82_87
; %bb.84:
	v_add_u32_e32 v42, 0xa0, v41
	v_mov_b32_e32 v40, 0
	s_mov_b64 s[8:9], 0
	v_mov_b32_e32 v43, 0
.LBB82_85:                              ; =>This Inner Loop Header: Depth=1
	buffer_load_dword v46, v41, s[0:3], 0 offen offset:4
	buffer_load_dword v47, v41, s[0:3], 0 offen
	ds_read_b64 v[44:45], v42
	v_add_u32_e32 v39, 1, v39
	v_cmp_lt_u32_e32 vcc, 16, v39
	v_add_u32_e32 v42, 8, v42
	v_add_u32_e32 v41, 8, v41
	s_or_b64 s[8:9], vcc, s[8:9]
	s_waitcnt vmcnt(1) lgkmcnt(0)
	v_mul_f32_e32 v48, v45, v46
	v_mul_f32_e32 v46, v44, v46
	s_waitcnt vmcnt(0)
	v_fma_f32 v44, v44, v47, -v48
	v_fmac_f32_e32 v46, v45, v47
	v_add_f32_e32 v43, v43, v44
	v_add_f32_e32 v40, v40, v46
	s_andn2_b64 exec, exec, s[8:9]
	s_cbranch_execnz .LBB82_85
; %bb.86:
	s_or_b64 exec, exec, s[8:9]
	v_mov_b32_e32 v39, 0
	ds_read_b64 v[41:42], v39 offset:144
	s_waitcnt lgkmcnt(0)
	v_mul_f32_e32 v39, v40, v42
	v_mul_f32_e32 v42, v43, v42
	v_fma_f32 v39, v43, v41, -v39
	v_fmac_f32_e32 v42, v40, v41
	buffer_store_dword v39, off, s[0:3], 0 offset:144
	buffer_store_dword v42, off, s[0:3], 0 offset:148
.LBB82_87:
	s_or_b64 exec, exec, s[4:5]
	s_mov_b64 s[8:9], -1
	; wave barrier
.LBB82_88:
	s_and_b64 vcc, exec, s[8:9]
	s_cbranch_vccz .LBB82_90
; %bb.89:
	s_lshl_b64 s[4:5], s[6:7], 2
	s_add_u32 s4, s10, s4
	s_addc_u32 s5, s11, s5
	v_mov_b32_e32 v39, 0
	global_load_dword v39, v39, s[4:5]
	s_waitcnt vmcnt(0)
	v_cmp_ne_u32_e32 vcc, 0, v39
	s_cbranch_vccz .LBB82_91
.LBB82_90:
	s_endpgm
.LBB82_91:
	v_mov_b32_e32 v39, 0xa0
	v_lshl_add_u32 v39, v0, 3, v39
	v_cmp_eq_u32_e32 vcc, 18, v0
	s_and_saveexec_b64 s[4:5], vcc
	s_cbranch_execz .LBB82_93
; %bb.92:
	buffer_load_dword v40, off, s[0:3], 0 offset:136
	buffer_load_dword v41, off, s[0:3], 0 offset:140
	v_mov_b32_e32 v42, 0
	buffer_store_dword v42, off, s[0:3], 0 offset:136
	buffer_store_dword v42, off, s[0:3], 0 offset:140
	s_waitcnt vmcnt(2)
	ds_write_b64 v39, v[40:41]
.LBB82_93:
	s_or_b64 exec, exec, s[4:5]
	s_waitcnt lgkmcnt(0)
	; wave barrier
	buffer_load_dword v43, off, s[0:3], 0 offset:148
	buffer_load_dword v44, off, s[0:3], 0 offset:144
	;; [unrolled: 1-line block ×4, first 2 shown]
	v_mov_b32_e32 v40, 0
	ds_read_b64 v[41:42], v40 offset:304
	v_cmp_lt_u32_e32 vcc, 16, v0
	s_waitcnt vmcnt(3) lgkmcnt(0)
	v_mul_f32_e32 v47, v41, v43
	v_mul_f32_e32 v43, v42, v43
	s_waitcnt vmcnt(2)
	v_fma_f32 v41, v41, v44, -v43
	v_fmac_f32_e32 v47, v42, v44
	v_add_f32_e32 v41, 0, v41
	v_add_f32_e32 v42, 0, v47
	s_waitcnt vmcnt(1)
	v_sub_f32_e32 v41, v45, v41
	s_waitcnt vmcnt(0)
	v_sub_f32_e32 v42, v46, v42
	buffer_store_dword v41, off, s[0:3], 0 offset:136
	buffer_store_dword v42, off, s[0:3], 0 offset:140
	s_and_saveexec_b64 s[4:5], vcc
	s_cbranch_execz .LBB82_95
; %bb.94:
	buffer_load_dword v41, off, s[0:3], 0 offset:128
	buffer_load_dword v42, off, s[0:3], 0 offset:132
	s_waitcnt vmcnt(0)
	ds_write_b64 v39, v[41:42]
	buffer_store_dword v40, off, s[0:3], 0 offset:128
	buffer_store_dword v40, off, s[0:3], 0 offset:132
.LBB82_95:
	s_or_b64 exec, exec, s[4:5]
	s_waitcnt lgkmcnt(0)
	; wave barrier
	buffer_load_dword v44, off, s[0:3], 0 offset:140
	buffer_load_dword v45, off, s[0:3], 0 offset:148
	;; [unrolled: 1-line block ×6, first 2 shown]
	ds_read2_b64 v[40:43], v40 offset0:37 offset1:38
	v_cmp_lt_u32_e32 vcc, 15, v0
	s_waitcnt vmcnt(5) lgkmcnt(0)
	v_mul_f32_e32 v50, v40, v44
	v_mul_f32_e32 v44, v41, v44
	s_waitcnt vmcnt(4)
	v_mul_f32_e32 v51, v42, v45
	v_mul_f32_e32 v45, v43, v45
	s_waitcnt vmcnt(3)
	v_fma_f32 v40, v40, v46, -v44
	v_fmac_f32_e32 v50, v41, v46
	s_waitcnt vmcnt(2)
	v_fma_f32 v41, v42, v47, -v45
	v_add_f32_e32 v40, 0, v40
	v_fmac_f32_e32 v51, v43, v47
	v_add_f32_e32 v42, 0, v50
	v_add_f32_e32 v40, v40, v41
	v_add_f32_e32 v42, v42, v51
	s_waitcnt vmcnt(1)
	v_sub_f32_e32 v40, v48, v40
	s_waitcnt vmcnt(0)
	v_sub_f32_e32 v41, v49, v42
	buffer_store_dword v40, off, s[0:3], 0 offset:128
	buffer_store_dword v41, off, s[0:3], 0 offset:132
	s_and_saveexec_b64 s[4:5], vcc
	s_cbranch_execz .LBB82_97
; %bb.96:
	buffer_load_dword v40, off, s[0:3], 0 offset:120
	buffer_load_dword v41, off, s[0:3], 0 offset:124
	v_mov_b32_e32 v42, 0
	buffer_store_dword v42, off, s[0:3], 0 offset:120
	buffer_store_dword v42, off, s[0:3], 0 offset:124
	s_waitcnt vmcnt(2)
	ds_write_b64 v39, v[40:41]
.LBB82_97:
	s_or_b64 exec, exec, s[4:5]
	s_waitcnt lgkmcnt(0)
	; wave barrier
	buffer_load_dword v47, off, s[0:3], 0 offset:132
	buffer_load_dword v48, off, s[0:3], 0 offset:140
	;; [unrolled: 1-line block ×8, first 2 shown]
	v_mov_b32_e32 v40, 0
	ds_read_b128 v[41:44], v40 offset:288
	ds_read_b64 v[45:46], v40 offset:304
	v_cmp_lt_u32_e32 vcc, 14, v0
	s_waitcnt vmcnt(7) lgkmcnt(1)
	v_mul_f32_e32 v55, v41, v47
	v_mul_f32_e32 v47, v42, v47
	s_waitcnt vmcnt(6)
	v_mul_f32_e32 v56, v43, v48
	v_mul_f32_e32 v48, v44, v48
	s_waitcnt vmcnt(4)
	v_fma_f32 v41, v41, v50, -v47
	s_waitcnt lgkmcnt(0)
	v_mul_f32_e32 v57, v45, v49
	v_mul_f32_e32 v49, v46, v49
	v_fmac_f32_e32 v55, v42, v50
	s_waitcnt vmcnt(3)
	v_fma_f32 v42, v43, v51, -v48
	v_add_f32_e32 v41, 0, v41
	v_fmac_f32_e32 v56, v44, v51
	s_waitcnt vmcnt(2)
	v_fma_f32 v43, v45, v52, -v49
	v_add_f32_e32 v44, 0, v55
	v_add_f32_e32 v41, v41, v42
	v_fmac_f32_e32 v57, v46, v52
	v_add_f32_e32 v44, v44, v56
	v_add_f32_e32 v41, v41, v43
	;; [unrolled: 1-line block ×3, first 2 shown]
	s_waitcnt vmcnt(1)
	v_sub_f32_e32 v41, v53, v41
	s_waitcnt vmcnt(0)
	v_sub_f32_e32 v42, v54, v42
	buffer_store_dword v41, off, s[0:3], 0 offset:120
	buffer_store_dword v42, off, s[0:3], 0 offset:124
	s_and_saveexec_b64 s[4:5], vcc
	s_cbranch_execz .LBB82_99
; %bb.98:
	buffer_load_dword v41, off, s[0:3], 0 offset:112
	buffer_load_dword v42, off, s[0:3], 0 offset:116
	s_waitcnt vmcnt(0)
	ds_write_b64 v39, v[41:42]
	buffer_store_dword v40, off, s[0:3], 0 offset:112
	buffer_store_dword v40, off, s[0:3], 0 offset:116
.LBB82_99:
	s_or_b64 exec, exec, s[4:5]
	s_waitcnt lgkmcnt(0)
	; wave barrier
	buffer_load_dword v49, off, s[0:3], 0 offset:124
	buffer_load_dword v50, off, s[0:3], 0 offset:132
	;; [unrolled: 1-line block ×10, first 2 shown]
	ds_read2_b64 v[41:44], v40 offset0:35 offset1:36
	ds_read2_b64 v[45:48], v40 offset0:37 offset1:38
	v_cmp_lt_u32_e32 vcc, 13, v0
	s_waitcnt vmcnt(9) lgkmcnt(1)
	v_mul_f32_e32 v40, v41, v49
	v_mul_f32_e32 v49, v42, v49
	s_waitcnt vmcnt(8)
	v_mul_f32_e32 v59, v43, v50
	v_mul_f32_e32 v50, v44, v50
	s_waitcnt vmcnt(5)
	v_fma_f32 v41, v41, v53, -v49
	s_waitcnt lgkmcnt(0)
	v_mul_f32_e32 v60, v45, v51
	v_mul_f32_e32 v51, v46, v51
	v_fmac_f32_e32 v40, v42, v53
	s_waitcnt vmcnt(4)
	v_fma_f32 v42, v43, v54, -v50
	v_add_f32_e32 v41, 0, v41
	v_mul_f32_e32 v61, v47, v52
	v_mul_f32_e32 v52, v48, v52
	v_fmac_f32_e32 v59, v44, v54
	s_waitcnt vmcnt(3)
	v_fma_f32 v43, v45, v55, -v51
	v_add_f32_e32 v40, 0, v40
	v_add_f32_e32 v41, v41, v42
	v_fmac_f32_e32 v60, v46, v55
	s_waitcnt vmcnt(2)
	v_fma_f32 v44, v47, v56, -v52
	v_add_f32_e32 v40, v40, v59
	v_add_f32_e32 v41, v41, v43
	v_fmac_f32_e32 v61, v48, v56
	v_add_f32_e32 v40, v40, v60
	v_add_f32_e32 v41, v41, v44
	;; [unrolled: 1-line block ×3, first 2 shown]
	s_waitcnt vmcnt(1)
	v_sub_f32_e32 v41, v57, v41
	s_waitcnt vmcnt(0)
	v_sub_f32_e32 v40, v58, v40
	buffer_store_dword v41, off, s[0:3], 0 offset:112
	buffer_store_dword v40, off, s[0:3], 0 offset:116
	s_and_saveexec_b64 s[4:5], vcc
	s_cbranch_execz .LBB82_101
; %bb.100:
	buffer_load_dword v40, off, s[0:3], 0 offset:104
	buffer_load_dword v41, off, s[0:3], 0 offset:108
	v_mov_b32_e32 v42, 0
	buffer_store_dword v42, off, s[0:3], 0 offset:104
	buffer_store_dword v42, off, s[0:3], 0 offset:108
	s_waitcnt vmcnt(2)
	ds_write_b64 v39, v[40:41]
.LBB82_101:
	s_or_b64 exec, exec, s[4:5]
	s_waitcnt lgkmcnt(0)
	; wave barrier
	buffer_load_dword v51, off, s[0:3], 0 offset:116
	buffer_load_dword v52, off, s[0:3], 0 offset:124
	buffer_load_dword v53, off, s[0:3], 0 offset:132
	buffer_load_dword v54, off, s[0:3], 0 offset:140
	buffer_load_dword v55, off, s[0:3], 0 offset:148
	buffer_load_dword v56, off, s[0:3], 0 offset:112
	buffer_load_dword v57, off, s[0:3], 0 offset:120
	buffer_load_dword v58, off, s[0:3], 0 offset:128
	buffer_load_dword v59, off, s[0:3], 0 offset:136
	buffer_load_dword v60, off, s[0:3], 0 offset:144
	buffer_load_dword v61, off, s[0:3], 0 offset:104
	buffer_load_dword v62, off, s[0:3], 0 offset:108
	v_mov_b32_e32 v40, 0
	ds_read_b128 v[41:44], v40 offset:272
	ds_read_b128 v[45:48], v40 offset:288
	ds_read_b64 v[49:50], v40 offset:304
	v_cmp_lt_u32_e32 vcc, 12, v0
	s_waitcnt vmcnt(11) lgkmcnt(2)
	v_mul_f32_e32 v63, v41, v51
	v_mul_f32_e32 v51, v42, v51
	s_waitcnt vmcnt(10)
	v_mul_f32_e32 v64, v43, v52
	v_mul_f32_e32 v52, v44, v52
	s_waitcnt vmcnt(9) lgkmcnt(1)
	v_mul_f32_e32 v65, v45, v53
	s_waitcnt vmcnt(6)
	v_fma_f32 v41, v41, v56, -v51
	v_mul_f32_e32 v53, v46, v53
	v_fmac_f32_e32 v63, v42, v56
	s_waitcnt vmcnt(5)
	v_fma_f32 v42, v43, v57, -v52
	v_add_f32_e32 v41, 0, v41
	v_mul_f32_e32 v66, v47, v54
	v_mul_f32_e32 v54, v48, v54
	v_fmac_f32_e32 v64, v44, v57
	s_waitcnt vmcnt(4)
	v_fmac_f32_e32 v65, v46, v58
	v_fma_f32 v43, v45, v58, -v53
	v_add_f32_e32 v46, 0, v63
	v_add_f32_e32 v41, v41, v42
	s_waitcnt lgkmcnt(0)
	v_mul_f32_e32 v67, v49, v55
	v_mul_f32_e32 v55, v50, v55
	s_waitcnt vmcnt(3)
	v_fma_f32 v44, v47, v59, -v54
	v_add_f32_e32 v46, v46, v64
	v_add_f32_e32 v41, v41, v43
	v_fmac_f32_e32 v66, v48, v59
	s_waitcnt vmcnt(2)
	v_fma_f32 v45, v49, v60, -v55
	v_add_f32_e32 v42, v46, v65
	v_add_f32_e32 v41, v41, v44
	v_fmac_f32_e32 v67, v50, v60
	v_add_f32_e32 v42, v42, v66
	v_add_f32_e32 v41, v41, v45
	v_add_f32_e32 v42, v42, v67
	s_waitcnt vmcnt(1)
	v_sub_f32_e32 v41, v61, v41
	s_waitcnt vmcnt(0)
	v_sub_f32_e32 v42, v62, v42
	buffer_store_dword v41, off, s[0:3], 0 offset:104
	buffer_store_dword v42, off, s[0:3], 0 offset:108
	s_and_saveexec_b64 s[4:5], vcc
	s_cbranch_execz .LBB82_103
; %bb.102:
	buffer_load_dword v41, off, s[0:3], 0 offset:96
	buffer_load_dword v42, off, s[0:3], 0 offset:100
	s_waitcnt vmcnt(0)
	ds_write_b64 v39, v[41:42]
	buffer_store_dword v40, off, s[0:3], 0 offset:96
	buffer_store_dword v40, off, s[0:3], 0 offset:100
.LBB82_103:
	s_or_b64 exec, exec, s[4:5]
	s_waitcnt lgkmcnt(0)
	; wave barrier
	buffer_load_dword v53, off, s[0:3], 0 offset:108
	buffer_load_dword v54, off, s[0:3], 0 offset:116
	;; [unrolled: 1-line block ×14, first 2 shown]
	ds_read2_b64 v[41:44], v40 offset0:33 offset1:34
	ds_read2_b64 v[45:48], v40 offset0:35 offset1:36
	;; [unrolled: 1-line block ×3, first 2 shown]
	v_cmp_lt_u32_e32 vcc, 11, v0
	s_waitcnt vmcnt(13) lgkmcnt(2)
	v_mul_f32_e32 v40, v41, v53
	v_mul_f32_e32 v53, v42, v53
	s_waitcnt vmcnt(12)
	v_mul_f32_e32 v67, v43, v54
	v_mul_f32_e32 v54, v44, v54
	s_waitcnt vmcnt(11) lgkmcnt(1)
	v_mul_f32_e32 v68, v45, v55
	v_mul_f32_e32 v55, v46, v55
	s_waitcnt vmcnt(7)
	v_fma_f32 v41, v41, v59, -v53
	v_fmac_f32_e32 v40, v42, v59
	s_waitcnt vmcnt(6)
	v_fma_f32 v42, v43, v60, -v54
	v_add_f32_e32 v41, 0, v41
	v_mul_f32_e32 v69, v47, v56
	v_mul_f32_e32 v56, v48, v56
	v_fmac_f32_e32 v67, v44, v60
	s_waitcnt vmcnt(5)
	v_fma_f32 v43, v45, v61, -v55
	v_add_f32_e32 v40, 0, v40
	v_add_f32_e32 v41, v41, v42
	s_waitcnt lgkmcnt(0)
	v_mul_f32_e32 v70, v49, v57
	v_mul_f32_e32 v57, v50, v57
	v_fmac_f32_e32 v68, v46, v61
	s_waitcnt vmcnt(4)
	v_fma_f32 v44, v47, v62, -v56
	v_add_f32_e32 v40, v40, v67
	v_add_f32_e32 v41, v41, v43
	v_mul_f32_e32 v71, v51, v58
	v_mul_f32_e32 v58, v52, v58
	v_fmac_f32_e32 v69, v48, v62
	s_waitcnt vmcnt(3)
	v_fma_f32 v45, v49, v63, -v57
	v_add_f32_e32 v40, v40, v68
	v_add_f32_e32 v41, v41, v44
	v_fmac_f32_e32 v70, v50, v63
	s_waitcnt vmcnt(2)
	v_fma_f32 v46, v51, v64, -v58
	v_add_f32_e32 v40, v40, v69
	v_add_f32_e32 v41, v41, v45
	v_fmac_f32_e32 v71, v52, v64
	v_add_f32_e32 v40, v40, v70
	v_add_f32_e32 v41, v41, v46
	;; [unrolled: 1-line block ×3, first 2 shown]
	s_waitcnt vmcnt(1)
	v_sub_f32_e32 v41, v65, v41
	s_waitcnt vmcnt(0)
	v_sub_f32_e32 v40, v66, v40
	buffer_store_dword v41, off, s[0:3], 0 offset:96
	buffer_store_dword v40, off, s[0:3], 0 offset:100
	s_and_saveexec_b64 s[4:5], vcc
	s_cbranch_execz .LBB82_105
; %bb.104:
	buffer_load_dword v40, off, s[0:3], 0 offset:88
	buffer_load_dword v41, off, s[0:3], 0 offset:92
	v_mov_b32_e32 v42, 0
	buffer_store_dword v42, off, s[0:3], 0 offset:88
	buffer_store_dword v42, off, s[0:3], 0 offset:92
	s_waitcnt vmcnt(2)
	ds_write_b64 v39, v[40:41]
.LBB82_105:
	s_or_b64 exec, exec, s[4:5]
	s_waitcnt lgkmcnt(0)
	; wave barrier
	buffer_load_dword v55, off, s[0:3], 0 offset:100
	buffer_load_dword v56, off, s[0:3], 0 offset:108
	;; [unrolled: 1-line block ×16, first 2 shown]
	v_mov_b32_e32 v40, 0
	ds_read_b128 v[41:44], v40 offset:256
	ds_read_b128 v[45:48], v40 offset:272
	ds_read_b128 v[49:52], v40 offset:288
	ds_read_b64 v[53:54], v40 offset:304
	v_cmp_lt_u32_e32 vcc, 10, v0
	s_waitcnt vmcnt(15) lgkmcnt(3)
	v_mul_f32_e32 v71, v41, v55
	v_mul_f32_e32 v55, v42, v55
	s_waitcnt vmcnt(14)
	v_mul_f32_e32 v72, v43, v56
	v_mul_f32_e32 v56, v44, v56
	s_waitcnt vmcnt(13) lgkmcnt(2)
	v_mul_f32_e32 v73, v45, v57
	s_waitcnt vmcnt(12)
	v_mul_f32_e32 v74, v47, v58
	v_mul_f32_e32 v57, v46, v57
	s_waitcnt vmcnt(8)
	v_fma_f32 v41, v41, v62, -v55
	v_fmac_f32_e32 v71, v42, v62
	s_waitcnt vmcnt(7)
	v_fma_f32 v42, v43, v63, -v56
	v_add_f32_e32 v41, 0, v41
	v_mul_f32_e32 v58, v48, v58
	v_fmac_f32_e32 v72, v44, v63
	s_waitcnt vmcnt(5)
	v_fmac_f32_e32 v74, v48, v65
	v_fma_f32 v43, v45, v64, -v57
	v_add_f32_e32 v48, 0, v71
	v_add_f32_e32 v41, v41, v42
	s_waitcnt lgkmcnt(1)
	v_mul_f32_e32 v75, v49, v59
	v_mul_f32_e32 v59, v50, v59
	v_fmac_f32_e32 v73, v46, v64
	v_fma_f32 v44, v47, v65, -v58
	v_add_f32_e32 v48, v48, v72
	v_add_f32_e32 v41, v41, v43
	v_mul_f32_e32 v76, v51, v60
	v_mul_f32_e32 v60, v52, v60
	s_waitcnt vmcnt(4)
	v_fma_f32 v45, v49, v66, -v59
	v_add_f32_e32 v42, v48, v73
	v_add_f32_e32 v41, v41, v44
	s_waitcnt lgkmcnt(0)
	v_mul_f32_e32 v77, v53, v61
	v_mul_f32_e32 v61, v54, v61
	v_fmac_f32_e32 v75, v50, v66
	s_waitcnt vmcnt(3)
	v_fma_f32 v46, v51, v67, -v60
	v_add_f32_e32 v42, v42, v74
	v_add_f32_e32 v41, v41, v45
	v_fmac_f32_e32 v76, v52, v67
	s_waitcnt vmcnt(2)
	v_fma_f32 v47, v53, v68, -v61
	v_add_f32_e32 v42, v42, v75
	v_add_f32_e32 v41, v41, v46
	v_fmac_f32_e32 v77, v54, v68
	v_add_f32_e32 v42, v42, v76
	v_add_f32_e32 v41, v41, v47
	;; [unrolled: 1-line block ×3, first 2 shown]
	s_waitcnt vmcnt(1)
	v_sub_f32_e32 v41, v69, v41
	s_waitcnt vmcnt(0)
	v_sub_f32_e32 v42, v70, v42
	buffer_store_dword v41, off, s[0:3], 0 offset:88
	buffer_store_dword v42, off, s[0:3], 0 offset:92
	s_and_saveexec_b64 s[4:5], vcc
	s_cbranch_execz .LBB82_107
; %bb.106:
	buffer_load_dword v41, off, s[0:3], 0 offset:80
	buffer_load_dword v42, off, s[0:3], 0 offset:84
	s_waitcnt vmcnt(0)
	ds_write_b64 v39, v[41:42]
	buffer_store_dword v40, off, s[0:3], 0 offset:80
	buffer_store_dword v40, off, s[0:3], 0 offset:84
.LBB82_107:
	s_or_b64 exec, exec, s[4:5]
	s_waitcnt lgkmcnt(0)
	; wave barrier
	buffer_load_dword v57, off, s[0:3], 0 offset:92
	buffer_load_dword v58, off, s[0:3], 0 offset:100
	;; [unrolled: 1-line block ×18, first 2 shown]
	ds_read2_b64 v[41:44], v40 offset0:31 offset1:32
	ds_read2_b64 v[45:48], v40 offset0:33 offset1:34
	;; [unrolled: 1-line block ×4, first 2 shown]
	v_cmp_lt_u32_e32 vcc, 9, v0
	s_waitcnt vmcnt(17) lgkmcnt(3)
	v_mul_f32_e32 v40, v41, v57
	v_mul_f32_e32 v57, v42, v57
	s_waitcnt vmcnt(16)
	v_mul_f32_e32 v75, v43, v58
	v_mul_f32_e32 v58, v44, v58
	s_waitcnt vmcnt(15) lgkmcnt(2)
	v_mul_f32_e32 v76, v45, v59
	v_mul_f32_e32 v59, v46, v59
	s_waitcnt vmcnt(14)
	v_mul_f32_e32 v77, v47, v60
	v_mul_f32_e32 v60, v48, v60
	s_waitcnt vmcnt(9)
	v_fma_f32 v41, v41, v65, -v57
	v_fmac_f32_e32 v40, v42, v65
	s_waitcnt vmcnt(8)
	v_fma_f32 v42, v43, v66, -v58
	v_add_f32_e32 v41, 0, v41
	v_fmac_f32_e32 v75, v44, v66
	s_waitcnt vmcnt(7)
	v_fma_f32 v43, v45, v67, -v59
	v_add_f32_e32 v40, 0, v40
	v_add_f32_e32 v41, v41, v42
	s_waitcnt lgkmcnt(1)
	v_mul_f32_e32 v78, v49, v61
	v_mul_f32_e32 v61, v50, v61
	v_fmac_f32_e32 v76, v46, v67
	s_waitcnt vmcnt(6)
	v_fma_f32 v44, v47, v68, -v60
	v_add_f32_e32 v40, v40, v75
	v_add_f32_e32 v41, v41, v43
	v_mul_f32_e32 v79, v51, v62
	v_mul_f32_e32 v62, v52, v62
	v_fmac_f32_e32 v77, v48, v68
	s_waitcnt vmcnt(5)
	v_fma_f32 v45, v49, v69, -v61
	v_add_f32_e32 v40, v40, v76
	v_add_f32_e32 v41, v41, v44
	s_waitcnt lgkmcnt(0)
	v_mul_f32_e32 v80, v53, v63
	v_mul_f32_e32 v63, v54, v63
	v_fmac_f32_e32 v78, v50, v69
	s_waitcnt vmcnt(4)
	v_fma_f32 v46, v51, v70, -v62
	v_add_f32_e32 v40, v40, v77
	v_add_f32_e32 v41, v41, v45
	v_mul_f32_e32 v81, v55, v64
	v_mul_f32_e32 v64, v56, v64
	v_fmac_f32_e32 v79, v52, v70
	s_waitcnt vmcnt(3)
	v_fma_f32 v47, v53, v71, -v63
	v_add_f32_e32 v40, v40, v78
	v_add_f32_e32 v41, v41, v46
	v_fmac_f32_e32 v80, v54, v71
	s_waitcnt vmcnt(2)
	v_fma_f32 v48, v55, v72, -v64
	v_add_f32_e32 v40, v40, v79
	v_add_f32_e32 v41, v41, v47
	v_fmac_f32_e32 v81, v56, v72
	v_add_f32_e32 v40, v40, v80
	v_add_f32_e32 v41, v41, v48
	;; [unrolled: 1-line block ×3, first 2 shown]
	s_waitcnt vmcnt(1)
	v_sub_f32_e32 v41, v73, v41
	s_waitcnt vmcnt(0)
	v_sub_f32_e32 v40, v74, v40
	buffer_store_dword v41, off, s[0:3], 0 offset:80
	buffer_store_dword v40, off, s[0:3], 0 offset:84
	s_and_saveexec_b64 s[4:5], vcc
	s_cbranch_execz .LBB82_109
; %bb.108:
	buffer_load_dword v40, off, s[0:3], 0 offset:72
	buffer_load_dword v41, off, s[0:3], 0 offset:76
	v_mov_b32_e32 v42, 0
	buffer_store_dword v42, off, s[0:3], 0 offset:72
	buffer_store_dword v42, off, s[0:3], 0 offset:76
	s_waitcnt vmcnt(2)
	ds_write_b64 v39, v[40:41]
.LBB82_109:
	s_or_b64 exec, exec, s[4:5]
	v_mov_b32_e32 v40, 0
	s_waitcnt lgkmcnt(0)
	; wave barrier
	ds_read_b128 v[41:44], v40 offset:240
	ds_read_b128 v[45:48], v40 offset:256
	;; [unrolled: 1-line block ×4, first 2 shown]
	buffer_load_dword v59, off, s[0:3], 0 offset:72
	buffer_load_dword v60, off, s[0:3], 0 offset:76
	;; [unrolled: 1-line block ×18, first 2 shown]
	v_cmp_lt_u32_e32 vcc, 8, v0
	s_waitcnt vmcnt(14) lgkmcnt(3)
	v_mul_f32_e32 v57, v41, v62
	v_fmac_f32_e32 v57, v42, v61
	s_waitcnt vmcnt(12)
	v_mul_f32_e32 v58, v43, v64
	v_add_f32_e32 v57, 0, v57
	v_fmac_f32_e32 v58, v44, v63
	v_add_f32_e32 v57, v57, v58
	s_waitcnt vmcnt(10) lgkmcnt(2)
	v_mul_f32_e32 v58, v45, v66
	v_fmac_f32_e32 v58, v46, v65
	v_add_f32_e32 v57, v57, v58
	s_waitcnt vmcnt(8)
	v_mul_f32_e32 v58, v47, v68
	v_fmac_f32_e32 v58, v48, v67
	v_add_f32_e32 v57, v57, v58
	s_waitcnt vmcnt(6) lgkmcnt(1)
	v_mul_f32_e32 v58, v49, v70
	v_fmac_f32_e32 v58, v50, v69
	v_add_f32_e32 v57, v57, v58
	s_waitcnt vmcnt(4)
	v_mul_f32_e32 v58, v51, v72
	;; [unrolled: 8-line block ×3, first 2 shown]
	v_fmac_f32_e32 v58, v56, v75
	v_add_f32_e32 v77, v57, v58
	ds_read_b64 v[57:58], v40 offset:304
	buffer_load_dword v78, off, s[0:3], 0 offset:144
	buffer_load_dword v79, off, s[0:3], 0 offset:148
	v_mul_f32_e32 v42, v42, v62
	v_fma_f32 v41, v41, v61, -v42
	v_mul_f32_e32 v42, v44, v64
	v_add_f32_e32 v41, 0, v41
	v_fma_f32 v42, v43, v63, -v42
	v_add_f32_e32 v41, v41, v42
	v_mul_f32_e32 v42, v46, v66
	v_fma_f32 v42, v45, v65, -v42
	v_add_f32_e32 v41, v41, v42
	v_mul_f32_e32 v42, v48, v68
	v_fma_f32 v42, v47, v67, -v42
	v_add_f32_e32 v41, v41, v42
	v_mul_f32_e32 v42, v50, v70
	v_fma_f32 v42, v49, v69, -v42
	v_add_f32_e32 v41, v41, v42
	v_mul_f32_e32 v42, v52, v72
	v_fma_f32 v42, v51, v71, -v42
	v_add_f32_e32 v41, v41, v42
	v_mul_f32_e32 v42, v54, v74
	v_fma_f32 v42, v53, v73, -v42
	v_add_f32_e32 v41, v41, v42
	v_mul_f32_e32 v42, v56, v76
	v_fma_f32 v42, v55, v75, -v42
	v_add_f32_e32 v41, v41, v42
	s_waitcnt vmcnt(0) lgkmcnt(0)
	v_mul_f32_e32 v42, v58, v79
	v_mul_f32_e32 v80, v57, v79
	v_fma_f32 v42, v57, v78, -v42
	v_fmac_f32_e32 v80, v58, v78
	v_add_f32_e32 v41, v41, v42
	v_add_f32_e32 v77, v77, v80
	v_sub_f32_e32 v41, v59, v41
	v_sub_f32_e32 v42, v60, v77
	buffer_store_dword v41, off, s[0:3], 0 offset:72
	buffer_store_dword v42, off, s[0:3], 0 offset:76
	s_and_saveexec_b64 s[4:5], vcc
	s_cbranch_execz .LBB82_111
; %bb.110:
	buffer_load_dword v41, off, s[0:3], 0 offset:64
	buffer_load_dword v42, off, s[0:3], 0 offset:68
	s_waitcnt vmcnt(0)
	ds_write_b64 v39, v[41:42]
	buffer_store_dword v40, off, s[0:3], 0 offset:64
	buffer_store_dword v40, off, s[0:3], 0 offset:68
.LBB82_111:
	s_or_b64 exec, exec, s[4:5]
	s_waitcnt lgkmcnt(0)
	; wave barrier
	buffer_load_dword v61, off, s[0:3], 0 offset:76
	buffer_load_dword v62, off, s[0:3], 0 offset:84
	;; [unrolled: 1-line block ×22, first 2 shown]
	ds_read2_b64 v[41:44], v40 offset0:29 offset1:30
	ds_read2_b64 v[45:48], v40 offset0:31 offset1:32
	ds_read2_b64 v[49:52], v40 offset0:33 offset1:34
	ds_read2_b64 v[53:56], v40 offset0:35 offset1:36
	ds_read2_b64 v[57:60], v40 offset0:37 offset1:38
	v_cmp_lt_u32_e32 vcc, 7, v0
	s_waitcnt vmcnt(21) lgkmcnt(4)
	v_mul_f32_e32 v40, v41, v61
	v_mul_f32_e32 v61, v42, v61
	s_waitcnt vmcnt(20)
	v_mul_f32_e32 v83, v43, v62
	v_mul_f32_e32 v62, v44, v62
	s_waitcnt vmcnt(19) lgkmcnt(3)
	v_mul_f32_e32 v84, v45, v63
	v_mul_f32_e32 v63, v46, v63
	s_waitcnt vmcnt(18)
	v_mul_f32_e32 v85, v47, v64
	v_mul_f32_e32 v64, v48, v64
	s_waitcnt vmcnt(17) lgkmcnt(2)
	v_mul_f32_e32 v86, v49, v65
	v_mul_f32_e32 v65, v50, v65
	s_waitcnt vmcnt(11)
	v_fma_f32 v41, v41, v71, -v61
	v_fmac_f32_e32 v40, v42, v71
	s_waitcnt vmcnt(10)
	v_fma_f32 v42, v43, v72, -v62
	v_add_f32_e32 v41, 0, v41
	v_fmac_f32_e32 v83, v44, v72
	s_waitcnt vmcnt(9)
	v_fma_f32 v43, v45, v73, -v63
	v_add_f32_e32 v40, 0, v40
	v_add_f32_e32 v41, v41, v42
	v_fmac_f32_e32 v84, v46, v73
	s_waitcnt vmcnt(8)
	v_fma_f32 v44, v47, v74, -v64
	v_add_f32_e32 v40, v40, v83
	v_add_f32_e32 v41, v41, v43
	v_mul_f32_e32 v87, v51, v66
	v_mul_f32_e32 v66, v52, v66
	v_fmac_f32_e32 v85, v48, v74
	s_waitcnt vmcnt(7)
	v_fma_f32 v45, v49, v75, -v65
	v_add_f32_e32 v40, v40, v84
	v_add_f32_e32 v41, v41, v44
	s_waitcnt lgkmcnt(1)
	v_mul_f32_e32 v88, v53, v67
	v_mul_f32_e32 v67, v54, v67
	v_fmac_f32_e32 v86, v50, v75
	s_waitcnt vmcnt(6)
	v_fma_f32 v46, v51, v76, -v66
	v_add_f32_e32 v40, v40, v85
	v_add_f32_e32 v41, v41, v45
	v_mul_f32_e32 v89, v55, v68
	v_mul_f32_e32 v68, v56, v68
	v_fmac_f32_e32 v87, v52, v76
	s_waitcnt vmcnt(5)
	v_fma_f32 v47, v53, v77, -v67
	v_add_f32_e32 v40, v40, v86
	v_add_f32_e32 v41, v41, v46
	s_waitcnt lgkmcnt(0)
	v_mul_f32_e32 v90, v57, v69
	v_mul_f32_e32 v69, v58, v69
	v_fmac_f32_e32 v88, v54, v77
	s_waitcnt vmcnt(4)
	v_fma_f32 v48, v55, v78, -v68
	v_add_f32_e32 v40, v40, v87
	v_add_f32_e32 v41, v41, v47
	v_mul_f32_e32 v91, v59, v70
	v_mul_f32_e32 v70, v60, v70
	v_fmac_f32_e32 v89, v56, v78
	s_waitcnt vmcnt(3)
	v_fma_f32 v49, v57, v79, -v69
	v_add_f32_e32 v40, v40, v88
	v_add_f32_e32 v41, v41, v48
	v_fmac_f32_e32 v90, v58, v79
	s_waitcnt vmcnt(2)
	v_fma_f32 v50, v59, v80, -v70
	v_add_f32_e32 v40, v40, v89
	v_add_f32_e32 v41, v41, v49
	v_fmac_f32_e32 v91, v60, v80
	v_add_f32_e32 v40, v40, v90
	v_add_f32_e32 v41, v41, v50
	;; [unrolled: 1-line block ×3, first 2 shown]
	s_waitcnt vmcnt(1)
	v_sub_f32_e32 v41, v81, v41
	s_waitcnt vmcnt(0)
	v_sub_f32_e32 v40, v82, v40
	buffer_store_dword v41, off, s[0:3], 0 offset:64
	buffer_store_dword v40, off, s[0:3], 0 offset:68
	s_and_saveexec_b64 s[4:5], vcc
	s_cbranch_execz .LBB82_113
; %bb.112:
	buffer_load_dword v40, off, s[0:3], 0 offset:56
	buffer_load_dword v41, off, s[0:3], 0 offset:60
	v_mov_b32_e32 v42, 0
	buffer_store_dword v42, off, s[0:3], 0 offset:56
	buffer_store_dword v42, off, s[0:3], 0 offset:60
	s_waitcnt vmcnt(2)
	ds_write_b64 v39, v[40:41]
.LBB82_113:
	s_or_b64 exec, exec, s[4:5]
	s_waitcnt lgkmcnt(0)
	; wave barrier
	buffer_load_dword v63, off, s[0:3], 0 offset:68
	buffer_load_dword v64, off, s[0:3], 0 offset:76
	buffer_load_dword v65, off, s[0:3], 0 offset:84
	buffer_load_dword v66, off, s[0:3], 0 offset:92
	buffer_load_dword v67, off, s[0:3], 0 offset:100
	buffer_load_dword v68, off, s[0:3], 0 offset:108
	buffer_load_dword v69, off, s[0:3], 0 offset:116
	buffer_load_dword v70, off, s[0:3], 0 offset:124
	buffer_load_dword v71, off, s[0:3], 0 offset:132
	buffer_load_dword v72, off, s[0:3], 0 offset:140
	buffer_load_dword v73, off, s[0:3], 0 offset:148
	buffer_load_dword v74, off, s[0:3], 0 offset:64
	buffer_load_dword v75, off, s[0:3], 0 offset:72
	buffer_load_dword v76, off, s[0:3], 0 offset:80
	buffer_load_dword v77, off, s[0:3], 0 offset:88
	buffer_load_dword v78, off, s[0:3], 0 offset:96
	buffer_load_dword v79, off, s[0:3], 0 offset:104
	buffer_load_dword v80, off, s[0:3], 0 offset:112
	buffer_load_dword v81, off, s[0:3], 0 offset:120
	buffer_load_dword v82, off, s[0:3], 0 offset:128
	buffer_load_dword v83, off, s[0:3], 0 offset:136
	buffer_load_dword v84, off, s[0:3], 0 offset:144
	buffer_load_dword v85, off, s[0:3], 0 offset:56
	buffer_load_dword v86, off, s[0:3], 0 offset:60
	v_mov_b32_e32 v40, 0
	ds_read_b128 v[41:44], v40 offset:224
	ds_read_b128 v[45:48], v40 offset:240
	;; [unrolled: 1-line block ×5, first 2 shown]
	ds_read_b64 v[61:62], v40 offset:304
	v_cmp_lt_u32_e32 vcc, 6, v0
	s_waitcnt vmcnt(23) lgkmcnt(5)
	v_mul_f32_e32 v87, v41, v63
	v_mul_f32_e32 v63, v42, v63
	s_waitcnt vmcnt(22)
	v_mul_f32_e32 v88, v43, v64
	v_mul_f32_e32 v64, v44, v64
	s_waitcnt vmcnt(21) lgkmcnt(4)
	v_mul_f32_e32 v89, v45, v65
	v_mul_f32_e32 v65, v46, v65
	s_waitcnt vmcnt(20)
	v_mul_f32_e32 v90, v47, v66
	s_waitcnt vmcnt(19) lgkmcnt(3)
	v_mul_f32_e32 v91, v49, v67
	v_mul_f32_e32 v66, v48, v66
	;; [unrolled: 1-line block ×3, first 2 shown]
	s_waitcnt vmcnt(18)
	v_mul_f32_e32 v92, v51, v68
	s_waitcnt vmcnt(12)
	v_fma_f32 v41, v41, v74, -v63
	v_fmac_f32_e32 v87, v42, v74
	s_waitcnt vmcnt(11)
	v_fma_f32 v42, v43, v75, -v64
	v_add_f32_e32 v41, 0, v41
	s_waitcnt vmcnt(10)
	v_fma_f32 v43, v45, v76, -v65
	v_add_f32_e32 v41, v41, v42
	v_fmac_f32_e32 v88, v44, v75
	s_waitcnt vmcnt(8)
	v_fmac_f32_e32 v91, v50, v78
	v_fma_f32 v44, v47, v77, -v66
	v_add_f32_e32 v50, 0, v87
	v_add_f32_e32 v41, v41, v43
	v_mul_f32_e32 v68, v52, v68
	v_fmac_f32_e32 v89, v46, v76
	v_fma_f32 v45, v49, v78, -v67
	v_add_f32_e32 v50, v50, v88
	v_add_f32_e32 v41, v41, v44
	s_waitcnt lgkmcnt(2)
	v_mul_f32_e32 v93, v53, v69
	v_mul_f32_e32 v69, v54, v69
	v_fmac_f32_e32 v90, v48, v77
	s_waitcnt vmcnt(7)
	v_fma_f32 v46, v51, v79, -v68
	v_add_f32_e32 v42, v50, v89
	v_add_f32_e32 v41, v41, v45
	v_mul_f32_e32 v94, v55, v70
	v_mul_f32_e32 v70, v56, v70
	s_waitcnt vmcnt(6)
	v_fma_f32 v47, v53, v80, -v69
	v_add_f32_e32 v42, v42, v90
	v_add_f32_e32 v41, v41, v46
	s_waitcnt lgkmcnt(1)
	v_mul_f32_e32 v95, v57, v71
	v_mul_f32_e32 v71, v58, v71
	v_fmac_f32_e32 v92, v52, v79
	s_waitcnt vmcnt(5)
	v_fma_f32 v48, v55, v81, -v70
	v_add_f32_e32 v42, v42, v91
	v_add_f32_e32 v41, v41, v47
	v_fmac_f32_e32 v93, v54, v80
	s_waitcnt vmcnt(4)
	v_fma_f32 v49, v57, v82, -v71
	v_add_f32_e32 v42, v42, v92
	v_add_f32_e32 v41, v41, v48
	v_mul_f32_e32 v43, v60, v72
	v_fmac_f32_e32 v94, v56, v81
	v_add_f32_e32 v42, v42, v93
	v_add_f32_e32 v41, v41, v49
	s_waitcnt vmcnt(3)
	v_fma_f32 v43, v59, v83, -v43
	v_mul_f32_e32 v96, v59, v72
	v_fmac_f32_e32 v95, v58, v82
	v_add_f32_e32 v42, v42, v94
	v_add_f32_e32 v41, v41, v43
	s_waitcnt lgkmcnt(0)
	v_mul_f32_e32 v43, v62, v73
	v_mul_f32_e32 v97, v61, v73
	v_fmac_f32_e32 v96, v60, v83
	v_add_f32_e32 v42, v42, v95
	s_waitcnt vmcnt(2)
	v_fma_f32 v43, v61, v84, -v43
	v_fmac_f32_e32 v97, v62, v84
	v_add_f32_e32 v42, v42, v96
	v_add_f32_e32 v41, v41, v43
	v_add_f32_e32 v42, v42, v97
	s_waitcnt vmcnt(1)
	v_sub_f32_e32 v41, v85, v41
	s_waitcnt vmcnt(0)
	v_sub_f32_e32 v42, v86, v42
	buffer_store_dword v41, off, s[0:3], 0 offset:56
	buffer_store_dword v42, off, s[0:3], 0 offset:60
	s_and_saveexec_b64 s[4:5], vcc
	s_cbranch_execz .LBB82_115
; %bb.114:
	buffer_load_dword v41, off, s[0:3], 0 offset:48
	buffer_load_dword v42, off, s[0:3], 0 offset:52
	s_waitcnt vmcnt(0)
	ds_write_b64 v39, v[41:42]
	buffer_store_dword v40, off, s[0:3], 0 offset:48
	buffer_store_dword v40, off, s[0:3], 0 offset:52
.LBB82_115:
	s_or_b64 exec, exec, s[4:5]
	s_waitcnt lgkmcnt(0)
	; wave barrier
	buffer_load_dword v65, off, s[0:3], 0 offset:60
	buffer_load_dword v66, off, s[0:3], 0 offset:68
	;; [unrolled: 1-line block ×26, first 2 shown]
	ds_read2_b64 v[41:44], v40 offset0:27 offset1:28
	ds_read2_b64 v[45:48], v40 offset0:29 offset1:30
	;; [unrolled: 1-line block ×6, first 2 shown]
	v_cmp_lt_u32_e32 vcc, 5, v0
	s_waitcnt vmcnt(25) lgkmcnt(5)
	v_mul_f32_e32 v40, v41, v65
	v_mul_f32_e32 v65, v42, v65
	s_waitcnt vmcnt(24)
	v_mul_f32_e32 v91, v43, v66
	v_mul_f32_e32 v66, v44, v66
	s_waitcnt vmcnt(23) lgkmcnt(4)
	v_mul_f32_e32 v92, v45, v67
	v_mul_f32_e32 v67, v46, v67
	s_waitcnt vmcnt(22)
	v_mul_f32_e32 v93, v47, v68
	v_mul_f32_e32 v68, v48, v68
	;; [unrolled: 6-line block ×3, first 2 shown]
	s_waitcnt vmcnt(13)
	v_fma_f32 v41, v41, v77, -v65
	v_fmac_f32_e32 v40, v42, v77
	s_waitcnt vmcnt(12)
	v_fma_f32 v42, v43, v78, -v66
	v_add_f32_e32 v41, 0, v41
	s_waitcnt vmcnt(11)
	v_fma_f32 v43, v45, v79, -v67
	v_add_f32_e32 v41, v41, v42
	v_fmac_f32_e32 v91, v44, v78
	s_waitcnt vmcnt(10)
	v_fma_f32 v44, v47, v80, -v68
	v_add_f32_e32 v41, v41, v43
	s_waitcnt vmcnt(9)
	v_fma_f32 v45, v49, v81, -v69
	v_add_f32_e32 v41, v41, v44
	s_waitcnt lgkmcnt(2)
	v_mul_f32_e32 v96, v53, v71
	v_mul_f32_e32 v71, v54, v71
	v_fmac_f32_e32 v92, v46, v79
	s_waitcnt vmcnt(8)
	v_fma_f32 v46, v51, v82, -v70
	v_add_f32_e32 v40, 0, v40
	v_add_f32_e32 v41, v41, v45
	v_mul_f32_e32 v97, v55, v72
	v_mul_f32_e32 v72, v56, v72
	s_waitcnt vmcnt(7)
	v_fma_f32 v47, v53, v83, -v71
	v_add_f32_e32 v40, v40, v91
	v_add_f32_e32 v41, v41, v46
	v_fmac_f32_e32 v93, v48, v80
	s_waitcnt vmcnt(6)
	v_fma_f32 v48, v55, v84, -v72
	v_add_f32_e32 v40, v40, v92
	v_add_f32_e32 v41, v41, v47
	s_waitcnt lgkmcnt(1)
	v_mul_f32_e32 v42, v58, v73
	v_fmac_f32_e32 v94, v50, v81
	v_add_f32_e32 v40, v40, v93
	v_add_f32_e32 v41, v41, v48
	s_waitcnt vmcnt(5)
	v_fma_f32 v42, v57, v85, -v42
	v_fmac_f32_e32 v95, v52, v82
	v_add_f32_e32 v40, v40, v94
	v_add_f32_e32 v41, v41, v42
	v_mul_f32_e32 v42, v60, v74
	v_fmac_f32_e32 v96, v54, v83
	v_add_f32_e32 v40, v40, v95
	s_waitcnt vmcnt(4)
	v_fma_f32 v42, v59, v86, -v42
	v_mul_f32_e32 v98, v57, v73
	v_fmac_f32_e32 v97, v56, v84
	v_add_f32_e32 v40, v40, v96
	v_add_f32_e32 v41, v41, v42
	s_waitcnt lgkmcnt(0)
	v_mul_f32_e32 v42, v62, v75
	v_mul_f32_e32 v99, v59, v74
	v_fmac_f32_e32 v98, v58, v85
	v_add_f32_e32 v40, v40, v97
	s_waitcnt vmcnt(3)
	v_fma_f32 v42, v61, v87, -v42
	v_mul_f32_e32 v100, v61, v75
	v_fmac_f32_e32 v99, v60, v86
	v_add_f32_e32 v40, v40, v98
	v_add_f32_e32 v41, v41, v42
	v_mul_f32_e32 v42, v64, v76
	v_mul_f32_e32 v101, v63, v76
	v_fmac_f32_e32 v100, v62, v87
	v_add_f32_e32 v40, v40, v99
	s_waitcnt vmcnt(2)
	v_fma_f32 v42, v63, v88, -v42
	v_fmac_f32_e32 v101, v64, v88
	v_add_f32_e32 v40, v40, v100
	v_add_f32_e32 v41, v41, v42
	;; [unrolled: 1-line block ×3, first 2 shown]
	s_waitcnt vmcnt(1)
	v_sub_f32_e32 v41, v89, v41
	s_waitcnt vmcnt(0)
	v_sub_f32_e32 v40, v90, v40
	buffer_store_dword v41, off, s[0:3], 0 offset:48
	buffer_store_dword v40, off, s[0:3], 0 offset:52
	s_and_saveexec_b64 s[4:5], vcc
	s_cbranch_execz .LBB82_117
; %bb.116:
	buffer_load_dword v40, off, s[0:3], 0 offset:40
	buffer_load_dword v41, off, s[0:3], 0 offset:44
	v_mov_b32_e32 v42, 0
	buffer_store_dword v42, off, s[0:3], 0 offset:40
	buffer_store_dword v42, off, s[0:3], 0 offset:44
	s_waitcnt vmcnt(2)
	ds_write_b64 v39, v[40:41]
.LBB82_117:
	s_or_b64 exec, exec, s[4:5]
	s_waitcnt lgkmcnt(0)
	; wave barrier
	buffer_load_dword v67, off, s[0:3], 0 offset:52
	buffer_load_dword v68, off, s[0:3], 0 offset:60
	;; [unrolled: 1-line block ×28, first 2 shown]
	v_mov_b32_e32 v40, 0
	ds_read_b128 v[41:44], v40 offset:208
	ds_read_b128 v[45:48], v40 offset:224
	;; [unrolled: 1-line block ×6, first 2 shown]
	ds_read_b64 v[65:66], v40 offset:304
	v_cmp_lt_u32_e32 vcc, 4, v0
	s_waitcnt vmcnt(27) lgkmcnt(6)
	v_mul_f32_e32 v95, v41, v67
	v_mul_f32_e32 v67, v42, v67
	s_waitcnt vmcnt(26)
	v_mul_f32_e32 v96, v43, v68
	v_mul_f32_e32 v68, v44, v68
	s_waitcnt vmcnt(25) lgkmcnt(5)
	v_mul_f32_e32 v97, v45, v69
	v_mul_f32_e32 v69, v46, v69
	s_waitcnt vmcnt(24)
	v_mul_f32_e32 v98, v47, v70
	v_mul_f32_e32 v70, v48, v70
	s_waitcnt vmcnt(23) lgkmcnt(4)
	v_mul_f32_e32 v99, v49, v71
	v_mul_f32_e32 v71, v50, v71
	s_waitcnt vmcnt(22)
	v_mul_f32_e32 v100, v51, v72
	v_mul_f32_e32 v72, v52, v72
	s_waitcnt vmcnt(21) lgkmcnt(3)
	v_mul_f32_e32 v101, v53, v73
	s_waitcnt vmcnt(14)
	v_fma_f32 v41, v41, v80, -v67
	v_fmac_f32_e32 v95, v42, v80
	s_waitcnt vmcnt(13)
	v_fma_f32 v42, v43, v81, -v68
	v_add_f32_e32 v41, 0, v41
	s_waitcnt vmcnt(12)
	v_fma_f32 v43, v45, v82, -v69
	v_add_f32_e32 v41, v41, v42
	v_fmac_f32_e32 v96, v44, v81
	s_waitcnt vmcnt(11)
	v_fma_f32 v44, v47, v83, -v70
	v_add_f32_e32 v41, v41, v43
	s_waitcnt vmcnt(10)
	v_fma_f32 v45, v49, v84, -v71
	v_add_f32_e32 v41, v41, v44
	v_fmac_f32_e32 v97, v46, v82
	s_waitcnt vmcnt(9)
	v_fma_f32 v46, v51, v85, -v72
	v_add_f32_e32 v41, v41, v45
	v_mul_f32_e32 v43, v54, v73
	v_add_f32_e32 v41, v41, v46
	s_waitcnt vmcnt(8)
	v_fma_f32 v43, v53, v86, -v43
	v_add_f32_e32 v41, v41, v43
	v_mul_f32_e32 v43, v56, v74
	v_add_f32_e32 v47, 0, v95
	s_waitcnt vmcnt(7)
	v_fma_f32 v43, v55, v87, -v43
	v_add_f32_e32 v47, v47, v96
	v_add_f32_e32 v41, v41, v43
	s_waitcnt lgkmcnt(2)
	v_mul_f32_e32 v43, v58, v75
	v_fmac_f32_e32 v98, v48, v83
	v_add_f32_e32 v42, v47, v97
	s_waitcnt vmcnt(6)
	v_fma_f32 v43, v57, v88, -v43
	v_fmac_f32_e32 v99, v50, v84
	v_add_f32_e32 v42, v42, v98
	v_add_f32_e32 v41, v41, v43
	v_mul_f32_e32 v43, v60, v76
	v_fmac_f32_e32 v100, v52, v85
	v_add_f32_e32 v42, v42, v99
	s_waitcnt vmcnt(5)
	v_fma_f32 v43, v59, v89, -v43
	v_mul_f32_e32 v102, v55, v74
	v_fmac_f32_e32 v101, v54, v86
	v_add_f32_e32 v42, v42, v100
	v_add_f32_e32 v41, v41, v43
	s_waitcnt lgkmcnt(1)
	v_mul_f32_e32 v43, v62, v77
	v_mul_f32_e32 v103, v57, v75
	v_fmac_f32_e32 v102, v56, v87
	v_add_f32_e32 v42, v42, v101
	s_waitcnt vmcnt(4)
	v_fma_f32 v43, v61, v90, -v43
	v_mul_f32_e32 v104, v59, v76
	v_fmac_f32_e32 v103, v58, v88
	v_add_f32_e32 v42, v42, v102
	v_add_f32_e32 v41, v41, v43
	v_mul_f32_e32 v43, v64, v78
	v_mul_f32_e32 v105, v61, v77
	v_fmac_f32_e32 v104, v60, v89
	v_add_f32_e32 v42, v42, v103
	s_waitcnt vmcnt(3)
	v_fma_f32 v43, v63, v91, -v43
	v_mul_f32_e32 v106, v63, v78
	v_fmac_f32_e32 v105, v62, v90
	v_add_f32_e32 v42, v42, v104
	v_add_f32_e32 v41, v41, v43
	s_waitcnt lgkmcnt(0)
	v_mul_f32_e32 v43, v66, v79
	v_mul_f32_e32 v107, v65, v79
	v_fmac_f32_e32 v106, v64, v91
	v_add_f32_e32 v42, v42, v105
	s_waitcnt vmcnt(2)
	v_fma_f32 v43, v65, v92, -v43
	v_fmac_f32_e32 v107, v66, v92
	v_add_f32_e32 v42, v42, v106
	v_add_f32_e32 v41, v41, v43
	;; [unrolled: 1-line block ×3, first 2 shown]
	s_waitcnt vmcnt(1)
	v_sub_f32_e32 v41, v93, v41
	s_waitcnt vmcnt(0)
	v_sub_f32_e32 v42, v94, v42
	buffer_store_dword v41, off, s[0:3], 0 offset:40
	buffer_store_dword v42, off, s[0:3], 0 offset:44
	s_and_saveexec_b64 s[4:5], vcc
	s_cbranch_execz .LBB82_119
; %bb.118:
	buffer_load_dword v41, off, s[0:3], 0 offset:32
	buffer_load_dword v42, off, s[0:3], 0 offset:36
	s_waitcnt vmcnt(0)
	ds_write_b64 v39, v[41:42]
	buffer_store_dword v40, off, s[0:3], 0 offset:32
	buffer_store_dword v40, off, s[0:3], 0 offset:36
.LBB82_119:
	s_or_b64 exec, exec, s[4:5]
	s_waitcnt lgkmcnt(0)
	; wave barrier
	buffer_load_dword v69, off, s[0:3], 0 offset:44
	buffer_load_dword v70, off, s[0:3], 0 offset:52
	;; [unrolled: 1-line block ×30, first 2 shown]
	ds_read2_b64 v[41:44], v40 offset0:25 offset1:26
	ds_read2_b64 v[45:48], v40 offset0:27 offset1:28
	;; [unrolled: 1-line block ×7, first 2 shown]
	v_cmp_lt_u32_e32 vcc, 3, v0
	s_waitcnt vmcnt(29) lgkmcnt(6)
	v_mul_f32_e32 v40, v41, v69
	v_mul_f32_e32 v69, v42, v69
	s_waitcnt vmcnt(28)
	v_mul_f32_e32 v99, v43, v70
	v_mul_f32_e32 v70, v44, v70
	s_waitcnt vmcnt(27) lgkmcnt(5)
	v_mul_f32_e32 v100, v45, v71
	v_mul_f32_e32 v71, v46, v71
	s_waitcnt vmcnt(26)
	v_mul_f32_e32 v101, v47, v72
	v_mul_f32_e32 v72, v48, v72
	s_waitcnt vmcnt(25) lgkmcnt(4)
	v_mul_f32_e32 v102, v49, v73
	v_mul_f32_e32 v73, v50, v73
	s_waitcnt vmcnt(24)
	v_mul_f32_e32 v103, v51, v74
	s_waitcnt vmcnt(23) lgkmcnt(3)
	v_mul_f32_e32 v104, v53, v75
	s_waitcnt vmcnt(22)
	v_mul_f32_e32 v105, v55, v76
	s_waitcnt vmcnt(21) lgkmcnt(2)
	v_mul_f32_e32 v106, v57, v77
	s_waitcnt vmcnt(15)
	v_fma_f32 v41, v41, v83, -v69
	v_fmac_f32_e32 v40, v42, v83
	s_waitcnt vmcnt(14)
	v_fma_f32 v42, v43, v84, -v70
	v_add_f32_e32 v41, 0, v41
	s_waitcnt vmcnt(13)
	v_fma_f32 v43, v45, v85, -v71
	v_add_f32_e32 v41, v41, v42
	v_fmac_f32_e32 v99, v44, v84
	s_waitcnt vmcnt(12)
	v_fma_f32 v44, v47, v86, -v72
	v_add_f32_e32 v41, v41, v43
	s_waitcnt vmcnt(11)
	v_fma_f32 v45, v49, v87, -v73
	v_add_f32_e32 v41, v41, v44
	v_mul_f32_e32 v42, v52, v74
	v_add_f32_e32 v41, v41, v45
	s_waitcnt vmcnt(10)
	v_fma_f32 v42, v51, v88, -v42
	v_add_f32_e32 v41, v41, v42
	v_mul_f32_e32 v42, v54, v75
	s_waitcnt vmcnt(9)
	v_fma_f32 v42, v53, v89, -v42
	v_add_f32_e32 v41, v41, v42
	v_mul_f32_e32 v42, v56, v76
	s_waitcnt vmcnt(8)
	v_fma_f32 v42, v55, v90, -v42
	v_add_f32_e32 v40, 0, v40
	v_add_f32_e32 v41, v41, v42
	v_mul_f32_e32 v42, v58, v77
	v_fmac_f32_e32 v100, v46, v85
	v_add_f32_e32 v40, v40, v99
	s_waitcnt vmcnt(7)
	v_fma_f32 v42, v57, v91, -v42
	v_fmac_f32_e32 v101, v48, v86
	v_add_f32_e32 v40, v40, v100
	v_add_f32_e32 v41, v41, v42
	v_mul_f32_e32 v42, v60, v78
	v_fmac_f32_e32 v102, v50, v87
	v_add_f32_e32 v40, v40, v101
	s_waitcnt vmcnt(6)
	v_fma_f32 v42, v59, v92, -v42
	v_fmac_f32_e32 v103, v52, v88
	v_add_f32_e32 v40, v40, v102
	v_add_f32_e32 v41, v41, v42
	s_waitcnt lgkmcnt(1)
	v_mul_f32_e32 v42, v62, v79
	v_fmac_f32_e32 v104, v54, v89
	v_add_f32_e32 v40, v40, v103
	s_waitcnt vmcnt(5)
	v_fma_f32 v42, v61, v93, -v42
	v_fmac_f32_e32 v105, v56, v90
	v_add_f32_e32 v40, v40, v104
	v_add_f32_e32 v41, v41, v42
	v_mul_f32_e32 v42, v64, v80
	v_mul_f32_e32 v107, v59, v78
	v_fmac_f32_e32 v106, v58, v91
	v_add_f32_e32 v40, v40, v105
	s_waitcnt vmcnt(4)
	v_fma_f32 v42, v63, v94, -v42
	v_mul_f32_e32 v108, v61, v79
	v_fmac_f32_e32 v107, v60, v92
	v_add_f32_e32 v40, v40, v106
	v_add_f32_e32 v41, v41, v42
	s_waitcnt lgkmcnt(0)
	v_mul_f32_e32 v42, v66, v81
	v_mul_f32_e32 v109, v63, v80
	v_fmac_f32_e32 v108, v62, v93
	v_add_f32_e32 v40, v40, v107
	s_waitcnt vmcnt(3)
	v_fma_f32 v42, v65, v95, -v42
	v_mul_f32_e32 v110, v65, v81
	v_fmac_f32_e32 v109, v64, v94
	v_add_f32_e32 v40, v40, v108
	v_add_f32_e32 v41, v41, v42
	v_mul_f32_e32 v42, v68, v82
	v_mul_f32_e32 v111, v67, v82
	v_fmac_f32_e32 v110, v66, v95
	v_add_f32_e32 v40, v40, v109
	s_waitcnt vmcnt(2)
	v_fma_f32 v42, v67, v96, -v42
	v_fmac_f32_e32 v111, v68, v96
	v_add_f32_e32 v40, v40, v110
	v_add_f32_e32 v41, v41, v42
	;; [unrolled: 1-line block ×3, first 2 shown]
	s_waitcnt vmcnt(1)
	v_sub_f32_e32 v41, v97, v41
	s_waitcnt vmcnt(0)
	v_sub_f32_e32 v40, v98, v40
	buffer_store_dword v41, off, s[0:3], 0 offset:32
	buffer_store_dword v40, off, s[0:3], 0 offset:36
	s_and_saveexec_b64 s[4:5], vcc
	s_cbranch_execz .LBB82_121
; %bb.120:
	buffer_load_dword v40, off, s[0:3], 0 offset:24
	buffer_load_dword v41, off, s[0:3], 0 offset:28
	v_mov_b32_e32 v42, 0
	buffer_store_dword v42, off, s[0:3], 0 offset:24
	buffer_store_dword v42, off, s[0:3], 0 offset:28
	s_waitcnt vmcnt(2)
	ds_write_b64 v39, v[40:41]
.LBB82_121:
	s_or_b64 exec, exec, s[4:5]
	s_waitcnt lgkmcnt(0)
	; wave barrier
	buffer_load_dword v71, off, s[0:3], 0 offset:36
	buffer_load_dword v72, off, s[0:3], 0 offset:44
	;; [unrolled: 1-line block ×32, first 2 shown]
	v_mov_b32_e32 v40, 0
	ds_read_b128 v[41:44], v40 offset:192
	ds_read_b128 v[45:48], v40 offset:208
	;; [unrolled: 1-line block ×7, first 2 shown]
	ds_read_b64 v[69:70], v40 offset:304
	v_cmp_lt_u32_e32 vcc, 2, v0
	s_waitcnt vmcnt(31) lgkmcnt(7)
	v_mul_f32_e32 v103, v41, v71
	v_mul_f32_e32 v71, v42, v71
	s_waitcnt vmcnt(30)
	v_mul_f32_e32 v104, v43, v72
	v_mul_f32_e32 v72, v44, v72
	s_waitcnt vmcnt(29) lgkmcnt(6)
	v_mul_f32_e32 v105, v45, v73
	v_mul_f32_e32 v73, v46, v73
	s_waitcnt vmcnt(28)
	v_mul_f32_e32 v106, v47, v74
	s_waitcnt vmcnt(27) lgkmcnt(5)
	v_mul_f32_e32 v107, v49, v75
	s_waitcnt vmcnt(26)
	v_mul_f32_e32 v108, v51, v76
	s_waitcnt vmcnt(25) lgkmcnt(4)
	;; [unrolled: 4-line block ×4, first 2 shown]
	v_mul_f32_e32 v113, v61, v81
	s_waitcnt vmcnt(20)
	v_mul_f32_e32 v114, v63, v82
	s_waitcnt vmcnt(16)
	v_fma_f32 v41, v41, v86, -v71
	v_fmac_f32_e32 v103, v42, v86
	s_waitcnt vmcnt(15)
	v_fma_f32 v42, v43, v87, -v72
	v_add_f32_e32 v41, 0, v41
	s_waitcnt vmcnt(14)
	v_fma_f32 v43, v45, v88, -v73
	v_add_f32_e32 v41, v41, v42
	v_add_f32_e32 v41, v41, v43
	v_mul_f32_e32 v43, v48, v74
	s_waitcnt vmcnt(13)
	v_fma_f32 v43, v47, v89, -v43
	v_add_f32_e32 v41, v41, v43
	v_mul_f32_e32 v43, v50, v75
	s_waitcnt vmcnt(12)
	v_fma_f32 v43, v49, v90, -v43
	;; [unrolled: 4-line block ×5, first 2 shown]
	v_add_f32_e32 v41, v41, v43
	v_mul_f32_e32 v43, v58, v79
	v_fmac_f32_e32 v104, v44, v87
	v_add_f32_e32 v44, 0, v103
	s_waitcnt vmcnt(8)
	v_fma_f32 v43, v57, v94, -v43
	v_fmac_f32_e32 v105, v46, v88
	v_add_f32_e32 v44, v44, v104
	v_add_f32_e32 v41, v41, v43
	v_mul_f32_e32 v43, v60, v80
	v_fmac_f32_e32 v106, v48, v89
	v_add_f32_e32 v42, v44, v105
	s_waitcnt vmcnt(7)
	v_fma_f32 v43, v59, v95, -v43
	v_fmac_f32_e32 v107, v50, v90
	v_add_f32_e32 v42, v42, v106
	;; [unrolled: 8-line block ×4, first 2 shown]
	v_add_f32_e32 v41, v41, v43
	s_waitcnt lgkmcnt(1)
	v_mul_f32_e32 v43, v66, v83
	v_fmac_f32_e32 v112, v60, v95
	v_add_f32_e32 v42, v42, v111
	s_waitcnt vmcnt(4)
	v_fma_f32 v43, v65, v98, -v43
	v_fmac_f32_e32 v113, v62, v96
	v_add_f32_e32 v42, v42, v112
	v_add_f32_e32 v41, v41, v43
	v_mul_f32_e32 v43, v68, v84
	v_mul_f32_e32 v115, v65, v83
	v_fmac_f32_e32 v114, v64, v97
	v_add_f32_e32 v42, v42, v113
	s_waitcnt vmcnt(3)
	v_fma_f32 v43, v67, v99, -v43
	v_mul_f32_e32 v116, v67, v84
	v_fmac_f32_e32 v115, v66, v98
	v_add_f32_e32 v42, v42, v114
	v_add_f32_e32 v41, v41, v43
	s_waitcnt lgkmcnt(0)
	v_mul_f32_e32 v43, v70, v85
	v_mul_f32_e32 v117, v69, v85
	v_fmac_f32_e32 v116, v68, v99
	v_add_f32_e32 v42, v42, v115
	s_waitcnt vmcnt(2)
	v_fma_f32 v43, v69, v100, -v43
	v_fmac_f32_e32 v117, v70, v100
	v_add_f32_e32 v42, v42, v116
	v_add_f32_e32 v41, v41, v43
	;; [unrolled: 1-line block ×3, first 2 shown]
	s_waitcnt vmcnt(1)
	v_sub_f32_e32 v41, v101, v41
	s_waitcnt vmcnt(0)
	v_sub_f32_e32 v42, v102, v42
	buffer_store_dword v41, off, s[0:3], 0 offset:24
	buffer_store_dword v42, off, s[0:3], 0 offset:28
	s_and_saveexec_b64 s[4:5], vcc
	s_cbranch_execz .LBB82_123
; %bb.122:
	buffer_load_dword v41, off, s[0:3], 0 offset:16
	buffer_load_dword v42, off, s[0:3], 0 offset:20
	s_waitcnt vmcnt(0)
	ds_write_b64 v39, v[41:42]
	buffer_store_dword v40, off, s[0:3], 0 offset:16
	buffer_store_dword v40, off, s[0:3], 0 offset:20
.LBB82_123:
	s_or_b64 exec, exec, s[4:5]
	s_waitcnt lgkmcnt(0)
	; wave barrier
	buffer_load_dword v73, off, s[0:3], 0 offset:28
	buffer_load_dword v74, off, s[0:3], 0 offset:36
	;; [unrolled: 1-line block ×34, first 2 shown]
	ds_read2_b64 v[41:44], v40 offset0:23 offset1:24
	ds_read2_b64 v[45:48], v40 offset0:25 offset1:26
	;; [unrolled: 1-line block ×8, first 2 shown]
	v_cmp_lt_u32_e32 vcc, 1, v0
	s_waitcnt vmcnt(33) lgkmcnt(7)
	v_mul_f32_e32 v40, v41, v73
	v_mul_f32_e32 v73, v42, v73
	s_waitcnt vmcnt(32)
	v_mul_f32_e32 v107, v43, v74
	v_mul_f32_e32 v74, v44, v74
	s_waitcnt vmcnt(31) lgkmcnt(6)
	v_mul_f32_e32 v108, v45, v75
	s_waitcnt vmcnt(30)
	v_mul_f32_e32 v109, v47, v76
	s_waitcnt vmcnt(29) lgkmcnt(5)
	v_mul_f32_e32 v110, v49, v77
	s_waitcnt vmcnt(28)
	;; [unrolled: 4-line block ×6, first 2 shown]
	v_mul_f32_e32 v119, v67, v86
	s_waitcnt vmcnt(17)
	v_fma_f32 v41, v41, v89, -v73
	v_fmac_f32_e32 v40, v42, v89
	s_waitcnt vmcnt(16)
	v_fma_f32 v42, v43, v90, -v74
	v_add_f32_e32 v41, 0, v41
	v_add_f32_e32 v41, v41, v42
	v_mul_f32_e32 v42, v46, v75
	s_waitcnt vmcnt(15)
	v_fma_f32 v42, v45, v91, -v42
	v_add_f32_e32 v41, v41, v42
	v_mul_f32_e32 v42, v48, v76
	s_waitcnt vmcnt(14)
	v_fma_f32 v42, v47, v92, -v42
	;; [unrolled: 4-line block ×7, first 2 shown]
	v_fmac_f32_e32 v107, v44, v90
	v_add_f32_e32 v40, 0, v40
	v_add_f32_e32 v41, v41, v42
	v_mul_f32_e32 v42, v60, v82
	v_fmac_f32_e32 v108, v46, v91
	v_add_f32_e32 v40, v40, v107
	s_waitcnt vmcnt(8)
	v_fma_f32 v42, v59, v98, -v42
	v_fmac_f32_e32 v109, v48, v92
	v_add_f32_e32 v40, v40, v108
	v_add_f32_e32 v41, v41, v42
	v_mul_f32_e32 v42, v62, v83
	v_fmac_f32_e32 v110, v50, v93
	v_add_f32_e32 v40, v40, v109
	s_waitcnt vmcnt(7)
	v_fma_f32 v42, v61, v99, -v42
	;; [unrolled: 8-line block ×5, first 2 shown]
	v_fmac_f32_e32 v117, v64, v100
	v_add_f32_e32 v40, v40, v116
	v_add_f32_e32 v41, v41, v42
	s_waitcnt lgkmcnt(0)
	v_mul_f32_e32 v42, v70, v87
	v_fmac_f32_e32 v118, v66, v101
	v_add_f32_e32 v40, v40, v117
	s_waitcnt vmcnt(3)
	v_fma_f32 v42, v69, v103, -v42
	v_mul_f32_e32 v120, v69, v87
	v_fmac_f32_e32 v119, v68, v102
	v_add_f32_e32 v40, v40, v118
	v_add_f32_e32 v41, v41, v42
	v_mul_f32_e32 v42, v72, v88
	v_mul_f32_e32 v121, v71, v88
	v_fmac_f32_e32 v120, v70, v103
	v_add_f32_e32 v40, v40, v119
	s_waitcnt vmcnt(2)
	v_fma_f32 v42, v71, v104, -v42
	v_fmac_f32_e32 v121, v72, v104
	v_add_f32_e32 v40, v40, v120
	v_add_f32_e32 v41, v41, v42
	;; [unrolled: 1-line block ×3, first 2 shown]
	s_waitcnt vmcnt(1)
	v_sub_f32_e32 v41, v105, v41
	s_waitcnt vmcnt(0)
	v_sub_f32_e32 v40, v106, v40
	buffer_store_dword v41, off, s[0:3], 0 offset:16
	buffer_store_dword v40, off, s[0:3], 0 offset:20
	s_and_saveexec_b64 s[4:5], vcc
	s_cbranch_execz .LBB82_125
; %bb.124:
	buffer_load_dword v40, off, s[0:3], 0 offset:8
	buffer_load_dword v41, off, s[0:3], 0 offset:12
	v_mov_b32_e32 v42, 0
	buffer_store_dword v42, off, s[0:3], 0 offset:8
	buffer_store_dword v42, off, s[0:3], 0 offset:12
	s_waitcnt vmcnt(2)
	ds_write_b64 v39, v[40:41]
.LBB82_125:
	s_or_b64 exec, exec, s[4:5]
	v_mov_b32_e32 v40, 0
	s_waitcnt lgkmcnt(0)
	; wave barrier
	ds_read_b128 v[41:44], v40 offset:176
	ds_read_b128 v[45:48], v40 offset:192
	;; [unrolled: 1-line block ×4, first 2 shown]
	buffer_load_dword v75, off, s[0:3], 0 offset:8
	buffer_load_dword v76, off, s[0:3], 0 offset:12
	;; [unrolled: 1-line block ×18, first 2 shown]
	v_cmp_ne_u32_e32 vcc, 0, v0
	s_waitcnt vmcnt(14) lgkmcnt(3)
	v_mul_f32_e32 v57, v41, v78
	v_fmac_f32_e32 v57, v42, v77
	s_waitcnt vmcnt(12)
	v_mul_f32_e32 v58, v43, v80
	v_add_f32_e32 v57, 0, v57
	v_fmac_f32_e32 v58, v44, v79
	v_add_f32_e32 v57, v57, v58
	s_waitcnt vmcnt(10) lgkmcnt(2)
	v_mul_f32_e32 v58, v45, v82
	v_fmac_f32_e32 v58, v46, v81
	v_add_f32_e32 v57, v57, v58
	s_waitcnt vmcnt(8)
	v_mul_f32_e32 v58, v47, v84
	v_fmac_f32_e32 v58, v48, v83
	v_add_f32_e32 v57, v57, v58
	s_waitcnt vmcnt(6) lgkmcnt(1)
	v_mul_f32_e32 v58, v49, v86
	v_fmac_f32_e32 v58, v50, v85
	v_add_f32_e32 v57, v57, v58
	s_waitcnt vmcnt(4)
	v_mul_f32_e32 v58, v51, v88
	;; [unrolled: 8-line block ×3, first 2 shown]
	v_fmac_f32_e32 v58, v56, v91
	v_add_f32_e32 v61, v57, v58
	ds_read_b128 v[57:60], v40 offset:240
	buffer_load_dword v93, off, s[0:3], 0 offset:80
	buffer_load_dword v94, off, s[0:3], 0 offset:84
	;; [unrolled: 1-line block ×4, first 2 shown]
	v_mul_f32_e32 v42, v42, v78
	v_fma_f32 v41, v41, v77, -v42
	v_mul_f32_e32 v42, v44, v80
	v_add_f32_e32 v41, 0, v41
	v_fma_f32 v42, v43, v79, -v42
	v_add_f32_e32 v41, v41, v42
	v_mul_f32_e32 v42, v46, v82
	v_fma_f32 v42, v45, v81, -v42
	v_add_f32_e32 v41, v41, v42
	v_mul_f32_e32 v42, v48, v84
	;; [unrolled: 3-line block ×6, first 2 shown]
	v_fma_f32 v42, v55, v91, -v42
	v_add_f32_e32 v41, v41, v42
	s_waitcnt vmcnt(2) lgkmcnt(0)
	v_mul_f32_e32 v62, v57, v94
	v_fmac_f32_e32 v62, v58, v93
	v_add_f32_e32 v61, v61, v62
	s_waitcnt vmcnt(0)
	v_mul_f32_e32 v62, v59, v96
	v_fmac_f32_e32 v62, v60, v95
	v_add_f32_e32 v65, v61, v62
	ds_read_b128 v[61:64], v40 offset:256
	buffer_load_dword v97, off, s[0:3], 0 offset:96
	buffer_load_dword v98, off, s[0:3], 0 offset:100
	buffer_load_dword v99, off, s[0:3], 0 offset:104
	buffer_load_dword v100, off, s[0:3], 0 offset:108
	v_mul_f32_e32 v42, v58, v94
	v_fma_f32 v42, v57, v93, -v42
	v_add_f32_e32 v41, v41, v42
	v_mul_f32_e32 v42, v60, v96
	v_fma_f32 v42, v59, v95, -v42
	v_add_f32_e32 v41, v41, v42
	s_waitcnt vmcnt(2) lgkmcnt(0)
	v_mul_f32_e32 v66, v61, v98
	v_fmac_f32_e32 v66, v62, v97
	v_add_f32_e32 v65, v65, v66
	s_waitcnt vmcnt(0)
	v_mul_f32_e32 v66, v63, v100
	v_fmac_f32_e32 v66, v64, v99
	v_add_f32_e32 v69, v65, v66
	ds_read_b128 v[65:68], v40 offset:272
	buffer_load_dword v101, off, s[0:3], 0 offset:112
	buffer_load_dword v102, off, s[0:3], 0 offset:116
	buffer_load_dword v103, off, s[0:3], 0 offset:120
	buffer_load_dword v104, off, s[0:3], 0 offset:124
	v_mul_f32_e32 v42, v62, v98
	v_fma_f32 v42, v61, v97, -v42
	v_add_f32_e32 v41, v41, v42
	v_mul_f32_e32 v42, v64, v100
	v_fma_f32 v42, v63, v99, -v42
	v_add_f32_e32 v41, v41, v42
	s_waitcnt vmcnt(2) lgkmcnt(0)
	v_mul_f32_e32 v70, v65, v102
	v_fmac_f32_e32 v70, v66, v101
	v_add_f32_e32 v69, v69, v70
	s_waitcnt vmcnt(0)
	v_mul_f32_e32 v70, v67, v104
	v_fmac_f32_e32 v70, v68, v103
	v_add_f32_e32 v73, v69, v70
	ds_read_b128 v[69:72], v40 offset:288
	buffer_load_dword v105, off, s[0:3], 0 offset:128
	buffer_load_dword v106, off, s[0:3], 0 offset:132
	buffer_load_dword v107, off, s[0:3], 0 offset:136
	buffer_load_dword v108, off, s[0:3], 0 offset:140
	v_mul_f32_e32 v42, v66, v102
	v_fma_f32 v42, v65, v101, -v42
	v_add_f32_e32 v41, v41, v42
	v_mul_f32_e32 v42, v68, v104
	v_fma_f32 v42, v67, v103, -v42
	v_add_f32_e32 v41, v41, v42
	s_waitcnt vmcnt(2) lgkmcnt(0)
	v_mul_f32_e32 v74, v69, v106
	v_fmac_f32_e32 v74, v70, v105
	v_add_f32_e32 v73, v73, v74
	s_waitcnt vmcnt(0)
	v_mul_f32_e32 v74, v71, v108
	v_fmac_f32_e32 v74, v72, v107
	v_add_f32_e32 v109, v73, v74
	ds_read_b64 v[73:74], v40 offset:304
	buffer_load_dword v110, off, s[0:3], 0 offset:144
	buffer_load_dword v111, off, s[0:3], 0 offset:148
	v_mul_f32_e32 v42, v70, v106
	v_fma_f32 v42, v69, v105, -v42
	v_add_f32_e32 v41, v41, v42
	v_mul_f32_e32 v42, v72, v108
	v_fma_f32 v42, v71, v107, -v42
	v_add_f32_e32 v41, v41, v42
	s_waitcnt vmcnt(0) lgkmcnt(0)
	v_mul_f32_e32 v42, v74, v111
	v_mul_f32_e32 v112, v73, v111
	v_fma_f32 v42, v73, v110, -v42
	v_fmac_f32_e32 v112, v74, v110
	v_add_f32_e32 v41, v41, v42
	v_add_f32_e32 v109, v109, v112
	v_sub_f32_e32 v41, v75, v41
	v_sub_f32_e32 v42, v76, v109
	buffer_store_dword v41, off, s[0:3], 0 offset:8
	buffer_store_dword v42, off, s[0:3], 0 offset:12
	s_and_saveexec_b64 s[4:5], vcc
	s_cbranch_execz .LBB82_127
; %bb.126:
	buffer_load_dword v41, off, s[0:3], 0
	buffer_load_dword v42, off, s[0:3], 0 offset:4
	s_waitcnt vmcnt(0)
	ds_write_b64 v39, v[41:42]
	buffer_store_dword v40, off, s[0:3], 0
	buffer_store_dword v40, off, s[0:3], 0 offset:4
.LBB82_127:
	s_or_b64 exec, exec, s[4:5]
	s_waitcnt lgkmcnt(0)
	; wave barrier
	ds_read2_b64 v[41:44], v40 offset0:21 offset1:22
	buffer_load_dword v0, off, s[0:3], 0
	buffer_load_dword v39, off, s[0:3], 0 offset:4
	buffer_load_dword v77, off, s[0:3], 0 offset:8
	;; [unrolled: 1-line block ×15, first 2 shown]
	s_and_b64 vcc, exec, s[14:15]
	s_waitcnt vmcnt(12) lgkmcnt(0)
	v_mul_f32_e32 v45, v41, v78
	v_fmac_f32_e32 v45, v42, v77
	s_waitcnt vmcnt(10)
	v_mul_f32_e32 v46, v43, v80
	v_add_f32_e32 v45, 0, v45
	v_fmac_f32_e32 v46, v44, v79
	v_add_f32_e32 v49, v45, v46
	ds_read2_b64 v[45:48], v40 offset0:23 offset1:24
	v_mul_f32_e32 v42, v42, v78
	v_fma_f32 v41, v41, v77, -v42
	v_mul_f32_e32 v42, v44, v80
	v_add_f32_e32 v41, 0, v41
	s_waitcnt vmcnt(8) lgkmcnt(0)
	v_mul_f32_e32 v50, v45, v82
	v_fmac_f32_e32 v50, v46, v81
	v_add_f32_e32 v49, v49, v50
	s_waitcnt vmcnt(6)
	v_mul_f32_e32 v50, v47, v84
	v_fmac_f32_e32 v50, v48, v83
	v_add_f32_e32 v53, v49, v50
	ds_read2_b64 v[49:52], v40 offset0:25 offset1:26
	v_fma_f32 v42, v43, v79, -v42
	v_add_f32_e32 v41, v41, v42
	v_mul_f32_e32 v42, v46, v82
	v_fma_f32 v42, v45, v81, -v42
	s_waitcnt vmcnt(4) lgkmcnt(0)
	v_mul_f32_e32 v54, v49, v86
	v_fmac_f32_e32 v54, v50, v85
	v_add_f32_e32 v53, v53, v54
	s_waitcnt vmcnt(2)
	v_mul_f32_e32 v54, v51, v88
	v_fmac_f32_e32 v54, v52, v87
	v_add_f32_e32 v57, v53, v54
	ds_read2_b64 v[53:56], v40 offset0:27 offset1:28
	buffer_load_dword v91, off, s[0:3], 0 offset:64
	buffer_load_dword v92, off, s[0:3], 0 offset:68
	v_add_f32_e32 v41, v41, v42
	v_mul_f32_e32 v42, v48, v84
	v_fma_f32 v42, v47, v83, -v42
	s_waitcnt vmcnt(2) lgkmcnt(0)
	v_mul_f32_e32 v58, v53, v90
	v_fmac_f32_e32 v58, v54, v89
	v_add_f32_e32 v57, v57, v58
	v_add_f32_e32 v41, v41, v42
	v_mul_f32_e32 v42, v50, v86
	v_fma_f32 v42, v49, v85, -v42
	v_add_f32_e32 v41, v41, v42
	v_mul_f32_e32 v42, v52, v88
	v_fma_f32 v42, v51, v87, -v42
	;; [unrolled: 3-line block ×3, first 2 shown]
	v_add_f32_e32 v41, v41, v42
	s_waitcnt vmcnt(0)
	v_mul_f32_e32 v58, v55, v92
	v_fmac_f32_e32 v58, v56, v91
	v_add_f32_e32 v61, v57, v58
	ds_read2_b64 v[57:60], v40 offset0:29 offset1:30
	buffer_load_dword v93, off, s[0:3], 0 offset:72
	buffer_load_dword v94, off, s[0:3], 0 offset:76
	;; [unrolled: 1-line block ×4, first 2 shown]
	v_mul_f32_e32 v42, v56, v92
	v_fma_f32 v42, v55, v91, -v42
	v_add_f32_e32 v41, v41, v42
	s_waitcnt vmcnt(2) lgkmcnt(0)
	v_mul_f32_e32 v62, v57, v94
	v_fmac_f32_e32 v62, v58, v93
	v_add_f32_e32 v61, v61, v62
	s_waitcnt vmcnt(0)
	v_mul_f32_e32 v62, v59, v96
	v_fmac_f32_e32 v62, v60, v95
	v_add_f32_e32 v65, v61, v62
	ds_read2_b64 v[61:64], v40 offset0:31 offset1:32
	buffer_load_dword v97, off, s[0:3], 0 offset:88
	buffer_load_dword v98, off, s[0:3], 0 offset:92
	buffer_load_dword v99, off, s[0:3], 0 offset:96
	buffer_load_dword v100, off, s[0:3], 0 offset:100
	v_mul_f32_e32 v42, v58, v94
	v_fma_f32 v42, v57, v93, -v42
	v_add_f32_e32 v41, v41, v42
	v_mul_f32_e32 v42, v60, v96
	v_fma_f32 v42, v59, v95, -v42
	v_add_f32_e32 v41, v41, v42
	s_waitcnt vmcnt(2) lgkmcnt(0)
	v_mul_f32_e32 v66, v61, v98
	v_fmac_f32_e32 v66, v62, v97
	v_add_f32_e32 v65, v65, v66
	s_waitcnt vmcnt(0)
	v_mul_f32_e32 v66, v63, v100
	v_fmac_f32_e32 v66, v64, v99
	v_add_f32_e32 v69, v65, v66
	ds_read2_b64 v[65:68], v40 offset0:33 offset1:34
	buffer_load_dword v101, off, s[0:3], 0 offset:104
	buffer_load_dword v102, off, s[0:3], 0 offset:108
	buffer_load_dword v103, off, s[0:3], 0 offset:112
	buffer_load_dword v104, off, s[0:3], 0 offset:116
	v_mul_f32_e32 v42, v62, v98
	v_fma_f32 v42, v61, v97, -v42
	v_add_f32_e32 v41, v41, v42
	;; [unrolled: 19-line block ×3, first 2 shown]
	v_mul_f32_e32 v42, v68, v104
	v_fma_f32 v42, v67, v103, -v42
	v_add_f32_e32 v41, v41, v42
	s_waitcnt vmcnt(2) lgkmcnt(0)
	v_mul_f32_e32 v74, v69, v106
	v_fmac_f32_e32 v74, v70, v105
	v_add_f32_e32 v73, v73, v74
	s_waitcnt vmcnt(0)
	v_mul_f32_e32 v74, v71, v108
	v_fmac_f32_e32 v74, v72, v107
	v_add_f32_e32 v109, v73, v74
	ds_read2_b64 v[73:76], v40 offset0:37 offset1:38
	buffer_load_dword v40, off, s[0:3], 0 offset:136
	buffer_load_dword v110, off, s[0:3], 0 offset:140
	v_mul_f32_e32 v42, v70, v106
	v_fma_f32 v42, v69, v105, -v42
	v_add_f32_e32 v41, v41, v42
	v_mul_f32_e32 v42, v72, v108
	v_fma_f32 v42, v71, v107, -v42
	v_add_f32_e32 v41, v41, v42
	s_waitcnt vmcnt(0) lgkmcnt(0)
	v_mul_f32_e32 v111, v73, v110
	v_fmac_f32_e32 v111, v74, v40
	v_add_f32_e32 v109, v109, v111
	buffer_load_dword v111, off, s[0:3], 0 offset:144
	buffer_load_dword v112, off, s[0:3], 0 offset:148
	v_mul_f32_e32 v42, v74, v110
	v_fma_f32 v40, v73, v40, -v42
	v_add_f32_e32 v40, v41, v40
	s_waitcnt vmcnt(0)
	v_mul_f32_e32 v41, v76, v112
	v_mul_f32_e32 v113, v75, v112
	v_fma_f32 v41, v75, v111, -v41
	v_fmac_f32_e32 v113, v76, v111
	v_add_f32_e32 v40, v40, v41
	v_add_f32_e32 v109, v109, v113
	v_sub_f32_e32 v0, v0, v40
	v_sub_f32_e32 v39, v39, v109
	buffer_store_dword v0, off, s[0:3], 0
	buffer_store_dword v39, off, s[0:3], 0 offset:4
	s_cbranch_vccz .LBB82_164
; %bb.128:
	v_mov_b32_e32 v0, 0
	global_load_dword v39, v0, s[12:13] offset:68
	s_waitcnt vmcnt(0)
	v_add_u32_e32 v39, -1, v39
	v_cmp_ne_u32_e32 vcc, 17, v39
	s_cbranch_vccz .LBB82_130
; %bb.129:
	v_lshlrev_b32_e32 v39, 3, v39
	buffer_load_dword v40, v39, s[0:3], 0 offen
	buffer_load_dword v41, v39, s[0:3], 0 offen offset:4
	buffer_load_dword v42, off, s[0:3], 0 offset:136
	buffer_load_dword v43, off, s[0:3], 0 offset:140
	s_waitcnt vmcnt(3)
	buffer_store_dword v40, off, s[0:3], 0 offset:136
	s_waitcnt vmcnt(3)
	buffer_store_dword v41, off, s[0:3], 0 offset:140
	s_waitcnt vmcnt(3)
	buffer_store_dword v42, v39, s[0:3], 0 offen
	s_waitcnt vmcnt(3)
	buffer_store_dword v43, v39, s[0:3], 0 offen offset:4
.LBB82_130:
	global_load_dword v0, v0, s[12:13] offset:64
	s_waitcnt vmcnt(0)
	v_add_u32_e32 v0, -1, v0
	v_cmp_eq_u32_e32 vcc, 16, v0
	s_cbranch_vccnz .LBB82_132
; %bb.131:
	v_lshlrev_b32_e32 v0, 3, v0
	buffer_load_dword v39, v0, s[0:3], 0 offen
	buffer_load_dword v40, v0, s[0:3], 0 offen offset:4
	buffer_load_dword v41, off, s[0:3], 0 offset:132
	buffer_load_dword v42, off, s[0:3], 0 offset:128
	s_waitcnt vmcnt(3)
	buffer_store_dword v39, off, s[0:3], 0 offset:128
	s_waitcnt vmcnt(3)
	buffer_store_dword v40, off, s[0:3], 0 offset:132
	s_waitcnt vmcnt(3)
	buffer_store_dword v41, v0, s[0:3], 0 offen offset:4
	s_waitcnt vmcnt(3)
	buffer_store_dword v42, v0, s[0:3], 0 offen
.LBB82_132:
	v_mov_b32_e32 v0, 0
	global_load_dword v39, v0, s[12:13] offset:60
	s_waitcnt vmcnt(0)
	v_add_u32_e32 v39, -1, v39
	v_cmp_eq_u32_e32 vcc, 15, v39
	s_cbranch_vccnz .LBB82_134
; %bb.133:
	v_lshlrev_b32_e32 v39, 3, v39
	buffer_load_dword v40, v39, s[0:3], 0 offen
	buffer_load_dword v41, v39, s[0:3], 0 offen offset:4
	buffer_load_dword v42, off, s[0:3], 0 offset:120
	buffer_load_dword v43, off, s[0:3], 0 offset:124
	s_waitcnt vmcnt(3)
	buffer_store_dword v40, off, s[0:3], 0 offset:120
	s_waitcnt vmcnt(3)
	buffer_store_dword v41, off, s[0:3], 0 offset:124
	s_waitcnt vmcnt(3)
	buffer_store_dword v42, v39, s[0:3], 0 offen
	s_waitcnt vmcnt(3)
	buffer_store_dword v43, v39, s[0:3], 0 offen offset:4
.LBB82_134:
	global_load_dword v0, v0, s[12:13] offset:56
	s_waitcnt vmcnt(0)
	v_add_u32_e32 v0, -1, v0
	v_cmp_eq_u32_e32 vcc, 14, v0
	s_cbranch_vccnz .LBB82_136
; %bb.135:
	v_lshlrev_b32_e32 v0, 3, v0
	buffer_load_dword v39, v0, s[0:3], 0 offen
	buffer_load_dword v40, v0, s[0:3], 0 offen offset:4
	buffer_load_dword v41, off, s[0:3], 0 offset:116
	buffer_load_dword v42, off, s[0:3], 0 offset:112
	s_waitcnt vmcnt(3)
	buffer_store_dword v39, off, s[0:3], 0 offset:112
	s_waitcnt vmcnt(3)
	buffer_store_dword v40, off, s[0:3], 0 offset:116
	s_waitcnt vmcnt(3)
	buffer_store_dword v41, v0, s[0:3], 0 offen offset:4
	s_waitcnt vmcnt(3)
	buffer_store_dword v42, v0, s[0:3], 0 offen
.LBB82_136:
	v_mov_b32_e32 v0, 0
	global_load_dword v39, v0, s[12:13] offset:52
	s_waitcnt vmcnt(0)
	v_add_u32_e32 v39, -1, v39
	v_cmp_eq_u32_e32 vcc, 13, v39
	s_cbranch_vccnz .LBB82_138
; %bb.137:
	v_lshlrev_b32_e32 v39, 3, v39
	buffer_load_dword v40, v39, s[0:3], 0 offen
	buffer_load_dword v41, v39, s[0:3], 0 offen offset:4
	buffer_load_dword v42, off, s[0:3], 0 offset:104
	buffer_load_dword v43, off, s[0:3], 0 offset:108
	s_waitcnt vmcnt(3)
	buffer_store_dword v40, off, s[0:3], 0 offset:104
	s_waitcnt vmcnt(3)
	buffer_store_dword v41, off, s[0:3], 0 offset:108
	s_waitcnt vmcnt(3)
	buffer_store_dword v42, v39, s[0:3], 0 offen
	s_waitcnt vmcnt(3)
	buffer_store_dword v43, v39, s[0:3], 0 offen offset:4
.LBB82_138:
	;; [unrolled: 41-line block ×8, first 2 shown]
	global_load_dword v0, v0, s[12:13]
	s_waitcnt vmcnt(0)
	v_add_u32_e32 v0, -1, v0
	v_cmp_eq_u32_e32 vcc, 0, v0
	s_cbranch_vccnz .LBB82_164
; %bb.163:
	v_lshlrev_b32_e32 v0, 3, v0
	buffer_load_dword v39, v0, s[0:3], 0 offen
	buffer_load_dword v40, v0, s[0:3], 0 offen offset:4
	buffer_load_dword v41, off, s[0:3], 0 offset:4
	buffer_load_dword v42, off, s[0:3], 0
	s_waitcnt vmcnt(3)
	buffer_store_dword v39, off, s[0:3], 0
	s_waitcnt vmcnt(3)
	buffer_store_dword v40, off, s[0:3], 0 offset:4
	s_waitcnt vmcnt(3)
	buffer_store_dword v41, v0, s[0:3], 0 offen offset:4
	s_waitcnt vmcnt(3)
	buffer_store_dword v42, v0, s[0:3], 0 offen
.LBB82_164:
	buffer_load_dword v39, off, s[0:3], 0
	buffer_load_dword v40, off, s[0:3], 0 offset:4
	s_waitcnt vmcnt(0)
	flat_store_dwordx2 v[1:2], v[39:40]
	buffer_load_dword v0, off, s[0:3], 0 offset:8
	s_nop 0
	buffer_load_dword v1, off, s[0:3], 0 offset:12
	s_waitcnt vmcnt(0)
	flat_store_dwordx2 v[3:4], v[0:1]
	buffer_load_dword v0, off, s[0:3], 0 offset:16
	s_nop 0
	;; [unrolled: 5-line block ×18, first 2 shown]
	buffer_load_dword v1, off, s[0:3], 0 offset:148
	s_waitcnt vmcnt(0)
	flat_store_dwordx2 v[37:38], v[0:1]
	s_endpgm
	.section	.rodata,"a",@progbits
	.p2align	6, 0x0
	.amdhsa_kernel _ZN9rocsolver6v33100L18getri_kernel_smallILi19E19rocblas_complex_numIfEPKPS3_EEvT1_iilPiilS8_bb
		.amdhsa_group_segment_fixed_size 312
		.amdhsa_private_segment_fixed_size 160
		.amdhsa_kernarg_size 60
		.amdhsa_user_sgpr_count 6
		.amdhsa_user_sgpr_private_segment_buffer 1
		.amdhsa_user_sgpr_dispatch_ptr 0
		.amdhsa_user_sgpr_queue_ptr 0
		.amdhsa_user_sgpr_kernarg_segment_ptr 1
		.amdhsa_user_sgpr_dispatch_id 0
		.amdhsa_user_sgpr_flat_scratch_init 0
		.amdhsa_user_sgpr_private_segment_size 0
		.amdhsa_uses_dynamic_stack 0
		.amdhsa_system_sgpr_private_segment_wavefront_offset 1
		.amdhsa_system_sgpr_workgroup_id_x 1
		.amdhsa_system_sgpr_workgroup_id_y 0
		.amdhsa_system_sgpr_workgroup_id_z 0
		.amdhsa_system_sgpr_workgroup_info 0
		.amdhsa_system_vgpr_workitem_id 0
		.amdhsa_next_free_vgpr 122
		.amdhsa_next_free_sgpr 21
		.amdhsa_reserve_vcc 1
		.amdhsa_reserve_flat_scratch 0
		.amdhsa_float_round_mode_32 0
		.amdhsa_float_round_mode_16_64 0
		.amdhsa_float_denorm_mode_32 3
		.amdhsa_float_denorm_mode_16_64 3
		.amdhsa_dx10_clamp 1
		.amdhsa_ieee_mode 1
		.amdhsa_fp16_overflow 0
		.amdhsa_exception_fp_ieee_invalid_op 0
		.amdhsa_exception_fp_denorm_src 0
		.amdhsa_exception_fp_ieee_div_zero 0
		.amdhsa_exception_fp_ieee_overflow 0
		.amdhsa_exception_fp_ieee_underflow 0
		.amdhsa_exception_fp_ieee_inexact 0
		.amdhsa_exception_int_div_zero 0
	.end_amdhsa_kernel
	.section	.text._ZN9rocsolver6v33100L18getri_kernel_smallILi19E19rocblas_complex_numIfEPKPS3_EEvT1_iilPiilS8_bb,"axG",@progbits,_ZN9rocsolver6v33100L18getri_kernel_smallILi19E19rocblas_complex_numIfEPKPS3_EEvT1_iilPiilS8_bb,comdat
.Lfunc_end82:
	.size	_ZN9rocsolver6v33100L18getri_kernel_smallILi19E19rocblas_complex_numIfEPKPS3_EEvT1_iilPiilS8_bb, .Lfunc_end82-_ZN9rocsolver6v33100L18getri_kernel_smallILi19E19rocblas_complex_numIfEPKPS3_EEvT1_iilPiilS8_bb
                                        ; -- End function
	.set _ZN9rocsolver6v33100L18getri_kernel_smallILi19E19rocblas_complex_numIfEPKPS3_EEvT1_iilPiilS8_bb.num_vgpr, 122
	.set _ZN9rocsolver6v33100L18getri_kernel_smallILi19E19rocblas_complex_numIfEPKPS3_EEvT1_iilPiilS8_bb.num_agpr, 0
	.set _ZN9rocsolver6v33100L18getri_kernel_smallILi19E19rocblas_complex_numIfEPKPS3_EEvT1_iilPiilS8_bb.numbered_sgpr, 21
	.set _ZN9rocsolver6v33100L18getri_kernel_smallILi19E19rocblas_complex_numIfEPKPS3_EEvT1_iilPiilS8_bb.num_named_barrier, 0
	.set _ZN9rocsolver6v33100L18getri_kernel_smallILi19E19rocblas_complex_numIfEPKPS3_EEvT1_iilPiilS8_bb.private_seg_size, 160
	.set _ZN9rocsolver6v33100L18getri_kernel_smallILi19E19rocblas_complex_numIfEPKPS3_EEvT1_iilPiilS8_bb.uses_vcc, 1
	.set _ZN9rocsolver6v33100L18getri_kernel_smallILi19E19rocblas_complex_numIfEPKPS3_EEvT1_iilPiilS8_bb.uses_flat_scratch, 0
	.set _ZN9rocsolver6v33100L18getri_kernel_smallILi19E19rocblas_complex_numIfEPKPS3_EEvT1_iilPiilS8_bb.has_dyn_sized_stack, 0
	.set _ZN9rocsolver6v33100L18getri_kernel_smallILi19E19rocblas_complex_numIfEPKPS3_EEvT1_iilPiilS8_bb.has_recursion, 0
	.set _ZN9rocsolver6v33100L18getri_kernel_smallILi19E19rocblas_complex_numIfEPKPS3_EEvT1_iilPiilS8_bb.has_indirect_call, 0
	.section	.AMDGPU.csdata,"",@progbits
; Kernel info:
; codeLenInByte = 19924
; TotalNumSgprs: 25
; NumVgprs: 122
; ScratchSize: 160
; MemoryBound: 0
; FloatMode: 240
; IeeeMode: 1
; LDSByteSize: 312 bytes/workgroup (compile time only)
; SGPRBlocks: 3
; VGPRBlocks: 30
; NumSGPRsForWavesPerEU: 25
; NumVGPRsForWavesPerEU: 122
; Occupancy: 2
; WaveLimiterHint : 1
; COMPUTE_PGM_RSRC2:SCRATCH_EN: 1
; COMPUTE_PGM_RSRC2:USER_SGPR: 6
; COMPUTE_PGM_RSRC2:TRAP_HANDLER: 0
; COMPUTE_PGM_RSRC2:TGID_X_EN: 1
; COMPUTE_PGM_RSRC2:TGID_Y_EN: 0
; COMPUTE_PGM_RSRC2:TGID_Z_EN: 0
; COMPUTE_PGM_RSRC2:TIDIG_COMP_CNT: 0
	.section	.text._ZN9rocsolver6v33100L18getri_kernel_smallILi20E19rocblas_complex_numIfEPKPS3_EEvT1_iilPiilS8_bb,"axG",@progbits,_ZN9rocsolver6v33100L18getri_kernel_smallILi20E19rocblas_complex_numIfEPKPS3_EEvT1_iilPiilS8_bb,comdat
	.globl	_ZN9rocsolver6v33100L18getri_kernel_smallILi20E19rocblas_complex_numIfEPKPS3_EEvT1_iilPiilS8_bb ; -- Begin function _ZN9rocsolver6v33100L18getri_kernel_smallILi20E19rocblas_complex_numIfEPKPS3_EEvT1_iilPiilS8_bb
	.p2align	8
	.type	_ZN9rocsolver6v33100L18getri_kernel_smallILi20E19rocblas_complex_numIfEPKPS3_EEvT1_iilPiilS8_bb,@function
_ZN9rocsolver6v33100L18getri_kernel_smallILi20E19rocblas_complex_numIfEPKPS3_EEvT1_iilPiilS8_bb: ; @_ZN9rocsolver6v33100L18getri_kernel_smallILi20E19rocblas_complex_numIfEPKPS3_EEvT1_iilPiilS8_bb
; %bb.0:
	s_add_u32 s0, s0, s7
	s_addc_u32 s1, s1, 0
	v_cmp_gt_u32_e32 vcc, 20, v0
	s_and_saveexec_b64 s[8:9], vcc
	s_cbranch_execz .LBB83_94
; %bb.1:
	s_load_dword s18, s[4:5], 0x38
	s_load_dwordx2 s[12:13], s[4:5], 0x0
	s_load_dwordx4 s[8:11], s[4:5], 0x28
	s_waitcnt lgkmcnt(0)
	s_bitcmp1_b32 s18, 8
	s_cselect_b64 s[14:15], -1, 0
	s_ashr_i32 s7, s6, 31
	s_lshl_b64 s[16:17], s[6:7], 3
	s_add_u32 s12, s12, s16
	s_addc_u32 s13, s13, s17
	s_load_dwordx2 s[16:17], s[12:13], 0x0
	s_bfe_u32 s12, s18, 0x10008
	s_cmp_eq_u32 s12, 0
                                        ; implicit-def: $sgpr12_sgpr13
	s_cbranch_scc1 .LBB83_3
; %bb.2:
	s_load_dword s12, s[4:5], 0x20
	s_load_dwordx2 s[18:19], s[4:5], 0x18
	s_mul_i32 s13, s8, s7
	s_mul_hi_u32 s20, s8, s6
	s_add_i32 s20, s20, s13
	s_mul_i32 s9, s9, s6
	s_add_i32 s9, s20, s9
	s_mul_i32 s8, s8, s6
	s_waitcnt lgkmcnt(0)
	s_ashr_i32 s13, s12, 31
	s_lshl_b64 s[8:9], s[8:9], 2
	s_add_u32 s18, s18, s8
	s_addc_u32 s19, s19, s9
	s_lshl_b64 s[8:9], s[12:13], 2
	s_add_u32 s12, s18, s8
	s_addc_u32 s13, s19, s9
.LBB83_3:
	s_load_dwordx2 s[8:9], s[4:5], 0x8
	s_load_dword s18, s[4:5], 0x38
	v_lshlrev_b32_e32 v43, 3, v0
	s_waitcnt lgkmcnt(0)
	s_ashr_i32 s5, s8, 31
	s_mov_b32 s4, s8
	s_lshl_b64 s[4:5], s[4:5], 3
	s_add_u32 s8, s16, s4
	s_addc_u32 s16, s17, s5
	v_mov_b32_e32 v2, s16
	v_add_co_u32_e32 v1, vcc, s8, v43
	v_addc_co_u32_e32 v2, vcc, 0, v2, vcc
	flat_load_dwordx2 v[5:6], v[1:2]
	s_mov_b32 s4, s9
	s_ashr_i32 s5, s9, 31
	s_lshl_b64 s[4:5], s[4:5], 3
	v_mov_b32_e32 v4, s5
	v_add_co_u32_e32 v3, vcc, s4, v1
	v_addc_co_u32_e32 v4, vcc, v2, v4, vcc
	s_add_i32 s4, s9, s9
	v_add_u32_e32 v9, s4, v0
	v_ashrrev_i32_e32 v10, 31, v9
	v_mov_b32_e32 v11, s16
	v_add_u32_e32 v12, s9, v9
	v_ashrrev_i32_e32 v13, 31, v12
	v_mov_b32_e32 v14, s16
	v_mov_b32_e32 v15, s16
	;; [unrolled: 1-line block ×16, first 2 shown]
	s_bitcmp0_b32 s18, 0
	s_waitcnt vmcnt(0) lgkmcnt(0)
	buffer_store_dword v6, off, s[0:3], 0 offset:4
	buffer_store_dword v5, off, s[0:3], 0
	flat_load_dwordx2 v[7:8], v[3:4]
	v_lshlrev_b64 v[5:6], 3, v[9:10]
	s_waitcnt vmcnt(0) lgkmcnt(0)
	buffer_store_dword v8, off, s[0:3], 0 offset:12
	buffer_store_dword v7, off, s[0:3], 0 offset:8
	v_add_co_u32_e32 v5, vcc, s8, v5
	v_addc_co_u32_e32 v6, vcc, v11, v6, vcc
	flat_load_dwordx2 v[10:11], v[5:6]
	v_lshlrev_b64 v[7:8], 3, v[12:13]
	s_waitcnt vmcnt(0) lgkmcnt(0)
	buffer_store_dword v11, off, s[0:3], 0 offset:20
	buffer_store_dword v10, off, s[0:3], 0 offset:16
	v_add_co_u32_e32 v7, vcc, s8, v7
	v_addc_co_u32_e32 v8, vcc, v14, v8, vcc
	flat_load_dwordx2 v[13:14], v[7:8]
	v_add_u32_e32 v11, s9, v12
	v_ashrrev_i32_e32 v12, 31, v11
	v_lshlrev_b64 v[9:10], 3, v[11:12]
	s_waitcnt vmcnt(0) lgkmcnt(0)
	buffer_store_dword v14, off, s[0:3], 0 offset:28
	buffer_store_dword v13, off, s[0:3], 0 offset:24
	v_add_co_u32_e32 v9, vcc, s8, v9
	v_addc_co_u32_e32 v10, vcc, v15, v10, vcc
	flat_load_dwordx2 v[13:14], v[9:10]
	v_add_u32_e32 v15, s9, v11
	v_ashrrev_i32_e32 v16, 31, v15
	v_lshlrev_b64 v[11:12], 3, v[15:16]
	v_add_u32_e32 v18, s9, v15
	v_add_co_u32_e32 v11, vcc, s8, v11
	v_addc_co_u32_e32 v12, vcc, v17, v12, vcc
	v_ashrrev_i32_e32 v19, 31, v18
	s_waitcnt vmcnt(0) lgkmcnt(0)
	buffer_store_dword v14, off, s[0:3], 0 offset:36
	buffer_store_dword v13, off, s[0:3], 0 offset:32
	flat_load_dwordx2 v[16:17], v[11:12]
	v_lshlrev_b64 v[13:14], 3, v[18:19]
	s_waitcnt vmcnt(0) lgkmcnt(0)
	buffer_store_dword v17, off, s[0:3], 0 offset:44
	buffer_store_dword v16, off, s[0:3], 0 offset:40
	v_add_co_u32_e32 v13, vcc, s8, v13
	v_addc_co_u32_e32 v14, vcc, v20, v14, vcc
	flat_load_dwordx2 v[19:20], v[13:14]
	v_add_u32_e32 v17, s9, v18
	v_ashrrev_i32_e32 v18, 31, v17
	v_lshlrev_b64 v[15:16], 3, v[17:18]
	s_waitcnt vmcnt(0) lgkmcnt(0)
	buffer_store_dword v20, off, s[0:3], 0 offset:52
	buffer_store_dword v19, off, s[0:3], 0 offset:48
	v_add_co_u32_e32 v15, vcc, s8, v15
	v_addc_co_u32_e32 v16, vcc, v21, v16, vcc
	flat_load_dwordx2 v[19:20], v[15:16]
	v_add_u32_e32 v21, s9, v17
	v_ashrrev_i32_e32 v22, 31, v21
	v_lshlrev_b64 v[17:18], 3, v[21:22]
	v_add_u32_e32 v24, s9, v21
	v_add_co_u32_e32 v17, vcc, s8, v17
	v_addc_co_u32_e32 v18, vcc, v23, v18, vcc
	v_ashrrev_i32_e32 v25, 31, v24
	s_waitcnt vmcnt(0) lgkmcnt(0)
	buffer_store_dword v20, off, s[0:3], 0 offset:60
	buffer_store_dword v19, off, s[0:3], 0 offset:56
	;; [unrolled: 27-line block ×4, first 2 shown]
	flat_load_dwordx2 v[34:35], v[29:30]
	v_lshlrev_b64 v[31:32], 3, v[36:37]
	s_waitcnt vmcnt(0) lgkmcnt(0)
	buffer_store_dword v35, off, s[0:3], 0 offset:116
	buffer_store_dword v34, off, s[0:3], 0 offset:112
	v_add_co_u32_e32 v31, vcc, s8, v31
	v_addc_co_u32_e32 v32, vcc, v38, v32, vcc
	flat_load_dwordx2 v[37:38], v[31:32]
	v_add_u32_e32 v35, s9, v36
	v_ashrrev_i32_e32 v36, 31, v35
	v_lshlrev_b64 v[33:34], 3, v[35:36]
	s_waitcnt vmcnt(0) lgkmcnt(0)
	buffer_store_dword v38, off, s[0:3], 0 offset:124
	buffer_store_dword v37, off, s[0:3], 0 offset:120
	v_add_co_u32_e32 v33, vcc, s8, v33
	v_addc_co_u32_e32 v34, vcc, v39, v34, vcc
	flat_load_dwordx2 v[37:38], v[33:34]
	v_add_u32_e32 v39, s9, v35
	v_ashrrev_i32_e32 v40, 31, v39
	v_lshlrev_b64 v[35:36], 3, v[39:40]
	v_add_u32_e32 v44, s9, v39
	v_add_co_u32_e32 v35, vcc, s8, v35
	v_addc_co_u32_e32 v36, vcc, v41, v36, vcc
	v_ashrrev_i32_e32 v45, 31, v44
	v_add_u32_e32 v39, s9, v44
	s_waitcnt vmcnt(0) lgkmcnt(0)
	buffer_store_dword v38, off, s[0:3], 0 offset:132
	buffer_store_dword v37, off, s[0:3], 0 offset:128
	flat_load_dwordx2 v[40:41], v[35:36]
	v_lshlrev_b64 v[37:38], 3, v[44:45]
	v_mov_b32_e32 v45, s16
	v_add_co_u32_e32 v37, vcc, s8, v37
	v_addc_co_u32_e32 v38, vcc, v42, v38, vcc
	s_waitcnt vmcnt(0) lgkmcnt(0)
	buffer_store_dword v41, off, s[0:3], 0 offset:140
	buffer_store_dword v40, off, s[0:3], 0 offset:136
	flat_load_dwordx2 v[41:42], v[37:38]
	v_ashrrev_i32_e32 v40, 31, v39
	v_lshlrev_b64 v[39:40], 3, v[39:40]
	s_waitcnt vmcnt(0) lgkmcnt(0)
	buffer_store_dword v42, off, s[0:3], 0 offset:148
	buffer_store_dword v41, off, s[0:3], 0 offset:144
	v_add_co_u32_e32 v39, vcc, s8, v39
	v_addc_co_u32_e32 v40, vcc, v45, v40, vcc
	flat_load_dwordx2 v[41:42], v[39:40]
	s_mov_b64 s[8:9], -1
	s_waitcnt vmcnt(0) lgkmcnt(0)
	buffer_store_dword v42, off, s[0:3], 0 offset:156
	buffer_store_dword v41, off, s[0:3], 0 offset:152
	s_cbranch_scc1 .LBB83_92
; %bb.4:
	v_cmp_eq_u32_e64 s[4:5], 0, v0
	s_and_saveexec_b64 s[8:9], s[4:5]
; %bb.5:
	v_mov_b32_e32 v41, 0
	ds_write_b32 v41, v41 offset:320
; %bb.6:
	s_or_b64 exec, exec, s[8:9]
	v_mov_b32_e32 v41, 0
	v_lshl_add_u32 v45, v0, 3, v41
	s_waitcnt lgkmcnt(0)
	; wave barrier
	buffer_load_dword v41, v45, s[0:3], 0 offen
	buffer_load_dword v42, v45, s[0:3], 0 offen offset:4
	s_waitcnt vmcnt(1)
	v_cmp_eq_f32_e32 vcc, 0, v41
	s_waitcnt vmcnt(0)
	v_cmp_eq_f32_e64 s[8:9], 0, v42
	s_and_b64 s[8:9], vcc, s[8:9]
	s_and_saveexec_b64 s[16:17], s[8:9]
	s_cbranch_execz .LBB83_10
; %bb.7:
	v_mov_b32_e32 v41, 0
	ds_read_b32 v44, v41 offset:320
	v_add_u32_e32 v42, 1, v0
	s_waitcnt lgkmcnt(0)
	v_readfirstlane_b32 s8, v44
	s_cmp_eq_u32 s8, 0
	s_cselect_b64 s[18:19], -1, 0
	v_cmp_gt_i32_e32 vcc, s8, v42
	s_or_b64 s[18:19], s[18:19], vcc
	s_and_b64 exec, exec, s[18:19]
	s_cbranch_execz .LBB83_10
; %bb.8:
	s_mov_b64 s[18:19], 0
	v_mov_b32_e32 v44, s8
.LBB83_9:                               ; =>This Inner Loop Header: Depth=1
	ds_cmpst_rtn_b32 v44, v41, v44, v42 offset:320
	s_waitcnt lgkmcnt(0)
	v_cmp_ne_u32_e32 vcc, 0, v44
	v_cmp_le_i32_e64 s[8:9], v44, v42
	s_and_b64 s[8:9], vcc, s[8:9]
	s_and_b64 s[8:9], exec, s[8:9]
	s_or_b64 s[18:19], s[8:9], s[18:19]
	s_andn2_b64 exec, exec, s[18:19]
	s_cbranch_execnz .LBB83_9
.LBB83_10:
	s_or_b64 exec, exec, s[16:17]
	v_mov_b32_e32 v42, 0
	; wave barrier
	ds_read_b32 v41, v42 offset:320
	s_and_saveexec_b64 s[8:9], s[4:5]
	s_cbranch_execz .LBB83_12
; %bb.11:
	s_lshl_b64 s[16:17], s[6:7], 2
	s_add_u32 s16, s10, s16
	s_addc_u32 s17, s11, s17
	s_waitcnt lgkmcnt(0)
	global_store_dword v42, v41, s[16:17]
.LBB83_12:
	s_or_b64 exec, exec, s[8:9]
	s_waitcnt lgkmcnt(0)
	v_cmp_ne_u32_e32 vcc, 0, v41
	s_mov_b64 s[8:9], 0
	s_cbranch_vccnz .LBB83_92
; %bb.13:
	buffer_load_dword v42, v45, s[0:3], 0 offen
	buffer_load_dword v44, v45, s[0:3], 0 offen offset:4
                                        ; implicit-def: $vgpr47
                                        ; implicit-def: $vgpr46
                                        ; implicit-def: $vgpr41
	s_waitcnt vmcnt(0)
	v_cmp_ngt_f32_e64 s[8:9], |v42|, |v44|
	s_and_saveexec_b64 s[16:17], s[8:9]
	s_xor_b64 s[8:9], exec, s[16:17]
	s_cbranch_execz .LBB83_15
; %bb.14:
	v_div_scale_f32 v41, s[16:17], v44, v44, v42
	v_div_scale_f32 v46, vcc, v42, v44, v42
	v_rcp_f32_e32 v47, v41
	v_fma_f32 v48, -v41, v47, 1.0
	v_fmac_f32_e32 v47, v48, v47
	v_mul_f32_e32 v48, v46, v47
	v_fma_f32 v49, -v41, v48, v46
	v_fmac_f32_e32 v48, v49, v47
	v_fma_f32 v41, -v41, v48, v46
	v_div_fmas_f32 v41, v41, v47, v48
	v_div_fixup_f32 v41, v41, v44, v42
	v_fmac_f32_e32 v44, v42, v41
	v_div_scale_f32 v42, s[16:17], v44, v44, 1.0
	v_div_scale_f32 v46, vcc, 1.0, v44, 1.0
	v_rcp_f32_e32 v47, v42
	v_fma_f32 v48, -v42, v47, 1.0
	v_fmac_f32_e32 v47, v48, v47
	v_mul_f32_e32 v48, v46, v47
	v_fma_f32 v49, -v42, v48, v46
	v_fmac_f32_e32 v48, v49, v47
	v_fma_f32 v42, -v42, v48, v46
	v_div_fmas_f32 v42, v42, v47, v48
	v_div_fixup_f32 v42, v42, v44, 1.0
	v_mul_f32_e32 v47, v41, v42
	v_xor_b32_e32 v46, 0x80000000, v42
	v_xor_b32_e32 v41, 0x80000000, v47
                                        ; implicit-def: $vgpr42
                                        ; implicit-def: $vgpr44
.LBB83_15:
	s_andn2_saveexec_b64 s[8:9], s[8:9]
	s_cbranch_execz .LBB83_17
; %bb.16:
	v_div_scale_f32 v41, s[16:17], v42, v42, v44
	v_div_scale_f32 v46, vcc, v44, v42, v44
	v_rcp_f32_e32 v47, v41
	v_fma_f32 v48, -v41, v47, 1.0
	v_fmac_f32_e32 v47, v48, v47
	v_mul_f32_e32 v48, v46, v47
	v_fma_f32 v49, -v41, v48, v46
	v_fmac_f32_e32 v48, v49, v47
	v_fma_f32 v41, -v41, v48, v46
	v_div_fmas_f32 v41, v41, v47, v48
	v_div_fixup_f32 v46, v41, v42, v44
	v_fmac_f32_e32 v42, v44, v46
	v_div_scale_f32 v41, s[16:17], v42, v42, 1.0
	v_div_scale_f32 v44, vcc, 1.0, v42, 1.0
	v_rcp_f32_e32 v47, v41
	v_fma_f32 v48, -v41, v47, 1.0
	v_fmac_f32_e32 v47, v48, v47
	v_mul_f32_e32 v48, v44, v47
	v_fma_f32 v49, -v41, v48, v44
	v_fmac_f32_e32 v48, v49, v47
	v_fma_f32 v41, -v41, v48, v44
	v_div_fmas_f32 v41, v41, v47, v48
	v_div_fixup_f32 v47, v41, v42, 1.0
	v_xor_b32_e32 v41, 0x80000000, v47
	v_mul_f32_e64 v46, v46, -v47
.LBB83_17:
	s_or_b64 exec, exec, s[8:9]
	buffer_store_dword v47, v45, s[0:3], 0 offen
	buffer_store_dword v46, v45, s[0:3], 0 offen offset:4
	buffer_load_dword v48, off, s[0:3], 0 offset:12
	s_nop 0
	buffer_load_dword v47, off, s[0:3], 0 offset:8
	v_xor_b32_e32 v42, 0x80000000, v46
	v_add_u32_e32 v44, 0xa0, v43
	s_waitcnt vmcnt(0)
	ds_write2_b64 v43, v[41:42], v[47:48] offset1:20
	s_waitcnt lgkmcnt(0)
	; wave barrier
	s_and_saveexec_b64 s[8:9], s[4:5]
	s_cbranch_execz .LBB83_19
; %bb.18:
	buffer_load_dword v48, v45, s[0:3], 0 offen offset:4
	buffer_load_dword v49, v45, s[0:3], 0 offen
	ds_read_b64 v[41:42], v44
	v_mov_b32_e32 v46, 0
	ds_read_b64 v[46:47], v46 offset:8
	s_waitcnt vmcnt(1) lgkmcnt(1)
	v_mul_f32_e32 v50, v42, v48
	v_mul_f32_e32 v48, v41, v48
	s_waitcnt vmcnt(0)
	v_fmac_f32_e32 v48, v42, v49
	v_fma_f32 v41, v41, v49, -v50
	v_add_f32_e32 v42, 0, v48
	v_add_f32_e32 v41, 0, v41
	s_waitcnt lgkmcnt(0)
	v_mul_f32_e32 v48, v42, v47
	v_mul_f32_e32 v47, v41, v47
	v_fma_f32 v41, v41, v46, -v48
	v_fmac_f32_e32 v47, v42, v46
	buffer_store_dword v41, off, s[0:3], 0 offset:8
	buffer_store_dword v47, off, s[0:3], 0 offset:12
.LBB83_19:
	s_or_b64 exec, exec, s[8:9]
	; wave barrier
	buffer_load_dword v41, off, s[0:3], 0 offset:16
	buffer_load_dword v42, off, s[0:3], 0 offset:20
	v_cmp_gt_u32_e32 vcc, 2, v0
	s_waitcnt vmcnt(0)
	ds_write_b64 v44, v[41:42]
	s_waitcnt lgkmcnt(0)
	; wave barrier
	s_and_saveexec_b64 s[8:9], vcc
	s_cbranch_execz .LBB83_23
; %bb.20:
	buffer_load_dword v46, v45, s[0:3], 0 offen offset:4
	buffer_load_dword v47, v45, s[0:3], 0 offen
	ds_read_b64 v[41:42], v44
	s_waitcnt vmcnt(1) lgkmcnt(0)
	v_mul_f32_e32 v45, v42, v46
	v_mul_f32_e32 v46, v41, v46
	s_waitcnt vmcnt(0)
	v_fma_f32 v41, v41, v47, -v45
	v_fmac_f32_e32 v46, v42, v47
	v_add_f32_e32 v42, 0, v41
	v_add_f32_e32 v41, 0, v46
	s_and_saveexec_b64 s[16:17], s[4:5]
	s_cbranch_execz .LBB83_22
; %bb.21:
	buffer_load_dword v47, off, s[0:3], 0 offset:12
	buffer_load_dword v48, off, s[0:3], 0 offset:8
	v_mov_b32_e32 v45, 0
	ds_read_b64 v[45:46], v45 offset:168
	s_waitcnt vmcnt(1) lgkmcnt(0)
	v_mul_f32_e32 v49, v45, v47
	v_mul_f32_e32 v47, v46, v47
	s_waitcnt vmcnt(0)
	v_fmac_f32_e32 v49, v46, v48
	v_fma_f32 v45, v45, v48, -v47
	v_add_f32_e32 v41, v41, v49
	v_add_f32_e32 v42, v42, v45
.LBB83_22:
	s_or_b64 exec, exec, s[16:17]
	v_mov_b32_e32 v45, 0
	ds_read_b64 v[45:46], v45 offset:16
	s_waitcnt lgkmcnt(0)
	v_mul_f32_e32 v47, v41, v46
	v_mul_f32_e32 v46, v42, v46
	v_fma_f32 v42, v42, v45, -v47
	v_fmac_f32_e32 v46, v41, v45
	buffer_store_dword v42, off, s[0:3], 0 offset:16
	buffer_store_dword v46, off, s[0:3], 0 offset:20
.LBB83_23:
	s_or_b64 exec, exec, s[8:9]
	; wave barrier
	buffer_load_dword v41, off, s[0:3], 0 offset:24
	buffer_load_dword v42, off, s[0:3], 0 offset:28
	v_cmp_gt_u32_e32 vcc, 3, v0
	s_waitcnt vmcnt(0)
	ds_write_b64 v44, v[41:42]
	v_add_u32_e32 v41, -1, v0
	s_waitcnt lgkmcnt(0)
	; wave barrier
	s_and_saveexec_b64 s[4:5], vcc
	s_cbranch_execz .LBB83_27
; %bb.24:
	v_add_u32_e32 v45, -1, v0
	v_add_u32_e32 v46, 0xa0, v43
	v_mov_b32_e32 v47, v43
	v_mov_b32_e32 v42, 0
	s_mov_b64 s[8:9], 0
	v_mov_b32_e32 v48, 0
.LBB83_25:                              ; =>This Inner Loop Header: Depth=1
	buffer_load_dword v51, v47, s[0:3], 0 offen offset:4
	buffer_load_dword v52, v47, s[0:3], 0 offen
	ds_read_b64 v[49:50], v46
	v_add_u32_e32 v45, 1, v45
	v_cmp_lt_u32_e32 vcc, 1, v45
	v_add_u32_e32 v46, 8, v46
	v_add_u32_e32 v47, 8, v47
	s_or_b64 s[8:9], vcc, s[8:9]
	s_waitcnt vmcnt(1) lgkmcnt(0)
	v_mul_f32_e32 v53, v50, v51
	v_mul_f32_e32 v51, v49, v51
	s_waitcnt vmcnt(0)
	v_fma_f32 v49, v49, v52, -v53
	v_fmac_f32_e32 v51, v50, v52
	v_add_f32_e32 v48, v48, v49
	v_add_f32_e32 v42, v42, v51
	s_andn2_b64 exec, exec, s[8:9]
	s_cbranch_execnz .LBB83_25
; %bb.26:
	s_or_b64 exec, exec, s[8:9]
	v_mov_b32_e32 v45, 0
	ds_read_b64 v[45:46], v45 offset:24
	s_waitcnt lgkmcnt(0)
	v_mul_f32_e32 v47, v42, v46
	v_mul_f32_e32 v46, v48, v46
	v_fma_f32 v47, v48, v45, -v47
	v_fmac_f32_e32 v46, v42, v45
	buffer_store_dword v47, off, s[0:3], 0 offset:24
	buffer_store_dword v46, off, s[0:3], 0 offset:28
.LBB83_27:
	s_or_b64 exec, exec, s[4:5]
	; wave barrier
	buffer_load_dword v45, off, s[0:3], 0 offset:32
	buffer_load_dword v46, off, s[0:3], 0 offset:36
	v_cmp_gt_u32_e32 vcc, 4, v0
	s_waitcnt vmcnt(0)
	ds_write_b64 v44, v[45:46]
	s_waitcnt lgkmcnt(0)
	; wave barrier
	s_and_saveexec_b64 s[4:5], vcc
	s_cbranch_execz .LBB83_31
; %bb.28:
	v_add_u32_e32 v45, -1, v0
	v_add_u32_e32 v46, 0xa0, v43
	v_mov_b32_e32 v47, v43
	v_mov_b32_e32 v42, 0
	s_mov_b64 s[8:9], 0
	v_mov_b32_e32 v48, 0
.LBB83_29:                              ; =>This Inner Loop Header: Depth=1
	buffer_load_dword v51, v47, s[0:3], 0 offen offset:4
	buffer_load_dword v52, v47, s[0:3], 0 offen
	ds_read_b64 v[49:50], v46
	v_add_u32_e32 v45, 1, v45
	v_cmp_lt_u32_e32 vcc, 2, v45
	v_add_u32_e32 v46, 8, v46
	v_add_u32_e32 v47, 8, v47
	s_or_b64 s[8:9], vcc, s[8:9]
	s_waitcnt vmcnt(1) lgkmcnt(0)
	v_mul_f32_e32 v53, v50, v51
	v_mul_f32_e32 v51, v49, v51
	s_waitcnt vmcnt(0)
	v_fma_f32 v49, v49, v52, -v53
	v_fmac_f32_e32 v51, v50, v52
	v_add_f32_e32 v48, v48, v49
	v_add_f32_e32 v42, v42, v51
	s_andn2_b64 exec, exec, s[8:9]
	s_cbranch_execnz .LBB83_29
; %bb.30:
	s_or_b64 exec, exec, s[8:9]
	v_mov_b32_e32 v45, 0
	ds_read_b64 v[45:46], v45 offset:32
	s_waitcnt lgkmcnt(0)
	v_mul_f32_e32 v47, v42, v46
	v_mul_f32_e32 v46, v48, v46
	v_fma_f32 v47, v48, v45, -v47
	v_fmac_f32_e32 v46, v42, v45
	buffer_store_dword v47, off, s[0:3], 0 offset:32
	buffer_store_dword v46, off, s[0:3], 0 offset:36
.LBB83_31:
	s_or_b64 exec, exec, s[4:5]
	; wave barrier
	buffer_load_dword v45, off, s[0:3], 0 offset:40
	buffer_load_dword v46, off, s[0:3], 0 offset:44
	v_cmp_gt_u32_e32 vcc, 5, v0
	s_waitcnt vmcnt(0)
	ds_write_b64 v44, v[45:46]
	;; [unrolled: 49-line block ×15, first 2 shown]
	s_waitcnt lgkmcnt(0)
	; wave barrier
	s_and_saveexec_b64 s[4:5], vcc
	s_cbranch_execz .LBB83_87
; %bb.84:
	v_add_u32_e32 v45, -1, v0
	v_add_u32_e32 v46, 0xa0, v43
	v_mov_b32_e32 v47, v43
	v_mov_b32_e32 v42, 0
	s_mov_b64 s[8:9], 0
	v_mov_b32_e32 v48, 0
.LBB83_85:                              ; =>This Inner Loop Header: Depth=1
	buffer_load_dword v51, v47, s[0:3], 0 offen offset:4
	buffer_load_dword v52, v47, s[0:3], 0 offen
	ds_read_b64 v[49:50], v46
	v_add_u32_e32 v45, 1, v45
	v_cmp_lt_u32_e32 vcc, 16, v45
	v_add_u32_e32 v46, 8, v46
	v_add_u32_e32 v47, 8, v47
	s_or_b64 s[8:9], vcc, s[8:9]
	s_waitcnt vmcnt(1) lgkmcnt(0)
	v_mul_f32_e32 v53, v50, v51
	v_mul_f32_e32 v51, v49, v51
	s_waitcnt vmcnt(0)
	v_fma_f32 v49, v49, v52, -v53
	v_fmac_f32_e32 v51, v50, v52
	v_add_f32_e32 v48, v48, v49
	v_add_f32_e32 v42, v42, v51
	s_andn2_b64 exec, exec, s[8:9]
	s_cbranch_execnz .LBB83_85
; %bb.86:
	s_or_b64 exec, exec, s[8:9]
	v_mov_b32_e32 v45, 0
	ds_read_b64 v[45:46], v45 offset:144
	s_waitcnt lgkmcnt(0)
	v_mul_f32_e32 v47, v42, v46
	v_mul_f32_e32 v46, v48, v46
	v_fma_f32 v47, v48, v45, -v47
	v_fmac_f32_e32 v46, v42, v45
	buffer_store_dword v47, off, s[0:3], 0 offset:144
	buffer_store_dword v46, off, s[0:3], 0 offset:148
.LBB83_87:
	s_or_b64 exec, exec, s[4:5]
	; wave barrier
	buffer_load_dword v45, off, s[0:3], 0 offset:152
	buffer_load_dword v46, off, s[0:3], 0 offset:156
	v_cmp_ne_u32_e32 vcc, 19, v0
	s_waitcnt vmcnt(0)
	ds_write_b64 v44, v[45:46]
	s_waitcnt lgkmcnt(0)
	; wave barrier
	s_and_saveexec_b64 s[4:5], vcc
	s_cbranch_execz .LBB83_91
; %bb.88:
	v_add_u32_e32 v44, 0xa0, v43
	v_mov_b32_e32 v42, 0
	s_mov_b64 s[8:9], 0
	v_mov_b32_e32 v45, 0
.LBB83_89:                              ; =>This Inner Loop Header: Depth=1
	buffer_load_dword v48, v43, s[0:3], 0 offen offset:4
	buffer_load_dword v49, v43, s[0:3], 0 offen
	ds_read_b64 v[46:47], v44
	v_add_u32_e32 v41, 1, v41
	v_cmp_lt_u32_e32 vcc, 17, v41
	v_add_u32_e32 v44, 8, v44
	v_add_u32_e32 v43, 8, v43
	s_or_b64 s[8:9], vcc, s[8:9]
	s_waitcnt vmcnt(1) lgkmcnt(0)
	v_mul_f32_e32 v50, v47, v48
	v_mul_f32_e32 v48, v46, v48
	s_waitcnt vmcnt(0)
	v_fma_f32 v46, v46, v49, -v50
	v_fmac_f32_e32 v48, v47, v49
	v_add_f32_e32 v45, v45, v46
	v_add_f32_e32 v42, v42, v48
	s_andn2_b64 exec, exec, s[8:9]
	s_cbranch_execnz .LBB83_89
; %bb.90:
	s_or_b64 exec, exec, s[8:9]
	v_mov_b32_e32 v41, 0
	ds_read_b64 v[43:44], v41 offset:152
	s_waitcnt lgkmcnt(0)
	v_mul_f32_e32 v41, v42, v44
	v_mul_f32_e32 v44, v45, v44
	v_fma_f32 v41, v45, v43, -v41
	v_fmac_f32_e32 v44, v42, v43
	buffer_store_dword v41, off, s[0:3], 0 offset:152
	buffer_store_dword v44, off, s[0:3], 0 offset:156
.LBB83_91:
	s_or_b64 exec, exec, s[4:5]
	s_mov_b64 s[8:9], -1
	; wave barrier
.LBB83_92:
	s_and_b64 vcc, exec, s[8:9]
	s_cbranch_vccz .LBB83_94
; %bb.93:
	s_lshl_b64 s[4:5], s[6:7], 2
	s_add_u32 s4, s10, s4
	s_addc_u32 s5, s11, s5
	v_mov_b32_e32 v41, 0
	global_load_dword v41, v41, s[4:5]
	s_waitcnt vmcnt(0)
	v_cmp_ne_u32_e32 vcc, 0, v41
	s_cbranch_vccz .LBB83_95
.LBB83_94:
	s_endpgm
.LBB83_95:
	v_mov_b32_e32 v41, 0xa0
	v_lshl_add_u32 v41, v0, 3, v41
	v_cmp_eq_u32_e32 vcc, 19, v0
	s_and_saveexec_b64 s[4:5], vcc
	s_cbranch_execz .LBB83_97
; %bb.96:
	buffer_load_dword v42, off, s[0:3], 0 offset:144
	buffer_load_dword v43, off, s[0:3], 0 offset:148
	v_mov_b32_e32 v44, 0
	buffer_store_dword v44, off, s[0:3], 0 offset:144
	buffer_store_dword v44, off, s[0:3], 0 offset:148
	s_waitcnt vmcnt(2)
	ds_write_b64 v41, v[42:43]
.LBB83_97:
	s_or_b64 exec, exec, s[4:5]
	s_waitcnt lgkmcnt(0)
	; wave barrier
	buffer_load_dword v45, off, s[0:3], 0 offset:156
	buffer_load_dword v46, off, s[0:3], 0 offset:152
	;; [unrolled: 1-line block ×4, first 2 shown]
	v_mov_b32_e32 v42, 0
	ds_read_b64 v[43:44], v42 offset:312
	v_cmp_lt_u32_e32 vcc, 17, v0
	s_waitcnt vmcnt(3) lgkmcnt(0)
	v_mul_f32_e32 v49, v43, v45
	v_mul_f32_e32 v45, v44, v45
	s_waitcnt vmcnt(2)
	v_fma_f32 v43, v43, v46, -v45
	v_fmac_f32_e32 v49, v44, v46
	v_add_f32_e32 v43, 0, v43
	v_add_f32_e32 v44, 0, v49
	s_waitcnt vmcnt(1)
	v_sub_f32_e32 v43, v47, v43
	s_waitcnt vmcnt(0)
	v_sub_f32_e32 v44, v48, v44
	buffer_store_dword v43, off, s[0:3], 0 offset:144
	buffer_store_dword v44, off, s[0:3], 0 offset:148
	s_and_saveexec_b64 s[4:5], vcc
	s_cbranch_execz .LBB83_99
; %bb.98:
	buffer_load_dword v43, off, s[0:3], 0 offset:136
	buffer_load_dword v44, off, s[0:3], 0 offset:140
	s_waitcnt vmcnt(0)
	ds_write_b64 v41, v[43:44]
	buffer_store_dword v42, off, s[0:3], 0 offset:136
	buffer_store_dword v42, off, s[0:3], 0 offset:140
.LBB83_99:
	s_or_b64 exec, exec, s[4:5]
	s_waitcnt lgkmcnt(0)
	; wave barrier
	buffer_load_dword v46, off, s[0:3], 0 offset:148
	buffer_load_dword v47, off, s[0:3], 0 offset:156
	;; [unrolled: 1-line block ×6, first 2 shown]
	ds_read_b128 v[42:45], v42 offset:304
	v_cmp_lt_u32_e32 vcc, 16, v0
	s_waitcnt vmcnt(5) lgkmcnt(0)
	v_mul_f32_e32 v52, v42, v46
	v_mul_f32_e32 v46, v43, v46
	s_waitcnt vmcnt(4)
	v_mul_f32_e32 v53, v44, v47
	v_mul_f32_e32 v47, v45, v47
	s_waitcnt vmcnt(3)
	v_fma_f32 v42, v42, v48, -v46
	v_fmac_f32_e32 v52, v43, v48
	s_waitcnt vmcnt(2)
	v_fma_f32 v43, v44, v49, -v47
	v_add_f32_e32 v42, 0, v42
	v_fmac_f32_e32 v53, v45, v49
	v_add_f32_e32 v44, 0, v52
	v_add_f32_e32 v42, v42, v43
	v_add_f32_e32 v44, v44, v53
	s_waitcnt vmcnt(1)
	v_sub_f32_e32 v42, v50, v42
	s_waitcnt vmcnt(0)
	v_sub_f32_e32 v43, v51, v44
	buffer_store_dword v42, off, s[0:3], 0 offset:136
	buffer_store_dword v43, off, s[0:3], 0 offset:140
	s_and_saveexec_b64 s[4:5], vcc
	s_cbranch_execz .LBB83_101
; %bb.100:
	buffer_load_dword v42, off, s[0:3], 0 offset:128
	buffer_load_dword v43, off, s[0:3], 0 offset:132
	v_mov_b32_e32 v44, 0
	buffer_store_dword v44, off, s[0:3], 0 offset:128
	buffer_store_dword v44, off, s[0:3], 0 offset:132
	s_waitcnt vmcnt(2)
	ds_write_b64 v41, v[42:43]
.LBB83_101:
	s_or_b64 exec, exec, s[4:5]
	s_waitcnt lgkmcnt(0)
	; wave barrier
	buffer_load_dword v49, off, s[0:3], 0 offset:140
	buffer_load_dword v50, off, s[0:3], 0 offset:148
	buffer_load_dword v51, off, s[0:3], 0 offset:156
	buffer_load_dword v52, off, s[0:3], 0 offset:136
	buffer_load_dword v53, off, s[0:3], 0 offset:144
	buffer_load_dword v54, off, s[0:3], 0 offset:152
	buffer_load_dword v55, off, s[0:3], 0 offset:128
	buffer_load_dword v56, off, s[0:3], 0 offset:132
	v_mov_b32_e32 v42, 0
	ds_read2_b64 v[43:46], v42 offset0:37 offset1:38
	ds_read_b64 v[47:48], v42 offset:312
	v_cmp_lt_u32_e32 vcc, 15, v0
	s_waitcnt vmcnt(7) lgkmcnt(1)
	v_mul_f32_e32 v57, v43, v49
	v_mul_f32_e32 v49, v44, v49
	s_waitcnt vmcnt(6)
	v_mul_f32_e32 v58, v45, v50
	v_mul_f32_e32 v50, v46, v50
	s_waitcnt vmcnt(4)
	v_fma_f32 v43, v43, v52, -v49
	s_waitcnt lgkmcnt(0)
	v_mul_f32_e32 v59, v47, v51
	v_mul_f32_e32 v51, v48, v51
	v_fmac_f32_e32 v57, v44, v52
	s_waitcnt vmcnt(3)
	v_fma_f32 v44, v45, v53, -v50
	v_add_f32_e32 v43, 0, v43
	v_fmac_f32_e32 v58, v46, v53
	s_waitcnt vmcnt(2)
	v_fma_f32 v45, v47, v54, -v51
	v_add_f32_e32 v46, 0, v57
	v_add_f32_e32 v43, v43, v44
	v_fmac_f32_e32 v59, v48, v54
	v_add_f32_e32 v46, v46, v58
	v_add_f32_e32 v43, v43, v45
	;; [unrolled: 1-line block ×3, first 2 shown]
	s_waitcnt vmcnt(1)
	v_sub_f32_e32 v43, v55, v43
	s_waitcnt vmcnt(0)
	v_sub_f32_e32 v44, v56, v44
	buffer_store_dword v43, off, s[0:3], 0 offset:128
	buffer_store_dword v44, off, s[0:3], 0 offset:132
	s_and_saveexec_b64 s[4:5], vcc
	s_cbranch_execz .LBB83_103
; %bb.102:
	buffer_load_dword v43, off, s[0:3], 0 offset:120
	buffer_load_dword v44, off, s[0:3], 0 offset:124
	s_waitcnt vmcnt(0)
	ds_write_b64 v41, v[43:44]
	buffer_store_dword v42, off, s[0:3], 0 offset:120
	buffer_store_dword v42, off, s[0:3], 0 offset:124
.LBB83_103:
	s_or_b64 exec, exec, s[4:5]
	s_waitcnt lgkmcnt(0)
	; wave barrier
	ds_read_b128 v[43:46], v42 offset:288
	ds_read_b128 v[47:50], v42 offset:304
	buffer_load_dword v42, off, s[0:3], 0 offset:120
	buffer_load_dword v51, off, s[0:3], 0 offset:124
	;; [unrolled: 1-line block ×10, first 2 shown]
	v_cmp_lt_u32_e32 vcc, 14, v0
	s_waitcnt vmcnt(6) lgkmcnt(1)
	v_mul_f32_e32 v60, v43, v53
	v_fmac_f32_e32 v60, v44, v52
	v_mul_f32_e32 v44, v44, v53
	v_fma_f32 v43, v43, v52, -v44
	s_waitcnt vmcnt(4)
	v_mul_f32_e32 v44, v46, v55
	v_mul_f32_e32 v61, v45, v55
	v_add_f32_e32 v43, 0, v43
	v_fma_f32 v44, v45, v54, -v44
	v_add_f32_e32 v60, 0, v60
	v_fmac_f32_e32 v61, v46, v54
	v_add_f32_e32 v43, v43, v44
	s_waitcnt vmcnt(2) lgkmcnt(0)
	v_mul_f32_e32 v44, v48, v57
	v_add_f32_e32 v60, v60, v61
	v_mul_f32_e32 v61, v47, v57
	v_fma_f32 v44, v47, v56, -v44
	v_fmac_f32_e32 v61, v48, v56
	v_add_f32_e32 v43, v43, v44
	s_waitcnt vmcnt(0)
	v_mul_f32_e32 v44, v50, v59
	v_add_f32_e32 v60, v60, v61
	v_mul_f32_e32 v61, v49, v59
	v_fma_f32 v44, v49, v58, -v44
	v_fmac_f32_e32 v61, v50, v58
	v_add_f32_e32 v43, v43, v44
	v_add_f32_e32 v60, v60, v61
	v_sub_f32_e32 v42, v42, v43
	v_sub_f32_e32 v43, v51, v60
	buffer_store_dword v42, off, s[0:3], 0 offset:120
	buffer_store_dword v43, off, s[0:3], 0 offset:124
	s_and_saveexec_b64 s[4:5], vcc
	s_cbranch_execz .LBB83_105
; %bb.104:
	buffer_load_dword v42, off, s[0:3], 0 offset:112
	buffer_load_dword v43, off, s[0:3], 0 offset:116
	v_mov_b32_e32 v44, 0
	buffer_store_dword v44, off, s[0:3], 0 offset:112
	buffer_store_dword v44, off, s[0:3], 0 offset:116
	s_waitcnt vmcnt(2)
	ds_write_b64 v41, v[42:43]
.LBB83_105:
	s_or_b64 exec, exec, s[4:5]
	s_waitcnt lgkmcnt(0)
	; wave barrier
	buffer_load_dword v53, off, s[0:3], 0 offset:124
	buffer_load_dword v54, off, s[0:3], 0 offset:132
	;; [unrolled: 1-line block ×12, first 2 shown]
	v_mov_b32_e32 v42, 0
	ds_read2_b64 v[43:46], v42 offset0:35 offset1:36
	ds_read2_b64 v[47:50], v42 offset0:37 offset1:38
	ds_read_b64 v[51:52], v42 offset:312
	v_cmp_lt_u32_e32 vcc, 13, v0
	s_waitcnt vmcnt(11) lgkmcnt(2)
	v_mul_f32_e32 v65, v43, v53
	v_mul_f32_e32 v53, v44, v53
	s_waitcnt vmcnt(10)
	v_mul_f32_e32 v66, v45, v54
	v_mul_f32_e32 v54, v46, v54
	s_waitcnt vmcnt(9) lgkmcnt(1)
	v_mul_f32_e32 v67, v47, v55
	s_waitcnt vmcnt(6)
	v_fma_f32 v43, v43, v58, -v53
	v_mul_f32_e32 v55, v48, v55
	v_fmac_f32_e32 v65, v44, v58
	s_waitcnt vmcnt(5)
	v_fma_f32 v44, v45, v59, -v54
	v_add_f32_e32 v43, 0, v43
	v_mul_f32_e32 v68, v49, v56
	v_mul_f32_e32 v56, v50, v56
	v_fmac_f32_e32 v66, v46, v59
	s_waitcnt vmcnt(4)
	v_fmac_f32_e32 v67, v48, v60
	v_fma_f32 v45, v47, v60, -v55
	v_add_f32_e32 v48, 0, v65
	v_add_f32_e32 v43, v43, v44
	s_waitcnt lgkmcnt(0)
	v_mul_f32_e32 v69, v51, v57
	v_mul_f32_e32 v57, v52, v57
	s_waitcnt vmcnt(3)
	v_fma_f32 v46, v49, v61, -v56
	v_add_f32_e32 v48, v48, v66
	v_add_f32_e32 v43, v43, v45
	v_fmac_f32_e32 v68, v50, v61
	s_waitcnt vmcnt(2)
	v_fma_f32 v47, v51, v62, -v57
	v_add_f32_e32 v44, v48, v67
	v_add_f32_e32 v43, v43, v46
	v_fmac_f32_e32 v69, v52, v62
	v_add_f32_e32 v44, v44, v68
	v_add_f32_e32 v43, v43, v47
	;; [unrolled: 1-line block ×3, first 2 shown]
	s_waitcnt vmcnt(1)
	v_sub_f32_e32 v43, v63, v43
	s_waitcnt vmcnt(0)
	v_sub_f32_e32 v44, v64, v44
	buffer_store_dword v43, off, s[0:3], 0 offset:112
	buffer_store_dword v44, off, s[0:3], 0 offset:116
	s_and_saveexec_b64 s[4:5], vcc
	s_cbranch_execz .LBB83_107
; %bb.106:
	buffer_load_dword v43, off, s[0:3], 0 offset:104
	buffer_load_dword v44, off, s[0:3], 0 offset:108
	s_waitcnt vmcnt(0)
	ds_write_b64 v41, v[43:44]
	buffer_store_dword v42, off, s[0:3], 0 offset:104
	buffer_store_dword v42, off, s[0:3], 0 offset:108
.LBB83_107:
	s_or_b64 exec, exec, s[4:5]
	s_waitcnt lgkmcnt(0)
	; wave barrier
	buffer_load_dword v55, off, s[0:3], 0 offset:116
	buffer_load_dword v56, off, s[0:3], 0 offset:124
	buffer_load_dword v57, off, s[0:3], 0 offset:132
	buffer_load_dword v58, off, s[0:3], 0 offset:140
	buffer_load_dword v59, off, s[0:3], 0 offset:148
	buffer_load_dword v60, off, s[0:3], 0 offset:156
	buffer_load_dword v61, off, s[0:3], 0 offset:112
	buffer_load_dword v62, off, s[0:3], 0 offset:120
	buffer_load_dword v63, off, s[0:3], 0 offset:128
	buffer_load_dword v64, off, s[0:3], 0 offset:136
	buffer_load_dword v65, off, s[0:3], 0 offset:144
	buffer_load_dword v66, off, s[0:3], 0 offset:152
	buffer_load_dword v67, off, s[0:3], 0 offset:104
	buffer_load_dword v68, off, s[0:3], 0 offset:108
	ds_read_b128 v[43:46], v42 offset:272
	ds_read_b128 v[47:50], v42 offset:288
	;; [unrolled: 1-line block ×3, first 2 shown]
	v_cmp_lt_u32_e32 vcc, 12, v0
	s_waitcnt vmcnt(13) lgkmcnt(2)
	v_mul_f32_e32 v42, v43, v55
	v_mul_f32_e32 v55, v44, v55
	s_waitcnt vmcnt(12)
	v_mul_f32_e32 v69, v45, v56
	v_mul_f32_e32 v56, v46, v56
	s_waitcnt vmcnt(11) lgkmcnt(1)
	v_mul_f32_e32 v70, v47, v57
	v_mul_f32_e32 v57, v48, v57
	s_waitcnt vmcnt(7)
	v_fma_f32 v43, v43, v61, -v55
	v_fmac_f32_e32 v42, v44, v61
	s_waitcnt vmcnt(6)
	v_fma_f32 v44, v45, v62, -v56
	v_add_f32_e32 v43, 0, v43
	v_mul_f32_e32 v71, v49, v58
	v_mul_f32_e32 v58, v50, v58
	v_fmac_f32_e32 v69, v46, v62
	s_waitcnt vmcnt(5)
	v_fma_f32 v45, v47, v63, -v57
	v_add_f32_e32 v42, 0, v42
	v_add_f32_e32 v43, v43, v44
	s_waitcnt lgkmcnt(0)
	v_mul_f32_e32 v72, v51, v59
	v_mul_f32_e32 v59, v52, v59
	v_fmac_f32_e32 v70, v48, v63
	s_waitcnt vmcnt(4)
	v_fma_f32 v46, v49, v64, -v58
	v_add_f32_e32 v42, v42, v69
	v_add_f32_e32 v43, v43, v45
	v_mul_f32_e32 v73, v53, v60
	v_mul_f32_e32 v60, v54, v60
	v_fmac_f32_e32 v71, v50, v64
	s_waitcnt vmcnt(3)
	v_fma_f32 v47, v51, v65, -v59
	v_add_f32_e32 v42, v42, v70
	v_add_f32_e32 v43, v43, v46
	v_fmac_f32_e32 v72, v52, v65
	s_waitcnt vmcnt(2)
	v_fma_f32 v48, v53, v66, -v60
	v_add_f32_e32 v42, v42, v71
	v_add_f32_e32 v43, v43, v47
	v_fmac_f32_e32 v73, v54, v66
	v_add_f32_e32 v42, v42, v72
	v_add_f32_e32 v43, v43, v48
	;; [unrolled: 1-line block ×3, first 2 shown]
	s_waitcnt vmcnt(1)
	v_sub_f32_e32 v43, v67, v43
	s_waitcnt vmcnt(0)
	v_sub_f32_e32 v42, v68, v42
	buffer_store_dword v43, off, s[0:3], 0 offset:104
	buffer_store_dword v42, off, s[0:3], 0 offset:108
	s_and_saveexec_b64 s[4:5], vcc
	s_cbranch_execz .LBB83_109
; %bb.108:
	buffer_load_dword v42, off, s[0:3], 0 offset:96
	buffer_load_dword v43, off, s[0:3], 0 offset:100
	v_mov_b32_e32 v44, 0
	buffer_store_dword v44, off, s[0:3], 0 offset:96
	buffer_store_dword v44, off, s[0:3], 0 offset:100
	s_waitcnt vmcnt(2)
	ds_write_b64 v41, v[42:43]
.LBB83_109:
	s_or_b64 exec, exec, s[4:5]
	s_waitcnt lgkmcnt(0)
	; wave barrier
	buffer_load_dword v57, off, s[0:3], 0 offset:108
	buffer_load_dword v58, off, s[0:3], 0 offset:116
	;; [unrolled: 1-line block ×16, first 2 shown]
	v_mov_b32_e32 v42, 0
	ds_read2_b64 v[43:46], v42 offset0:33 offset1:34
	ds_read2_b64 v[47:50], v42 offset0:35 offset1:36
	;; [unrolled: 1-line block ×3, first 2 shown]
	ds_read_b64 v[55:56], v42 offset:312
	v_cmp_lt_u32_e32 vcc, 11, v0
	s_waitcnt vmcnt(15) lgkmcnt(3)
	v_mul_f32_e32 v73, v43, v57
	v_mul_f32_e32 v57, v44, v57
	s_waitcnt vmcnt(14)
	v_mul_f32_e32 v74, v45, v58
	v_mul_f32_e32 v58, v46, v58
	s_waitcnt vmcnt(13) lgkmcnt(2)
	v_mul_f32_e32 v75, v47, v59
	s_waitcnt vmcnt(12)
	v_mul_f32_e32 v76, v49, v60
	v_mul_f32_e32 v59, v48, v59
	s_waitcnt vmcnt(8)
	v_fma_f32 v43, v43, v64, -v57
	v_fmac_f32_e32 v73, v44, v64
	s_waitcnt vmcnt(7)
	v_fma_f32 v44, v45, v65, -v58
	v_add_f32_e32 v43, 0, v43
	v_mul_f32_e32 v60, v50, v60
	v_fmac_f32_e32 v74, v46, v65
	s_waitcnt vmcnt(5)
	v_fmac_f32_e32 v76, v50, v67
	v_fma_f32 v45, v47, v66, -v59
	v_add_f32_e32 v50, 0, v73
	v_add_f32_e32 v43, v43, v44
	s_waitcnt lgkmcnt(1)
	v_mul_f32_e32 v77, v51, v61
	v_mul_f32_e32 v61, v52, v61
	v_fmac_f32_e32 v75, v48, v66
	v_fma_f32 v46, v49, v67, -v60
	v_add_f32_e32 v50, v50, v74
	v_add_f32_e32 v43, v43, v45
	v_mul_f32_e32 v78, v53, v62
	v_mul_f32_e32 v62, v54, v62
	s_waitcnt vmcnt(4)
	v_fma_f32 v47, v51, v68, -v61
	v_add_f32_e32 v44, v50, v75
	v_add_f32_e32 v43, v43, v46
	s_waitcnt lgkmcnt(0)
	v_mul_f32_e32 v79, v55, v63
	v_mul_f32_e32 v63, v56, v63
	v_fmac_f32_e32 v77, v52, v68
	s_waitcnt vmcnt(3)
	v_fma_f32 v48, v53, v69, -v62
	v_add_f32_e32 v44, v44, v76
	v_add_f32_e32 v43, v43, v47
	v_fmac_f32_e32 v78, v54, v69
	s_waitcnt vmcnt(2)
	v_fma_f32 v49, v55, v70, -v63
	v_add_f32_e32 v44, v44, v77
	v_add_f32_e32 v43, v43, v48
	v_fmac_f32_e32 v79, v56, v70
	v_add_f32_e32 v44, v44, v78
	v_add_f32_e32 v43, v43, v49
	;; [unrolled: 1-line block ×3, first 2 shown]
	s_waitcnt vmcnt(1)
	v_sub_f32_e32 v43, v71, v43
	s_waitcnt vmcnt(0)
	v_sub_f32_e32 v44, v72, v44
	buffer_store_dword v43, off, s[0:3], 0 offset:96
	buffer_store_dword v44, off, s[0:3], 0 offset:100
	s_and_saveexec_b64 s[4:5], vcc
	s_cbranch_execz .LBB83_111
; %bb.110:
	buffer_load_dword v43, off, s[0:3], 0 offset:88
	buffer_load_dword v44, off, s[0:3], 0 offset:92
	s_waitcnt vmcnt(0)
	ds_write_b64 v41, v[43:44]
	buffer_store_dword v42, off, s[0:3], 0 offset:88
	buffer_store_dword v42, off, s[0:3], 0 offset:92
.LBB83_111:
	s_or_b64 exec, exec, s[4:5]
	s_waitcnt lgkmcnt(0)
	; wave barrier
	ds_read_b128 v[43:46], v42 offset:256
	ds_read_b128 v[47:50], v42 offset:272
	;; [unrolled: 1-line block ×4, first 2 shown]
	buffer_load_dword v42, off, s[0:3], 0 offset:88
	buffer_load_dword v59, off, s[0:3], 0 offset:92
	;; [unrolled: 1-line block ×16, first 2 shown]
	v_cmp_lt_u32_e32 vcc, 10, v0
	s_waitcnt vmcnt(12) lgkmcnt(3)
	v_mul_f32_e32 v74, v43, v61
	v_fmac_f32_e32 v74, v44, v60
	s_waitcnt vmcnt(10)
	v_mul_f32_e32 v75, v45, v63
	v_add_f32_e32 v74, 0, v74
	v_fmac_f32_e32 v75, v46, v62
	v_add_f32_e32 v74, v74, v75
	s_waitcnt vmcnt(8) lgkmcnt(2)
	v_mul_f32_e32 v75, v47, v65
	v_fmac_f32_e32 v75, v48, v64
	v_add_f32_e32 v74, v74, v75
	s_waitcnt vmcnt(6)
	v_mul_f32_e32 v75, v49, v67
	v_fmac_f32_e32 v75, v50, v66
	v_add_f32_e32 v74, v74, v75
	s_waitcnt vmcnt(4) lgkmcnt(1)
	v_mul_f32_e32 v75, v51, v69
	v_fmac_f32_e32 v75, v52, v68
	v_add_f32_e32 v74, v74, v75
	s_waitcnt vmcnt(2)
	v_mul_f32_e32 v75, v53, v71
	v_fmac_f32_e32 v75, v54, v70
	v_add_f32_e32 v74, v74, v75
	s_waitcnt vmcnt(0) lgkmcnt(0)
	v_mul_f32_e32 v75, v55, v73
	v_fmac_f32_e32 v75, v56, v72
	v_add_f32_e32 v74, v74, v75
	buffer_load_dword v75, off, s[0:3], 0 offset:152
	buffer_load_dword v76, off, s[0:3], 0 offset:156
	v_mul_f32_e32 v44, v44, v61
	v_fma_f32 v43, v43, v60, -v44
	v_mul_f32_e32 v44, v46, v63
	v_add_f32_e32 v43, 0, v43
	v_fma_f32 v44, v45, v62, -v44
	v_add_f32_e32 v43, v43, v44
	v_mul_f32_e32 v44, v48, v65
	v_fma_f32 v44, v47, v64, -v44
	v_add_f32_e32 v43, v43, v44
	v_mul_f32_e32 v44, v50, v67
	v_fma_f32 v44, v49, v66, -v44
	v_add_f32_e32 v43, v43, v44
	v_mul_f32_e32 v44, v52, v69
	v_fma_f32 v44, v51, v68, -v44
	v_add_f32_e32 v43, v43, v44
	v_mul_f32_e32 v44, v54, v71
	v_fma_f32 v44, v53, v70, -v44
	v_add_f32_e32 v43, v43, v44
	v_mul_f32_e32 v44, v56, v73
	v_fma_f32 v44, v55, v72, -v44
	v_add_f32_e32 v43, v43, v44
	s_waitcnt vmcnt(0)
	v_mul_f32_e32 v44, v58, v76
	v_mul_f32_e32 v77, v57, v76
	v_fma_f32 v44, v57, v75, -v44
	v_fmac_f32_e32 v77, v58, v75
	v_add_f32_e32 v43, v43, v44
	v_add_f32_e32 v74, v74, v77
	v_sub_f32_e32 v42, v42, v43
	v_sub_f32_e32 v43, v59, v74
	buffer_store_dword v42, off, s[0:3], 0 offset:88
	buffer_store_dword v43, off, s[0:3], 0 offset:92
	s_and_saveexec_b64 s[4:5], vcc
	s_cbranch_execz .LBB83_113
; %bb.112:
	buffer_load_dword v42, off, s[0:3], 0 offset:80
	buffer_load_dword v43, off, s[0:3], 0 offset:84
	v_mov_b32_e32 v44, 0
	buffer_store_dword v44, off, s[0:3], 0 offset:80
	buffer_store_dword v44, off, s[0:3], 0 offset:84
	s_waitcnt vmcnt(2)
	ds_write_b64 v41, v[42:43]
.LBB83_113:
	s_or_b64 exec, exec, s[4:5]
	v_mov_b32_e32 v42, 0
	s_waitcnt lgkmcnt(0)
	; wave barrier
	ds_read2_b64 v[43:46], v42 offset0:31 offset1:32
	buffer_load_dword v61, off, s[0:3], 0 offset:80
	buffer_load_dword v62, off, s[0:3], 0 offset:84
	;; [unrolled: 1-line block ×16, first 2 shown]
	v_cmp_lt_u32_e32 vcc, 9, v0
	s_waitcnt vmcnt(12) lgkmcnt(0)
	v_mul_f32_e32 v47, v43, v64
	v_fmac_f32_e32 v47, v44, v63
	s_waitcnt vmcnt(10)
	v_mul_f32_e32 v48, v45, v66
	v_add_f32_e32 v47, 0, v47
	v_fmac_f32_e32 v48, v46, v65
	v_add_f32_e32 v51, v47, v48
	ds_read2_b64 v[47:50], v42 offset0:33 offset1:34
	v_mul_f32_e32 v44, v44, v64
	v_fma_f32 v43, v43, v63, -v44
	v_mul_f32_e32 v44, v46, v66
	v_add_f32_e32 v43, 0, v43
	s_waitcnt vmcnt(8) lgkmcnt(0)
	v_mul_f32_e32 v52, v47, v68
	v_fmac_f32_e32 v52, v48, v67
	v_add_f32_e32 v51, v51, v52
	s_waitcnt vmcnt(6)
	v_mul_f32_e32 v52, v49, v70
	v_fmac_f32_e32 v52, v50, v69
	v_add_f32_e32 v55, v51, v52
	ds_read2_b64 v[51:54], v42 offset0:35 offset1:36
	v_fma_f32 v44, v45, v65, -v44
	v_add_f32_e32 v43, v43, v44
	v_mul_f32_e32 v44, v48, v68
	v_fma_f32 v44, v47, v67, -v44
	s_waitcnt vmcnt(4) lgkmcnt(0)
	v_mul_f32_e32 v56, v51, v72
	v_fmac_f32_e32 v56, v52, v71
	v_add_f32_e32 v55, v55, v56
	s_waitcnt vmcnt(2)
	v_mul_f32_e32 v56, v53, v74
	v_fmac_f32_e32 v56, v54, v73
	v_add_f32_e32 v59, v55, v56
	ds_read2_b64 v[55:58], v42 offset0:37 offset1:38
	buffer_load_dword v77, off, s[0:3], 0 offset:144
	buffer_load_dword v78, off, s[0:3], 0 offset:148
	v_add_f32_e32 v43, v43, v44
	v_mul_f32_e32 v44, v50, v70
	v_fma_f32 v44, v49, v69, -v44
	s_waitcnt vmcnt(2) lgkmcnt(0)
	v_mul_f32_e32 v60, v55, v76
	v_fmac_f32_e32 v60, v56, v75
	v_add_f32_e32 v59, v59, v60
	v_add_f32_e32 v43, v43, v44
	v_mul_f32_e32 v44, v52, v72
	v_fma_f32 v44, v51, v71, -v44
	v_add_f32_e32 v43, v43, v44
	v_mul_f32_e32 v44, v54, v74
	v_fma_f32 v44, v53, v73, -v44
	;; [unrolled: 3-line block ×3, first 2 shown]
	v_add_f32_e32 v43, v43, v44
	s_waitcnt vmcnt(0)
	v_mul_f32_e32 v60, v57, v78
	v_fmac_f32_e32 v60, v58, v77
	v_add_f32_e32 v79, v59, v60
	ds_read_b64 v[59:60], v42 offset:312
	buffer_load_dword v80, off, s[0:3], 0 offset:152
	buffer_load_dword v81, off, s[0:3], 0 offset:156
	v_mul_f32_e32 v44, v58, v78
	v_fma_f32 v44, v57, v77, -v44
	v_add_f32_e32 v43, v43, v44
	s_waitcnt vmcnt(0) lgkmcnt(0)
	v_mul_f32_e32 v44, v60, v81
	v_mul_f32_e32 v82, v59, v81
	v_fma_f32 v44, v59, v80, -v44
	v_fmac_f32_e32 v82, v60, v80
	v_add_f32_e32 v43, v43, v44
	v_add_f32_e32 v79, v79, v82
	v_sub_f32_e32 v43, v61, v43
	v_sub_f32_e32 v44, v62, v79
	buffer_store_dword v43, off, s[0:3], 0 offset:80
	buffer_store_dword v44, off, s[0:3], 0 offset:84
	s_and_saveexec_b64 s[4:5], vcc
	s_cbranch_execz .LBB83_115
; %bb.114:
	buffer_load_dword v43, off, s[0:3], 0 offset:72
	buffer_load_dword v44, off, s[0:3], 0 offset:76
	s_waitcnt vmcnt(0)
	ds_write_b64 v41, v[43:44]
	buffer_store_dword v42, off, s[0:3], 0 offset:72
	buffer_store_dword v42, off, s[0:3], 0 offset:76
.LBB83_115:
	s_or_b64 exec, exec, s[4:5]
	s_waitcnt lgkmcnt(0)
	; wave barrier
	buffer_load_dword v63, off, s[0:3], 0 offset:84
	buffer_load_dword v64, off, s[0:3], 0 offset:92
	;; [unrolled: 1-line block ×22, first 2 shown]
	ds_read_b128 v[43:46], v42 offset:240
	ds_read_b128 v[47:50], v42 offset:256
	;; [unrolled: 1-line block ×5, first 2 shown]
	v_cmp_lt_u32_e32 vcc, 8, v0
	s_waitcnt vmcnt(21) lgkmcnt(4)
	v_mul_f32_e32 v42, v43, v63
	v_mul_f32_e32 v63, v44, v63
	s_waitcnt vmcnt(20)
	v_mul_f32_e32 v85, v45, v64
	v_mul_f32_e32 v64, v46, v64
	s_waitcnt vmcnt(19) lgkmcnt(3)
	v_mul_f32_e32 v86, v47, v65
	v_mul_f32_e32 v65, v48, v65
	s_waitcnt vmcnt(18)
	v_mul_f32_e32 v87, v49, v66
	v_mul_f32_e32 v66, v50, v66
	s_waitcnt vmcnt(17) lgkmcnt(2)
	v_mul_f32_e32 v88, v51, v67
	v_mul_f32_e32 v67, v52, v67
	s_waitcnt vmcnt(11)
	v_fma_f32 v43, v43, v73, -v63
	v_fmac_f32_e32 v42, v44, v73
	s_waitcnt vmcnt(10)
	v_fma_f32 v44, v45, v74, -v64
	v_add_f32_e32 v43, 0, v43
	v_fmac_f32_e32 v85, v46, v74
	s_waitcnt vmcnt(9)
	v_fma_f32 v45, v47, v75, -v65
	v_add_f32_e32 v42, 0, v42
	v_add_f32_e32 v43, v43, v44
	v_fmac_f32_e32 v86, v48, v75
	s_waitcnt vmcnt(8)
	v_fma_f32 v46, v49, v76, -v66
	v_add_f32_e32 v42, v42, v85
	v_add_f32_e32 v43, v43, v45
	v_mul_f32_e32 v89, v53, v68
	v_mul_f32_e32 v68, v54, v68
	v_fmac_f32_e32 v87, v50, v76
	s_waitcnt vmcnt(7)
	v_fma_f32 v47, v51, v77, -v67
	v_add_f32_e32 v42, v42, v86
	v_add_f32_e32 v43, v43, v46
	s_waitcnt lgkmcnt(1)
	v_mul_f32_e32 v90, v55, v69
	v_mul_f32_e32 v69, v56, v69
	v_fmac_f32_e32 v88, v52, v77
	s_waitcnt vmcnt(6)
	v_fma_f32 v48, v53, v78, -v68
	v_add_f32_e32 v42, v42, v87
	v_add_f32_e32 v43, v43, v47
	v_mul_f32_e32 v91, v57, v70
	v_mul_f32_e32 v70, v58, v70
	v_fmac_f32_e32 v89, v54, v78
	s_waitcnt vmcnt(5)
	v_fma_f32 v49, v55, v79, -v69
	v_add_f32_e32 v42, v42, v88
	v_add_f32_e32 v43, v43, v48
	s_waitcnt lgkmcnt(0)
	v_mul_f32_e32 v92, v59, v71
	v_mul_f32_e32 v71, v60, v71
	v_fmac_f32_e32 v90, v56, v79
	s_waitcnt vmcnt(4)
	v_fma_f32 v50, v57, v80, -v70
	v_add_f32_e32 v42, v42, v89
	v_add_f32_e32 v43, v43, v49
	v_mul_f32_e32 v93, v61, v72
	v_mul_f32_e32 v72, v62, v72
	v_fmac_f32_e32 v91, v58, v80
	s_waitcnt vmcnt(3)
	v_fma_f32 v51, v59, v81, -v71
	v_add_f32_e32 v42, v42, v90
	v_add_f32_e32 v43, v43, v50
	v_fmac_f32_e32 v92, v60, v81
	s_waitcnt vmcnt(2)
	v_fma_f32 v52, v61, v82, -v72
	v_add_f32_e32 v42, v42, v91
	v_add_f32_e32 v43, v43, v51
	v_fmac_f32_e32 v93, v62, v82
	v_add_f32_e32 v42, v42, v92
	v_add_f32_e32 v43, v43, v52
	;; [unrolled: 1-line block ×3, first 2 shown]
	s_waitcnt vmcnt(1)
	v_sub_f32_e32 v43, v83, v43
	s_waitcnt vmcnt(0)
	v_sub_f32_e32 v42, v84, v42
	buffer_store_dword v43, off, s[0:3], 0 offset:72
	buffer_store_dword v42, off, s[0:3], 0 offset:76
	s_and_saveexec_b64 s[4:5], vcc
	s_cbranch_execz .LBB83_117
; %bb.116:
	buffer_load_dword v42, off, s[0:3], 0 offset:64
	buffer_load_dword v43, off, s[0:3], 0 offset:68
	v_mov_b32_e32 v44, 0
	buffer_store_dword v44, off, s[0:3], 0 offset:64
	buffer_store_dword v44, off, s[0:3], 0 offset:68
	s_waitcnt vmcnt(2)
	ds_write_b64 v41, v[42:43]
.LBB83_117:
	s_or_b64 exec, exec, s[4:5]
	s_waitcnt lgkmcnt(0)
	; wave barrier
	buffer_load_dword v65, off, s[0:3], 0 offset:76
	buffer_load_dword v66, off, s[0:3], 0 offset:84
	;; [unrolled: 1-line block ×24, first 2 shown]
	v_mov_b32_e32 v42, 0
	ds_read2_b64 v[43:46], v42 offset0:29 offset1:30
	ds_read2_b64 v[47:50], v42 offset0:31 offset1:32
	;; [unrolled: 1-line block ×5, first 2 shown]
	ds_read_b64 v[63:64], v42 offset:312
	v_cmp_lt_u32_e32 vcc, 7, v0
	s_waitcnt vmcnt(23) lgkmcnt(5)
	v_mul_f32_e32 v89, v43, v65
	v_mul_f32_e32 v65, v44, v65
	s_waitcnt vmcnt(22)
	v_mul_f32_e32 v90, v45, v66
	v_mul_f32_e32 v66, v46, v66
	s_waitcnt vmcnt(21) lgkmcnt(4)
	v_mul_f32_e32 v91, v47, v67
	v_mul_f32_e32 v67, v48, v67
	s_waitcnt vmcnt(20)
	v_mul_f32_e32 v92, v49, v68
	s_waitcnt vmcnt(19) lgkmcnt(3)
	v_mul_f32_e32 v93, v51, v69
	v_mul_f32_e32 v68, v50, v68
	;; [unrolled: 1-line block ×3, first 2 shown]
	s_waitcnt vmcnt(18)
	v_mul_f32_e32 v94, v53, v70
	s_waitcnt vmcnt(12)
	v_fma_f32 v43, v43, v76, -v65
	v_fmac_f32_e32 v89, v44, v76
	s_waitcnt vmcnt(11)
	v_fma_f32 v44, v45, v77, -v66
	v_add_f32_e32 v43, 0, v43
	s_waitcnt vmcnt(10)
	v_fma_f32 v45, v47, v78, -v67
	v_add_f32_e32 v43, v43, v44
	v_fmac_f32_e32 v90, v46, v77
	s_waitcnt vmcnt(8)
	v_fmac_f32_e32 v93, v52, v80
	v_fma_f32 v46, v49, v79, -v68
	v_add_f32_e32 v52, 0, v89
	v_add_f32_e32 v43, v43, v45
	v_mul_f32_e32 v70, v54, v70
	v_fmac_f32_e32 v91, v48, v78
	v_fma_f32 v47, v51, v80, -v69
	v_add_f32_e32 v52, v52, v90
	v_add_f32_e32 v43, v43, v46
	s_waitcnt lgkmcnt(2)
	v_mul_f32_e32 v95, v55, v71
	v_mul_f32_e32 v71, v56, v71
	v_fmac_f32_e32 v92, v50, v79
	s_waitcnt vmcnt(7)
	v_fma_f32 v48, v53, v81, -v70
	v_add_f32_e32 v44, v52, v91
	v_add_f32_e32 v43, v43, v47
	v_mul_f32_e32 v96, v57, v72
	v_mul_f32_e32 v72, v58, v72
	s_waitcnt vmcnt(6)
	v_fma_f32 v49, v55, v82, -v71
	v_add_f32_e32 v44, v44, v92
	v_add_f32_e32 v43, v43, v48
	s_waitcnt lgkmcnt(1)
	v_mul_f32_e32 v97, v59, v73
	v_mul_f32_e32 v73, v60, v73
	v_fmac_f32_e32 v94, v54, v81
	s_waitcnt vmcnt(5)
	v_fma_f32 v50, v57, v83, -v72
	v_add_f32_e32 v44, v44, v93
	v_add_f32_e32 v43, v43, v49
	v_fmac_f32_e32 v95, v56, v82
	s_waitcnt vmcnt(4)
	v_fma_f32 v51, v59, v84, -v73
	v_add_f32_e32 v44, v44, v94
	v_add_f32_e32 v43, v43, v50
	v_mul_f32_e32 v45, v62, v74
	v_fmac_f32_e32 v96, v58, v83
	v_add_f32_e32 v44, v44, v95
	v_add_f32_e32 v43, v43, v51
	s_waitcnt vmcnt(3)
	v_fma_f32 v45, v61, v85, -v45
	v_mul_f32_e32 v98, v61, v74
	v_fmac_f32_e32 v97, v60, v84
	v_add_f32_e32 v44, v44, v96
	v_add_f32_e32 v43, v43, v45
	s_waitcnt lgkmcnt(0)
	v_mul_f32_e32 v45, v64, v75
	v_mul_f32_e32 v99, v63, v75
	v_fmac_f32_e32 v98, v62, v85
	v_add_f32_e32 v44, v44, v97
	s_waitcnt vmcnt(2)
	v_fma_f32 v45, v63, v86, -v45
	v_fmac_f32_e32 v99, v64, v86
	v_add_f32_e32 v44, v44, v98
	v_add_f32_e32 v43, v43, v45
	;; [unrolled: 1-line block ×3, first 2 shown]
	s_waitcnt vmcnt(1)
	v_sub_f32_e32 v43, v87, v43
	s_waitcnt vmcnt(0)
	v_sub_f32_e32 v44, v88, v44
	buffer_store_dword v43, off, s[0:3], 0 offset:64
	buffer_store_dword v44, off, s[0:3], 0 offset:68
	s_and_saveexec_b64 s[4:5], vcc
	s_cbranch_execz .LBB83_119
; %bb.118:
	buffer_load_dword v43, off, s[0:3], 0 offset:56
	buffer_load_dword v44, off, s[0:3], 0 offset:60
	s_waitcnt vmcnt(0)
	ds_write_b64 v41, v[43:44]
	buffer_store_dword v42, off, s[0:3], 0 offset:56
	buffer_store_dword v42, off, s[0:3], 0 offset:60
.LBB83_119:
	s_or_b64 exec, exec, s[4:5]
	s_waitcnt lgkmcnt(0)
	; wave barrier
	buffer_load_dword v67, off, s[0:3], 0 offset:68
	buffer_load_dword v68, off, s[0:3], 0 offset:76
	;; [unrolled: 1-line block ×26, first 2 shown]
	ds_read_b128 v[43:46], v42 offset:224
	ds_read_b128 v[47:50], v42 offset:240
	;; [unrolled: 1-line block ×6, first 2 shown]
	v_cmp_lt_u32_e32 vcc, 6, v0
	s_waitcnt vmcnt(25) lgkmcnt(5)
	v_mul_f32_e32 v42, v43, v67
	v_mul_f32_e32 v67, v44, v67
	s_waitcnt vmcnt(24)
	v_mul_f32_e32 v93, v45, v68
	v_mul_f32_e32 v68, v46, v68
	s_waitcnt vmcnt(23) lgkmcnt(4)
	v_mul_f32_e32 v94, v47, v69
	v_mul_f32_e32 v69, v48, v69
	s_waitcnt vmcnt(22)
	v_mul_f32_e32 v95, v49, v70
	v_mul_f32_e32 v70, v50, v70
	;; [unrolled: 6-line block ×3, first 2 shown]
	s_waitcnt vmcnt(13)
	v_fma_f32 v43, v43, v79, -v67
	v_fmac_f32_e32 v42, v44, v79
	s_waitcnt vmcnt(12)
	v_fma_f32 v44, v45, v80, -v68
	v_add_f32_e32 v43, 0, v43
	s_waitcnt vmcnt(11)
	v_fma_f32 v45, v47, v81, -v69
	v_add_f32_e32 v43, v43, v44
	v_fmac_f32_e32 v93, v46, v80
	s_waitcnt vmcnt(10)
	v_fma_f32 v46, v49, v82, -v70
	v_add_f32_e32 v43, v43, v45
	s_waitcnt vmcnt(9)
	v_fma_f32 v47, v51, v83, -v71
	v_add_f32_e32 v43, v43, v46
	s_waitcnt lgkmcnt(2)
	v_mul_f32_e32 v98, v55, v73
	v_mul_f32_e32 v73, v56, v73
	v_fmac_f32_e32 v94, v48, v81
	s_waitcnt vmcnt(8)
	v_fma_f32 v48, v53, v84, -v72
	v_add_f32_e32 v42, 0, v42
	v_add_f32_e32 v43, v43, v47
	v_mul_f32_e32 v99, v57, v74
	v_mul_f32_e32 v74, v58, v74
	s_waitcnt vmcnt(7)
	v_fma_f32 v49, v55, v85, -v73
	v_add_f32_e32 v42, v42, v93
	v_add_f32_e32 v43, v43, v48
	v_fmac_f32_e32 v95, v50, v82
	s_waitcnt vmcnt(6)
	v_fma_f32 v50, v57, v86, -v74
	v_add_f32_e32 v42, v42, v94
	v_add_f32_e32 v43, v43, v49
	s_waitcnt lgkmcnt(1)
	v_mul_f32_e32 v44, v60, v75
	v_fmac_f32_e32 v96, v52, v83
	v_add_f32_e32 v42, v42, v95
	v_add_f32_e32 v43, v43, v50
	s_waitcnt vmcnt(5)
	v_fma_f32 v44, v59, v87, -v44
	v_fmac_f32_e32 v97, v54, v84
	v_add_f32_e32 v42, v42, v96
	v_add_f32_e32 v43, v43, v44
	v_mul_f32_e32 v44, v62, v76
	v_fmac_f32_e32 v98, v56, v85
	v_add_f32_e32 v42, v42, v97
	s_waitcnt vmcnt(4)
	v_fma_f32 v44, v61, v88, -v44
	v_mul_f32_e32 v100, v59, v75
	v_fmac_f32_e32 v99, v58, v86
	v_add_f32_e32 v42, v42, v98
	v_add_f32_e32 v43, v43, v44
	s_waitcnt lgkmcnt(0)
	v_mul_f32_e32 v44, v64, v77
	v_mul_f32_e32 v101, v61, v76
	v_fmac_f32_e32 v100, v60, v87
	v_add_f32_e32 v42, v42, v99
	s_waitcnt vmcnt(3)
	v_fma_f32 v44, v63, v89, -v44
	v_mul_f32_e32 v102, v63, v77
	v_fmac_f32_e32 v101, v62, v88
	v_add_f32_e32 v42, v42, v100
	v_add_f32_e32 v43, v43, v44
	v_mul_f32_e32 v44, v66, v78
	v_mul_f32_e32 v103, v65, v78
	v_fmac_f32_e32 v102, v64, v89
	v_add_f32_e32 v42, v42, v101
	s_waitcnt vmcnt(2)
	v_fma_f32 v44, v65, v90, -v44
	v_fmac_f32_e32 v103, v66, v90
	v_add_f32_e32 v42, v42, v102
	v_add_f32_e32 v43, v43, v44
	;; [unrolled: 1-line block ×3, first 2 shown]
	s_waitcnt vmcnt(1)
	v_sub_f32_e32 v43, v91, v43
	s_waitcnt vmcnt(0)
	v_sub_f32_e32 v42, v92, v42
	buffer_store_dword v43, off, s[0:3], 0 offset:56
	buffer_store_dword v42, off, s[0:3], 0 offset:60
	s_and_saveexec_b64 s[4:5], vcc
	s_cbranch_execz .LBB83_121
; %bb.120:
	buffer_load_dword v42, off, s[0:3], 0 offset:48
	buffer_load_dword v43, off, s[0:3], 0 offset:52
	v_mov_b32_e32 v44, 0
	buffer_store_dword v44, off, s[0:3], 0 offset:48
	buffer_store_dword v44, off, s[0:3], 0 offset:52
	s_waitcnt vmcnt(2)
	ds_write_b64 v41, v[42:43]
.LBB83_121:
	s_or_b64 exec, exec, s[4:5]
	s_waitcnt lgkmcnt(0)
	; wave barrier
	buffer_load_dword v69, off, s[0:3], 0 offset:60
	buffer_load_dword v70, off, s[0:3], 0 offset:68
	;; [unrolled: 1-line block ×28, first 2 shown]
	v_mov_b32_e32 v42, 0
	ds_read2_b64 v[43:46], v42 offset0:27 offset1:28
	ds_read2_b64 v[47:50], v42 offset0:29 offset1:30
	ds_read2_b64 v[51:54], v42 offset0:31 offset1:32
	ds_read2_b64 v[55:58], v42 offset0:33 offset1:34
	ds_read2_b64 v[59:62], v42 offset0:35 offset1:36
	ds_read2_b64 v[63:66], v42 offset0:37 offset1:38
	ds_read_b64 v[67:68], v42 offset:312
	v_cmp_lt_u32_e32 vcc, 5, v0
	s_waitcnt vmcnt(27) lgkmcnt(6)
	v_mul_f32_e32 v97, v43, v69
	v_mul_f32_e32 v69, v44, v69
	s_waitcnt vmcnt(26)
	v_mul_f32_e32 v98, v45, v70
	v_mul_f32_e32 v70, v46, v70
	s_waitcnt vmcnt(25) lgkmcnt(5)
	v_mul_f32_e32 v99, v47, v71
	v_mul_f32_e32 v71, v48, v71
	s_waitcnt vmcnt(24)
	v_mul_f32_e32 v100, v49, v72
	v_mul_f32_e32 v72, v50, v72
	;; [unrolled: 6-line block ×3, first 2 shown]
	s_waitcnt vmcnt(21) lgkmcnt(3)
	v_mul_f32_e32 v103, v55, v75
	s_waitcnt vmcnt(14)
	v_fma_f32 v43, v43, v82, -v69
	v_fmac_f32_e32 v97, v44, v82
	s_waitcnt vmcnt(13)
	v_fma_f32 v44, v45, v83, -v70
	v_add_f32_e32 v43, 0, v43
	s_waitcnt vmcnt(12)
	v_fma_f32 v45, v47, v84, -v71
	v_add_f32_e32 v43, v43, v44
	v_fmac_f32_e32 v98, v46, v83
	s_waitcnt vmcnt(11)
	v_fma_f32 v46, v49, v85, -v72
	v_add_f32_e32 v43, v43, v45
	s_waitcnt vmcnt(10)
	v_fma_f32 v47, v51, v86, -v73
	v_add_f32_e32 v43, v43, v46
	v_fmac_f32_e32 v99, v48, v84
	s_waitcnt vmcnt(9)
	v_fma_f32 v48, v53, v87, -v74
	v_add_f32_e32 v43, v43, v47
	v_mul_f32_e32 v45, v56, v75
	v_add_f32_e32 v43, v43, v48
	s_waitcnt vmcnt(8)
	v_fma_f32 v45, v55, v88, -v45
	v_add_f32_e32 v43, v43, v45
	v_mul_f32_e32 v45, v58, v76
	v_add_f32_e32 v49, 0, v97
	s_waitcnt vmcnt(7)
	v_fma_f32 v45, v57, v89, -v45
	v_add_f32_e32 v49, v49, v98
	v_add_f32_e32 v43, v43, v45
	s_waitcnt lgkmcnt(2)
	v_mul_f32_e32 v45, v60, v77
	v_fmac_f32_e32 v100, v50, v85
	v_add_f32_e32 v44, v49, v99
	s_waitcnt vmcnt(6)
	v_fma_f32 v45, v59, v90, -v45
	v_fmac_f32_e32 v101, v52, v86
	v_add_f32_e32 v44, v44, v100
	v_add_f32_e32 v43, v43, v45
	v_mul_f32_e32 v45, v62, v78
	v_fmac_f32_e32 v102, v54, v87
	v_add_f32_e32 v44, v44, v101
	s_waitcnt vmcnt(5)
	v_fma_f32 v45, v61, v91, -v45
	v_mul_f32_e32 v104, v57, v76
	v_fmac_f32_e32 v103, v56, v88
	v_add_f32_e32 v44, v44, v102
	v_add_f32_e32 v43, v43, v45
	s_waitcnt lgkmcnt(1)
	v_mul_f32_e32 v45, v64, v79
	v_mul_f32_e32 v105, v59, v77
	v_fmac_f32_e32 v104, v58, v89
	v_add_f32_e32 v44, v44, v103
	s_waitcnt vmcnt(4)
	v_fma_f32 v45, v63, v92, -v45
	v_mul_f32_e32 v106, v61, v78
	v_fmac_f32_e32 v105, v60, v90
	v_add_f32_e32 v44, v44, v104
	v_add_f32_e32 v43, v43, v45
	v_mul_f32_e32 v45, v66, v80
	v_mul_f32_e32 v107, v63, v79
	v_fmac_f32_e32 v106, v62, v91
	v_add_f32_e32 v44, v44, v105
	s_waitcnt vmcnt(3)
	v_fma_f32 v45, v65, v93, -v45
	v_mul_f32_e32 v108, v65, v80
	v_fmac_f32_e32 v107, v64, v92
	v_add_f32_e32 v44, v44, v106
	v_add_f32_e32 v43, v43, v45
	s_waitcnt lgkmcnt(0)
	v_mul_f32_e32 v45, v68, v81
	v_mul_f32_e32 v109, v67, v81
	v_fmac_f32_e32 v108, v66, v93
	v_add_f32_e32 v44, v44, v107
	s_waitcnt vmcnt(2)
	v_fma_f32 v45, v67, v94, -v45
	v_fmac_f32_e32 v109, v68, v94
	v_add_f32_e32 v44, v44, v108
	v_add_f32_e32 v43, v43, v45
	;; [unrolled: 1-line block ×3, first 2 shown]
	s_waitcnt vmcnt(1)
	v_sub_f32_e32 v43, v95, v43
	s_waitcnt vmcnt(0)
	v_sub_f32_e32 v44, v96, v44
	buffer_store_dword v43, off, s[0:3], 0 offset:48
	buffer_store_dword v44, off, s[0:3], 0 offset:52
	s_and_saveexec_b64 s[4:5], vcc
	s_cbranch_execz .LBB83_123
; %bb.122:
	buffer_load_dword v43, off, s[0:3], 0 offset:40
	buffer_load_dword v44, off, s[0:3], 0 offset:44
	s_waitcnt vmcnt(0)
	ds_write_b64 v41, v[43:44]
	buffer_store_dword v42, off, s[0:3], 0 offset:40
	buffer_store_dword v42, off, s[0:3], 0 offset:44
.LBB83_123:
	s_or_b64 exec, exec, s[4:5]
	s_waitcnt lgkmcnt(0)
	; wave barrier
	buffer_load_dword v71, off, s[0:3], 0 offset:52
	buffer_load_dword v72, off, s[0:3], 0 offset:60
	buffer_load_dword v73, off, s[0:3], 0 offset:68
	buffer_load_dword v74, off, s[0:3], 0 offset:76
	buffer_load_dword v75, off, s[0:3], 0 offset:84
	buffer_load_dword v76, off, s[0:3], 0 offset:92
	buffer_load_dword v77, off, s[0:3], 0 offset:100
	buffer_load_dword v78, off, s[0:3], 0 offset:108
	buffer_load_dword v79, off, s[0:3], 0 offset:116
	buffer_load_dword v80, off, s[0:3], 0 offset:124
	buffer_load_dword v81, off, s[0:3], 0 offset:132
	buffer_load_dword v82, off, s[0:3], 0 offset:140
	buffer_load_dword v83, off, s[0:3], 0 offset:148
	buffer_load_dword v84, off, s[0:3], 0 offset:156
	buffer_load_dword v85, off, s[0:3], 0 offset:48
	buffer_load_dword v86, off, s[0:3], 0 offset:56
	buffer_load_dword v87, off, s[0:3], 0 offset:64
	buffer_load_dword v88, off, s[0:3], 0 offset:72
	buffer_load_dword v89, off, s[0:3], 0 offset:80
	buffer_load_dword v90, off, s[0:3], 0 offset:88
	buffer_load_dword v91, off, s[0:3], 0 offset:96
	buffer_load_dword v92, off, s[0:3], 0 offset:104
	buffer_load_dword v93, off, s[0:3], 0 offset:112
	buffer_load_dword v94, off, s[0:3], 0 offset:120
	buffer_load_dword v95, off, s[0:3], 0 offset:128
	buffer_load_dword v96, off, s[0:3], 0 offset:136
	buffer_load_dword v97, off, s[0:3], 0 offset:144
	buffer_load_dword v98, off, s[0:3], 0 offset:152
	buffer_load_dword v99, off, s[0:3], 0 offset:40
	buffer_load_dword v100, off, s[0:3], 0 offset:44
	ds_read_b128 v[43:46], v42 offset:208
	ds_read_b128 v[47:50], v42 offset:224
	;; [unrolled: 1-line block ×7, first 2 shown]
	v_cmp_lt_u32_e32 vcc, 4, v0
	s_waitcnt vmcnt(29) lgkmcnt(6)
	v_mul_f32_e32 v42, v43, v71
	v_mul_f32_e32 v71, v44, v71
	s_waitcnt vmcnt(28)
	v_mul_f32_e32 v101, v45, v72
	v_mul_f32_e32 v72, v46, v72
	s_waitcnt vmcnt(27) lgkmcnt(5)
	v_mul_f32_e32 v102, v47, v73
	v_mul_f32_e32 v73, v48, v73
	s_waitcnt vmcnt(26)
	v_mul_f32_e32 v103, v49, v74
	v_mul_f32_e32 v74, v50, v74
	s_waitcnt vmcnt(25) lgkmcnt(4)
	v_mul_f32_e32 v104, v51, v75
	v_mul_f32_e32 v75, v52, v75
	s_waitcnt vmcnt(24)
	v_mul_f32_e32 v105, v53, v76
	s_waitcnt vmcnt(23) lgkmcnt(3)
	v_mul_f32_e32 v106, v55, v77
	s_waitcnt vmcnt(22)
	v_mul_f32_e32 v107, v57, v78
	s_waitcnt vmcnt(21) lgkmcnt(2)
	v_mul_f32_e32 v108, v59, v79
	s_waitcnt vmcnt(15)
	v_fma_f32 v43, v43, v85, -v71
	v_fmac_f32_e32 v42, v44, v85
	s_waitcnt vmcnt(14)
	v_fma_f32 v44, v45, v86, -v72
	v_add_f32_e32 v43, 0, v43
	s_waitcnt vmcnt(13)
	v_fma_f32 v45, v47, v87, -v73
	v_add_f32_e32 v43, v43, v44
	v_fmac_f32_e32 v101, v46, v86
	s_waitcnt vmcnt(12)
	v_fma_f32 v46, v49, v88, -v74
	v_add_f32_e32 v43, v43, v45
	s_waitcnt vmcnt(11)
	v_fma_f32 v47, v51, v89, -v75
	v_add_f32_e32 v43, v43, v46
	v_mul_f32_e32 v44, v54, v76
	v_add_f32_e32 v43, v43, v47
	s_waitcnt vmcnt(10)
	v_fma_f32 v44, v53, v90, -v44
	v_add_f32_e32 v43, v43, v44
	v_mul_f32_e32 v44, v56, v77
	s_waitcnt vmcnt(9)
	v_fma_f32 v44, v55, v91, -v44
	v_add_f32_e32 v43, v43, v44
	v_mul_f32_e32 v44, v58, v78
	s_waitcnt vmcnt(8)
	v_fma_f32 v44, v57, v92, -v44
	v_add_f32_e32 v42, 0, v42
	v_add_f32_e32 v43, v43, v44
	v_mul_f32_e32 v44, v60, v79
	v_fmac_f32_e32 v102, v48, v87
	v_add_f32_e32 v42, v42, v101
	s_waitcnt vmcnt(7)
	v_fma_f32 v44, v59, v93, -v44
	v_fmac_f32_e32 v103, v50, v88
	v_add_f32_e32 v42, v42, v102
	v_add_f32_e32 v43, v43, v44
	v_mul_f32_e32 v44, v62, v80
	v_fmac_f32_e32 v104, v52, v89
	v_add_f32_e32 v42, v42, v103
	s_waitcnt vmcnt(6)
	v_fma_f32 v44, v61, v94, -v44
	v_fmac_f32_e32 v105, v54, v90
	v_add_f32_e32 v42, v42, v104
	v_add_f32_e32 v43, v43, v44
	s_waitcnt lgkmcnt(1)
	v_mul_f32_e32 v44, v64, v81
	v_fmac_f32_e32 v106, v56, v91
	v_add_f32_e32 v42, v42, v105
	s_waitcnt vmcnt(5)
	v_fma_f32 v44, v63, v95, -v44
	v_fmac_f32_e32 v107, v58, v92
	v_add_f32_e32 v42, v42, v106
	v_add_f32_e32 v43, v43, v44
	v_mul_f32_e32 v44, v66, v82
	v_mul_f32_e32 v109, v61, v80
	v_fmac_f32_e32 v108, v60, v93
	v_add_f32_e32 v42, v42, v107
	s_waitcnt vmcnt(4)
	v_fma_f32 v44, v65, v96, -v44
	v_mul_f32_e32 v110, v63, v81
	v_fmac_f32_e32 v109, v62, v94
	v_add_f32_e32 v42, v42, v108
	v_add_f32_e32 v43, v43, v44
	s_waitcnt lgkmcnt(0)
	v_mul_f32_e32 v44, v68, v83
	v_mul_f32_e32 v111, v65, v82
	v_fmac_f32_e32 v110, v64, v95
	v_add_f32_e32 v42, v42, v109
	s_waitcnt vmcnt(3)
	v_fma_f32 v44, v67, v97, -v44
	v_mul_f32_e32 v112, v67, v83
	v_fmac_f32_e32 v111, v66, v96
	v_add_f32_e32 v42, v42, v110
	v_add_f32_e32 v43, v43, v44
	v_mul_f32_e32 v44, v70, v84
	v_mul_f32_e32 v113, v69, v84
	v_fmac_f32_e32 v112, v68, v97
	v_add_f32_e32 v42, v42, v111
	s_waitcnt vmcnt(2)
	v_fma_f32 v44, v69, v98, -v44
	v_fmac_f32_e32 v113, v70, v98
	v_add_f32_e32 v42, v42, v112
	v_add_f32_e32 v43, v43, v44
	;; [unrolled: 1-line block ×3, first 2 shown]
	s_waitcnt vmcnt(1)
	v_sub_f32_e32 v43, v99, v43
	s_waitcnt vmcnt(0)
	v_sub_f32_e32 v42, v100, v42
	buffer_store_dword v43, off, s[0:3], 0 offset:40
	buffer_store_dword v42, off, s[0:3], 0 offset:44
	s_and_saveexec_b64 s[4:5], vcc
	s_cbranch_execz .LBB83_125
; %bb.124:
	buffer_load_dword v42, off, s[0:3], 0 offset:32
	buffer_load_dword v43, off, s[0:3], 0 offset:36
	v_mov_b32_e32 v44, 0
	buffer_store_dword v44, off, s[0:3], 0 offset:32
	buffer_store_dword v44, off, s[0:3], 0 offset:36
	s_waitcnt vmcnt(2)
	ds_write_b64 v41, v[42:43]
.LBB83_125:
	s_or_b64 exec, exec, s[4:5]
	s_waitcnt lgkmcnt(0)
	; wave barrier
	buffer_load_dword v73, off, s[0:3], 0 offset:44
	buffer_load_dword v74, off, s[0:3], 0 offset:52
	;; [unrolled: 1-line block ×32, first 2 shown]
	v_mov_b32_e32 v42, 0
	ds_read2_b64 v[43:46], v42 offset0:25 offset1:26
	ds_read2_b64 v[47:50], v42 offset0:27 offset1:28
	;; [unrolled: 1-line block ×7, first 2 shown]
	ds_read_b64 v[71:72], v42 offset:312
	v_cmp_lt_u32_e32 vcc, 3, v0
	s_waitcnt vmcnt(31) lgkmcnt(7)
	v_mul_f32_e32 v105, v43, v73
	v_mul_f32_e32 v73, v44, v73
	s_waitcnt vmcnt(30)
	v_mul_f32_e32 v106, v45, v74
	v_mul_f32_e32 v74, v46, v74
	s_waitcnt vmcnt(29) lgkmcnt(6)
	v_mul_f32_e32 v107, v47, v75
	v_mul_f32_e32 v75, v48, v75
	s_waitcnt vmcnt(28)
	v_mul_f32_e32 v108, v49, v76
	s_waitcnt vmcnt(27) lgkmcnt(5)
	v_mul_f32_e32 v109, v51, v77
	s_waitcnt vmcnt(26)
	v_mul_f32_e32 v110, v53, v78
	s_waitcnt vmcnt(25) lgkmcnt(4)
	;; [unrolled: 4-line block ×4, first 2 shown]
	v_mul_f32_e32 v115, v63, v83
	s_waitcnt vmcnt(20)
	v_mul_f32_e32 v116, v65, v84
	s_waitcnt vmcnt(16)
	v_fma_f32 v43, v43, v88, -v73
	v_fmac_f32_e32 v105, v44, v88
	s_waitcnt vmcnt(15)
	v_fma_f32 v44, v45, v89, -v74
	v_add_f32_e32 v43, 0, v43
	s_waitcnt vmcnt(14)
	v_fma_f32 v45, v47, v90, -v75
	v_add_f32_e32 v43, v43, v44
	v_add_f32_e32 v43, v43, v45
	v_mul_f32_e32 v45, v50, v76
	s_waitcnt vmcnt(13)
	v_fma_f32 v45, v49, v91, -v45
	v_add_f32_e32 v43, v43, v45
	v_mul_f32_e32 v45, v52, v77
	s_waitcnt vmcnt(12)
	v_fma_f32 v45, v51, v92, -v45
	v_add_f32_e32 v43, v43, v45
	v_mul_f32_e32 v45, v54, v78
	s_waitcnt vmcnt(11)
	v_fma_f32 v45, v53, v93, -v45
	v_add_f32_e32 v43, v43, v45
	v_mul_f32_e32 v45, v56, v79
	s_waitcnt vmcnt(10)
	v_fma_f32 v45, v55, v94, -v45
	v_add_f32_e32 v43, v43, v45
	v_mul_f32_e32 v45, v58, v80
	s_waitcnt vmcnt(9)
	v_fma_f32 v45, v57, v95, -v45
	v_add_f32_e32 v43, v43, v45
	v_mul_f32_e32 v45, v60, v81
	v_fmac_f32_e32 v106, v46, v89
	v_add_f32_e32 v46, 0, v105
	s_waitcnt vmcnt(8)
	v_fma_f32 v45, v59, v96, -v45
	v_fmac_f32_e32 v107, v48, v90
	v_add_f32_e32 v46, v46, v106
	v_add_f32_e32 v43, v43, v45
	v_mul_f32_e32 v45, v62, v82
	v_fmac_f32_e32 v108, v50, v91
	v_add_f32_e32 v44, v46, v107
	s_waitcnt vmcnt(7)
	v_fma_f32 v45, v61, v97, -v45
	v_fmac_f32_e32 v109, v52, v92
	v_add_f32_e32 v44, v44, v108
	;; [unrolled: 8-line block ×4, first 2 shown]
	v_add_f32_e32 v43, v43, v45
	s_waitcnt lgkmcnt(1)
	v_mul_f32_e32 v45, v68, v85
	v_fmac_f32_e32 v114, v62, v97
	v_add_f32_e32 v44, v44, v113
	s_waitcnt vmcnt(4)
	v_fma_f32 v45, v67, v100, -v45
	v_fmac_f32_e32 v115, v64, v98
	v_add_f32_e32 v44, v44, v114
	v_add_f32_e32 v43, v43, v45
	v_mul_f32_e32 v45, v70, v86
	v_mul_f32_e32 v117, v67, v85
	v_fmac_f32_e32 v116, v66, v99
	v_add_f32_e32 v44, v44, v115
	s_waitcnt vmcnt(3)
	v_fma_f32 v45, v69, v101, -v45
	v_mul_f32_e32 v118, v69, v86
	v_fmac_f32_e32 v117, v68, v100
	v_add_f32_e32 v44, v44, v116
	v_add_f32_e32 v43, v43, v45
	s_waitcnt lgkmcnt(0)
	v_mul_f32_e32 v45, v72, v87
	v_mul_f32_e32 v119, v71, v87
	v_fmac_f32_e32 v118, v70, v101
	v_add_f32_e32 v44, v44, v117
	s_waitcnt vmcnt(2)
	v_fma_f32 v45, v71, v102, -v45
	v_fmac_f32_e32 v119, v72, v102
	v_add_f32_e32 v44, v44, v118
	v_add_f32_e32 v43, v43, v45
	;; [unrolled: 1-line block ×3, first 2 shown]
	s_waitcnt vmcnt(1)
	v_sub_f32_e32 v43, v103, v43
	s_waitcnt vmcnt(0)
	v_sub_f32_e32 v44, v104, v44
	buffer_store_dword v43, off, s[0:3], 0 offset:32
	buffer_store_dword v44, off, s[0:3], 0 offset:36
	s_and_saveexec_b64 s[4:5], vcc
	s_cbranch_execz .LBB83_127
; %bb.126:
	buffer_load_dword v43, off, s[0:3], 0 offset:24
	buffer_load_dword v44, off, s[0:3], 0 offset:28
	s_waitcnt vmcnt(0)
	ds_write_b64 v41, v[43:44]
	buffer_store_dword v42, off, s[0:3], 0 offset:24
	buffer_store_dword v42, off, s[0:3], 0 offset:28
.LBB83_127:
	s_or_b64 exec, exec, s[4:5]
	s_waitcnt lgkmcnt(0)
	; wave barrier
	buffer_load_dword v75, off, s[0:3], 0 offset:36
	buffer_load_dword v76, off, s[0:3], 0 offset:44
	;; [unrolled: 1-line block ×34, first 2 shown]
	ds_read_b128 v[43:46], v42 offset:192
	ds_read_b128 v[47:50], v42 offset:208
	;; [unrolled: 1-line block ×8, first 2 shown]
	v_cmp_lt_u32_e32 vcc, 2, v0
	s_waitcnt vmcnt(33) lgkmcnt(7)
	v_mul_f32_e32 v42, v43, v75
	v_mul_f32_e32 v75, v44, v75
	s_waitcnt vmcnt(32)
	v_mul_f32_e32 v109, v45, v76
	v_mul_f32_e32 v76, v46, v76
	s_waitcnt vmcnt(31) lgkmcnt(6)
	v_mul_f32_e32 v110, v47, v77
	s_waitcnt vmcnt(30)
	v_mul_f32_e32 v111, v49, v78
	s_waitcnt vmcnt(29) lgkmcnt(5)
	v_mul_f32_e32 v112, v51, v79
	s_waitcnt vmcnt(28)
	;; [unrolled: 4-line block ×6, first 2 shown]
	v_mul_f32_e32 v121, v69, v88
	s_waitcnt vmcnt(17)
	v_fma_f32 v43, v43, v91, -v75
	v_fmac_f32_e32 v42, v44, v91
	s_waitcnt vmcnt(16)
	v_fma_f32 v44, v45, v92, -v76
	v_add_f32_e32 v43, 0, v43
	v_add_f32_e32 v43, v43, v44
	v_mul_f32_e32 v44, v48, v77
	s_waitcnt vmcnt(15)
	v_fma_f32 v44, v47, v93, -v44
	v_add_f32_e32 v43, v43, v44
	v_mul_f32_e32 v44, v50, v78
	s_waitcnt vmcnt(14)
	v_fma_f32 v44, v49, v94, -v44
	;; [unrolled: 4-line block ×7, first 2 shown]
	v_fmac_f32_e32 v109, v46, v92
	v_add_f32_e32 v42, 0, v42
	v_add_f32_e32 v43, v43, v44
	v_mul_f32_e32 v44, v62, v84
	v_fmac_f32_e32 v110, v48, v93
	v_add_f32_e32 v42, v42, v109
	s_waitcnt vmcnt(8)
	v_fma_f32 v44, v61, v100, -v44
	v_fmac_f32_e32 v111, v50, v94
	v_add_f32_e32 v42, v42, v110
	v_add_f32_e32 v43, v43, v44
	v_mul_f32_e32 v44, v64, v85
	v_fmac_f32_e32 v112, v52, v95
	v_add_f32_e32 v42, v42, v111
	s_waitcnt vmcnt(7)
	v_fma_f32 v44, v63, v101, -v44
	;; [unrolled: 8-line block ×5, first 2 shown]
	v_fmac_f32_e32 v119, v66, v102
	v_add_f32_e32 v42, v42, v118
	v_add_f32_e32 v43, v43, v44
	s_waitcnt lgkmcnt(0)
	v_mul_f32_e32 v44, v72, v89
	v_fmac_f32_e32 v120, v68, v103
	v_add_f32_e32 v42, v42, v119
	s_waitcnt vmcnt(3)
	v_fma_f32 v44, v71, v105, -v44
	v_mul_f32_e32 v122, v71, v89
	v_fmac_f32_e32 v121, v70, v104
	v_add_f32_e32 v42, v42, v120
	v_add_f32_e32 v43, v43, v44
	v_mul_f32_e32 v44, v74, v90
	v_mul_f32_e32 v123, v73, v90
	v_fmac_f32_e32 v122, v72, v105
	v_add_f32_e32 v42, v42, v121
	s_waitcnt vmcnt(2)
	v_fma_f32 v44, v73, v106, -v44
	v_fmac_f32_e32 v123, v74, v106
	v_add_f32_e32 v42, v42, v122
	v_add_f32_e32 v43, v43, v44
	;; [unrolled: 1-line block ×3, first 2 shown]
	s_waitcnt vmcnt(1)
	v_sub_f32_e32 v43, v107, v43
	s_waitcnt vmcnt(0)
	v_sub_f32_e32 v42, v108, v42
	buffer_store_dword v43, off, s[0:3], 0 offset:24
	buffer_store_dword v42, off, s[0:3], 0 offset:28
	s_and_saveexec_b64 s[4:5], vcc
	s_cbranch_execz .LBB83_129
; %bb.128:
	buffer_load_dword v42, off, s[0:3], 0 offset:16
	buffer_load_dword v43, off, s[0:3], 0 offset:20
	v_mov_b32_e32 v44, 0
	buffer_store_dword v44, off, s[0:3], 0 offset:16
	buffer_store_dword v44, off, s[0:3], 0 offset:20
	s_waitcnt vmcnt(2)
	ds_write_b64 v41, v[42:43]
.LBB83_129:
	s_or_b64 exec, exec, s[4:5]
	v_mov_b32_e32 v42, 0
	s_waitcnt lgkmcnt(0)
	; wave barrier
	ds_read2_b64 v[43:46], v42 offset0:23 offset1:24
	buffer_load_dword v77, off, s[0:3], 0 offset:16
	buffer_load_dword v78, off, s[0:3], 0 offset:20
	;; [unrolled: 1-line block ×16, first 2 shown]
	v_cmp_lt_u32_e32 vcc, 1, v0
	s_waitcnt vmcnt(12) lgkmcnt(0)
	v_mul_f32_e32 v47, v43, v80
	v_fmac_f32_e32 v47, v44, v79
	s_waitcnt vmcnt(10)
	v_mul_f32_e32 v48, v45, v82
	v_add_f32_e32 v47, 0, v47
	v_fmac_f32_e32 v48, v46, v81
	v_add_f32_e32 v51, v47, v48
	ds_read2_b64 v[47:50], v42 offset0:25 offset1:26
	v_mul_f32_e32 v44, v44, v80
	v_fma_f32 v43, v43, v79, -v44
	v_mul_f32_e32 v44, v46, v82
	v_add_f32_e32 v43, 0, v43
	s_waitcnt vmcnt(8) lgkmcnt(0)
	v_mul_f32_e32 v52, v47, v84
	v_fmac_f32_e32 v52, v48, v83
	v_add_f32_e32 v51, v51, v52
	s_waitcnt vmcnt(6)
	v_mul_f32_e32 v52, v49, v86
	v_fmac_f32_e32 v52, v50, v85
	v_add_f32_e32 v55, v51, v52
	ds_read2_b64 v[51:54], v42 offset0:27 offset1:28
	v_fma_f32 v44, v45, v81, -v44
	v_add_f32_e32 v43, v43, v44
	v_mul_f32_e32 v44, v48, v84
	v_fma_f32 v44, v47, v83, -v44
	s_waitcnt vmcnt(4) lgkmcnt(0)
	v_mul_f32_e32 v56, v51, v88
	v_fmac_f32_e32 v56, v52, v87
	v_add_f32_e32 v55, v55, v56
	s_waitcnt vmcnt(2)
	v_mul_f32_e32 v56, v53, v90
	v_fmac_f32_e32 v56, v54, v89
	v_add_f32_e32 v59, v55, v56
	ds_read2_b64 v[55:58], v42 offset0:29 offset1:30
	buffer_load_dword v93, off, s[0:3], 0 offset:80
	buffer_load_dword v94, off, s[0:3], 0 offset:84
	v_add_f32_e32 v43, v43, v44
	v_mul_f32_e32 v44, v50, v86
	v_fma_f32 v44, v49, v85, -v44
	s_waitcnt vmcnt(2) lgkmcnt(0)
	v_mul_f32_e32 v60, v55, v92
	v_fmac_f32_e32 v60, v56, v91
	v_add_f32_e32 v59, v59, v60
	v_add_f32_e32 v43, v43, v44
	v_mul_f32_e32 v44, v52, v88
	v_fma_f32 v44, v51, v87, -v44
	v_add_f32_e32 v43, v43, v44
	v_mul_f32_e32 v44, v54, v90
	v_fma_f32 v44, v53, v89, -v44
	;; [unrolled: 3-line block ×3, first 2 shown]
	v_add_f32_e32 v43, v43, v44
	s_waitcnt vmcnt(0)
	v_mul_f32_e32 v60, v57, v94
	v_fmac_f32_e32 v60, v58, v93
	v_add_f32_e32 v63, v59, v60
	ds_read2_b64 v[59:62], v42 offset0:31 offset1:32
	buffer_load_dword v95, off, s[0:3], 0 offset:88
	buffer_load_dword v96, off, s[0:3], 0 offset:92
	;; [unrolled: 1-line block ×4, first 2 shown]
	v_mul_f32_e32 v44, v58, v94
	v_fma_f32 v44, v57, v93, -v44
	v_add_f32_e32 v43, v43, v44
	s_waitcnt vmcnt(2) lgkmcnt(0)
	v_mul_f32_e32 v64, v59, v96
	v_fmac_f32_e32 v64, v60, v95
	v_add_f32_e32 v63, v63, v64
	s_waitcnt vmcnt(0)
	v_mul_f32_e32 v64, v61, v98
	v_fmac_f32_e32 v64, v62, v97
	v_add_f32_e32 v67, v63, v64
	ds_read2_b64 v[63:66], v42 offset0:33 offset1:34
	buffer_load_dword v99, off, s[0:3], 0 offset:104
	buffer_load_dword v100, off, s[0:3], 0 offset:108
	buffer_load_dword v101, off, s[0:3], 0 offset:112
	buffer_load_dword v102, off, s[0:3], 0 offset:116
	v_mul_f32_e32 v44, v60, v96
	v_fma_f32 v44, v59, v95, -v44
	v_add_f32_e32 v43, v43, v44
	v_mul_f32_e32 v44, v62, v98
	v_fma_f32 v44, v61, v97, -v44
	v_add_f32_e32 v43, v43, v44
	s_waitcnt vmcnt(2) lgkmcnt(0)
	v_mul_f32_e32 v68, v63, v100
	v_fmac_f32_e32 v68, v64, v99
	v_add_f32_e32 v67, v67, v68
	s_waitcnt vmcnt(0)
	v_mul_f32_e32 v68, v65, v102
	v_fmac_f32_e32 v68, v66, v101
	v_add_f32_e32 v71, v67, v68
	ds_read2_b64 v[67:70], v42 offset0:35 offset1:36
	buffer_load_dword v103, off, s[0:3], 0 offset:120
	buffer_load_dword v104, off, s[0:3], 0 offset:124
	buffer_load_dword v105, off, s[0:3], 0 offset:128
	buffer_load_dword v106, off, s[0:3], 0 offset:132
	v_mul_f32_e32 v44, v64, v100
	v_fma_f32 v44, v63, v99, -v44
	v_add_f32_e32 v43, v43, v44
	v_mul_f32_e32 v44, v66, v102
	v_fma_f32 v44, v65, v101, -v44
	v_add_f32_e32 v43, v43, v44
	s_waitcnt vmcnt(2) lgkmcnt(0)
	v_mul_f32_e32 v72, v67, v104
	v_fmac_f32_e32 v72, v68, v103
	v_add_f32_e32 v71, v71, v72
	s_waitcnt vmcnt(0)
	v_mul_f32_e32 v72, v69, v106
	v_fmac_f32_e32 v72, v70, v105
	v_add_f32_e32 v75, v71, v72
	ds_read2_b64 v[71:74], v42 offset0:37 offset1:38
	buffer_load_dword v107, off, s[0:3], 0 offset:136
	buffer_load_dword v108, off, s[0:3], 0 offset:140
	buffer_load_dword v109, off, s[0:3], 0 offset:144
	buffer_load_dword v110, off, s[0:3], 0 offset:148
	v_mul_f32_e32 v44, v68, v104
	v_fma_f32 v44, v67, v103, -v44
	v_add_f32_e32 v43, v43, v44
	v_mul_f32_e32 v44, v70, v106
	v_fma_f32 v44, v69, v105, -v44
	v_add_f32_e32 v43, v43, v44
	s_waitcnt vmcnt(2) lgkmcnt(0)
	v_mul_f32_e32 v76, v71, v108
	v_fmac_f32_e32 v76, v72, v107
	v_add_f32_e32 v75, v75, v76
	s_waitcnt vmcnt(0)
	v_mul_f32_e32 v76, v73, v110
	v_fmac_f32_e32 v76, v74, v109
	v_add_f32_e32 v111, v75, v76
	ds_read_b64 v[75:76], v42 offset:312
	buffer_load_dword v112, off, s[0:3], 0 offset:152
	buffer_load_dword v113, off, s[0:3], 0 offset:156
	v_mul_f32_e32 v44, v72, v108
	v_fma_f32 v44, v71, v107, -v44
	v_add_f32_e32 v43, v43, v44
	v_mul_f32_e32 v44, v74, v110
	v_fma_f32 v44, v73, v109, -v44
	v_add_f32_e32 v43, v43, v44
	s_waitcnt vmcnt(0) lgkmcnt(0)
	v_mul_f32_e32 v44, v76, v113
	v_mul_f32_e32 v114, v75, v113
	v_fma_f32 v44, v75, v112, -v44
	v_fmac_f32_e32 v114, v76, v112
	v_add_f32_e32 v43, v43, v44
	v_add_f32_e32 v111, v111, v114
	v_sub_f32_e32 v43, v77, v43
	v_sub_f32_e32 v44, v78, v111
	buffer_store_dword v43, off, s[0:3], 0 offset:16
	buffer_store_dword v44, off, s[0:3], 0 offset:20
	s_and_saveexec_b64 s[4:5], vcc
	s_cbranch_execz .LBB83_131
; %bb.130:
	buffer_load_dword v43, off, s[0:3], 0 offset:8
	buffer_load_dword v44, off, s[0:3], 0 offset:12
	s_waitcnt vmcnt(0)
	ds_write_b64 v41, v[43:44]
	buffer_store_dword v42, off, s[0:3], 0 offset:8
	buffer_store_dword v42, off, s[0:3], 0 offset:12
.LBB83_131:
	s_or_b64 exec, exec, s[4:5]
	s_waitcnt lgkmcnt(0)
	; wave barrier
	ds_read_b128 v[43:46], v42 offset:176
	ds_read_b128 v[47:50], v42 offset:192
	;; [unrolled: 1-line block ×4, first 2 shown]
	buffer_load_dword v79, off, s[0:3], 0 offset:8
	buffer_load_dword v80, off, s[0:3], 0 offset:12
	;; [unrolled: 1-line block ×18, first 2 shown]
	v_cmp_ne_u32_e32 vcc, 0, v0
	s_waitcnt vmcnt(14) lgkmcnt(3)
	v_mul_f32_e32 v59, v43, v82
	v_fmac_f32_e32 v59, v44, v81
	s_waitcnt vmcnt(12)
	v_mul_f32_e32 v60, v45, v84
	v_add_f32_e32 v59, 0, v59
	v_fmac_f32_e32 v60, v46, v83
	v_add_f32_e32 v59, v59, v60
	s_waitcnt vmcnt(10) lgkmcnt(2)
	v_mul_f32_e32 v60, v47, v86
	v_fmac_f32_e32 v60, v48, v85
	v_add_f32_e32 v59, v59, v60
	s_waitcnt vmcnt(8)
	v_mul_f32_e32 v60, v49, v88
	v_fmac_f32_e32 v60, v50, v87
	v_add_f32_e32 v59, v59, v60
	s_waitcnt vmcnt(6) lgkmcnt(1)
	v_mul_f32_e32 v60, v51, v90
	v_fmac_f32_e32 v60, v52, v89
	v_add_f32_e32 v59, v59, v60
	s_waitcnt vmcnt(4)
	v_mul_f32_e32 v60, v53, v92
	;; [unrolled: 8-line block ×3, first 2 shown]
	v_fmac_f32_e32 v60, v58, v95
	v_add_f32_e32 v63, v59, v60
	ds_read_b128 v[59:62], v42 offset:240
	buffer_load_dword v97, off, s[0:3], 0 offset:80
	buffer_load_dword v98, off, s[0:3], 0 offset:84
	;; [unrolled: 1-line block ×4, first 2 shown]
	v_mul_f32_e32 v44, v44, v82
	v_fma_f32 v43, v43, v81, -v44
	v_mul_f32_e32 v44, v46, v84
	v_add_f32_e32 v43, 0, v43
	v_fma_f32 v44, v45, v83, -v44
	v_add_f32_e32 v43, v43, v44
	v_mul_f32_e32 v44, v48, v86
	v_fma_f32 v44, v47, v85, -v44
	v_add_f32_e32 v43, v43, v44
	v_mul_f32_e32 v44, v50, v88
	;; [unrolled: 3-line block ×6, first 2 shown]
	v_fma_f32 v44, v57, v95, -v44
	v_add_f32_e32 v43, v43, v44
	s_waitcnt vmcnt(2) lgkmcnt(0)
	v_mul_f32_e32 v64, v59, v98
	v_fmac_f32_e32 v64, v60, v97
	v_add_f32_e32 v63, v63, v64
	s_waitcnt vmcnt(0)
	v_mul_f32_e32 v64, v61, v100
	v_fmac_f32_e32 v64, v62, v99
	v_add_f32_e32 v67, v63, v64
	ds_read_b128 v[63:66], v42 offset:256
	buffer_load_dword v101, off, s[0:3], 0 offset:96
	buffer_load_dword v102, off, s[0:3], 0 offset:100
	buffer_load_dword v103, off, s[0:3], 0 offset:104
	buffer_load_dword v104, off, s[0:3], 0 offset:108
	v_mul_f32_e32 v44, v60, v98
	v_fma_f32 v44, v59, v97, -v44
	v_add_f32_e32 v43, v43, v44
	v_mul_f32_e32 v44, v62, v100
	v_fma_f32 v44, v61, v99, -v44
	v_add_f32_e32 v43, v43, v44
	s_waitcnt vmcnt(2) lgkmcnt(0)
	v_mul_f32_e32 v68, v63, v102
	v_fmac_f32_e32 v68, v64, v101
	v_add_f32_e32 v67, v67, v68
	s_waitcnt vmcnt(0)
	v_mul_f32_e32 v68, v65, v104
	v_fmac_f32_e32 v68, v66, v103
	v_add_f32_e32 v71, v67, v68
	ds_read_b128 v[67:70], v42 offset:272
	buffer_load_dword v105, off, s[0:3], 0 offset:112
	buffer_load_dword v106, off, s[0:3], 0 offset:116
	buffer_load_dword v107, off, s[0:3], 0 offset:120
	buffer_load_dword v108, off, s[0:3], 0 offset:124
	v_mul_f32_e32 v44, v64, v102
	v_fma_f32 v44, v63, v101, -v44
	v_add_f32_e32 v43, v43, v44
	v_mul_f32_e32 v44, v66, v104
	;; [unrolled: 19-line block ×3, first 2 shown]
	v_fma_f32 v44, v69, v107, -v44
	v_add_f32_e32 v43, v43, v44
	s_waitcnt vmcnt(2) lgkmcnt(0)
	v_mul_f32_e32 v76, v71, v110
	v_fmac_f32_e32 v76, v72, v109
	v_add_f32_e32 v75, v75, v76
	s_waitcnt vmcnt(0)
	v_mul_f32_e32 v76, v73, v112
	v_fmac_f32_e32 v76, v74, v111
	v_add_f32_e32 v113, v75, v76
	ds_read_b128 v[75:78], v42 offset:304
	buffer_load_dword v42, off, s[0:3], 0 offset:144
	buffer_load_dword v114, off, s[0:3], 0 offset:148
	v_mul_f32_e32 v44, v72, v110
	v_fma_f32 v44, v71, v109, -v44
	v_add_f32_e32 v43, v43, v44
	v_mul_f32_e32 v44, v74, v112
	v_fma_f32 v44, v73, v111, -v44
	v_add_f32_e32 v43, v43, v44
	s_waitcnt vmcnt(0) lgkmcnt(0)
	v_mul_f32_e32 v115, v75, v114
	v_fmac_f32_e32 v115, v76, v42
	v_add_f32_e32 v113, v113, v115
	buffer_load_dword v115, off, s[0:3], 0 offset:152
	buffer_load_dword v116, off, s[0:3], 0 offset:156
	v_mul_f32_e32 v44, v76, v114
	v_fma_f32 v42, v75, v42, -v44
	v_add_f32_e32 v42, v43, v42
	s_waitcnt vmcnt(0)
	v_mul_f32_e32 v43, v78, v116
	v_mul_f32_e32 v117, v77, v116
	v_fma_f32 v43, v77, v115, -v43
	v_fmac_f32_e32 v117, v78, v115
	v_add_f32_e32 v42, v42, v43
	v_add_f32_e32 v113, v113, v117
	v_sub_f32_e32 v42, v79, v42
	v_sub_f32_e32 v43, v80, v113
	buffer_store_dword v42, off, s[0:3], 0 offset:8
	buffer_store_dword v43, off, s[0:3], 0 offset:12
	s_and_saveexec_b64 s[4:5], vcc
	s_cbranch_execz .LBB83_133
; %bb.132:
	buffer_load_dword v42, off, s[0:3], 0
	buffer_load_dword v43, off, s[0:3], 0 offset:4
	v_mov_b32_e32 v0, 0
	buffer_store_dword v0, off, s[0:3], 0
	buffer_store_dword v0, off, s[0:3], 0 offset:4
	s_waitcnt vmcnt(2)
	ds_write_b64 v41, v[42:43]
.LBB83_133:
	s_or_b64 exec, exec, s[4:5]
	v_mov_b32_e32 v0, 0
	s_waitcnt lgkmcnt(0)
	; wave barrier
	ds_read2_b64 v[41:44], v0 offset0:21 offset1:22
	buffer_load_dword v79, off, s[0:3], 0
	buffer_load_dword v80, off, s[0:3], 0 offset:4
	buffer_load_dword v81, off, s[0:3], 0 offset:8
	;; [unrolled: 1-line block ×15, first 2 shown]
	s_and_b64 vcc, exec, s[14:15]
	s_waitcnt vmcnt(12) lgkmcnt(0)
	v_mul_f32_e32 v45, v41, v82
	v_fmac_f32_e32 v45, v42, v81
	s_waitcnt vmcnt(10)
	v_mul_f32_e32 v46, v43, v84
	v_add_f32_e32 v45, 0, v45
	v_fmac_f32_e32 v46, v44, v83
	v_add_f32_e32 v49, v45, v46
	ds_read2_b64 v[45:48], v0 offset0:23 offset1:24
	v_mul_f32_e32 v42, v42, v82
	v_fma_f32 v41, v41, v81, -v42
	v_mul_f32_e32 v42, v44, v84
	v_add_f32_e32 v41, 0, v41
	s_waitcnt vmcnt(8) lgkmcnt(0)
	v_mul_f32_e32 v50, v45, v86
	v_fmac_f32_e32 v50, v46, v85
	v_add_f32_e32 v49, v49, v50
	s_waitcnt vmcnt(6)
	v_mul_f32_e32 v50, v47, v88
	v_fmac_f32_e32 v50, v48, v87
	v_add_f32_e32 v53, v49, v50
	ds_read2_b64 v[49:52], v0 offset0:25 offset1:26
	v_fma_f32 v42, v43, v83, -v42
	v_add_f32_e32 v41, v41, v42
	v_mul_f32_e32 v42, v46, v86
	v_fma_f32 v42, v45, v85, -v42
	s_waitcnt vmcnt(4) lgkmcnt(0)
	v_mul_f32_e32 v54, v49, v90
	v_fmac_f32_e32 v54, v50, v89
	v_add_f32_e32 v53, v53, v54
	s_waitcnt vmcnt(2)
	v_mul_f32_e32 v54, v51, v92
	v_fmac_f32_e32 v54, v52, v91
	v_add_f32_e32 v57, v53, v54
	ds_read2_b64 v[53:56], v0 offset0:27 offset1:28
	buffer_load_dword v95, off, s[0:3], 0 offset:64
	buffer_load_dword v96, off, s[0:3], 0 offset:68
	v_add_f32_e32 v41, v41, v42
	v_mul_f32_e32 v42, v48, v88
	v_fma_f32 v42, v47, v87, -v42
	s_waitcnt vmcnt(2) lgkmcnt(0)
	v_mul_f32_e32 v58, v53, v94
	v_fmac_f32_e32 v58, v54, v93
	v_add_f32_e32 v57, v57, v58
	v_add_f32_e32 v41, v41, v42
	v_mul_f32_e32 v42, v50, v90
	v_fma_f32 v42, v49, v89, -v42
	v_add_f32_e32 v41, v41, v42
	v_mul_f32_e32 v42, v52, v92
	v_fma_f32 v42, v51, v91, -v42
	;; [unrolled: 3-line block ×3, first 2 shown]
	v_add_f32_e32 v41, v41, v42
	s_waitcnt vmcnt(0)
	v_mul_f32_e32 v58, v55, v96
	v_fmac_f32_e32 v58, v56, v95
	v_add_f32_e32 v61, v57, v58
	ds_read2_b64 v[57:60], v0 offset0:29 offset1:30
	buffer_load_dword v97, off, s[0:3], 0 offset:72
	buffer_load_dword v98, off, s[0:3], 0 offset:76
	;; [unrolled: 1-line block ×4, first 2 shown]
	v_mul_f32_e32 v42, v56, v96
	v_fma_f32 v42, v55, v95, -v42
	v_add_f32_e32 v41, v41, v42
	s_waitcnt vmcnt(2) lgkmcnt(0)
	v_mul_f32_e32 v62, v57, v98
	v_fmac_f32_e32 v62, v58, v97
	v_add_f32_e32 v61, v61, v62
	s_waitcnt vmcnt(0)
	v_mul_f32_e32 v62, v59, v100
	v_fmac_f32_e32 v62, v60, v99
	v_add_f32_e32 v65, v61, v62
	ds_read2_b64 v[61:64], v0 offset0:31 offset1:32
	buffer_load_dword v101, off, s[0:3], 0 offset:88
	buffer_load_dword v102, off, s[0:3], 0 offset:92
	buffer_load_dword v103, off, s[0:3], 0 offset:96
	buffer_load_dword v104, off, s[0:3], 0 offset:100
	v_mul_f32_e32 v42, v58, v98
	v_fma_f32 v42, v57, v97, -v42
	v_add_f32_e32 v41, v41, v42
	v_mul_f32_e32 v42, v60, v100
	v_fma_f32 v42, v59, v99, -v42
	v_add_f32_e32 v41, v41, v42
	s_waitcnt vmcnt(2) lgkmcnt(0)
	v_mul_f32_e32 v66, v61, v102
	v_fmac_f32_e32 v66, v62, v101
	v_add_f32_e32 v65, v65, v66
	s_waitcnt vmcnt(0)
	v_mul_f32_e32 v66, v63, v104
	v_fmac_f32_e32 v66, v64, v103
	v_add_f32_e32 v69, v65, v66
	ds_read2_b64 v[65:68], v0 offset0:33 offset1:34
	buffer_load_dword v105, off, s[0:3], 0 offset:104
	buffer_load_dword v106, off, s[0:3], 0 offset:108
	buffer_load_dword v107, off, s[0:3], 0 offset:112
	buffer_load_dword v108, off, s[0:3], 0 offset:116
	v_mul_f32_e32 v42, v62, v102
	v_fma_f32 v42, v61, v101, -v42
	v_add_f32_e32 v41, v41, v42
	;; [unrolled: 19-line block ×4, first 2 shown]
	v_mul_f32_e32 v42, v72, v112
	v_fma_f32 v42, v71, v111, -v42
	v_add_f32_e32 v41, v41, v42
	s_waitcnt vmcnt(2) lgkmcnt(0)
	v_mul_f32_e32 v78, v73, v114
	v_fmac_f32_e32 v78, v74, v113
	v_add_f32_e32 v77, v77, v78
	s_waitcnt vmcnt(0)
	v_mul_f32_e32 v78, v75, v116
	v_fmac_f32_e32 v78, v76, v115
	v_add_f32_e32 v117, v77, v78
	ds_read_b64 v[77:78], v0 offset:312
	buffer_load_dword v118, off, s[0:3], 0 offset:152
	buffer_load_dword v119, off, s[0:3], 0 offset:156
	v_mul_f32_e32 v42, v74, v114
	v_fma_f32 v42, v73, v113, -v42
	v_add_f32_e32 v41, v41, v42
	v_mul_f32_e32 v42, v76, v116
	v_fma_f32 v42, v75, v115, -v42
	v_add_f32_e32 v41, v41, v42
	s_waitcnt vmcnt(0) lgkmcnt(0)
	v_mul_f32_e32 v42, v78, v119
	v_mul_f32_e32 v120, v77, v119
	v_fma_f32 v42, v77, v118, -v42
	v_fmac_f32_e32 v120, v78, v118
	v_add_f32_e32 v41, v41, v42
	v_add_f32_e32 v117, v117, v120
	v_sub_f32_e32 v41, v79, v41
	v_sub_f32_e32 v42, v80, v117
	buffer_store_dword v41, off, s[0:3], 0
	buffer_store_dword v42, off, s[0:3], 0 offset:4
	s_cbranch_vccz .LBB83_172
; %bb.134:
	global_load_dword v0, v0, s[12:13] offset:72
	s_waitcnt vmcnt(0)
	v_add_u32_e32 v0, -1, v0
	v_cmp_ne_u32_e32 vcc, 18, v0
	s_cbranch_vccz .LBB83_136
; %bb.135:
	v_lshlrev_b32_e32 v0, 3, v0
	buffer_load_dword v41, v0, s[0:3], 0 offen
	buffer_load_dword v42, v0, s[0:3], 0 offen offset:4
	buffer_load_dword v43, off, s[0:3], 0 offset:148
	buffer_load_dword v44, off, s[0:3], 0 offset:144
	s_waitcnt vmcnt(3)
	buffer_store_dword v41, off, s[0:3], 0 offset:144
	s_waitcnt vmcnt(3)
	buffer_store_dword v42, off, s[0:3], 0 offset:148
	s_waitcnt vmcnt(3)
	buffer_store_dword v43, v0, s[0:3], 0 offen offset:4
	s_waitcnt vmcnt(3)
	buffer_store_dword v44, v0, s[0:3], 0 offen
.LBB83_136:
	v_mov_b32_e32 v0, 0
	global_load_dword v41, v0, s[12:13] offset:68
	s_waitcnt vmcnt(0)
	v_add_u32_e32 v41, -1, v41
	v_cmp_eq_u32_e32 vcc, 17, v41
	s_cbranch_vccnz .LBB83_138
; %bb.137:
	v_lshlrev_b32_e32 v41, 3, v41
	buffer_load_dword v42, v41, s[0:3], 0 offen
	buffer_load_dword v43, v41, s[0:3], 0 offen offset:4
	buffer_load_dword v44, off, s[0:3], 0 offset:136
	buffer_load_dword v45, off, s[0:3], 0 offset:140
	s_waitcnt vmcnt(3)
	buffer_store_dword v42, off, s[0:3], 0 offset:136
	s_waitcnt vmcnt(3)
	buffer_store_dword v43, off, s[0:3], 0 offset:140
	s_waitcnt vmcnt(3)
	buffer_store_dword v44, v41, s[0:3], 0 offen
	s_waitcnt vmcnt(3)
	buffer_store_dword v45, v41, s[0:3], 0 offen offset:4
.LBB83_138:
	global_load_dword v0, v0, s[12:13] offset:64
	s_waitcnt vmcnt(0)
	v_add_u32_e32 v0, -1, v0
	v_cmp_eq_u32_e32 vcc, 16, v0
	s_cbranch_vccnz .LBB83_140
; %bb.139:
	v_lshlrev_b32_e32 v0, 3, v0
	buffer_load_dword v41, v0, s[0:3], 0 offen
	buffer_load_dword v42, v0, s[0:3], 0 offen offset:4
	buffer_load_dword v43, off, s[0:3], 0 offset:132
	buffer_load_dword v44, off, s[0:3], 0 offset:128
	s_waitcnt vmcnt(3)
	buffer_store_dword v41, off, s[0:3], 0 offset:128
	s_waitcnt vmcnt(3)
	buffer_store_dword v42, off, s[0:3], 0 offset:132
	s_waitcnt vmcnt(3)
	buffer_store_dword v43, v0, s[0:3], 0 offen offset:4
	s_waitcnt vmcnt(3)
	buffer_store_dword v44, v0, s[0:3], 0 offen
.LBB83_140:
	v_mov_b32_e32 v0, 0
	global_load_dword v41, v0, s[12:13] offset:60
	s_waitcnt vmcnt(0)
	v_add_u32_e32 v41, -1, v41
	v_cmp_eq_u32_e32 vcc, 15, v41
	s_cbranch_vccnz .LBB83_142
; %bb.141:
	v_lshlrev_b32_e32 v41, 3, v41
	buffer_load_dword v42, v41, s[0:3], 0 offen
	buffer_load_dword v43, v41, s[0:3], 0 offen offset:4
	buffer_load_dword v44, off, s[0:3], 0 offset:120
	buffer_load_dword v45, off, s[0:3], 0 offset:124
	s_waitcnt vmcnt(3)
	buffer_store_dword v42, off, s[0:3], 0 offset:120
	s_waitcnt vmcnt(3)
	buffer_store_dword v43, off, s[0:3], 0 offset:124
	s_waitcnt vmcnt(3)
	buffer_store_dword v44, v41, s[0:3], 0 offen
	s_waitcnt vmcnt(3)
	buffer_store_dword v45, v41, s[0:3], 0 offen offset:4
.LBB83_142:
	global_load_dword v0, v0, s[12:13] offset:56
	s_waitcnt vmcnt(0)
	v_add_u32_e32 v0, -1, v0
	v_cmp_eq_u32_e32 vcc, 14, v0
	s_cbranch_vccnz .LBB83_144
; %bb.143:
	v_lshlrev_b32_e32 v0, 3, v0
	buffer_load_dword v41, v0, s[0:3], 0 offen
	buffer_load_dword v42, v0, s[0:3], 0 offen offset:4
	buffer_load_dword v43, off, s[0:3], 0 offset:116
	buffer_load_dword v44, off, s[0:3], 0 offset:112
	s_waitcnt vmcnt(3)
	buffer_store_dword v41, off, s[0:3], 0 offset:112
	s_waitcnt vmcnt(3)
	buffer_store_dword v42, off, s[0:3], 0 offset:116
	s_waitcnt vmcnt(3)
	buffer_store_dword v43, v0, s[0:3], 0 offen offset:4
	s_waitcnt vmcnt(3)
	buffer_store_dword v44, v0, s[0:3], 0 offen
.LBB83_144:
	;; [unrolled: 41-line block ×8, first 2 shown]
	v_mov_b32_e32 v0, 0
	global_load_dword v41, v0, s[12:13] offset:4
	s_waitcnt vmcnt(0)
	v_add_u32_e32 v41, -1, v41
	v_cmp_eq_u32_e32 vcc, 1, v41
	s_cbranch_vccnz .LBB83_170
; %bb.169:
	v_lshlrev_b32_e32 v41, 3, v41
	buffer_load_dword v42, v41, s[0:3], 0 offen
	buffer_load_dword v43, v41, s[0:3], 0 offen offset:4
	buffer_load_dword v44, off, s[0:3], 0 offset:8
	buffer_load_dword v45, off, s[0:3], 0 offset:12
	s_waitcnt vmcnt(3)
	buffer_store_dword v42, off, s[0:3], 0 offset:8
	s_waitcnt vmcnt(3)
	buffer_store_dword v43, off, s[0:3], 0 offset:12
	s_waitcnt vmcnt(3)
	buffer_store_dword v44, v41, s[0:3], 0 offen
	s_waitcnt vmcnt(3)
	buffer_store_dword v45, v41, s[0:3], 0 offen offset:4
.LBB83_170:
	global_load_dword v0, v0, s[12:13]
	s_waitcnt vmcnt(0)
	v_add_u32_e32 v0, -1, v0
	v_cmp_eq_u32_e32 vcc, 0, v0
	s_cbranch_vccnz .LBB83_172
; %bb.171:
	v_lshlrev_b32_e32 v0, 3, v0
	buffer_load_dword v41, v0, s[0:3], 0 offen
	buffer_load_dword v42, v0, s[0:3], 0 offen offset:4
	buffer_load_dword v43, off, s[0:3], 0 offset:4
	buffer_load_dword v44, off, s[0:3], 0
	s_waitcnt vmcnt(3)
	buffer_store_dword v41, off, s[0:3], 0
	s_waitcnt vmcnt(3)
	buffer_store_dword v42, off, s[0:3], 0 offset:4
	s_waitcnt vmcnt(3)
	buffer_store_dword v43, v0, s[0:3], 0 offen offset:4
	s_waitcnt vmcnt(3)
	buffer_store_dword v44, v0, s[0:3], 0 offen
.LBB83_172:
	buffer_load_dword v41, off, s[0:3], 0
	buffer_load_dword v42, off, s[0:3], 0 offset:4
	s_waitcnt vmcnt(0)
	flat_store_dwordx2 v[1:2], v[41:42]
	buffer_load_dword v0, off, s[0:3], 0 offset:8
	s_nop 0
	buffer_load_dword v1, off, s[0:3], 0 offset:12
	s_waitcnt vmcnt(0)
	flat_store_dwordx2 v[3:4], v[0:1]
	buffer_load_dword v0, off, s[0:3], 0 offset:16
	s_nop 0
	;; [unrolled: 5-line block ×19, first 2 shown]
	buffer_load_dword v1, off, s[0:3], 0 offset:156
	s_waitcnt vmcnt(0)
	flat_store_dwordx2 v[39:40], v[0:1]
	s_endpgm
	.section	.rodata,"a",@progbits
	.p2align	6, 0x0
	.amdhsa_kernel _ZN9rocsolver6v33100L18getri_kernel_smallILi20E19rocblas_complex_numIfEPKPS3_EEvT1_iilPiilS8_bb
		.amdhsa_group_segment_fixed_size 324
		.amdhsa_private_segment_fixed_size 176
		.amdhsa_kernarg_size 60
		.amdhsa_user_sgpr_count 6
		.amdhsa_user_sgpr_private_segment_buffer 1
		.amdhsa_user_sgpr_dispatch_ptr 0
		.amdhsa_user_sgpr_queue_ptr 0
		.amdhsa_user_sgpr_kernarg_segment_ptr 1
		.amdhsa_user_sgpr_dispatch_id 0
		.amdhsa_user_sgpr_flat_scratch_init 0
		.amdhsa_user_sgpr_private_segment_size 0
		.amdhsa_uses_dynamic_stack 0
		.amdhsa_system_sgpr_private_segment_wavefront_offset 1
		.amdhsa_system_sgpr_workgroup_id_x 1
		.amdhsa_system_sgpr_workgroup_id_y 0
		.amdhsa_system_sgpr_workgroup_id_z 0
		.amdhsa_system_sgpr_workgroup_info 0
		.amdhsa_system_vgpr_workitem_id 0
		.amdhsa_next_free_vgpr 124
		.amdhsa_next_free_sgpr 21
		.amdhsa_reserve_vcc 1
		.amdhsa_reserve_flat_scratch 0
		.amdhsa_float_round_mode_32 0
		.amdhsa_float_round_mode_16_64 0
		.amdhsa_float_denorm_mode_32 3
		.amdhsa_float_denorm_mode_16_64 3
		.amdhsa_dx10_clamp 1
		.amdhsa_ieee_mode 1
		.amdhsa_fp16_overflow 0
		.amdhsa_exception_fp_ieee_invalid_op 0
		.amdhsa_exception_fp_denorm_src 0
		.amdhsa_exception_fp_ieee_div_zero 0
		.amdhsa_exception_fp_ieee_overflow 0
		.amdhsa_exception_fp_ieee_underflow 0
		.amdhsa_exception_fp_ieee_inexact 0
		.amdhsa_exception_int_div_zero 0
	.end_amdhsa_kernel
	.section	.text._ZN9rocsolver6v33100L18getri_kernel_smallILi20E19rocblas_complex_numIfEPKPS3_EEvT1_iilPiilS8_bb,"axG",@progbits,_ZN9rocsolver6v33100L18getri_kernel_smallILi20E19rocblas_complex_numIfEPKPS3_EEvT1_iilPiilS8_bb,comdat
.Lfunc_end83:
	.size	_ZN9rocsolver6v33100L18getri_kernel_smallILi20E19rocblas_complex_numIfEPKPS3_EEvT1_iilPiilS8_bb, .Lfunc_end83-_ZN9rocsolver6v33100L18getri_kernel_smallILi20E19rocblas_complex_numIfEPKPS3_EEvT1_iilPiilS8_bb
                                        ; -- End function
	.set _ZN9rocsolver6v33100L18getri_kernel_smallILi20E19rocblas_complex_numIfEPKPS3_EEvT1_iilPiilS8_bb.num_vgpr, 124
	.set _ZN9rocsolver6v33100L18getri_kernel_smallILi20E19rocblas_complex_numIfEPKPS3_EEvT1_iilPiilS8_bb.num_agpr, 0
	.set _ZN9rocsolver6v33100L18getri_kernel_smallILi20E19rocblas_complex_numIfEPKPS3_EEvT1_iilPiilS8_bb.numbered_sgpr, 21
	.set _ZN9rocsolver6v33100L18getri_kernel_smallILi20E19rocblas_complex_numIfEPKPS3_EEvT1_iilPiilS8_bb.num_named_barrier, 0
	.set _ZN9rocsolver6v33100L18getri_kernel_smallILi20E19rocblas_complex_numIfEPKPS3_EEvT1_iilPiilS8_bb.private_seg_size, 176
	.set _ZN9rocsolver6v33100L18getri_kernel_smallILi20E19rocblas_complex_numIfEPKPS3_EEvT1_iilPiilS8_bb.uses_vcc, 1
	.set _ZN9rocsolver6v33100L18getri_kernel_smallILi20E19rocblas_complex_numIfEPKPS3_EEvT1_iilPiilS8_bb.uses_flat_scratch, 0
	.set _ZN9rocsolver6v33100L18getri_kernel_smallILi20E19rocblas_complex_numIfEPKPS3_EEvT1_iilPiilS8_bb.has_dyn_sized_stack, 0
	.set _ZN9rocsolver6v33100L18getri_kernel_smallILi20E19rocblas_complex_numIfEPKPS3_EEvT1_iilPiilS8_bb.has_recursion, 0
	.set _ZN9rocsolver6v33100L18getri_kernel_smallILi20E19rocblas_complex_numIfEPKPS3_EEvT1_iilPiilS8_bb.has_indirect_call, 0
	.section	.AMDGPU.csdata,"",@progbits
; Kernel info:
; codeLenInByte = 21392
; TotalNumSgprs: 25
; NumVgprs: 124
; ScratchSize: 176
; MemoryBound: 0
; FloatMode: 240
; IeeeMode: 1
; LDSByteSize: 324 bytes/workgroup (compile time only)
; SGPRBlocks: 3
; VGPRBlocks: 30
; NumSGPRsForWavesPerEU: 25
; NumVGPRsForWavesPerEU: 124
; Occupancy: 2
; WaveLimiterHint : 1
; COMPUTE_PGM_RSRC2:SCRATCH_EN: 1
; COMPUTE_PGM_RSRC2:USER_SGPR: 6
; COMPUTE_PGM_RSRC2:TRAP_HANDLER: 0
; COMPUTE_PGM_RSRC2:TGID_X_EN: 1
; COMPUTE_PGM_RSRC2:TGID_Y_EN: 0
; COMPUTE_PGM_RSRC2:TGID_Z_EN: 0
; COMPUTE_PGM_RSRC2:TIDIG_COMP_CNT: 0
	.section	.text._ZN9rocsolver6v33100L18getri_kernel_smallILi21E19rocblas_complex_numIfEPKPS3_EEvT1_iilPiilS8_bb,"axG",@progbits,_ZN9rocsolver6v33100L18getri_kernel_smallILi21E19rocblas_complex_numIfEPKPS3_EEvT1_iilPiilS8_bb,comdat
	.globl	_ZN9rocsolver6v33100L18getri_kernel_smallILi21E19rocblas_complex_numIfEPKPS3_EEvT1_iilPiilS8_bb ; -- Begin function _ZN9rocsolver6v33100L18getri_kernel_smallILi21E19rocblas_complex_numIfEPKPS3_EEvT1_iilPiilS8_bb
	.p2align	8
	.type	_ZN9rocsolver6v33100L18getri_kernel_smallILi21E19rocblas_complex_numIfEPKPS3_EEvT1_iilPiilS8_bb,@function
_ZN9rocsolver6v33100L18getri_kernel_smallILi21E19rocblas_complex_numIfEPKPS3_EEvT1_iilPiilS8_bb: ; @_ZN9rocsolver6v33100L18getri_kernel_smallILi21E19rocblas_complex_numIfEPKPS3_EEvT1_iilPiilS8_bb
; %bb.0:
	s_add_u32 s0, s0, s7
	s_addc_u32 s1, s1, 0
	v_cmp_gt_u32_e32 vcc, 21, v0
	s_and_saveexec_b64 s[8:9], vcc
	s_cbranch_execz .LBB84_98
; %bb.1:
	s_load_dword s18, s[4:5], 0x38
	s_load_dwordx2 s[12:13], s[4:5], 0x0
	s_load_dwordx4 s[8:11], s[4:5], 0x28
	s_waitcnt lgkmcnt(0)
	s_bitcmp1_b32 s18, 8
	s_cselect_b64 s[14:15], -1, 0
	s_ashr_i32 s7, s6, 31
	s_lshl_b64 s[16:17], s[6:7], 3
	s_add_u32 s12, s12, s16
	s_addc_u32 s13, s13, s17
	s_load_dwordx2 s[16:17], s[12:13], 0x0
	s_bfe_u32 s12, s18, 0x10008
	s_cmp_eq_u32 s12, 0
                                        ; implicit-def: $sgpr12_sgpr13
	s_cbranch_scc1 .LBB84_3
; %bb.2:
	s_load_dword s12, s[4:5], 0x20
	s_load_dwordx2 s[18:19], s[4:5], 0x18
	s_mul_i32 s13, s8, s7
	s_mul_hi_u32 s20, s8, s6
	s_add_i32 s20, s20, s13
	s_mul_i32 s9, s9, s6
	s_add_i32 s9, s20, s9
	s_mul_i32 s8, s8, s6
	s_waitcnt lgkmcnt(0)
	s_ashr_i32 s13, s12, 31
	s_lshl_b64 s[8:9], s[8:9], 2
	s_add_u32 s18, s18, s8
	s_addc_u32 s19, s19, s9
	s_lshl_b64 s[8:9], s[12:13], 2
	s_add_u32 s12, s18, s8
	s_addc_u32 s13, s19, s9
.LBB84_3:
	s_load_dwordx2 s[8:9], s[4:5], 0x8
	s_load_dword s18, s[4:5], 0x38
	v_lshlrev_b32_e32 v45, 3, v0
	s_waitcnt lgkmcnt(0)
	s_ashr_i32 s5, s8, 31
	s_mov_b32 s4, s8
	s_lshl_b64 s[4:5], s[4:5], 3
	s_add_u32 s8, s16, s4
	s_addc_u32 s16, s17, s5
	v_mov_b32_e32 v2, s16
	v_add_co_u32_e32 v1, vcc, s8, v45
	v_addc_co_u32_e32 v2, vcc, 0, v2, vcc
	flat_load_dwordx2 v[5:6], v[1:2]
	s_mov_b32 s4, s9
	s_ashr_i32 s5, s9, 31
	s_lshl_b64 s[4:5], s[4:5], 3
	v_mov_b32_e32 v4, s5
	v_add_co_u32_e32 v3, vcc, s4, v1
	v_addc_co_u32_e32 v4, vcc, v2, v4, vcc
	s_add_i32 s4, s9, s9
	v_add_u32_e32 v9, s4, v0
	v_ashrrev_i32_e32 v10, 31, v9
	v_mov_b32_e32 v11, s16
	v_add_u32_e32 v12, s9, v9
	v_ashrrev_i32_e32 v13, 31, v12
	v_mov_b32_e32 v14, s16
	v_mov_b32_e32 v15, s16
	;; [unrolled: 1-line block ×17, first 2 shown]
	s_bitcmp0_b32 s18, 0
	s_waitcnt vmcnt(0) lgkmcnt(0)
	buffer_store_dword v6, off, s[0:3], 0 offset:4
	buffer_store_dword v5, off, s[0:3], 0
	flat_load_dwordx2 v[7:8], v[3:4]
	v_lshlrev_b64 v[5:6], 3, v[9:10]
	s_waitcnt vmcnt(0) lgkmcnt(0)
	buffer_store_dword v8, off, s[0:3], 0 offset:12
	buffer_store_dword v7, off, s[0:3], 0 offset:8
	v_add_co_u32_e32 v5, vcc, s8, v5
	v_addc_co_u32_e32 v6, vcc, v11, v6, vcc
	flat_load_dwordx2 v[10:11], v[5:6]
	v_lshlrev_b64 v[7:8], 3, v[12:13]
	s_waitcnt vmcnt(0) lgkmcnt(0)
	buffer_store_dword v11, off, s[0:3], 0 offset:20
	buffer_store_dword v10, off, s[0:3], 0 offset:16
	v_add_co_u32_e32 v7, vcc, s8, v7
	v_addc_co_u32_e32 v8, vcc, v14, v8, vcc
	flat_load_dwordx2 v[13:14], v[7:8]
	v_add_u32_e32 v11, s9, v12
	v_ashrrev_i32_e32 v12, 31, v11
	v_lshlrev_b64 v[9:10], 3, v[11:12]
	s_waitcnt vmcnt(0) lgkmcnt(0)
	buffer_store_dword v14, off, s[0:3], 0 offset:28
	buffer_store_dword v13, off, s[0:3], 0 offset:24
	v_add_co_u32_e32 v9, vcc, s8, v9
	v_addc_co_u32_e32 v10, vcc, v15, v10, vcc
	flat_load_dwordx2 v[13:14], v[9:10]
	v_add_u32_e32 v15, s9, v11
	v_ashrrev_i32_e32 v16, 31, v15
	v_lshlrev_b64 v[11:12], 3, v[15:16]
	v_add_u32_e32 v18, s9, v15
	v_add_co_u32_e32 v11, vcc, s8, v11
	v_addc_co_u32_e32 v12, vcc, v17, v12, vcc
	v_ashrrev_i32_e32 v19, 31, v18
	s_waitcnt vmcnt(0) lgkmcnt(0)
	buffer_store_dword v14, off, s[0:3], 0 offset:36
	buffer_store_dword v13, off, s[0:3], 0 offset:32
	flat_load_dwordx2 v[16:17], v[11:12]
	v_lshlrev_b64 v[13:14], 3, v[18:19]
	s_waitcnt vmcnt(0) lgkmcnt(0)
	buffer_store_dword v17, off, s[0:3], 0 offset:44
	buffer_store_dword v16, off, s[0:3], 0 offset:40
	v_add_co_u32_e32 v13, vcc, s8, v13
	v_addc_co_u32_e32 v14, vcc, v20, v14, vcc
	flat_load_dwordx2 v[19:20], v[13:14]
	v_add_u32_e32 v17, s9, v18
	v_ashrrev_i32_e32 v18, 31, v17
	v_lshlrev_b64 v[15:16], 3, v[17:18]
	s_waitcnt vmcnt(0) lgkmcnt(0)
	buffer_store_dword v20, off, s[0:3], 0 offset:52
	buffer_store_dword v19, off, s[0:3], 0 offset:48
	v_add_co_u32_e32 v15, vcc, s8, v15
	v_addc_co_u32_e32 v16, vcc, v21, v16, vcc
	flat_load_dwordx2 v[19:20], v[15:16]
	v_add_u32_e32 v21, s9, v17
	v_ashrrev_i32_e32 v22, 31, v21
	v_lshlrev_b64 v[17:18], 3, v[21:22]
	v_add_u32_e32 v24, s9, v21
	v_add_co_u32_e32 v17, vcc, s8, v17
	v_addc_co_u32_e32 v18, vcc, v23, v18, vcc
	v_ashrrev_i32_e32 v25, 31, v24
	s_waitcnt vmcnt(0) lgkmcnt(0)
	buffer_store_dword v20, off, s[0:3], 0 offset:60
	buffer_store_dword v19, off, s[0:3], 0 offset:56
	flat_load_dwordx2 v[22:23], v[17:18]
	v_lshlrev_b64 v[19:20], 3, v[24:25]
	s_waitcnt vmcnt(0) lgkmcnt(0)
	buffer_store_dword v23, off, s[0:3], 0 offset:68
	buffer_store_dword v22, off, s[0:3], 0 offset:64
	v_add_co_u32_e32 v19, vcc, s8, v19
	v_addc_co_u32_e32 v20, vcc, v26, v20, vcc
	flat_load_dwordx2 v[25:26], v[19:20]
	v_add_u32_e32 v23, s9, v24
	v_ashrrev_i32_e32 v24, 31, v23
	v_lshlrev_b64 v[21:22], 3, v[23:24]
	s_waitcnt vmcnt(0) lgkmcnt(0)
	buffer_store_dword v26, off, s[0:3], 0 offset:76
	buffer_store_dword v25, off, s[0:3], 0 offset:72
	v_add_co_u32_e32 v21, vcc, s8, v21
	v_addc_co_u32_e32 v22, vcc, v27, v22, vcc
	flat_load_dwordx2 v[25:26], v[21:22]
	v_add_u32_e32 v27, s9, v23
	v_ashrrev_i32_e32 v28, 31, v27
	v_lshlrev_b64 v[23:24], 3, v[27:28]
	v_add_u32_e32 v30, s9, v27
	v_add_co_u32_e32 v23, vcc, s8, v23
	v_addc_co_u32_e32 v24, vcc, v29, v24, vcc
	v_ashrrev_i32_e32 v31, 31, v30
	s_waitcnt vmcnt(0) lgkmcnt(0)
	buffer_store_dword v26, off, s[0:3], 0 offset:84
	buffer_store_dword v25, off, s[0:3], 0 offset:80
	flat_load_dwordx2 v[28:29], v[23:24]
	v_lshlrev_b64 v[25:26], 3, v[30:31]
	s_waitcnt vmcnt(0) lgkmcnt(0)
	buffer_store_dword v29, off, s[0:3], 0 offset:92
	buffer_store_dword v28, off, s[0:3], 0 offset:88
	v_add_co_u32_e32 v25, vcc, s8, v25
	v_addc_co_u32_e32 v26, vcc, v32, v26, vcc
	flat_load_dwordx2 v[31:32], v[25:26]
	v_add_u32_e32 v29, s9, v30
	v_ashrrev_i32_e32 v30, 31, v29
	v_lshlrev_b64 v[27:28], 3, v[29:30]
	s_waitcnt vmcnt(0) lgkmcnt(0)
	buffer_store_dword v32, off, s[0:3], 0 offset:100
	buffer_store_dword v31, off, s[0:3], 0 offset:96
	v_add_co_u32_e32 v27, vcc, s8, v27
	v_addc_co_u32_e32 v28, vcc, v33, v28, vcc
	flat_load_dwordx2 v[31:32], v[27:28]
	v_add_u32_e32 v33, s9, v29
	v_ashrrev_i32_e32 v34, 31, v33
	v_lshlrev_b64 v[29:30], 3, v[33:34]
	v_add_u32_e32 v36, s9, v33
	v_add_co_u32_e32 v29, vcc, s8, v29
	v_addc_co_u32_e32 v30, vcc, v35, v30, vcc
	v_ashrrev_i32_e32 v37, 31, v36
	s_waitcnt vmcnt(0) lgkmcnt(0)
	buffer_store_dword v32, off, s[0:3], 0 offset:108
	buffer_store_dword v31, off, s[0:3], 0 offset:104
	flat_load_dwordx2 v[34:35], v[29:30]
	v_lshlrev_b64 v[31:32], 3, v[36:37]
	s_waitcnt vmcnt(0) lgkmcnt(0)
	buffer_store_dword v35, off, s[0:3], 0 offset:116
	buffer_store_dword v34, off, s[0:3], 0 offset:112
	v_add_co_u32_e32 v31, vcc, s8, v31
	v_addc_co_u32_e32 v32, vcc, v38, v32, vcc
	flat_load_dwordx2 v[37:38], v[31:32]
	v_add_u32_e32 v35, s9, v36
	v_ashrrev_i32_e32 v36, 31, v35
	v_lshlrev_b64 v[33:34], 3, v[35:36]
	s_waitcnt vmcnt(0) lgkmcnt(0)
	buffer_store_dword v38, off, s[0:3], 0 offset:124
	buffer_store_dword v37, off, s[0:3], 0 offset:120
	v_add_co_u32_e32 v33, vcc, s8, v33
	v_addc_co_u32_e32 v34, vcc, v39, v34, vcc
	flat_load_dwordx2 v[37:38], v[33:34]
	v_add_u32_e32 v39, s9, v35
	v_ashrrev_i32_e32 v40, 31, v39
	v_lshlrev_b64 v[35:36], 3, v[39:40]
	v_add_u32_e32 v42, s9, v39
	v_add_co_u32_e32 v35, vcc, s8, v35
	v_addc_co_u32_e32 v36, vcc, v41, v36, vcc
	v_ashrrev_i32_e32 v43, 31, v42
	s_waitcnt vmcnt(0) lgkmcnt(0)
	buffer_store_dword v38, off, s[0:3], 0 offset:132
	buffer_store_dword v37, off, s[0:3], 0 offset:128
	flat_load_dwordx2 v[40:41], v[35:36]
	v_lshlrev_b64 v[37:38], 3, v[42:43]
	s_waitcnt vmcnt(0) lgkmcnt(0)
	buffer_store_dword v41, off, s[0:3], 0 offset:140
	buffer_store_dword v40, off, s[0:3], 0 offset:136
	v_add_co_u32_e32 v37, vcc, s8, v37
	v_addc_co_u32_e32 v38, vcc, v44, v38, vcc
	flat_load_dwordx2 v[43:44], v[37:38]
	v_add_u32_e32 v41, s9, v42
	v_ashrrev_i32_e32 v42, 31, v41
	v_lshlrev_b64 v[39:40], 3, v[41:42]
	v_add_u32_e32 v41, s9, v41
	v_add_co_u32_e32 v39, vcc, s8, v39
	v_addc_co_u32_e32 v40, vcc, v46, v40, vcc
	v_ashrrev_i32_e32 v42, 31, v41
	v_lshlrev_b64 v[41:42], 3, v[41:42]
	s_waitcnt vmcnt(0) lgkmcnt(0)
	buffer_store_dword v44, off, s[0:3], 0 offset:148
	buffer_store_dword v43, off, s[0:3], 0 offset:144
	flat_load_dwordx2 v[43:44], v[39:40]
	v_add_co_u32_e32 v41, vcc, s8, v41
	v_addc_co_u32_e32 v42, vcc, v46, v42, vcc
	s_mov_b64 s[8:9], -1
	s_waitcnt vmcnt(0) lgkmcnt(0)
	buffer_store_dword v44, off, s[0:3], 0 offset:156
	buffer_store_dword v43, off, s[0:3], 0 offset:152
	flat_load_dwordx2 v[43:44], v[41:42]
	s_waitcnt vmcnt(0) lgkmcnt(0)
	buffer_store_dword v44, off, s[0:3], 0 offset:164
	buffer_store_dword v43, off, s[0:3], 0 offset:160
	s_cbranch_scc1 .LBB84_96
; %bb.4:
	v_cmp_eq_u32_e64 s[4:5], 0, v0
	s_and_saveexec_b64 s[8:9], s[4:5]
; %bb.5:
	v_mov_b32_e32 v43, 0
	ds_write_b32 v43, v43 offset:168
; %bb.6:
	s_or_b64 exec, exec, s[8:9]
	v_mov_b32_e32 v43, 0
	v_lshl_add_u32 v47, v0, 3, v43
	s_waitcnt lgkmcnt(0)
	; wave barrier
	buffer_load_dword v43, v47, s[0:3], 0 offen
	buffer_load_dword v44, v47, s[0:3], 0 offen offset:4
	s_waitcnt vmcnt(1)
	v_cmp_eq_f32_e32 vcc, 0, v43
	s_waitcnt vmcnt(0)
	v_cmp_eq_f32_e64 s[8:9], 0, v44
	s_and_b64 s[8:9], vcc, s[8:9]
	s_and_saveexec_b64 s[16:17], s[8:9]
	s_cbranch_execz .LBB84_10
; %bb.7:
	v_mov_b32_e32 v43, 0
	ds_read_b32 v46, v43 offset:168
	v_add_u32_e32 v44, 1, v0
	s_waitcnt lgkmcnt(0)
	v_readfirstlane_b32 s8, v46
	s_cmp_eq_u32 s8, 0
	s_cselect_b64 s[18:19], -1, 0
	v_cmp_gt_i32_e32 vcc, s8, v44
	s_or_b64 s[18:19], s[18:19], vcc
	s_and_b64 exec, exec, s[18:19]
	s_cbranch_execz .LBB84_10
; %bb.8:
	s_mov_b64 s[18:19], 0
	v_mov_b32_e32 v46, s8
.LBB84_9:                               ; =>This Inner Loop Header: Depth=1
	ds_cmpst_rtn_b32 v46, v43, v46, v44 offset:168
	s_waitcnt lgkmcnt(0)
	v_cmp_ne_u32_e32 vcc, 0, v46
	v_cmp_le_i32_e64 s[8:9], v46, v44
	s_and_b64 s[8:9], vcc, s[8:9]
	s_and_b64 s[8:9], exec, s[8:9]
	s_or_b64 s[18:19], s[8:9], s[18:19]
	s_andn2_b64 exec, exec, s[18:19]
	s_cbranch_execnz .LBB84_9
.LBB84_10:
	s_or_b64 exec, exec, s[16:17]
	v_mov_b32_e32 v44, 0
	; wave barrier
	ds_read_b32 v43, v44 offset:168
	s_and_saveexec_b64 s[8:9], s[4:5]
	s_cbranch_execz .LBB84_12
; %bb.11:
	s_lshl_b64 s[16:17], s[6:7], 2
	s_add_u32 s16, s10, s16
	s_addc_u32 s17, s11, s17
	s_waitcnt lgkmcnt(0)
	global_store_dword v44, v43, s[16:17]
.LBB84_12:
	s_or_b64 exec, exec, s[8:9]
	s_waitcnt lgkmcnt(0)
	v_cmp_ne_u32_e32 vcc, 0, v43
	s_mov_b64 s[8:9], 0
	s_cbranch_vccnz .LBB84_96
; %bb.13:
	buffer_load_dword v44, v47, s[0:3], 0 offen
	buffer_load_dword v46, v47, s[0:3], 0 offen offset:4
                                        ; implicit-def: $vgpr49
                                        ; implicit-def: $vgpr48
                                        ; implicit-def: $vgpr43
	s_waitcnt vmcnt(0)
	v_cmp_ngt_f32_e64 s[8:9], |v44|, |v46|
	s_and_saveexec_b64 s[16:17], s[8:9]
	s_xor_b64 s[8:9], exec, s[16:17]
	s_cbranch_execz .LBB84_15
; %bb.14:
	v_div_scale_f32 v43, s[16:17], v46, v46, v44
	v_div_scale_f32 v48, vcc, v44, v46, v44
	v_rcp_f32_e32 v49, v43
	v_fma_f32 v50, -v43, v49, 1.0
	v_fmac_f32_e32 v49, v50, v49
	v_mul_f32_e32 v50, v48, v49
	v_fma_f32 v51, -v43, v50, v48
	v_fmac_f32_e32 v50, v51, v49
	v_fma_f32 v43, -v43, v50, v48
	v_div_fmas_f32 v43, v43, v49, v50
	v_div_fixup_f32 v43, v43, v46, v44
	v_fmac_f32_e32 v46, v44, v43
	v_div_scale_f32 v44, s[16:17], v46, v46, 1.0
	v_div_scale_f32 v48, vcc, 1.0, v46, 1.0
	v_rcp_f32_e32 v49, v44
	v_fma_f32 v50, -v44, v49, 1.0
	v_fmac_f32_e32 v49, v50, v49
	v_mul_f32_e32 v50, v48, v49
	v_fma_f32 v51, -v44, v50, v48
	v_fmac_f32_e32 v50, v51, v49
	v_fma_f32 v44, -v44, v50, v48
	v_div_fmas_f32 v44, v44, v49, v50
	v_div_fixup_f32 v44, v44, v46, 1.0
	v_mul_f32_e32 v49, v43, v44
	v_xor_b32_e32 v48, 0x80000000, v44
	v_xor_b32_e32 v43, 0x80000000, v49
                                        ; implicit-def: $vgpr44
                                        ; implicit-def: $vgpr46
.LBB84_15:
	s_andn2_saveexec_b64 s[8:9], s[8:9]
	s_cbranch_execz .LBB84_17
; %bb.16:
	v_div_scale_f32 v43, s[16:17], v44, v44, v46
	v_div_scale_f32 v48, vcc, v46, v44, v46
	v_rcp_f32_e32 v49, v43
	v_fma_f32 v50, -v43, v49, 1.0
	v_fmac_f32_e32 v49, v50, v49
	v_mul_f32_e32 v50, v48, v49
	v_fma_f32 v51, -v43, v50, v48
	v_fmac_f32_e32 v50, v51, v49
	v_fma_f32 v43, -v43, v50, v48
	v_div_fmas_f32 v43, v43, v49, v50
	v_div_fixup_f32 v48, v43, v44, v46
	v_fmac_f32_e32 v44, v46, v48
	v_div_scale_f32 v43, s[16:17], v44, v44, 1.0
	v_div_scale_f32 v46, vcc, 1.0, v44, 1.0
	v_rcp_f32_e32 v49, v43
	v_fma_f32 v50, -v43, v49, 1.0
	v_fmac_f32_e32 v49, v50, v49
	v_mul_f32_e32 v50, v46, v49
	v_fma_f32 v51, -v43, v50, v46
	v_fmac_f32_e32 v50, v51, v49
	v_fma_f32 v43, -v43, v50, v46
	v_div_fmas_f32 v43, v43, v49, v50
	v_div_fixup_f32 v49, v43, v44, 1.0
	v_xor_b32_e32 v43, 0x80000000, v49
	v_mul_f32_e64 v48, v48, -v49
.LBB84_17:
	s_or_b64 exec, exec, s[8:9]
	buffer_store_dword v49, v47, s[0:3], 0 offen
	buffer_store_dword v48, v47, s[0:3], 0 offen offset:4
	buffer_load_dword v50, off, s[0:3], 0 offset:12
	s_nop 0
	buffer_load_dword v49, off, s[0:3], 0 offset:8
	v_xor_b32_e32 v44, 0x80000000, v48
	v_add_u32_e32 v46, 0xb0, v45
	s_waitcnt vmcnt(0)
	ds_write2_b64 v45, v[43:44], v[49:50] offset1:22
	s_waitcnt lgkmcnt(0)
	; wave barrier
	s_and_saveexec_b64 s[8:9], s[4:5]
	s_cbranch_execz .LBB84_19
; %bb.18:
	buffer_load_dword v50, v47, s[0:3], 0 offen offset:4
	buffer_load_dword v51, v47, s[0:3], 0 offen
	ds_read_b64 v[43:44], v46
	v_mov_b32_e32 v48, 0
	ds_read_b64 v[48:49], v48 offset:8
	s_waitcnt vmcnt(1) lgkmcnt(1)
	v_mul_f32_e32 v52, v44, v50
	v_mul_f32_e32 v50, v43, v50
	s_waitcnt vmcnt(0)
	v_fmac_f32_e32 v50, v44, v51
	v_fma_f32 v43, v43, v51, -v52
	v_add_f32_e32 v44, 0, v50
	v_add_f32_e32 v43, 0, v43
	s_waitcnt lgkmcnt(0)
	v_mul_f32_e32 v50, v44, v49
	v_mul_f32_e32 v49, v43, v49
	v_fma_f32 v43, v43, v48, -v50
	v_fmac_f32_e32 v49, v44, v48
	buffer_store_dword v43, off, s[0:3], 0 offset:8
	buffer_store_dword v49, off, s[0:3], 0 offset:12
.LBB84_19:
	s_or_b64 exec, exec, s[8:9]
	; wave barrier
	buffer_load_dword v43, off, s[0:3], 0 offset:16
	buffer_load_dword v44, off, s[0:3], 0 offset:20
	v_cmp_gt_u32_e32 vcc, 2, v0
	s_waitcnt vmcnt(0)
	ds_write_b64 v46, v[43:44]
	s_waitcnt lgkmcnt(0)
	; wave barrier
	s_and_saveexec_b64 s[8:9], vcc
	s_cbranch_execz .LBB84_23
; %bb.20:
	buffer_load_dword v48, v47, s[0:3], 0 offen offset:4
	buffer_load_dword v49, v47, s[0:3], 0 offen
	ds_read_b64 v[43:44], v46
	s_waitcnt vmcnt(1) lgkmcnt(0)
	v_mul_f32_e32 v47, v44, v48
	v_mul_f32_e32 v48, v43, v48
	s_waitcnt vmcnt(0)
	v_fma_f32 v43, v43, v49, -v47
	v_fmac_f32_e32 v48, v44, v49
	v_add_f32_e32 v44, 0, v43
	v_add_f32_e32 v43, 0, v48
	s_and_saveexec_b64 s[16:17], s[4:5]
	s_cbranch_execz .LBB84_22
; %bb.21:
	buffer_load_dword v49, off, s[0:3], 0 offset:12
	buffer_load_dword v50, off, s[0:3], 0 offset:8
	v_mov_b32_e32 v47, 0
	ds_read_b64 v[47:48], v47 offset:184
	s_waitcnt vmcnt(1) lgkmcnt(0)
	v_mul_f32_e32 v51, v47, v49
	v_mul_f32_e32 v49, v48, v49
	s_waitcnt vmcnt(0)
	v_fmac_f32_e32 v51, v48, v50
	v_fma_f32 v47, v47, v50, -v49
	v_add_f32_e32 v43, v43, v51
	v_add_f32_e32 v44, v44, v47
.LBB84_22:
	s_or_b64 exec, exec, s[16:17]
	v_mov_b32_e32 v47, 0
	ds_read_b64 v[47:48], v47 offset:16
	s_waitcnt lgkmcnt(0)
	v_mul_f32_e32 v49, v43, v48
	v_mul_f32_e32 v48, v44, v48
	v_fma_f32 v44, v44, v47, -v49
	v_fmac_f32_e32 v48, v43, v47
	buffer_store_dword v44, off, s[0:3], 0 offset:16
	buffer_store_dword v48, off, s[0:3], 0 offset:20
.LBB84_23:
	s_or_b64 exec, exec, s[8:9]
	; wave barrier
	buffer_load_dword v43, off, s[0:3], 0 offset:24
	buffer_load_dword v44, off, s[0:3], 0 offset:28
	v_cmp_gt_u32_e32 vcc, 3, v0
	s_waitcnt vmcnt(0)
	ds_write_b64 v46, v[43:44]
	v_add_u32_e32 v43, -1, v0
	s_waitcnt lgkmcnt(0)
	; wave barrier
	s_and_saveexec_b64 s[4:5], vcc
	s_cbranch_execz .LBB84_27
; %bb.24:
	v_add_u32_e32 v47, -1, v0
	v_add_u32_e32 v48, 0xb0, v45
	v_mov_b32_e32 v49, v45
	v_mov_b32_e32 v44, 0
	s_mov_b64 s[8:9], 0
	v_mov_b32_e32 v50, 0
.LBB84_25:                              ; =>This Inner Loop Header: Depth=1
	buffer_load_dword v53, v49, s[0:3], 0 offen offset:4
	buffer_load_dword v54, v49, s[0:3], 0 offen
	ds_read_b64 v[51:52], v48
	v_add_u32_e32 v47, 1, v47
	v_cmp_lt_u32_e32 vcc, 1, v47
	v_add_u32_e32 v48, 8, v48
	v_add_u32_e32 v49, 8, v49
	s_or_b64 s[8:9], vcc, s[8:9]
	s_waitcnt vmcnt(1) lgkmcnt(0)
	v_mul_f32_e32 v55, v52, v53
	v_mul_f32_e32 v53, v51, v53
	s_waitcnt vmcnt(0)
	v_fma_f32 v51, v51, v54, -v55
	v_fmac_f32_e32 v53, v52, v54
	v_add_f32_e32 v50, v50, v51
	v_add_f32_e32 v44, v44, v53
	s_andn2_b64 exec, exec, s[8:9]
	s_cbranch_execnz .LBB84_25
; %bb.26:
	s_or_b64 exec, exec, s[8:9]
	v_mov_b32_e32 v47, 0
	ds_read_b64 v[47:48], v47 offset:24
	s_waitcnt lgkmcnt(0)
	v_mul_f32_e32 v49, v44, v48
	v_mul_f32_e32 v48, v50, v48
	v_fma_f32 v49, v50, v47, -v49
	v_fmac_f32_e32 v48, v44, v47
	buffer_store_dword v49, off, s[0:3], 0 offset:24
	buffer_store_dword v48, off, s[0:3], 0 offset:28
.LBB84_27:
	s_or_b64 exec, exec, s[4:5]
	; wave barrier
	buffer_load_dword v47, off, s[0:3], 0 offset:32
	buffer_load_dword v48, off, s[0:3], 0 offset:36
	v_cmp_gt_u32_e32 vcc, 4, v0
	s_waitcnt vmcnt(0)
	ds_write_b64 v46, v[47:48]
	s_waitcnt lgkmcnt(0)
	; wave barrier
	s_and_saveexec_b64 s[4:5], vcc
	s_cbranch_execz .LBB84_31
; %bb.28:
	v_add_u32_e32 v47, -1, v0
	v_add_u32_e32 v48, 0xb0, v45
	v_mov_b32_e32 v49, v45
	v_mov_b32_e32 v44, 0
	s_mov_b64 s[8:9], 0
	v_mov_b32_e32 v50, 0
.LBB84_29:                              ; =>This Inner Loop Header: Depth=1
	buffer_load_dword v53, v49, s[0:3], 0 offen offset:4
	buffer_load_dword v54, v49, s[0:3], 0 offen
	ds_read_b64 v[51:52], v48
	v_add_u32_e32 v47, 1, v47
	v_cmp_lt_u32_e32 vcc, 2, v47
	v_add_u32_e32 v48, 8, v48
	v_add_u32_e32 v49, 8, v49
	s_or_b64 s[8:9], vcc, s[8:9]
	s_waitcnt vmcnt(1) lgkmcnt(0)
	v_mul_f32_e32 v55, v52, v53
	v_mul_f32_e32 v53, v51, v53
	s_waitcnt vmcnt(0)
	v_fma_f32 v51, v51, v54, -v55
	v_fmac_f32_e32 v53, v52, v54
	v_add_f32_e32 v50, v50, v51
	v_add_f32_e32 v44, v44, v53
	s_andn2_b64 exec, exec, s[8:9]
	s_cbranch_execnz .LBB84_29
; %bb.30:
	s_or_b64 exec, exec, s[8:9]
	v_mov_b32_e32 v47, 0
	ds_read_b64 v[47:48], v47 offset:32
	s_waitcnt lgkmcnt(0)
	v_mul_f32_e32 v49, v44, v48
	v_mul_f32_e32 v48, v50, v48
	v_fma_f32 v49, v50, v47, -v49
	v_fmac_f32_e32 v48, v44, v47
	buffer_store_dword v49, off, s[0:3], 0 offset:32
	buffer_store_dword v48, off, s[0:3], 0 offset:36
.LBB84_31:
	s_or_b64 exec, exec, s[4:5]
	; wave barrier
	buffer_load_dword v47, off, s[0:3], 0 offset:40
	buffer_load_dword v48, off, s[0:3], 0 offset:44
	v_cmp_gt_u32_e32 vcc, 5, v0
	s_waitcnt vmcnt(0)
	ds_write_b64 v46, v[47:48]
	;; [unrolled: 49-line block ×16, first 2 shown]
	s_waitcnt lgkmcnt(0)
	; wave barrier
	s_and_saveexec_b64 s[4:5], vcc
	s_cbranch_execz .LBB84_91
; %bb.88:
	v_add_u32_e32 v47, -1, v0
	v_add_u32_e32 v48, 0xb0, v45
	v_mov_b32_e32 v49, v45
	v_mov_b32_e32 v44, 0
	s_mov_b64 s[8:9], 0
	v_mov_b32_e32 v50, 0
.LBB84_89:                              ; =>This Inner Loop Header: Depth=1
	buffer_load_dword v53, v49, s[0:3], 0 offen offset:4
	buffer_load_dword v54, v49, s[0:3], 0 offen
	ds_read_b64 v[51:52], v48
	v_add_u32_e32 v47, 1, v47
	v_cmp_lt_u32_e32 vcc, 17, v47
	v_add_u32_e32 v48, 8, v48
	v_add_u32_e32 v49, 8, v49
	s_or_b64 s[8:9], vcc, s[8:9]
	s_waitcnt vmcnt(1) lgkmcnt(0)
	v_mul_f32_e32 v55, v52, v53
	v_mul_f32_e32 v53, v51, v53
	s_waitcnt vmcnt(0)
	v_fma_f32 v51, v51, v54, -v55
	v_fmac_f32_e32 v53, v52, v54
	v_add_f32_e32 v50, v50, v51
	v_add_f32_e32 v44, v44, v53
	s_andn2_b64 exec, exec, s[8:9]
	s_cbranch_execnz .LBB84_89
; %bb.90:
	s_or_b64 exec, exec, s[8:9]
	v_mov_b32_e32 v47, 0
	ds_read_b64 v[47:48], v47 offset:152
	s_waitcnt lgkmcnt(0)
	v_mul_f32_e32 v49, v44, v48
	v_mul_f32_e32 v48, v50, v48
	v_fma_f32 v49, v50, v47, -v49
	v_fmac_f32_e32 v48, v44, v47
	buffer_store_dword v49, off, s[0:3], 0 offset:152
	buffer_store_dword v48, off, s[0:3], 0 offset:156
.LBB84_91:
	s_or_b64 exec, exec, s[4:5]
	; wave barrier
	buffer_load_dword v47, off, s[0:3], 0 offset:160
	buffer_load_dword v48, off, s[0:3], 0 offset:164
	v_cmp_ne_u32_e32 vcc, 20, v0
	s_waitcnt vmcnt(0)
	ds_write_b64 v46, v[47:48]
	s_waitcnt lgkmcnt(0)
	; wave barrier
	s_and_saveexec_b64 s[4:5], vcc
	s_cbranch_execz .LBB84_95
; %bb.92:
	v_add_u32_e32 v46, 0xb0, v45
	v_mov_b32_e32 v44, 0
	s_mov_b64 s[8:9], 0
	v_mov_b32_e32 v47, 0
.LBB84_93:                              ; =>This Inner Loop Header: Depth=1
	buffer_load_dword v50, v45, s[0:3], 0 offen offset:4
	buffer_load_dword v51, v45, s[0:3], 0 offen
	ds_read_b64 v[48:49], v46
	v_add_u32_e32 v43, 1, v43
	v_cmp_lt_u32_e32 vcc, 18, v43
	v_add_u32_e32 v46, 8, v46
	v_add_u32_e32 v45, 8, v45
	s_or_b64 s[8:9], vcc, s[8:9]
	s_waitcnt vmcnt(1) lgkmcnt(0)
	v_mul_f32_e32 v52, v49, v50
	v_mul_f32_e32 v50, v48, v50
	s_waitcnt vmcnt(0)
	v_fma_f32 v48, v48, v51, -v52
	v_fmac_f32_e32 v50, v49, v51
	v_add_f32_e32 v47, v47, v48
	v_add_f32_e32 v44, v44, v50
	s_andn2_b64 exec, exec, s[8:9]
	s_cbranch_execnz .LBB84_93
; %bb.94:
	s_or_b64 exec, exec, s[8:9]
	v_mov_b32_e32 v43, 0
	ds_read_b64 v[45:46], v43 offset:160
	s_waitcnt lgkmcnt(0)
	v_mul_f32_e32 v43, v44, v46
	v_mul_f32_e32 v46, v47, v46
	v_fma_f32 v43, v47, v45, -v43
	v_fmac_f32_e32 v46, v44, v45
	buffer_store_dword v43, off, s[0:3], 0 offset:160
	buffer_store_dword v46, off, s[0:3], 0 offset:164
.LBB84_95:
	s_or_b64 exec, exec, s[4:5]
	s_mov_b64 s[8:9], -1
	; wave barrier
.LBB84_96:
	s_and_b64 vcc, exec, s[8:9]
	s_cbranch_vccz .LBB84_98
; %bb.97:
	s_lshl_b64 s[4:5], s[6:7], 2
	s_add_u32 s4, s10, s4
	s_addc_u32 s5, s11, s5
	v_mov_b32_e32 v43, 0
	global_load_dword v43, v43, s[4:5]
	s_waitcnt vmcnt(0)
	v_cmp_ne_u32_e32 vcc, 0, v43
	s_cbranch_vccz .LBB84_99
.LBB84_98:
	s_endpgm
.LBB84_99:
	v_mov_b32_e32 v43, 0xb0
	v_lshl_add_u32 v43, v0, 3, v43
	v_cmp_eq_u32_e32 vcc, 20, v0
	s_and_saveexec_b64 s[4:5], vcc
	s_cbranch_execz .LBB84_101
; %bb.100:
	buffer_load_dword v44, off, s[0:3], 0 offset:152
	buffer_load_dword v45, off, s[0:3], 0 offset:156
	v_mov_b32_e32 v46, 0
	buffer_store_dword v46, off, s[0:3], 0 offset:152
	buffer_store_dword v46, off, s[0:3], 0 offset:156
	s_waitcnt vmcnt(2)
	ds_write_b64 v43, v[44:45]
.LBB84_101:
	s_or_b64 exec, exec, s[4:5]
	s_waitcnt lgkmcnt(0)
	; wave barrier
	buffer_load_dword v47, off, s[0:3], 0 offset:164
	buffer_load_dword v48, off, s[0:3], 0 offset:160
	;; [unrolled: 1-line block ×4, first 2 shown]
	v_mov_b32_e32 v44, 0
	ds_read_b64 v[45:46], v44 offset:336
	v_cmp_lt_u32_e32 vcc, 18, v0
	s_waitcnt vmcnt(3) lgkmcnt(0)
	v_mul_f32_e32 v51, v45, v47
	v_mul_f32_e32 v47, v46, v47
	s_waitcnt vmcnt(2)
	v_fma_f32 v45, v45, v48, -v47
	v_fmac_f32_e32 v51, v46, v48
	v_add_f32_e32 v45, 0, v45
	v_add_f32_e32 v46, 0, v51
	s_waitcnt vmcnt(1)
	v_sub_f32_e32 v45, v49, v45
	s_waitcnt vmcnt(0)
	v_sub_f32_e32 v46, v50, v46
	buffer_store_dword v45, off, s[0:3], 0 offset:152
	buffer_store_dword v46, off, s[0:3], 0 offset:156
	s_and_saveexec_b64 s[4:5], vcc
	s_cbranch_execz .LBB84_103
; %bb.102:
	buffer_load_dword v45, off, s[0:3], 0 offset:144
	buffer_load_dword v46, off, s[0:3], 0 offset:148
	s_waitcnt vmcnt(0)
	ds_write_b64 v43, v[45:46]
	buffer_store_dword v44, off, s[0:3], 0 offset:144
	buffer_store_dword v44, off, s[0:3], 0 offset:148
.LBB84_103:
	s_or_b64 exec, exec, s[4:5]
	s_waitcnt lgkmcnt(0)
	; wave barrier
	buffer_load_dword v48, off, s[0:3], 0 offset:156
	buffer_load_dword v49, off, s[0:3], 0 offset:164
	buffer_load_dword v50, off, s[0:3], 0 offset:152
	buffer_load_dword v51, off, s[0:3], 0 offset:160
	buffer_load_dword v52, off, s[0:3], 0 offset:144
	buffer_load_dword v53, off, s[0:3], 0 offset:148
	ds_read2_b64 v[44:47], v44 offset0:41 offset1:42
	v_cmp_lt_u32_e32 vcc, 17, v0
	s_waitcnt vmcnt(5) lgkmcnt(0)
	v_mul_f32_e32 v54, v44, v48
	v_mul_f32_e32 v48, v45, v48
	s_waitcnt vmcnt(4)
	v_mul_f32_e32 v55, v46, v49
	v_mul_f32_e32 v49, v47, v49
	s_waitcnt vmcnt(3)
	v_fma_f32 v44, v44, v50, -v48
	v_fmac_f32_e32 v54, v45, v50
	s_waitcnt vmcnt(2)
	v_fma_f32 v45, v46, v51, -v49
	v_add_f32_e32 v44, 0, v44
	v_fmac_f32_e32 v55, v47, v51
	v_add_f32_e32 v46, 0, v54
	v_add_f32_e32 v44, v44, v45
	;; [unrolled: 1-line block ×3, first 2 shown]
	s_waitcnt vmcnt(1)
	v_sub_f32_e32 v44, v52, v44
	s_waitcnt vmcnt(0)
	v_sub_f32_e32 v45, v53, v46
	buffer_store_dword v44, off, s[0:3], 0 offset:144
	buffer_store_dword v45, off, s[0:3], 0 offset:148
	s_and_saveexec_b64 s[4:5], vcc
	s_cbranch_execz .LBB84_105
; %bb.104:
	buffer_load_dword v44, off, s[0:3], 0 offset:136
	buffer_load_dword v45, off, s[0:3], 0 offset:140
	v_mov_b32_e32 v46, 0
	buffer_store_dword v46, off, s[0:3], 0 offset:136
	buffer_store_dword v46, off, s[0:3], 0 offset:140
	s_waitcnt vmcnt(2)
	ds_write_b64 v43, v[44:45]
.LBB84_105:
	s_or_b64 exec, exec, s[4:5]
	s_waitcnt lgkmcnt(0)
	; wave barrier
	buffer_load_dword v51, off, s[0:3], 0 offset:148
	buffer_load_dword v52, off, s[0:3], 0 offset:156
	;; [unrolled: 1-line block ×8, first 2 shown]
	v_mov_b32_e32 v44, 0
	ds_read_b128 v[45:48], v44 offset:320
	ds_read_b64 v[49:50], v44 offset:336
	v_cmp_lt_u32_e32 vcc, 16, v0
	s_waitcnt vmcnt(7) lgkmcnt(1)
	v_mul_f32_e32 v59, v45, v51
	v_mul_f32_e32 v51, v46, v51
	s_waitcnt vmcnt(6)
	v_mul_f32_e32 v60, v47, v52
	v_mul_f32_e32 v52, v48, v52
	s_waitcnt vmcnt(4)
	v_fma_f32 v45, v45, v54, -v51
	s_waitcnt lgkmcnt(0)
	v_mul_f32_e32 v61, v49, v53
	v_mul_f32_e32 v53, v50, v53
	v_fmac_f32_e32 v59, v46, v54
	s_waitcnt vmcnt(3)
	v_fma_f32 v46, v47, v55, -v52
	v_add_f32_e32 v45, 0, v45
	v_fmac_f32_e32 v60, v48, v55
	s_waitcnt vmcnt(2)
	v_fma_f32 v47, v49, v56, -v53
	v_add_f32_e32 v48, 0, v59
	v_add_f32_e32 v45, v45, v46
	v_fmac_f32_e32 v61, v50, v56
	v_add_f32_e32 v48, v48, v60
	v_add_f32_e32 v45, v45, v47
	;; [unrolled: 1-line block ×3, first 2 shown]
	s_waitcnt vmcnt(1)
	v_sub_f32_e32 v45, v57, v45
	s_waitcnt vmcnt(0)
	v_sub_f32_e32 v46, v58, v46
	buffer_store_dword v45, off, s[0:3], 0 offset:136
	buffer_store_dword v46, off, s[0:3], 0 offset:140
	s_and_saveexec_b64 s[4:5], vcc
	s_cbranch_execz .LBB84_107
; %bb.106:
	buffer_load_dword v45, off, s[0:3], 0 offset:128
	buffer_load_dword v46, off, s[0:3], 0 offset:132
	s_waitcnt vmcnt(0)
	ds_write_b64 v43, v[45:46]
	buffer_store_dword v44, off, s[0:3], 0 offset:128
	buffer_store_dword v44, off, s[0:3], 0 offset:132
.LBB84_107:
	s_or_b64 exec, exec, s[4:5]
	s_waitcnt lgkmcnt(0)
	; wave barrier
	buffer_load_dword v53, off, s[0:3], 0 offset:140
	buffer_load_dword v54, off, s[0:3], 0 offset:148
	;; [unrolled: 1-line block ×10, first 2 shown]
	ds_read2_b64 v[45:48], v44 offset0:39 offset1:40
	ds_read2_b64 v[49:52], v44 offset0:41 offset1:42
	v_cmp_lt_u32_e32 vcc, 15, v0
	s_waitcnt vmcnt(9) lgkmcnt(1)
	v_mul_f32_e32 v44, v45, v53
	v_mul_f32_e32 v53, v46, v53
	s_waitcnt vmcnt(8)
	v_mul_f32_e32 v63, v47, v54
	v_mul_f32_e32 v54, v48, v54
	s_waitcnt vmcnt(5)
	v_fma_f32 v45, v45, v57, -v53
	s_waitcnt lgkmcnt(0)
	v_mul_f32_e32 v64, v49, v55
	v_mul_f32_e32 v55, v50, v55
	v_fmac_f32_e32 v44, v46, v57
	s_waitcnt vmcnt(4)
	v_fma_f32 v46, v47, v58, -v54
	v_add_f32_e32 v45, 0, v45
	v_mul_f32_e32 v65, v51, v56
	v_mul_f32_e32 v56, v52, v56
	v_fmac_f32_e32 v63, v48, v58
	s_waitcnt vmcnt(3)
	v_fma_f32 v47, v49, v59, -v55
	v_add_f32_e32 v44, 0, v44
	v_add_f32_e32 v45, v45, v46
	v_fmac_f32_e32 v64, v50, v59
	s_waitcnt vmcnt(2)
	v_fma_f32 v48, v51, v60, -v56
	v_add_f32_e32 v44, v44, v63
	v_add_f32_e32 v45, v45, v47
	v_fmac_f32_e32 v65, v52, v60
	v_add_f32_e32 v44, v44, v64
	v_add_f32_e32 v45, v45, v48
	;; [unrolled: 1-line block ×3, first 2 shown]
	s_waitcnt vmcnt(1)
	v_sub_f32_e32 v45, v61, v45
	s_waitcnt vmcnt(0)
	v_sub_f32_e32 v44, v62, v44
	buffer_store_dword v45, off, s[0:3], 0 offset:128
	buffer_store_dword v44, off, s[0:3], 0 offset:132
	s_and_saveexec_b64 s[4:5], vcc
	s_cbranch_execz .LBB84_109
; %bb.108:
	buffer_load_dword v44, off, s[0:3], 0 offset:120
	buffer_load_dword v45, off, s[0:3], 0 offset:124
	v_mov_b32_e32 v46, 0
	buffer_store_dword v46, off, s[0:3], 0 offset:120
	buffer_store_dword v46, off, s[0:3], 0 offset:124
	s_waitcnt vmcnt(2)
	ds_write_b64 v43, v[44:45]
.LBB84_109:
	s_or_b64 exec, exec, s[4:5]
	s_waitcnt lgkmcnt(0)
	; wave barrier
	buffer_load_dword v55, off, s[0:3], 0 offset:132
	buffer_load_dword v56, off, s[0:3], 0 offset:140
	;; [unrolled: 1-line block ×12, first 2 shown]
	v_mov_b32_e32 v44, 0
	ds_read_b128 v[45:48], v44 offset:304
	ds_read_b128 v[49:52], v44 offset:320
	ds_read_b64 v[53:54], v44 offset:336
	v_cmp_lt_u32_e32 vcc, 14, v0
	s_waitcnt vmcnt(11) lgkmcnt(2)
	v_mul_f32_e32 v67, v45, v55
	v_mul_f32_e32 v55, v46, v55
	s_waitcnt vmcnt(10)
	v_mul_f32_e32 v68, v47, v56
	v_mul_f32_e32 v56, v48, v56
	s_waitcnt vmcnt(9) lgkmcnt(1)
	v_mul_f32_e32 v69, v49, v57
	s_waitcnt vmcnt(6)
	v_fma_f32 v45, v45, v60, -v55
	v_mul_f32_e32 v57, v50, v57
	v_fmac_f32_e32 v67, v46, v60
	s_waitcnt vmcnt(5)
	v_fma_f32 v46, v47, v61, -v56
	v_add_f32_e32 v45, 0, v45
	v_mul_f32_e32 v70, v51, v58
	v_mul_f32_e32 v58, v52, v58
	v_fmac_f32_e32 v68, v48, v61
	s_waitcnt vmcnt(4)
	v_fmac_f32_e32 v69, v50, v62
	v_fma_f32 v47, v49, v62, -v57
	v_add_f32_e32 v50, 0, v67
	v_add_f32_e32 v45, v45, v46
	s_waitcnt lgkmcnt(0)
	v_mul_f32_e32 v71, v53, v59
	v_mul_f32_e32 v59, v54, v59
	s_waitcnt vmcnt(3)
	v_fma_f32 v48, v51, v63, -v58
	v_add_f32_e32 v50, v50, v68
	v_add_f32_e32 v45, v45, v47
	v_fmac_f32_e32 v70, v52, v63
	s_waitcnt vmcnt(2)
	v_fma_f32 v49, v53, v64, -v59
	v_add_f32_e32 v46, v50, v69
	v_add_f32_e32 v45, v45, v48
	v_fmac_f32_e32 v71, v54, v64
	v_add_f32_e32 v46, v46, v70
	v_add_f32_e32 v45, v45, v49
	;; [unrolled: 1-line block ×3, first 2 shown]
	s_waitcnt vmcnt(1)
	v_sub_f32_e32 v45, v65, v45
	s_waitcnt vmcnt(0)
	v_sub_f32_e32 v46, v66, v46
	buffer_store_dword v45, off, s[0:3], 0 offset:120
	buffer_store_dword v46, off, s[0:3], 0 offset:124
	s_and_saveexec_b64 s[4:5], vcc
	s_cbranch_execz .LBB84_111
; %bb.110:
	buffer_load_dword v45, off, s[0:3], 0 offset:112
	buffer_load_dword v46, off, s[0:3], 0 offset:116
	s_waitcnt vmcnt(0)
	ds_write_b64 v43, v[45:46]
	buffer_store_dword v44, off, s[0:3], 0 offset:112
	buffer_store_dword v44, off, s[0:3], 0 offset:116
.LBB84_111:
	s_or_b64 exec, exec, s[4:5]
	s_waitcnt lgkmcnt(0)
	; wave barrier
	buffer_load_dword v57, off, s[0:3], 0 offset:124
	buffer_load_dword v58, off, s[0:3], 0 offset:132
	;; [unrolled: 1-line block ×14, first 2 shown]
	ds_read2_b64 v[45:48], v44 offset0:37 offset1:38
	ds_read2_b64 v[49:52], v44 offset0:39 offset1:40
	;; [unrolled: 1-line block ×3, first 2 shown]
	v_cmp_lt_u32_e32 vcc, 13, v0
	s_waitcnt vmcnt(13) lgkmcnt(2)
	v_mul_f32_e32 v44, v45, v57
	v_mul_f32_e32 v57, v46, v57
	s_waitcnt vmcnt(12)
	v_mul_f32_e32 v71, v47, v58
	v_mul_f32_e32 v58, v48, v58
	s_waitcnt vmcnt(11) lgkmcnt(1)
	v_mul_f32_e32 v72, v49, v59
	v_mul_f32_e32 v59, v50, v59
	s_waitcnt vmcnt(7)
	v_fma_f32 v45, v45, v63, -v57
	v_fmac_f32_e32 v44, v46, v63
	s_waitcnt vmcnt(6)
	v_fma_f32 v46, v47, v64, -v58
	v_add_f32_e32 v45, 0, v45
	v_mul_f32_e32 v73, v51, v60
	v_mul_f32_e32 v60, v52, v60
	v_fmac_f32_e32 v71, v48, v64
	s_waitcnt vmcnt(5)
	v_fma_f32 v47, v49, v65, -v59
	v_add_f32_e32 v44, 0, v44
	v_add_f32_e32 v45, v45, v46
	s_waitcnt lgkmcnt(0)
	v_mul_f32_e32 v74, v53, v61
	v_mul_f32_e32 v61, v54, v61
	v_fmac_f32_e32 v72, v50, v65
	s_waitcnt vmcnt(4)
	v_fma_f32 v48, v51, v66, -v60
	v_add_f32_e32 v44, v44, v71
	v_add_f32_e32 v45, v45, v47
	v_mul_f32_e32 v75, v55, v62
	v_mul_f32_e32 v62, v56, v62
	v_fmac_f32_e32 v73, v52, v66
	s_waitcnt vmcnt(3)
	v_fma_f32 v49, v53, v67, -v61
	v_add_f32_e32 v44, v44, v72
	v_add_f32_e32 v45, v45, v48
	v_fmac_f32_e32 v74, v54, v67
	s_waitcnt vmcnt(2)
	v_fma_f32 v50, v55, v68, -v62
	v_add_f32_e32 v44, v44, v73
	v_add_f32_e32 v45, v45, v49
	v_fmac_f32_e32 v75, v56, v68
	v_add_f32_e32 v44, v44, v74
	v_add_f32_e32 v45, v45, v50
	;; [unrolled: 1-line block ×3, first 2 shown]
	s_waitcnt vmcnt(1)
	v_sub_f32_e32 v45, v69, v45
	s_waitcnt vmcnt(0)
	v_sub_f32_e32 v44, v70, v44
	buffer_store_dword v45, off, s[0:3], 0 offset:112
	buffer_store_dword v44, off, s[0:3], 0 offset:116
	s_and_saveexec_b64 s[4:5], vcc
	s_cbranch_execz .LBB84_113
; %bb.112:
	buffer_load_dword v44, off, s[0:3], 0 offset:104
	buffer_load_dword v45, off, s[0:3], 0 offset:108
	v_mov_b32_e32 v46, 0
	buffer_store_dword v46, off, s[0:3], 0 offset:104
	buffer_store_dword v46, off, s[0:3], 0 offset:108
	s_waitcnt vmcnt(2)
	ds_write_b64 v43, v[44:45]
.LBB84_113:
	s_or_b64 exec, exec, s[4:5]
	s_waitcnt lgkmcnt(0)
	; wave barrier
	buffer_load_dword v59, off, s[0:3], 0 offset:116
	buffer_load_dword v60, off, s[0:3], 0 offset:124
	;; [unrolled: 1-line block ×16, first 2 shown]
	v_mov_b32_e32 v44, 0
	ds_read_b128 v[45:48], v44 offset:288
	ds_read_b128 v[49:52], v44 offset:304
	;; [unrolled: 1-line block ×3, first 2 shown]
	ds_read_b64 v[57:58], v44 offset:336
	v_cmp_lt_u32_e32 vcc, 12, v0
	s_waitcnt vmcnt(15) lgkmcnt(3)
	v_mul_f32_e32 v75, v45, v59
	v_mul_f32_e32 v59, v46, v59
	s_waitcnt vmcnt(14)
	v_mul_f32_e32 v76, v47, v60
	v_mul_f32_e32 v60, v48, v60
	s_waitcnt vmcnt(13) lgkmcnt(2)
	v_mul_f32_e32 v77, v49, v61
	s_waitcnt vmcnt(12)
	v_mul_f32_e32 v78, v51, v62
	v_mul_f32_e32 v61, v50, v61
	s_waitcnt vmcnt(8)
	v_fma_f32 v45, v45, v66, -v59
	v_fmac_f32_e32 v75, v46, v66
	s_waitcnt vmcnt(7)
	v_fma_f32 v46, v47, v67, -v60
	v_add_f32_e32 v45, 0, v45
	v_mul_f32_e32 v62, v52, v62
	v_fmac_f32_e32 v76, v48, v67
	s_waitcnt vmcnt(5)
	v_fmac_f32_e32 v78, v52, v69
	v_fma_f32 v47, v49, v68, -v61
	v_add_f32_e32 v52, 0, v75
	v_add_f32_e32 v45, v45, v46
	s_waitcnt lgkmcnt(1)
	v_mul_f32_e32 v79, v53, v63
	v_mul_f32_e32 v63, v54, v63
	v_fmac_f32_e32 v77, v50, v68
	v_fma_f32 v48, v51, v69, -v62
	v_add_f32_e32 v52, v52, v76
	v_add_f32_e32 v45, v45, v47
	v_mul_f32_e32 v80, v55, v64
	v_mul_f32_e32 v64, v56, v64
	s_waitcnt vmcnt(4)
	v_fma_f32 v49, v53, v70, -v63
	v_add_f32_e32 v46, v52, v77
	v_add_f32_e32 v45, v45, v48
	s_waitcnt lgkmcnt(0)
	v_mul_f32_e32 v81, v57, v65
	v_mul_f32_e32 v65, v58, v65
	v_fmac_f32_e32 v79, v54, v70
	s_waitcnt vmcnt(3)
	v_fma_f32 v50, v55, v71, -v64
	v_add_f32_e32 v46, v46, v78
	v_add_f32_e32 v45, v45, v49
	v_fmac_f32_e32 v80, v56, v71
	s_waitcnt vmcnt(2)
	v_fma_f32 v51, v57, v72, -v65
	v_add_f32_e32 v46, v46, v79
	v_add_f32_e32 v45, v45, v50
	v_fmac_f32_e32 v81, v58, v72
	v_add_f32_e32 v46, v46, v80
	v_add_f32_e32 v45, v45, v51
	;; [unrolled: 1-line block ×3, first 2 shown]
	s_waitcnt vmcnt(1)
	v_sub_f32_e32 v45, v73, v45
	s_waitcnt vmcnt(0)
	v_sub_f32_e32 v46, v74, v46
	buffer_store_dword v45, off, s[0:3], 0 offset:104
	buffer_store_dword v46, off, s[0:3], 0 offset:108
	s_and_saveexec_b64 s[4:5], vcc
	s_cbranch_execz .LBB84_115
; %bb.114:
	buffer_load_dword v45, off, s[0:3], 0 offset:96
	buffer_load_dword v46, off, s[0:3], 0 offset:100
	s_waitcnt vmcnt(0)
	ds_write_b64 v43, v[45:46]
	buffer_store_dword v44, off, s[0:3], 0 offset:96
	buffer_store_dword v44, off, s[0:3], 0 offset:100
.LBB84_115:
	s_or_b64 exec, exec, s[4:5]
	s_waitcnt lgkmcnt(0)
	; wave barrier
	ds_read2_b64 v[45:48], v44 offset0:35 offset1:36
	buffer_load_dword v61, off, s[0:3], 0 offset:96
	buffer_load_dword v62, off, s[0:3], 0 offset:100
	;; [unrolled: 1-line block ×16, first 2 shown]
	v_cmp_lt_u32_e32 vcc, 11, v0
	s_waitcnt vmcnt(12) lgkmcnt(0)
	v_mul_f32_e32 v49, v45, v64
	v_fmac_f32_e32 v49, v46, v63
	s_waitcnt vmcnt(10)
	v_mul_f32_e32 v50, v47, v66
	v_add_f32_e32 v49, 0, v49
	v_fmac_f32_e32 v50, v48, v65
	v_add_f32_e32 v53, v49, v50
	ds_read2_b64 v[49:52], v44 offset0:37 offset1:38
	v_mul_f32_e32 v46, v46, v64
	v_fma_f32 v45, v45, v63, -v46
	v_mul_f32_e32 v46, v48, v66
	v_add_f32_e32 v45, 0, v45
	s_waitcnt vmcnt(8) lgkmcnt(0)
	v_mul_f32_e32 v54, v49, v68
	v_fmac_f32_e32 v54, v50, v67
	v_add_f32_e32 v53, v53, v54
	s_waitcnt vmcnt(6)
	v_mul_f32_e32 v54, v51, v70
	v_fmac_f32_e32 v54, v52, v69
	v_add_f32_e32 v57, v53, v54
	ds_read2_b64 v[53:56], v44 offset0:39 offset1:40
	v_fma_f32 v46, v47, v65, -v46
	v_add_f32_e32 v45, v45, v46
	v_mul_f32_e32 v46, v50, v68
	v_fma_f32 v46, v49, v67, -v46
	s_waitcnt vmcnt(4) lgkmcnt(0)
	v_mul_f32_e32 v58, v53, v72
	v_fmac_f32_e32 v58, v54, v71
	v_add_f32_e32 v57, v57, v58
	s_waitcnt vmcnt(2)
	v_mul_f32_e32 v58, v55, v74
	v_fmac_f32_e32 v58, v56, v73
	v_add_f32_e32 v77, v57, v58
	ds_read2_b64 v[57:60], v44 offset0:41 offset1:42
	v_add_f32_e32 v45, v45, v46
	v_mul_f32_e32 v46, v52, v70
	v_fma_f32 v46, v51, v69, -v46
	v_add_f32_e32 v45, v45, v46
	s_waitcnt vmcnt(0) lgkmcnt(0)
	v_mul_f32_e32 v44, v57, v76
	v_fmac_f32_e32 v44, v58, v75
	v_add_f32_e32 v44, v77, v44
	buffer_load_dword v77, off, s[0:3], 0 offset:160
	buffer_load_dword v78, off, s[0:3], 0 offset:164
	v_mul_f32_e32 v46, v54, v72
	v_fma_f32 v46, v53, v71, -v46
	v_add_f32_e32 v45, v45, v46
	v_mul_f32_e32 v46, v56, v74
	v_fma_f32 v46, v55, v73, -v46
	v_add_f32_e32 v45, v45, v46
	v_mul_f32_e32 v46, v58, v76
	v_fma_f32 v46, v57, v75, -v46
	v_add_f32_e32 v45, v45, v46
	s_waitcnt vmcnt(0)
	v_mul_f32_e32 v46, v60, v78
	v_mul_f32_e32 v79, v59, v78
	v_fma_f32 v46, v59, v77, -v46
	v_fmac_f32_e32 v79, v60, v77
	v_add_f32_e32 v45, v45, v46
	v_add_f32_e32 v44, v44, v79
	v_sub_f32_e32 v45, v61, v45
	v_sub_f32_e32 v44, v62, v44
	buffer_store_dword v45, off, s[0:3], 0 offset:96
	buffer_store_dword v44, off, s[0:3], 0 offset:100
	s_and_saveexec_b64 s[4:5], vcc
	s_cbranch_execz .LBB84_117
; %bb.116:
	buffer_load_dword v44, off, s[0:3], 0 offset:88
	buffer_load_dword v45, off, s[0:3], 0 offset:92
	v_mov_b32_e32 v46, 0
	buffer_store_dword v46, off, s[0:3], 0 offset:88
	buffer_store_dword v46, off, s[0:3], 0 offset:92
	s_waitcnt vmcnt(2)
	ds_write_b64 v43, v[44:45]
.LBB84_117:
	s_or_b64 exec, exec, s[4:5]
	s_waitcnt lgkmcnt(0)
	; wave barrier
	buffer_load_dword v63, off, s[0:3], 0 offset:100
	buffer_load_dword v64, off, s[0:3], 0 offset:108
	;; [unrolled: 1-line block ×20, first 2 shown]
	v_mov_b32_e32 v44, 0
	ds_read_b128 v[45:48], v44 offset:272
	ds_read_b128 v[49:52], v44 offset:288
	;; [unrolled: 1-line block ×4, first 2 shown]
	ds_read_b64 v[61:62], v44 offset:336
	v_cmp_lt_u32_e32 vcc, 10, v0
	s_waitcnt vmcnt(19) lgkmcnt(4)
	v_mul_f32_e32 v83, v45, v63
	v_mul_f32_e32 v63, v46, v63
	s_waitcnt vmcnt(18)
	v_mul_f32_e32 v84, v47, v64
	v_mul_f32_e32 v64, v48, v64
	s_waitcnt vmcnt(17) lgkmcnt(3)
	v_mul_f32_e32 v85, v49, v65
	s_waitcnt vmcnt(15) lgkmcnt(2)
	v_mul_f32_e32 v87, v53, v67
	v_mul_f32_e32 v65, v50, v65
	v_mul_f32_e32 v86, v51, v66
	v_mul_f32_e32 v66, v52, v66
	s_waitcnt vmcnt(10)
	v_fma_f32 v45, v45, v72, -v63
	v_fmac_f32_e32 v83, v46, v72
	s_waitcnt vmcnt(9)
	v_fma_f32 v46, v47, v73, -v64
	v_add_f32_e32 v45, 0, v45
	v_mul_f32_e32 v67, v54, v67
	v_fmac_f32_e32 v84, v48, v73
	s_waitcnt vmcnt(6)
	v_fmac_f32_e32 v87, v54, v76
	v_fma_f32 v47, v49, v74, -v65
	v_add_f32_e32 v54, 0, v83
	v_add_f32_e32 v45, v45, v46
	v_fmac_f32_e32 v85, v50, v74
	v_fma_f32 v48, v51, v75, -v66
	v_add_f32_e32 v54, v54, v84
	v_add_f32_e32 v45, v45, v47
	v_mul_f32_e32 v88, v55, v68
	v_mul_f32_e32 v68, v56, v68
	v_fmac_f32_e32 v86, v52, v75
	v_fma_f32 v49, v53, v76, -v67
	v_add_f32_e32 v46, v54, v85
	v_add_f32_e32 v45, v45, v48
	s_waitcnt lgkmcnt(1)
	v_mul_f32_e32 v89, v57, v69
	v_mul_f32_e32 v69, v58, v69
	s_waitcnt vmcnt(5)
	v_fma_f32 v50, v55, v77, -v68
	v_add_f32_e32 v46, v46, v86
	v_add_f32_e32 v45, v45, v49
	v_mul_f32_e32 v90, v59, v70
	v_mul_f32_e32 v70, v60, v70
	v_fmac_f32_e32 v88, v56, v77
	s_waitcnt vmcnt(4)
	v_fma_f32 v51, v57, v78, -v69
	v_add_f32_e32 v46, v46, v87
	v_add_f32_e32 v45, v45, v50
	s_waitcnt lgkmcnt(0)
	v_mul_f32_e32 v91, v61, v71
	v_mul_f32_e32 v71, v62, v71
	v_fmac_f32_e32 v89, v58, v78
	s_waitcnt vmcnt(3)
	v_fma_f32 v52, v59, v79, -v70
	v_add_f32_e32 v46, v46, v88
	v_add_f32_e32 v45, v45, v51
	v_fmac_f32_e32 v90, v60, v79
	s_waitcnt vmcnt(2)
	v_fma_f32 v53, v61, v80, -v71
	v_add_f32_e32 v46, v46, v89
	v_add_f32_e32 v45, v45, v52
	v_fmac_f32_e32 v91, v62, v80
	v_add_f32_e32 v46, v46, v90
	v_add_f32_e32 v45, v45, v53
	;; [unrolled: 1-line block ×3, first 2 shown]
	s_waitcnt vmcnt(1)
	v_sub_f32_e32 v45, v81, v45
	s_waitcnt vmcnt(0)
	v_sub_f32_e32 v46, v82, v46
	buffer_store_dword v45, off, s[0:3], 0 offset:88
	buffer_store_dword v46, off, s[0:3], 0 offset:92
	s_and_saveexec_b64 s[4:5], vcc
	s_cbranch_execz .LBB84_119
; %bb.118:
	buffer_load_dword v45, off, s[0:3], 0 offset:80
	buffer_load_dword v46, off, s[0:3], 0 offset:84
	s_waitcnt vmcnt(0)
	ds_write_b64 v43, v[45:46]
	buffer_store_dword v44, off, s[0:3], 0 offset:80
	buffer_store_dword v44, off, s[0:3], 0 offset:84
.LBB84_119:
	s_or_b64 exec, exec, s[4:5]
	s_waitcnt lgkmcnt(0)
	; wave barrier
	buffer_load_dword v65, off, s[0:3], 0 offset:92
	buffer_load_dword v66, off, s[0:3], 0 offset:100
	;; [unrolled: 1-line block ×22, first 2 shown]
	ds_read2_b64 v[45:48], v44 offset0:33 offset1:34
	ds_read2_b64 v[49:52], v44 offset0:35 offset1:36
	;; [unrolled: 1-line block ×5, first 2 shown]
	v_cmp_lt_u32_e32 vcc, 9, v0
	s_waitcnt vmcnt(21) lgkmcnt(4)
	v_mul_f32_e32 v44, v45, v65
	v_mul_f32_e32 v65, v46, v65
	s_waitcnt vmcnt(20)
	v_mul_f32_e32 v87, v47, v66
	v_mul_f32_e32 v66, v48, v66
	s_waitcnt vmcnt(19) lgkmcnt(3)
	v_mul_f32_e32 v88, v49, v67
	v_mul_f32_e32 v67, v50, v67
	s_waitcnt vmcnt(18)
	v_mul_f32_e32 v89, v51, v68
	v_mul_f32_e32 v68, v52, v68
	s_waitcnt vmcnt(17) lgkmcnt(2)
	v_mul_f32_e32 v90, v53, v69
	v_mul_f32_e32 v69, v54, v69
	s_waitcnt vmcnt(11)
	v_fma_f32 v45, v45, v75, -v65
	v_fmac_f32_e32 v44, v46, v75
	s_waitcnt vmcnt(10)
	v_fma_f32 v46, v47, v76, -v66
	v_add_f32_e32 v45, 0, v45
	v_fmac_f32_e32 v87, v48, v76
	s_waitcnt vmcnt(9)
	v_fma_f32 v47, v49, v77, -v67
	v_add_f32_e32 v44, 0, v44
	v_add_f32_e32 v45, v45, v46
	v_fmac_f32_e32 v88, v50, v77
	s_waitcnt vmcnt(8)
	v_fma_f32 v48, v51, v78, -v68
	v_add_f32_e32 v44, v44, v87
	v_add_f32_e32 v45, v45, v47
	v_mul_f32_e32 v91, v55, v70
	v_mul_f32_e32 v70, v56, v70
	v_fmac_f32_e32 v89, v52, v78
	s_waitcnt vmcnt(7)
	v_fma_f32 v49, v53, v79, -v69
	v_add_f32_e32 v44, v44, v88
	v_add_f32_e32 v45, v45, v48
	s_waitcnt lgkmcnt(1)
	v_mul_f32_e32 v92, v57, v71
	v_mul_f32_e32 v71, v58, v71
	v_fmac_f32_e32 v90, v54, v79
	s_waitcnt vmcnt(6)
	v_fma_f32 v50, v55, v80, -v70
	v_add_f32_e32 v44, v44, v89
	v_add_f32_e32 v45, v45, v49
	v_mul_f32_e32 v93, v59, v72
	v_mul_f32_e32 v72, v60, v72
	v_fmac_f32_e32 v91, v56, v80
	s_waitcnt vmcnt(5)
	v_fma_f32 v51, v57, v81, -v71
	v_add_f32_e32 v44, v44, v90
	v_add_f32_e32 v45, v45, v50
	s_waitcnt lgkmcnt(0)
	v_mul_f32_e32 v94, v61, v73
	v_mul_f32_e32 v73, v62, v73
	v_fmac_f32_e32 v92, v58, v81
	s_waitcnt vmcnt(4)
	v_fma_f32 v52, v59, v82, -v72
	v_add_f32_e32 v44, v44, v91
	v_add_f32_e32 v45, v45, v51
	v_mul_f32_e32 v95, v63, v74
	v_mul_f32_e32 v74, v64, v74
	v_fmac_f32_e32 v93, v60, v82
	s_waitcnt vmcnt(3)
	v_fma_f32 v53, v61, v83, -v73
	v_add_f32_e32 v44, v44, v92
	v_add_f32_e32 v45, v45, v52
	v_fmac_f32_e32 v94, v62, v83
	s_waitcnt vmcnt(2)
	v_fma_f32 v54, v63, v84, -v74
	v_add_f32_e32 v44, v44, v93
	v_add_f32_e32 v45, v45, v53
	v_fmac_f32_e32 v95, v64, v84
	v_add_f32_e32 v44, v44, v94
	v_add_f32_e32 v45, v45, v54
	;; [unrolled: 1-line block ×3, first 2 shown]
	s_waitcnt vmcnt(1)
	v_sub_f32_e32 v45, v85, v45
	s_waitcnt vmcnt(0)
	v_sub_f32_e32 v44, v86, v44
	buffer_store_dword v45, off, s[0:3], 0 offset:80
	buffer_store_dword v44, off, s[0:3], 0 offset:84
	s_and_saveexec_b64 s[4:5], vcc
	s_cbranch_execz .LBB84_121
; %bb.120:
	buffer_load_dword v44, off, s[0:3], 0 offset:72
	buffer_load_dword v45, off, s[0:3], 0 offset:76
	v_mov_b32_e32 v46, 0
	buffer_store_dword v46, off, s[0:3], 0 offset:72
	buffer_store_dword v46, off, s[0:3], 0 offset:76
	s_waitcnt vmcnt(2)
	ds_write_b64 v43, v[44:45]
.LBB84_121:
	s_or_b64 exec, exec, s[4:5]
	s_waitcnt lgkmcnt(0)
	; wave barrier
	buffer_load_dword v67, off, s[0:3], 0 offset:84
	buffer_load_dword v68, off, s[0:3], 0 offset:92
	;; [unrolled: 1-line block ×24, first 2 shown]
	v_mov_b32_e32 v44, 0
	ds_read_b128 v[45:48], v44 offset:256
	ds_read_b128 v[49:52], v44 offset:272
	;; [unrolled: 1-line block ×5, first 2 shown]
	ds_read_b64 v[65:66], v44 offset:336
	v_cmp_lt_u32_e32 vcc, 8, v0
	s_waitcnt vmcnt(23) lgkmcnt(5)
	v_mul_f32_e32 v91, v45, v67
	v_mul_f32_e32 v67, v46, v67
	s_waitcnt vmcnt(22)
	v_mul_f32_e32 v92, v47, v68
	v_mul_f32_e32 v68, v48, v68
	s_waitcnt vmcnt(21) lgkmcnt(4)
	v_mul_f32_e32 v93, v49, v69
	v_mul_f32_e32 v69, v50, v69
	s_waitcnt vmcnt(20)
	v_mul_f32_e32 v94, v51, v70
	s_waitcnt vmcnt(19) lgkmcnt(3)
	v_mul_f32_e32 v95, v53, v71
	v_mul_f32_e32 v70, v52, v70
	v_mul_f32_e32 v71, v54, v71
	s_waitcnt vmcnt(18)
	v_mul_f32_e32 v96, v55, v72
	s_waitcnt vmcnt(12)
	v_fma_f32 v45, v45, v78, -v67
	v_fmac_f32_e32 v91, v46, v78
	s_waitcnt vmcnt(11)
	v_fma_f32 v46, v47, v79, -v68
	v_add_f32_e32 v45, 0, v45
	s_waitcnt vmcnt(10)
	v_fma_f32 v47, v49, v80, -v69
	v_add_f32_e32 v45, v45, v46
	v_fmac_f32_e32 v92, v48, v79
	s_waitcnt vmcnt(8)
	v_fmac_f32_e32 v95, v54, v82
	v_fma_f32 v48, v51, v81, -v70
	v_add_f32_e32 v54, 0, v91
	v_add_f32_e32 v45, v45, v47
	v_mul_f32_e32 v72, v56, v72
	v_fmac_f32_e32 v93, v50, v80
	v_fma_f32 v49, v53, v82, -v71
	v_add_f32_e32 v54, v54, v92
	v_add_f32_e32 v45, v45, v48
	s_waitcnt lgkmcnt(2)
	v_mul_f32_e32 v97, v57, v73
	v_mul_f32_e32 v73, v58, v73
	v_fmac_f32_e32 v94, v52, v81
	s_waitcnt vmcnt(7)
	v_fma_f32 v50, v55, v83, -v72
	v_add_f32_e32 v46, v54, v93
	v_add_f32_e32 v45, v45, v49
	v_mul_f32_e32 v98, v59, v74
	v_mul_f32_e32 v74, v60, v74
	s_waitcnt vmcnt(6)
	v_fma_f32 v51, v57, v84, -v73
	v_add_f32_e32 v46, v46, v94
	v_add_f32_e32 v45, v45, v50
	s_waitcnt lgkmcnt(1)
	v_mul_f32_e32 v99, v61, v75
	v_mul_f32_e32 v75, v62, v75
	v_fmac_f32_e32 v96, v56, v83
	s_waitcnt vmcnt(5)
	v_fma_f32 v52, v59, v85, -v74
	v_add_f32_e32 v46, v46, v95
	v_add_f32_e32 v45, v45, v51
	v_fmac_f32_e32 v97, v58, v84
	s_waitcnt vmcnt(4)
	v_fma_f32 v53, v61, v86, -v75
	v_add_f32_e32 v46, v46, v96
	v_add_f32_e32 v45, v45, v52
	v_mul_f32_e32 v47, v64, v76
	v_fmac_f32_e32 v98, v60, v85
	v_add_f32_e32 v46, v46, v97
	v_add_f32_e32 v45, v45, v53
	s_waitcnt vmcnt(3)
	v_fma_f32 v47, v63, v87, -v47
	v_mul_f32_e32 v100, v63, v76
	v_fmac_f32_e32 v99, v62, v86
	v_add_f32_e32 v46, v46, v98
	v_add_f32_e32 v45, v45, v47
	s_waitcnt lgkmcnt(0)
	v_mul_f32_e32 v47, v66, v77
	v_mul_f32_e32 v101, v65, v77
	v_fmac_f32_e32 v100, v64, v87
	v_add_f32_e32 v46, v46, v99
	s_waitcnt vmcnt(2)
	v_fma_f32 v47, v65, v88, -v47
	v_fmac_f32_e32 v101, v66, v88
	v_add_f32_e32 v46, v46, v100
	v_add_f32_e32 v45, v45, v47
	;; [unrolled: 1-line block ×3, first 2 shown]
	s_waitcnt vmcnt(1)
	v_sub_f32_e32 v45, v89, v45
	s_waitcnt vmcnt(0)
	v_sub_f32_e32 v46, v90, v46
	buffer_store_dword v45, off, s[0:3], 0 offset:72
	buffer_store_dword v46, off, s[0:3], 0 offset:76
	s_and_saveexec_b64 s[4:5], vcc
	s_cbranch_execz .LBB84_123
; %bb.122:
	buffer_load_dword v45, off, s[0:3], 0 offset:64
	buffer_load_dword v46, off, s[0:3], 0 offset:68
	s_waitcnt vmcnt(0)
	ds_write_b64 v43, v[45:46]
	buffer_store_dword v44, off, s[0:3], 0 offset:64
	buffer_store_dword v44, off, s[0:3], 0 offset:68
.LBB84_123:
	s_or_b64 exec, exec, s[4:5]
	s_waitcnt lgkmcnt(0)
	; wave barrier
	buffer_load_dword v69, off, s[0:3], 0 offset:76
	buffer_load_dword v70, off, s[0:3], 0 offset:84
	;; [unrolled: 1-line block ×26, first 2 shown]
	ds_read2_b64 v[45:48], v44 offset0:31 offset1:32
	ds_read2_b64 v[49:52], v44 offset0:33 offset1:34
	;; [unrolled: 1-line block ×6, first 2 shown]
	v_cmp_lt_u32_e32 vcc, 7, v0
	s_waitcnt vmcnt(25) lgkmcnt(5)
	v_mul_f32_e32 v44, v45, v69
	v_mul_f32_e32 v69, v46, v69
	s_waitcnt vmcnt(24)
	v_mul_f32_e32 v95, v47, v70
	v_mul_f32_e32 v70, v48, v70
	s_waitcnt vmcnt(23) lgkmcnt(4)
	v_mul_f32_e32 v96, v49, v71
	v_mul_f32_e32 v71, v50, v71
	s_waitcnt vmcnt(22)
	v_mul_f32_e32 v97, v51, v72
	v_mul_f32_e32 v72, v52, v72
	;; [unrolled: 6-line block ×3, first 2 shown]
	s_waitcnt vmcnt(13)
	v_fma_f32 v45, v45, v81, -v69
	v_fmac_f32_e32 v44, v46, v81
	s_waitcnt vmcnt(12)
	v_fma_f32 v46, v47, v82, -v70
	v_add_f32_e32 v45, 0, v45
	s_waitcnt vmcnt(11)
	v_fma_f32 v47, v49, v83, -v71
	v_add_f32_e32 v45, v45, v46
	v_fmac_f32_e32 v95, v48, v82
	s_waitcnt vmcnt(10)
	v_fma_f32 v48, v51, v84, -v72
	v_add_f32_e32 v45, v45, v47
	s_waitcnt vmcnt(9)
	v_fma_f32 v49, v53, v85, -v73
	v_add_f32_e32 v45, v45, v48
	s_waitcnt lgkmcnt(2)
	v_mul_f32_e32 v100, v57, v75
	v_mul_f32_e32 v75, v58, v75
	v_fmac_f32_e32 v96, v50, v83
	s_waitcnt vmcnt(8)
	v_fma_f32 v50, v55, v86, -v74
	v_add_f32_e32 v44, 0, v44
	v_add_f32_e32 v45, v45, v49
	v_mul_f32_e32 v101, v59, v76
	v_mul_f32_e32 v76, v60, v76
	s_waitcnt vmcnt(7)
	v_fma_f32 v51, v57, v87, -v75
	v_add_f32_e32 v44, v44, v95
	v_add_f32_e32 v45, v45, v50
	v_fmac_f32_e32 v97, v52, v84
	s_waitcnt vmcnt(6)
	v_fma_f32 v52, v59, v88, -v76
	v_add_f32_e32 v44, v44, v96
	v_add_f32_e32 v45, v45, v51
	s_waitcnt lgkmcnt(1)
	v_mul_f32_e32 v46, v62, v77
	v_fmac_f32_e32 v98, v54, v85
	v_add_f32_e32 v44, v44, v97
	v_add_f32_e32 v45, v45, v52
	s_waitcnt vmcnt(5)
	v_fma_f32 v46, v61, v89, -v46
	v_fmac_f32_e32 v99, v56, v86
	v_add_f32_e32 v44, v44, v98
	v_add_f32_e32 v45, v45, v46
	v_mul_f32_e32 v46, v64, v78
	v_fmac_f32_e32 v100, v58, v87
	v_add_f32_e32 v44, v44, v99
	s_waitcnt vmcnt(4)
	v_fma_f32 v46, v63, v90, -v46
	v_mul_f32_e32 v102, v61, v77
	v_fmac_f32_e32 v101, v60, v88
	v_add_f32_e32 v44, v44, v100
	v_add_f32_e32 v45, v45, v46
	s_waitcnt lgkmcnt(0)
	v_mul_f32_e32 v46, v66, v79
	v_mul_f32_e32 v103, v63, v78
	v_fmac_f32_e32 v102, v62, v89
	v_add_f32_e32 v44, v44, v101
	s_waitcnt vmcnt(3)
	v_fma_f32 v46, v65, v91, -v46
	v_mul_f32_e32 v104, v65, v79
	v_fmac_f32_e32 v103, v64, v90
	v_add_f32_e32 v44, v44, v102
	v_add_f32_e32 v45, v45, v46
	v_mul_f32_e32 v46, v68, v80
	v_mul_f32_e32 v105, v67, v80
	v_fmac_f32_e32 v104, v66, v91
	v_add_f32_e32 v44, v44, v103
	s_waitcnt vmcnt(2)
	v_fma_f32 v46, v67, v92, -v46
	v_fmac_f32_e32 v105, v68, v92
	v_add_f32_e32 v44, v44, v104
	v_add_f32_e32 v45, v45, v46
	;; [unrolled: 1-line block ×3, first 2 shown]
	s_waitcnt vmcnt(1)
	v_sub_f32_e32 v45, v93, v45
	s_waitcnt vmcnt(0)
	v_sub_f32_e32 v44, v94, v44
	buffer_store_dword v45, off, s[0:3], 0 offset:64
	buffer_store_dword v44, off, s[0:3], 0 offset:68
	s_and_saveexec_b64 s[4:5], vcc
	s_cbranch_execz .LBB84_125
; %bb.124:
	buffer_load_dword v44, off, s[0:3], 0 offset:56
	buffer_load_dword v45, off, s[0:3], 0 offset:60
	v_mov_b32_e32 v46, 0
	buffer_store_dword v46, off, s[0:3], 0 offset:56
	buffer_store_dword v46, off, s[0:3], 0 offset:60
	s_waitcnt vmcnt(2)
	ds_write_b64 v43, v[44:45]
.LBB84_125:
	s_or_b64 exec, exec, s[4:5]
	s_waitcnt lgkmcnt(0)
	; wave barrier
	buffer_load_dword v71, off, s[0:3], 0 offset:68
	buffer_load_dword v72, off, s[0:3], 0 offset:76
	;; [unrolled: 1-line block ×28, first 2 shown]
	v_mov_b32_e32 v44, 0
	ds_read_b128 v[45:48], v44 offset:240
	ds_read_b128 v[49:52], v44 offset:256
	;; [unrolled: 1-line block ×6, first 2 shown]
	ds_read_b64 v[69:70], v44 offset:336
	v_cmp_lt_u32_e32 vcc, 6, v0
	s_waitcnt vmcnt(27) lgkmcnt(6)
	v_mul_f32_e32 v99, v45, v71
	v_mul_f32_e32 v71, v46, v71
	s_waitcnt vmcnt(26)
	v_mul_f32_e32 v100, v47, v72
	v_mul_f32_e32 v72, v48, v72
	s_waitcnt vmcnt(25) lgkmcnt(5)
	v_mul_f32_e32 v101, v49, v73
	v_mul_f32_e32 v73, v50, v73
	s_waitcnt vmcnt(24)
	v_mul_f32_e32 v102, v51, v74
	v_mul_f32_e32 v74, v52, v74
	;; [unrolled: 6-line block ×3, first 2 shown]
	s_waitcnt vmcnt(21) lgkmcnt(3)
	v_mul_f32_e32 v105, v57, v77
	s_waitcnt vmcnt(14)
	v_fma_f32 v45, v45, v84, -v71
	v_fmac_f32_e32 v99, v46, v84
	s_waitcnt vmcnt(13)
	v_fma_f32 v46, v47, v85, -v72
	v_add_f32_e32 v45, 0, v45
	s_waitcnt vmcnt(12)
	v_fma_f32 v47, v49, v86, -v73
	v_add_f32_e32 v45, v45, v46
	v_fmac_f32_e32 v100, v48, v85
	s_waitcnt vmcnt(11)
	v_fma_f32 v48, v51, v87, -v74
	v_add_f32_e32 v45, v45, v47
	s_waitcnt vmcnt(10)
	v_fma_f32 v49, v53, v88, -v75
	v_add_f32_e32 v45, v45, v48
	v_fmac_f32_e32 v101, v50, v86
	s_waitcnt vmcnt(9)
	v_fma_f32 v50, v55, v89, -v76
	v_add_f32_e32 v45, v45, v49
	v_mul_f32_e32 v47, v58, v77
	v_add_f32_e32 v45, v45, v50
	s_waitcnt vmcnt(8)
	v_fma_f32 v47, v57, v90, -v47
	v_add_f32_e32 v45, v45, v47
	v_mul_f32_e32 v47, v60, v78
	v_add_f32_e32 v51, 0, v99
	s_waitcnt vmcnt(7)
	v_fma_f32 v47, v59, v91, -v47
	v_add_f32_e32 v51, v51, v100
	v_add_f32_e32 v45, v45, v47
	s_waitcnt lgkmcnt(2)
	v_mul_f32_e32 v47, v62, v79
	v_fmac_f32_e32 v102, v52, v87
	v_add_f32_e32 v46, v51, v101
	s_waitcnt vmcnt(6)
	v_fma_f32 v47, v61, v92, -v47
	v_fmac_f32_e32 v103, v54, v88
	v_add_f32_e32 v46, v46, v102
	v_add_f32_e32 v45, v45, v47
	v_mul_f32_e32 v47, v64, v80
	v_fmac_f32_e32 v104, v56, v89
	v_add_f32_e32 v46, v46, v103
	s_waitcnt vmcnt(5)
	v_fma_f32 v47, v63, v93, -v47
	v_mul_f32_e32 v106, v59, v78
	v_fmac_f32_e32 v105, v58, v90
	v_add_f32_e32 v46, v46, v104
	v_add_f32_e32 v45, v45, v47
	s_waitcnt lgkmcnt(1)
	v_mul_f32_e32 v47, v66, v81
	v_mul_f32_e32 v107, v61, v79
	v_fmac_f32_e32 v106, v60, v91
	v_add_f32_e32 v46, v46, v105
	s_waitcnt vmcnt(4)
	v_fma_f32 v47, v65, v94, -v47
	v_mul_f32_e32 v108, v63, v80
	v_fmac_f32_e32 v107, v62, v92
	v_add_f32_e32 v46, v46, v106
	v_add_f32_e32 v45, v45, v47
	v_mul_f32_e32 v47, v68, v82
	v_mul_f32_e32 v109, v65, v81
	v_fmac_f32_e32 v108, v64, v93
	v_add_f32_e32 v46, v46, v107
	s_waitcnt vmcnt(3)
	v_fma_f32 v47, v67, v95, -v47
	v_mul_f32_e32 v110, v67, v82
	v_fmac_f32_e32 v109, v66, v94
	v_add_f32_e32 v46, v46, v108
	v_add_f32_e32 v45, v45, v47
	s_waitcnt lgkmcnt(0)
	v_mul_f32_e32 v47, v70, v83
	v_mul_f32_e32 v111, v69, v83
	v_fmac_f32_e32 v110, v68, v95
	v_add_f32_e32 v46, v46, v109
	s_waitcnt vmcnt(2)
	v_fma_f32 v47, v69, v96, -v47
	v_fmac_f32_e32 v111, v70, v96
	v_add_f32_e32 v46, v46, v110
	v_add_f32_e32 v45, v45, v47
	;; [unrolled: 1-line block ×3, first 2 shown]
	s_waitcnt vmcnt(1)
	v_sub_f32_e32 v45, v97, v45
	s_waitcnt vmcnt(0)
	v_sub_f32_e32 v46, v98, v46
	buffer_store_dword v45, off, s[0:3], 0 offset:56
	buffer_store_dword v46, off, s[0:3], 0 offset:60
	s_and_saveexec_b64 s[4:5], vcc
	s_cbranch_execz .LBB84_127
; %bb.126:
	buffer_load_dword v45, off, s[0:3], 0 offset:48
	buffer_load_dword v46, off, s[0:3], 0 offset:52
	s_waitcnt vmcnt(0)
	ds_write_b64 v43, v[45:46]
	buffer_store_dword v44, off, s[0:3], 0 offset:48
	buffer_store_dword v44, off, s[0:3], 0 offset:52
.LBB84_127:
	s_or_b64 exec, exec, s[4:5]
	s_waitcnt lgkmcnt(0)
	; wave barrier
	buffer_load_dword v73, off, s[0:3], 0 offset:60
	buffer_load_dword v74, off, s[0:3], 0 offset:68
	;; [unrolled: 1-line block ×30, first 2 shown]
	ds_read2_b64 v[45:48], v44 offset0:29 offset1:30
	ds_read2_b64 v[49:52], v44 offset0:31 offset1:32
	;; [unrolled: 1-line block ×7, first 2 shown]
	v_cmp_lt_u32_e32 vcc, 5, v0
	s_waitcnt vmcnt(29) lgkmcnt(6)
	v_mul_f32_e32 v44, v45, v73
	v_mul_f32_e32 v73, v46, v73
	s_waitcnt vmcnt(28)
	v_mul_f32_e32 v103, v47, v74
	v_mul_f32_e32 v74, v48, v74
	s_waitcnt vmcnt(27) lgkmcnt(5)
	v_mul_f32_e32 v104, v49, v75
	v_mul_f32_e32 v75, v50, v75
	s_waitcnt vmcnt(26)
	v_mul_f32_e32 v105, v51, v76
	v_mul_f32_e32 v76, v52, v76
	s_waitcnt vmcnt(25) lgkmcnt(4)
	v_mul_f32_e32 v106, v53, v77
	v_mul_f32_e32 v77, v54, v77
	s_waitcnt vmcnt(24)
	v_mul_f32_e32 v107, v55, v78
	s_waitcnt vmcnt(23) lgkmcnt(3)
	v_mul_f32_e32 v108, v57, v79
	s_waitcnt vmcnt(22)
	v_mul_f32_e32 v109, v59, v80
	s_waitcnt vmcnt(21) lgkmcnt(2)
	v_mul_f32_e32 v110, v61, v81
	s_waitcnt vmcnt(15)
	v_fma_f32 v45, v45, v87, -v73
	v_fmac_f32_e32 v44, v46, v87
	s_waitcnt vmcnt(14)
	v_fma_f32 v46, v47, v88, -v74
	v_add_f32_e32 v45, 0, v45
	s_waitcnt vmcnt(13)
	v_fma_f32 v47, v49, v89, -v75
	v_add_f32_e32 v45, v45, v46
	v_fmac_f32_e32 v103, v48, v88
	s_waitcnt vmcnt(12)
	v_fma_f32 v48, v51, v90, -v76
	v_add_f32_e32 v45, v45, v47
	s_waitcnt vmcnt(11)
	v_fma_f32 v49, v53, v91, -v77
	v_add_f32_e32 v45, v45, v48
	v_mul_f32_e32 v46, v56, v78
	v_add_f32_e32 v45, v45, v49
	s_waitcnt vmcnt(10)
	v_fma_f32 v46, v55, v92, -v46
	v_add_f32_e32 v45, v45, v46
	v_mul_f32_e32 v46, v58, v79
	s_waitcnt vmcnt(9)
	v_fma_f32 v46, v57, v93, -v46
	v_add_f32_e32 v45, v45, v46
	v_mul_f32_e32 v46, v60, v80
	s_waitcnt vmcnt(8)
	v_fma_f32 v46, v59, v94, -v46
	v_add_f32_e32 v44, 0, v44
	v_add_f32_e32 v45, v45, v46
	v_mul_f32_e32 v46, v62, v81
	v_fmac_f32_e32 v104, v50, v89
	v_add_f32_e32 v44, v44, v103
	s_waitcnt vmcnt(7)
	v_fma_f32 v46, v61, v95, -v46
	v_fmac_f32_e32 v105, v52, v90
	v_add_f32_e32 v44, v44, v104
	v_add_f32_e32 v45, v45, v46
	v_mul_f32_e32 v46, v64, v82
	v_fmac_f32_e32 v106, v54, v91
	v_add_f32_e32 v44, v44, v105
	s_waitcnt vmcnt(6)
	v_fma_f32 v46, v63, v96, -v46
	v_fmac_f32_e32 v107, v56, v92
	v_add_f32_e32 v44, v44, v106
	v_add_f32_e32 v45, v45, v46
	s_waitcnt lgkmcnt(1)
	v_mul_f32_e32 v46, v66, v83
	v_fmac_f32_e32 v108, v58, v93
	v_add_f32_e32 v44, v44, v107
	s_waitcnt vmcnt(5)
	v_fma_f32 v46, v65, v97, -v46
	v_fmac_f32_e32 v109, v60, v94
	v_add_f32_e32 v44, v44, v108
	v_add_f32_e32 v45, v45, v46
	v_mul_f32_e32 v46, v68, v84
	v_mul_f32_e32 v111, v63, v82
	v_fmac_f32_e32 v110, v62, v95
	v_add_f32_e32 v44, v44, v109
	s_waitcnt vmcnt(4)
	v_fma_f32 v46, v67, v98, -v46
	v_mul_f32_e32 v112, v65, v83
	v_fmac_f32_e32 v111, v64, v96
	v_add_f32_e32 v44, v44, v110
	v_add_f32_e32 v45, v45, v46
	s_waitcnt lgkmcnt(0)
	v_mul_f32_e32 v46, v70, v85
	v_mul_f32_e32 v113, v67, v84
	v_fmac_f32_e32 v112, v66, v97
	v_add_f32_e32 v44, v44, v111
	s_waitcnt vmcnt(3)
	v_fma_f32 v46, v69, v99, -v46
	v_mul_f32_e32 v114, v69, v85
	v_fmac_f32_e32 v113, v68, v98
	v_add_f32_e32 v44, v44, v112
	v_add_f32_e32 v45, v45, v46
	v_mul_f32_e32 v46, v72, v86
	v_mul_f32_e32 v115, v71, v86
	v_fmac_f32_e32 v114, v70, v99
	v_add_f32_e32 v44, v44, v113
	s_waitcnt vmcnt(2)
	v_fma_f32 v46, v71, v100, -v46
	v_fmac_f32_e32 v115, v72, v100
	v_add_f32_e32 v44, v44, v114
	v_add_f32_e32 v45, v45, v46
	;; [unrolled: 1-line block ×3, first 2 shown]
	s_waitcnt vmcnt(1)
	v_sub_f32_e32 v45, v101, v45
	s_waitcnt vmcnt(0)
	v_sub_f32_e32 v44, v102, v44
	buffer_store_dword v45, off, s[0:3], 0 offset:48
	buffer_store_dword v44, off, s[0:3], 0 offset:52
	s_and_saveexec_b64 s[4:5], vcc
	s_cbranch_execz .LBB84_129
; %bb.128:
	buffer_load_dword v44, off, s[0:3], 0 offset:40
	buffer_load_dword v45, off, s[0:3], 0 offset:44
	v_mov_b32_e32 v46, 0
	buffer_store_dword v46, off, s[0:3], 0 offset:40
	buffer_store_dword v46, off, s[0:3], 0 offset:44
	s_waitcnt vmcnt(2)
	ds_write_b64 v43, v[44:45]
.LBB84_129:
	s_or_b64 exec, exec, s[4:5]
	s_waitcnt lgkmcnt(0)
	; wave barrier
	buffer_load_dword v75, off, s[0:3], 0 offset:52
	buffer_load_dword v76, off, s[0:3], 0 offset:60
	;; [unrolled: 1-line block ×32, first 2 shown]
	v_mov_b32_e32 v44, 0
	ds_read_b128 v[45:48], v44 offset:224
	ds_read_b128 v[49:52], v44 offset:240
	;; [unrolled: 1-line block ×7, first 2 shown]
	ds_read_b64 v[73:74], v44 offset:336
	v_cmp_lt_u32_e32 vcc, 4, v0
	s_waitcnt vmcnt(31) lgkmcnt(7)
	v_mul_f32_e32 v107, v45, v75
	v_mul_f32_e32 v75, v46, v75
	s_waitcnt vmcnt(30)
	v_mul_f32_e32 v108, v47, v76
	v_mul_f32_e32 v76, v48, v76
	s_waitcnt vmcnt(29) lgkmcnt(6)
	v_mul_f32_e32 v109, v49, v77
	v_mul_f32_e32 v77, v50, v77
	s_waitcnt vmcnt(28)
	v_mul_f32_e32 v110, v51, v78
	s_waitcnt vmcnt(27) lgkmcnt(5)
	v_mul_f32_e32 v111, v53, v79
	s_waitcnt vmcnt(26)
	v_mul_f32_e32 v112, v55, v80
	s_waitcnt vmcnt(25) lgkmcnt(4)
	;; [unrolled: 4-line block ×4, first 2 shown]
	v_mul_f32_e32 v117, v65, v85
	s_waitcnt vmcnt(20)
	v_mul_f32_e32 v118, v67, v86
	s_waitcnt vmcnt(16)
	v_fma_f32 v45, v45, v90, -v75
	v_fmac_f32_e32 v107, v46, v90
	s_waitcnt vmcnt(15)
	v_fma_f32 v46, v47, v91, -v76
	v_add_f32_e32 v45, 0, v45
	s_waitcnt vmcnt(14)
	v_fma_f32 v47, v49, v92, -v77
	v_add_f32_e32 v45, v45, v46
	v_add_f32_e32 v45, v45, v47
	v_mul_f32_e32 v47, v52, v78
	s_waitcnt vmcnt(13)
	v_fma_f32 v47, v51, v93, -v47
	v_add_f32_e32 v45, v45, v47
	v_mul_f32_e32 v47, v54, v79
	s_waitcnt vmcnt(12)
	v_fma_f32 v47, v53, v94, -v47
	;; [unrolled: 4-line block ×5, first 2 shown]
	v_add_f32_e32 v45, v45, v47
	v_mul_f32_e32 v47, v62, v83
	v_fmac_f32_e32 v108, v48, v91
	v_add_f32_e32 v48, 0, v107
	s_waitcnt vmcnt(8)
	v_fma_f32 v47, v61, v98, -v47
	v_fmac_f32_e32 v109, v50, v92
	v_add_f32_e32 v48, v48, v108
	v_add_f32_e32 v45, v45, v47
	v_mul_f32_e32 v47, v64, v84
	v_fmac_f32_e32 v110, v52, v93
	v_add_f32_e32 v46, v48, v109
	s_waitcnt vmcnt(7)
	v_fma_f32 v47, v63, v99, -v47
	v_fmac_f32_e32 v111, v54, v94
	v_add_f32_e32 v46, v46, v110
	;; [unrolled: 8-line block ×4, first 2 shown]
	v_add_f32_e32 v45, v45, v47
	s_waitcnt lgkmcnt(1)
	v_mul_f32_e32 v47, v70, v87
	v_fmac_f32_e32 v116, v64, v99
	v_add_f32_e32 v46, v46, v115
	s_waitcnt vmcnt(4)
	v_fma_f32 v47, v69, v102, -v47
	v_fmac_f32_e32 v117, v66, v100
	v_add_f32_e32 v46, v46, v116
	v_add_f32_e32 v45, v45, v47
	v_mul_f32_e32 v47, v72, v88
	v_mul_f32_e32 v119, v69, v87
	v_fmac_f32_e32 v118, v68, v101
	v_add_f32_e32 v46, v46, v117
	s_waitcnt vmcnt(3)
	v_fma_f32 v47, v71, v103, -v47
	v_mul_f32_e32 v120, v71, v88
	v_fmac_f32_e32 v119, v70, v102
	v_add_f32_e32 v46, v46, v118
	v_add_f32_e32 v45, v45, v47
	s_waitcnt lgkmcnt(0)
	v_mul_f32_e32 v47, v74, v89
	v_mul_f32_e32 v121, v73, v89
	v_fmac_f32_e32 v120, v72, v103
	v_add_f32_e32 v46, v46, v119
	s_waitcnt vmcnt(2)
	v_fma_f32 v47, v73, v104, -v47
	v_fmac_f32_e32 v121, v74, v104
	v_add_f32_e32 v46, v46, v120
	v_add_f32_e32 v45, v45, v47
	;; [unrolled: 1-line block ×3, first 2 shown]
	s_waitcnt vmcnt(1)
	v_sub_f32_e32 v45, v105, v45
	s_waitcnt vmcnt(0)
	v_sub_f32_e32 v46, v106, v46
	buffer_store_dword v45, off, s[0:3], 0 offset:40
	buffer_store_dword v46, off, s[0:3], 0 offset:44
	s_and_saveexec_b64 s[4:5], vcc
	s_cbranch_execz .LBB84_131
; %bb.130:
	buffer_load_dword v45, off, s[0:3], 0 offset:32
	buffer_load_dword v46, off, s[0:3], 0 offset:36
	s_waitcnt vmcnt(0)
	ds_write_b64 v43, v[45:46]
	buffer_store_dword v44, off, s[0:3], 0 offset:32
	buffer_store_dword v44, off, s[0:3], 0 offset:36
.LBB84_131:
	s_or_b64 exec, exec, s[4:5]
	s_waitcnt lgkmcnt(0)
	; wave barrier
	buffer_load_dword v77, off, s[0:3], 0 offset:44
	buffer_load_dword v78, off, s[0:3], 0 offset:52
	;; [unrolled: 1-line block ×34, first 2 shown]
	ds_read2_b64 v[45:48], v44 offset0:27 offset1:28
	ds_read2_b64 v[49:52], v44 offset0:29 offset1:30
	;; [unrolled: 1-line block ×8, first 2 shown]
	v_cmp_lt_u32_e32 vcc, 3, v0
	s_waitcnt vmcnt(33) lgkmcnt(7)
	v_mul_f32_e32 v44, v45, v77
	v_mul_f32_e32 v77, v46, v77
	s_waitcnt vmcnt(32)
	v_mul_f32_e32 v111, v47, v78
	v_mul_f32_e32 v78, v48, v78
	s_waitcnt vmcnt(31) lgkmcnt(6)
	v_mul_f32_e32 v112, v49, v79
	s_waitcnt vmcnt(30)
	v_mul_f32_e32 v113, v51, v80
	s_waitcnt vmcnt(29) lgkmcnt(5)
	v_mul_f32_e32 v114, v53, v81
	s_waitcnt vmcnt(28)
	;; [unrolled: 4-line block ×6, first 2 shown]
	v_mul_f32_e32 v123, v71, v90
	s_waitcnt vmcnt(17)
	v_fma_f32 v45, v45, v93, -v77
	v_fmac_f32_e32 v44, v46, v93
	s_waitcnt vmcnt(16)
	v_fma_f32 v46, v47, v94, -v78
	v_add_f32_e32 v45, 0, v45
	v_add_f32_e32 v45, v45, v46
	v_mul_f32_e32 v46, v50, v79
	s_waitcnt vmcnt(15)
	v_fma_f32 v46, v49, v95, -v46
	v_add_f32_e32 v45, v45, v46
	v_mul_f32_e32 v46, v52, v80
	s_waitcnt vmcnt(14)
	v_fma_f32 v46, v51, v96, -v46
	;; [unrolled: 4-line block ×7, first 2 shown]
	v_fmac_f32_e32 v111, v48, v94
	v_add_f32_e32 v44, 0, v44
	v_add_f32_e32 v45, v45, v46
	v_mul_f32_e32 v46, v64, v86
	v_fmac_f32_e32 v112, v50, v95
	v_add_f32_e32 v44, v44, v111
	s_waitcnt vmcnt(8)
	v_fma_f32 v46, v63, v102, -v46
	v_fmac_f32_e32 v113, v52, v96
	v_add_f32_e32 v44, v44, v112
	v_add_f32_e32 v45, v45, v46
	v_mul_f32_e32 v46, v66, v87
	v_fmac_f32_e32 v114, v54, v97
	v_add_f32_e32 v44, v44, v113
	s_waitcnt vmcnt(7)
	v_fma_f32 v46, v65, v103, -v46
	;; [unrolled: 8-line block ×5, first 2 shown]
	v_fmac_f32_e32 v121, v68, v104
	v_add_f32_e32 v44, v44, v120
	v_add_f32_e32 v45, v45, v46
	s_waitcnt lgkmcnt(0)
	v_mul_f32_e32 v46, v74, v91
	v_fmac_f32_e32 v122, v70, v105
	v_add_f32_e32 v44, v44, v121
	s_waitcnt vmcnt(3)
	v_fma_f32 v46, v73, v107, -v46
	v_mul_f32_e32 v124, v73, v91
	v_fmac_f32_e32 v123, v72, v106
	v_add_f32_e32 v44, v44, v122
	v_add_f32_e32 v45, v45, v46
	v_mul_f32_e32 v46, v76, v92
	v_mul_f32_e32 v125, v75, v92
	v_fmac_f32_e32 v124, v74, v107
	v_add_f32_e32 v44, v44, v123
	s_waitcnt vmcnt(2)
	v_fma_f32 v46, v75, v108, -v46
	v_fmac_f32_e32 v125, v76, v108
	v_add_f32_e32 v44, v44, v124
	v_add_f32_e32 v45, v45, v46
	v_add_f32_e32 v44, v44, v125
	s_waitcnt vmcnt(1)
	v_sub_f32_e32 v45, v109, v45
	s_waitcnt vmcnt(0)
	v_sub_f32_e32 v44, v110, v44
	buffer_store_dword v45, off, s[0:3], 0 offset:32
	buffer_store_dword v44, off, s[0:3], 0 offset:36
	s_and_saveexec_b64 s[4:5], vcc
	s_cbranch_execz .LBB84_133
; %bb.132:
	buffer_load_dword v44, off, s[0:3], 0 offset:24
	buffer_load_dword v45, off, s[0:3], 0 offset:28
	v_mov_b32_e32 v46, 0
	buffer_store_dword v46, off, s[0:3], 0 offset:24
	buffer_store_dword v46, off, s[0:3], 0 offset:28
	s_waitcnt vmcnt(2)
	ds_write_b64 v43, v[44:45]
.LBB84_133:
	s_or_b64 exec, exec, s[4:5]
	v_mov_b32_e32 v44, 0
	s_waitcnt lgkmcnt(0)
	; wave barrier
	ds_read_b128 v[45:48], v44 offset:208
	ds_read_b128 v[49:52], v44 offset:224
	ds_read_b128 v[53:56], v44 offset:240
	ds_read_b128 v[57:60], v44 offset:256
	buffer_load_dword v79, off, s[0:3], 0 offset:24
	buffer_load_dword v80, off, s[0:3], 0 offset:28
	;; [unrolled: 1-line block ×18, first 2 shown]
	v_cmp_lt_u32_e32 vcc, 2, v0
	s_waitcnt vmcnt(14) lgkmcnt(3)
	v_mul_f32_e32 v61, v45, v82
	v_fmac_f32_e32 v61, v46, v81
	s_waitcnt vmcnt(12)
	v_mul_f32_e32 v62, v47, v84
	v_add_f32_e32 v61, 0, v61
	v_fmac_f32_e32 v62, v48, v83
	v_add_f32_e32 v61, v61, v62
	s_waitcnt vmcnt(10) lgkmcnt(2)
	v_mul_f32_e32 v62, v49, v86
	v_fmac_f32_e32 v62, v50, v85
	v_add_f32_e32 v61, v61, v62
	s_waitcnt vmcnt(8)
	v_mul_f32_e32 v62, v51, v88
	v_fmac_f32_e32 v62, v52, v87
	v_add_f32_e32 v61, v61, v62
	s_waitcnt vmcnt(6) lgkmcnt(1)
	v_mul_f32_e32 v62, v53, v90
	v_fmac_f32_e32 v62, v54, v89
	v_add_f32_e32 v61, v61, v62
	s_waitcnt vmcnt(4)
	v_mul_f32_e32 v62, v55, v92
	;; [unrolled: 8-line block ×3, first 2 shown]
	v_fmac_f32_e32 v62, v60, v95
	v_add_f32_e32 v65, v61, v62
	ds_read_b128 v[61:64], v44 offset:272
	buffer_load_dword v97, off, s[0:3], 0 offset:96
	buffer_load_dword v98, off, s[0:3], 0 offset:100
	;; [unrolled: 1-line block ×4, first 2 shown]
	v_mul_f32_e32 v46, v46, v82
	v_fma_f32 v45, v45, v81, -v46
	v_mul_f32_e32 v46, v48, v84
	v_add_f32_e32 v45, 0, v45
	v_fma_f32 v46, v47, v83, -v46
	v_add_f32_e32 v45, v45, v46
	v_mul_f32_e32 v46, v50, v86
	v_fma_f32 v46, v49, v85, -v46
	v_add_f32_e32 v45, v45, v46
	v_mul_f32_e32 v46, v52, v88
	;; [unrolled: 3-line block ×6, first 2 shown]
	v_fma_f32 v46, v59, v95, -v46
	v_add_f32_e32 v45, v45, v46
	s_waitcnt vmcnt(2) lgkmcnt(0)
	v_mul_f32_e32 v66, v61, v98
	v_fmac_f32_e32 v66, v62, v97
	v_add_f32_e32 v65, v65, v66
	s_waitcnt vmcnt(0)
	v_mul_f32_e32 v66, v63, v100
	v_fmac_f32_e32 v66, v64, v99
	v_add_f32_e32 v69, v65, v66
	ds_read_b128 v[65:68], v44 offset:288
	buffer_load_dword v101, off, s[0:3], 0 offset:112
	buffer_load_dword v102, off, s[0:3], 0 offset:116
	buffer_load_dword v103, off, s[0:3], 0 offset:120
	buffer_load_dword v104, off, s[0:3], 0 offset:124
	v_mul_f32_e32 v46, v62, v98
	v_fma_f32 v46, v61, v97, -v46
	v_add_f32_e32 v45, v45, v46
	v_mul_f32_e32 v46, v64, v100
	v_fma_f32 v46, v63, v99, -v46
	v_add_f32_e32 v45, v45, v46
	s_waitcnt vmcnt(2) lgkmcnt(0)
	v_mul_f32_e32 v70, v65, v102
	v_fmac_f32_e32 v70, v66, v101
	v_add_f32_e32 v69, v69, v70
	s_waitcnt vmcnt(0)
	v_mul_f32_e32 v70, v67, v104
	v_fmac_f32_e32 v70, v68, v103
	v_add_f32_e32 v73, v69, v70
	ds_read_b128 v[69:72], v44 offset:304
	buffer_load_dword v105, off, s[0:3], 0 offset:128
	buffer_load_dword v106, off, s[0:3], 0 offset:132
	buffer_load_dword v107, off, s[0:3], 0 offset:136
	buffer_load_dword v108, off, s[0:3], 0 offset:140
	v_mul_f32_e32 v46, v66, v102
	v_fma_f32 v46, v65, v101, -v46
	v_add_f32_e32 v45, v45, v46
	v_mul_f32_e32 v46, v68, v104
	v_fma_f32 v46, v67, v103, -v46
	v_add_f32_e32 v45, v45, v46
	s_waitcnt vmcnt(2) lgkmcnt(0)
	v_mul_f32_e32 v74, v69, v106
	v_fmac_f32_e32 v74, v70, v105
	v_add_f32_e32 v73, v73, v74
	s_waitcnt vmcnt(0)
	v_mul_f32_e32 v74, v71, v108
	v_fmac_f32_e32 v74, v72, v107
	v_add_f32_e32 v77, v73, v74
	ds_read_b128 v[73:76], v44 offset:320
	buffer_load_dword v109, off, s[0:3], 0 offset:144
	buffer_load_dword v110, off, s[0:3], 0 offset:148
	buffer_load_dword v111, off, s[0:3], 0 offset:152
	buffer_load_dword v112, off, s[0:3], 0 offset:156
	v_mul_f32_e32 v46, v70, v106
	v_fma_f32 v46, v69, v105, -v46
	v_add_f32_e32 v45, v45, v46
	v_mul_f32_e32 v46, v72, v108
	v_fma_f32 v46, v71, v107, -v46
	v_add_f32_e32 v45, v45, v46
	s_waitcnt vmcnt(2) lgkmcnt(0)
	v_mul_f32_e32 v78, v73, v110
	v_fmac_f32_e32 v78, v74, v109
	v_add_f32_e32 v77, v77, v78
	s_waitcnt vmcnt(0)
	v_mul_f32_e32 v78, v75, v112
	v_fmac_f32_e32 v78, v76, v111
	v_add_f32_e32 v113, v77, v78
	ds_read_b64 v[77:78], v44 offset:336
	buffer_load_dword v114, off, s[0:3], 0 offset:160
	buffer_load_dword v115, off, s[0:3], 0 offset:164
	v_mul_f32_e32 v46, v74, v110
	v_fma_f32 v46, v73, v109, -v46
	v_add_f32_e32 v45, v45, v46
	v_mul_f32_e32 v46, v76, v112
	v_fma_f32 v46, v75, v111, -v46
	v_add_f32_e32 v45, v45, v46
	s_waitcnt vmcnt(0) lgkmcnt(0)
	v_mul_f32_e32 v46, v78, v115
	v_mul_f32_e32 v116, v77, v115
	v_fma_f32 v46, v77, v114, -v46
	v_fmac_f32_e32 v116, v78, v114
	v_add_f32_e32 v45, v45, v46
	v_add_f32_e32 v113, v113, v116
	v_sub_f32_e32 v45, v79, v45
	v_sub_f32_e32 v46, v80, v113
	buffer_store_dword v45, off, s[0:3], 0 offset:24
	buffer_store_dword v46, off, s[0:3], 0 offset:28
	s_and_saveexec_b64 s[4:5], vcc
	s_cbranch_execz .LBB84_135
; %bb.134:
	buffer_load_dword v45, off, s[0:3], 0 offset:16
	buffer_load_dword v46, off, s[0:3], 0 offset:20
	s_waitcnt vmcnt(0)
	ds_write_b64 v43, v[45:46]
	buffer_store_dword v44, off, s[0:3], 0 offset:16
	buffer_store_dword v44, off, s[0:3], 0 offset:20
.LBB84_135:
	s_or_b64 exec, exec, s[4:5]
	s_waitcnt lgkmcnt(0)
	; wave barrier
	ds_read2_b64 v[45:48], v44 offset0:25 offset1:26
	buffer_load_dword v81, off, s[0:3], 0 offset:16
	buffer_load_dword v82, off, s[0:3], 0 offset:20
	buffer_load_dword v83, off, s[0:3], 0 offset:24
	buffer_load_dword v84, off, s[0:3], 0 offset:28
	buffer_load_dword v85, off, s[0:3], 0 offset:32
	buffer_load_dword v86, off, s[0:3], 0 offset:36
	buffer_load_dword v87, off, s[0:3], 0 offset:40
	buffer_load_dword v88, off, s[0:3], 0 offset:44
	buffer_load_dword v89, off, s[0:3], 0 offset:48
	buffer_load_dword v90, off, s[0:3], 0 offset:52
	buffer_load_dword v91, off, s[0:3], 0 offset:56
	buffer_load_dword v92, off, s[0:3], 0 offset:60
	buffer_load_dword v93, off, s[0:3], 0 offset:64
	buffer_load_dword v94, off, s[0:3], 0 offset:68
	buffer_load_dword v95, off, s[0:3], 0 offset:72
	buffer_load_dword v96, off, s[0:3], 0 offset:76
	v_cmp_lt_u32_e32 vcc, 1, v0
	s_waitcnt vmcnt(12) lgkmcnt(0)
	v_mul_f32_e32 v49, v45, v84
	v_fmac_f32_e32 v49, v46, v83
	s_waitcnt vmcnt(10)
	v_mul_f32_e32 v50, v47, v86
	v_add_f32_e32 v49, 0, v49
	v_fmac_f32_e32 v50, v48, v85
	v_add_f32_e32 v53, v49, v50
	ds_read2_b64 v[49:52], v44 offset0:27 offset1:28
	v_mul_f32_e32 v46, v46, v84
	v_fma_f32 v45, v45, v83, -v46
	v_mul_f32_e32 v46, v48, v86
	v_add_f32_e32 v45, 0, v45
	s_waitcnt vmcnt(8) lgkmcnt(0)
	v_mul_f32_e32 v54, v49, v88
	v_fmac_f32_e32 v54, v50, v87
	v_add_f32_e32 v53, v53, v54
	s_waitcnt vmcnt(6)
	v_mul_f32_e32 v54, v51, v90
	v_fmac_f32_e32 v54, v52, v89
	v_add_f32_e32 v57, v53, v54
	ds_read2_b64 v[53:56], v44 offset0:29 offset1:30
	v_fma_f32 v46, v47, v85, -v46
	v_add_f32_e32 v45, v45, v46
	v_mul_f32_e32 v46, v50, v88
	v_fma_f32 v46, v49, v87, -v46
	s_waitcnt vmcnt(4) lgkmcnt(0)
	v_mul_f32_e32 v58, v53, v92
	v_fmac_f32_e32 v58, v54, v91
	v_add_f32_e32 v57, v57, v58
	s_waitcnt vmcnt(2)
	v_mul_f32_e32 v58, v55, v94
	v_fmac_f32_e32 v58, v56, v93
	v_add_f32_e32 v61, v57, v58
	ds_read2_b64 v[57:60], v44 offset0:31 offset1:32
	buffer_load_dword v97, off, s[0:3], 0 offset:80
	buffer_load_dword v98, off, s[0:3], 0 offset:84
	v_add_f32_e32 v45, v45, v46
	v_mul_f32_e32 v46, v52, v90
	v_fma_f32 v46, v51, v89, -v46
	s_waitcnt vmcnt(2) lgkmcnt(0)
	v_mul_f32_e32 v62, v57, v96
	v_fmac_f32_e32 v62, v58, v95
	v_add_f32_e32 v61, v61, v62
	v_add_f32_e32 v45, v45, v46
	v_mul_f32_e32 v46, v54, v92
	v_fma_f32 v46, v53, v91, -v46
	v_add_f32_e32 v45, v45, v46
	v_mul_f32_e32 v46, v56, v94
	v_fma_f32 v46, v55, v93, -v46
	;; [unrolled: 3-line block ×3, first 2 shown]
	v_add_f32_e32 v45, v45, v46
	s_waitcnt vmcnt(0)
	v_mul_f32_e32 v62, v59, v98
	v_fmac_f32_e32 v62, v60, v97
	v_add_f32_e32 v65, v61, v62
	ds_read2_b64 v[61:64], v44 offset0:33 offset1:34
	buffer_load_dword v99, off, s[0:3], 0 offset:88
	buffer_load_dword v100, off, s[0:3], 0 offset:92
	;; [unrolled: 1-line block ×4, first 2 shown]
	v_mul_f32_e32 v46, v60, v98
	v_fma_f32 v46, v59, v97, -v46
	v_add_f32_e32 v45, v45, v46
	s_waitcnt vmcnt(2) lgkmcnt(0)
	v_mul_f32_e32 v66, v61, v100
	v_fmac_f32_e32 v66, v62, v99
	v_add_f32_e32 v65, v65, v66
	s_waitcnt vmcnt(0)
	v_mul_f32_e32 v66, v63, v102
	v_fmac_f32_e32 v66, v64, v101
	v_add_f32_e32 v69, v65, v66
	ds_read2_b64 v[65:68], v44 offset0:35 offset1:36
	buffer_load_dword v103, off, s[0:3], 0 offset:104
	buffer_load_dword v104, off, s[0:3], 0 offset:108
	buffer_load_dword v105, off, s[0:3], 0 offset:112
	buffer_load_dword v106, off, s[0:3], 0 offset:116
	v_mul_f32_e32 v46, v62, v100
	v_fma_f32 v46, v61, v99, -v46
	v_add_f32_e32 v45, v45, v46
	v_mul_f32_e32 v46, v64, v102
	v_fma_f32 v46, v63, v101, -v46
	v_add_f32_e32 v45, v45, v46
	s_waitcnt vmcnt(2) lgkmcnt(0)
	v_mul_f32_e32 v70, v65, v104
	v_fmac_f32_e32 v70, v66, v103
	v_add_f32_e32 v69, v69, v70
	s_waitcnt vmcnt(0)
	v_mul_f32_e32 v70, v67, v106
	v_fmac_f32_e32 v70, v68, v105
	v_add_f32_e32 v73, v69, v70
	ds_read2_b64 v[69:72], v44 offset0:37 offset1:38
	buffer_load_dword v107, off, s[0:3], 0 offset:120
	buffer_load_dword v108, off, s[0:3], 0 offset:124
	buffer_load_dword v109, off, s[0:3], 0 offset:128
	buffer_load_dword v110, off, s[0:3], 0 offset:132
	v_mul_f32_e32 v46, v66, v104
	v_fma_f32 v46, v65, v103, -v46
	v_add_f32_e32 v45, v45, v46
	;; [unrolled: 19-line block ×3, first 2 shown]
	v_mul_f32_e32 v46, v72, v110
	v_fma_f32 v46, v71, v109, -v46
	v_add_f32_e32 v45, v45, v46
	s_waitcnt vmcnt(2) lgkmcnt(0)
	v_mul_f32_e32 v78, v73, v112
	v_fmac_f32_e32 v78, v74, v111
	v_add_f32_e32 v77, v77, v78
	s_waitcnt vmcnt(0)
	v_mul_f32_e32 v78, v75, v114
	v_fmac_f32_e32 v78, v76, v113
	v_add_f32_e32 v115, v77, v78
	ds_read2_b64 v[77:80], v44 offset0:41 offset1:42
	buffer_load_dword v44, off, s[0:3], 0 offset:152
	buffer_load_dword v116, off, s[0:3], 0 offset:156
	v_mul_f32_e32 v46, v74, v112
	v_fma_f32 v46, v73, v111, -v46
	v_add_f32_e32 v45, v45, v46
	v_mul_f32_e32 v46, v76, v114
	v_fma_f32 v46, v75, v113, -v46
	v_add_f32_e32 v45, v45, v46
	s_waitcnt vmcnt(0) lgkmcnt(0)
	v_mul_f32_e32 v117, v77, v116
	v_fmac_f32_e32 v117, v78, v44
	v_add_f32_e32 v115, v115, v117
	buffer_load_dword v117, off, s[0:3], 0 offset:160
	buffer_load_dword v118, off, s[0:3], 0 offset:164
	v_mul_f32_e32 v46, v78, v116
	v_fma_f32 v44, v77, v44, -v46
	v_add_f32_e32 v44, v45, v44
	s_waitcnt vmcnt(0)
	v_mul_f32_e32 v45, v80, v118
	v_mul_f32_e32 v119, v79, v118
	v_fma_f32 v45, v79, v117, -v45
	v_fmac_f32_e32 v119, v80, v117
	v_add_f32_e32 v44, v44, v45
	v_add_f32_e32 v115, v115, v119
	v_sub_f32_e32 v44, v81, v44
	v_sub_f32_e32 v45, v82, v115
	buffer_store_dword v44, off, s[0:3], 0 offset:16
	buffer_store_dword v45, off, s[0:3], 0 offset:20
	s_and_saveexec_b64 s[4:5], vcc
	s_cbranch_execz .LBB84_137
; %bb.136:
	buffer_load_dword v44, off, s[0:3], 0 offset:8
	buffer_load_dword v45, off, s[0:3], 0 offset:12
	v_mov_b32_e32 v46, 0
	buffer_store_dword v46, off, s[0:3], 0 offset:8
	buffer_store_dword v46, off, s[0:3], 0 offset:12
	s_waitcnt vmcnt(2)
	ds_write_b64 v43, v[44:45]
.LBB84_137:
	s_or_b64 exec, exec, s[4:5]
	v_mov_b32_e32 v44, 0
	s_waitcnt lgkmcnt(0)
	; wave barrier
	ds_read_b128 v[45:48], v44 offset:192
	ds_read_b128 v[49:52], v44 offset:208
	;; [unrolled: 1-line block ×4, first 2 shown]
	buffer_load_dword v83, off, s[0:3], 0 offset:8
	buffer_load_dword v84, off, s[0:3], 0 offset:12
	;; [unrolled: 1-line block ×18, first 2 shown]
	v_cmp_ne_u32_e32 vcc, 0, v0
	s_waitcnt vmcnt(14) lgkmcnt(3)
	v_mul_f32_e32 v61, v45, v86
	v_fmac_f32_e32 v61, v46, v85
	s_waitcnt vmcnt(12)
	v_mul_f32_e32 v62, v47, v88
	v_add_f32_e32 v61, 0, v61
	v_fmac_f32_e32 v62, v48, v87
	v_add_f32_e32 v61, v61, v62
	s_waitcnt vmcnt(10) lgkmcnt(2)
	v_mul_f32_e32 v62, v49, v90
	v_fmac_f32_e32 v62, v50, v89
	v_add_f32_e32 v61, v61, v62
	s_waitcnt vmcnt(8)
	v_mul_f32_e32 v62, v51, v92
	v_fmac_f32_e32 v62, v52, v91
	v_add_f32_e32 v61, v61, v62
	s_waitcnt vmcnt(6) lgkmcnt(1)
	v_mul_f32_e32 v62, v53, v94
	v_fmac_f32_e32 v62, v54, v93
	v_add_f32_e32 v61, v61, v62
	s_waitcnt vmcnt(4)
	v_mul_f32_e32 v62, v55, v96
	;; [unrolled: 8-line block ×3, first 2 shown]
	v_fmac_f32_e32 v62, v60, v99
	v_add_f32_e32 v65, v61, v62
	ds_read_b128 v[61:64], v44 offset:256
	buffer_load_dword v101, off, s[0:3], 0 offset:80
	buffer_load_dword v102, off, s[0:3], 0 offset:84
	;; [unrolled: 1-line block ×4, first 2 shown]
	v_mul_f32_e32 v46, v46, v86
	v_fma_f32 v45, v45, v85, -v46
	v_mul_f32_e32 v46, v48, v88
	v_add_f32_e32 v45, 0, v45
	v_fma_f32 v46, v47, v87, -v46
	v_add_f32_e32 v45, v45, v46
	v_mul_f32_e32 v46, v50, v90
	v_fma_f32 v46, v49, v89, -v46
	v_add_f32_e32 v45, v45, v46
	v_mul_f32_e32 v46, v52, v92
	;; [unrolled: 3-line block ×6, first 2 shown]
	v_fma_f32 v46, v59, v99, -v46
	v_add_f32_e32 v45, v45, v46
	s_waitcnt vmcnt(2) lgkmcnt(0)
	v_mul_f32_e32 v66, v61, v102
	v_fmac_f32_e32 v66, v62, v101
	v_add_f32_e32 v65, v65, v66
	s_waitcnt vmcnt(0)
	v_mul_f32_e32 v66, v63, v104
	v_fmac_f32_e32 v66, v64, v103
	v_add_f32_e32 v69, v65, v66
	ds_read_b128 v[65:68], v44 offset:272
	buffer_load_dword v105, off, s[0:3], 0 offset:96
	buffer_load_dword v106, off, s[0:3], 0 offset:100
	buffer_load_dword v107, off, s[0:3], 0 offset:104
	buffer_load_dword v108, off, s[0:3], 0 offset:108
	v_mul_f32_e32 v46, v62, v102
	v_fma_f32 v46, v61, v101, -v46
	v_add_f32_e32 v45, v45, v46
	v_mul_f32_e32 v46, v64, v104
	v_fma_f32 v46, v63, v103, -v46
	v_add_f32_e32 v45, v45, v46
	s_waitcnt vmcnt(2) lgkmcnt(0)
	v_mul_f32_e32 v70, v65, v106
	v_fmac_f32_e32 v70, v66, v105
	v_add_f32_e32 v69, v69, v70
	s_waitcnt vmcnt(0)
	v_mul_f32_e32 v70, v67, v108
	v_fmac_f32_e32 v70, v68, v107
	v_add_f32_e32 v73, v69, v70
	ds_read_b128 v[69:72], v44 offset:288
	buffer_load_dword v109, off, s[0:3], 0 offset:112
	buffer_load_dword v110, off, s[0:3], 0 offset:116
	buffer_load_dword v111, off, s[0:3], 0 offset:120
	buffer_load_dword v112, off, s[0:3], 0 offset:124
	v_mul_f32_e32 v46, v66, v106
	v_fma_f32 v46, v65, v105, -v46
	v_add_f32_e32 v45, v45, v46
	v_mul_f32_e32 v46, v68, v108
	;; [unrolled: 19-line block ×4, first 2 shown]
	v_fma_f32 v46, v75, v115, -v46
	v_add_f32_e32 v45, v45, v46
	s_waitcnt vmcnt(2) lgkmcnt(0)
	v_mul_f32_e32 v82, v77, v118
	v_fmac_f32_e32 v82, v78, v117
	v_add_f32_e32 v81, v81, v82
	s_waitcnt vmcnt(0)
	v_mul_f32_e32 v82, v79, v120
	v_fmac_f32_e32 v82, v80, v119
	v_add_f32_e32 v121, v81, v82
	ds_read_b64 v[81:82], v44 offset:336
	buffer_load_dword v122, off, s[0:3], 0 offset:160
	buffer_load_dword v123, off, s[0:3], 0 offset:164
	v_mul_f32_e32 v46, v78, v118
	v_fma_f32 v46, v77, v117, -v46
	v_add_f32_e32 v45, v45, v46
	v_mul_f32_e32 v46, v80, v120
	v_fma_f32 v46, v79, v119, -v46
	v_add_f32_e32 v45, v45, v46
	s_waitcnt vmcnt(0) lgkmcnt(0)
	v_mul_f32_e32 v46, v82, v123
	v_mul_f32_e32 v124, v81, v123
	v_fma_f32 v46, v81, v122, -v46
	v_fmac_f32_e32 v124, v82, v122
	v_add_f32_e32 v45, v45, v46
	v_add_f32_e32 v121, v121, v124
	v_sub_f32_e32 v45, v83, v45
	v_sub_f32_e32 v46, v84, v121
	buffer_store_dword v45, off, s[0:3], 0 offset:8
	buffer_store_dword v46, off, s[0:3], 0 offset:12
	s_and_saveexec_b64 s[4:5], vcc
	s_cbranch_execz .LBB84_139
; %bb.138:
	buffer_load_dword v45, off, s[0:3], 0
	buffer_load_dword v46, off, s[0:3], 0 offset:4
	s_waitcnt vmcnt(0)
	ds_write_b64 v43, v[45:46]
	buffer_store_dword v44, off, s[0:3], 0
	buffer_store_dword v44, off, s[0:3], 0 offset:4
.LBB84_139:
	s_or_b64 exec, exec, s[4:5]
	s_waitcnt lgkmcnt(0)
	; wave barrier
	ds_read2_b64 v[45:48], v44 offset0:23 offset1:24
	buffer_load_dword v0, off, s[0:3], 0
	buffer_load_dword v43, off, s[0:3], 0 offset:4
	buffer_load_dword v85, off, s[0:3], 0 offset:8
	;; [unrolled: 1-line block ×15, first 2 shown]
	s_and_b64 vcc, exec, s[14:15]
	s_waitcnt vmcnt(12) lgkmcnt(0)
	v_mul_f32_e32 v49, v45, v86
	v_fmac_f32_e32 v49, v46, v85
	s_waitcnt vmcnt(10)
	v_mul_f32_e32 v50, v47, v88
	v_add_f32_e32 v49, 0, v49
	v_fmac_f32_e32 v50, v48, v87
	v_add_f32_e32 v53, v49, v50
	ds_read2_b64 v[49:52], v44 offset0:25 offset1:26
	v_mul_f32_e32 v46, v46, v86
	v_fma_f32 v45, v45, v85, -v46
	v_mul_f32_e32 v46, v48, v88
	v_add_f32_e32 v45, 0, v45
	s_waitcnt vmcnt(8) lgkmcnt(0)
	v_mul_f32_e32 v54, v49, v90
	v_fmac_f32_e32 v54, v50, v89
	v_add_f32_e32 v53, v53, v54
	s_waitcnt vmcnt(6)
	v_mul_f32_e32 v54, v51, v92
	v_fmac_f32_e32 v54, v52, v91
	v_add_f32_e32 v57, v53, v54
	ds_read2_b64 v[53:56], v44 offset0:27 offset1:28
	v_fma_f32 v46, v47, v87, -v46
	v_add_f32_e32 v45, v45, v46
	v_mul_f32_e32 v46, v50, v90
	v_fma_f32 v46, v49, v89, -v46
	s_waitcnt vmcnt(4) lgkmcnt(0)
	v_mul_f32_e32 v58, v53, v94
	v_fmac_f32_e32 v58, v54, v93
	v_add_f32_e32 v57, v57, v58
	s_waitcnt vmcnt(2)
	v_mul_f32_e32 v58, v55, v96
	v_fmac_f32_e32 v58, v56, v95
	v_add_f32_e32 v61, v57, v58
	ds_read2_b64 v[57:60], v44 offset0:29 offset1:30
	buffer_load_dword v99, off, s[0:3], 0 offset:64
	buffer_load_dword v100, off, s[0:3], 0 offset:68
	v_add_f32_e32 v45, v45, v46
	v_mul_f32_e32 v46, v52, v92
	v_fma_f32 v46, v51, v91, -v46
	s_waitcnt vmcnt(2) lgkmcnt(0)
	v_mul_f32_e32 v62, v57, v98
	v_fmac_f32_e32 v62, v58, v97
	v_add_f32_e32 v61, v61, v62
	v_add_f32_e32 v45, v45, v46
	v_mul_f32_e32 v46, v54, v94
	v_fma_f32 v46, v53, v93, -v46
	v_add_f32_e32 v45, v45, v46
	v_mul_f32_e32 v46, v56, v96
	v_fma_f32 v46, v55, v95, -v46
	;; [unrolled: 3-line block ×3, first 2 shown]
	v_add_f32_e32 v45, v45, v46
	s_waitcnt vmcnt(0)
	v_mul_f32_e32 v62, v59, v100
	v_fmac_f32_e32 v62, v60, v99
	v_add_f32_e32 v65, v61, v62
	ds_read2_b64 v[61:64], v44 offset0:31 offset1:32
	buffer_load_dword v101, off, s[0:3], 0 offset:72
	buffer_load_dword v102, off, s[0:3], 0 offset:76
	;; [unrolled: 1-line block ×4, first 2 shown]
	v_mul_f32_e32 v46, v60, v100
	v_fma_f32 v46, v59, v99, -v46
	v_add_f32_e32 v45, v45, v46
	s_waitcnt vmcnt(2) lgkmcnt(0)
	v_mul_f32_e32 v66, v61, v102
	v_fmac_f32_e32 v66, v62, v101
	v_add_f32_e32 v65, v65, v66
	s_waitcnt vmcnt(0)
	v_mul_f32_e32 v66, v63, v104
	v_fmac_f32_e32 v66, v64, v103
	v_add_f32_e32 v69, v65, v66
	ds_read2_b64 v[65:68], v44 offset0:33 offset1:34
	buffer_load_dword v105, off, s[0:3], 0 offset:88
	buffer_load_dword v106, off, s[0:3], 0 offset:92
	buffer_load_dword v107, off, s[0:3], 0 offset:96
	buffer_load_dword v108, off, s[0:3], 0 offset:100
	v_mul_f32_e32 v46, v62, v102
	v_fma_f32 v46, v61, v101, -v46
	v_add_f32_e32 v45, v45, v46
	v_mul_f32_e32 v46, v64, v104
	v_fma_f32 v46, v63, v103, -v46
	v_add_f32_e32 v45, v45, v46
	s_waitcnt vmcnt(2) lgkmcnt(0)
	v_mul_f32_e32 v70, v65, v106
	v_fmac_f32_e32 v70, v66, v105
	v_add_f32_e32 v69, v69, v70
	s_waitcnt vmcnt(0)
	v_mul_f32_e32 v70, v67, v108
	v_fmac_f32_e32 v70, v68, v107
	v_add_f32_e32 v73, v69, v70
	ds_read2_b64 v[69:72], v44 offset0:35 offset1:36
	buffer_load_dword v109, off, s[0:3], 0 offset:104
	buffer_load_dword v110, off, s[0:3], 0 offset:108
	buffer_load_dword v111, off, s[0:3], 0 offset:112
	buffer_load_dword v112, off, s[0:3], 0 offset:116
	v_mul_f32_e32 v46, v66, v106
	v_fma_f32 v46, v65, v105, -v46
	v_add_f32_e32 v45, v45, v46
	;; [unrolled: 19-line block ×4, first 2 shown]
	v_mul_f32_e32 v46, v76, v116
	v_fma_f32 v46, v75, v115, -v46
	v_add_f32_e32 v45, v45, v46
	s_waitcnt vmcnt(2) lgkmcnt(0)
	v_mul_f32_e32 v82, v77, v118
	v_fmac_f32_e32 v82, v78, v117
	v_add_f32_e32 v81, v81, v82
	s_waitcnt vmcnt(0)
	v_mul_f32_e32 v82, v79, v120
	v_fmac_f32_e32 v82, v80, v119
	v_add_f32_e32 v121, v81, v82
	ds_read2_b64 v[81:84], v44 offset0:41 offset1:42
	buffer_load_dword v44, off, s[0:3], 0 offset:152
	buffer_load_dword v122, off, s[0:3], 0 offset:156
	v_mul_f32_e32 v46, v78, v118
	v_fma_f32 v46, v77, v117, -v46
	v_add_f32_e32 v45, v45, v46
	v_mul_f32_e32 v46, v80, v120
	v_fma_f32 v46, v79, v119, -v46
	v_add_f32_e32 v45, v45, v46
	s_waitcnt vmcnt(0) lgkmcnt(0)
	v_mul_f32_e32 v123, v81, v122
	v_fmac_f32_e32 v123, v82, v44
	v_add_f32_e32 v121, v121, v123
	buffer_load_dword v123, off, s[0:3], 0 offset:160
	buffer_load_dword v124, off, s[0:3], 0 offset:164
	v_mul_f32_e32 v46, v82, v122
	v_fma_f32 v44, v81, v44, -v46
	v_add_f32_e32 v44, v45, v44
	s_waitcnt vmcnt(0)
	v_mul_f32_e32 v45, v84, v124
	v_mul_f32_e32 v125, v83, v124
	v_fma_f32 v45, v83, v123, -v45
	v_fmac_f32_e32 v125, v84, v123
	v_add_f32_e32 v44, v44, v45
	v_add_f32_e32 v121, v121, v125
	v_sub_f32_e32 v0, v0, v44
	v_sub_f32_e32 v43, v43, v121
	buffer_store_dword v0, off, s[0:3], 0
	buffer_store_dword v43, off, s[0:3], 0 offset:4
	s_cbranch_vccz .LBB84_180
; %bb.140:
	v_mov_b32_e32 v0, 0
	global_load_dword v43, v0, s[12:13] offset:76
	s_waitcnt vmcnt(0)
	v_add_u32_e32 v43, -1, v43
	v_cmp_ne_u32_e32 vcc, 19, v43
	s_cbranch_vccz .LBB84_142
; %bb.141:
	v_lshlrev_b32_e32 v43, 3, v43
	buffer_load_dword v44, v43, s[0:3], 0 offen
	buffer_load_dword v45, v43, s[0:3], 0 offen offset:4
	buffer_load_dword v46, off, s[0:3], 0 offset:152
	buffer_load_dword v47, off, s[0:3], 0 offset:156
	s_waitcnt vmcnt(3)
	buffer_store_dword v44, off, s[0:3], 0 offset:152
	s_waitcnt vmcnt(3)
	buffer_store_dword v45, off, s[0:3], 0 offset:156
	s_waitcnt vmcnt(3)
	buffer_store_dword v46, v43, s[0:3], 0 offen
	s_waitcnt vmcnt(3)
	buffer_store_dword v47, v43, s[0:3], 0 offen offset:4
.LBB84_142:
	global_load_dword v0, v0, s[12:13] offset:72
	s_waitcnt vmcnt(0)
	v_add_u32_e32 v0, -1, v0
	v_cmp_eq_u32_e32 vcc, 18, v0
	s_cbranch_vccnz .LBB84_144
; %bb.143:
	v_lshlrev_b32_e32 v0, 3, v0
	buffer_load_dword v43, v0, s[0:3], 0 offen
	buffer_load_dword v44, v0, s[0:3], 0 offen offset:4
	buffer_load_dword v45, off, s[0:3], 0 offset:148
	buffer_load_dword v46, off, s[0:3], 0 offset:144
	s_waitcnt vmcnt(3)
	buffer_store_dword v43, off, s[0:3], 0 offset:144
	s_waitcnt vmcnt(3)
	buffer_store_dword v44, off, s[0:3], 0 offset:148
	s_waitcnt vmcnt(3)
	buffer_store_dword v45, v0, s[0:3], 0 offen offset:4
	s_waitcnt vmcnt(3)
	buffer_store_dword v46, v0, s[0:3], 0 offen
.LBB84_144:
	v_mov_b32_e32 v0, 0
	global_load_dword v43, v0, s[12:13] offset:68
	s_waitcnt vmcnt(0)
	v_add_u32_e32 v43, -1, v43
	v_cmp_eq_u32_e32 vcc, 17, v43
	s_cbranch_vccnz .LBB84_146
; %bb.145:
	v_lshlrev_b32_e32 v43, 3, v43
	buffer_load_dword v44, v43, s[0:3], 0 offen
	buffer_load_dword v45, v43, s[0:3], 0 offen offset:4
	buffer_load_dword v46, off, s[0:3], 0 offset:136
	buffer_load_dword v47, off, s[0:3], 0 offset:140
	s_waitcnt vmcnt(3)
	buffer_store_dword v44, off, s[0:3], 0 offset:136
	s_waitcnt vmcnt(3)
	buffer_store_dword v45, off, s[0:3], 0 offset:140
	s_waitcnt vmcnt(3)
	buffer_store_dword v46, v43, s[0:3], 0 offen
	s_waitcnt vmcnt(3)
	buffer_store_dword v47, v43, s[0:3], 0 offen offset:4
.LBB84_146:
	global_load_dword v0, v0, s[12:13] offset:64
	s_waitcnt vmcnt(0)
	v_add_u32_e32 v0, -1, v0
	v_cmp_eq_u32_e32 vcc, 16, v0
	s_cbranch_vccnz .LBB84_148
; %bb.147:
	v_lshlrev_b32_e32 v0, 3, v0
	buffer_load_dword v43, v0, s[0:3], 0 offen
	buffer_load_dword v44, v0, s[0:3], 0 offen offset:4
	buffer_load_dword v45, off, s[0:3], 0 offset:132
	buffer_load_dword v46, off, s[0:3], 0 offset:128
	s_waitcnt vmcnt(3)
	buffer_store_dword v43, off, s[0:3], 0 offset:128
	s_waitcnt vmcnt(3)
	buffer_store_dword v44, off, s[0:3], 0 offset:132
	s_waitcnt vmcnt(3)
	buffer_store_dword v45, v0, s[0:3], 0 offen offset:4
	s_waitcnt vmcnt(3)
	buffer_store_dword v46, v0, s[0:3], 0 offen
.LBB84_148:
	v_mov_b32_e32 v0, 0
	global_load_dword v43, v0, s[12:13] offset:60
	s_waitcnt vmcnt(0)
	v_add_u32_e32 v43, -1, v43
	v_cmp_eq_u32_e32 vcc, 15, v43
	s_cbranch_vccnz .LBB84_150
; %bb.149:
	v_lshlrev_b32_e32 v43, 3, v43
	buffer_load_dword v44, v43, s[0:3], 0 offen
	buffer_load_dword v45, v43, s[0:3], 0 offen offset:4
	buffer_load_dword v46, off, s[0:3], 0 offset:120
	buffer_load_dword v47, off, s[0:3], 0 offset:124
	s_waitcnt vmcnt(3)
	buffer_store_dword v44, off, s[0:3], 0 offset:120
	s_waitcnt vmcnt(3)
	buffer_store_dword v45, off, s[0:3], 0 offset:124
	s_waitcnt vmcnt(3)
	buffer_store_dword v46, v43, s[0:3], 0 offen
	s_waitcnt vmcnt(3)
	buffer_store_dword v47, v43, s[0:3], 0 offen offset:4
.LBB84_150:
	;; [unrolled: 41-line block ×9, first 2 shown]
	global_load_dword v0, v0, s[12:13]
	s_waitcnt vmcnt(0)
	v_add_u32_e32 v0, -1, v0
	v_cmp_eq_u32_e32 vcc, 0, v0
	s_cbranch_vccnz .LBB84_180
; %bb.179:
	v_lshlrev_b32_e32 v0, 3, v0
	buffer_load_dword v43, v0, s[0:3], 0 offen
	buffer_load_dword v44, v0, s[0:3], 0 offen offset:4
	buffer_load_dword v45, off, s[0:3], 0 offset:4
	buffer_load_dword v46, off, s[0:3], 0
	s_waitcnt vmcnt(3)
	buffer_store_dword v43, off, s[0:3], 0
	s_waitcnt vmcnt(3)
	buffer_store_dword v44, off, s[0:3], 0 offset:4
	s_waitcnt vmcnt(3)
	buffer_store_dword v45, v0, s[0:3], 0 offen offset:4
	s_waitcnt vmcnt(3)
	buffer_store_dword v46, v0, s[0:3], 0 offen
.LBB84_180:
	buffer_load_dword v43, off, s[0:3], 0
	buffer_load_dword v44, off, s[0:3], 0 offset:4
	s_waitcnt vmcnt(0)
	flat_store_dwordx2 v[1:2], v[43:44]
	buffer_load_dword v0, off, s[0:3], 0 offset:8
	s_nop 0
	buffer_load_dword v1, off, s[0:3], 0 offset:12
	s_waitcnt vmcnt(0)
	flat_store_dwordx2 v[3:4], v[0:1]
	buffer_load_dword v0, off, s[0:3], 0 offset:16
	s_nop 0
	;; [unrolled: 5-line block ×20, first 2 shown]
	buffer_load_dword v1, off, s[0:3], 0 offset:164
	s_waitcnt vmcnt(0)
	flat_store_dwordx2 v[41:42], v[0:1]
	s_endpgm
	.section	.rodata,"a",@progbits
	.p2align	6, 0x0
	.amdhsa_kernel _ZN9rocsolver6v33100L18getri_kernel_smallILi21E19rocblas_complex_numIfEPKPS3_EEvT1_iilPiilS8_bb
		.amdhsa_group_segment_fixed_size 344
		.amdhsa_private_segment_fixed_size 176
		.amdhsa_kernarg_size 60
		.amdhsa_user_sgpr_count 6
		.amdhsa_user_sgpr_private_segment_buffer 1
		.amdhsa_user_sgpr_dispatch_ptr 0
		.amdhsa_user_sgpr_queue_ptr 0
		.amdhsa_user_sgpr_kernarg_segment_ptr 1
		.amdhsa_user_sgpr_dispatch_id 0
		.amdhsa_user_sgpr_flat_scratch_init 0
		.amdhsa_user_sgpr_private_segment_size 0
		.amdhsa_uses_dynamic_stack 0
		.amdhsa_system_sgpr_private_segment_wavefront_offset 1
		.amdhsa_system_sgpr_workgroup_id_x 1
		.amdhsa_system_sgpr_workgroup_id_y 0
		.amdhsa_system_sgpr_workgroup_id_z 0
		.amdhsa_system_sgpr_workgroup_info 0
		.amdhsa_system_vgpr_workitem_id 0
		.amdhsa_next_free_vgpr 126
		.amdhsa_next_free_sgpr 21
		.amdhsa_reserve_vcc 1
		.amdhsa_reserve_flat_scratch 0
		.amdhsa_float_round_mode_32 0
		.amdhsa_float_round_mode_16_64 0
		.amdhsa_float_denorm_mode_32 3
		.amdhsa_float_denorm_mode_16_64 3
		.amdhsa_dx10_clamp 1
		.amdhsa_ieee_mode 1
		.amdhsa_fp16_overflow 0
		.amdhsa_exception_fp_ieee_invalid_op 0
		.amdhsa_exception_fp_denorm_src 0
		.amdhsa_exception_fp_ieee_div_zero 0
		.amdhsa_exception_fp_ieee_overflow 0
		.amdhsa_exception_fp_ieee_underflow 0
		.amdhsa_exception_fp_ieee_inexact 0
		.amdhsa_exception_int_div_zero 0
	.end_amdhsa_kernel
	.section	.text._ZN9rocsolver6v33100L18getri_kernel_smallILi21E19rocblas_complex_numIfEPKPS3_EEvT1_iilPiilS8_bb,"axG",@progbits,_ZN9rocsolver6v33100L18getri_kernel_smallILi21E19rocblas_complex_numIfEPKPS3_EEvT1_iilPiilS8_bb,comdat
.Lfunc_end84:
	.size	_ZN9rocsolver6v33100L18getri_kernel_smallILi21E19rocblas_complex_numIfEPKPS3_EEvT1_iilPiilS8_bb, .Lfunc_end84-_ZN9rocsolver6v33100L18getri_kernel_smallILi21E19rocblas_complex_numIfEPKPS3_EEvT1_iilPiilS8_bb
                                        ; -- End function
	.set _ZN9rocsolver6v33100L18getri_kernel_smallILi21E19rocblas_complex_numIfEPKPS3_EEvT1_iilPiilS8_bb.num_vgpr, 126
	.set _ZN9rocsolver6v33100L18getri_kernel_smallILi21E19rocblas_complex_numIfEPKPS3_EEvT1_iilPiilS8_bb.num_agpr, 0
	.set _ZN9rocsolver6v33100L18getri_kernel_smallILi21E19rocblas_complex_numIfEPKPS3_EEvT1_iilPiilS8_bb.numbered_sgpr, 21
	.set _ZN9rocsolver6v33100L18getri_kernel_smallILi21E19rocblas_complex_numIfEPKPS3_EEvT1_iilPiilS8_bb.num_named_barrier, 0
	.set _ZN9rocsolver6v33100L18getri_kernel_smallILi21E19rocblas_complex_numIfEPKPS3_EEvT1_iilPiilS8_bb.private_seg_size, 176
	.set _ZN9rocsolver6v33100L18getri_kernel_smallILi21E19rocblas_complex_numIfEPKPS3_EEvT1_iilPiilS8_bb.uses_vcc, 1
	.set _ZN9rocsolver6v33100L18getri_kernel_smallILi21E19rocblas_complex_numIfEPKPS3_EEvT1_iilPiilS8_bb.uses_flat_scratch, 0
	.set _ZN9rocsolver6v33100L18getri_kernel_smallILi21E19rocblas_complex_numIfEPKPS3_EEvT1_iilPiilS8_bb.has_dyn_sized_stack, 0
	.set _ZN9rocsolver6v33100L18getri_kernel_smallILi21E19rocblas_complex_numIfEPKPS3_EEvT1_iilPiilS8_bb.has_recursion, 0
	.set _ZN9rocsolver6v33100L18getri_kernel_smallILi21E19rocblas_complex_numIfEPKPS3_EEvT1_iilPiilS8_bb.has_indirect_call, 0
	.section	.AMDGPU.csdata,"",@progbits
; Kernel info:
; codeLenInByte = 22996
; TotalNumSgprs: 25
; NumVgprs: 126
; ScratchSize: 176
; MemoryBound: 0
; FloatMode: 240
; IeeeMode: 1
; LDSByteSize: 344 bytes/workgroup (compile time only)
; SGPRBlocks: 3
; VGPRBlocks: 31
; NumSGPRsForWavesPerEU: 25
; NumVGPRsForWavesPerEU: 126
; Occupancy: 2
; WaveLimiterHint : 1
; COMPUTE_PGM_RSRC2:SCRATCH_EN: 1
; COMPUTE_PGM_RSRC2:USER_SGPR: 6
; COMPUTE_PGM_RSRC2:TRAP_HANDLER: 0
; COMPUTE_PGM_RSRC2:TGID_X_EN: 1
; COMPUTE_PGM_RSRC2:TGID_Y_EN: 0
; COMPUTE_PGM_RSRC2:TGID_Z_EN: 0
; COMPUTE_PGM_RSRC2:TIDIG_COMP_CNT: 0
	.section	.text._ZN9rocsolver6v33100L18getri_kernel_smallILi22E19rocblas_complex_numIfEPKPS3_EEvT1_iilPiilS8_bb,"axG",@progbits,_ZN9rocsolver6v33100L18getri_kernel_smallILi22E19rocblas_complex_numIfEPKPS3_EEvT1_iilPiilS8_bb,comdat
	.globl	_ZN9rocsolver6v33100L18getri_kernel_smallILi22E19rocblas_complex_numIfEPKPS3_EEvT1_iilPiilS8_bb ; -- Begin function _ZN9rocsolver6v33100L18getri_kernel_smallILi22E19rocblas_complex_numIfEPKPS3_EEvT1_iilPiilS8_bb
	.p2align	8
	.type	_ZN9rocsolver6v33100L18getri_kernel_smallILi22E19rocblas_complex_numIfEPKPS3_EEvT1_iilPiilS8_bb,@function
_ZN9rocsolver6v33100L18getri_kernel_smallILi22E19rocblas_complex_numIfEPKPS3_EEvT1_iilPiilS8_bb: ; @_ZN9rocsolver6v33100L18getri_kernel_smallILi22E19rocblas_complex_numIfEPKPS3_EEvT1_iilPiilS8_bb
; %bb.0:
	s_add_u32 s0, s0, s7
	s_addc_u32 s1, s1, 0
	v_cmp_gt_u32_e32 vcc, 22, v0
	s_and_saveexec_b64 s[8:9], vcc
	s_cbranch_execz .LBB85_102
; %bb.1:
	s_load_dword s18, s[4:5], 0x38
	s_load_dwordx2 s[12:13], s[4:5], 0x0
	s_load_dwordx4 s[8:11], s[4:5], 0x28
	s_waitcnt lgkmcnt(0)
	s_bitcmp1_b32 s18, 8
	s_cselect_b64 s[14:15], -1, 0
	s_ashr_i32 s7, s6, 31
	s_lshl_b64 s[16:17], s[6:7], 3
	s_add_u32 s12, s12, s16
	s_addc_u32 s13, s13, s17
	s_load_dwordx2 s[16:17], s[12:13], 0x0
	s_bfe_u32 s12, s18, 0x10008
	s_cmp_eq_u32 s12, 0
                                        ; implicit-def: $sgpr12_sgpr13
	s_cbranch_scc1 .LBB85_3
; %bb.2:
	s_load_dword s12, s[4:5], 0x20
	s_load_dwordx2 s[18:19], s[4:5], 0x18
	s_mul_i32 s13, s8, s7
	s_mul_hi_u32 s20, s8, s6
	s_add_i32 s20, s20, s13
	s_mul_i32 s9, s9, s6
	s_add_i32 s9, s20, s9
	s_mul_i32 s8, s8, s6
	s_waitcnt lgkmcnt(0)
	s_ashr_i32 s13, s12, 31
	s_lshl_b64 s[8:9], s[8:9], 2
	s_add_u32 s18, s18, s8
	s_addc_u32 s19, s19, s9
	s_lshl_b64 s[8:9], s[12:13], 2
	s_add_u32 s12, s18, s8
	s_addc_u32 s13, s19, s9
.LBB85_3:
	s_load_dwordx2 s[8:9], s[4:5], 0x8
	s_load_dword s18, s[4:5], 0x38
	v_lshlrev_b32_e32 v47, 3, v0
	s_waitcnt lgkmcnt(0)
	s_ashr_i32 s5, s8, 31
	s_mov_b32 s4, s8
	s_lshl_b64 s[4:5], s[4:5], 3
	s_add_u32 s8, s16, s4
	s_addc_u32 s16, s17, s5
	v_mov_b32_e32 v2, s16
	v_add_co_u32_e32 v1, vcc, s8, v47
	v_addc_co_u32_e32 v2, vcc, 0, v2, vcc
	flat_load_dwordx2 v[5:6], v[1:2]
	s_mov_b32 s4, s9
	s_ashr_i32 s5, s9, 31
	s_lshl_b64 s[4:5], s[4:5], 3
	v_mov_b32_e32 v4, s5
	v_add_co_u32_e32 v3, vcc, s4, v1
	v_addc_co_u32_e32 v4, vcc, v2, v4, vcc
	s_add_i32 s4, s9, s9
	v_add_u32_e32 v9, s4, v0
	v_ashrrev_i32_e32 v10, 31, v9
	v_mov_b32_e32 v11, s16
	v_add_u32_e32 v12, s9, v9
	v_ashrrev_i32_e32 v13, 31, v12
	v_mov_b32_e32 v14, s16
	v_mov_b32_e32 v15, s16
	;; [unrolled: 1-line block ×18, first 2 shown]
	s_bitcmp0_b32 s18, 0
	s_waitcnt vmcnt(0) lgkmcnt(0)
	buffer_store_dword v6, off, s[0:3], 0 offset:4
	buffer_store_dword v5, off, s[0:3], 0
	flat_load_dwordx2 v[7:8], v[3:4]
	v_lshlrev_b64 v[5:6], 3, v[9:10]
	s_waitcnt vmcnt(0) lgkmcnt(0)
	buffer_store_dword v8, off, s[0:3], 0 offset:12
	buffer_store_dword v7, off, s[0:3], 0 offset:8
	v_add_co_u32_e32 v5, vcc, s8, v5
	v_addc_co_u32_e32 v6, vcc, v11, v6, vcc
	flat_load_dwordx2 v[10:11], v[5:6]
	v_lshlrev_b64 v[7:8], 3, v[12:13]
	s_waitcnt vmcnt(0) lgkmcnt(0)
	buffer_store_dword v11, off, s[0:3], 0 offset:20
	buffer_store_dword v10, off, s[0:3], 0 offset:16
	v_add_co_u32_e32 v7, vcc, s8, v7
	v_addc_co_u32_e32 v8, vcc, v14, v8, vcc
	flat_load_dwordx2 v[13:14], v[7:8]
	v_add_u32_e32 v11, s9, v12
	v_ashrrev_i32_e32 v12, 31, v11
	v_lshlrev_b64 v[9:10], 3, v[11:12]
	s_waitcnt vmcnt(0) lgkmcnt(0)
	buffer_store_dword v14, off, s[0:3], 0 offset:28
	buffer_store_dword v13, off, s[0:3], 0 offset:24
	v_add_co_u32_e32 v9, vcc, s8, v9
	v_addc_co_u32_e32 v10, vcc, v15, v10, vcc
	flat_load_dwordx2 v[13:14], v[9:10]
	v_add_u32_e32 v15, s9, v11
	v_ashrrev_i32_e32 v16, 31, v15
	v_lshlrev_b64 v[11:12], 3, v[15:16]
	v_add_u32_e32 v18, s9, v15
	v_add_co_u32_e32 v11, vcc, s8, v11
	v_addc_co_u32_e32 v12, vcc, v17, v12, vcc
	v_ashrrev_i32_e32 v19, 31, v18
	s_waitcnt vmcnt(0) lgkmcnt(0)
	buffer_store_dword v14, off, s[0:3], 0 offset:36
	buffer_store_dword v13, off, s[0:3], 0 offset:32
	flat_load_dwordx2 v[16:17], v[11:12]
	v_lshlrev_b64 v[13:14], 3, v[18:19]
	s_waitcnt vmcnt(0) lgkmcnt(0)
	buffer_store_dword v17, off, s[0:3], 0 offset:44
	buffer_store_dword v16, off, s[0:3], 0 offset:40
	v_add_co_u32_e32 v13, vcc, s8, v13
	v_addc_co_u32_e32 v14, vcc, v20, v14, vcc
	flat_load_dwordx2 v[19:20], v[13:14]
	v_add_u32_e32 v17, s9, v18
	v_ashrrev_i32_e32 v18, 31, v17
	v_lshlrev_b64 v[15:16], 3, v[17:18]
	s_waitcnt vmcnt(0) lgkmcnt(0)
	buffer_store_dword v20, off, s[0:3], 0 offset:52
	buffer_store_dword v19, off, s[0:3], 0 offset:48
	v_add_co_u32_e32 v15, vcc, s8, v15
	v_addc_co_u32_e32 v16, vcc, v21, v16, vcc
	flat_load_dwordx2 v[19:20], v[15:16]
	v_add_u32_e32 v21, s9, v17
	v_ashrrev_i32_e32 v22, 31, v21
	v_lshlrev_b64 v[17:18], 3, v[21:22]
	v_add_u32_e32 v24, s9, v21
	v_add_co_u32_e32 v17, vcc, s8, v17
	v_addc_co_u32_e32 v18, vcc, v23, v18, vcc
	v_ashrrev_i32_e32 v25, 31, v24
	s_waitcnt vmcnt(0) lgkmcnt(0)
	buffer_store_dword v20, off, s[0:3], 0 offset:60
	buffer_store_dword v19, off, s[0:3], 0 offset:56
	;; [unrolled: 27-line block ×5, first 2 shown]
	flat_load_dwordx2 v[40:41], v[35:36]
	v_lshlrev_b64 v[37:38], 3, v[42:43]
	s_waitcnt vmcnt(0) lgkmcnt(0)
	buffer_store_dword v41, off, s[0:3], 0 offset:140
	buffer_store_dword v40, off, s[0:3], 0 offset:136
	v_add_co_u32_e32 v37, vcc, s8, v37
	v_addc_co_u32_e32 v38, vcc, v44, v38, vcc
	flat_load_dwordx2 v[43:44], v[37:38]
	v_add_u32_e32 v41, s9, v42
	v_ashrrev_i32_e32 v42, 31, v41
	v_lshlrev_b64 v[39:40], 3, v[41:42]
	s_waitcnt vmcnt(0) lgkmcnt(0)
	buffer_store_dword v44, off, s[0:3], 0 offset:148
	buffer_store_dword v43, off, s[0:3], 0 offset:144
	v_add_co_u32_e32 v39, vcc, s8, v39
	v_addc_co_u32_e32 v40, vcc, v45, v40, vcc
	flat_load_dwordx2 v[43:44], v[39:40]
	v_add_u32_e32 v45, s9, v41
	v_ashrrev_i32_e32 v46, 31, v45
	v_lshlrev_b64 v[41:42], 3, v[45:46]
	v_mov_b32_e32 v46, s16
	v_add_co_u32_e32 v41, vcc, s8, v41
	v_addc_co_u32_e32 v42, vcc, v48, v42, vcc
	s_waitcnt vmcnt(0) lgkmcnt(0)
	buffer_store_dword v44, off, s[0:3], 0 offset:156
	buffer_store_dword v43, off, s[0:3], 0 offset:152
	flat_load_dwordx2 v[48:49], v[41:42]
	v_add_u32_e32 v43, s9, v45
	v_ashrrev_i32_e32 v44, 31, v43
	v_lshlrev_b64 v[43:44], 3, v[43:44]
	s_waitcnt vmcnt(0) lgkmcnt(0)
	buffer_store_dword v49, off, s[0:3], 0 offset:164
	buffer_store_dword v48, off, s[0:3], 0 offset:160
	v_add_co_u32_e32 v43, vcc, s8, v43
	v_addc_co_u32_e32 v44, vcc, v46, v44, vcc
	flat_load_dwordx2 v[45:46], v[43:44]
	s_mov_b64 s[8:9], -1
	s_waitcnt vmcnt(0) lgkmcnt(0)
	buffer_store_dword v46, off, s[0:3], 0 offset:172
	buffer_store_dword v45, off, s[0:3], 0 offset:168
	s_cbranch_scc1 .LBB85_100
; %bb.4:
	v_cmp_eq_u32_e64 s[4:5], 0, v0
	s_and_saveexec_b64 s[8:9], s[4:5]
; %bb.5:
	v_mov_b32_e32 v45, 0
	ds_write_b32 v45, v45 offset:352
; %bb.6:
	s_or_b64 exec, exec, s[8:9]
	v_mov_b32_e32 v45, 0
	v_lshl_add_u32 v49, v0, 3, v45
	s_waitcnt lgkmcnt(0)
	; wave barrier
	buffer_load_dword v45, v49, s[0:3], 0 offen
	buffer_load_dword v46, v49, s[0:3], 0 offen offset:4
	s_waitcnt vmcnt(1)
	v_cmp_eq_f32_e32 vcc, 0, v45
	s_waitcnt vmcnt(0)
	v_cmp_eq_f32_e64 s[8:9], 0, v46
	s_and_b64 s[8:9], vcc, s[8:9]
	s_and_saveexec_b64 s[16:17], s[8:9]
	s_cbranch_execz .LBB85_10
; %bb.7:
	v_mov_b32_e32 v45, 0
	ds_read_b32 v48, v45 offset:352
	v_add_u32_e32 v46, 1, v0
	s_waitcnt lgkmcnt(0)
	v_readfirstlane_b32 s8, v48
	s_cmp_eq_u32 s8, 0
	s_cselect_b64 s[18:19], -1, 0
	v_cmp_gt_i32_e32 vcc, s8, v46
	s_or_b64 s[18:19], s[18:19], vcc
	s_and_b64 exec, exec, s[18:19]
	s_cbranch_execz .LBB85_10
; %bb.8:
	s_mov_b64 s[18:19], 0
	v_mov_b32_e32 v48, s8
.LBB85_9:                               ; =>This Inner Loop Header: Depth=1
	ds_cmpst_rtn_b32 v48, v45, v48, v46 offset:352
	s_waitcnt lgkmcnt(0)
	v_cmp_ne_u32_e32 vcc, 0, v48
	v_cmp_le_i32_e64 s[8:9], v48, v46
	s_and_b64 s[8:9], vcc, s[8:9]
	s_and_b64 s[8:9], exec, s[8:9]
	s_or_b64 s[18:19], s[8:9], s[18:19]
	s_andn2_b64 exec, exec, s[18:19]
	s_cbranch_execnz .LBB85_9
.LBB85_10:
	s_or_b64 exec, exec, s[16:17]
	v_mov_b32_e32 v46, 0
	; wave barrier
	ds_read_b32 v45, v46 offset:352
	s_and_saveexec_b64 s[8:9], s[4:5]
	s_cbranch_execz .LBB85_12
; %bb.11:
	s_lshl_b64 s[16:17], s[6:7], 2
	s_add_u32 s16, s10, s16
	s_addc_u32 s17, s11, s17
	s_waitcnt lgkmcnt(0)
	global_store_dword v46, v45, s[16:17]
.LBB85_12:
	s_or_b64 exec, exec, s[8:9]
	s_waitcnt lgkmcnt(0)
	v_cmp_ne_u32_e32 vcc, 0, v45
	s_mov_b64 s[8:9], 0
	s_cbranch_vccnz .LBB85_100
; %bb.13:
	buffer_load_dword v46, v49, s[0:3], 0 offen
	buffer_load_dword v48, v49, s[0:3], 0 offen offset:4
                                        ; implicit-def: $vgpr51
                                        ; implicit-def: $vgpr50
                                        ; implicit-def: $vgpr45
	s_waitcnt vmcnt(0)
	v_cmp_ngt_f32_e64 s[8:9], |v46|, |v48|
	s_and_saveexec_b64 s[16:17], s[8:9]
	s_xor_b64 s[8:9], exec, s[16:17]
	s_cbranch_execz .LBB85_15
; %bb.14:
	v_div_scale_f32 v45, s[16:17], v48, v48, v46
	v_div_scale_f32 v50, vcc, v46, v48, v46
	v_rcp_f32_e32 v51, v45
	v_fma_f32 v52, -v45, v51, 1.0
	v_fmac_f32_e32 v51, v52, v51
	v_mul_f32_e32 v52, v50, v51
	v_fma_f32 v53, -v45, v52, v50
	v_fmac_f32_e32 v52, v53, v51
	v_fma_f32 v45, -v45, v52, v50
	v_div_fmas_f32 v45, v45, v51, v52
	v_div_fixup_f32 v45, v45, v48, v46
	v_fmac_f32_e32 v48, v46, v45
	v_div_scale_f32 v46, s[16:17], v48, v48, 1.0
	v_div_scale_f32 v50, vcc, 1.0, v48, 1.0
	v_rcp_f32_e32 v51, v46
	v_fma_f32 v52, -v46, v51, 1.0
	v_fmac_f32_e32 v51, v52, v51
	v_mul_f32_e32 v52, v50, v51
	v_fma_f32 v53, -v46, v52, v50
	v_fmac_f32_e32 v52, v53, v51
	v_fma_f32 v46, -v46, v52, v50
	v_div_fmas_f32 v46, v46, v51, v52
	v_div_fixup_f32 v46, v46, v48, 1.0
	v_mul_f32_e32 v51, v45, v46
	v_xor_b32_e32 v50, 0x80000000, v46
	v_xor_b32_e32 v45, 0x80000000, v51
                                        ; implicit-def: $vgpr46
                                        ; implicit-def: $vgpr48
.LBB85_15:
	s_andn2_saveexec_b64 s[8:9], s[8:9]
	s_cbranch_execz .LBB85_17
; %bb.16:
	v_div_scale_f32 v45, s[16:17], v46, v46, v48
	v_div_scale_f32 v50, vcc, v48, v46, v48
	v_rcp_f32_e32 v51, v45
	v_fma_f32 v52, -v45, v51, 1.0
	v_fmac_f32_e32 v51, v52, v51
	v_mul_f32_e32 v52, v50, v51
	v_fma_f32 v53, -v45, v52, v50
	v_fmac_f32_e32 v52, v53, v51
	v_fma_f32 v45, -v45, v52, v50
	v_div_fmas_f32 v45, v45, v51, v52
	v_div_fixup_f32 v50, v45, v46, v48
	v_fmac_f32_e32 v46, v48, v50
	v_div_scale_f32 v45, s[16:17], v46, v46, 1.0
	v_div_scale_f32 v48, vcc, 1.0, v46, 1.0
	v_rcp_f32_e32 v51, v45
	v_fma_f32 v52, -v45, v51, 1.0
	v_fmac_f32_e32 v51, v52, v51
	v_mul_f32_e32 v52, v48, v51
	v_fma_f32 v53, -v45, v52, v48
	v_fmac_f32_e32 v52, v53, v51
	v_fma_f32 v45, -v45, v52, v48
	v_div_fmas_f32 v45, v45, v51, v52
	v_div_fixup_f32 v51, v45, v46, 1.0
	v_xor_b32_e32 v45, 0x80000000, v51
	v_mul_f32_e64 v50, v50, -v51
.LBB85_17:
	s_or_b64 exec, exec, s[8:9]
	buffer_store_dword v51, v49, s[0:3], 0 offen
	buffer_store_dword v50, v49, s[0:3], 0 offen offset:4
	buffer_load_dword v52, off, s[0:3], 0 offset:12
	s_nop 0
	buffer_load_dword v51, off, s[0:3], 0 offset:8
	v_xor_b32_e32 v46, 0x80000000, v50
	v_add_u32_e32 v48, 0xb0, v47
	s_waitcnt vmcnt(0)
	ds_write2_b64 v47, v[45:46], v[51:52] offset1:22
	s_waitcnt lgkmcnt(0)
	; wave barrier
	s_and_saveexec_b64 s[8:9], s[4:5]
	s_cbranch_execz .LBB85_19
; %bb.18:
	buffer_load_dword v52, v49, s[0:3], 0 offen offset:4
	buffer_load_dword v53, v49, s[0:3], 0 offen
	ds_read_b64 v[45:46], v48
	v_mov_b32_e32 v50, 0
	ds_read_b64 v[50:51], v50 offset:8
	s_waitcnt vmcnt(1) lgkmcnt(1)
	v_mul_f32_e32 v54, v46, v52
	v_mul_f32_e32 v52, v45, v52
	s_waitcnt vmcnt(0)
	v_fmac_f32_e32 v52, v46, v53
	v_fma_f32 v45, v45, v53, -v54
	v_add_f32_e32 v46, 0, v52
	v_add_f32_e32 v45, 0, v45
	s_waitcnt lgkmcnt(0)
	v_mul_f32_e32 v52, v46, v51
	v_mul_f32_e32 v51, v45, v51
	v_fma_f32 v45, v45, v50, -v52
	v_fmac_f32_e32 v51, v46, v50
	buffer_store_dword v45, off, s[0:3], 0 offset:8
	buffer_store_dword v51, off, s[0:3], 0 offset:12
.LBB85_19:
	s_or_b64 exec, exec, s[8:9]
	; wave barrier
	buffer_load_dword v45, off, s[0:3], 0 offset:16
	buffer_load_dword v46, off, s[0:3], 0 offset:20
	v_cmp_gt_u32_e32 vcc, 2, v0
	s_waitcnt vmcnt(0)
	ds_write_b64 v48, v[45:46]
	s_waitcnt lgkmcnt(0)
	; wave barrier
	s_and_saveexec_b64 s[8:9], vcc
	s_cbranch_execz .LBB85_23
; %bb.20:
	buffer_load_dword v50, v49, s[0:3], 0 offen offset:4
	buffer_load_dword v51, v49, s[0:3], 0 offen
	ds_read_b64 v[45:46], v48
	s_waitcnt vmcnt(1) lgkmcnt(0)
	v_mul_f32_e32 v49, v46, v50
	v_mul_f32_e32 v50, v45, v50
	s_waitcnt vmcnt(0)
	v_fma_f32 v45, v45, v51, -v49
	v_fmac_f32_e32 v50, v46, v51
	v_add_f32_e32 v46, 0, v45
	v_add_f32_e32 v45, 0, v50
	s_and_saveexec_b64 s[16:17], s[4:5]
	s_cbranch_execz .LBB85_22
; %bb.21:
	buffer_load_dword v51, off, s[0:3], 0 offset:12
	buffer_load_dword v52, off, s[0:3], 0 offset:8
	v_mov_b32_e32 v49, 0
	ds_read_b64 v[49:50], v49 offset:184
	s_waitcnt vmcnt(1) lgkmcnt(0)
	v_mul_f32_e32 v53, v49, v51
	v_mul_f32_e32 v51, v50, v51
	s_waitcnt vmcnt(0)
	v_fmac_f32_e32 v53, v50, v52
	v_fma_f32 v49, v49, v52, -v51
	v_add_f32_e32 v45, v45, v53
	v_add_f32_e32 v46, v46, v49
.LBB85_22:
	s_or_b64 exec, exec, s[16:17]
	v_mov_b32_e32 v49, 0
	ds_read_b64 v[49:50], v49 offset:16
	s_waitcnt lgkmcnt(0)
	v_mul_f32_e32 v51, v45, v50
	v_mul_f32_e32 v50, v46, v50
	v_fma_f32 v46, v46, v49, -v51
	v_fmac_f32_e32 v50, v45, v49
	buffer_store_dword v46, off, s[0:3], 0 offset:16
	buffer_store_dword v50, off, s[0:3], 0 offset:20
.LBB85_23:
	s_or_b64 exec, exec, s[8:9]
	; wave barrier
	buffer_load_dword v45, off, s[0:3], 0 offset:24
	buffer_load_dword v46, off, s[0:3], 0 offset:28
	v_cmp_gt_u32_e32 vcc, 3, v0
	s_waitcnt vmcnt(0)
	ds_write_b64 v48, v[45:46]
	v_add_u32_e32 v45, -1, v0
	s_waitcnt lgkmcnt(0)
	; wave barrier
	s_and_saveexec_b64 s[4:5], vcc
	s_cbranch_execz .LBB85_27
; %bb.24:
	v_add_u32_e32 v49, -1, v0
	v_add_u32_e32 v50, 0xb0, v47
	v_mov_b32_e32 v51, v47
	v_mov_b32_e32 v46, 0
	s_mov_b64 s[8:9], 0
	v_mov_b32_e32 v52, 0
.LBB85_25:                              ; =>This Inner Loop Header: Depth=1
	buffer_load_dword v55, v51, s[0:3], 0 offen offset:4
	buffer_load_dword v56, v51, s[0:3], 0 offen
	ds_read_b64 v[53:54], v50
	v_add_u32_e32 v49, 1, v49
	v_cmp_lt_u32_e32 vcc, 1, v49
	v_add_u32_e32 v50, 8, v50
	v_add_u32_e32 v51, 8, v51
	s_or_b64 s[8:9], vcc, s[8:9]
	s_waitcnt vmcnt(1) lgkmcnt(0)
	v_mul_f32_e32 v57, v54, v55
	v_mul_f32_e32 v55, v53, v55
	s_waitcnt vmcnt(0)
	v_fma_f32 v53, v53, v56, -v57
	v_fmac_f32_e32 v55, v54, v56
	v_add_f32_e32 v52, v52, v53
	v_add_f32_e32 v46, v46, v55
	s_andn2_b64 exec, exec, s[8:9]
	s_cbranch_execnz .LBB85_25
; %bb.26:
	s_or_b64 exec, exec, s[8:9]
	v_mov_b32_e32 v49, 0
	ds_read_b64 v[49:50], v49 offset:24
	s_waitcnt lgkmcnt(0)
	v_mul_f32_e32 v51, v46, v50
	v_mul_f32_e32 v50, v52, v50
	v_fma_f32 v51, v52, v49, -v51
	v_fmac_f32_e32 v50, v46, v49
	buffer_store_dword v51, off, s[0:3], 0 offset:24
	buffer_store_dword v50, off, s[0:3], 0 offset:28
.LBB85_27:
	s_or_b64 exec, exec, s[4:5]
	; wave barrier
	buffer_load_dword v49, off, s[0:3], 0 offset:32
	buffer_load_dword v50, off, s[0:3], 0 offset:36
	v_cmp_gt_u32_e32 vcc, 4, v0
	s_waitcnt vmcnt(0)
	ds_write_b64 v48, v[49:50]
	s_waitcnt lgkmcnt(0)
	; wave barrier
	s_and_saveexec_b64 s[4:5], vcc
	s_cbranch_execz .LBB85_31
; %bb.28:
	v_add_u32_e32 v49, -1, v0
	v_add_u32_e32 v50, 0xb0, v47
	v_mov_b32_e32 v51, v47
	v_mov_b32_e32 v46, 0
	s_mov_b64 s[8:9], 0
	v_mov_b32_e32 v52, 0
.LBB85_29:                              ; =>This Inner Loop Header: Depth=1
	buffer_load_dword v55, v51, s[0:3], 0 offen offset:4
	buffer_load_dword v56, v51, s[0:3], 0 offen
	ds_read_b64 v[53:54], v50
	v_add_u32_e32 v49, 1, v49
	v_cmp_lt_u32_e32 vcc, 2, v49
	v_add_u32_e32 v50, 8, v50
	v_add_u32_e32 v51, 8, v51
	s_or_b64 s[8:9], vcc, s[8:9]
	s_waitcnt vmcnt(1) lgkmcnt(0)
	v_mul_f32_e32 v57, v54, v55
	v_mul_f32_e32 v55, v53, v55
	s_waitcnt vmcnt(0)
	v_fma_f32 v53, v53, v56, -v57
	v_fmac_f32_e32 v55, v54, v56
	v_add_f32_e32 v52, v52, v53
	v_add_f32_e32 v46, v46, v55
	s_andn2_b64 exec, exec, s[8:9]
	s_cbranch_execnz .LBB85_29
; %bb.30:
	s_or_b64 exec, exec, s[8:9]
	v_mov_b32_e32 v49, 0
	ds_read_b64 v[49:50], v49 offset:32
	s_waitcnt lgkmcnt(0)
	v_mul_f32_e32 v51, v46, v50
	v_mul_f32_e32 v50, v52, v50
	v_fma_f32 v51, v52, v49, -v51
	v_fmac_f32_e32 v50, v46, v49
	buffer_store_dword v51, off, s[0:3], 0 offset:32
	buffer_store_dword v50, off, s[0:3], 0 offset:36
.LBB85_31:
	s_or_b64 exec, exec, s[4:5]
	; wave barrier
	buffer_load_dword v49, off, s[0:3], 0 offset:40
	buffer_load_dword v50, off, s[0:3], 0 offset:44
	v_cmp_gt_u32_e32 vcc, 5, v0
	s_waitcnt vmcnt(0)
	ds_write_b64 v48, v[49:50]
	;; [unrolled: 49-line block ×17, first 2 shown]
	s_waitcnt lgkmcnt(0)
	; wave barrier
	s_and_saveexec_b64 s[4:5], vcc
	s_cbranch_execz .LBB85_95
; %bb.92:
	v_add_u32_e32 v49, -1, v0
	v_add_u32_e32 v50, 0xb0, v47
	v_mov_b32_e32 v51, v47
	v_mov_b32_e32 v46, 0
	s_mov_b64 s[8:9], 0
	v_mov_b32_e32 v52, 0
.LBB85_93:                              ; =>This Inner Loop Header: Depth=1
	buffer_load_dword v55, v51, s[0:3], 0 offen offset:4
	buffer_load_dword v56, v51, s[0:3], 0 offen
	ds_read_b64 v[53:54], v50
	v_add_u32_e32 v49, 1, v49
	v_cmp_lt_u32_e32 vcc, 18, v49
	v_add_u32_e32 v50, 8, v50
	v_add_u32_e32 v51, 8, v51
	s_or_b64 s[8:9], vcc, s[8:9]
	s_waitcnt vmcnt(1) lgkmcnt(0)
	v_mul_f32_e32 v57, v54, v55
	v_mul_f32_e32 v55, v53, v55
	s_waitcnt vmcnt(0)
	v_fma_f32 v53, v53, v56, -v57
	v_fmac_f32_e32 v55, v54, v56
	v_add_f32_e32 v52, v52, v53
	v_add_f32_e32 v46, v46, v55
	s_andn2_b64 exec, exec, s[8:9]
	s_cbranch_execnz .LBB85_93
; %bb.94:
	s_or_b64 exec, exec, s[8:9]
	v_mov_b32_e32 v49, 0
	ds_read_b64 v[49:50], v49 offset:160
	s_waitcnt lgkmcnt(0)
	v_mul_f32_e32 v51, v46, v50
	v_mul_f32_e32 v50, v52, v50
	v_fma_f32 v51, v52, v49, -v51
	v_fmac_f32_e32 v50, v46, v49
	buffer_store_dword v51, off, s[0:3], 0 offset:160
	buffer_store_dword v50, off, s[0:3], 0 offset:164
.LBB85_95:
	s_or_b64 exec, exec, s[4:5]
	; wave barrier
	buffer_load_dword v49, off, s[0:3], 0 offset:168
	buffer_load_dword v50, off, s[0:3], 0 offset:172
	v_cmp_ne_u32_e32 vcc, 21, v0
	s_waitcnt vmcnt(0)
	ds_write_b64 v48, v[49:50]
	s_waitcnt lgkmcnt(0)
	; wave barrier
	s_and_saveexec_b64 s[4:5], vcc
	s_cbranch_execz .LBB85_99
; %bb.96:
	v_add_u32_e32 v48, 0xb0, v47
	v_mov_b32_e32 v46, 0
	s_mov_b64 s[8:9], 0
	v_mov_b32_e32 v49, 0
.LBB85_97:                              ; =>This Inner Loop Header: Depth=1
	buffer_load_dword v52, v47, s[0:3], 0 offen offset:4
	buffer_load_dword v53, v47, s[0:3], 0 offen
	ds_read_b64 v[50:51], v48
	v_add_u32_e32 v45, 1, v45
	v_cmp_lt_u32_e32 vcc, 19, v45
	v_add_u32_e32 v48, 8, v48
	v_add_u32_e32 v47, 8, v47
	s_or_b64 s[8:9], vcc, s[8:9]
	s_waitcnt vmcnt(1) lgkmcnt(0)
	v_mul_f32_e32 v54, v51, v52
	v_mul_f32_e32 v52, v50, v52
	s_waitcnt vmcnt(0)
	v_fma_f32 v50, v50, v53, -v54
	v_fmac_f32_e32 v52, v51, v53
	v_add_f32_e32 v49, v49, v50
	v_add_f32_e32 v46, v46, v52
	s_andn2_b64 exec, exec, s[8:9]
	s_cbranch_execnz .LBB85_97
; %bb.98:
	s_or_b64 exec, exec, s[8:9]
	v_mov_b32_e32 v45, 0
	ds_read_b64 v[47:48], v45 offset:168
	s_waitcnt lgkmcnt(0)
	v_mul_f32_e32 v45, v46, v48
	v_mul_f32_e32 v48, v49, v48
	v_fma_f32 v45, v49, v47, -v45
	v_fmac_f32_e32 v48, v46, v47
	buffer_store_dword v45, off, s[0:3], 0 offset:168
	buffer_store_dword v48, off, s[0:3], 0 offset:172
.LBB85_99:
	s_or_b64 exec, exec, s[4:5]
	s_mov_b64 s[8:9], -1
	; wave barrier
.LBB85_100:
	s_and_b64 vcc, exec, s[8:9]
	s_cbranch_vccz .LBB85_102
; %bb.101:
	s_lshl_b64 s[4:5], s[6:7], 2
	s_add_u32 s4, s10, s4
	s_addc_u32 s5, s11, s5
	v_mov_b32_e32 v45, 0
	global_load_dword v45, v45, s[4:5]
	s_waitcnt vmcnt(0)
	v_cmp_ne_u32_e32 vcc, 0, v45
	s_cbranch_vccz .LBB85_103
.LBB85_102:
	s_endpgm
.LBB85_103:
	v_mov_b32_e32 v45, 0xb0
	v_lshl_add_u32 v45, v0, 3, v45
	v_cmp_eq_u32_e32 vcc, 21, v0
	s_and_saveexec_b64 s[4:5], vcc
	s_cbranch_execz .LBB85_105
; %bb.104:
	buffer_load_dword v46, off, s[0:3], 0 offset:160
	buffer_load_dword v47, off, s[0:3], 0 offset:164
	v_mov_b32_e32 v48, 0
	buffer_store_dword v48, off, s[0:3], 0 offset:160
	buffer_store_dword v48, off, s[0:3], 0 offset:164
	s_waitcnt vmcnt(2)
	ds_write_b64 v45, v[46:47]
.LBB85_105:
	s_or_b64 exec, exec, s[4:5]
	s_waitcnt lgkmcnt(0)
	; wave barrier
	buffer_load_dword v49, off, s[0:3], 0 offset:172
	buffer_load_dword v50, off, s[0:3], 0 offset:168
	;; [unrolled: 1-line block ×4, first 2 shown]
	v_mov_b32_e32 v46, 0
	ds_read_b64 v[47:48], v46 offset:344
	v_cmp_lt_u32_e32 vcc, 19, v0
	s_waitcnt vmcnt(3) lgkmcnt(0)
	v_mul_f32_e32 v53, v47, v49
	v_mul_f32_e32 v49, v48, v49
	s_waitcnt vmcnt(2)
	v_fma_f32 v47, v47, v50, -v49
	v_fmac_f32_e32 v53, v48, v50
	v_add_f32_e32 v47, 0, v47
	v_add_f32_e32 v48, 0, v53
	s_waitcnt vmcnt(1)
	v_sub_f32_e32 v47, v51, v47
	s_waitcnt vmcnt(0)
	v_sub_f32_e32 v48, v52, v48
	buffer_store_dword v47, off, s[0:3], 0 offset:160
	buffer_store_dword v48, off, s[0:3], 0 offset:164
	s_and_saveexec_b64 s[4:5], vcc
	s_cbranch_execz .LBB85_107
; %bb.106:
	buffer_load_dword v47, off, s[0:3], 0 offset:152
	buffer_load_dword v48, off, s[0:3], 0 offset:156
	s_waitcnt vmcnt(0)
	ds_write_b64 v45, v[47:48]
	buffer_store_dword v46, off, s[0:3], 0 offset:152
	buffer_store_dword v46, off, s[0:3], 0 offset:156
.LBB85_107:
	s_or_b64 exec, exec, s[4:5]
	s_waitcnt lgkmcnt(0)
	; wave barrier
	buffer_load_dword v50, off, s[0:3], 0 offset:164
	buffer_load_dword v51, off, s[0:3], 0 offset:172
	;; [unrolled: 1-line block ×6, first 2 shown]
	ds_read_b128 v[46:49], v46 offset:336
	v_cmp_lt_u32_e32 vcc, 18, v0
	s_waitcnt vmcnt(5) lgkmcnt(0)
	v_mul_f32_e32 v56, v46, v50
	v_mul_f32_e32 v50, v47, v50
	s_waitcnt vmcnt(4)
	v_mul_f32_e32 v57, v48, v51
	v_mul_f32_e32 v51, v49, v51
	s_waitcnt vmcnt(3)
	v_fma_f32 v46, v46, v52, -v50
	v_fmac_f32_e32 v56, v47, v52
	s_waitcnt vmcnt(2)
	v_fma_f32 v47, v48, v53, -v51
	v_add_f32_e32 v46, 0, v46
	v_fmac_f32_e32 v57, v49, v53
	v_add_f32_e32 v48, 0, v56
	v_add_f32_e32 v46, v46, v47
	;; [unrolled: 1-line block ×3, first 2 shown]
	s_waitcnt vmcnt(1)
	v_sub_f32_e32 v46, v54, v46
	s_waitcnt vmcnt(0)
	v_sub_f32_e32 v47, v55, v48
	buffer_store_dword v46, off, s[0:3], 0 offset:152
	buffer_store_dword v47, off, s[0:3], 0 offset:156
	s_and_saveexec_b64 s[4:5], vcc
	s_cbranch_execz .LBB85_109
; %bb.108:
	buffer_load_dword v46, off, s[0:3], 0 offset:144
	buffer_load_dword v47, off, s[0:3], 0 offset:148
	v_mov_b32_e32 v48, 0
	buffer_store_dword v48, off, s[0:3], 0 offset:144
	buffer_store_dword v48, off, s[0:3], 0 offset:148
	s_waitcnt vmcnt(2)
	ds_write_b64 v45, v[46:47]
.LBB85_109:
	s_or_b64 exec, exec, s[4:5]
	v_mov_b32_e32 v46, 0
	s_waitcnt lgkmcnt(0)
	; wave barrier
	ds_read2_b64 v[47:50], v46 offset0:41 offset1:42
	buffer_load_dword v53, off, s[0:3], 0 offset:144
	buffer_load_dword v54, off, s[0:3], 0 offset:148
	;; [unrolled: 1-line block ×8, first 2 shown]
	v_cmp_lt_u32_e32 vcc, 17, v0
	s_waitcnt vmcnt(4) lgkmcnt(0)
	v_mul_f32_e32 v51, v47, v56
	v_fmac_f32_e32 v51, v48, v55
	s_waitcnt vmcnt(2)
	v_mul_f32_e32 v52, v49, v58
	v_add_f32_e32 v51, 0, v51
	v_fmac_f32_e32 v52, v50, v57
	v_add_f32_e32 v61, v51, v52
	ds_read_b64 v[51:52], v46 offset:344
	v_mul_f32_e32 v48, v48, v56
	v_fma_f32 v47, v47, v55, -v48
	v_mul_f32_e32 v48, v50, v58
	v_add_f32_e32 v47, 0, v47
	v_fma_f32 v48, v49, v57, -v48
	v_add_f32_e32 v47, v47, v48
	s_waitcnt vmcnt(0) lgkmcnt(0)
	v_mul_f32_e32 v48, v52, v60
	v_mul_f32_e32 v62, v51, v60
	v_fma_f32 v48, v51, v59, -v48
	v_fmac_f32_e32 v62, v52, v59
	v_add_f32_e32 v47, v47, v48
	v_add_f32_e32 v61, v61, v62
	v_sub_f32_e32 v47, v53, v47
	v_sub_f32_e32 v48, v54, v61
	buffer_store_dword v47, off, s[0:3], 0 offset:144
	buffer_store_dword v48, off, s[0:3], 0 offset:148
	s_and_saveexec_b64 s[4:5], vcc
	s_cbranch_execz .LBB85_111
; %bb.110:
	buffer_load_dword v47, off, s[0:3], 0 offset:136
	buffer_load_dword v48, off, s[0:3], 0 offset:140
	s_waitcnt vmcnt(0)
	ds_write_b64 v45, v[47:48]
	buffer_store_dword v46, off, s[0:3], 0 offset:136
	buffer_store_dword v46, off, s[0:3], 0 offset:140
.LBB85_111:
	s_or_b64 exec, exec, s[4:5]
	s_waitcnt lgkmcnt(0)
	; wave barrier
	buffer_load_dword v55, off, s[0:3], 0 offset:148
	buffer_load_dword v56, off, s[0:3], 0 offset:156
	buffer_load_dword v57, off, s[0:3], 0 offset:164
	buffer_load_dword v58, off, s[0:3], 0 offset:172
	buffer_load_dword v59, off, s[0:3], 0 offset:144
	buffer_load_dword v60, off, s[0:3], 0 offset:152
	buffer_load_dword v61, off, s[0:3], 0 offset:160
	buffer_load_dword v62, off, s[0:3], 0 offset:168
	buffer_load_dword v63, off, s[0:3], 0 offset:136
	buffer_load_dword v64, off, s[0:3], 0 offset:140
	ds_read_b128 v[47:50], v46 offset:320
	ds_read_b128 v[51:54], v46 offset:336
	v_cmp_lt_u32_e32 vcc, 16, v0
	s_waitcnt vmcnt(9) lgkmcnt(1)
	v_mul_f32_e32 v46, v47, v55
	v_mul_f32_e32 v55, v48, v55
	s_waitcnt vmcnt(8)
	v_mul_f32_e32 v65, v49, v56
	v_mul_f32_e32 v56, v50, v56
	s_waitcnt vmcnt(5)
	v_fma_f32 v47, v47, v59, -v55
	s_waitcnt lgkmcnt(0)
	v_mul_f32_e32 v66, v51, v57
	v_mul_f32_e32 v57, v52, v57
	v_fmac_f32_e32 v46, v48, v59
	s_waitcnt vmcnt(4)
	v_fma_f32 v48, v49, v60, -v56
	v_add_f32_e32 v47, 0, v47
	v_mul_f32_e32 v67, v53, v58
	v_mul_f32_e32 v58, v54, v58
	v_fmac_f32_e32 v65, v50, v60
	s_waitcnt vmcnt(3)
	v_fma_f32 v49, v51, v61, -v57
	v_add_f32_e32 v46, 0, v46
	v_add_f32_e32 v47, v47, v48
	v_fmac_f32_e32 v66, v52, v61
	s_waitcnt vmcnt(2)
	v_fma_f32 v50, v53, v62, -v58
	v_add_f32_e32 v46, v46, v65
	v_add_f32_e32 v47, v47, v49
	v_fmac_f32_e32 v67, v54, v62
	v_add_f32_e32 v46, v46, v66
	v_add_f32_e32 v47, v47, v50
	v_add_f32_e32 v46, v46, v67
	s_waitcnt vmcnt(1)
	v_sub_f32_e32 v47, v63, v47
	s_waitcnt vmcnt(0)
	v_sub_f32_e32 v46, v64, v46
	buffer_store_dword v47, off, s[0:3], 0 offset:136
	buffer_store_dword v46, off, s[0:3], 0 offset:140
	s_and_saveexec_b64 s[4:5], vcc
	s_cbranch_execz .LBB85_113
; %bb.112:
	buffer_load_dword v46, off, s[0:3], 0 offset:128
	buffer_load_dword v47, off, s[0:3], 0 offset:132
	v_mov_b32_e32 v48, 0
	buffer_store_dword v48, off, s[0:3], 0 offset:128
	buffer_store_dword v48, off, s[0:3], 0 offset:132
	s_waitcnt vmcnt(2)
	ds_write_b64 v45, v[46:47]
.LBB85_113:
	s_or_b64 exec, exec, s[4:5]
	s_waitcnt lgkmcnt(0)
	; wave barrier
	buffer_load_dword v57, off, s[0:3], 0 offset:140
	buffer_load_dword v58, off, s[0:3], 0 offset:148
	;; [unrolled: 1-line block ×12, first 2 shown]
	v_mov_b32_e32 v46, 0
	ds_read2_b64 v[47:50], v46 offset0:39 offset1:40
	ds_read2_b64 v[51:54], v46 offset0:41 offset1:42
	ds_read_b64 v[55:56], v46 offset:344
	v_cmp_lt_u32_e32 vcc, 15, v0
	s_waitcnt vmcnt(11) lgkmcnt(2)
	v_mul_f32_e32 v69, v47, v57
	v_mul_f32_e32 v57, v48, v57
	s_waitcnt vmcnt(10)
	v_mul_f32_e32 v70, v49, v58
	v_mul_f32_e32 v58, v50, v58
	s_waitcnt vmcnt(9) lgkmcnt(1)
	v_mul_f32_e32 v71, v51, v59
	s_waitcnt vmcnt(6)
	v_fma_f32 v47, v47, v62, -v57
	v_mul_f32_e32 v59, v52, v59
	v_fmac_f32_e32 v69, v48, v62
	s_waitcnt vmcnt(5)
	v_fma_f32 v48, v49, v63, -v58
	v_add_f32_e32 v47, 0, v47
	v_mul_f32_e32 v72, v53, v60
	v_mul_f32_e32 v60, v54, v60
	v_fmac_f32_e32 v70, v50, v63
	s_waitcnt vmcnt(4)
	v_fmac_f32_e32 v71, v52, v64
	v_fma_f32 v49, v51, v64, -v59
	v_add_f32_e32 v52, 0, v69
	v_add_f32_e32 v47, v47, v48
	s_waitcnt lgkmcnt(0)
	v_mul_f32_e32 v73, v55, v61
	v_mul_f32_e32 v61, v56, v61
	s_waitcnt vmcnt(3)
	v_fma_f32 v50, v53, v65, -v60
	v_add_f32_e32 v52, v52, v70
	v_add_f32_e32 v47, v47, v49
	v_fmac_f32_e32 v72, v54, v65
	s_waitcnt vmcnt(2)
	v_fma_f32 v51, v55, v66, -v61
	v_add_f32_e32 v48, v52, v71
	v_add_f32_e32 v47, v47, v50
	v_fmac_f32_e32 v73, v56, v66
	v_add_f32_e32 v48, v48, v72
	v_add_f32_e32 v47, v47, v51
	;; [unrolled: 1-line block ×3, first 2 shown]
	s_waitcnt vmcnt(1)
	v_sub_f32_e32 v47, v67, v47
	s_waitcnt vmcnt(0)
	v_sub_f32_e32 v48, v68, v48
	buffer_store_dword v47, off, s[0:3], 0 offset:128
	buffer_store_dword v48, off, s[0:3], 0 offset:132
	s_and_saveexec_b64 s[4:5], vcc
	s_cbranch_execz .LBB85_115
; %bb.114:
	buffer_load_dword v47, off, s[0:3], 0 offset:120
	buffer_load_dword v48, off, s[0:3], 0 offset:124
	s_waitcnt vmcnt(0)
	ds_write_b64 v45, v[47:48]
	buffer_store_dword v46, off, s[0:3], 0 offset:120
	buffer_store_dword v46, off, s[0:3], 0 offset:124
.LBB85_115:
	s_or_b64 exec, exec, s[4:5]
	s_waitcnt lgkmcnt(0)
	; wave barrier
	buffer_load_dword v59, off, s[0:3], 0 offset:132
	buffer_load_dword v60, off, s[0:3], 0 offset:140
	;; [unrolled: 1-line block ×14, first 2 shown]
	ds_read_b128 v[47:50], v46 offset:304
	ds_read_b128 v[51:54], v46 offset:320
	;; [unrolled: 1-line block ×3, first 2 shown]
	v_cmp_lt_u32_e32 vcc, 14, v0
	s_waitcnt vmcnt(13) lgkmcnt(2)
	v_mul_f32_e32 v46, v47, v59
	v_mul_f32_e32 v59, v48, v59
	s_waitcnt vmcnt(12)
	v_mul_f32_e32 v73, v49, v60
	v_mul_f32_e32 v60, v50, v60
	s_waitcnt vmcnt(11) lgkmcnt(1)
	v_mul_f32_e32 v74, v51, v61
	v_mul_f32_e32 v61, v52, v61
	s_waitcnt vmcnt(7)
	v_fma_f32 v47, v47, v65, -v59
	v_fmac_f32_e32 v46, v48, v65
	s_waitcnt vmcnt(6)
	v_fma_f32 v48, v49, v66, -v60
	v_add_f32_e32 v47, 0, v47
	v_mul_f32_e32 v75, v53, v62
	v_mul_f32_e32 v62, v54, v62
	v_fmac_f32_e32 v73, v50, v66
	s_waitcnt vmcnt(5)
	v_fma_f32 v49, v51, v67, -v61
	v_add_f32_e32 v46, 0, v46
	v_add_f32_e32 v47, v47, v48
	s_waitcnt lgkmcnt(0)
	v_mul_f32_e32 v76, v55, v63
	v_mul_f32_e32 v63, v56, v63
	v_fmac_f32_e32 v74, v52, v67
	s_waitcnt vmcnt(4)
	v_fma_f32 v50, v53, v68, -v62
	v_add_f32_e32 v46, v46, v73
	v_add_f32_e32 v47, v47, v49
	v_mul_f32_e32 v77, v57, v64
	v_mul_f32_e32 v64, v58, v64
	v_fmac_f32_e32 v75, v54, v68
	s_waitcnt vmcnt(3)
	v_fma_f32 v51, v55, v69, -v63
	v_add_f32_e32 v46, v46, v74
	v_add_f32_e32 v47, v47, v50
	v_fmac_f32_e32 v76, v56, v69
	s_waitcnt vmcnt(2)
	v_fma_f32 v52, v57, v70, -v64
	v_add_f32_e32 v46, v46, v75
	v_add_f32_e32 v47, v47, v51
	v_fmac_f32_e32 v77, v58, v70
	v_add_f32_e32 v46, v46, v76
	v_add_f32_e32 v47, v47, v52
	;; [unrolled: 1-line block ×3, first 2 shown]
	s_waitcnt vmcnt(1)
	v_sub_f32_e32 v47, v71, v47
	s_waitcnt vmcnt(0)
	v_sub_f32_e32 v46, v72, v46
	buffer_store_dword v47, off, s[0:3], 0 offset:120
	buffer_store_dword v46, off, s[0:3], 0 offset:124
	s_and_saveexec_b64 s[4:5], vcc
	s_cbranch_execz .LBB85_117
; %bb.116:
	buffer_load_dword v46, off, s[0:3], 0 offset:112
	buffer_load_dword v47, off, s[0:3], 0 offset:116
	v_mov_b32_e32 v48, 0
	buffer_store_dword v48, off, s[0:3], 0 offset:112
	buffer_store_dword v48, off, s[0:3], 0 offset:116
	s_waitcnt vmcnt(2)
	ds_write_b64 v45, v[46:47]
.LBB85_117:
	s_or_b64 exec, exec, s[4:5]
	v_mov_b32_e32 v46, 0
	s_waitcnt lgkmcnt(0)
	; wave barrier
	ds_read2_b64 v[47:50], v46 offset0:37 offset1:38
	buffer_load_dword v61, off, s[0:3], 0 offset:112
	buffer_load_dword v62, off, s[0:3], 0 offset:116
	;; [unrolled: 1-line block ×16, first 2 shown]
	v_cmp_lt_u32_e32 vcc, 13, v0
	s_waitcnt vmcnt(12) lgkmcnt(0)
	v_mul_f32_e32 v51, v47, v64
	v_fmac_f32_e32 v51, v48, v63
	s_waitcnt vmcnt(10)
	v_mul_f32_e32 v52, v49, v66
	v_add_f32_e32 v51, 0, v51
	v_fmac_f32_e32 v52, v50, v65
	v_add_f32_e32 v55, v51, v52
	ds_read2_b64 v[51:54], v46 offset0:39 offset1:40
	v_mul_f32_e32 v48, v48, v64
	v_fma_f32 v47, v47, v63, -v48
	v_mul_f32_e32 v48, v50, v66
	v_add_f32_e32 v47, 0, v47
	s_waitcnt vmcnt(8) lgkmcnt(0)
	v_mul_f32_e32 v56, v51, v68
	v_fmac_f32_e32 v56, v52, v67
	v_add_f32_e32 v55, v55, v56
	s_waitcnt vmcnt(6)
	v_mul_f32_e32 v56, v53, v70
	v_fmac_f32_e32 v56, v54, v69
	v_add_f32_e32 v59, v55, v56
	ds_read2_b64 v[55:58], v46 offset0:41 offset1:42
	v_fma_f32 v48, v49, v65, -v48
	v_add_f32_e32 v47, v47, v48
	v_mul_f32_e32 v48, v52, v68
	v_fma_f32 v48, v51, v67, -v48
	s_waitcnt vmcnt(4) lgkmcnt(0)
	v_mul_f32_e32 v60, v55, v72
	v_fmac_f32_e32 v60, v56, v71
	v_add_f32_e32 v59, v59, v60
	s_waitcnt vmcnt(2)
	v_mul_f32_e32 v60, v57, v74
	v_fmac_f32_e32 v60, v58, v73
	v_add_f32_e32 v47, v47, v48
	v_mul_f32_e32 v48, v54, v70
	v_add_f32_e32 v77, v59, v60
	ds_read_b64 v[59:60], v46 offset:344
	v_fma_f32 v48, v53, v69, -v48
	v_add_f32_e32 v47, v47, v48
	v_mul_f32_e32 v48, v56, v72
	v_fma_f32 v48, v55, v71, -v48
	v_add_f32_e32 v47, v47, v48
	v_mul_f32_e32 v48, v58, v74
	v_fma_f32 v48, v57, v73, -v48
	v_add_f32_e32 v47, v47, v48
	s_waitcnt vmcnt(0) lgkmcnt(0)
	v_mul_f32_e32 v48, v60, v76
	v_mul_f32_e32 v78, v59, v76
	v_fma_f32 v48, v59, v75, -v48
	v_fmac_f32_e32 v78, v60, v75
	v_add_f32_e32 v47, v47, v48
	v_add_f32_e32 v77, v77, v78
	v_sub_f32_e32 v47, v61, v47
	v_sub_f32_e32 v48, v62, v77
	buffer_store_dword v47, off, s[0:3], 0 offset:112
	buffer_store_dword v48, off, s[0:3], 0 offset:116
	s_and_saveexec_b64 s[4:5], vcc
	s_cbranch_execz .LBB85_119
; %bb.118:
	buffer_load_dword v47, off, s[0:3], 0 offset:104
	buffer_load_dword v48, off, s[0:3], 0 offset:108
	s_waitcnt vmcnt(0)
	ds_write_b64 v45, v[47:48]
	buffer_store_dword v46, off, s[0:3], 0 offset:104
	buffer_store_dword v46, off, s[0:3], 0 offset:108
.LBB85_119:
	s_or_b64 exec, exec, s[4:5]
	s_waitcnt lgkmcnt(0)
	; wave barrier
	ds_read_b128 v[47:50], v46 offset:288
	ds_read_b128 v[51:54], v46 offset:304
	;; [unrolled: 1-line block ×4, first 2 shown]
	buffer_load_dword v46, off, s[0:3], 0 offset:104
	buffer_load_dword v63, off, s[0:3], 0 offset:108
	;; [unrolled: 1-line block ×16, first 2 shown]
	v_cmp_lt_u32_e32 vcc, 12, v0
	s_waitcnt vmcnt(12) lgkmcnt(3)
	v_mul_f32_e32 v78, v47, v65
	v_fmac_f32_e32 v78, v48, v64
	s_waitcnt vmcnt(10)
	v_mul_f32_e32 v79, v49, v67
	v_add_f32_e32 v78, 0, v78
	v_fmac_f32_e32 v79, v50, v66
	v_add_f32_e32 v78, v78, v79
	s_waitcnt vmcnt(8) lgkmcnt(2)
	v_mul_f32_e32 v79, v51, v69
	v_fmac_f32_e32 v79, v52, v68
	v_add_f32_e32 v78, v78, v79
	s_waitcnt vmcnt(6)
	v_mul_f32_e32 v79, v53, v71
	v_fmac_f32_e32 v79, v54, v70
	v_add_f32_e32 v78, v78, v79
	s_waitcnt vmcnt(4) lgkmcnt(1)
	v_mul_f32_e32 v79, v55, v73
	v_fmac_f32_e32 v79, v56, v72
	v_add_f32_e32 v78, v78, v79
	s_waitcnt vmcnt(2)
	v_mul_f32_e32 v79, v57, v75
	v_fmac_f32_e32 v79, v58, v74
	v_add_f32_e32 v78, v78, v79
	s_waitcnt vmcnt(0) lgkmcnt(0)
	v_mul_f32_e32 v79, v59, v77
	v_fmac_f32_e32 v79, v60, v76
	v_add_f32_e32 v78, v78, v79
	buffer_load_dword v79, off, s[0:3], 0 offset:168
	buffer_load_dword v80, off, s[0:3], 0 offset:172
	v_mul_f32_e32 v48, v48, v65
	v_fma_f32 v47, v47, v64, -v48
	v_mul_f32_e32 v48, v50, v67
	v_add_f32_e32 v47, 0, v47
	v_fma_f32 v48, v49, v66, -v48
	v_add_f32_e32 v47, v47, v48
	v_mul_f32_e32 v48, v52, v69
	v_fma_f32 v48, v51, v68, -v48
	v_add_f32_e32 v47, v47, v48
	v_mul_f32_e32 v48, v54, v71
	;; [unrolled: 3-line block ×5, first 2 shown]
	v_fma_f32 v48, v59, v76, -v48
	v_add_f32_e32 v47, v47, v48
	s_waitcnt vmcnt(0)
	v_mul_f32_e32 v48, v62, v80
	v_mul_f32_e32 v81, v61, v80
	v_fma_f32 v48, v61, v79, -v48
	v_fmac_f32_e32 v81, v62, v79
	v_add_f32_e32 v47, v47, v48
	v_add_f32_e32 v78, v78, v81
	v_sub_f32_e32 v46, v46, v47
	v_sub_f32_e32 v47, v63, v78
	buffer_store_dword v46, off, s[0:3], 0 offset:104
	buffer_store_dword v47, off, s[0:3], 0 offset:108
	s_and_saveexec_b64 s[4:5], vcc
	s_cbranch_execz .LBB85_121
; %bb.120:
	buffer_load_dword v46, off, s[0:3], 0 offset:96
	buffer_load_dword v47, off, s[0:3], 0 offset:100
	v_mov_b32_e32 v48, 0
	buffer_store_dword v48, off, s[0:3], 0 offset:96
	buffer_store_dword v48, off, s[0:3], 0 offset:100
	s_waitcnt vmcnt(2)
	ds_write_b64 v45, v[46:47]
.LBB85_121:
	s_or_b64 exec, exec, s[4:5]
	s_waitcnt lgkmcnt(0)
	; wave barrier
	buffer_load_dword v65, off, s[0:3], 0 offset:108
	buffer_load_dword v66, off, s[0:3], 0 offset:116
	;; [unrolled: 1-line block ×20, first 2 shown]
	v_mov_b32_e32 v46, 0
	ds_read2_b64 v[47:50], v46 offset0:35 offset1:36
	ds_read2_b64 v[51:54], v46 offset0:37 offset1:38
	;; [unrolled: 1-line block ×4, first 2 shown]
	ds_read_b64 v[63:64], v46 offset:344
	v_cmp_lt_u32_e32 vcc, 11, v0
	s_waitcnt vmcnt(19) lgkmcnt(4)
	v_mul_f32_e32 v85, v47, v65
	v_mul_f32_e32 v65, v48, v65
	s_waitcnt vmcnt(18)
	v_mul_f32_e32 v86, v49, v66
	v_mul_f32_e32 v66, v50, v66
	s_waitcnt vmcnt(17) lgkmcnt(3)
	v_mul_f32_e32 v87, v51, v67
	s_waitcnt vmcnt(15) lgkmcnt(2)
	v_mul_f32_e32 v89, v55, v69
	v_mul_f32_e32 v67, v52, v67
	;; [unrolled: 1-line block ×4, first 2 shown]
	s_waitcnt vmcnt(10)
	v_fma_f32 v47, v47, v74, -v65
	v_fmac_f32_e32 v85, v48, v74
	s_waitcnt vmcnt(9)
	v_fma_f32 v48, v49, v75, -v66
	v_add_f32_e32 v47, 0, v47
	v_mul_f32_e32 v69, v56, v69
	v_fmac_f32_e32 v86, v50, v75
	s_waitcnt vmcnt(6)
	v_fmac_f32_e32 v89, v56, v78
	v_fma_f32 v49, v51, v76, -v67
	v_add_f32_e32 v56, 0, v85
	v_add_f32_e32 v47, v47, v48
	v_fmac_f32_e32 v87, v52, v76
	v_fma_f32 v50, v53, v77, -v68
	v_add_f32_e32 v56, v56, v86
	v_add_f32_e32 v47, v47, v49
	v_mul_f32_e32 v90, v57, v70
	v_mul_f32_e32 v70, v58, v70
	v_fmac_f32_e32 v88, v54, v77
	v_fma_f32 v51, v55, v78, -v69
	v_add_f32_e32 v48, v56, v87
	v_add_f32_e32 v47, v47, v50
	s_waitcnt lgkmcnt(1)
	v_mul_f32_e32 v91, v59, v71
	v_mul_f32_e32 v71, v60, v71
	s_waitcnt vmcnt(5)
	v_fma_f32 v52, v57, v79, -v70
	v_add_f32_e32 v48, v48, v88
	v_add_f32_e32 v47, v47, v51
	v_mul_f32_e32 v92, v61, v72
	v_mul_f32_e32 v72, v62, v72
	v_fmac_f32_e32 v90, v58, v79
	s_waitcnt vmcnt(4)
	v_fma_f32 v53, v59, v80, -v71
	v_add_f32_e32 v48, v48, v89
	v_add_f32_e32 v47, v47, v52
	s_waitcnt lgkmcnt(0)
	v_mul_f32_e32 v93, v63, v73
	v_mul_f32_e32 v73, v64, v73
	v_fmac_f32_e32 v91, v60, v80
	s_waitcnt vmcnt(3)
	v_fma_f32 v54, v61, v81, -v72
	v_add_f32_e32 v48, v48, v90
	v_add_f32_e32 v47, v47, v53
	v_fmac_f32_e32 v92, v62, v81
	s_waitcnt vmcnt(2)
	v_fma_f32 v55, v63, v82, -v73
	v_add_f32_e32 v48, v48, v91
	v_add_f32_e32 v47, v47, v54
	v_fmac_f32_e32 v93, v64, v82
	v_add_f32_e32 v48, v48, v92
	v_add_f32_e32 v47, v47, v55
	;; [unrolled: 1-line block ×3, first 2 shown]
	s_waitcnt vmcnt(1)
	v_sub_f32_e32 v47, v83, v47
	s_waitcnt vmcnt(0)
	v_sub_f32_e32 v48, v84, v48
	buffer_store_dword v47, off, s[0:3], 0 offset:96
	buffer_store_dword v48, off, s[0:3], 0 offset:100
	s_and_saveexec_b64 s[4:5], vcc
	s_cbranch_execz .LBB85_123
; %bb.122:
	buffer_load_dword v47, off, s[0:3], 0 offset:88
	buffer_load_dword v48, off, s[0:3], 0 offset:92
	s_waitcnt vmcnt(0)
	ds_write_b64 v45, v[47:48]
	buffer_store_dword v46, off, s[0:3], 0 offset:88
	buffer_store_dword v46, off, s[0:3], 0 offset:92
.LBB85_123:
	s_or_b64 exec, exec, s[4:5]
	s_waitcnt lgkmcnt(0)
	; wave barrier
	buffer_load_dword v67, off, s[0:3], 0 offset:100
	buffer_load_dword v68, off, s[0:3], 0 offset:108
	;; [unrolled: 1-line block ×22, first 2 shown]
	ds_read_b128 v[47:50], v46 offset:272
	ds_read_b128 v[51:54], v46 offset:288
	;; [unrolled: 1-line block ×5, first 2 shown]
	v_cmp_lt_u32_e32 vcc, 10, v0
	s_waitcnt vmcnt(21) lgkmcnt(4)
	v_mul_f32_e32 v46, v47, v67
	v_mul_f32_e32 v67, v48, v67
	s_waitcnt vmcnt(20)
	v_mul_f32_e32 v89, v49, v68
	v_mul_f32_e32 v68, v50, v68
	s_waitcnt vmcnt(19) lgkmcnt(3)
	v_mul_f32_e32 v90, v51, v69
	v_mul_f32_e32 v69, v52, v69
	s_waitcnt vmcnt(18)
	v_mul_f32_e32 v91, v53, v70
	v_mul_f32_e32 v70, v54, v70
	s_waitcnt vmcnt(17) lgkmcnt(2)
	v_mul_f32_e32 v92, v55, v71
	v_mul_f32_e32 v71, v56, v71
	s_waitcnt vmcnt(11)
	v_fma_f32 v47, v47, v77, -v67
	v_fmac_f32_e32 v46, v48, v77
	s_waitcnt vmcnt(10)
	v_fma_f32 v48, v49, v78, -v68
	v_add_f32_e32 v47, 0, v47
	v_fmac_f32_e32 v89, v50, v78
	s_waitcnt vmcnt(9)
	v_fma_f32 v49, v51, v79, -v69
	v_add_f32_e32 v46, 0, v46
	v_add_f32_e32 v47, v47, v48
	v_fmac_f32_e32 v90, v52, v79
	s_waitcnt vmcnt(8)
	v_fma_f32 v50, v53, v80, -v70
	v_add_f32_e32 v46, v46, v89
	v_add_f32_e32 v47, v47, v49
	v_mul_f32_e32 v93, v57, v72
	v_mul_f32_e32 v72, v58, v72
	v_fmac_f32_e32 v91, v54, v80
	s_waitcnt vmcnt(7)
	v_fma_f32 v51, v55, v81, -v71
	v_add_f32_e32 v46, v46, v90
	v_add_f32_e32 v47, v47, v50
	s_waitcnt lgkmcnt(1)
	v_mul_f32_e32 v94, v59, v73
	v_mul_f32_e32 v73, v60, v73
	v_fmac_f32_e32 v92, v56, v81
	s_waitcnt vmcnt(6)
	v_fma_f32 v52, v57, v82, -v72
	v_add_f32_e32 v46, v46, v91
	v_add_f32_e32 v47, v47, v51
	v_mul_f32_e32 v95, v61, v74
	v_mul_f32_e32 v74, v62, v74
	v_fmac_f32_e32 v93, v58, v82
	s_waitcnt vmcnt(5)
	v_fma_f32 v53, v59, v83, -v73
	v_add_f32_e32 v46, v46, v92
	v_add_f32_e32 v47, v47, v52
	s_waitcnt lgkmcnt(0)
	v_mul_f32_e32 v96, v63, v75
	v_mul_f32_e32 v75, v64, v75
	v_fmac_f32_e32 v94, v60, v83
	s_waitcnt vmcnt(4)
	v_fma_f32 v54, v61, v84, -v74
	v_add_f32_e32 v46, v46, v93
	v_add_f32_e32 v47, v47, v53
	v_mul_f32_e32 v97, v65, v76
	v_mul_f32_e32 v76, v66, v76
	v_fmac_f32_e32 v95, v62, v84
	s_waitcnt vmcnt(3)
	v_fma_f32 v55, v63, v85, -v75
	v_add_f32_e32 v46, v46, v94
	v_add_f32_e32 v47, v47, v54
	v_fmac_f32_e32 v96, v64, v85
	s_waitcnt vmcnt(2)
	v_fma_f32 v56, v65, v86, -v76
	v_add_f32_e32 v46, v46, v95
	v_add_f32_e32 v47, v47, v55
	v_fmac_f32_e32 v97, v66, v86
	v_add_f32_e32 v46, v46, v96
	v_add_f32_e32 v47, v47, v56
	;; [unrolled: 1-line block ×3, first 2 shown]
	s_waitcnt vmcnt(1)
	v_sub_f32_e32 v47, v87, v47
	s_waitcnt vmcnt(0)
	v_sub_f32_e32 v46, v88, v46
	buffer_store_dword v47, off, s[0:3], 0 offset:88
	buffer_store_dword v46, off, s[0:3], 0 offset:92
	s_and_saveexec_b64 s[4:5], vcc
	s_cbranch_execz .LBB85_125
; %bb.124:
	buffer_load_dword v46, off, s[0:3], 0 offset:80
	buffer_load_dword v47, off, s[0:3], 0 offset:84
	v_mov_b32_e32 v48, 0
	buffer_store_dword v48, off, s[0:3], 0 offset:80
	buffer_store_dword v48, off, s[0:3], 0 offset:84
	s_waitcnt vmcnt(2)
	ds_write_b64 v45, v[46:47]
.LBB85_125:
	s_or_b64 exec, exec, s[4:5]
	s_waitcnt lgkmcnt(0)
	; wave barrier
	buffer_load_dword v69, off, s[0:3], 0 offset:92
	buffer_load_dword v70, off, s[0:3], 0 offset:100
	;; [unrolled: 1-line block ×24, first 2 shown]
	v_mov_b32_e32 v46, 0
	ds_read2_b64 v[47:50], v46 offset0:33 offset1:34
	ds_read2_b64 v[51:54], v46 offset0:35 offset1:36
	;; [unrolled: 1-line block ×5, first 2 shown]
	ds_read_b64 v[67:68], v46 offset:344
	v_cmp_lt_u32_e32 vcc, 9, v0
	s_waitcnt vmcnt(23) lgkmcnt(5)
	v_mul_f32_e32 v93, v47, v69
	v_mul_f32_e32 v69, v48, v69
	s_waitcnt vmcnt(22)
	v_mul_f32_e32 v94, v49, v70
	v_mul_f32_e32 v70, v50, v70
	s_waitcnt vmcnt(21) lgkmcnt(4)
	v_mul_f32_e32 v95, v51, v71
	v_mul_f32_e32 v71, v52, v71
	s_waitcnt vmcnt(20)
	v_mul_f32_e32 v96, v53, v72
	s_waitcnt vmcnt(19) lgkmcnt(3)
	v_mul_f32_e32 v97, v55, v73
	v_mul_f32_e32 v72, v54, v72
	;; [unrolled: 1-line block ×3, first 2 shown]
	s_waitcnt vmcnt(18)
	v_mul_f32_e32 v98, v57, v74
	s_waitcnt vmcnt(12)
	v_fma_f32 v47, v47, v80, -v69
	v_fmac_f32_e32 v93, v48, v80
	s_waitcnt vmcnt(11)
	v_fma_f32 v48, v49, v81, -v70
	v_add_f32_e32 v47, 0, v47
	s_waitcnt vmcnt(10)
	v_fma_f32 v49, v51, v82, -v71
	v_add_f32_e32 v47, v47, v48
	v_fmac_f32_e32 v94, v50, v81
	s_waitcnt vmcnt(8)
	v_fmac_f32_e32 v97, v56, v84
	v_fma_f32 v50, v53, v83, -v72
	v_add_f32_e32 v56, 0, v93
	v_add_f32_e32 v47, v47, v49
	v_mul_f32_e32 v74, v58, v74
	v_fmac_f32_e32 v95, v52, v82
	v_fma_f32 v51, v55, v84, -v73
	v_add_f32_e32 v56, v56, v94
	v_add_f32_e32 v47, v47, v50
	s_waitcnt lgkmcnt(2)
	v_mul_f32_e32 v99, v59, v75
	v_mul_f32_e32 v75, v60, v75
	v_fmac_f32_e32 v96, v54, v83
	s_waitcnt vmcnt(7)
	v_fma_f32 v52, v57, v85, -v74
	v_add_f32_e32 v48, v56, v95
	v_add_f32_e32 v47, v47, v51
	v_mul_f32_e32 v100, v61, v76
	v_mul_f32_e32 v76, v62, v76
	s_waitcnt vmcnt(6)
	v_fma_f32 v53, v59, v86, -v75
	v_add_f32_e32 v48, v48, v96
	v_add_f32_e32 v47, v47, v52
	s_waitcnt lgkmcnt(1)
	v_mul_f32_e32 v101, v63, v77
	v_mul_f32_e32 v77, v64, v77
	v_fmac_f32_e32 v98, v58, v85
	s_waitcnt vmcnt(5)
	v_fma_f32 v54, v61, v87, -v76
	v_add_f32_e32 v48, v48, v97
	v_add_f32_e32 v47, v47, v53
	v_fmac_f32_e32 v99, v60, v86
	s_waitcnt vmcnt(4)
	v_fma_f32 v55, v63, v88, -v77
	v_add_f32_e32 v48, v48, v98
	v_add_f32_e32 v47, v47, v54
	v_mul_f32_e32 v49, v66, v78
	v_fmac_f32_e32 v100, v62, v87
	v_add_f32_e32 v48, v48, v99
	v_add_f32_e32 v47, v47, v55
	s_waitcnt vmcnt(3)
	v_fma_f32 v49, v65, v89, -v49
	v_mul_f32_e32 v102, v65, v78
	v_fmac_f32_e32 v101, v64, v88
	v_add_f32_e32 v48, v48, v100
	v_add_f32_e32 v47, v47, v49
	s_waitcnt lgkmcnt(0)
	v_mul_f32_e32 v49, v68, v79
	v_mul_f32_e32 v103, v67, v79
	v_fmac_f32_e32 v102, v66, v89
	v_add_f32_e32 v48, v48, v101
	s_waitcnt vmcnt(2)
	v_fma_f32 v49, v67, v90, -v49
	v_fmac_f32_e32 v103, v68, v90
	v_add_f32_e32 v48, v48, v102
	v_add_f32_e32 v47, v47, v49
	;; [unrolled: 1-line block ×3, first 2 shown]
	s_waitcnt vmcnt(1)
	v_sub_f32_e32 v47, v91, v47
	s_waitcnt vmcnt(0)
	v_sub_f32_e32 v48, v92, v48
	buffer_store_dword v47, off, s[0:3], 0 offset:80
	buffer_store_dword v48, off, s[0:3], 0 offset:84
	s_and_saveexec_b64 s[4:5], vcc
	s_cbranch_execz .LBB85_127
; %bb.126:
	buffer_load_dword v47, off, s[0:3], 0 offset:72
	buffer_load_dword v48, off, s[0:3], 0 offset:76
	s_waitcnt vmcnt(0)
	ds_write_b64 v45, v[47:48]
	buffer_store_dword v46, off, s[0:3], 0 offset:72
	buffer_store_dword v46, off, s[0:3], 0 offset:76
.LBB85_127:
	s_or_b64 exec, exec, s[4:5]
	s_waitcnt lgkmcnt(0)
	; wave barrier
	buffer_load_dword v71, off, s[0:3], 0 offset:84
	buffer_load_dword v72, off, s[0:3], 0 offset:92
	;; [unrolled: 1-line block ×26, first 2 shown]
	ds_read_b128 v[47:50], v46 offset:256
	ds_read_b128 v[51:54], v46 offset:272
	;; [unrolled: 1-line block ×6, first 2 shown]
	v_cmp_lt_u32_e32 vcc, 8, v0
	s_waitcnt vmcnt(25) lgkmcnt(5)
	v_mul_f32_e32 v46, v47, v71
	v_mul_f32_e32 v71, v48, v71
	s_waitcnt vmcnt(24)
	v_mul_f32_e32 v97, v49, v72
	v_mul_f32_e32 v72, v50, v72
	s_waitcnt vmcnt(23) lgkmcnt(4)
	v_mul_f32_e32 v98, v51, v73
	v_mul_f32_e32 v73, v52, v73
	s_waitcnt vmcnt(22)
	v_mul_f32_e32 v99, v53, v74
	v_mul_f32_e32 v74, v54, v74
	;; [unrolled: 6-line block ×3, first 2 shown]
	s_waitcnt vmcnt(13)
	v_fma_f32 v47, v47, v83, -v71
	v_fmac_f32_e32 v46, v48, v83
	s_waitcnt vmcnt(12)
	v_fma_f32 v48, v49, v84, -v72
	v_add_f32_e32 v47, 0, v47
	s_waitcnt vmcnt(11)
	v_fma_f32 v49, v51, v85, -v73
	v_add_f32_e32 v47, v47, v48
	v_fmac_f32_e32 v97, v50, v84
	s_waitcnt vmcnt(10)
	v_fma_f32 v50, v53, v86, -v74
	v_add_f32_e32 v47, v47, v49
	s_waitcnt vmcnt(9)
	v_fma_f32 v51, v55, v87, -v75
	v_add_f32_e32 v47, v47, v50
	s_waitcnt lgkmcnt(2)
	v_mul_f32_e32 v102, v59, v77
	v_mul_f32_e32 v77, v60, v77
	v_fmac_f32_e32 v98, v52, v85
	s_waitcnt vmcnt(8)
	v_fma_f32 v52, v57, v88, -v76
	v_add_f32_e32 v46, 0, v46
	v_add_f32_e32 v47, v47, v51
	v_mul_f32_e32 v103, v61, v78
	v_mul_f32_e32 v78, v62, v78
	s_waitcnt vmcnt(7)
	v_fma_f32 v53, v59, v89, -v77
	v_add_f32_e32 v46, v46, v97
	v_add_f32_e32 v47, v47, v52
	v_fmac_f32_e32 v99, v54, v86
	s_waitcnt vmcnt(6)
	v_fma_f32 v54, v61, v90, -v78
	v_add_f32_e32 v46, v46, v98
	v_add_f32_e32 v47, v47, v53
	s_waitcnt lgkmcnt(1)
	v_mul_f32_e32 v48, v64, v79
	v_fmac_f32_e32 v100, v56, v87
	v_add_f32_e32 v46, v46, v99
	v_add_f32_e32 v47, v47, v54
	s_waitcnt vmcnt(5)
	v_fma_f32 v48, v63, v91, -v48
	v_fmac_f32_e32 v101, v58, v88
	v_add_f32_e32 v46, v46, v100
	v_add_f32_e32 v47, v47, v48
	v_mul_f32_e32 v48, v66, v80
	v_fmac_f32_e32 v102, v60, v89
	v_add_f32_e32 v46, v46, v101
	s_waitcnt vmcnt(4)
	v_fma_f32 v48, v65, v92, -v48
	v_mul_f32_e32 v104, v63, v79
	v_fmac_f32_e32 v103, v62, v90
	v_add_f32_e32 v46, v46, v102
	v_add_f32_e32 v47, v47, v48
	s_waitcnt lgkmcnt(0)
	v_mul_f32_e32 v48, v68, v81
	v_mul_f32_e32 v105, v65, v80
	v_fmac_f32_e32 v104, v64, v91
	v_add_f32_e32 v46, v46, v103
	s_waitcnt vmcnt(3)
	v_fma_f32 v48, v67, v93, -v48
	v_mul_f32_e32 v106, v67, v81
	v_fmac_f32_e32 v105, v66, v92
	v_add_f32_e32 v46, v46, v104
	v_add_f32_e32 v47, v47, v48
	v_mul_f32_e32 v48, v70, v82
	v_mul_f32_e32 v107, v69, v82
	v_fmac_f32_e32 v106, v68, v93
	v_add_f32_e32 v46, v46, v105
	s_waitcnt vmcnt(2)
	v_fma_f32 v48, v69, v94, -v48
	v_fmac_f32_e32 v107, v70, v94
	v_add_f32_e32 v46, v46, v106
	v_add_f32_e32 v47, v47, v48
	;; [unrolled: 1-line block ×3, first 2 shown]
	s_waitcnt vmcnt(1)
	v_sub_f32_e32 v47, v95, v47
	s_waitcnt vmcnt(0)
	v_sub_f32_e32 v46, v96, v46
	buffer_store_dword v47, off, s[0:3], 0 offset:72
	buffer_store_dword v46, off, s[0:3], 0 offset:76
	s_and_saveexec_b64 s[4:5], vcc
	s_cbranch_execz .LBB85_129
; %bb.128:
	buffer_load_dword v46, off, s[0:3], 0 offset:64
	buffer_load_dword v47, off, s[0:3], 0 offset:68
	v_mov_b32_e32 v48, 0
	buffer_store_dword v48, off, s[0:3], 0 offset:64
	buffer_store_dword v48, off, s[0:3], 0 offset:68
	s_waitcnt vmcnt(2)
	ds_write_b64 v45, v[46:47]
.LBB85_129:
	s_or_b64 exec, exec, s[4:5]
	s_waitcnt lgkmcnt(0)
	; wave barrier
	buffer_load_dword v73, off, s[0:3], 0 offset:76
	buffer_load_dword v74, off, s[0:3], 0 offset:84
	;; [unrolled: 1-line block ×28, first 2 shown]
	v_mov_b32_e32 v46, 0
	ds_read2_b64 v[47:50], v46 offset0:31 offset1:32
	ds_read2_b64 v[51:54], v46 offset0:33 offset1:34
	;; [unrolled: 1-line block ×6, first 2 shown]
	ds_read_b64 v[71:72], v46 offset:344
	v_cmp_lt_u32_e32 vcc, 7, v0
	s_waitcnt vmcnt(27) lgkmcnt(6)
	v_mul_f32_e32 v101, v47, v73
	v_mul_f32_e32 v73, v48, v73
	s_waitcnt vmcnt(26)
	v_mul_f32_e32 v102, v49, v74
	v_mul_f32_e32 v74, v50, v74
	s_waitcnt vmcnt(25) lgkmcnt(5)
	v_mul_f32_e32 v103, v51, v75
	v_mul_f32_e32 v75, v52, v75
	s_waitcnt vmcnt(24)
	v_mul_f32_e32 v104, v53, v76
	v_mul_f32_e32 v76, v54, v76
	;; [unrolled: 6-line block ×3, first 2 shown]
	s_waitcnt vmcnt(21) lgkmcnt(3)
	v_mul_f32_e32 v107, v59, v79
	s_waitcnt vmcnt(14)
	v_fma_f32 v47, v47, v86, -v73
	v_fmac_f32_e32 v101, v48, v86
	s_waitcnt vmcnt(13)
	v_fma_f32 v48, v49, v87, -v74
	v_add_f32_e32 v47, 0, v47
	s_waitcnt vmcnt(12)
	v_fma_f32 v49, v51, v88, -v75
	v_add_f32_e32 v47, v47, v48
	v_fmac_f32_e32 v102, v50, v87
	s_waitcnt vmcnt(11)
	v_fma_f32 v50, v53, v89, -v76
	v_add_f32_e32 v47, v47, v49
	s_waitcnt vmcnt(10)
	v_fma_f32 v51, v55, v90, -v77
	v_add_f32_e32 v47, v47, v50
	v_fmac_f32_e32 v103, v52, v88
	s_waitcnt vmcnt(9)
	v_fma_f32 v52, v57, v91, -v78
	v_add_f32_e32 v47, v47, v51
	v_mul_f32_e32 v49, v60, v79
	v_add_f32_e32 v47, v47, v52
	s_waitcnt vmcnt(8)
	v_fma_f32 v49, v59, v92, -v49
	v_add_f32_e32 v47, v47, v49
	v_mul_f32_e32 v49, v62, v80
	v_add_f32_e32 v53, 0, v101
	s_waitcnt vmcnt(7)
	v_fma_f32 v49, v61, v93, -v49
	v_add_f32_e32 v53, v53, v102
	v_add_f32_e32 v47, v47, v49
	s_waitcnt lgkmcnt(2)
	v_mul_f32_e32 v49, v64, v81
	v_fmac_f32_e32 v104, v54, v89
	v_add_f32_e32 v48, v53, v103
	s_waitcnt vmcnt(6)
	v_fma_f32 v49, v63, v94, -v49
	v_fmac_f32_e32 v105, v56, v90
	v_add_f32_e32 v48, v48, v104
	v_add_f32_e32 v47, v47, v49
	v_mul_f32_e32 v49, v66, v82
	v_fmac_f32_e32 v106, v58, v91
	v_add_f32_e32 v48, v48, v105
	s_waitcnt vmcnt(5)
	v_fma_f32 v49, v65, v95, -v49
	v_mul_f32_e32 v108, v61, v80
	v_fmac_f32_e32 v107, v60, v92
	v_add_f32_e32 v48, v48, v106
	v_add_f32_e32 v47, v47, v49
	s_waitcnt lgkmcnt(1)
	v_mul_f32_e32 v49, v68, v83
	v_mul_f32_e32 v109, v63, v81
	v_fmac_f32_e32 v108, v62, v93
	v_add_f32_e32 v48, v48, v107
	s_waitcnt vmcnt(4)
	v_fma_f32 v49, v67, v96, -v49
	v_mul_f32_e32 v110, v65, v82
	v_fmac_f32_e32 v109, v64, v94
	v_add_f32_e32 v48, v48, v108
	v_add_f32_e32 v47, v47, v49
	v_mul_f32_e32 v49, v70, v84
	v_mul_f32_e32 v111, v67, v83
	v_fmac_f32_e32 v110, v66, v95
	v_add_f32_e32 v48, v48, v109
	s_waitcnt vmcnt(3)
	v_fma_f32 v49, v69, v97, -v49
	v_mul_f32_e32 v112, v69, v84
	v_fmac_f32_e32 v111, v68, v96
	v_add_f32_e32 v48, v48, v110
	v_add_f32_e32 v47, v47, v49
	s_waitcnt lgkmcnt(0)
	v_mul_f32_e32 v49, v72, v85
	v_mul_f32_e32 v113, v71, v85
	v_fmac_f32_e32 v112, v70, v97
	v_add_f32_e32 v48, v48, v111
	s_waitcnt vmcnt(2)
	v_fma_f32 v49, v71, v98, -v49
	v_fmac_f32_e32 v113, v72, v98
	v_add_f32_e32 v48, v48, v112
	v_add_f32_e32 v47, v47, v49
	;; [unrolled: 1-line block ×3, first 2 shown]
	s_waitcnt vmcnt(1)
	v_sub_f32_e32 v47, v99, v47
	s_waitcnt vmcnt(0)
	v_sub_f32_e32 v48, v100, v48
	buffer_store_dword v47, off, s[0:3], 0 offset:64
	buffer_store_dword v48, off, s[0:3], 0 offset:68
	s_and_saveexec_b64 s[4:5], vcc
	s_cbranch_execz .LBB85_131
; %bb.130:
	buffer_load_dword v47, off, s[0:3], 0 offset:56
	buffer_load_dword v48, off, s[0:3], 0 offset:60
	s_waitcnt vmcnt(0)
	ds_write_b64 v45, v[47:48]
	buffer_store_dword v46, off, s[0:3], 0 offset:56
	buffer_store_dword v46, off, s[0:3], 0 offset:60
.LBB85_131:
	s_or_b64 exec, exec, s[4:5]
	s_waitcnt lgkmcnt(0)
	; wave barrier
	buffer_load_dword v75, off, s[0:3], 0 offset:68
	buffer_load_dword v76, off, s[0:3], 0 offset:76
	;; [unrolled: 1-line block ×30, first 2 shown]
	ds_read_b128 v[47:50], v46 offset:240
	ds_read_b128 v[51:54], v46 offset:256
	;; [unrolled: 1-line block ×7, first 2 shown]
	v_cmp_lt_u32_e32 vcc, 6, v0
	s_waitcnt vmcnt(29) lgkmcnt(6)
	v_mul_f32_e32 v46, v47, v75
	v_mul_f32_e32 v75, v48, v75
	s_waitcnt vmcnt(28)
	v_mul_f32_e32 v105, v49, v76
	v_mul_f32_e32 v76, v50, v76
	s_waitcnt vmcnt(27) lgkmcnt(5)
	v_mul_f32_e32 v106, v51, v77
	v_mul_f32_e32 v77, v52, v77
	s_waitcnt vmcnt(26)
	v_mul_f32_e32 v107, v53, v78
	v_mul_f32_e32 v78, v54, v78
	s_waitcnt vmcnt(25) lgkmcnt(4)
	v_mul_f32_e32 v108, v55, v79
	v_mul_f32_e32 v79, v56, v79
	s_waitcnt vmcnt(24)
	v_mul_f32_e32 v109, v57, v80
	s_waitcnt vmcnt(23) lgkmcnt(3)
	v_mul_f32_e32 v110, v59, v81
	s_waitcnt vmcnt(22)
	v_mul_f32_e32 v111, v61, v82
	s_waitcnt vmcnt(21) lgkmcnt(2)
	v_mul_f32_e32 v112, v63, v83
	s_waitcnt vmcnt(15)
	v_fma_f32 v47, v47, v89, -v75
	v_fmac_f32_e32 v46, v48, v89
	s_waitcnt vmcnt(14)
	v_fma_f32 v48, v49, v90, -v76
	v_add_f32_e32 v47, 0, v47
	s_waitcnt vmcnt(13)
	v_fma_f32 v49, v51, v91, -v77
	v_add_f32_e32 v47, v47, v48
	v_fmac_f32_e32 v105, v50, v90
	s_waitcnt vmcnt(12)
	v_fma_f32 v50, v53, v92, -v78
	v_add_f32_e32 v47, v47, v49
	s_waitcnt vmcnt(11)
	v_fma_f32 v51, v55, v93, -v79
	v_add_f32_e32 v47, v47, v50
	v_mul_f32_e32 v48, v58, v80
	v_add_f32_e32 v47, v47, v51
	s_waitcnt vmcnt(10)
	v_fma_f32 v48, v57, v94, -v48
	v_add_f32_e32 v47, v47, v48
	v_mul_f32_e32 v48, v60, v81
	s_waitcnt vmcnt(9)
	v_fma_f32 v48, v59, v95, -v48
	v_add_f32_e32 v47, v47, v48
	v_mul_f32_e32 v48, v62, v82
	s_waitcnt vmcnt(8)
	v_fma_f32 v48, v61, v96, -v48
	v_add_f32_e32 v46, 0, v46
	v_add_f32_e32 v47, v47, v48
	v_mul_f32_e32 v48, v64, v83
	v_fmac_f32_e32 v106, v52, v91
	v_add_f32_e32 v46, v46, v105
	s_waitcnt vmcnt(7)
	v_fma_f32 v48, v63, v97, -v48
	v_fmac_f32_e32 v107, v54, v92
	v_add_f32_e32 v46, v46, v106
	v_add_f32_e32 v47, v47, v48
	v_mul_f32_e32 v48, v66, v84
	v_fmac_f32_e32 v108, v56, v93
	v_add_f32_e32 v46, v46, v107
	s_waitcnt vmcnt(6)
	v_fma_f32 v48, v65, v98, -v48
	v_fmac_f32_e32 v109, v58, v94
	v_add_f32_e32 v46, v46, v108
	v_add_f32_e32 v47, v47, v48
	s_waitcnt lgkmcnt(1)
	v_mul_f32_e32 v48, v68, v85
	v_fmac_f32_e32 v110, v60, v95
	v_add_f32_e32 v46, v46, v109
	s_waitcnt vmcnt(5)
	v_fma_f32 v48, v67, v99, -v48
	v_fmac_f32_e32 v111, v62, v96
	v_add_f32_e32 v46, v46, v110
	v_add_f32_e32 v47, v47, v48
	v_mul_f32_e32 v48, v70, v86
	v_mul_f32_e32 v113, v65, v84
	v_fmac_f32_e32 v112, v64, v97
	v_add_f32_e32 v46, v46, v111
	s_waitcnt vmcnt(4)
	v_fma_f32 v48, v69, v100, -v48
	v_mul_f32_e32 v114, v67, v85
	v_fmac_f32_e32 v113, v66, v98
	v_add_f32_e32 v46, v46, v112
	v_add_f32_e32 v47, v47, v48
	s_waitcnt lgkmcnt(0)
	v_mul_f32_e32 v48, v72, v87
	v_mul_f32_e32 v115, v69, v86
	v_fmac_f32_e32 v114, v68, v99
	v_add_f32_e32 v46, v46, v113
	s_waitcnt vmcnt(3)
	v_fma_f32 v48, v71, v101, -v48
	v_mul_f32_e32 v116, v71, v87
	v_fmac_f32_e32 v115, v70, v100
	v_add_f32_e32 v46, v46, v114
	v_add_f32_e32 v47, v47, v48
	v_mul_f32_e32 v48, v74, v88
	v_mul_f32_e32 v117, v73, v88
	v_fmac_f32_e32 v116, v72, v101
	v_add_f32_e32 v46, v46, v115
	s_waitcnt vmcnt(2)
	v_fma_f32 v48, v73, v102, -v48
	v_fmac_f32_e32 v117, v74, v102
	v_add_f32_e32 v46, v46, v116
	v_add_f32_e32 v47, v47, v48
	;; [unrolled: 1-line block ×3, first 2 shown]
	s_waitcnt vmcnt(1)
	v_sub_f32_e32 v47, v103, v47
	s_waitcnt vmcnt(0)
	v_sub_f32_e32 v46, v104, v46
	buffer_store_dword v47, off, s[0:3], 0 offset:56
	buffer_store_dword v46, off, s[0:3], 0 offset:60
	s_and_saveexec_b64 s[4:5], vcc
	s_cbranch_execz .LBB85_133
; %bb.132:
	buffer_load_dword v46, off, s[0:3], 0 offset:48
	buffer_load_dword v47, off, s[0:3], 0 offset:52
	v_mov_b32_e32 v48, 0
	buffer_store_dword v48, off, s[0:3], 0 offset:48
	buffer_store_dword v48, off, s[0:3], 0 offset:52
	s_waitcnt vmcnt(2)
	ds_write_b64 v45, v[46:47]
.LBB85_133:
	s_or_b64 exec, exec, s[4:5]
	s_waitcnt lgkmcnt(0)
	; wave barrier
	buffer_load_dword v77, off, s[0:3], 0 offset:60
	buffer_load_dword v78, off, s[0:3], 0 offset:68
	;; [unrolled: 1-line block ×32, first 2 shown]
	v_mov_b32_e32 v46, 0
	ds_read2_b64 v[47:50], v46 offset0:29 offset1:30
	ds_read2_b64 v[51:54], v46 offset0:31 offset1:32
	;; [unrolled: 1-line block ×7, first 2 shown]
	ds_read_b64 v[75:76], v46 offset:344
	v_cmp_lt_u32_e32 vcc, 5, v0
	s_waitcnt vmcnt(31) lgkmcnt(7)
	v_mul_f32_e32 v109, v47, v77
	v_mul_f32_e32 v77, v48, v77
	s_waitcnt vmcnt(30)
	v_mul_f32_e32 v110, v49, v78
	v_mul_f32_e32 v78, v50, v78
	s_waitcnt vmcnt(29) lgkmcnt(6)
	v_mul_f32_e32 v111, v51, v79
	v_mul_f32_e32 v79, v52, v79
	s_waitcnt vmcnt(28)
	v_mul_f32_e32 v112, v53, v80
	s_waitcnt vmcnt(27) lgkmcnt(5)
	v_mul_f32_e32 v113, v55, v81
	s_waitcnt vmcnt(26)
	v_mul_f32_e32 v114, v57, v82
	s_waitcnt vmcnt(25) lgkmcnt(4)
	;; [unrolled: 4-line block ×4, first 2 shown]
	v_mul_f32_e32 v119, v67, v87
	s_waitcnt vmcnt(20)
	v_mul_f32_e32 v120, v69, v88
	s_waitcnt vmcnt(16)
	v_fma_f32 v47, v47, v92, -v77
	v_fmac_f32_e32 v109, v48, v92
	s_waitcnt vmcnt(15)
	v_fma_f32 v48, v49, v93, -v78
	v_add_f32_e32 v47, 0, v47
	s_waitcnt vmcnt(14)
	v_fma_f32 v49, v51, v94, -v79
	v_add_f32_e32 v47, v47, v48
	v_add_f32_e32 v47, v47, v49
	v_mul_f32_e32 v49, v54, v80
	s_waitcnt vmcnt(13)
	v_fma_f32 v49, v53, v95, -v49
	v_add_f32_e32 v47, v47, v49
	v_mul_f32_e32 v49, v56, v81
	s_waitcnt vmcnt(12)
	v_fma_f32 v49, v55, v96, -v49
	;; [unrolled: 4-line block ×5, first 2 shown]
	v_add_f32_e32 v47, v47, v49
	v_mul_f32_e32 v49, v64, v85
	v_fmac_f32_e32 v110, v50, v93
	v_add_f32_e32 v50, 0, v109
	s_waitcnt vmcnt(8)
	v_fma_f32 v49, v63, v100, -v49
	v_fmac_f32_e32 v111, v52, v94
	v_add_f32_e32 v50, v50, v110
	v_add_f32_e32 v47, v47, v49
	v_mul_f32_e32 v49, v66, v86
	v_fmac_f32_e32 v112, v54, v95
	v_add_f32_e32 v48, v50, v111
	s_waitcnt vmcnt(7)
	v_fma_f32 v49, v65, v101, -v49
	v_fmac_f32_e32 v113, v56, v96
	v_add_f32_e32 v48, v48, v112
	;; [unrolled: 8-line block ×4, first 2 shown]
	v_add_f32_e32 v47, v47, v49
	s_waitcnt lgkmcnt(1)
	v_mul_f32_e32 v49, v72, v89
	v_fmac_f32_e32 v118, v66, v101
	v_add_f32_e32 v48, v48, v117
	s_waitcnt vmcnt(4)
	v_fma_f32 v49, v71, v104, -v49
	v_fmac_f32_e32 v119, v68, v102
	v_add_f32_e32 v48, v48, v118
	v_add_f32_e32 v47, v47, v49
	v_mul_f32_e32 v49, v74, v90
	v_mul_f32_e32 v121, v71, v89
	v_fmac_f32_e32 v120, v70, v103
	v_add_f32_e32 v48, v48, v119
	s_waitcnt vmcnt(3)
	v_fma_f32 v49, v73, v105, -v49
	v_mul_f32_e32 v122, v73, v90
	v_fmac_f32_e32 v121, v72, v104
	v_add_f32_e32 v48, v48, v120
	v_add_f32_e32 v47, v47, v49
	s_waitcnt lgkmcnt(0)
	v_mul_f32_e32 v49, v76, v91
	v_mul_f32_e32 v123, v75, v91
	v_fmac_f32_e32 v122, v74, v105
	v_add_f32_e32 v48, v48, v121
	s_waitcnt vmcnt(2)
	v_fma_f32 v49, v75, v106, -v49
	v_fmac_f32_e32 v123, v76, v106
	v_add_f32_e32 v48, v48, v122
	v_add_f32_e32 v47, v47, v49
	;; [unrolled: 1-line block ×3, first 2 shown]
	s_waitcnt vmcnt(1)
	v_sub_f32_e32 v47, v107, v47
	s_waitcnt vmcnt(0)
	v_sub_f32_e32 v48, v108, v48
	buffer_store_dword v47, off, s[0:3], 0 offset:48
	buffer_store_dword v48, off, s[0:3], 0 offset:52
	s_and_saveexec_b64 s[4:5], vcc
	s_cbranch_execz .LBB85_135
; %bb.134:
	buffer_load_dword v47, off, s[0:3], 0 offset:40
	buffer_load_dword v48, off, s[0:3], 0 offset:44
	s_waitcnt vmcnt(0)
	ds_write_b64 v45, v[47:48]
	buffer_store_dword v46, off, s[0:3], 0 offset:40
	buffer_store_dword v46, off, s[0:3], 0 offset:44
.LBB85_135:
	s_or_b64 exec, exec, s[4:5]
	s_waitcnt lgkmcnt(0)
	; wave barrier
	ds_read_b128 v[47:50], v46 offset:224
	ds_read_b128 v[51:54], v46 offset:240
	;; [unrolled: 1-line block ×4, first 2 shown]
	buffer_load_dword v79, off, s[0:3], 0 offset:40
	buffer_load_dword v80, off, s[0:3], 0 offset:44
	;; [unrolled: 1-line block ×18, first 2 shown]
	v_cmp_lt_u32_e32 vcc, 4, v0
	s_waitcnt vmcnt(14) lgkmcnt(3)
	v_mul_f32_e32 v63, v47, v82
	v_fmac_f32_e32 v63, v48, v81
	s_waitcnt vmcnt(12)
	v_mul_f32_e32 v64, v49, v84
	v_add_f32_e32 v63, 0, v63
	v_fmac_f32_e32 v64, v50, v83
	v_add_f32_e32 v63, v63, v64
	s_waitcnt vmcnt(10) lgkmcnt(2)
	v_mul_f32_e32 v64, v51, v86
	v_fmac_f32_e32 v64, v52, v85
	v_add_f32_e32 v63, v63, v64
	s_waitcnt vmcnt(8)
	v_mul_f32_e32 v64, v53, v88
	v_fmac_f32_e32 v64, v54, v87
	v_add_f32_e32 v63, v63, v64
	s_waitcnt vmcnt(6) lgkmcnt(1)
	v_mul_f32_e32 v64, v55, v90
	v_fmac_f32_e32 v64, v56, v89
	v_add_f32_e32 v63, v63, v64
	s_waitcnt vmcnt(4)
	v_mul_f32_e32 v64, v57, v92
	;; [unrolled: 8-line block ×3, first 2 shown]
	v_fmac_f32_e32 v64, v62, v95
	v_add_f32_e32 v67, v63, v64
	ds_read_b128 v[63:66], v46 offset:288
	buffer_load_dword v97, off, s[0:3], 0 offset:112
	buffer_load_dword v98, off, s[0:3], 0 offset:116
	;; [unrolled: 1-line block ×4, first 2 shown]
	v_mul_f32_e32 v48, v48, v82
	v_fma_f32 v47, v47, v81, -v48
	v_mul_f32_e32 v48, v50, v84
	v_add_f32_e32 v47, 0, v47
	v_fma_f32 v48, v49, v83, -v48
	v_add_f32_e32 v47, v47, v48
	v_mul_f32_e32 v48, v52, v86
	v_fma_f32 v48, v51, v85, -v48
	v_add_f32_e32 v47, v47, v48
	v_mul_f32_e32 v48, v54, v88
	;; [unrolled: 3-line block ×6, first 2 shown]
	v_fma_f32 v48, v61, v95, -v48
	v_add_f32_e32 v47, v47, v48
	s_waitcnt vmcnt(2) lgkmcnt(0)
	v_mul_f32_e32 v68, v63, v98
	v_fmac_f32_e32 v68, v64, v97
	v_add_f32_e32 v67, v67, v68
	s_waitcnt vmcnt(0)
	v_mul_f32_e32 v68, v65, v100
	v_fmac_f32_e32 v68, v66, v99
	v_add_f32_e32 v71, v67, v68
	ds_read_b128 v[67:70], v46 offset:304
	buffer_load_dword v101, off, s[0:3], 0 offset:128
	buffer_load_dword v102, off, s[0:3], 0 offset:132
	;; [unrolled: 1-line block ×4, first 2 shown]
	v_mul_f32_e32 v48, v64, v98
	v_fma_f32 v48, v63, v97, -v48
	v_add_f32_e32 v47, v47, v48
	v_mul_f32_e32 v48, v66, v100
	v_fma_f32 v48, v65, v99, -v48
	v_add_f32_e32 v47, v47, v48
	s_waitcnt vmcnt(2) lgkmcnt(0)
	v_mul_f32_e32 v72, v67, v102
	v_fmac_f32_e32 v72, v68, v101
	v_add_f32_e32 v71, v71, v72
	s_waitcnt vmcnt(0)
	v_mul_f32_e32 v72, v69, v104
	v_fmac_f32_e32 v72, v70, v103
	v_add_f32_e32 v75, v71, v72
	ds_read_b128 v[71:74], v46 offset:320
	buffer_load_dword v105, off, s[0:3], 0 offset:144
	buffer_load_dword v106, off, s[0:3], 0 offset:148
	;; [unrolled: 1-line block ×4, first 2 shown]
	v_mul_f32_e32 v48, v68, v102
	v_fma_f32 v48, v67, v101, -v48
	v_add_f32_e32 v47, v47, v48
	v_mul_f32_e32 v48, v70, v104
	v_fma_f32 v48, v69, v103, -v48
	v_add_f32_e32 v47, v47, v48
	s_waitcnt vmcnt(2) lgkmcnt(0)
	v_mul_f32_e32 v76, v71, v106
	v_fmac_f32_e32 v76, v72, v105
	v_add_f32_e32 v75, v75, v76
	s_waitcnt vmcnt(0)
	v_mul_f32_e32 v76, v73, v108
	v_fmac_f32_e32 v76, v74, v107
	v_add_f32_e32 v109, v75, v76
	ds_read_b128 v[75:78], v46 offset:336
	buffer_load_dword v46, off, s[0:3], 0 offset:160
	buffer_load_dword v110, off, s[0:3], 0 offset:164
	v_mul_f32_e32 v48, v72, v106
	v_fma_f32 v48, v71, v105, -v48
	v_add_f32_e32 v47, v47, v48
	v_mul_f32_e32 v48, v74, v108
	v_fma_f32 v48, v73, v107, -v48
	v_add_f32_e32 v47, v47, v48
	s_waitcnt vmcnt(0) lgkmcnt(0)
	v_mul_f32_e32 v111, v75, v110
	v_fmac_f32_e32 v111, v76, v46
	v_add_f32_e32 v109, v109, v111
	buffer_load_dword v111, off, s[0:3], 0 offset:168
	buffer_load_dword v112, off, s[0:3], 0 offset:172
	v_mul_f32_e32 v48, v76, v110
	v_fma_f32 v46, v75, v46, -v48
	v_add_f32_e32 v46, v47, v46
	s_waitcnt vmcnt(0)
	v_mul_f32_e32 v47, v78, v112
	v_mul_f32_e32 v113, v77, v112
	v_fma_f32 v47, v77, v111, -v47
	v_fmac_f32_e32 v113, v78, v111
	v_add_f32_e32 v46, v46, v47
	v_add_f32_e32 v109, v109, v113
	v_sub_f32_e32 v46, v79, v46
	v_sub_f32_e32 v47, v80, v109
	buffer_store_dword v46, off, s[0:3], 0 offset:40
	buffer_store_dword v47, off, s[0:3], 0 offset:44
	s_and_saveexec_b64 s[4:5], vcc
	s_cbranch_execz .LBB85_137
; %bb.136:
	buffer_load_dword v46, off, s[0:3], 0 offset:32
	buffer_load_dword v47, off, s[0:3], 0 offset:36
	v_mov_b32_e32 v48, 0
	buffer_store_dword v48, off, s[0:3], 0 offset:32
	buffer_store_dword v48, off, s[0:3], 0 offset:36
	s_waitcnt vmcnt(2)
	ds_write_b64 v45, v[46:47]
.LBB85_137:
	s_or_b64 exec, exec, s[4:5]
	v_mov_b32_e32 v46, 0
	s_waitcnt lgkmcnt(0)
	; wave barrier
	ds_read2_b64 v[47:50], v46 offset0:27 offset1:28
	buffer_load_dword v81, off, s[0:3], 0 offset:32
	buffer_load_dword v82, off, s[0:3], 0 offset:36
	;; [unrolled: 1-line block ×16, first 2 shown]
	v_cmp_lt_u32_e32 vcc, 3, v0
	s_waitcnt vmcnt(12) lgkmcnt(0)
	v_mul_f32_e32 v51, v47, v84
	v_fmac_f32_e32 v51, v48, v83
	s_waitcnt vmcnt(10)
	v_mul_f32_e32 v52, v49, v86
	v_add_f32_e32 v51, 0, v51
	v_fmac_f32_e32 v52, v50, v85
	v_add_f32_e32 v55, v51, v52
	ds_read2_b64 v[51:54], v46 offset0:29 offset1:30
	v_mul_f32_e32 v48, v48, v84
	v_fma_f32 v47, v47, v83, -v48
	v_mul_f32_e32 v48, v50, v86
	v_add_f32_e32 v47, 0, v47
	s_waitcnt vmcnt(8) lgkmcnt(0)
	v_mul_f32_e32 v56, v51, v88
	v_fmac_f32_e32 v56, v52, v87
	v_add_f32_e32 v55, v55, v56
	s_waitcnt vmcnt(6)
	v_mul_f32_e32 v56, v53, v90
	v_fmac_f32_e32 v56, v54, v89
	v_add_f32_e32 v59, v55, v56
	ds_read2_b64 v[55:58], v46 offset0:31 offset1:32
	v_fma_f32 v48, v49, v85, -v48
	v_add_f32_e32 v47, v47, v48
	v_mul_f32_e32 v48, v52, v88
	v_fma_f32 v48, v51, v87, -v48
	s_waitcnt vmcnt(4) lgkmcnt(0)
	v_mul_f32_e32 v60, v55, v92
	v_fmac_f32_e32 v60, v56, v91
	v_add_f32_e32 v59, v59, v60
	s_waitcnt vmcnt(2)
	v_mul_f32_e32 v60, v57, v94
	v_fmac_f32_e32 v60, v58, v93
	v_add_f32_e32 v63, v59, v60
	ds_read2_b64 v[59:62], v46 offset0:33 offset1:34
	buffer_load_dword v97, off, s[0:3], 0 offset:96
	buffer_load_dword v98, off, s[0:3], 0 offset:100
	v_add_f32_e32 v47, v47, v48
	v_mul_f32_e32 v48, v54, v90
	v_fma_f32 v48, v53, v89, -v48
	s_waitcnt vmcnt(2) lgkmcnt(0)
	v_mul_f32_e32 v64, v59, v96
	v_fmac_f32_e32 v64, v60, v95
	v_add_f32_e32 v63, v63, v64
	v_add_f32_e32 v47, v47, v48
	v_mul_f32_e32 v48, v56, v92
	v_fma_f32 v48, v55, v91, -v48
	v_add_f32_e32 v47, v47, v48
	v_mul_f32_e32 v48, v58, v94
	v_fma_f32 v48, v57, v93, -v48
	v_add_f32_e32 v47, v47, v48
	v_mul_f32_e32 v48, v60, v96
	v_fma_f32 v48, v59, v95, -v48
	v_add_f32_e32 v47, v47, v48
	s_waitcnt vmcnt(0)
	v_mul_f32_e32 v64, v61, v98
	v_fmac_f32_e32 v64, v62, v97
	v_add_f32_e32 v67, v63, v64
	ds_read2_b64 v[63:66], v46 offset0:35 offset1:36
	buffer_load_dword v99, off, s[0:3], 0 offset:104
	buffer_load_dword v100, off, s[0:3], 0 offset:108
	;; [unrolled: 1-line block ×4, first 2 shown]
	v_mul_f32_e32 v48, v62, v98
	v_fma_f32 v48, v61, v97, -v48
	v_add_f32_e32 v47, v47, v48
	s_waitcnt vmcnt(2) lgkmcnt(0)
	v_mul_f32_e32 v68, v63, v100
	v_fmac_f32_e32 v68, v64, v99
	v_add_f32_e32 v67, v67, v68
	s_waitcnt vmcnt(0)
	v_mul_f32_e32 v68, v65, v102
	v_fmac_f32_e32 v68, v66, v101
	v_add_f32_e32 v71, v67, v68
	ds_read2_b64 v[67:70], v46 offset0:37 offset1:38
	buffer_load_dword v103, off, s[0:3], 0 offset:120
	buffer_load_dword v104, off, s[0:3], 0 offset:124
	buffer_load_dword v105, off, s[0:3], 0 offset:128
	buffer_load_dword v106, off, s[0:3], 0 offset:132
	v_mul_f32_e32 v48, v64, v100
	v_fma_f32 v48, v63, v99, -v48
	v_add_f32_e32 v47, v47, v48
	v_mul_f32_e32 v48, v66, v102
	v_fma_f32 v48, v65, v101, -v48
	v_add_f32_e32 v47, v47, v48
	s_waitcnt vmcnt(2) lgkmcnt(0)
	v_mul_f32_e32 v72, v67, v104
	v_fmac_f32_e32 v72, v68, v103
	v_add_f32_e32 v71, v71, v72
	s_waitcnt vmcnt(0)
	v_mul_f32_e32 v72, v69, v106
	v_fmac_f32_e32 v72, v70, v105
	v_add_f32_e32 v75, v71, v72
	ds_read2_b64 v[71:74], v46 offset0:39 offset1:40
	buffer_load_dword v107, off, s[0:3], 0 offset:136
	buffer_load_dword v108, off, s[0:3], 0 offset:140
	buffer_load_dword v109, off, s[0:3], 0 offset:144
	buffer_load_dword v110, off, s[0:3], 0 offset:148
	v_mul_f32_e32 v48, v68, v104
	v_fma_f32 v48, v67, v103, -v48
	v_add_f32_e32 v47, v47, v48
	v_mul_f32_e32 v48, v70, v106
	v_fma_f32 v48, v69, v105, -v48
	v_add_f32_e32 v47, v47, v48
	s_waitcnt vmcnt(2) lgkmcnt(0)
	v_mul_f32_e32 v76, v71, v108
	v_fmac_f32_e32 v76, v72, v107
	v_add_f32_e32 v75, v75, v76
	s_waitcnt vmcnt(0)
	v_mul_f32_e32 v76, v73, v110
	v_fmac_f32_e32 v76, v74, v109
	v_add_f32_e32 v79, v75, v76
	ds_read2_b64 v[75:78], v46 offset0:41 offset1:42
	buffer_load_dword v111, off, s[0:3], 0 offset:152
	buffer_load_dword v112, off, s[0:3], 0 offset:156
	buffer_load_dword v113, off, s[0:3], 0 offset:160
	buffer_load_dword v114, off, s[0:3], 0 offset:164
	v_mul_f32_e32 v48, v72, v108
	v_fma_f32 v48, v71, v107, -v48
	v_add_f32_e32 v47, v47, v48
	v_mul_f32_e32 v48, v74, v110
	v_fma_f32 v48, v73, v109, -v48
	v_add_f32_e32 v47, v47, v48
	s_waitcnt vmcnt(2) lgkmcnt(0)
	v_mul_f32_e32 v80, v75, v112
	v_fmac_f32_e32 v80, v76, v111
	v_add_f32_e32 v79, v79, v80
	s_waitcnt vmcnt(0)
	v_mul_f32_e32 v80, v77, v114
	v_fmac_f32_e32 v80, v78, v113
	v_add_f32_e32 v115, v79, v80
	ds_read_b64 v[79:80], v46 offset:344
	buffer_load_dword v116, off, s[0:3], 0 offset:168
	buffer_load_dword v117, off, s[0:3], 0 offset:172
	v_mul_f32_e32 v48, v76, v112
	v_fma_f32 v48, v75, v111, -v48
	v_add_f32_e32 v47, v47, v48
	v_mul_f32_e32 v48, v78, v114
	v_fma_f32 v48, v77, v113, -v48
	v_add_f32_e32 v47, v47, v48
	s_waitcnt vmcnt(0) lgkmcnt(0)
	v_mul_f32_e32 v48, v80, v117
	v_mul_f32_e32 v118, v79, v117
	v_fma_f32 v48, v79, v116, -v48
	v_fmac_f32_e32 v118, v80, v116
	v_add_f32_e32 v47, v47, v48
	v_add_f32_e32 v115, v115, v118
	v_sub_f32_e32 v47, v81, v47
	v_sub_f32_e32 v48, v82, v115
	buffer_store_dword v47, off, s[0:3], 0 offset:32
	buffer_store_dword v48, off, s[0:3], 0 offset:36
	s_and_saveexec_b64 s[4:5], vcc
	s_cbranch_execz .LBB85_139
; %bb.138:
	buffer_load_dword v47, off, s[0:3], 0 offset:24
	buffer_load_dword v48, off, s[0:3], 0 offset:28
	s_waitcnt vmcnt(0)
	ds_write_b64 v45, v[47:48]
	buffer_store_dword v46, off, s[0:3], 0 offset:24
	buffer_store_dword v46, off, s[0:3], 0 offset:28
.LBB85_139:
	s_or_b64 exec, exec, s[4:5]
	s_waitcnt lgkmcnt(0)
	; wave barrier
	ds_read_b128 v[47:50], v46 offset:208
	ds_read_b128 v[51:54], v46 offset:224
	;; [unrolled: 1-line block ×4, first 2 shown]
	buffer_load_dword v83, off, s[0:3], 0 offset:24
	buffer_load_dword v84, off, s[0:3], 0 offset:28
	;; [unrolled: 1-line block ×18, first 2 shown]
	v_cmp_lt_u32_e32 vcc, 2, v0
	s_waitcnt vmcnt(14) lgkmcnt(3)
	v_mul_f32_e32 v63, v47, v86
	v_fmac_f32_e32 v63, v48, v85
	s_waitcnt vmcnt(12)
	v_mul_f32_e32 v64, v49, v88
	v_add_f32_e32 v63, 0, v63
	v_fmac_f32_e32 v64, v50, v87
	v_add_f32_e32 v63, v63, v64
	s_waitcnt vmcnt(10) lgkmcnt(2)
	v_mul_f32_e32 v64, v51, v90
	v_fmac_f32_e32 v64, v52, v89
	v_add_f32_e32 v63, v63, v64
	s_waitcnt vmcnt(8)
	v_mul_f32_e32 v64, v53, v92
	v_fmac_f32_e32 v64, v54, v91
	v_add_f32_e32 v63, v63, v64
	s_waitcnt vmcnt(6) lgkmcnt(1)
	v_mul_f32_e32 v64, v55, v94
	v_fmac_f32_e32 v64, v56, v93
	v_add_f32_e32 v63, v63, v64
	s_waitcnt vmcnt(4)
	v_mul_f32_e32 v64, v57, v96
	v_fmac_f32_e32 v64, v58, v95
	v_add_f32_e32 v63, v63, v64
	s_waitcnt vmcnt(2) lgkmcnt(0)
	v_mul_f32_e32 v64, v59, v98
	v_fmac_f32_e32 v64, v60, v97
	v_add_f32_e32 v63, v63, v64
	s_waitcnt vmcnt(0)
	v_mul_f32_e32 v64, v61, v100
	v_fmac_f32_e32 v64, v62, v99
	v_add_f32_e32 v67, v63, v64
	ds_read_b128 v[63:66], v46 offset:272
	buffer_load_dword v101, off, s[0:3], 0 offset:96
	buffer_load_dword v102, off, s[0:3], 0 offset:100
	;; [unrolled: 1-line block ×4, first 2 shown]
	v_mul_f32_e32 v48, v48, v86
	v_fma_f32 v47, v47, v85, -v48
	v_mul_f32_e32 v48, v50, v88
	v_add_f32_e32 v47, 0, v47
	v_fma_f32 v48, v49, v87, -v48
	v_add_f32_e32 v47, v47, v48
	v_mul_f32_e32 v48, v52, v90
	v_fma_f32 v48, v51, v89, -v48
	v_add_f32_e32 v47, v47, v48
	v_mul_f32_e32 v48, v54, v92
	;; [unrolled: 3-line block ×6, first 2 shown]
	v_fma_f32 v48, v61, v99, -v48
	v_add_f32_e32 v47, v47, v48
	s_waitcnt vmcnt(2) lgkmcnt(0)
	v_mul_f32_e32 v68, v63, v102
	v_fmac_f32_e32 v68, v64, v101
	v_add_f32_e32 v67, v67, v68
	s_waitcnt vmcnt(0)
	v_mul_f32_e32 v68, v65, v104
	v_fmac_f32_e32 v68, v66, v103
	v_add_f32_e32 v71, v67, v68
	ds_read_b128 v[67:70], v46 offset:288
	buffer_load_dword v105, off, s[0:3], 0 offset:112
	buffer_load_dword v106, off, s[0:3], 0 offset:116
	buffer_load_dword v107, off, s[0:3], 0 offset:120
	buffer_load_dword v108, off, s[0:3], 0 offset:124
	v_mul_f32_e32 v48, v64, v102
	v_fma_f32 v48, v63, v101, -v48
	v_add_f32_e32 v47, v47, v48
	v_mul_f32_e32 v48, v66, v104
	v_fma_f32 v48, v65, v103, -v48
	v_add_f32_e32 v47, v47, v48
	s_waitcnt vmcnt(2) lgkmcnt(0)
	v_mul_f32_e32 v72, v67, v106
	v_fmac_f32_e32 v72, v68, v105
	v_add_f32_e32 v71, v71, v72
	s_waitcnt vmcnt(0)
	v_mul_f32_e32 v72, v69, v108
	v_fmac_f32_e32 v72, v70, v107
	v_add_f32_e32 v75, v71, v72
	ds_read_b128 v[71:74], v46 offset:304
	buffer_load_dword v109, off, s[0:3], 0 offset:128
	buffer_load_dword v110, off, s[0:3], 0 offset:132
	buffer_load_dword v111, off, s[0:3], 0 offset:136
	buffer_load_dword v112, off, s[0:3], 0 offset:140
	v_mul_f32_e32 v48, v68, v106
	v_fma_f32 v48, v67, v105, -v48
	v_add_f32_e32 v47, v47, v48
	v_mul_f32_e32 v48, v70, v108
	;; [unrolled: 19-line block ×3, first 2 shown]
	v_fma_f32 v48, v73, v111, -v48
	v_add_f32_e32 v47, v47, v48
	s_waitcnt vmcnt(2) lgkmcnt(0)
	v_mul_f32_e32 v80, v75, v114
	v_fmac_f32_e32 v80, v76, v113
	v_add_f32_e32 v79, v79, v80
	s_waitcnt vmcnt(0)
	v_mul_f32_e32 v80, v77, v116
	v_fmac_f32_e32 v80, v78, v115
	v_add_f32_e32 v117, v79, v80
	ds_read_b128 v[79:82], v46 offset:336
	buffer_load_dword v46, off, s[0:3], 0 offset:160
	buffer_load_dword v118, off, s[0:3], 0 offset:164
	v_mul_f32_e32 v48, v76, v114
	v_fma_f32 v48, v75, v113, -v48
	v_add_f32_e32 v47, v47, v48
	v_mul_f32_e32 v48, v78, v116
	v_fma_f32 v48, v77, v115, -v48
	v_add_f32_e32 v47, v47, v48
	s_waitcnt vmcnt(0) lgkmcnt(0)
	v_mul_f32_e32 v119, v79, v118
	v_fmac_f32_e32 v119, v80, v46
	v_add_f32_e32 v117, v117, v119
	buffer_load_dword v119, off, s[0:3], 0 offset:168
	buffer_load_dword v120, off, s[0:3], 0 offset:172
	v_mul_f32_e32 v48, v80, v118
	v_fma_f32 v46, v79, v46, -v48
	v_add_f32_e32 v46, v47, v46
	s_waitcnt vmcnt(0)
	v_mul_f32_e32 v47, v82, v120
	v_mul_f32_e32 v121, v81, v120
	v_fma_f32 v47, v81, v119, -v47
	v_fmac_f32_e32 v121, v82, v119
	v_add_f32_e32 v46, v46, v47
	v_add_f32_e32 v117, v117, v121
	v_sub_f32_e32 v46, v83, v46
	v_sub_f32_e32 v47, v84, v117
	buffer_store_dword v46, off, s[0:3], 0 offset:24
	buffer_store_dword v47, off, s[0:3], 0 offset:28
	s_and_saveexec_b64 s[4:5], vcc
	s_cbranch_execz .LBB85_141
; %bb.140:
	buffer_load_dword v46, off, s[0:3], 0 offset:16
	buffer_load_dword v47, off, s[0:3], 0 offset:20
	v_mov_b32_e32 v48, 0
	buffer_store_dword v48, off, s[0:3], 0 offset:16
	buffer_store_dword v48, off, s[0:3], 0 offset:20
	s_waitcnt vmcnt(2)
	ds_write_b64 v45, v[46:47]
.LBB85_141:
	s_or_b64 exec, exec, s[4:5]
	v_mov_b32_e32 v46, 0
	s_waitcnt lgkmcnt(0)
	; wave barrier
	ds_read2_b64 v[47:50], v46 offset0:25 offset1:26
	buffer_load_dword v85, off, s[0:3], 0 offset:16
	buffer_load_dword v86, off, s[0:3], 0 offset:20
	;; [unrolled: 1-line block ×16, first 2 shown]
	v_cmp_lt_u32_e32 vcc, 1, v0
	s_waitcnt vmcnt(12) lgkmcnt(0)
	v_mul_f32_e32 v51, v47, v88
	v_fmac_f32_e32 v51, v48, v87
	s_waitcnt vmcnt(10)
	v_mul_f32_e32 v52, v49, v90
	v_add_f32_e32 v51, 0, v51
	v_fmac_f32_e32 v52, v50, v89
	v_add_f32_e32 v55, v51, v52
	ds_read2_b64 v[51:54], v46 offset0:27 offset1:28
	v_mul_f32_e32 v48, v48, v88
	v_fma_f32 v47, v47, v87, -v48
	v_mul_f32_e32 v48, v50, v90
	v_add_f32_e32 v47, 0, v47
	s_waitcnt vmcnt(8) lgkmcnt(0)
	v_mul_f32_e32 v56, v51, v92
	v_fmac_f32_e32 v56, v52, v91
	v_add_f32_e32 v55, v55, v56
	s_waitcnt vmcnt(6)
	v_mul_f32_e32 v56, v53, v94
	v_fmac_f32_e32 v56, v54, v93
	v_add_f32_e32 v59, v55, v56
	ds_read2_b64 v[55:58], v46 offset0:29 offset1:30
	v_fma_f32 v48, v49, v89, -v48
	v_add_f32_e32 v47, v47, v48
	v_mul_f32_e32 v48, v52, v92
	v_fma_f32 v48, v51, v91, -v48
	s_waitcnt vmcnt(4) lgkmcnt(0)
	v_mul_f32_e32 v60, v55, v96
	v_fmac_f32_e32 v60, v56, v95
	v_add_f32_e32 v59, v59, v60
	s_waitcnt vmcnt(2)
	v_mul_f32_e32 v60, v57, v98
	v_fmac_f32_e32 v60, v58, v97
	v_add_f32_e32 v63, v59, v60
	ds_read2_b64 v[59:62], v46 offset0:31 offset1:32
	buffer_load_dword v101, off, s[0:3], 0 offset:80
	buffer_load_dword v102, off, s[0:3], 0 offset:84
	v_add_f32_e32 v47, v47, v48
	v_mul_f32_e32 v48, v54, v94
	v_fma_f32 v48, v53, v93, -v48
	s_waitcnt vmcnt(2) lgkmcnt(0)
	v_mul_f32_e32 v64, v59, v100
	v_fmac_f32_e32 v64, v60, v99
	v_add_f32_e32 v63, v63, v64
	v_add_f32_e32 v47, v47, v48
	v_mul_f32_e32 v48, v56, v96
	v_fma_f32 v48, v55, v95, -v48
	v_add_f32_e32 v47, v47, v48
	v_mul_f32_e32 v48, v58, v98
	v_fma_f32 v48, v57, v97, -v48
	;; [unrolled: 3-line block ×3, first 2 shown]
	v_add_f32_e32 v47, v47, v48
	s_waitcnt vmcnt(0)
	v_mul_f32_e32 v64, v61, v102
	v_fmac_f32_e32 v64, v62, v101
	v_add_f32_e32 v67, v63, v64
	ds_read2_b64 v[63:66], v46 offset0:33 offset1:34
	buffer_load_dword v103, off, s[0:3], 0 offset:88
	buffer_load_dword v104, off, s[0:3], 0 offset:92
	;; [unrolled: 1-line block ×4, first 2 shown]
	v_mul_f32_e32 v48, v62, v102
	v_fma_f32 v48, v61, v101, -v48
	v_add_f32_e32 v47, v47, v48
	s_waitcnt vmcnt(2) lgkmcnt(0)
	v_mul_f32_e32 v68, v63, v104
	v_fmac_f32_e32 v68, v64, v103
	v_add_f32_e32 v67, v67, v68
	s_waitcnt vmcnt(0)
	v_mul_f32_e32 v68, v65, v106
	v_fmac_f32_e32 v68, v66, v105
	v_add_f32_e32 v71, v67, v68
	ds_read2_b64 v[67:70], v46 offset0:35 offset1:36
	buffer_load_dword v107, off, s[0:3], 0 offset:104
	buffer_load_dword v108, off, s[0:3], 0 offset:108
	buffer_load_dword v109, off, s[0:3], 0 offset:112
	buffer_load_dword v110, off, s[0:3], 0 offset:116
	v_mul_f32_e32 v48, v64, v104
	v_fma_f32 v48, v63, v103, -v48
	v_add_f32_e32 v47, v47, v48
	v_mul_f32_e32 v48, v66, v106
	v_fma_f32 v48, v65, v105, -v48
	v_add_f32_e32 v47, v47, v48
	s_waitcnt vmcnt(2) lgkmcnt(0)
	v_mul_f32_e32 v72, v67, v108
	v_fmac_f32_e32 v72, v68, v107
	v_add_f32_e32 v71, v71, v72
	s_waitcnt vmcnt(0)
	v_mul_f32_e32 v72, v69, v110
	v_fmac_f32_e32 v72, v70, v109
	v_add_f32_e32 v75, v71, v72
	ds_read2_b64 v[71:74], v46 offset0:37 offset1:38
	buffer_load_dword v111, off, s[0:3], 0 offset:120
	buffer_load_dword v112, off, s[0:3], 0 offset:124
	buffer_load_dword v113, off, s[0:3], 0 offset:128
	buffer_load_dword v114, off, s[0:3], 0 offset:132
	v_mul_f32_e32 v48, v68, v108
	v_fma_f32 v48, v67, v107, -v48
	v_add_f32_e32 v47, v47, v48
	;; [unrolled: 19-line block ×4, first 2 shown]
	v_mul_f32_e32 v48, v78, v118
	v_fma_f32 v48, v77, v117, -v48
	v_add_f32_e32 v47, v47, v48
	s_waitcnt vmcnt(2) lgkmcnt(0)
	v_mul_f32_e32 v84, v79, v120
	v_fmac_f32_e32 v84, v80, v119
	v_add_f32_e32 v83, v83, v84
	s_waitcnt vmcnt(0)
	v_mul_f32_e32 v84, v81, v122
	v_fmac_f32_e32 v84, v82, v121
	v_add_f32_e32 v123, v83, v84
	ds_read_b64 v[83:84], v46 offset:344
	buffer_load_dword v124, off, s[0:3], 0 offset:168
	buffer_load_dword v125, off, s[0:3], 0 offset:172
	v_mul_f32_e32 v48, v80, v120
	v_fma_f32 v48, v79, v119, -v48
	v_add_f32_e32 v47, v47, v48
	v_mul_f32_e32 v48, v82, v122
	v_fma_f32 v48, v81, v121, -v48
	v_add_f32_e32 v47, v47, v48
	s_waitcnt vmcnt(0) lgkmcnt(0)
	v_mul_f32_e32 v48, v84, v125
	v_mul_f32_e32 v126, v83, v125
	v_fma_f32 v48, v83, v124, -v48
	v_fmac_f32_e32 v126, v84, v124
	v_add_f32_e32 v47, v47, v48
	v_add_f32_e32 v123, v123, v126
	v_sub_f32_e32 v47, v85, v47
	v_sub_f32_e32 v48, v86, v123
	buffer_store_dword v47, off, s[0:3], 0 offset:16
	buffer_store_dword v48, off, s[0:3], 0 offset:20
	s_and_saveexec_b64 s[4:5], vcc
	s_cbranch_execz .LBB85_143
; %bb.142:
	buffer_load_dword v47, off, s[0:3], 0 offset:8
	buffer_load_dword v48, off, s[0:3], 0 offset:12
	s_waitcnt vmcnt(0)
	ds_write_b64 v45, v[47:48]
	buffer_store_dword v46, off, s[0:3], 0 offset:8
	buffer_store_dword v46, off, s[0:3], 0 offset:12
.LBB85_143:
	s_or_b64 exec, exec, s[4:5]
	s_waitcnt lgkmcnt(0)
	; wave barrier
	buffer_load_dword v87, off, s[0:3], 0 offset:20
	buffer_load_dword v88, off, s[0:3], 0 offset:28
	;; [unrolled: 1-line block ×42, first 2 shown]
	ds_read_b128 v[47:50], v46 offset:192
	ds_read_b128 v[51:54], v46 offset:208
	;; [unrolled: 1-line block ×8, first 2 shown]
	v_cmp_ne_u32_e32 vcc, 0, v0
	s_waitcnt vmcnt(41) lgkmcnt(7)
	v_mul_f32_e32 v79, v47, v87
	s_waitcnt vmcnt(40)
	v_mul_f32_e32 v80, v49, v88
	s_waitcnt vmcnt(39) lgkmcnt(6)
	v_mul_f32_e32 v81, v51, v89
	s_waitcnt vmcnt(38)
	v_mul_f32_e32 v82, v53, v90
	;; [unrolled: 4-line block ×7, first 2 shown]
	s_waitcnt vmcnt(27) lgkmcnt(0)
	v_mul_f32_e32 v135, v75, v101
	s_waitcnt vmcnt(26)
	v_fmac_f32_e32 v79, v48, v102
	v_mul_f32_e32 v48, v48, v87
	v_fma_f32 v47, v47, v102, -v48
	v_mul_f32_e32 v48, v50, v88
	v_add_f32_e32 v47, 0, v47
	s_waitcnt vmcnt(25)
	v_fma_f32 v48, v49, v103, -v48
	v_add_f32_e32 v47, v47, v48
	v_mul_f32_e32 v48, v52, v89
	s_waitcnt vmcnt(24)
	v_fma_f32 v48, v51, v104, -v48
	v_add_f32_e32 v47, v47, v48
	v_mul_f32_e32 v48, v54, v90
	;; [unrolled: 4-line block ×5, first 2 shown]
	v_fmac_f32_e32 v80, v50, v103
	v_add_f32_e32 v79, 0, v79
	s_waitcnt vmcnt(20)
	v_fma_f32 v48, v59, v108, -v48
	v_fmac_f32_e32 v81, v52, v104
	v_add_f32_e32 v79, v79, v80
	v_add_f32_e32 v47, v47, v48
	v_mul_f32_e32 v48, v62, v94
	v_fmac_f32_e32 v82, v54, v105
	v_add_f32_e32 v79, v79, v81
	s_waitcnt vmcnt(19)
	v_fma_f32 v48, v61, v109, -v48
	v_fmac_f32_e32 v83, v56, v106
	v_add_f32_e32 v79, v79, v82
	v_add_f32_e32 v47, v47, v48
	v_mul_f32_e32 v48, v64, v95
	;; [unrolled: 8-line block ×5, first 2 shown]
	s_waitcnt vmcnt(15)
	v_fmac_f32_e32 v132, v70, v113
	v_add_f32_e32 v79, v79, v131
	v_fma_f32 v48, v69, v113, -v48
	s_waitcnt vmcnt(14)
	v_fmac_f32_e32 v133, v72, v114
	v_add_f32_e32 v79, v79, v132
	v_add_f32_e32 v47, v47, v48
	v_mul_f32_e32 v48, v72, v99
	s_waitcnt vmcnt(13)
	v_fmac_f32_e32 v134, v74, v115
	v_add_f32_e32 v79, v79, v133
	v_fma_f32 v48, v71, v114, -v48
	s_waitcnt vmcnt(12)
	v_fmac_f32_e32 v135, v76, v116
	v_add_f32_e32 v79, v79, v134
	v_add_f32_e32 v47, v47, v48
	v_mul_f32_e32 v48, v74, v100
	v_add_f32_e32 v83, v79, v135
	ds_read_b128 v[79:82], v46 offset:320
	v_fma_f32 v48, v73, v115, -v48
	v_add_f32_e32 v47, v47, v48
	v_mul_f32_e32 v48, v76, v101
	s_waitcnt vmcnt(11)
	v_mul_f32_e32 v84, v77, v117
	v_fma_f32 v48, v75, v116, -v48
	s_waitcnt vmcnt(10)
	v_fmac_f32_e32 v84, v78, v118
	v_add_f32_e32 v47, v47, v48
	v_mul_f32_e32 v48, v78, v117
	v_add_f32_e32 v129, v83, v84
	ds_read_b128 v[83:86], v46 offset:336
	v_fma_f32 v48, v77, v118, -v48
	v_add_f32_e32 v47, v47, v48
	s_waitcnt vmcnt(9) lgkmcnt(1)
	v_mul_f32_e32 v48, v80, v119
	v_mul_f32_e32 v46, v79, v119
	s_waitcnt vmcnt(8)
	v_fma_f32 v48, v79, v120, -v48
	v_fmac_f32_e32 v46, v80, v120
	v_add_f32_e32 v47, v47, v48
	s_waitcnt vmcnt(7)
	v_mul_f32_e32 v48, v82, v121
	v_add_f32_e32 v46, v129, v46
	v_mul_f32_e32 v129, v81, v121
	s_waitcnt vmcnt(6)
	v_fma_f32 v48, v81, v122, -v48
	v_fmac_f32_e32 v129, v82, v122
	v_add_f32_e32 v47, v47, v48
	s_waitcnt vmcnt(5) lgkmcnt(0)
	v_mul_f32_e32 v48, v84, v123
	v_add_f32_e32 v46, v46, v129
	v_mul_f32_e32 v129, v83, v123
	s_waitcnt vmcnt(4)
	v_fma_f32 v48, v83, v124, -v48
	v_fmac_f32_e32 v129, v84, v124
	v_add_f32_e32 v47, v47, v48
	s_waitcnt vmcnt(3)
	v_mul_f32_e32 v48, v86, v125
	v_add_f32_e32 v46, v46, v129
	v_mul_f32_e32 v129, v85, v125
	s_waitcnt vmcnt(2)
	v_fma_f32 v48, v85, v126, -v48
	v_fmac_f32_e32 v129, v86, v126
	v_add_f32_e32 v47, v47, v48
	v_add_f32_e32 v46, v46, v129
	s_waitcnt vmcnt(1)
	v_sub_f32_e32 v47, v127, v47
	s_waitcnt vmcnt(0)
	v_sub_f32_e32 v46, v128, v46
	buffer_store_dword v47, off, s[0:3], 0 offset:8
	buffer_store_dword v46, off, s[0:3], 0 offset:12
	s_and_saveexec_b64 s[4:5], vcc
	s_cbranch_execz .LBB85_145
; %bb.144:
	buffer_load_dword v46, off, s[0:3], 0
	buffer_load_dword v47, off, s[0:3], 0 offset:4
	v_mov_b32_e32 v0, 0
	buffer_store_dword v0, off, s[0:3], 0
	buffer_store_dword v0, off, s[0:3], 0 offset:4
	s_waitcnt vmcnt(2)
	ds_write_b64 v45, v[46:47]
.LBB85_145:
	s_or_b64 exec, exec, s[4:5]
	s_waitcnt lgkmcnt(0)
	; wave barrier
	buffer_load_dword v87, off, s[0:3], 0 offset:12
	buffer_load_dword v88, off, s[0:3], 0 offset:20
	;; [unrolled: 1-line block ×42, first 2 shown]
	buffer_load_dword v129, off, s[0:3], 0
	buffer_load_dword v130, off, s[0:3], 0 offset:4
	v_mov_b32_e32 v0, 0
	ds_read2_b64 v[45:48], v0 offset0:23 offset1:24
	ds_read2_b64 v[49:52], v0 offset0:25 offset1:26
	;; [unrolled: 1-line block ×8, first 2 shown]
	s_and_b64 vcc, exec, s[14:15]
	s_waitcnt vmcnt(43) lgkmcnt(7)
	v_mul_f32_e32 v77, v45, v87
	s_waitcnt vmcnt(42)
	v_mul_f32_e32 v78, v47, v88
	s_waitcnt vmcnt(41) lgkmcnt(6)
	v_mul_f32_e32 v79, v49, v89
	s_waitcnt vmcnt(40)
	v_mul_f32_e32 v80, v51, v90
	;; [unrolled: 4-line block ×7, first 2 shown]
	s_waitcnt vmcnt(29)
	v_fmac_f32_e32 v77, v46, v101
	v_mul_f32_e32 v46, v46, v87
	v_fma_f32 v45, v45, v101, -v46
	v_mul_f32_e32 v46, v48, v88
	v_add_f32_e32 v45, 0, v45
	s_waitcnt vmcnt(28)
	v_fma_f32 v46, v47, v102, -v46
	v_add_f32_e32 v45, v45, v46
	v_mul_f32_e32 v46, v50, v89
	s_waitcnt vmcnt(27)
	v_fma_f32 v46, v49, v103, -v46
	v_add_f32_e32 v45, v45, v46
	v_mul_f32_e32 v46, v52, v90
	;; [unrolled: 4-line block ×4, first 2 shown]
	s_waitcnt vmcnt(24)
	v_fma_f32 v46, v55, v106, -v46
	v_fmac_f32_e32 v78, v48, v102
	v_add_f32_e32 v77, 0, v77
	v_add_f32_e32 v45, v45, v46
	v_mul_f32_e32 v46, v58, v93
	v_fmac_f32_e32 v79, v50, v103
	v_add_f32_e32 v77, v77, v78
	s_waitcnt vmcnt(23)
	v_fma_f32 v46, v57, v107, -v46
	v_fmac_f32_e32 v80, v52, v104
	v_add_f32_e32 v77, v77, v79
	v_add_f32_e32 v45, v45, v46
	v_mul_f32_e32 v46, v60, v94
	v_fmac_f32_e32 v81, v54, v105
	v_add_f32_e32 v77, v77, v80
	;; [unrolled: 8-line block ×4, first 2 shown]
	s_waitcnt vmcnt(20)
	v_fma_f32 v46, v63, v110, -v46
	v_fmac_f32_e32 v86, v64, v110
	v_add_f32_e32 v77, v77, v85
	v_add_f32_e32 v45, v45, v46
	v_mul_f32_e32 v46, v66, v97
	s_waitcnt vmcnt(19)
	v_fmac_f32_e32 v131, v66, v111
	v_add_f32_e32 v77, v77, v86
	v_fma_f32 v46, v65, v111, -v46
	s_waitcnt vmcnt(18)
	v_fmac_f32_e32 v132, v68, v112
	v_add_f32_e32 v77, v77, v131
	v_add_f32_e32 v45, v45, v46
	v_mul_f32_e32 v46, v68, v98
	s_waitcnt vmcnt(17)
	v_fmac_f32_e32 v133, v70, v113
	v_add_f32_e32 v77, v77, v132
	v_fma_f32 v46, v67, v112, -v46
	v_add_f32_e32 v77, v77, v133
	s_waitcnt vmcnt(16)
	v_fmac_f32_e32 v134, v72, v114
	s_waitcnt vmcnt(15) lgkmcnt(0)
	v_mul_f32_e32 v78, v73, v115
	v_add_f32_e32 v45, v45, v46
	v_mul_f32_e32 v46, v70, v99
	v_add_f32_e32 v77, v77, v134
	s_waitcnt vmcnt(14)
	v_fmac_f32_e32 v78, v74, v116
	v_fma_f32 v46, v69, v113, -v46
	v_add_f32_e32 v81, v77, v78
	ds_read2_b64 v[77:80], v0 offset0:39 offset1:40
	v_add_f32_e32 v45, v45, v46
	v_mul_f32_e32 v46, v72, v100
	v_fma_f32 v46, v71, v114, -v46
	v_add_f32_e32 v45, v45, v46
	v_mul_f32_e32 v46, v74, v115
	s_waitcnt vmcnt(13)
	v_mul_f32_e32 v82, v75, v117
	v_fma_f32 v46, v73, v116, -v46
	s_waitcnt vmcnt(12)
	v_fmac_f32_e32 v82, v76, v118
	v_add_f32_e32 v45, v45, v46
	v_mul_f32_e32 v46, v76, v117
	v_add_f32_e32 v85, v81, v82
	ds_read2_b64 v[81:84], v0 offset0:41 offset1:42
	s_waitcnt vmcnt(11) lgkmcnt(1)
	v_mul_f32_e32 v86, v77, v119
	v_fma_f32 v46, v75, v118, -v46
	s_waitcnt vmcnt(10)
	v_fmac_f32_e32 v86, v78, v120
	v_add_f32_e32 v45, v45, v46
	v_mul_f32_e32 v46, v78, v119
	v_add_f32_e32 v85, v85, v86
	s_waitcnt vmcnt(9)
	v_mul_f32_e32 v86, v79, v121
	v_fma_f32 v46, v77, v120, -v46
	s_waitcnt vmcnt(8)
	v_fmac_f32_e32 v86, v80, v122
	v_add_f32_e32 v45, v45, v46
	v_mul_f32_e32 v46, v80, v121
	v_add_f32_e32 v131, v85, v86
	ds_read_b64 v[85:86], v0 offset:344
	v_fma_f32 v46, v79, v122, -v46
	v_add_f32_e32 v45, v45, v46
	s_waitcnt vmcnt(7) lgkmcnt(1)
	v_mul_f32_e32 v46, v82, v123
	v_mul_f32_e32 v132, v81, v123
	s_waitcnt vmcnt(6)
	v_fma_f32 v46, v81, v124, -v46
	v_fmac_f32_e32 v132, v82, v124
	v_add_f32_e32 v45, v45, v46
	s_waitcnt vmcnt(5)
	v_mul_f32_e32 v46, v84, v125
	v_add_f32_e32 v131, v131, v132
	v_mul_f32_e32 v132, v83, v125
	s_waitcnt vmcnt(4)
	v_fma_f32 v46, v83, v126, -v46
	v_fmac_f32_e32 v132, v84, v126
	v_add_f32_e32 v45, v45, v46
	s_waitcnt vmcnt(3) lgkmcnt(0)
	v_mul_f32_e32 v46, v86, v127
	v_add_f32_e32 v131, v131, v132
	v_mul_f32_e32 v132, v85, v127
	s_waitcnt vmcnt(2)
	v_fma_f32 v46, v85, v128, -v46
	v_fmac_f32_e32 v132, v86, v128
	v_add_f32_e32 v45, v45, v46
	v_add_f32_e32 v131, v131, v132
	s_waitcnt vmcnt(1)
	v_sub_f32_e32 v45, v129, v45
	s_waitcnt vmcnt(0)
	v_sub_f32_e32 v46, v130, v131
	buffer_store_dword v45, off, s[0:3], 0
	buffer_store_dword v46, off, s[0:3], 0 offset:4
	s_cbranch_vccz .LBB85_188
; %bb.146:
	global_load_dword v0, v0, s[12:13] offset:80
	s_waitcnt vmcnt(0)
	v_add_u32_e32 v0, -1, v0
	v_cmp_ne_u32_e32 vcc, 20, v0
	s_cbranch_vccz .LBB85_148
; %bb.147:
	v_lshlrev_b32_e32 v0, 3, v0
	buffer_load_dword v45, v0, s[0:3], 0 offen
	buffer_load_dword v46, v0, s[0:3], 0 offen offset:4
	buffer_load_dword v47, off, s[0:3], 0 offset:164
	buffer_load_dword v48, off, s[0:3], 0 offset:160
	s_waitcnt vmcnt(3)
	buffer_store_dword v45, off, s[0:3], 0 offset:160
	s_waitcnt vmcnt(3)
	buffer_store_dword v46, off, s[0:3], 0 offset:164
	s_waitcnt vmcnt(3)
	buffer_store_dword v47, v0, s[0:3], 0 offen offset:4
	s_waitcnt vmcnt(3)
	buffer_store_dword v48, v0, s[0:3], 0 offen
.LBB85_148:
	v_mov_b32_e32 v0, 0
	global_load_dword v45, v0, s[12:13] offset:76
	s_waitcnt vmcnt(0)
	v_add_u32_e32 v45, -1, v45
	v_cmp_eq_u32_e32 vcc, 19, v45
	s_cbranch_vccnz .LBB85_150
; %bb.149:
	v_lshlrev_b32_e32 v45, 3, v45
	buffer_load_dword v46, v45, s[0:3], 0 offen
	buffer_load_dword v47, v45, s[0:3], 0 offen offset:4
	buffer_load_dword v48, off, s[0:3], 0 offset:152
	buffer_load_dword v49, off, s[0:3], 0 offset:156
	s_waitcnt vmcnt(3)
	buffer_store_dword v46, off, s[0:3], 0 offset:152
	s_waitcnt vmcnt(3)
	buffer_store_dword v47, off, s[0:3], 0 offset:156
	s_waitcnt vmcnt(3)
	buffer_store_dword v48, v45, s[0:3], 0 offen
	s_waitcnt vmcnt(3)
	buffer_store_dword v49, v45, s[0:3], 0 offen offset:4
.LBB85_150:
	global_load_dword v0, v0, s[12:13] offset:72
	s_waitcnt vmcnt(0)
	v_add_u32_e32 v0, -1, v0
	v_cmp_eq_u32_e32 vcc, 18, v0
	s_cbranch_vccnz .LBB85_152
; %bb.151:
	v_lshlrev_b32_e32 v0, 3, v0
	buffer_load_dword v45, v0, s[0:3], 0 offen
	buffer_load_dword v46, v0, s[0:3], 0 offen offset:4
	buffer_load_dword v47, off, s[0:3], 0 offset:148
	buffer_load_dword v48, off, s[0:3], 0 offset:144
	s_waitcnt vmcnt(3)
	buffer_store_dword v45, off, s[0:3], 0 offset:144
	s_waitcnt vmcnt(3)
	buffer_store_dword v46, off, s[0:3], 0 offset:148
	s_waitcnt vmcnt(3)
	buffer_store_dword v47, v0, s[0:3], 0 offen offset:4
	s_waitcnt vmcnt(3)
	buffer_store_dword v48, v0, s[0:3], 0 offen
.LBB85_152:
	v_mov_b32_e32 v0, 0
	global_load_dword v45, v0, s[12:13] offset:68
	s_waitcnt vmcnt(0)
	v_add_u32_e32 v45, -1, v45
	v_cmp_eq_u32_e32 vcc, 17, v45
	s_cbranch_vccnz .LBB85_154
; %bb.153:
	v_lshlrev_b32_e32 v45, 3, v45
	buffer_load_dword v46, v45, s[0:3], 0 offen
	buffer_load_dword v47, v45, s[0:3], 0 offen offset:4
	buffer_load_dword v48, off, s[0:3], 0 offset:136
	buffer_load_dword v49, off, s[0:3], 0 offset:140
	s_waitcnt vmcnt(3)
	buffer_store_dword v46, off, s[0:3], 0 offset:136
	s_waitcnt vmcnt(3)
	buffer_store_dword v47, off, s[0:3], 0 offset:140
	s_waitcnt vmcnt(3)
	buffer_store_dword v48, v45, s[0:3], 0 offen
	s_waitcnt vmcnt(3)
	buffer_store_dword v49, v45, s[0:3], 0 offen offset:4
.LBB85_154:
	global_load_dword v0, v0, s[12:13] offset:64
	s_waitcnt vmcnt(0)
	v_add_u32_e32 v0, -1, v0
	v_cmp_eq_u32_e32 vcc, 16, v0
	s_cbranch_vccnz .LBB85_156
; %bb.155:
	v_lshlrev_b32_e32 v0, 3, v0
	buffer_load_dword v45, v0, s[0:3], 0 offen
	buffer_load_dword v46, v0, s[0:3], 0 offen offset:4
	buffer_load_dword v47, off, s[0:3], 0 offset:132
	buffer_load_dword v48, off, s[0:3], 0 offset:128
	s_waitcnt vmcnt(3)
	buffer_store_dword v45, off, s[0:3], 0 offset:128
	s_waitcnt vmcnt(3)
	buffer_store_dword v46, off, s[0:3], 0 offset:132
	s_waitcnt vmcnt(3)
	buffer_store_dword v47, v0, s[0:3], 0 offen offset:4
	s_waitcnt vmcnt(3)
	buffer_store_dword v48, v0, s[0:3], 0 offen
.LBB85_156:
	;; [unrolled: 41-line block ×9, first 2 shown]
	v_mov_b32_e32 v0, 0
	global_load_dword v45, v0, s[12:13] offset:4
	s_waitcnt vmcnt(0)
	v_add_u32_e32 v45, -1, v45
	v_cmp_eq_u32_e32 vcc, 1, v45
	s_cbranch_vccnz .LBB85_186
; %bb.185:
	v_lshlrev_b32_e32 v45, 3, v45
	buffer_load_dword v46, v45, s[0:3], 0 offen
	buffer_load_dword v47, v45, s[0:3], 0 offen offset:4
	buffer_load_dword v48, off, s[0:3], 0 offset:8
	buffer_load_dword v49, off, s[0:3], 0 offset:12
	s_waitcnt vmcnt(3)
	buffer_store_dword v46, off, s[0:3], 0 offset:8
	s_waitcnt vmcnt(3)
	buffer_store_dword v47, off, s[0:3], 0 offset:12
	s_waitcnt vmcnt(3)
	buffer_store_dword v48, v45, s[0:3], 0 offen
	s_waitcnt vmcnt(3)
	buffer_store_dword v49, v45, s[0:3], 0 offen offset:4
.LBB85_186:
	global_load_dword v0, v0, s[12:13]
	s_waitcnt vmcnt(0)
	v_add_u32_e32 v0, -1, v0
	v_cmp_eq_u32_e32 vcc, 0, v0
	s_cbranch_vccnz .LBB85_188
; %bb.187:
	v_lshlrev_b32_e32 v0, 3, v0
	buffer_load_dword v45, v0, s[0:3], 0 offen
	buffer_load_dword v46, v0, s[0:3], 0 offen offset:4
	buffer_load_dword v47, off, s[0:3], 0 offset:4
	buffer_load_dword v48, off, s[0:3], 0
	s_waitcnt vmcnt(3)
	buffer_store_dword v45, off, s[0:3], 0
	s_waitcnt vmcnt(3)
	buffer_store_dword v46, off, s[0:3], 0 offset:4
	s_waitcnt vmcnt(3)
	buffer_store_dword v47, v0, s[0:3], 0 offen offset:4
	s_waitcnt vmcnt(3)
	buffer_store_dword v48, v0, s[0:3], 0 offen
.LBB85_188:
	buffer_load_dword v45, off, s[0:3], 0
	buffer_load_dword v46, off, s[0:3], 0 offset:4
	s_waitcnt vmcnt(0)
	flat_store_dwordx2 v[1:2], v[45:46]
	buffer_load_dword v0, off, s[0:3], 0 offset:8
	s_nop 0
	buffer_load_dword v1, off, s[0:3], 0 offset:12
	s_waitcnt vmcnt(0)
	flat_store_dwordx2 v[3:4], v[0:1]
	buffer_load_dword v0, off, s[0:3], 0 offset:16
	s_nop 0
	;; [unrolled: 5-line block ×21, first 2 shown]
	buffer_load_dword v1, off, s[0:3], 0 offset:172
	s_waitcnt vmcnt(0)
	flat_store_dwordx2 v[43:44], v[0:1]
	s_endpgm
	.section	.rodata,"a",@progbits
	.p2align	6, 0x0
	.amdhsa_kernel _ZN9rocsolver6v33100L18getri_kernel_smallILi22E19rocblas_complex_numIfEPKPS3_EEvT1_iilPiilS8_bb
		.amdhsa_group_segment_fixed_size 356
		.amdhsa_private_segment_fixed_size 192
		.amdhsa_kernarg_size 60
		.amdhsa_user_sgpr_count 6
		.amdhsa_user_sgpr_private_segment_buffer 1
		.amdhsa_user_sgpr_dispatch_ptr 0
		.amdhsa_user_sgpr_queue_ptr 0
		.amdhsa_user_sgpr_kernarg_segment_ptr 1
		.amdhsa_user_sgpr_dispatch_id 0
		.amdhsa_user_sgpr_flat_scratch_init 0
		.amdhsa_user_sgpr_private_segment_size 0
		.amdhsa_uses_dynamic_stack 0
		.amdhsa_system_sgpr_private_segment_wavefront_offset 1
		.amdhsa_system_sgpr_workgroup_id_x 1
		.amdhsa_system_sgpr_workgroup_id_y 0
		.amdhsa_system_sgpr_workgroup_id_z 0
		.amdhsa_system_sgpr_workgroup_info 0
		.amdhsa_system_vgpr_workitem_id 0
		.amdhsa_next_free_vgpr 136
		.amdhsa_next_free_sgpr 21
		.amdhsa_reserve_vcc 1
		.amdhsa_reserve_flat_scratch 0
		.amdhsa_float_round_mode_32 0
		.amdhsa_float_round_mode_16_64 0
		.amdhsa_float_denorm_mode_32 3
		.amdhsa_float_denorm_mode_16_64 3
		.amdhsa_dx10_clamp 1
		.amdhsa_ieee_mode 1
		.amdhsa_fp16_overflow 0
		.amdhsa_exception_fp_ieee_invalid_op 0
		.amdhsa_exception_fp_denorm_src 0
		.amdhsa_exception_fp_ieee_div_zero 0
		.amdhsa_exception_fp_ieee_overflow 0
		.amdhsa_exception_fp_ieee_underflow 0
		.amdhsa_exception_fp_ieee_inexact 0
		.amdhsa_exception_int_div_zero 0
	.end_amdhsa_kernel
	.section	.text._ZN9rocsolver6v33100L18getri_kernel_smallILi22E19rocblas_complex_numIfEPKPS3_EEvT1_iilPiilS8_bb,"axG",@progbits,_ZN9rocsolver6v33100L18getri_kernel_smallILi22E19rocblas_complex_numIfEPKPS3_EEvT1_iilPiilS8_bb,comdat
.Lfunc_end85:
	.size	_ZN9rocsolver6v33100L18getri_kernel_smallILi22E19rocblas_complex_numIfEPKPS3_EEvT1_iilPiilS8_bb, .Lfunc_end85-_ZN9rocsolver6v33100L18getri_kernel_smallILi22E19rocblas_complex_numIfEPKPS3_EEvT1_iilPiilS8_bb
                                        ; -- End function
	.set _ZN9rocsolver6v33100L18getri_kernel_smallILi22E19rocblas_complex_numIfEPKPS3_EEvT1_iilPiilS8_bb.num_vgpr, 136
	.set _ZN9rocsolver6v33100L18getri_kernel_smallILi22E19rocblas_complex_numIfEPKPS3_EEvT1_iilPiilS8_bb.num_agpr, 0
	.set _ZN9rocsolver6v33100L18getri_kernel_smallILi22E19rocblas_complex_numIfEPKPS3_EEvT1_iilPiilS8_bb.numbered_sgpr, 21
	.set _ZN9rocsolver6v33100L18getri_kernel_smallILi22E19rocblas_complex_numIfEPKPS3_EEvT1_iilPiilS8_bb.num_named_barrier, 0
	.set _ZN9rocsolver6v33100L18getri_kernel_smallILi22E19rocblas_complex_numIfEPKPS3_EEvT1_iilPiilS8_bb.private_seg_size, 192
	.set _ZN9rocsolver6v33100L18getri_kernel_smallILi22E19rocblas_complex_numIfEPKPS3_EEvT1_iilPiilS8_bb.uses_vcc, 1
	.set _ZN9rocsolver6v33100L18getri_kernel_smallILi22E19rocblas_complex_numIfEPKPS3_EEvT1_iilPiilS8_bb.uses_flat_scratch, 0
	.set _ZN9rocsolver6v33100L18getri_kernel_smallILi22E19rocblas_complex_numIfEPKPS3_EEvT1_iilPiilS8_bb.has_dyn_sized_stack, 0
	.set _ZN9rocsolver6v33100L18getri_kernel_smallILi22E19rocblas_complex_numIfEPKPS3_EEvT1_iilPiilS8_bb.has_recursion, 0
	.set _ZN9rocsolver6v33100L18getri_kernel_smallILi22E19rocblas_complex_numIfEPKPS3_EEvT1_iilPiilS8_bb.has_indirect_call, 0
	.section	.AMDGPU.csdata,"",@progbits
; Kernel info:
; codeLenInByte = 24688
; TotalNumSgprs: 25
; NumVgprs: 136
; ScratchSize: 192
; MemoryBound: 0
; FloatMode: 240
; IeeeMode: 1
; LDSByteSize: 356 bytes/workgroup (compile time only)
; SGPRBlocks: 3
; VGPRBlocks: 33
; NumSGPRsForWavesPerEU: 25
; NumVGPRsForWavesPerEU: 136
; Occupancy: 1
; WaveLimiterHint : 1
; COMPUTE_PGM_RSRC2:SCRATCH_EN: 1
; COMPUTE_PGM_RSRC2:USER_SGPR: 6
; COMPUTE_PGM_RSRC2:TRAP_HANDLER: 0
; COMPUTE_PGM_RSRC2:TGID_X_EN: 1
; COMPUTE_PGM_RSRC2:TGID_Y_EN: 0
; COMPUTE_PGM_RSRC2:TGID_Z_EN: 0
; COMPUTE_PGM_RSRC2:TIDIG_COMP_CNT: 0
	.section	.text._ZN9rocsolver6v33100L18getri_kernel_smallILi23E19rocblas_complex_numIfEPKPS3_EEvT1_iilPiilS8_bb,"axG",@progbits,_ZN9rocsolver6v33100L18getri_kernel_smallILi23E19rocblas_complex_numIfEPKPS3_EEvT1_iilPiilS8_bb,comdat
	.globl	_ZN9rocsolver6v33100L18getri_kernel_smallILi23E19rocblas_complex_numIfEPKPS3_EEvT1_iilPiilS8_bb ; -- Begin function _ZN9rocsolver6v33100L18getri_kernel_smallILi23E19rocblas_complex_numIfEPKPS3_EEvT1_iilPiilS8_bb
	.p2align	8
	.type	_ZN9rocsolver6v33100L18getri_kernel_smallILi23E19rocblas_complex_numIfEPKPS3_EEvT1_iilPiilS8_bb,@function
_ZN9rocsolver6v33100L18getri_kernel_smallILi23E19rocblas_complex_numIfEPKPS3_EEvT1_iilPiilS8_bb: ; @_ZN9rocsolver6v33100L18getri_kernel_smallILi23E19rocblas_complex_numIfEPKPS3_EEvT1_iilPiilS8_bb
; %bb.0:
	s_add_u32 s0, s0, s7
	s_addc_u32 s1, s1, 0
	v_cmp_gt_u32_e32 vcc, 23, v0
	s_and_saveexec_b64 s[8:9], vcc
	s_cbranch_execz .LBB86_106
; %bb.1:
	s_load_dword s18, s[4:5], 0x38
	s_load_dwordx2 s[12:13], s[4:5], 0x0
	s_load_dwordx4 s[8:11], s[4:5], 0x28
	s_waitcnt lgkmcnt(0)
	s_bitcmp1_b32 s18, 8
	s_cselect_b64 s[14:15], -1, 0
	s_ashr_i32 s7, s6, 31
	s_lshl_b64 s[16:17], s[6:7], 3
	s_add_u32 s12, s12, s16
	s_addc_u32 s13, s13, s17
	s_load_dwordx2 s[16:17], s[12:13], 0x0
	s_bfe_u32 s12, s18, 0x10008
	s_cmp_eq_u32 s12, 0
                                        ; implicit-def: $sgpr12_sgpr13
	s_cbranch_scc1 .LBB86_3
; %bb.2:
	s_load_dword s12, s[4:5], 0x20
	s_load_dwordx2 s[18:19], s[4:5], 0x18
	s_mul_i32 s13, s8, s7
	s_mul_hi_u32 s20, s8, s6
	s_add_i32 s20, s20, s13
	s_mul_i32 s9, s9, s6
	s_add_i32 s9, s20, s9
	s_mul_i32 s8, s8, s6
	s_waitcnt lgkmcnt(0)
	s_ashr_i32 s13, s12, 31
	s_lshl_b64 s[8:9], s[8:9], 2
	s_add_u32 s18, s18, s8
	s_addc_u32 s19, s19, s9
	s_lshl_b64 s[8:9], s[12:13], 2
	s_add_u32 s12, s18, s8
	s_addc_u32 s13, s19, s9
.LBB86_3:
	s_load_dwordx2 s[8:9], s[4:5], 0x8
	s_load_dword s18, s[4:5], 0x38
	v_lshlrev_b32_e32 v49, 3, v0
	s_waitcnt lgkmcnt(0)
	s_ashr_i32 s5, s8, 31
	s_mov_b32 s4, s8
	s_lshl_b64 s[4:5], s[4:5], 3
	s_add_u32 s4, s16, s4
	s_addc_u32 s5, s17, s5
	v_mov_b32_e32 v2, s5
	v_add_co_u32_e32 v1, vcc, s4, v49
	v_addc_co_u32_e32 v2, vcc, 0, v2, vcc
	flat_load_dwordx2 v[5:6], v[1:2]
	s_mov_b32 s16, s9
	s_ashr_i32 s17, s9, 31
	s_lshl_b64 s[16:17], s[16:17], 3
	v_mov_b32_e32 v4, s17
	v_add_co_u32_e32 v3, vcc, s16, v1
	v_addc_co_u32_e32 v4, vcc, v2, v4, vcc
	s_add_i32 s8, s9, s9
	v_add_u32_e32 v9, s8, v0
	v_ashrrev_i32_e32 v10, 31, v9
	v_mov_b32_e32 v11, s5
	v_add_u32_e32 v12, s9, v9
	v_ashrrev_i32_e32 v13, 31, v12
	v_mov_b32_e32 v14, s5
	v_mov_b32_e32 v15, s5
	;; [unrolled: 1-line block ×19, first 2 shown]
	s_bitcmp0_b32 s18, 0
	s_waitcnt vmcnt(0) lgkmcnt(0)
	buffer_store_dword v6, off, s[0:3], 0 offset:4
	buffer_store_dword v5, off, s[0:3], 0
	flat_load_dwordx2 v[7:8], v[3:4]
	v_lshlrev_b64 v[5:6], 3, v[9:10]
	s_waitcnt vmcnt(0) lgkmcnt(0)
	buffer_store_dword v8, off, s[0:3], 0 offset:12
	buffer_store_dword v7, off, s[0:3], 0 offset:8
	v_add_co_u32_e32 v5, vcc, s4, v5
	v_addc_co_u32_e32 v6, vcc, v11, v6, vcc
	flat_load_dwordx2 v[10:11], v[5:6]
	v_lshlrev_b64 v[7:8], 3, v[12:13]
	s_waitcnt vmcnt(0) lgkmcnt(0)
	buffer_store_dword v11, off, s[0:3], 0 offset:20
	buffer_store_dword v10, off, s[0:3], 0 offset:16
	v_add_co_u32_e32 v7, vcc, s4, v7
	v_addc_co_u32_e32 v8, vcc, v14, v8, vcc
	flat_load_dwordx2 v[13:14], v[7:8]
	v_add_u32_e32 v11, s9, v12
	v_ashrrev_i32_e32 v12, 31, v11
	v_lshlrev_b64 v[9:10], 3, v[11:12]
	s_waitcnt vmcnt(0) lgkmcnt(0)
	buffer_store_dword v14, off, s[0:3], 0 offset:28
	buffer_store_dword v13, off, s[0:3], 0 offset:24
	v_add_co_u32_e32 v9, vcc, s4, v9
	v_addc_co_u32_e32 v10, vcc, v15, v10, vcc
	flat_load_dwordx2 v[13:14], v[9:10]
	v_add_u32_e32 v15, s9, v11
	v_ashrrev_i32_e32 v16, 31, v15
	v_lshlrev_b64 v[11:12], 3, v[15:16]
	v_add_u32_e32 v18, s9, v15
	v_add_co_u32_e32 v11, vcc, s4, v11
	v_addc_co_u32_e32 v12, vcc, v17, v12, vcc
	v_ashrrev_i32_e32 v19, 31, v18
	s_waitcnt vmcnt(0) lgkmcnt(0)
	buffer_store_dword v14, off, s[0:3], 0 offset:36
	buffer_store_dword v13, off, s[0:3], 0 offset:32
	flat_load_dwordx2 v[16:17], v[11:12]
	v_lshlrev_b64 v[13:14], 3, v[18:19]
	s_waitcnt vmcnt(0) lgkmcnt(0)
	buffer_store_dword v17, off, s[0:3], 0 offset:44
	buffer_store_dword v16, off, s[0:3], 0 offset:40
	v_add_co_u32_e32 v13, vcc, s4, v13
	v_addc_co_u32_e32 v14, vcc, v20, v14, vcc
	flat_load_dwordx2 v[19:20], v[13:14]
	v_add_u32_e32 v17, s9, v18
	v_ashrrev_i32_e32 v18, 31, v17
	v_lshlrev_b64 v[15:16], 3, v[17:18]
	s_waitcnt vmcnt(0) lgkmcnt(0)
	buffer_store_dword v20, off, s[0:3], 0 offset:52
	buffer_store_dword v19, off, s[0:3], 0 offset:48
	v_add_co_u32_e32 v15, vcc, s4, v15
	v_addc_co_u32_e32 v16, vcc, v21, v16, vcc
	flat_load_dwordx2 v[19:20], v[15:16]
	v_add_u32_e32 v21, s9, v17
	v_ashrrev_i32_e32 v22, 31, v21
	v_lshlrev_b64 v[17:18], 3, v[21:22]
	v_add_u32_e32 v24, s9, v21
	v_add_co_u32_e32 v17, vcc, s4, v17
	v_addc_co_u32_e32 v18, vcc, v23, v18, vcc
	v_ashrrev_i32_e32 v25, 31, v24
	s_waitcnt vmcnt(0) lgkmcnt(0)
	buffer_store_dword v20, off, s[0:3], 0 offset:60
	buffer_store_dword v19, off, s[0:3], 0 offset:56
	;; [unrolled: 27-line block ×5, first 2 shown]
	flat_load_dwordx2 v[40:41], v[35:36]
	v_lshlrev_b64 v[37:38], 3, v[42:43]
	s_waitcnt vmcnt(0) lgkmcnt(0)
	buffer_store_dword v41, off, s[0:3], 0 offset:140
	buffer_store_dword v40, off, s[0:3], 0 offset:136
	v_add_co_u32_e32 v37, vcc, s4, v37
	v_addc_co_u32_e32 v38, vcc, v44, v38, vcc
	flat_load_dwordx2 v[43:44], v[37:38]
	v_add_u32_e32 v41, s9, v42
	v_ashrrev_i32_e32 v42, 31, v41
	v_lshlrev_b64 v[39:40], 3, v[41:42]
	s_waitcnt vmcnt(0) lgkmcnt(0)
	buffer_store_dword v44, off, s[0:3], 0 offset:148
	buffer_store_dword v43, off, s[0:3], 0 offset:144
	v_add_co_u32_e32 v39, vcc, s4, v39
	v_addc_co_u32_e32 v40, vcc, v45, v40, vcc
	flat_load_dwordx2 v[43:44], v[39:40]
	v_add_u32_e32 v45, s9, v41
	v_ashrrev_i32_e32 v46, 31, v45
	v_lshlrev_b64 v[41:42], 3, v[45:46]
	v_add_u32_e32 v50, s9, v45
	v_add_co_u32_e32 v41, vcc, s4, v41
	v_addc_co_u32_e32 v42, vcc, v47, v42, vcc
	v_ashrrev_i32_e32 v51, 31, v50
	v_add_u32_e32 v45, s9, v50
	s_mov_b64 s[8:9], -1
	s_waitcnt vmcnt(0) lgkmcnt(0)
	buffer_store_dword v44, off, s[0:3], 0 offset:156
	buffer_store_dword v43, off, s[0:3], 0 offset:152
	flat_load_dwordx2 v[46:47], v[41:42]
	v_lshlrev_b64 v[43:44], 3, v[50:51]
	v_mov_b32_e32 v51, s5
	v_add_co_u32_e32 v43, vcc, s4, v43
	v_addc_co_u32_e32 v44, vcc, v48, v44, vcc
	s_waitcnt vmcnt(0) lgkmcnt(0)
	buffer_store_dword v47, off, s[0:3], 0 offset:164
	buffer_store_dword v46, off, s[0:3], 0 offset:160
	flat_load_dwordx2 v[47:48], v[43:44]
	v_ashrrev_i32_e32 v46, 31, v45
	v_lshlrev_b64 v[45:46], 3, v[45:46]
	s_waitcnt vmcnt(0) lgkmcnt(0)
	buffer_store_dword v48, off, s[0:3], 0 offset:172
	buffer_store_dword v47, off, s[0:3], 0 offset:168
	v_add_co_u32_e32 v45, vcc, s4, v45
	v_addc_co_u32_e32 v46, vcc, v51, v46, vcc
	flat_load_dwordx2 v[47:48], v[45:46]
	s_waitcnt vmcnt(0) lgkmcnt(0)
	buffer_store_dword v48, off, s[0:3], 0 offset:180
	buffer_store_dword v47, off, s[0:3], 0 offset:176
	s_cbranch_scc1 .LBB86_104
; %bb.4:
	v_cmp_eq_u32_e64 s[4:5], 0, v0
	s_and_saveexec_b64 s[8:9], s[4:5]
; %bb.5:
	v_mov_b32_e32 v47, 0
	ds_write_b32 v47, v47 offset:184
; %bb.6:
	s_or_b64 exec, exec, s[8:9]
	v_mov_b32_e32 v47, 0
	v_lshl_add_u32 v51, v0, 3, v47
	s_waitcnt lgkmcnt(0)
	; wave barrier
	buffer_load_dword v47, v51, s[0:3], 0 offen
	buffer_load_dword v48, v51, s[0:3], 0 offen offset:4
	s_waitcnt vmcnt(1)
	v_cmp_eq_f32_e32 vcc, 0, v47
	s_waitcnt vmcnt(0)
	v_cmp_eq_f32_e64 s[8:9], 0, v48
	s_and_b64 s[8:9], vcc, s[8:9]
	s_and_saveexec_b64 s[16:17], s[8:9]
	s_cbranch_execz .LBB86_10
; %bb.7:
	v_mov_b32_e32 v47, 0
	ds_read_b32 v50, v47 offset:184
	v_add_u32_e32 v48, 1, v0
	s_waitcnt lgkmcnt(0)
	v_readfirstlane_b32 s8, v50
	s_cmp_eq_u32 s8, 0
	s_cselect_b64 s[18:19], -1, 0
	v_cmp_gt_i32_e32 vcc, s8, v48
	s_or_b64 s[18:19], s[18:19], vcc
	s_and_b64 exec, exec, s[18:19]
	s_cbranch_execz .LBB86_10
; %bb.8:
	s_mov_b64 s[18:19], 0
	v_mov_b32_e32 v50, s8
.LBB86_9:                               ; =>This Inner Loop Header: Depth=1
	ds_cmpst_rtn_b32 v50, v47, v50, v48 offset:184
	s_waitcnt lgkmcnt(0)
	v_cmp_ne_u32_e32 vcc, 0, v50
	v_cmp_le_i32_e64 s[8:9], v50, v48
	s_and_b64 s[8:9], vcc, s[8:9]
	s_and_b64 s[8:9], exec, s[8:9]
	s_or_b64 s[18:19], s[8:9], s[18:19]
	s_andn2_b64 exec, exec, s[18:19]
	s_cbranch_execnz .LBB86_9
.LBB86_10:
	s_or_b64 exec, exec, s[16:17]
	v_mov_b32_e32 v48, 0
	; wave barrier
	ds_read_b32 v47, v48 offset:184
	s_and_saveexec_b64 s[8:9], s[4:5]
	s_cbranch_execz .LBB86_12
; %bb.11:
	s_lshl_b64 s[16:17], s[6:7], 2
	s_add_u32 s16, s10, s16
	s_addc_u32 s17, s11, s17
	s_waitcnt lgkmcnt(0)
	global_store_dword v48, v47, s[16:17]
.LBB86_12:
	s_or_b64 exec, exec, s[8:9]
	s_waitcnt lgkmcnt(0)
	v_cmp_ne_u32_e32 vcc, 0, v47
	s_mov_b64 s[8:9], 0
	s_cbranch_vccnz .LBB86_104
; %bb.13:
	buffer_load_dword v48, v51, s[0:3], 0 offen
	buffer_load_dword v50, v51, s[0:3], 0 offen offset:4
                                        ; implicit-def: $vgpr53
                                        ; implicit-def: $vgpr52
                                        ; implicit-def: $vgpr47
	s_waitcnt vmcnt(0)
	v_cmp_ngt_f32_e64 s[8:9], |v48|, |v50|
	s_and_saveexec_b64 s[16:17], s[8:9]
	s_xor_b64 s[8:9], exec, s[16:17]
	s_cbranch_execz .LBB86_15
; %bb.14:
	v_div_scale_f32 v47, s[16:17], v50, v50, v48
	v_div_scale_f32 v52, vcc, v48, v50, v48
	v_rcp_f32_e32 v53, v47
	v_fma_f32 v54, -v47, v53, 1.0
	v_fmac_f32_e32 v53, v54, v53
	v_mul_f32_e32 v54, v52, v53
	v_fma_f32 v55, -v47, v54, v52
	v_fmac_f32_e32 v54, v55, v53
	v_fma_f32 v47, -v47, v54, v52
	v_div_fmas_f32 v47, v47, v53, v54
	v_div_fixup_f32 v47, v47, v50, v48
	v_fmac_f32_e32 v50, v48, v47
	v_div_scale_f32 v48, s[16:17], v50, v50, 1.0
	v_div_scale_f32 v52, vcc, 1.0, v50, 1.0
	v_rcp_f32_e32 v53, v48
	v_fma_f32 v54, -v48, v53, 1.0
	v_fmac_f32_e32 v53, v54, v53
	v_mul_f32_e32 v54, v52, v53
	v_fma_f32 v55, -v48, v54, v52
	v_fmac_f32_e32 v54, v55, v53
	v_fma_f32 v48, -v48, v54, v52
	v_div_fmas_f32 v48, v48, v53, v54
	v_div_fixup_f32 v48, v48, v50, 1.0
	v_mul_f32_e32 v53, v47, v48
	v_xor_b32_e32 v52, 0x80000000, v48
	v_xor_b32_e32 v47, 0x80000000, v53
                                        ; implicit-def: $vgpr48
                                        ; implicit-def: $vgpr50
.LBB86_15:
	s_andn2_saveexec_b64 s[8:9], s[8:9]
	s_cbranch_execz .LBB86_17
; %bb.16:
	v_div_scale_f32 v47, s[16:17], v48, v48, v50
	v_div_scale_f32 v52, vcc, v50, v48, v50
	v_rcp_f32_e32 v53, v47
	v_fma_f32 v54, -v47, v53, 1.0
	v_fmac_f32_e32 v53, v54, v53
	v_mul_f32_e32 v54, v52, v53
	v_fma_f32 v55, -v47, v54, v52
	v_fmac_f32_e32 v54, v55, v53
	v_fma_f32 v47, -v47, v54, v52
	v_div_fmas_f32 v47, v47, v53, v54
	v_div_fixup_f32 v52, v47, v48, v50
	v_fmac_f32_e32 v48, v50, v52
	v_div_scale_f32 v47, s[16:17], v48, v48, 1.0
	v_div_scale_f32 v50, vcc, 1.0, v48, 1.0
	v_rcp_f32_e32 v53, v47
	v_fma_f32 v54, -v47, v53, 1.0
	v_fmac_f32_e32 v53, v54, v53
	v_mul_f32_e32 v54, v50, v53
	v_fma_f32 v55, -v47, v54, v50
	v_fmac_f32_e32 v54, v55, v53
	v_fma_f32 v47, -v47, v54, v50
	v_div_fmas_f32 v47, v47, v53, v54
	v_div_fixup_f32 v53, v47, v48, 1.0
	v_xor_b32_e32 v47, 0x80000000, v53
	v_mul_f32_e64 v52, v52, -v53
.LBB86_17:
	s_or_b64 exec, exec, s[8:9]
	buffer_store_dword v53, v51, s[0:3], 0 offen
	buffer_store_dword v52, v51, s[0:3], 0 offen offset:4
	buffer_load_dword v54, off, s[0:3], 0 offset:12
	s_nop 0
	buffer_load_dword v53, off, s[0:3], 0 offset:8
	v_xor_b32_e32 v48, 0x80000000, v52
	v_add_u32_e32 v50, 0xc0, v49
	s_waitcnt vmcnt(0)
	ds_write2_b64 v49, v[47:48], v[53:54] offset1:24
	s_waitcnt lgkmcnt(0)
	; wave barrier
	s_and_saveexec_b64 s[8:9], s[4:5]
	s_cbranch_execz .LBB86_19
; %bb.18:
	buffer_load_dword v54, v51, s[0:3], 0 offen offset:4
	buffer_load_dword v55, v51, s[0:3], 0 offen
	ds_read_b64 v[47:48], v50
	v_mov_b32_e32 v52, 0
	ds_read_b64 v[52:53], v52 offset:8
	s_waitcnt vmcnt(1) lgkmcnt(1)
	v_mul_f32_e32 v56, v48, v54
	v_mul_f32_e32 v54, v47, v54
	s_waitcnt vmcnt(0)
	v_fmac_f32_e32 v54, v48, v55
	v_fma_f32 v47, v47, v55, -v56
	v_add_f32_e32 v48, 0, v54
	v_add_f32_e32 v47, 0, v47
	s_waitcnt lgkmcnt(0)
	v_mul_f32_e32 v54, v48, v53
	v_mul_f32_e32 v53, v47, v53
	v_fma_f32 v47, v47, v52, -v54
	v_fmac_f32_e32 v53, v48, v52
	buffer_store_dword v47, off, s[0:3], 0 offset:8
	buffer_store_dword v53, off, s[0:3], 0 offset:12
.LBB86_19:
	s_or_b64 exec, exec, s[8:9]
	; wave barrier
	buffer_load_dword v47, off, s[0:3], 0 offset:16
	buffer_load_dword v48, off, s[0:3], 0 offset:20
	v_cmp_gt_u32_e32 vcc, 2, v0
	s_waitcnt vmcnt(0)
	ds_write_b64 v50, v[47:48]
	s_waitcnt lgkmcnt(0)
	; wave barrier
	s_and_saveexec_b64 s[8:9], vcc
	s_cbranch_execz .LBB86_23
; %bb.20:
	buffer_load_dword v52, v51, s[0:3], 0 offen offset:4
	buffer_load_dword v53, v51, s[0:3], 0 offen
	ds_read_b64 v[47:48], v50
	s_waitcnt vmcnt(1) lgkmcnt(0)
	v_mul_f32_e32 v51, v48, v52
	v_mul_f32_e32 v52, v47, v52
	s_waitcnt vmcnt(0)
	v_fma_f32 v47, v47, v53, -v51
	v_fmac_f32_e32 v52, v48, v53
	v_add_f32_e32 v48, 0, v47
	v_add_f32_e32 v47, 0, v52
	s_and_saveexec_b64 s[16:17], s[4:5]
	s_cbranch_execz .LBB86_22
; %bb.21:
	buffer_load_dword v53, off, s[0:3], 0 offset:12
	buffer_load_dword v54, off, s[0:3], 0 offset:8
	v_mov_b32_e32 v51, 0
	ds_read_b64 v[51:52], v51 offset:200
	s_waitcnt vmcnt(1) lgkmcnt(0)
	v_mul_f32_e32 v55, v51, v53
	v_mul_f32_e32 v53, v52, v53
	s_waitcnt vmcnt(0)
	v_fmac_f32_e32 v55, v52, v54
	v_fma_f32 v51, v51, v54, -v53
	v_add_f32_e32 v47, v47, v55
	v_add_f32_e32 v48, v48, v51
.LBB86_22:
	s_or_b64 exec, exec, s[16:17]
	v_mov_b32_e32 v51, 0
	ds_read_b64 v[51:52], v51 offset:16
	s_waitcnt lgkmcnt(0)
	v_mul_f32_e32 v53, v47, v52
	v_mul_f32_e32 v52, v48, v52
	v_fma_f32 v48, v48, v51, -v53
	v_fmac_f32_e32 v52, v47, v51
	buffer_store_dword v48, off, s[0:3], 0 offset:16
	buffer_store_dword v52, off, s[0:3], 0 offset:20
.LBB86_23:
	s_or_b64 exec, exec, s[8:9]
	; wave barrier
	buffer_load_dword v47, off, s[0:3], 0 offset:24
	buffer_load_dword v48, off, s[0:3], 0 offset:28
	v_cmp_gt_u32_e32 vcc, 3, v0
	s_waitcnt vmcnt(0)
	ds_write_b64 v50, v[47:48]
	v_add_u32_e32 v47, -1, v0
	s_waitcnt lgkmcnt(0)
	; wave barrier
	s_and_saveexec_b64 s[4:5], vcc
	s_cbranch_execz .LBB86_27
; %bb.24:
	v_add_u32_e32 v51, -1, v0
	v_add_u32_e32 v52, 0xc0, v49
	v_mov_b32_e32 v53, v49
	v_mov_b32_e32 v48, 0
	s_mov_b64 s[8:9], 0
	v_mov_b32_e32 v54, 0
.LBB86_25:                              ; =>This Inner Loop Header: Depth=1
	buffer_load_dword v57, v53, s[0:3], 0 offen offset:4
	buffer_load_dword v58, v53, s[0:3], 0 offen
	ds_read_b64 v[55:56], v52
	v_add_u32_e32 v51, 1, v51
	v_cmp_lt_u32_e32 vcc, 1, v51
	v_add_u32_e32 v52, 8, v52
	v_add_u32_e32 v53, 8, v53
	s_or_b64 s[8:9], vcc, s[8:9]
	s_waitcnt vmcnt(1) lgkmcnt(0)
	v_mul_f32_e32 v59, v56, v57
	v_mul_f32_e32 v57, v55, v57
	s_waitcnt vmcnt(0)
	v_fma_f32 v55, v55, v58, -v59
	v_fmac_f32_e32 v57, v56, v58
	v_add_f32_e32 v54, v54, v55
	v_add_f32_e32 v48, v48, v57
	s_andn2_b64 exec, exec, s[8:9]
	s_cbranch_execnz .LBB86_25
; %bb.26:
	s_or_b64 exec, exec, s[8:9]
	v_mov_b32_e32 v51, 0
	ds_read_b64 v[51:52], v51 offset:24
	s_waitcnt lgkmcnt(0)
	v_mul_f32_e32 v53, v48, v52
	v_mul_f32_e32 v52, v54, v52
	v_fma_f32 v53, v54, v51, -v53
	v_fmac_f32_e32 v52, v48, v51
	buffer_store_dword v53, off, s[0:3], 0 offset:24
	buffer_store_dword v52, off, s[0:3], 0 offset:28
.LBB86_27:
	s_or_b64 exec, exec, s[4:5]
	; wave barrier
	buffer_load_dword v51, off, s[0:3], 0 offset:32
	buffer_load_dword v52, off, s[0:3], 0 offset:36
	v_cmp_gt_u32_e32 vcc, 4, v0
	s_waitcnt vmcnt(0)
	ds_write_b64 v50, v[51:52]
	s_waitcnt lgkmcnt(0)
	; wave barrier
	s_and_saveexec_b64 s[4:5], vcc
	s_cbranch_execz .LBB86_31
; %bb.28:
	v_add_u32_e32 v51, -1, v0
	v_add_u32_e32 v52, 0xc0, v49
	v_mov_b32_e32 v53, v49
	v_mov_b32_e32 v48, 0
	s_mov_b64 s[8:9], 0
	v_mov_b32_e32 v54, 0
.LBB86_29:                              ; =>This Inner Loop Header: Depth=1
	buffer_load_dword v57, v53, s[0:3], 0 offen offset:4
	buffer_load_dword v58, v53, s[0:3], 0 offen
	ds_read_b64 v[55:56], v52
	v_add_u32_e32 v51, 1, v51
	v_cmp_lt_u32_e32 vcc, 2, v51
	v_add_u32_e32 v52, 8, v52
	v_add_u32_e32 v53, 8, v53
	s_or_b64 s[8:9], vcc, s[8:9]
	s_waitcnt vmcnt(1) lgkmcnt(0)
	v_mul_f32_e32 v59, v56, v57
	v_mul_f32_e32 v57, v55, v57
	s_waitcnt vmcnt(0)
	v_fma_f32 v55, v55, v58, -v59
	v_fmac_f32_e32 v57, v56, v58
	v_add_f32_e32 v54, v54, v55
	v_add_f32_e32 v48, v48, v57
	s_andn2_b64 exec, exec, s[8:9]
	s_cbranch_execnz .LBB86_29
; %bb.30:
	s_or_b64 exec, exec, s[8:9]
	v_mov_b32_e32 v51, 0
	ds_read_b64 v[51:52], v51 offset:32
	s_waitcnt lgkmcnt(0)
	v_mul_f32_e32 v53, v48, v52
	v_mul_f32_e32 v52, v54, v52
	v_fma_f32 v53, v54, v51, -v53
	v_fmac_f32_e32 v52, v48, v51
	buffer_store_dword v53, off, s[0:3], 0 offset:32
	buffer_store_dword v52, off, s[0:3], 0 offset:36
.LBB86_31:
	s_or_b64 exec, exec, s[4:5]
	; wave barrier
	buffer_load_dword v51, off, s[0:3], 0 offset:40
	buffer_load_dword v52, off, s[0:3], 0 offset:44
	v_cmp_gt_u32_e32 vcc, 5, v0
	s_waitcnt vmcnt(0)
	ds_write_b64 v50, v[51:52]
	;; [unrolled: 49-line block ×18, first 2 shown]
	s_waitcnt lgkmcnt(0)
	; wave barrier
	s_and_saveexec_b64 s[4:5], vcc
	s_cbranch_execz .LBB86_99
; %bb.96:
	v_add_u32_e32 v51, -1, v0
	v_add_u32_e32 v52, 0xc0, v49
	v_mov_b32_e32 v53, v49
	v_mov_b32_e32 v48, 0
	s_mov_b64 s[8:9], 0
	v_mov_b32_e32 v54, 0
.LBB86_97:                              ; =>This Inner Loop Header: Depth=1
	buffer_load_dword v57, v53, s[0:3], 0 offen offset:4
	buffer_load_dword v58, v53, s[0:3], 0 offen
	ds_read_b64 v[55:56], v52
	v_add_u32_e32 v51, 1, v51
	v_cmp_lt_u32_e32 vcc, 19, v51
	v_add_u32_e32 v52, 8, v52
	v_add_u32_e32 v53, 8, v53
	s_or_b64 s[8:9], vcc, s[8:9]
	s_waitcnt vmcnt(1) lgkmcnt(0)
	v_mul_f32_e32 v59, v56, v57
	v_mul_f32_e32 v57, v55, v57
	s_waitcnt vmcnt(0)
	v_fma_f32 v55, v55, v58, -v59
	v_fmac_f32_e32 v57, v56, v58
	v_add_f32_e32 v54, v54, v55
	v_add_f32_e32 v48, v48, v57
	s_andn2_b64 exec, exec, s[8:9]
	s_cbranch_execnz .LBB86_97
; %bb.98:
	s_or_b64 exec, exec, s[8:9]
	v_mov_b32_e32 v51, 0
	ds_read_b64 v[51:52], v51 offset:168
	s_waitcnt lgkmcnt(0)
	v_mul_f32_e32 v53, v48, v52
	v_mul_f32_e32 v52, v54, v52
	v_fma_f32 v53, v54, v51, -v53
	v_fmac_f32_e32 v52, v48, v51
	buffer_store_dword v53, off, s[0:3], 0 offset:168
	buffer_store_dword v52, off, s[0:3], 0 offset:172
.LBB86_99:
	s_or_b64 exec, exec, s[4:5]
	; wave barrier
	buffer_load_dword v51, off, s[0:3], 0 offset:176
	buffer_load_dword v52, off, s[0:3], 0 offset:180
	v_cmp_ne_u32_e32 vcc, 22, v0
	s_waitcnt vmcnt(0)
	ds_write_b64 v50, v[51:52]
	s_waitcnt lgkmcnt(0)
	; wave barrier
	s_and_saveexec_b64 s[4:5], vcc
	s_cbranch_execz .LBB86_103
; %bb.100:
	v_add_u32_e32 v50, 0xc0, v49
	v_mov_b32_e32 v48, 0
	s_mov_b64 s[8:9], 0
	v_mov_b32_e32 v51, 0
.LBB86_101:                             ; =>This Inner Loop Header: Depth=1
	buffer_load_dword v54, v49, s[0:3], 0 offen offset:4
	buffer_load_dword v55, v49, s[0:3], 0 offen
	ds_read_b64 v[52:53], v50
	v_add_u32_e32 v47, 1, v47
	v_cmp_lt_u32_e32 vcc, 20, v47
	v_add_u32_e32 v50, 8, v50
	v_add_u32_e32 v49, 8, v49
	s_or_b64 s[8:9], vcc, s[8:9]
	s_waitcnt vmcnt(1) lgkmcnt(0)
	v_mul_f32_e32 v56, v53, v54
	v_mul_f32_e32 v54, v52, v54
	s_waitcnt vmcnt(0)
	v_fma_f32 v52, v52, v55, -v56
	v_fmac_f32_e32 v54, v53, v55
	v_add_f32_e32 v51, v51, v52
	v_add_f32_e32 v48, v48, v54
	s_andn2_b64 exec, exec, s[8:9]
	s_cbranch_execnz .LBB86_101
; %bb.102:
	s_or_b64 exec, exec, s[8:9]
	v_mov_b32_e32 v47, 0
	ds_read_b64 v[49:50], v47 offset:176
	s_waitcnt lgkmcnt(0)
	v_mul_f32_e32 v47, v48, v50
	v_mul_f32_e32 v50, v51, v50
	v_fma_f32 v47, v51, v49, -v47
	v_fmac_f32_e32 v50, v48, v49
	buffer_store_dword v47, off, s[0:3], 0 offset:176
	buffer_store_dword v50, off, s[0:3], 0 offset:180
.LBB86_103:
	s_or_b64 exec, exec, s[4:5]
	s_mov_b64 s[8:9], -1
	; wave barrier
.LBB86_104:
	s_and_b64 vcc, exec, s[8:9]
	s_cbranch_vccz .LBB86_106
; %bb.105:
	s_lshl_b64 s[4:5], s[6:7], 2
	s_add_u32 s4, s10, s4
	s_addc_u32 s5, s11, s5
	v_mov_b32_e32 v47, 0
	global_load_dword v47, v47, s[4:5]
	s_waitcnt vmcnt(0)
	v_cmp_ne_u32_e32 vcc, 0, v47
	s_cbranch_vccz .LBB86_107
.LBB86_106:
	s_endpgm
.LBB86_107:
	v_mov_b32_e32 v47, 0xc0
	v_lshl_add_u32 v47, v0, 3, v47
	v_cmp_eq_u32_e32 vcc, 22, v0
	s_and_saveexec_b64 s[4:5], vcc
	s_cbranch_execz .LBB86_109
; %bb.108:
	buffer_load_dword v48, off, s[0:3], 0 offset:168
	buffer_load_dword v49, off, s[0:3], 0 offset:172
	v_mov_b32_e32 v50, 0
	buffer_store_dword v50, off, s[0:3], 0 offset:168
	buffer_store_dword v50, off, s[0:3], 0 offset:172
	s_waitcnt vmcnt(2)
	ds_write_b64 v47, v[48:49]
.LBB86_109:
	s_or_b64 exec, exec, s[4:5]
	s_waitcnt lgkmcnt(0)
	; wave barrier
	buffer_load_dword v51, off, s[0:3], 0 offset:180
	buffer_load_dword v52, off, s[0:3], 0 offset:176
	;; [unrolled: 1-line block ×4, first 2 shown]
	v_mov_b32_e32 v48, 0
	ds_read_b64 v[49:50], v48 offset:368
	v_cmp_lt_u32_e32 vcc, 20, v0
	s_waitcnt vmcnt(3) lgkmcnt(0)
	v_mul_f32_e32 v55, v49, v51
	v_mul_f32_e32 v51, v50, v51
	s_waitcnt vmcnt(2)
	v_fma_f32 v49, v49, v52, -v51
	v_fmac_f32_e32 v55, v50, v52
	v_add_f32_e32 v49, 0, v49
	v_add_f32_e32 v50, 0, v55
	s_waitcnt vmcnt(1)
	v_sub_f32_e32 v49, v53, v49
	s_waitcnt vmcnt(0)
	v_sub_f32_e32 v50, v54, v50
	buffer_store_dword v49, off, s[0:3], 0 offset:168
	buffer_store_dword v50, off, s[0:3], 0 offset:172
	s_and_saveexec_b64 s[4:5], vcc
	s_cbranch_execz .LBB86_111
; %bb.110:
	buffer_load_dword v49, off, s[0:3], 0 offset:160
	buffer_load_dword v50, off, s[0:3], 0 offset:164
	s_waitcnt vmcnt(0)
	ds_write_b64 v47, v[49:50]
	buffer_store_dword v48, off, s[0:3], 0 offset:160
	buffer_store_dword v48, off, s[0:3], 0 offset:164
.LBB86_111:
	s_or_b64 exec, exec, s[4:5]
	s_waitcnt lgkmcnt(0)
	; wave barrier
	buffer_load_dword v52, off, s[0:3], 0 offset:172
	buffer_load_dword v53, off, s[0:3], 0 offset:180
	;; [unrolled: 1-line block ×6, first 2 shown]
	ds_read2_b64 v[48:51], v48 offset0:45 offset1:46
	v_cmp_lt_u32_e32 vcc, 19, v0
	s_waitcnt vmcnt(5) lgkmcnt(0)
	v_mul_f32_e32 v58, v48, v52
	v_mul_f32_e32 v52, v49, v52
	s_waitcnt vmcnt(4)
	v_mul_f32_e32 v59, v50, v53
	v_mul_f32_e32 v53, v51, v53
	s_waitcnt vmcnt(3)
	v_fma_f32 v48, v48, v54, -v52
	v_fmac_f32_e32 v58, v49, v54
	s_waitcnt vmcnt(2)
	v_fma_f32 v49, v50, v55, -v53
	v_add_f32_e32 v48, 0, v48
	v_fmac_f32_e32 v59, v51, v55
	v_add_f32_e32 v50, 0, v58
	v_add_f32_e32 v48, v48, v49
	;; [unrolled: 1-line block ×3, first 2 shown]
	s_waitcnt vmcnt(1)
	v_sub_f32_e32 v48, v56, v48
	s_waitcnt vmcnt(0)
	v_sub_f32_e32 v49, v57, v50
	buffer_store_dword v48, off, s[0:3], 0 offset:160
	buffer_store_dword v49, off, s[0:3], 0 offset:164
	s_and_saveexec_b64 s[4:5], vcc
	s_cbranch_execz .LBB86_113
; %bb.112:
	buffer_load_dword v48, off, s[0:3], 0 offset:152
	buffer_load_dword v49, off, s[0:3], 0 offset:156
	v_mov_b32_e32 v50, 0
	buffer_store_dword v50, off, s[0:3], 0 offset:152
	buffer_store_dword v50, off, s[0:3], 0 offset:156
	s_waitcnt vmcnt(2)
	ds_write_b64 v47, v[48:49]
.LBB86_113:
	s_or_b64 exec, exec, s[4:5]
	s_waitcnt lgkmcnt(0)
	; wave barrier
	buffer_load_dword v55, off, s[0:3], 0 offset:164
	buffer_load_dword v56, off, s[0:3], 0 offset:172
	;; [unrolled: 1-line block ×8, first 2 shown]
	v_mov_b32_e32 v48, 0
	ds_read_b128 v[49:52], v48 offset:352
	ds_read_b64 v[53:54], v48 offset:368
	v_cmp_lt_u32_e32 vcc, 18, v0
	s_waitcnt vmcnt(7) lgkmcnt(1)
	v_mul_f32_e32 v63, v49, v55
	v_mul_f32_e32 v55, v50, v55
	s_waitcnt vmcnt(6)
	v_mul_f32_e32 v64, v51, v56
	v_mul_f32_e32 v56, v52, v56
	s_waitcnt vmcnt(4)
	v_fma_f32 v49, v49, v58, -v55
	s_waitcnt lgkmcnt(0)
	v_mul_f32_e32 v65, v53, v57
	v_mul_f32_e32 v57, v54, v57
	v_fmac_f32_e32 v63, v50, v58
	s_waitcnt vmcnt(3)
	v_fma_f32 v50, v51, v59, -v56
	v_add_f32_e32 v49, 0, v49
	v_fmac_f32_e32 v64, v52, v59
	s_waitcnt vmcnt(2)
	v_fma_f32 v51, v53, v60, -v57
	v_add_f32_e32 v52, 0, v63
	v_add_f32_e32 v49, v49, v50
	v_fmac_f32_e32 v65, v54, v60
	v_add_f32_e32 v52, v52, v64
	v_add_f32_e32 v49, v49, v51
	;; [unrolled: 1-line block ×3, first 2 shown]
	s_waitcnt vmcnt(1)
	v_sub_f32_e32 v49, v61, v49
	s_waitcnt vmcnt(0)
	v_sub_f32_e32 v50, v62, v50
	buffer_store_dword v49, off, s[0:3], 0 offset:152
	buffer_store_dword v50, off, s[0:3], 0 offset:156
	s_and_saveexec_b64 s[4:5], vcc
	s_cbranch_execz .LBB86_115
; %bb.114:
	buffer_load_dword v49, off, s[0:3], 0 offset:144
	buffer_load_dword v50, off, s[0:3], 0 offset:148
	s_waitcnt vmcnt(0)
	ds_write_b64 v47, v[49:50]
	buffer_store_dword v48, off, s[0:3], 0 offset:144
	buffer_store_dword v48, off, s[0:3], 0 offset:148
.LBB86_115:
	s_or_b64 exec, exec, s[4:5]
	s_waitcnt lgkmcnt(0)
	; wave barrier
	buffer_load_dword v57, off, s[0:3], 0 offset:156
	buffer_load_dword v58, off, s[0:3], 0 offset:164
	;; [unrolled: 1-line block ×10, first 2 shown]
	ds_read2_b64 v[49:52], v48 offset0:43 offset1:44
	ds_read2_b64 v[53:56], v48 offset0:45 offset1:46
	v_cmp_lt_u32_e32 vcc, 17, v0
	s_waitcnt vmcnt(9) lgkmcnt(1)
	v_mul_f32_e32 v48, v49, v57
	v_mul_f32_e32 v57, v50, v57
	s_waitcnt vmcnt(8)
	v_mul_f32_e32 v67, v51, v58
	v_mul_f32_e32 v58, v52, v58
	s_waitcnt vmcnt(5)
	v_fma_f32 v49, v49, v61, -v57
	s_waitcnt lgkmcnt(0)
	v_mul_f32_e32 v68, v53, v59
	v_mul_f32_e32 v59, v54, v59
	v_fmac_f32_e32 v48, v50, v61
	s_waitcnt vmcnt(4)
	v_fma_f32 v50, v51, v62, -v58
	v_add_f32_e32 v49, 0, v49
	v_mul_f32_e32 v69, v55, v60
	v_mul_f32_e32 v60, v56, v60
	v_fmac_f32_e32 v67, v52, v62
	s_waitcnt vmcnt(3)
	v_fma_f32 v51, v53, v63, -v59
	v_add_f32_e32 v48, 0, v48
	v_add_f32_e32 v49, v49, v50
	v_fmac_f32_e32 v68, v54, v63
	s_waitcnt vmcnt(2)
	v_fma_f32 v52, v55, v64, -v60
	v_add_f32_e32 v48, v48, v67
	v_add_f32_e32 v49, v49, v51
	v_fmac_f32_e32 v69, v56, v64
	v_add_f32_e32 v48, v48, v68
	v_add_f32_e32 v49, v49, v52
	;; [unrolled: 1-line block ×3, first 2 shown]
	s_waitcnt vmcnt(1)
	v_sub_f32_e32 v49, v65, v49
	s_waitcnt vmcnt(0)
	v_sub_f32_e32 v48, v66, v48
	buffer_store_dword v49, off, s[0:3], 0 offset:144
	buffer_store_dword v48, off, s[0:3], 0 offset:148
	s_and_saveexec_b64 s[4:5], vcc
	s_cbranch_execz .LBB86_117
; %bb.116:
	buffer_load_dword v48, off, s[0:3], 0 offset:136
	buffer_load_dword v49, off, s[0:3], 0 offset:140
	v_mov_b32_e32 v50, 0
	buffer_store_dword v50, off, s[0:3], 0 offset:136
	buffer_store_dword v50, off, s[0:3], 0 offset:140
	s_waitcnt vmcnt(2)
	ds_write_b64 v47, v[48:49]
.LBB86_117:
	s_or_b64 exec, exec, s[4:5]
	s_waitcnt lgkmcnt(0)
	; wave barrier
	buffer_load_dword v59, off, s[0:3], 0 offset:148
	buffer_load_dword v60, off, s[0:3], 0 offset:156
	;; [unrolled: 1-line block ×12, first 2 shown]
	v_mov_b32_e32 v48, 0
	ds_read_b128 v[49:52], v48 offset:336
	ds_read_b128 v[53:56], v48 offset:352
	ds_read_b64 v[57:58], v48 offset:368
	v_cmp_lt_u32_e32 vcc, 16, v0
	s_waitcnt vmcnt(11) lgkmcnt(2)
	v_mul_f32_e32 v71, v49, v59
	v_mul_f32_e32 v59, v50, v59
	s_waitcnt vmcnt(10)
	v_mul_f32_e32 v72, v51, v60
	v_mul_f32_e32 v60, v52, v60
	s_waitcnt vmcnt(9) lgkmcnt(1)
	v_mul_f32_e32 v73, v53, v61
	s_waitcnt vmcnt(6)
	v_fma_f32 v49, v49, v64, -v59
	v_mul_f32_e32 v61, v54, v61
	v_fmac_f32_e32 v71, v50, v64
	s_waitcnt vmcnt(5)
	v_fma_f32 v50, v51, v65, -v60
	v_add_f32_e32 v49, 0, v49
	v_mul_f32_e32 v74, v55, v62
	v_mul_f32_e32 v62, v56, v62
	v_fmac_f32_e32 v72, v52, v65
	s_waitcnt vmcnt(4)
	v_fmac_f32_e32 v73, v54, v66
	v_fma_f32 v51, v53, v66, -v61
	v_add_f32_e32 v54, 0, v71
	v_add_f32_e32 v49, v49, v50
	s_waitcnt lgkmcnt(0)
	v_mul_f32_e32 v75, v57, v63
	v_mul_f32_e32 v63, v58, v63
	s_waitcnt vmcnt(3)
	v_fma_f32 v52, v55, v67, -v62
	v_add_f32_e32 v54, v54, v72
	v_add_f32_e32 v49, v49, v51
	v_fmac_f32_e32 v74, v56, v67
	s_waitcnt vmcnt(2)
	v_fma_f32 v53, v57, v68, -v63
	v_add_f32_e32 v50, v54, v73
	v_add_f32_e32 v49, v49, v52
	v_fmac_f32_e32 v75, v58, v68
	v_add_f32_e32 v50, v50, v74
	v_add_f32_e32 v49, v49, v53
	;; [unrolled: 1-line block ×3, first 2 shown]
	s_waitcnt vmcnt(1)
	v_sub_f32_e32 v49, v69, v49
	s_waitcnt vmcnt(0)
	v_sub_f32_e32 v50, v70, v50
	buffer_store_dword v49, off, s[0:3], 0 offset:136
	buffer_store_dword v50, off, s[0:3], 0 offset:140
	s_and_saveexec_b64 s[4:5], vcc
	s_cbranch_execz .LBB86_119
; %bb.118:
	buffer_load_dword v49, off, s[0:3], 0 offset:128
	buffer_load_dword v50, off, s[0:3], 0 offset:132
	s_waitcnt vmcnt(0)
	ds_write_b64 v47, v[49:50]
	buffer_store_dword v48, off, s[0:3], 0 offset:128
	buffer_store_dword v48, off, s[0:3], 0 offset:132
.LBB86_119:
	s_or_b64 exec, exec, s[4:5]
	s_waitcnt lgkmcnt(0)
	; wave barrier
	buffer_load_dword v61, off, s[0:3], 0 offset:140
	buffer_load_dword v62, off, s[0:3], 0 offset:148
	;; [unrolled: 1-line block ×14, first 2 shown]
	ds_read2_b64 v[49:52], v48 offset0:41 offset1:42
	ds_read2_b64 v[53:56], v48 offset0:43 offset1:44
	;; [unrolled: 1-line block ×3, first 2 shown]
	v_cmp_lt_u32_e32 vcc, 15, v0
	s_waitcnt vmcnt(13) lgkmcnt(2)
	v_mul_f32_e32 v48, v49, v61
	v_mul_f32_e32 v61, v50, v61
	s_waitcnt vmcnt(12)
	v_mul_f32_e32 v75, v51, v62
	v_mul_f32_e32 v62, v52, v62
	s_waitcnt vmcnt(11) lgkmcnt(1)
	v_mul_f32_e32 v76, v53, v63
	v_mul_f32_e32 v63, v54, v63
	s_waitcnt vmcnt(7)
	v_fma_f32 v49, v49, v67, -v61
	v_fmac_f32_e32 v48, v50, v67
	s_waitcnt vmcnt(6)
	v_fma_f32 v50, v51, v68, -v62
	v_add_f32_e32 v49, 0, v49
	v_mul_f32_e32 v77, v55, v64
	v_mul_f32_e32 v64, v56, v64
	v_fmac_f32_e32 v75, v52, v68
	s_waitcnt vmcnt(5)
	v_fma_f32 v51, v53, v69, -v63
	v_add_f32_e32 v48, 0, v48
	v_add_f32_e32 v49, v49, v50
	s_waitcnt lgkmcnt(0)
	v_mul_f32_e32 v78, v57, v65
	v_mul_f32_e32 v65, v58, v65
	v_fmac_f32_e32 v76, v54, v69
	s_waitcnt vmcnt(4)
	v_fma_f32 v52, v55, v70, -v64
	v_add_f32_e32 v48, v48, v75
	v_add_f32_e32 v49, v49, v51
	v_mul_f32_e32 v79, v59, v66
	v_mul_f32_e32 v66, v60, v66
	v_fmac_f32_e32 v77, v56, v70
	s_waitcnt vmcnt(3)
	v_fma_f32 v53, v57, v71, -v65
	v_add_f32_e32 v48, v48, v76
	v_add_f32_e32 v49, v49, v52
	v_fmac_f32_e32 v78, v58, v71
	s_waitcnt vmcnt(2)
	v_fma_f32 v54, v59, v72, -v66
	v_add_f32_e32 v48, v48, v77
	v_add_f32_e32 v49, v49, v53
	v_fmac_f32_e32 v79, v60, v72
	v_add_f32_e32 v48, v48, v78
	v_add_f32_e32 v49, v49, v54
	;; [unrolled: 1-line block ×3, first 2 shown]
	s_waitcnt vmcnt(1)
	v_sub_f32_e32 v49, v73, v49
	s_waitcnt vmcnt(0)
	v_sub_f32_e32 v48, v74, v48
	buffer_store_dword v49, off, s[0:3], 0 offset:128
	buffer_store_dword v48, off, s[0:3], 0 offset:132
	s_and_saveexec_b64 s[4:5], vcc
	s_cbranch_execz .LBB86_121
; %bb.120:
	buffer_load_dword v48, off, s[0:3], 0 offset:120
	buffer_load_dword v49, off, s[0:3], 0 offset:124
	v_mov_b32_e32 v50, 0
	buffer_store_dword v50, off, s[0:3], 0 offset:120
	buffer_store_dword v50, off, s[0:3], 0 offset:124
	s_waitcnt vmcnt(2)
	ds_write_b64 v47, v[48:49]
.LBB86_121:
	s_or_b64 exec, exec, s[4:5]
	v_mov_b32_e32 v48, 0
	s_waitcnt lgkmcnt(0)
	; wave barrier
	ds_read_b128 v[49:52], v48 offset:320
	ds_read_b128 v[53:56], v48 offset:336
	;; [unrolled: 1-line block ×3, first 2 shown]
	ds_read_b64 v[61:62], v48 offset:368
	buffer_load_dword v63, off, s[0:3], 0 offset:120
	buffer_load_dword v64, off, s[0:3], 0 offset:124
	;; [unrolled: 1-line block ×16, first 2 shown]
	v_cmp_lt_u32_e32 vcc, 14, v0
	s_waitcnt vmcnt(12) lgkmcnt(3)
	v_mul_f32_e32 v79, v49, v66
	v_fmac_f32_e32 v79, v50, v65
	v_mul_f32_e32 v50, v50, v66
	v_fma_f32 v49, v49, v65, -v50
	s_waitcnt vmcnt(10)
	v_mul_f32_e32 v50, v52, v68
	v_mul_f32_e32 v80, v51, v68
	v_add_f32_e32 v49, 0, v49
	v_fma_f32 v50, v51, v67, -v50
	v_add_f32_e32 v79, 0, v79
	v_fmac_f32_e32 v80, v52, v67
	v_add_f32_e32 v49, v49, v50
	s_waitcnt vmcnt(8) lgkmcnt(2)
	v_mul_f32_e32 v50, v54, v70
	v_add_f32_e32 v79, v79, v80
	v_mul_f32_e32 v80, v53, v70
	v_fma_f32 v50, v53, v69, -v50
	v_fmac_f32_e32 v80, v54, v69
	v_add_f32_e32 v49, v49, v50
	s_waitcnt vmcnt(6)
	v_mul_f32_e32 v50, v56, v72
	v_add_f32_e32 v79, v79, v80
	v_mul_f32_e32 v80, v55, v72
	v_fma_f32 v50, v55, v71, -v50
	v_fmac_f32_e32 v80, v56, v71
	v_add_f32_e32 v49, v49, v50
	s_waitcnt vmcnt(4) lgkmcnt(1)
	v_mul_f32_e32 v50, v58, v74
	v_add_f32_e32 v79, v79, v80
	v_mul_f32_e32 v80, v57, v74
	v_fma_f32 v50, v57, v73, -v50
	v_fmac_f32_e32 v80, v58, v73
	v_add_f32_e32 v49, v49, v50
	s_waitcnt vmcnt(2)
	v_mul_f32_e32 v50, v60, v76
	v_add_f32_e32 v79, v79, v80
	v_mul_f32_e32 v80, v59, v76
	v_fma_f32 v50, v59, v75, -v50
	v_fmac_f32_e32 v80, v60, v75
	v_add_f32_e32 v49, v49, v50
	s_waitcnt vmcnt(0) lgkmcnt(0)
	v_mul_f32_e32 v50, v62, v78
	v_add_f32_e32 v79, v79, v80
	v_mul_f32_e32 v80, v61, v78
	v_fma_f32 v50, v61, v77, -v50
	v_fmac_f32_e32 v80, v62, v77
	v_add_f32_e32 v49, v49, v50
	v_add_f32_e32 v79, v79, v80
	v_sub_f32_e32 v49, v63, v49
	v_sub_f32_e32 v50, v64, v79
	buffer_store_dword v49, off, s[0:3], 0 offset:120
	buffer_store_dword v50, off, s[0:3], 0 offset:124
	s_and_saveexec_b64 s[4:5], vcc
	s_cbranch_execz .LBB86_123
; %bb.122:
	buffer_load_dword v49, off, s[0:3], 0 offset:112
	buffer_load_dword v50, off, s[0:3], 0 offset:116
	s_waitcnt vmcnt(0)
	ds_write_b64 v47, v[49:50]
	buffer_store_dword v48, off, s[0:3], 0 offset:112
	buffer_store_dword v48, off, s[0:3], 0 offset:116
.LBB86_123:
	s_or_b64 exec, exec, s[4:5]
	s_waitcnt lgkmcnt(0)
	; wave barrier
	buffer_load_dword v65, off, s[0:3], 0 offset:124
	buffer_load_dword v66, off, s[0:3], 0 offset:132
	;; [unrolled: 1-line block ×18, first 2 shown]
	ds_read2_b64 v[49:52], v48 offset0:39 offset1:40
	ds_read2_b64 v[53:56], v48 offset0:41 offset1:42
	;; [unrolled: 1-line block ×4, first 2 shown]
	v_cmp_lt_u32_e32 vcc, 13, v0
	s_waitcnt vmcnt(17) lgkmcnt(3)
	v_mul_f32_e32 v48, v49, v65
	v_mul_f32_e32 v65, v50, v65
	s_waitcnt vmcnt(16)
	v_mul_f32_e32 v83, v51, v66
	v_mul_f32_e32 v66, v52, v66
	s_waitcnt vmcnt(15) lgkmcnt(2)
	v_mul_f32_e32 v84, v53, v67
	v_mul_f32_e32 v67, v54, v67
	s_waitcnt vmcnt(14)
	v_mul_f32_e32 v85, v55, v68
	v_mul_f32_e32 v68, v56, v68
	s_waitcnt vmcnt(9)
	v_fma_f32 v49, v49, v73, -v65
	v_fmac_f32_e32 v48, v50, v73
	s_waitcnt vmcnt(8)
	v_fma_f32 v50, v51, v74, -v66
	v_add_f32_e32 v49, 0, v49
	v_fmac_f32_e32 v83, v52, v74
	s_waitcnt vmcnt(7)
	v_fma_f32 v51, v53, v75, -v67
	v_add_f32_e32 v48, 0, v48
	v_add_f32_e32 v49, v49, v50
	s_waitcnt lgkmcnt(1)
	v_mul_f32_e32 v86, v57, v69
	v_mul_f32_e32 v69, v58, v69
	v_fmac_f32_e32 v84, v54, v75
	s_waitcnt vmcnt(6)
	v_fma_f32 v52, v55, v76, -v68
	v_add_f32_e32 v48, v48, v83
	v_add_f32_e32 v49, v49, v51
	v_mul_f32_e32 v87, v59, v70
	v_mul_f32_e32 v70, v60, v70
	v_fmac_f32_e32 v85, v56, v76
	s_waitcnt vmcnt(5)
	v_fma_f32 v53, v57, v77, -v69
	v_add_f32_e32 v48, v48, v84
	v_add_f32_e32 v49, v49, v52
	s_waitcnt lgkmcnt(0)
	v_mul_f32_e32 v88, v61, v71
	v_mul_f32_e32 v71, v62, v71
	v_fmac_f32_e32 v86, v58, v77
	s_waitcnt vmcnt(4)
	v_fma_f32 v54, v59, v78, -v70
	v_add_f32_e32 v48, v48, v85
	v_add_f32_e32 v49, v49, v53
	v_mul_f32_e32 v89, v63, v72
	v_mul_f32_e32 v72, v64, v72
	v_fmac_f32_e32 v87, v60, v78
	s_waitcnt vmcnt(3)
	v_fma_f32 v55, v61, v79, -v71
	v_add_f32_e32 v48, v48, v86
	v_add_f32_e32 v49, v49, v54
	v_fmac_f32_e32 v88, v62, v79
	s_waitcnt vmcnt(2)
	v_fma_f32 v56, v63, v80, -v72
	v_add_f32_e32 v48, v48, v87
	v_add_f32_e32 v49, v49, v55
	v_fmac_f32_e32 v89, v64, v80
	v_add_f32_e32 v48, v48, v88
	v_add_f32_e32 v49, v49, v56
	v_add_f32_e32 v48, v48, v89
	s_waitcnt vmcnt(1)
	v_sub_f32_e32 v49, v81, v49
	s_waitcnt vmcnt(0)
	v_sub_f32_e32 v48, v82, v48
	buffer_store_dword v49, off, s[0:3], 0 offset:112
	buffer_store_dword v48, off, s[0:3], 0 offset:116
	s_and_saveexec_b64 s[4:5], vcc
	s_cbranch_execz .LBB86_125
; %bb.124:
	buffer_load_dword v48, off, s[0:3], 0 offset:104
	buffer_load_dword v49, off, s[0:3], 0 offset:108
	v_mov_b32_e32 v50, 0
	buffer_store_dword v50, off, s[0:3], 0 offset:104
	buffer_store_dword v50, off, s[0:3], 0 offset:108
	s_waitcnt vmcnt(2)
	ds_write_b64 v47, v[48:49]
.LBB86_125:
	s_or_b64 exec, exec, s[4:5]
	s_waitcnt lgkmcnt(0)
	; wave barrier
	buffer_load_dword v67, off, s[0:3], 0 offset:116
	buffer_load_dword v68, off, s[0:3], 0 offset:124
	;; [unrolled: 1-line block ×20, first 2 shown]
	v_mov_b32_e32 v48, 0
	ds_read_b128 v[49:52], v48 offset:304
	ds_read_b128 v[53:56], v48 offset:320
	;; [unrolled: 1-line block ×4, first 2 shown]
	ds_read_b64 v[65:66], v48 offset:368
	v_cmp_lt_u32_e32 vcc, 12, v0
	s_waitcnt vmcnt(19) lgkmcnt(4)
	v_mul_f32_e32 v87, v49, v67
	v_mul_f32_e32 v67, v50, v67
	s_waitcnt vmcnt(18)
	v_mul_f32_e32 v88, v51, v68
	v_mul_f32_e32 v68, v52, v68
	s_waitcnt vmcnt(17) lgkmcnt(3)
	v_mul_f32_e32 v89, v53, v69
	s_waitcnt vmcnt(15) lgkmcnt(2)
	v_mul_f32_e32 v91, v57, v71
	v_mul_f32_e32 v69, v54, v69
	;; [unrolled: 1-line block ×4, first 2 shown]
	s_waitcnt vmcnt(10)
	v_fma_f32 v49, v49, v76, -v67
	v_fmac_f32_e32 v87, v50, v76
	s_waitcnt vmcnt(9)
	v_fma_f32 v50, v51, v77, -v68
	v_add_f32_e32 v49, 0, v49
	v_mul_f32_e32 v71, v58, v71
	v_fmac_f32_e32 v88, v52, v77
	s_waitcnt vmcnt(6)
	v_fmac_f32_e32 v91, v58, v80
	v_fma_f32 v51, v53, v78, -v69
	v_add_f32_e32 v58, 0, v87
	v_add_f32_e32 v49, v49, v50
	v_fmac_f32_e32 v89, v54, v78
	v_fma_f32 v52, v55, v79, -v70
	v_add_f32_e32 v58, v58, v88
	v_add_f32_e32 v49, v49, v51
	v_mul_f32_e32 v92, v59, v72
	v_mul_f32_e32 v72, v60, v72
	v_fmac_f32_e32 v90, v56, v79
	v_fma_f32 v53, v57, v80, -v71
	v_add_f32_e32 v50, v58, v89
	v_add_f32_e32 v49, v49, v52
	s_waitcnt lgkmcnt(1)
	v_mul_f32_e32 v93, v61, v73
	v_mul_f32_e32 v73, v62, v73
	s_waitcnt vmcnt(5)
	v_fma_f32 v54, v59, v81, -v72
	v_add_f32_e32 v50, v50, v90
	v_add_f32_e32 v49, v49, v53
	v_mul_f32_e32 v94, v63, v74
	v_mul_f32_e32 v74, v64, v74
	v_fmac_f32_e32 v92, v60, v81
	s_waitcnt vmcnt(4)
	v_fma_f32 v55, v61, v82, -v73
	v_add_f32_e32 v50, v50, v91
	v_add_f32_e32 v49, v49, v54
	s_waitcnt lgkmcnt(0)
	v_mul_f32_e32 v95, v65, v75
	v_mul_f32_e32 v75, v66, v75
	v_fmac_f32_e32 v93, v62, v82
	s_waitcnt vmcnt(3)
	v_fma_f32 v56, v63, v83, -v74
	v_add_f32_e32 v50, v50, v92
	v_add_f32_e32 v49, v49, v55
	v_fmac_f32_e32 v94, v64, v83
	s_waitcnt vmcnt(2)
	v_fma_f32 v57, v65, v84, -v75
	v_add_f32_e32 v50, v50, v93
	v_add_f32_e32 v49, v49, v56
	v_fmac_f32_e32 v95, v66, v84
	v_add_f32_e32 v50, v50, v94
	v_add_f32_e32 v49, v49, v57
	v_add_f32_e32 v50, v50, v95
	s_waitcnt vmcnt(1)
	v_sub_f32_e32 v49, v85, v49
	s_waitcnt vmcnt(0)
	v_sub_f32_e32 v50, v86, v50
	buffer_store_dword v49, off, s[0:3], 0 offset:104
	buffer_store_dword v50, off, s[0:3], 0 offset:108
	s_and_saveexec_b64 s[4:5], vcc
	s_cbranch_execz .LBB86_127
; %bb.126:
	buffer_load_dword v49, off, s[0:3], 0 offset:96
	buffer_load_dword v50, off, s[0:3], 0 offset:100
	s_waitcnt vmcnt(0)
	ds_write_b64 v47, v[49:50]
	buffer_store_dword v48, off, s[0:3], 0 offset:96
	buffer_store_dword v48, off, s[0:3], 0 offset:100
.LBB86_127:
	s_or_b64 exec, exec, s[4:5]
	s_waitcnt lgkmcnt(0)
	; wave barrier
	buffer_load_dword v69, off, s[0:3], 0 offset:108
	buffer_load_dword v70, off, s[0:3], 0 offset:116
	;; [unrolled: 1-line block ×22, first 2 shown]
	ds_read2_b64 v[49:52], v48 offset0:37 offset1:38
	ds_read2_b64 v[53:56], v48 offset0:39 offset1:40
	;; [unrolled: 1-line block ×5, first 2 shown]
	v_cmp_lt_u32_e32 vcc, 11, v0
	s_waitcnt vmcnt(21) lgkmcnt(4)
	v_mul_f32_e32 v48, v49, v69
	v_mul_f32_e32 v69, v50, v69
	s_waitcnt vmcnt(20)
	v_mul_f32_e32 v91, v51, v70
	v_mul_f32_e32 v70, v52, v70
	s_waitcnt vmcnt(19) lgkmcnt(3)
	v_mul_f32_e32 v92, v53, v71
	v_mul_f32_e32 v71, v54, v71
	s_waitcnt vmcnt(18)
	v_mul_f32_e32 v93, v55, v72
	v_mul_f32_e32 v72, v56, v72
	s_waitcnt vmcnt(17) lgkmcnt(2)
	v_mul_f32_e32 v94, v57, v73
	v_mul_f32_e32 v73, v58, v73
	s_waitcnt vmcnt(11)
	v_fma_f32 v49, v49, v79, -v69
	v_fmac_f32_e32 v48, v50, v79
	s_waitcnt vmcnt(10)
	v_fma_f32 v50, v51, v80, -v70
	v_add_f32_e32 v49, 0, v49
	v_fmac_f32_e32 v91, v52, v80
	s_waitcnt vmcnt(9)
	v_fma_f32 v51, v53, v81, -v71
	v_add_f32_e32 v48, 0, v48
	v_add_f32_e32 v49, v49, v50
	v_fmac_f32_e32 v92, v54, v81
	s_waitcnt vmcnt(8)
	v_fma_f32 v52, v55, v82, -v72
	v_add_f32_e32 v48, v48, v91
	v_add_f32_e32 v49, v49, v51
	v_mul_f32_e32 v95, v59, v74
	v_mul_f32_e32 v74, v60, v74
	v_fmac_f32_e32 v93, v56, v82
	s_waitcnt vmcnt(7)
	v_fma_f32 v53, v57, v83, -v73
	v_add_f32_e32 v48, v48, v92
	v_add_f32_e32 v49, v49, v52
	s_waitcnt lgkmcnt(1)
	v_mul_f32_e32 v96, v61, v75
	v_mul_f32_e32 v75, v62, v75
	v_fmac_f32_e32 v94, v58, v83
	s_waitcnt vmcnt(6)
	v_fma_f32 v54, v59, v84, -v74
	v_add_f32_e32 v48, v48, v93
	v_add_f32_e32 v49, v49, v53
	v_mul_f32_e32 v97, v63, v76
	v_mul_f32_e32 v76, v64, v76
	v_fmac_f32_e32 v95, v60, v84
	s_waitcnt vmcnt(5)
	v_fma_f32 v55, v61, v85, -v75
	v_add_f32_e32 v48, v48, v94
	v_add_f32_e32 v49, v49, v54
	s_waitcnt lgkmcnt(0)
	v_mul_f32_e32 v98, v65, v77
	v_mul_f32_e32 v77, v66, v77
	v_fmac_f32_e32 v96, v62, v85
	s_waitcnt vmcnt(4)
	v_fma_f32 v56, v63, v86, -v76
	v_add_f32_e32 v48, v48, v95
	v_add_f32_e32 v49, v49, v55
	v_mul_f32_e32 v99, v67, v78
	v_mul_f32_e32 v78, v68, v78
	v_fmac_f32_e32 v97, v64, v86
	s_waitcnt vmcnt(3)
	v_fma_f32 v57, v65, v87, -v77
	v_add_f32_e32 v48, v48, v96
	v_add_f32_e32 v49, v49, v56
	v_fmac_f32_e32 v98, v66, v87
	s_waitcnt vmcnt(2)
	v_fma_f32 v58, v67, v88, -v78
	v_add_f32_e32 v48, v48, v97
	v_add_f32_e32 v49, v49, v57
	v_fmac_f32_e32 v99, v68, v88
	v_add_f32_e32 v48, v48, v98
	v_add_f32_e32 v49, v49, v58
	;; [unrolled: 1-line block ×3, first 2 shown]
	s_waitcnt vmcnt(1)
	v_sub_f32_e32 v49, v89, v49
	s_waitcnt vmcnt(0)
	v_sub_f32_e32 v48, v90, v48
	buffer_store_dword v49, off, s[0:3], 0 offset:96
	buffer_store_dword v48, off, s[0:3], 0 offset:100
	s_and_saveexec_b64 s[4:5], vcc
	s_cbranch_execz .LBB86_129
; %bb.128:
	buffer_load_dword v48, off, s[0:3], 0 offset:88
	buffer_load_dword v49, off, s[0:3], 0 offset:92
	v_mov_b32_e32 v50, 0
	buffer_store_dword v50, off, s[0:3], 0 offset:88
	buffer_store_dword v50, off, s[0:3], 0 offset:92
	s_waitcnt vmcnt(2)
	ds_write_b64 v47, v[48:49]
.LBB86_129:
	s_or_b64 exec, exec, s[4:5]
	s_waitcnt lgkmcnt(0)
	; wave barrier
	buffer_load_dword v71, off, s[0:3], 0 offset:100
	buffer_load_dword v72, off, s[0:3], 0 offset:108
	;; [unrolled: 1-line block ×24, first 2 shown]
	v_mov_b32_e32 v48, 0
	ds_read_b128 v[49:52], v48 offset:288
	ds_read_b128 v[53:56], v48 offset:304
	;; [unrolled: 1-line block ×5, first 2 shown]
	ds_read_b64 v[69:70], v48 offset:368
	v_cmp_lt_u32_e32 vcc, 10, v0
	s_waitcnt vmcnt(23) lgkmcnt(5)
	v_mul_f32_e32 v95, v49, v71
	v_mul_f32_e32 v71, v50, v71
	s_waitcnt vmcnt(22)
	v_mul_f32_e32 v96, v51, v72
	v_mul_f32_e32 v72, v52, v72
	s_waitcnt vmcnt(21) lgkmcnt(4)
	v_mul_f32_e32 v97, v53, v73
	v_mul_f32_e32 v73, v54, v73
	s_waitcnt vmcnt(20)
	v_mul_f32_e32 v98, v55, v74
	s_waitcnt vmcnt(19) lgkmcnt(3)
	v_mul_f32_e32 v99, v57, v75
	v_mul_f32_e32 v74, v56, v74
	;; [unrolled: 1-line block ×3, first 2 shown]
	s_waitcnt vmcnt(18)
	v_mul_f32_e32 v100, v59, v76
	s_waitcnt vmcnt(12)
	v_fma_f32 v49, v49, v82, -v71
	v_fmac_f32_e32 v95, v50, v82
	s_waitcnt vmcnt(11)
	v_fma_f32 v50, v51, v83, -v72
	v_add_f32_e32 v49, 0, v49
	s_waitcnt vmcnt(10)
	v_fma_f32 v51, v53, v84, -v73
	v_add_f32_e32 v49, v49, v50
	v_fmac_f32_e32 v96, v52, v83
	s_waitcnt vmcnt(8)
	v_fmac_f32_e32 v99, v58, v86
	v_fma_f32 v52, v55, v85, -v74
	v_add_f32_e32 v58, 0, v95
	v_add_f32_e32 v49, v49, v51
	v_mul_f32_e32 v76, v60, v76
	v_fmac_f32_e32 v97, v54, v84
	v_fma_f32 v53, v57, v86, -v75
	v_add_f32_e32 v58, v58, v96
	v_add_f32_e32 v49, v49, v52
	s_waitcnt lgkmcnt(2)
	v_mul_f32_e32 v101, v61, v77
	v_mul_f32_e32 v77, v62, v77
	v_fmac_f32_e32 v98, v56, v85
	s_waitcnt vmcnt(7)
	v_fma_f32 v54, v59, v87, -v76
	v_add_f32_e32 v50, v58, v97
	v_add_f32_e32 v49, v49, v53
	v_mul_f32_e32 v102, v63, v78
	v_mul_f32_e32 v78, v64, v78
	s_waitcnt vmcnt(6)
	v_fma_f32 v55, v61, v88, -v77
	v_add_f32_e32 v50, v50, v98
	v_add_f32_e32 v49, v49, v54
	s_waitcnt lgkmcnt(1)
	v_mul_f32_e32 v103, v65, v79
	v_mul_f32_e32 v79, v66, v79
	v_fmac_f32_e32 v100, v60, v87
	s_waitcnt vmcnt(5)
	v_fma_f32 v56, v63, v89, -v78
	v_add_f32_e32 v50, v50, v99
	v_add_f32_e32 v49, v49, v55
	v_fmac_f32_e32 v101, v62, v88
	s_waitcnt vmcnt(4)
	v_fma_f32 v57, v65, v90, -v79
	v_add_f32_e32 v50, v50, v100
	v_add_f32_e32 v49, v49, v56
	v_mul_f32_e32 v51, v68, v80
	v_fmac_f32_e32 v102, v64, v89
	v_add_f32_e32 v50, v50, v101
	v_add_f32_e32 v49, v49, v57
	s_waitcnt vmcnt(3)
	v_fma_f32 v51, v67, v91, -v51
	v_mul_f32_e32 v104, v67, v80
	v_fmac_f32_e32 v103, v66, v90
	v_add_f32_e32 v50, v50, v102
	v_add_f32_e32 v49, v49, v51
	s_waitcnt lgkmcnt(0)
	v_mul_f32_e32 v51, v70, v81
	v_mul_f32_e32 v105, v69, v81
	v_fmac_f32_e32 v104, v68, v91
	v_add_f32_e32 v50, v50, v103
	s_waitcnt vmcnt(2)
	v_fma_f32 v51, v69, v92, -v51
	v_fmac_f32_e32 v105, v70, v92
	v_add_f32_e32 v50, v50, v104
	v_add_f32_e32 v49, v49, v51
	;; [unrolled: 1-line block ×3, first 2 shown]
	s_waitcnt vmcnt(1)
	v_sub_f32_e32 v49, v93, v49
	s_waitcnt vmcnt(0)
	v_sub_f32_e32 v50, v94, v50
	buffer_store_dword v49, off, s[0:3], 0 offset:88
	buffer_store_dword v50, off, s[0:3], 0 offset:92
	s_and_saveexec_b64 s[4:5], vcc
	s_cbranch_execz .LBB86_131
; %bb.130:
	buffer_load_dword v49, off, s[0:3], 0 offset:80
	buffer_load_dword v50, off, s[0:3], 0 offset:84
	s_waitcnt vmcnt(0)
	ds_write_b64 v47, v[49:50]
	buffer_store_dword v48, off, s[0:3], 0 offset:80
	buffer_store_dword v48, off, s[0:3], 0 offset:84
.LBB86_131:
	s_or_b64 exec, exec, s[4:5]
	s_waitcnt lgkmcnt(0)
	; wave barrier
	buffer_load_dword v73, off, s[0:3], 0 offset:92
	buffer_load_dword v74, off, s[0:3], 0 offset:100
	;; [unrolled: 1-line block ×26, first 2 shown]
	ds_read2_b64 v[49:52], v48 offset0:35 offset1:36
	ds_read2_b64 v[53:56], v48 offset0:37 offset1:38
	;; [unrolled: 1-line block ×6, first 2 shown]
	v_cmp_lt_u32_e32 vcc, 9, v0
	s_waitcnt vmcnt(25) lgkmcnt(5)
	v_mul_f32_e32 v48, v49, v73
	v_mul_f32_e32 v73, v50, v73
	s_waitcnt vmcnt(24)
	v_mul_f32_e32 v99, v51, v74
	v_mul_f32_e32 v74, v52, v74
	s_waitcnt vmcnt(23) lgkmcnt(4)
	v_mul_f32_e32 v100, v53, v75
	v_mul_f32_e32 v75, v54, v75
	s_waitcnt vmcnt(22)
	v_mul_f32_e32 v101, v55, v76
	v_mul_f32_e32 v76, v56, v76
	;; [unrolled: 6-line block ×3, first 2 shown]
	s_waitcnt vmcnt(13)
	v_fma_f32 v49, v49, v85, -v73
	v_fmac_f32_e32 v48, v50, v85
	s_waitcnt vmcnt(12)
	v_fma_f32 v50, v51, v86, -v74
	v_add_f32_e32 v49, 0, v49
	s_waitcnt vmcnt(11)
	v_fma_f32 v51, v53, v87, -v75
	v_add_f32_e32 v49, v49, v50
	v_fmac_f32_e32 v99, v52, v86
	s_waitcnt vmcnt(10)
	v_fma_f32 v52, v55, v88, -v76
	v_add_f32_e32 v49, v49, v51
	s_waitcnt vmcnt(9)
	v_fma_f32 v53, v57, v89, -v77
	v_add_f32_e32 v49, v49, v52
	s_waitcnt lgkmcnt(2)
	v_mul_f32_e32 v104, v61, v79
	v_mul_f32_e32 v79, v62, v79
	v_fmac_f32_e32 v100, v54, v87
	s_waitcnt vmcnt(8)
	v_fma_f32 v54, v59, v90, -v78
	v_add_f32_e32 v48, 0, v48
	v_add_f32_e32 v49, v49, v53
	v_mul_f32_e32 v105, v63, v80
	v_mul_f32_e32 v80, v64, v80
	s_waitcnt vmcnt(7)
	v_fma_f32 v55, v61, v91, -v79
	v_add_f32_e32 v48, v48, v99
	v_add_f32_e32 v49, v49, v54
	v_fmac_f32_e32 v101, v56, v88
	s_waitcnt vmcnt(6)
	v_fma_f32 v56, v63, v92, -v80
	v_add_f32_e32 v48, v48, v100
	v_add_f32_e32 v49, v49, v55
	s_waitcnt lgkmcnt(1)
	v_mul_f32_e32 v50, v66, v81
	v_fmac_f32_e32 v102, v58, v89
	v_add_f32_e32 v48, v48, v101
	v_add_f32_e32 v49, v49, v56
	s_waitcnt vmcnt(5)
	v_fma_f32 v50, v65, v93, -v50
	v_fmac_f32_e32 v103, v60, v90
	v_add_f32_e32 v48, v48, v102
	v_add_f32_e32 v49, v49, v50
	v_mul_f32_e32 v50, v68, v82
	v_fmac_f32_e32 v104, v62, v91
	v_add_f32_e32 v48, v48, v103
	s_waitcnt vmcnt(4)
	v_fma_f32 v50, v67, v94, -v50
	v_mul_f32_e32 v106, v65, v81
	v_fmac_f32_e32 v105, v64, v92
	v_add_f32_e32 v48, v48, v104
	v_add_f32_e32 v49, v49, v50
	s_waitcnt lgkmcnt(0)
	v_mul_f32_e32 v50, v70, v83
	v_mul_f32_e32 v107, v67, v82
	v_fmac_f32_e32 v106, v66, v93
	v_add_f32_e32 v48, v48, v105
	s_waitcnt vmcnt(3)
	v_fma_f32 v50, v69, v95, -v50
	v_mul_f32_e32 v108, v69, v83
	v_fmac_f32_e32 v107, v68, v94
	v_add_f32_e32 v48, v48, v106
	v_add_f32_e32 v49, v49, v50
	v_mul_f32_e32 v50, v72, v84
	v_mul_f32_e32 v109, v71, v84
	v_fmac_f32_e32 v108, v70, v95
	v_add_f32_e32 v48, v48, v107
	s_waitcnt vmcnt(2)
	v_fma_f32 v50, v71, v96, -v50
	v_fmac_f32_e32 v109, v72, v96
	v_add_f32_e32 v48, v48, v108
	v_add_f32_e32 v49, v49, v50
	;; [unrolled: 1-line block ×3, first 2 shown]
	s_waitcnt vmcnt(1)
	v_sub_f32_e32 v49, v97, v49
	s_waitcnt vmcnt(0)
	v_sub_f32_e32 v48, v98, v48
	buffer_store_dword v49, off, s[0:3], 0 offset:80
	buffer_store_dword v48, off, s[0:3], 0 offset:84
	s_and_saveexec_b64 s[4:5], vcc
	s_cbranch_execz .LBB86_133
; %bb.132:
	buffer_load_dword v48, off, s[0:3], 0 offset:72
	buffer_load_dword v49, off, s[0:3], 0 offset:76
	v_mov_b32_e32 v50, 0
	buffer_store_dword v50, off, s[0:3], 0 offset:72
	buffer_store_dword v50, off, s[0:3], 0 offset:76
	s_waitcnt vmcnt(2)
	ds_write_b64 v47, v[48:49]
.LBB86_133:
	s_or_b64 exec, exec, s[4:5]
	s_waitcnt lgkmcnt(0)
	; wave barrier
	buffer_load_dword v75, off, s[0:3], 0 offset:84
	buffer_load_dword v76, off, s[0:3], 0 offset:92
	buffer_load_dword v77, off, s[0:3], 0 offset:100
	buffer_load_dword v78, off, s[0:3], 0 offset:108
	buffer_load_dword v79, off, s[0:3], 0 offset:116
	buffer_load_dword v80, off, s[0:3], 0 offset:124
	buffer_load_dword v81, off, s[0:3], 0 offset:132
	buffer_load_dword v82, off, s[0:3], 0 offset:140
	buffer_load_dword v83, off, s[0:3], 0 offset:148
	buffer_load_dword v84, off, s[0:3], 0 offset:156
	buffer_load_dword v85, off, s[0:3], 0 offset:164
	buffer_load_dword v86, off, s[0:3], 0 offset:172
	buffer_load_dword v87, off, s[0:3], 0 offset:180
	buffer_load_dword v88, off, s[0:3], 0 offset:80
	buffer_load_dword v89, off, s[0:3], 0 offset:88
	buffer_load_dword v90, off, s[0:3], 0 offset:96
	buffer_load_dword v91, off, s[0:3], 0 offset:104
	buffer_load_dword v92, off, s[0:3], 0 offset:112
	buffer_load_dword v93, off, s[0:3], 0 offset:120
	buffer_load_dword v94, off, s[0:3], 0 offset:128
	buffer_load_dword v95, off, s[0:3], 0 offset:136
	buffer_load_dword v96, off, s[0:3], 0 offset:144
	buffer_load_dword v97, off, s[0:3], 0 offset:152
	buffer_load_dword v98, off, s[0:3], 0 offset:160
	buffer_load_dword v99, off, s[0:3], 0 offset:168
	buffer_load_dword v100, off, s[0:3], 0 offset:176
	buffer_load_dword v101, off, s[0:3], 0 offset:72
	buffer_load_dword v102, off, s[0:3], 0 offset:76
	v_mov_b32_e32 v48, 0
	ds_read_b128 v[49:52], v48 offset:272
	ds_read_b128 v[53:56], v48 offset:288
	;; [unrolled: 1-line block ×6, first 2 shown]
	ds_read_b64 v[73:74], v48 offset:368
	v_cmp_lt_u32_e32 vcc, 8, v0
	s_waitcnt vmcnt(27) lgkmcnt(6)
	v_mul_f32_e32 v103, v49, v75
	v_mul_f32_e32 v75, v50, v75
	s_waitcnt vmcnt(26)
	v_mul_f32_e32 v104, v51, v76
	v_mul_f32_e32 v76, v52, v76
	s_waitcnt vmcnt(25) lgkmcnt(5)
	v_mul_f32_e32 v105, v53, v77
	v_mul_f32_e32 v77, v54, v77
	s_waitcnt vmcnt(24)
	v_mul_f32_e32 v106, v55, v78
	v_mul_f32_e32 v78, v56, v78
	;; [unrolled: 6-line block ×3, first 2 shown]
	s_waitcnt vmcnt(21) lgkmcnt(3)
	v_mul_f32_e32 v109, v61, v81
	s_waitcnt vmcnt(14)
	v_fma_f32 v49, v49, v88, -v75
	v_fmac_f32_e32 v103, v50, v88
	s_waitcnt vmcnt(13)
	v_fma_f32 v50, v51, v89, -v76
	v_add_f32_e32 v49, 0, v49
	s_waitcnt vmcnt(12)
	v_fma_f32 v51, v53, v90, -v77
	v_add_f32_e32 v49, v49, v50
	v_fmac_f32_e32 v104, v52, v89
	s_waitcnt vmcnt(11)
	v_fma_f32 v52, v55, v91, -v78
	v_add_f32_e32 v49, v49, v51
	s_waitcnt vmcnt(10)
	v_fma_f32 v53, v57, v92, -v79
	v_add_f32_e32 v49, v49, v52
	v_fmac_f32_e32 v105, v54, v90
	s_waitcnt vmcnt(9)
	v_fma_f32 v54, v59, v93, -v80
	v_add_f32_e32 v49, v49, v53
	v_mul_f32_e32 v51, v62, v81
	v_add_f32_e32 v49, v49, v54
	s_waitcnt vmcnt(8)
	v_fma_f32 v51, v61, v94, -v51
	v_add_f32_e32 v49, v49, v51
	v_mul_f32_e32 v51, v64, v82
	v_add_f32_e32 v55, 0, v103
	s_waitcnt vmcnt(7)
	v_fma_f32 v51, v63, v95, -v51
	v_add_f32_e32 v55, v55, v104
	v_add_f32_e32 v49, v49, v51
	s_waitcnt lgkmcnt(2)
	v_mul_f32_e32 v51, v66, v83
	v_fmac_f32_e32 v106, v56, v91
	v_add_f32_e32 v50, v55, v105
	s_waitcnt vmcnt(6)
	v_fma_f32 v51, v65, v96, -v51
	v_fmac_f32_e32 v107, v58, v92
	v_add_f32_e32 v50, v50, v106
	v_add_f32_e32 v49, v49, v51
	v_mul_f32_e32 v51, v68, v84
	v_fmac_f32_e32 v108, v60, v93
	v_add_f32_e32 v50, v50, v107
	s_waitcnt vmcnt(5)
	v_fma_f32 v51, v67, v97, -v51
	v_mul_f32_e32 v110, v63, v82
	v_fmac_f32_e32 v109, v62, v94
	v_add_f32_e32 v50, v50, v108
	v_add_f32_e32 v49, v49, v51
	s_waitcnt lgkmcnt(1)
	v_mul_f32_e32 v51, v70, v85
	v_mul_f32_e32 v111, v65, v83
	v_fmac_f32_e32 v110, v64, v95
	v_add_f32_e32 v50, v50, v109
	s_waitcnt vmcnt(4)
	v_fma_f32 v51, v69, v98, -v51
	v_mul_f32_e32 v112, v67, v84
	v_fmac_f32_e32 v111, v66, v96
	v_add_f32_e32 v50, v50, v110
	v_add_f32_e32 v49, v49, v51
	v_mul_f32_e32 v51, v72, v86
	v_mul_f32_e32 v113, v69, v85
	v_fmac_f32_e32 v112, v68, v97
	v_add_f32_e32 v50, v50, v111
	s_waitcnt vmcnt(3)
	v_fma_f32 v51, v71, v99, -v51
	v_mul_f32_e32 v114, v71, v86
	v_fmac_f32_e32 v113, v70, v98
	v_add_f32_e32 v50, v50, v112
	v_add_f32_e32 v49, v49, v51
	s_waitcnt lgkmcnt(0)
	v_mul_f32_e32 v51, v74, v87
	v_mul_f32_e32 v115, v73, v87
	v_fmac_f32_e32 v114, v72, v99
	v_add_f32_e32 v50, v50, v113
	s_waitcnt vmcnt(2)
	v_fma_f32 v51, v73, v100, -v51
	v_fmac_f32_e32 v115, v74, v100
	v_add_f32_e32 v50, v50, v114
	v_add_f32_e32 v49, v49, v51
	;; [unrolled: 1-line block ×3, first 2 shown]
	s_waitcnt vmcnt(1)
	v_sub_f32_e32 v49, v101, v49
	s_waitcnt vmcnt(0)
	v_sub_f32_e32 v50, v102, v50
	buffer_store_dword v49, off, s[0:3], 0 offset:72
	buffer_store_dword v50, off, s[0:3], 0 offset:76
	s_and_saveexec_b64 s[4:5], vcc
	s_cbranch_execz .LBB86_135
; %bb.134:
	buffer_load_dword v49, off, s[0:3], 0 offset:64
	buffer_load_dword v50, off, s[0:3], 0 offset:68
	s_waitcnt vmcnt(0)
	ds_write_b64 v47, v[49:50]
	buffer_store_dword v48, off, s[0:3], 0 offset:64
	buffer_store_dword v48, off, s[0:3], 0 offset:68
.LBB86_135:
	s_or_b64 exec, exec, s[4:5]
	s_waitcnt lgkmcnt(0)
	; wave barrier
	buffer_load_dword v77, off, s[0:3], 0 offset:76
	buffer_load_dword v78, off, s[0:3], 0 offset:84
	;; [unrolled: 1-line block ×30, first 2 shown]
	ds_read2_b64 v[49:52], v48 offset0:33 offset1:34
	ds_read2_b64 v[53:56], v48 offset0:35 offset1:36
	;; [unrolled: 1-line block ×7, first 2 shown]
	v_cmp_lt_u32_e32 vcc, 7, v0
	s_waitcnt vmcnt(29) lgkmcnt(6)
	v_mul_f32_e32 v48, v49, v77
	v_mul_f32_e32 v77, v50, v77
	s_waitcnt vmcnt(28)
	v_mul_f32_e32 v107, v51, v78
	v_mul_f32_e32 v78, v52, v78
	s_waitcnt vmcnt(27) lgkmcnt(5)
	v_mul_f32_e32 v108, v53, v79
	v_mul_f32_e32 v79, v54, v79
	s_waitcnt vmcnt(26)
	v_mul_f32_e32 v109, v55, v80
	v_mul_f32_e32 v80, v56, v80
	s_waitcnt vmcnt(25) lgkmcnt(4)
	v_mul_f32_e32 v110, v57, v81
	v_mul_f32_e32 v81, v58, v81
	s_waitcnt vmcnt(24)
	v_mul_f32_e32 v111, v59, v82
	s_waitcnt vmcnt(23) lgkmcnt(3)
	v_mul_f32_e32 v112, v61, v83
	s_waitcnt vmcnt(22)
	v_mul_f32_e32 v113, v63, v84
	s_waitcnt vmcnt(21) lgkmcnt(2)
	v_mul_f32_e32 v114, v65, v85
	s_waitcnt vmcnt(15)
	v_fma_f32 v49, v49, v91, -v77
	v_fmac_f32_e32 v48, v50, v91
	s_waitcnt vmcnt(14)
	v_fma_f32 v50, v51, v92, -v78
	v_add_f32_e32 v49, 0, v49
	s_waitcnt vmcnt(13)
	v_fma_f32 v51, v53, v93, -v79
	v_add_f32_e32 v49, v49, v50
	v_fmac_f32_e32 v107, v52, v92
	s_waitcnt vmcnt(12)
	v_fma_f32 v52, v55, v94, -v80
	v_add_f32_e32 v49, v49, v51
	s_waitcnt vmcnt(11)
	v_fma_f32 v53, v57, v95, -v81
	v_add_f32_e32 v49, v49, v52
	v_mul_f32_e32 v50, v60, v82
	v_add_f32_e32 v49, v49, v53
	s_waitcnt vmcnt(10)
	v_fma_f32 v50, v59, v96, -v50
	v_add_f32_e32 v49, v49, v50
	v_mul_f32_e32 v50, v62, v83
	s_waitcnt vmcnt(9)
	v_fma_f32 v50, v61, v97, -v50
	v_add_f32_e32 v49, v49, v50
	v_mul_f32_e32 v50, v64, v84
	s_waitcnt vmcnt(8)
	v_fma_f32 v50, v63, v98, -v50
	v_add_f32_e32 v48, 0, v48
	v_add_f32_e32 v49, v49, v50
	v_mul_f32_e32 v50, v66, v85
	v_fmac_f32_e32 v108, v54, v93
	v_add_f32_e32 v48, v48, v107
	s_waitcnt vmcnt(7)
	v_fma_f32 v50, v65, v99, -v50
	v_fmac_f32_e32 v109, v56, v94
	v_add_f32_e32 v48, v48, v108
	v_add_f32_e32 v49, v49, v50
	v_mul_f32_e32 v50, v68, v86
	v_fmac_f32_e32 v110, v58, v95
	v_add_f32_e32 v48, v48, v109
	s_waitcnt vmcnt(6)
	v_fma_f32 v50, v67, v100, -v50
	v_fmac_f32_e32 v111, v60, v96
	v_add_f32_e32 v48, v48, v110
	v_add_f32_e32 v49, v49, v50
	s_waitcnt lgkmcnt(1)
	v_mul_f32_e32 v50, v70, v87
	v_fmac_f32_e32 v112, v62, v97
	v_add_f32_e32 v48, v48, v111
	s_waitcnt vmcnt(5)
	v_fma_f32 v50, v69, v101, -v50
	v_fmac_f32_e32 v113, v64, v98
	v_add_f32_e32 v48, v48, v112
	v_add_f32_e32 v49, v49, v50
	v_mul_f32_e32 v50, v72, v88
	v_mul_f32_e32 v115, v67, v86
	v_fmac_f32_e32 v114, v66, v99
	v_add_f32_e32 v48, v48, v113
	s_waitcnt vmcnt(4)
	v_fma_f32 v50, v71, v102, -v50
	v_mul_f32_e32 v116, v69, v87
	v_fmac_f32_e32 v115, v68, v100
	v_add_f32_e32 v48, v48, v114
	v_add_f32_e32 v49, v49, v50
	s_waitcnt lgkmcnt(0)
	v_mul_f32_e32 v50, v74, v89
	v_mul_f32_e32 v117, v71, v88
	v_fmac_f32_e32 v116, v70, v101
	v_add_f32_e32 v48, v48, v115
	s_waitcnt vmcnt(3)
	v_fma_f32 v50, v73, v103, -v50
	v_mul_f32_e32 v118, v73, v89
	v_fmac_f32_e32 v117, v72, v102
	v_add_f32_e32 v48, v48, v116
	v_add_f32_e32 v49, v49, v50
	v_mul_f32_e32 v50, v76, v90
	v_mul_f32_e32 v119, v75, v90
	v_fmac_f32_e32 v118, v74, v103
	v_add_f32_e32 v48, v48, v117
	s_waitcnt vmcnt(2)
	v_fma_f32 v50, v75, v104, -v50
	v_fmac_f32_e32 v119, v76, v104
	v_add_f32_e32 v48, v48, v118
	v_add_f32_e32 v49, v49, v50
	;; [unrolled: 1-line block ×3, first 2 shown]
	s_waitcnt vmcnt(1)
	v_sub_f32_e32 v49, v105, v49
	s_waitcnt vmcnt(0)
	v_sub_f32_e32 v48, v106, v48
	buffer_store_dword v49, off, s[0:3], 0 offset:64
	buffer_store_dword v48, off, s[0:3], 0 offset:68
	s_and_saveexec_b64 s[4:5], vcc
	s_cbranch_execz .LBB86_137
; %bb.136:
	buffer_load_dword v48, off, s[0:3], 0 offset:56
	buffer_load_dword v49, off, s[0:3], 0 offset:60
	v_mov_b32_e32 v50, 0
	buffer_store_dword v50, off, s[0:3], 0 offset:56
	buffer_store_dword v50, off, s[0:3], 0 offset:60
	s_waitcnt vmcnt(2)
	ds_write_b64 v47, v[48:49]
.LBB86_137:
	s_or_b64 exec, exec, s[4:5]
	s_waitcnt lgkmcnt(0)
	; wave barrier
	buffer_load_dword v79, off, s[0:3], 0 offset:68
	buffer_load_dword v80, off, s[0:3], 0 offset:76
	;; [unrolled: 1-line block ×32, first 2 shown]
	v_mov_b32_e32 v48, 0
	ds_read_b128 v[49:52], v48 offset:256
	ds_read_b128 v[53:56], v48 offset:272
	;; [unrolled: 1-line block ×7, first 2 shown]
	ds_read_b64 v[77:78], v48 offset:368
	v_cmp_lt_u32_e32 vcc, 6, v0
	s_waitcnt vmcnt(31) lgkmcnt(7)
	v_mul_f32_e32 v111, v49, v79
	v_mul_f32_e32 v79, v50, v79
	s_waitcnt vmcnt(30)
	v_mul_f32_e32 v112, v51, v80
	v_mul_f32_e32 v80, v52, v80
	s_waitcnt vmcnt(29) lgkmcnt(6)
	v_mul_f32_e32 v113, v53, v81
	v_mul_f32_e32 v81, v54, v81
	s_waitcnt vmcnt(28)
	v_mul_f32_e32 v114, v55, v82
	s_waitcnt vmcnt(27) lgkmcnt(5)
	v_mul_f32_e32 v115, v57, v83
	s_waitcnt vmcnt(26)
	v_mul_f32_e32 v116, v59, v84
	s_waitcnt vmcnt(25) lgkmcnt(4)
	;; [unrolled: 4-line block ×4, first 2 shown]
	v_mul_f32_e32 v121, v69, v89
	s_waitcnt vmcnt(20)
	v_mul_f32_e32 v122, v71, v90
	s_waitcnt vmcnt(16)
	v_fma_f32 v49, v49, v94, -v79
	v_fmac_f32_e32 v111, v50, v94
	s_waitcnt vmcnt(15)
	v_fma_f32 v50, v51, v95, -v80
	v_add_f32_e32 v49, 0, v49
	s_waitcnt vmcnt(14)
	v_fma_f32 v51, v53, v96, -v81
	v_add_f32_e32 v49, v49, v50
	v_add_f32_e32 v49, v49, v51
	v_mul_f32_e32 v51, v56, v82
	s_waitcnt vmcnt(13)
	v_fma_f32 v51, v55, v97, -v51
	v_add_f32_e32 v49, v49, v51
	v_mul_f32_e32 v51, v58, v83
	s_waitcnt vmcnt(12)
	v_fma_f32 v51, v57, v98, -v51
	;; [unrolled: 4-line block ×5, first 2 shown]
	v_add_f32_e32 v49, v49, v51
	v_mul_f32_e32 v51, v66, v87
	v_fmac_f32_e32 v112, v52, v95
	v_add_f32_e32 v52, 0, v111
	s_waitcnt vmcnt(8)
	v_fma_f32 v51, v65, v102, -v51
	v_fmac_f32_e32 v113, v54, v96
	v_add_f32_e32 v52, v52, v112
	v_add_f32_e32 v49, v49, v51
	v_mul_f32_e32 v51, v68, v88
	v_fmac_f32_e32 v114, v56, v97
	v_add_f32_e32 v50, v52, v113
	s_waitcnt vmcnt(7)
	v_fma_f32 v51, v67, v103, -v51
	v_fmac_f32_e32 v115, v58, v98
	v_add_f32_e32 v50, v50, v114
	;; [unrolled: 8-line block ×4, first 2 shown]
	v_add_f32_e32 v49, v49, v51
	s_waitcnt lgkmcnt(1)
	v_mul_f32_e32 v51, v74, v91
	v_fmac_f32_e32 v120, v68, v103
	v_add_f32_e32 v50, v50, v119
	s_waitcnt vmcnt(4)
	v_fma_f32 v51, v73, v106, -v51
	v_fmac_f32_e32 v121, v70, v104
	v_add_f32_e32 v50, v50, v120
	v_add_f32_e32 v49, v49, v51
	v_mul_f32_e32 v51, v76, v92
	v_mul_f32_e32 v123, v73, v91
	v_fmac_f32_e32 v122, v72, v105
	v_add_f32_e32 v50, v50, v121
	s_waitcnt vmcnt(3)
	v_fma_f32 v51, v75, v107, -v51
	v_mul_f32_e32 v124, v75, v92
	v_fmac_f32_e32 v123, v74, v106
	v_add_f32_e32 v50, v50, v122
	v_add_f32_e32 v49, v49, v51
	s_waitcnt lgkmcnt(0)
	v_mul_f32_e32 v51, v78, v93
	v_mul_f32_e32 v125, v77, v93
	v_fmac_f32_e32 v124, v76, v107
	v_add_f32_e32 v50, v50, v123
	s_waitcnt vmcnt(2)
	v_fma_f32 v51, v77, v108, -v51
	v_fmac_f32_e32 v125, v78, v108
	v_add_f32_e32 v50, v50, v124
	v_add_f32_e32 v49, v49, v51
	;; [unrolled: 1-line block ×3, first 2 shown]
	s_waitcnt vmcnt(1)
	v_sub_f32_e32 v49, v109, v49
	s_waitcnt vmcnt(0)
	v_sub_f32_e32 v50, v110, v50
	buffer_store_dword v49, off, s[0:3], 0 offset:56
	buffer_store_dword v50, off, s[0:3], 0 offset:60
	s_and_saveexec_b64 s[4:5], vcc
	s_cbranch_execz .LBB86_139
; %bb.138:
	buffer_load_dword v49, off, s[0:3], 0 offset:48
	buffer_load_dword v50, off, s[0:3], 0 offset:52
	s_waitcnt vmcnt(0)
	ds_write_b64 v47, v[49:50]
	buffer_store_dword v48, off, s[0:3], 0 offset:48
	buffer_store_dword v48, off, s[0:3], 0 offset:52
.LBB86_139:
	s_or_b64 exec, exec, s[4:5]
	s_waitcnt lgkmcnt(0)
	; wave barrier
	ds_read2_b64 v[49:52], v48 offset0:31 offset1:32
	buffer_load_dword v81, off, s[0:3], 0 offset:48
	buffer_load_dword v82, off, s[0:3], 0 offset:52
	;; [unrolled: 1-line block ×16, first 2 shown]
	v_cmp_lt_u32_e32 vcc, 5, v0
	s_waitcnt vmcnt(12) lgkmcnt(0)
	v_mul_f32_e32 v53, v49, v84
	v_fmac_f32_e32 v53, v50, v83
	s_waitcnt vmcnt(10)
	v_mul_f32_e32 v54, v51, v86
	v_add_f32_e32 v53, 0, v53
	v_fmac_f32_e32 v54, v52, v85
	v_add_f32_e32 v57, v53, v54
	ds_read2_b64 v[53:56], v48 offset0:33 offset1:34
	v_mul_f32_e32 v50, v50, v84
	v_fma_f32 v49, v49, v83, -v50
	v_mul_f32_e32 v50, v52, v86
	v_add_f32_e32 v49, 0, v49
	s_waitcnt vmcnt(8) lgkmcnt(0)
	v_mul_f32_e32 v58, v53, v88
	v_fmac_f32_e32 v58, v54, v87
	v_add_f32_e32 v57, v57, v58
	s_waitcnt vmcnt(6)
	v_mul_f32_e32 v58, v55, v90
	v_fmac_f32_e32 v58, v56, v89
	v_add_f32_e32 v61, v57, v58
	ds_read2_b64 v[57:60], v48 offset0:35 offset1:36
	v_fma_f32 v50, v51, v85, -v50
	v_add_f32_e32 v49, v49, v50
	v_mul_f32_e32 v50, v54, v88
	v_fma_f32 v50, v53, v87, -v50
	s_waitcnt vmcnt(4) lgkmcnt(0)
	v_mul_f32_e32 v62, v57, v92
	v_fmac_f32_e32 v62, v58, v91
	v_add_f32_e32 v61, v61, v62
	s_waitcnt vmcnt(2)
	v_mul_f32_e32 v62, v59, v94
	v_fmac_f32_e32 v62, v60, v93
	v_add_f32_e32 v65, v61, v62
	ds_read2_b64 v[61:64], v48 offset0:37 offset1:38
	buffer_load_dword v97, off, s[0:3], 0 offset:112
	buffer_load_dword v98, off, s[0:3], 0 offset:116
	v_add_f32_e32 v49, v49, v50
	v_mul_f32_e32 v50, v56, v90
	v_fma_f32 v50, v55, v89, -v50
	s_waitcnt vmcnt(2) lgkmcnt(0)
	v_mul_f32_e32 v66, v61, v96
	v_fmac_f32_e32 v66, v62, v95
	v_add_f32_e32 v65, v65, v66
	v_add_f32_e32 v49, v49, v50
	v_mul_f32_e32 v50, v58, v92
	v_fma_f32 v50, v57, v91, -v50
	v_add_f32_e32 v49, v49, v50
	v_mul_f32_e32 v50, v60, v94
	v_fma_f32 v50, v59, v93, -v50
	;; [unrolled: 3-line block ×3, first 2 shown]
	v_add_f32_e32 v49, v49, v50
	s_waitcnt vmcnt(0)
	v_mul_f32_e32 v66, v63, v98
	v_fmac_f32_e32 v66, v64, v97
	v_add_f32_e32 v69, v65, v66
	ds_read2_b64 v[65:68], v48 offset0:39 offset1:40
	buffer_load_dword v99, off, s[0:3], 0 offset:120
	buffer_load_dword v100, off, s[0:3], 0 offset:124
	;; [unrolled: 1-line block ×4, first 2 shown]
	v_mul_f32_e32 v50, v64, v98
	v_fma_f32 v50, v63, v97, -v50
	v_add_f32_e32 v49, v49, v50
	s_waitcnt vmcnt(2) lgkmcnt(0)
	v_mul_f32_e32 v70, v65, v100
	v_fmac_f32_e32 v70, v66, v99
	v_add_f32_e32 v69, v69, v70
	s_waitcnt vmcnt(0)
	v_mul_f32_e32 v70, v67, v102
	v_fmac_f32_e32 v70, v68, v101
	v_add_f32_e32 v73, v69, v70
	ds_read2_b64 v[69:72], v48 offset0:41 offset1:42
	buffer_load_dword v103, off, s[0:3], 0 offset:136
	buffer_load_dword v104, off, s[0:3], 0 offset:140
	buffer_load_dword v105, off, s[0:3], 0 offset:144
	buffer_load_dword v106, off, s[0:3], 0 offset:148
	v_mul_f32_e32 v50, v66, v100
	v_fma_f32 v50, v65, v99, -v50
	v_add_f32_e32 v49, v49, v50
	v_mul_f32_e32 v50, v68, v102
	v_fma_f32 v50, v67, v101, -v50
	v_add_f32_e32 v49, v49, v50
	s_waitcnt vmcnt(2) lgkmcnt(0)
	v_mul_f32_e32 v74, v69, v104
	v_fmac_f32_e32 v74, v70, v103
	v_add_f32_e32 v73, v73, v74
	s_waitcnt vmcnt(0)
	v_mul_f32_e32 v74, v71, v106
	v_fmac_f32_e32 v74, v72, v105
	v_add_f32_e32 v77, v73, v74
	ds_read2_b64 v[73:76], v48 offset0:43 offset1:44
	buffer_load_dword v107, off, s[0:3], 0 offset:152
	buffer_load_dword v108, off, s[0:3], 0 offset:156
	;; [unrolled: 1-line block ×4, first 2 shown]
	v_mul_f32_e32 v50, v70, v104
	v_fma_f32 v50, v69, v103, -v50
	v_add_f32_e32 v49, v49, v50
	v_mul_f32_e32 v50, v72, v106
	v_fma_f32 v50, v71, v105, -v50
	v_add_f32_e32 v49, v49, v50
	s_waitcnt vmcnt(2) lgkmcnt(0)
	v_mul_f32_e32 v78, v73, v108
	v_fmac_f32_e32 v78, v74, v107
	v_add_f32_e32 v77, v77, v78
	s_waitcnt vmcnt(0)
	v_mul_f32_e32 v78, v75, v110
	v_fmac_f32_e32 v78, v76, v109
	v_add_f32_e32 v111, v77, v78
	ds_read2_b64 v[77:80], v48 offset0:45 offset1:46
	buffer_load_dword v48, off, s[0:3], 0 offset:168
	buffer_load_dword v112, off, s[0:3], 0 offset:172
	v_mul_f32_e32 v50, v74, v108
	v_fma_f32 v50, v73, v107, -v50
	v_add_f32_e32 v49, v49, v50
	v_mul_f32_e32 v50, v76, v110
	v_fma_f32 v50, v75, v109, -v50
	v_add_f32_e32 v49, v49, v50
	s_waitcnt vmcnt(0) lgkmcnt(0)
	v_mul_f32_e32 v113, v77, v112
	v_fmac_f32_e32 v113, v78, v48
	v_add_f32_e32 v111, v111, v113
	buffer_load_dword v113, off, s[0:3], 0 offset:176
	buffer_load_dword v114, off, s[0:3], 0 offset:180
	v_mul_f32_e32 v50, v78, v112
	v_fma_f32 v48, v77, v48, -v50
	v_add_f32_e32 v48, v49, v48
	s_waitcnt vmcnt(0)
	v_mul_f32_e32 v49, v80, v114
	v_mul_f32_e32 v115, v79, v114
	v_fma_f32 v49, v79, v113, -v49
	v_fmac_f32_e32 v115, v80, v113
	v_add_f32_e32 v48, v48, v49
	v_add_f32_e32 v111, v111, v115
	v_sub_f32_e32 v48, v81, v48
	v_sub_f32_e32 v49, v82, v111
	buffer_store_dword v48, off, s[0:3], 0 offset:48
	buffer_store_dword v49, off, s[0:3], 0 offset:52
	s_and_saveexec_b64 s[4:5], vcc
	s_cbranch_execz .LBB86_141
; %bb.140:
	buffer_load_dword v48, off, s[0:3], 0 offset:40
	buffer_load_dword v49, off, s[0:3], 0 offset:44
	v_mov_b32_e32 v50, 0
	buffer_store_dword v50, off, s[0:3], 0 offset:40
	buffer_store_dword v50, off, s[0:3], 0 offset:44
	s_waitcnt vmcnt(2)
	ds_write_b64 v47, v[48:49]
.LBB86_141:
	s_or_b64 exec, exec, s[4:5]
	v_mov_b32_e32 v48, 0
	s_waitcnt lgkmcnt(0)
	; wave barrier
	ds_read_b128 v[49:52], v48 offset:240
	ds_read_b128 v[53:56], v48 offset:256
	;; [unrolled: 1-line block ×4, first 2 shown]
	buffer_load_dword v83, off, s[0:3], 0 offset:40
	buffer_load_dword v84, off, s[0:3], 0 offset:44
	;; [unrolled: 1-line block ×18, first 2 shown]
	v_cmp_lt_u32_e32 vcc, 4, v0
	s_waitcnt vmcnt(14) lgkmcnt(3)
	v_mul_f32_e32 v65, v49, v86
	v_fmac_f32_e32 v65, v50, v85
	s_waitcnt vmcnt(12)
	v_mul_f32_e32 v66, v51, v88
	v_add_f32_e32 v65, 0, v65
	v_fmac_f32_e32 v66, v52, v87
	v_add_f32_e32 v65, v65, v66
	s_waitcnt vmcnt(10) lgkmcnt(2)
	v_mul_f32_e32 v66, v53, v90
	v_fmac_f32_e32 v66, v54, v89
	v_add_f32_e32 v65, v65, v66
	s_waitcnt vmcnt(8)
	v_mul_f32_e32 v66, v55, v92
	v_fmac_f32_e32 v66, v56, v91
	v_add_f32_e32 v65, v65, v66
	s_waitcnt vmcnt(6) lgkmcnt(1)
	v_mul_f32_e32 v66, v57, v94
	v_fmac_f32_e32 v66, v58, v93
	v_add_f32_e32 v65, v65, v66
	s_waitcnt vmcnt(4)
	v_mul_f32_e32 v66, v59, v96
	;; [unrolled: 8-line block ×3, first 2 shown]
	v_fmac_f32_e32 v66, v64, v99
	v_add_f32_e32 v69, v65, v66
	ds_read_b128 v[65:68], v48 offset:304
	buffer_load_dword v101, off, s[0:3], 0 offset:112
	buffer_load_dword v102, off, s[0:3], 0 offset:116
	;; [unrolled: 1-line block ×4, first 2 shown]
	v_mul_f32_e32 v50, v50, v86
	v_fma_f32 v49, v49, v85, -v50
	v_mul_f32_e32 v50, v52, v88
	v_add_f32_e32 v49, 0, v49
	v_fma_f32 v50, v51, v87, -v50
	v_add_f32_e32 v49, v49, v50
	v_mul_f32_e32 v50, v54, v90
	v_fma_f32 v50, v53, v89, -v50
	v_add_f32_e32 v49, v49, v50
	v_mul_f32_e32 v50, v56, v92
	;; [unrolled: 3-line block ×6, first 2 shown]
	v_fma_f32 v50, v63, v99, -v50
	v_add_f32_e32 v49, v49, v50
	s_waitcnt vmcnt(2) lgkmcnt(0)
	v_mul_f32_e32 v70, v65, v102
	v_fmac_f32_e32 v70, v66, v101
	v_add_f32_e32 v69, v69, v70
	s_waitcnt vmcnt(0)
	v_mul_f32_e32 v70, v67, v104
	v_fmac_f32_e32 v70, v68, v103
	v_add_f32_e32 v73, v69, v70
	ds_read_b128 v[69:72], v48 offset:320
	buffer_load_dword v105, off, s[0:3], 0 offset:128
	buffer_load_dword v106, off, s[0:3], 0 offset:132
	buffer_load_dword v107, off, s[0:3], 0 offset:136
	buffer_load_dword v108, off, s[0:3], 0 offset:140
	v_mul_f32_e32 v50, v66, v102
	v_fma_f32 v50, v65, v101, -v50
	v_add_f32_e32 v49, v49, v50
	v_mul_f32_e32 v50, v68, v104
	v_fma_f32 v50, v67, v103, -v50
	v_add_f32_e32 v49, v49, v50
	s_waitcnt vmcnt(2) lgkmcnt(0)
	v_mul_f32_e32 v74, v69, v106
	v_fmac_f32_e32 v74, v70, v105
	v_add_f32_e32 v73, v73, v74
	s_waitcnt vmcnt(0)
	v_mul_f32_e32 v74, v71, v108
	v_fmac_f32_e32 v74, v72, v107
	v_add_f32_e32 v77, v73, v74
	ds_read_b128 v[73:76], v48 offset:336
	buffer_load_dword v109, off, s[0:3], 0 offset:144
	buffer_load_dword v110, off, s[0:3], 0 offset:148
	buffer_load_dword v111, off, s[0:3], 0 offset:152
	buffer_load_dword v112, off, s[0:3], 0 offset:156
	v_mul_f32_e32 v50, v70, v106
	v_fma_f32 v50, v69, v105, -v50
	v_add_f32_e32 v49, v49, v50
	v_mul_f32_e32 v50, v72, v108
	;; [unrolled: 19-line block ×3, first 2 shown]
	v_fma_f32 v50, v75, v111, -v50
	v_add_f32_e32 v49, v49, v50
	s_waitcnt vmcnt(2) lgkmcnt(0)
	v_mul_f32_e32 v82, v77, v114
	v_fmac_f32_e32 v82, v78, v113
	v_add_f32_e32 v81, v81, v82
	s_waitcnt vmcnt(0)
	v_mul_f32_e32 v82, v79, v116
	v_fmac_f32_e32 v82, v80, v115
	v_add_f32_e32 v117, v81, v82
	ds_read_b64 v[81:82], v48 offset:368
	buffer_load_dword v118, off, s[0:3], 0 offset:176
	buffer_load_dword v119, off, s[0:3], 0 offset:180
	v_mul_f32_e32 v50, v78, v114
	v_fma_f32 v50, v77, v113, -v50
	v_add_f32_e32 v49, v49, v50
	v_mul_f32_e32 v50, v80, v116
	v_fma_f32 v50, v79, v115, -v50
	v_add_f32_e32 v49, v49, v50
	s_waitcnt vmcnt(0) lgkmcnt(0)
	v_mul_f32_e32 v50, v82, v119
	v_mul_f32_e32 v120, v81, v119
	v_fma_f32 v50, v81, v118, -v50
	v_fmac_f32_e32 v120, v82, v118
	v_add_f32_e32 v49, v49, v50
	v_add_f32_e32 v117, v117, v120
	v_sub_f32_e32 v49, v83, v49
	v_sub_f32_e32 v50, v84, v117
	buffer_store_dword v49, off, s[0:3], 0 offset:40
	buffer_store_dword v50, off, s[0:3], 0 offset:44
	s_and_saveexec_b64 s[4:5], vcc
	s_cbranch_execz .LBB86_143
; %bb.142:
	buffer_load_dword v49, off, s[0:3], 0 offset:32
	buffer_load_dword v50, off, s[0:3], 0 offset:36
	s_waitcnt vmcnt(0)
	ds_write_b64 v47, v[49:50]
	buffer_store_dword v48, off, s[0:3], 0 offset:32
	buffer_store_dword v48, off, s[0:3], 0 offset:36
.LBB86_143:
	s_or_b64 exec, exec, s[4:5]
	s_waitcnt lgkmcnt(0)
	; wave barrier
	ds_read2_b64 v[49:52], v48 offset0:29 offset1:30
	buffer_load_dword v85, off, s[0:3], 0 offset:32
	buffer_load_dword v86, off, s[0:3], 0 offset:36
	;; [unrolled: 1-line block ×16, first 2 shown]
	v_cmp_lt_u32_e32 vcc, 3, v0
	s_waitcnt vmcnt(12) lgkmcnt(0)
	v_mul_f32_e32 v53, v49, v88
	v_fmac_f32_e32 v53, v50, v87
	s_waitcnt vmcnt(10)
	v_mul_f32_e32 v54, v51, v90
	v_add_f32_e32 v53, 0, v53
	v_fmac_f32_e32 v54, v52, v89
	v_add_f32_e32 v57, v53, v54
	ds_read2_b64 v[53:56], v48 offset0:31 offset1:32
	v_mul_f32_e32 v50, v50, v88
	v_fma_f32 v49, v49, v87, -v50
	v_mul_f32_e32 v50, v52, v90
	v_add_f32_e32 v49, 0, v49
	s_waitcnt vmcnt(8) lgkmcnt(0)
	v_mul_f32_e32 v58, v53, v92
	v_fmac_f32_e32 v58, v54, v91
	v_add_f32_e32 v57, v57, v58
	s_waitcnt vmcnt(6)
	v_mul_f32_e32 v58, v55, v94
	v_fmac_f32_e32 v58, v56, v93
	v_add_f32_e32 v61, v57, v58
	ds_read2_b64 v[57:60], v48 offset0:33 offset1:34
	v_fma_f32 v50, v51, v89, -v50
	v_add_f32_e32 v49, v49, v50
	v_mul_f32_e32 v50, v54, v92
	v_fma_f32 v50, v53, v91, -v50
	s_waitcnt vmcnt(4) lgkmcnt(0)
	v_mul_f32_e32 v62, v57, v96
	v_fmac_f32_e32 v62, v58, v95
	v_add_f32_e32 v61, v61, v62
	s_waitcnt vmcnt(2)
	v_mul_f32_e32 v62, v59, v98
	v_fmac_f32_e32 v62, v60, v97
	v_add_f32_e32 v65, v61, v62
	ds_read2_b64 v[61:64], v48 offset0:35 offset1:36
	buffer_load_dword v101, off, s[0:3], 0 offset:96
	buffer_load_dword v102, off, s[0:3], 0 offset:100
	v_add_f32_e32 v49, v49, v50
	v_mul_f32_e32 v50, v56, v94
	v_fma_f32 v50, v55, v93, -v50
	s_waitcnt vmcnt(2) lgkmcnt(0)
	v_mul_f32_e32 v66, v61, v100
	v_fmac_f32_e32 v66, v62, v99
	v_add_f32_e32 v65, v65, v66
	v_add_f32_e32 v49, v49, v50
	v_mul_f32_e32 v50, v58, v96
	v_fma_f32 v50, v57, v95, -v50
	v_add_f32_e32 v49, v49, v50
	v_mul_f32_e32 v50, v60, v98
	v_fma_f32 v50, v59, v97, -v50
	;; [unrolled: 3-line block ×3, first 2 shown]
	v_add_f32_e32 v49, v49, v50
	s_waitcnt vmcnt(0)
	v_mul_f32_e32 v66, v63, v102
	v_fmac_f32_e32 v66, v64, v101
	v_add_f32_e32 v69, v65, v66
	ds_read2_b64 v[65:68], v48 offset0:37 offset1:38
	buffer_load_dword v103, off, s[0:3], 0 offset:104
	buffer_load_dword v104, off, s[0:3], 0 offset:108
	;; [unrolled: 1-line block ×4, first 2 shown]
	v_mul_f32_e32 v50, v64, v102
	v_fma_f32 v50, v63, v101, -v50
	v_add_f32_e32 v49, v49, v50
	s_waitcnt vmcnt(2) lgkmcnt(0)
	v_mul_f32_e32 v70, v65, v104
	v_fmac_f32_e32 v70, v66, v103
	v_add_f32_e32 v69, v69, v70
	s_waitcnt vmcnt(0)
	v_mul_f32_e32 v70, v67, v106
	v_fmac_f32_e32 v70, v68, v105
	v_add_f32_e32 v73, v69, v70
	ds_read2_b64 v[69:72], v48 offset0:39 offset1:40
	buffer_load_dword v107, off, s[0:3], 0 offset:120
	buffer_load_dword v108, off, s[0:3], 0 offset:124
	buffer_load_dword v109, off, s[0:3], 0 offset:128
	buffer_load_dword v110, off, s[0:3], 0 offset:132
	v_mul_f32_e32 v50, v66, v104
	v_fma_f32 v50, v65, v103, -v50
	v_add_f32_e32 v49, v49, v50
	v_mul_f32_e32 v50, v68, v106
	v_fma_f32 v50, v67, v105, -v50
	v_add_f32_e32 v49, v49, v50
	s_waitcnt vmcnt(2) lgkmcnt(0)
	v_mul_f32_e32 v74, v69, v108
	v_fmac_f32_e32 v74, v70, v107
	v_add_f32_e32 v73, v73, v74
	s_waitcnt vmcnt(0)
	v_mul_f32_e32 v74, v71, v110
	v_fmac_f32_e32 v74, v72, v109
	v_add_f32_e32 v77, v73, v74
	ds_read2_b64 v[73:76], v48 offset0:41 offset1:42
	buffer_load_dword v111, off, s[0:3], 0 offset:136
	buffer_load_dword v112, off, s[0:3], 0 offset:140
	buffer_load_dword v113, off, s[0:3], 0 offset:144
	buffer_load_dword v114, off, s[0:3], 0 offset:148
	v_mul_f32_e32 v50, v70, v108
	v_fma_f32 v50, v69, v107, -v50
	v_add_f32_e32 v49, v49, v50
	;; [unrolled: 19-line block ×3, first 2 shown]
	v_mul_f32_e32 v50, v76, v114
	v_fma_f32 v50, v75, v113, -v50
	v_add_f32_e32 v49, v49, v50
	s_waitcnt vmcnt(2) lgkmcnt(0)
	v_mul_f32_e32 v82, v77, v116
	v_fmac_f32_e32 v82, v78, v115
	v_add_f32_e32 v81, v81, v82
	s_waitcnt vmcnt(0)
	v_mul_f32_e32 v82, v79, v118
	v_fmac_f32_e32 v82, v80, v117
	v_add_f32_e32 v119, v81, v82
	ds_read2_b64 v[81:84], v48 offset0:45 offset1:46
	buffer_load_dword v48, off, s[0:3], 0 offset:168
	buffer_load_dword v120, off, s[0:3], 0 offset:172
	v_mul_f32_e32 v50, v78, v116
	v_fma_f32 v50, v77, v115, -v50
	v_add_f32_e32 v49, v49, v50
	v_mul_f32_e32 v50, v80, v118
	v_fma_f32 v50, v79, v117, -v50
	v_add_f32_e32 v49, v49, v50
	s_waitcnt vmcnt(0) lgkmcnt(0)
	v_mul_f32_e32 v121, v81, v120
	v_fmac_f32_e32 v121, v82, v48
	v_add_f32_e32 v119, v119, v121
	buffer_load_dword v121, off, s[0:3], 0 offset:176
	buffer_load_dword v122, off, s[0:3], 0 offset:180
	v_mul_f32_e32 v50, v82, v120
	v_fma_f32 v48, v81, v48, -v50
	v_add_f32_e32 v48, v49, v48
	s_waitcnt vmcnt(0)
	v_mul_f32_e32 v49, v84, v122
	v_mul_f32_e32 v123, v83, v122
	v_fma_f32 v49, v83, v121, -v49
	v_fmac_f32_e32 v123, v84, v121
	v_add_f32_e32 v48, v48, v49
	v_add_f32_e32 v119, v119, v123
	v_sub_f32_e32 v48, v85, v48
	v_sub_f32_e32 v49, v86, v119
	buffer_store_dword v48, off, s[0:3], 0 offset:32
	buffer_store_dword v49, off, s[0:3], 0 offset:36
	s_and_saveexec_b64 s[4:5], vcc
	s_cbranch_execz .LBB86_145
; %bb.144:
	buffer_load_dword v48, off, s[0:3], 0 offset:24
	buffer_load_dword v49, off, s[0:3], 0 offset:28
	v_mov_b32_e32 v50, 0
	buffer_store_dword v50, off, s[0:3], 0 offset:24
	buffer_store_dword v50, off, s[0:3], 0 offset:28
	s_waitcnt vmcnt(2)
	ds_write_b64 v47, v[48:49]
.LBB86_145:
	s_or_b64 exec, exec, s[4:5]
	s_waitcnt lgkmcnt(0)
	; wave barrier
	buffer_load_dword v87, off, s[0:3], 0 offset:36
	buffer_load_dword v88, off, s[0:3], 0 offset:44
	;; [unrolled: 1-line block ×40, first 2 shown]
	v_mov_b32_e32 v48, 0
	ds_read_b128 v[49:52], v48 offset:224
	ds_read_b128 v[53:56], v48 offset:240
	;; [unrolled: 1-line block ×9, first 2 shown]
	v_cmp_lt_u32_e32 vcc, 2, v0
	s_waitcnt vmcnt(39) lgkmcnt(8)
	v_mul_f32_e32 v85, v49, v87
	s_waitcnt vmcnt(38)
	v_mul_f32_e32 v86, v51, v88
	s_waitcnt vmcnt(37) lgkmcnt(7)
	v_mul_f32_e32 v127, v53, v89
	s_waitcnt vmcnt(36)
	v_mul_f32_e32 v128, v55, v90
	;; [unrolled: 4-line block ×7, first 2 shown]
	s_waitcnt vmcnt(25) lgkmcnt(1)
	v_mul_f32_e32 v139, v77, v101
	s_waitcnt vmcnt(24)
	v_fmac_f32_e32 v85, v50, v102
	v_mul_f32_e32 v50, v50, v87
	v_fma_f32 v49, v49, v102, -v50
	v_mul_f32_e32 v50, v52, v88
	v_add_f32_e32 v49, 0, v49
	s_waitcnt vmcnt(23)
	v_fma_f32 v50, v51, v103, -v50
	v_add_f32_e32 v49, v49, v50
	v_mul_f32_e32 v50, v54, v89
	s_waitcnt vmcnt(22)
	v_fma_f32 v50, v53, v104, -v50
	v_add_f32_e32 v49, v49, v50
	v_mul_f32_e32 v50, v56, v90
	s_waitcnt vmcnt(21)
	v_fma_f32 v50, v55, v105, -v50
	v_add_f32_e32 v49, v49, v50
	v_mul_f32_e32 v50, v58, v91
	s_waitcnt vmcnt(20)
	v_fma_f32 v50, v57, v106, -v50
	v_add_f32_e32 v49, v49, v50
	v_mul_f32_e32 v50, v60, v92
	s_waitcnt vmcnt(19)
	v_fma_f32 v50, v59, v107, -v50
	v_add_f32_e32 v49, v49, v50
	v_mul_f32_e32 v50, v62, v93
	s_waitcnt vmcnt(18)
	v_fma_f32 v50, v61, v108, -v50
	v_add_f32_e32 v49, v49, v50
	v_mul_f32_e32 v50, v64, v94
	s_waitcnt vmcnt(17)
	v_fma_f32 v50, v63, v109, -v50
	v_fmac_f32_e32 v86, v52, v103
	v_add_f32_e32 v85, 0, v85
	v_add_f32_e32 v49, v49, v50
	v_mul_f32_e32 v50, v66, v95
	v_fmac_f32_e32 v127, v54, v104
	v_add_f32_e32 v85, v85, v86
	s_waitcnt vmcnt(16)
	v_fma_f32 v50, v65, v110, -v50
	v_fmac_f32_e32 v128, v56, v105
	v_add_f32_e32 v85, v85, v127
	v_add_f32_e32 v49, v49, v50
	v_mul_f32_e32 v50, v68, v96
	v_fmac_f32_e32 v129, v58, v106
	v_add_f32_e32 v85, v85, v128
	s_waitcnt vmcnt(15)
	v_fma_f32 v50, v67, v111, -v50
	v_fmac_f32_e32 v130, v60, v107
	v_add_f32_e32 v85, v85, v129
	v_add_f32_e32 v49, v49, v50
	v_mul_f32_e32 v50, v70, v97
	v_fmac_f32_e32 v131, v62, v108
	v_add_f32_e32 v85, v85, v130
	s_waitcnt vmcnt(14)
	v_fma_f32 v50, v69, v112, -v50
	v_fmac_f32_e32 v132, v64, v109
	v_add_f32_e32 v85, v85, v131
	v_add_f32_e32 v49, v49, v50
	v_mul_f32_e32 v50, v72, v98
	v_fmac_f32_e32 v133, v66, v110
	v_add_f32_e32 v85, v85, v132
	s_waitcnt vmcnt(13)
	v_fma_f32 v50, v71, v113, -v50
	v_fmac_f32_e32 v134, v68, v111
	v_add_f32_e32 v85, v85, v133
	v_add_f32_e32 v49, v49, v50
	v_mul_f32_e32 v50, v74, v99
	v_fmac_f32_e32 v135, v70, v112
	v_add_f32_e32 v85, v85, v134
	s_waitcnt vmcnt(12)
	v_fma_f32 v50, v73, v114, -v50
	v_fmac_f32_e32 v136, v72, v113
	v_add_f32_e32 v85, v85, v135
	v_add_f32_e32 v49, v49, v50
	v_mul_f32_e32 v50, v76, v100
	v_fmac_f32_e32 v137, v74, v114
	v_add_f32_e32 v85, v85, v136
	s_waitcnt vmcnt(11)
	v_fma_f32 v50, v75, v115, -v50
	v_fmac_f32_e32 v138, v76, v115
	v_add_f32_e32 v85, v85, v137
	v_add_f32_e32 v49, v49, v50
	v_mul_f32_e32 v50, v78, v101
	s_waitcnt vmcnt(10)
	v_fmac_f32_e32 v139, v78, v116
	v_add_f32_e32 v85, v85, v138
	s_waitcnt vmcnt(9)
	v_mul_f32_e32 v86, v79, v117
	v_fma_f32 v50, v77, v116, -v50
	v_add_f32_e32 v85, v85, v139
	s_waitcnt vmcnt(8)
	v_fmac_f32_e32 v86, v80, v118
	v_add_f32_e32 v49, v49, v50
	v_mul_f32_e32 v50, v80, v117
	v_add_f32_e32 v127, v85, v86
	ds_read_b64 v[85:86], v48 offset:368
	v_fma_f32 v50, v79, v118, -v50
	v_add_f32_e32 v49, v49, v50
	s_waitcnt vmcnt(7) lgkmcnt(1)
	v_mul_f32_e32 v50, v82, v119
	v_mul_f32_e32 v128, v81, v119
	s_waitcnt vmcnt(6)
	v_fma_f32 v50, v81, v120, -v50
	v_fmac_f32_e32 v128, v82, v120
	v_add_f32_e32 v49, v49, v50
	s_waitcnt vmcnt(5)
	v_mul_f32_e32 v50, v84, v121
	v_add_f32_e32 v127, v127, v128
	v_mul_f32_e32 v128, v83, v121
	s_waitcnt vmcnt(4)
	v_fma_f32 v50, v83, v122, -v50
	v_fmac_f32_e32 v128, v84, v122
	v_add_f32_e32 v49, v49, v50
	s_waitcnt vmcnt(3) lgkmcnt(0)
	v_mul_f32_e32 v50, v86, v123
	v_add_f32_e32 v127, v127, v128
	v_mul_f32_e32 v128, v85, v123
	s_waitcnt vmcnt(2)
	v_fma_f32 v50, v85, v124, -v50
	v_fmac_f32_e32 v128, v86, v124
	v_add_f32_e32 v49, v49, v50
	v_add_f32_e32 v127, v127, v128
	s_waitcnt vmcnt(1)
	v_sub_f32_e32 v49, v125, v49
	s_waitcnt vmcnt(0)
	v_sub_f32_e32 v50, v126, v127
	buffer_store_dword v49, off, s[0:3], 0 offset:24
	buffer_store_dword v50, off, s[0:3], 0 offset:28
	s_and_saveexec_b64 s[4:5], vcc
	s_cbranch_execz .LBB86_147
; %bb.146:
	buffer_load_dword v49, off, s[0:3], 0 offset:16
	buffer_load_dword v50, off, s[0:3], 0 offset:20
	s_waitcnt vmcnt(0)
	ds_write_b64 v47, v[49:50]
	buffer_store_dword v48, off, s[0:3], 0 offset:16
	buffer_store_dword v48, off, s[0:3], 0 offset:20
.LBB86_147:
	s_or_b64 exec, exec, s[4:5]
	s_waitcnt lgkmcnt(0)
	; wave barrier
	buffer_load_dword v89, off, s[0:3], 0 offset:28
	buffer_load_dword v90, off, s[0:3], 0 offset:36
	buffer_load_dword v91, off, s[0:3], 0 offset:44
	buffer_load_dword v92, off, s[0:3], 0 offset:52
	buffer_load_dword v93, off, s[0:3], 0 offset:60
	buffer_load_dword v94, off, s[0:3], 0 offset:68
	buffer_load_dword v95, off, s[0:3], 0 offset:76
	buffer_load_dword v96, off, s[0:3], 0 offset:84
	buffer_load_dword v97, off, s[0:3], 0 offset:92
	buffer_load_dword v98, off, s[0:3], 0 offset:100
	buffer_load_dword v99, off, s[0:3], 0 offset:108
	buffer_load_dword v100, off, s[0:3], 0 offset:116
	buffer_load_dword v101, off, s[0:3], 0 offset:124
	buffer_load_dword v102, off, s[0:3], 0 offset:132
	buffer_load_dword v103, off, s[0:3], 0 offset:140
	buffer_load_dword v104, off, s[0:3], 0 offset:24
	buffer_load_dword v105, off, s[0:3], 0 offset:32
	buffer_load_dword v106, off, s[0:3], 0 offset:40
	buffer_load_dword v107, off, s[0:3], 0 offset:48
	buffer_load_dword v108, off, s[0:3], 0 offset:56
	buffer_load_dword v109, off, s[0:3], 0 offset:64
	buffer_load_dword v110, off, s[0:3], 0 offset:72
	buffer_load_dword v111, off, s[0:3], 0 offset:80
	buffer_load_dword v112, off, s[0:3], 0 offset:88
	buffer_load_dword v113, off, s[0:3], 0 offset:96
	buffer_load_dword v114, off, s[0:3], 0 offset:104
	buffer_load_dword v115, off, s[0:3], 0 offset:112
	buffer_load_dword v116, off, s[0:3], 0 offset:120
	buffer_load_dword v117, off, s[0:3], 0 offset:128
	buffer_load_dword v118, off, s[0:3], 0 offset:136
	buffer_load_dword v119, off, s[0:3], 0 offset:148
	buffer_load_dword v120, off, s[0:3], 0 offset:144
	buffer_load_dword v121, off, s[0:3], 0 offset:156
	buffer_load_dword v122, off, s[0:3], 0 offset:152
	buffer_load_dword v123, off, s[0:3], 0 offset:164
	buffer_load_dword v124, off, s[0:3], 0 offset:160
	buffer_load_dword v125, off, s[0:3], 0 offset:172
	buffer_load_dword v126, off, s[0:3], 0 offset:168
	buffer_load_dword v127, off, s[0:3], 0 offset:180
	buffer_load_dword v128, off, s[0:3], 0 offset:176
	buffer_load_dword v129, off, s[0:3], 0 offset:16
	buffer_load_dword v130, off, s[0:3], 0 offset:20
	ds_read2_b64 v[49:52], v48 offset0:27 offset1:28
	ds_read2_b64 v[53:56], v48 offset0:29 offset1:30
	;; [unrolled: 1-line block ×8, first 2 shown]
	v_cmp_lt_u32_e32 vcc, 1, v0
	s_waitcnt vmcnt(41) lgkmcnt(7)
	v_mul_f32_e32 v81, v49, v89
	s_waitcnt vmcnt(40)
	v_mul_f32_e32 v82, v51, v90
	s_waitcnt vmcnt(39) lgkmcnt(6)
	v_mul_f32_e32 v83, v53, v91
	s_waitcnt vmcnt(38)
	v_mul_f32_e32 v84, v55, v92
	;; [unrolled: 4-line block ×7, first 2 shown]
	s_waitcnt vmcnt(27) lgkmcnt(0)
	v_mul_f32_e32 v137, v77, v103
	s_waitcnt vmcnt(26)
	v_fmac_f32_e32 v81, v50, v104
	v_mul_f32_e32 v50, v50, v89
	v_fma_f32 v49, v49, v104, -v50
	v_mul_f32_e32 v50, v52, v90
	v_add_f32_e32 v49, 0, v49
	s_waitcnt vmcnt(25)
	v_fma_f32 v50, v51, v105, -v50
	v_add_f32_e32 v49, v49, v50
	v_mul_f32_e32 v50, v54, v91
	s_waitcnt vmcnt(24)
	v_fma_f32 v50, v53, v106, -v50
	v_add_f32_e32 v49, v49, v50
	v_mul_f32_e32 v50, v56, v92
	;; [unrolled: 4-line block ×5, first 2 shown]
	v_fmac_f32_e32 v82, v52, v105
	v_add_f32_e32 v81, 0, v81
	s_waitcnt vmcnt(20)
	v_fma_f32 v50, v61, v110, -v50
	v_fmac_f32_e32 v83, v54, v106
	v_add_f32_e32 v81, v81, v82
	v_add_f32_e32 v49, v49, v50
	v_mul_f32_e32 v50, v64, v96
	v_fmac_f32_e32 v84, v56, v107
	v_add_f32_e32 v81, v81, v83
	s_waitcnt vmcnt(19)
	v_fma_f32 v50, v63, v111, -v50
	v_fmac_f32_e32 v85, v58, v108
	v_add_f32_e32 v81, v81, v84
	v_add_f32_e32 v49, v49, v50
	v_mul_f32_e32 v50, v66, v97
	;; [unrolled: 8-line block ×5, first 2 shown]
	s_waitcnt vmcnt(15)
	v_fmac_f32_e32 v134, v72, v115
	v_add_f32_e32 v81, v81, v133
	v_fma_f32 v50, v71, v115, -v50
	s_waitcnt vmcnt(14)
	v_fmac_f32_e32 v135, v74, v116
	v_add_f32_e32 v81, v81, v134
	v_add_f32_e32 v49, v49, v50
	v_mul_f32_e32 v50, v74, v101
	s_waitcnt vmcnt(13)
	v_fmac_f32_e32 v136, v76, v117
	v_add_f32_e32 v81, v81, v135
	v_fma_f32 v50, v73, v116, -v50
	s_waitcnt vmcnt(12)
	v_fmac_f32_e32 v137, v78, v118
	v_add_f32_e32 v81, v81, v136
	v_add_f32_e32 v49, v49, v50
	v_mul_f32_e32 v50, v76, v102
	v_add_f32_e32 v85, v81, v137
	ds_read2_b64 v[81:84], v48 offset0:43 offset1:44
	v_fma_f32 v50, v75, v117, -v50
	v_add_f32_e32 v49, v49, v50
	v_mul_f32_e32 v50, v78, v103
	s_waitcnt vmcnt(11)
	v_mul_f32_e32 v86, v79, v119
	v_fma_f32 v50, v77, v118, -v50
	s_waitcnt vmcnt(10)
	v_fmac_f32_e32 v86, v80, v120
	v_add_f32_e32 v49, v49, v50
	v_mul_f32_e32 v50, v80, v119
	v_add_f32_e32 v131, v85, v86
	ds_read2_b64 v[85:88], v48 offset0:45 offset1:46
	v_fma_f32 v50, v79, v120, -v50
	v_add_f32_e32 v49, v49, v50
	s_waitcnt vmcnt(9) lgkmcnt(1)
	v_mul_f32_e32 v50, v82, v121
	v_mul_f32_e32 v48, v81, v121
	s_waitcnt vmcnt(8)
	v_fma_f32 v50, v81, v122, -v50
	v_fmac_f32_e32 v48, v82, v122
	v_add_f32_e32 v49, v49, v50
	s_waitcnt vmcnt(7)
	v_mul_f32_e32 v50, v84, v123
	v_add_f32_e32 v48, v131, v48
	v_mul_f32_e32 v131, v83, v123
	s_waitcnt vmcnt(6)
	v_fma_f32 v50, v83, v124, -v50
	v_fmac_f32_e32 v131, v84, v124
	v_add_f32_e32 v49, v49, v50
	s_waitcnt vmcnt(5) lgkmcnt(0)
	v_mul_f32_e32 v50, v86, v125
	v_add_f32_e32 v48, v48, v131
	v_mul_f32_e32 v131, v85, v125
	s_waitcnt vmcnt(4)
	v_fma_f32 v50, v85, v126, -v50
	v_fmac_f32_e32 v131, v86, v126
	v_add_f32_e32 v49, v49, v50
	s_waitcnt vmcnt(3)
	v_mul_f32_e32 v50, v88, v127
	v_add_f32_e32 v48, v48, v131
	v_mul_f32_e32 v131, v87, v127
	s_waitcnt vmcnt(2)
	v_fma_f32 v50, v87, v128, -v50
	v_fmac_f32_e32 v131, v88, v128
	v_add_f32_e32 v49, v49, v50
	v_add_f32_e32 v48, v48, v131
	s_waitcnt vmcnt(1)
	v_sub_f32_e32 v49, v129, v49
	s_waitcnt vmcnt(0)
	v_sub_f32_e32 v48, v130, v48
	buffer_store_dword v49, off, s[0:3], 0 offset:16
	buffer_store_dword v48, off, s[0:3], 0 offset:20
	s_and_saveexec_b64 s[4:5], vcc
	s_cbranch_execz .LBB86_149
; %bb.148:
	buffer_load_dword v48, off, s[0:3], 0 offset:8
	buffer_load_dword v49, off, s[0:3], 0 offset:12
	v_mov_b32_e32 v50, 0
	buffer_store_dword v50, off, s[0:3], 0 offset:8
	buffer_store_dword v50, off, s[0:3], 0 offset:12
	s_waitcnt vmcnt(2)
	ds_write_b64 v47, v[48:49]
.LBB86_149:
	s_or_b64 exec, exec, s[4:5]
	s_waitcnt lgkmcnt(0)
	; wave barrier
	buffer_load_dword v91, off, s[0:3], 0 offset:20
	buffer_load_dword v92, off, s[0:3], 0 offset:28
	;; [unrolled: 1-line block ×44, first 2 shown]
	v_mov_b32_e32 v48, 0
	ds_read_b128 v[49:52], v48 offset:208
	ds_read_b128 v[53:56], v48 offset:224
	;; [unrolled: 1-line block ×8, first 2 shown]
	v_cmp_ne_u32_e32 vcc, 0, v0
	s_waitcnt vmcnt(43) lgkmcnt(7)
	v_mul_f32_e32 v81, v49, v91
	s_waitcnt vmcnt(42)
	v_mul_f32_e32 v82, v51, v92
	s_waitcnt vmcnt(41) lgkmcnt(6)
	v_mul_f32_e32 v83, v53, v93
	s_waitcnt vmcnt(40)
	v_mul_f32_e32 v84, v55, v94
	;; [unrolled: 4-line block ×7, first 2 shown]
	s_waitcnt vmcnt(29)
	v_fmac_f32_e32 v81, v50, v105
	v_mul_f32_e32 v50, v50, v91
	v_fma_f32 v49, v49, v105, -v50
	v_mul_f32_e32 v50, v52, v92
	v_add_f32_e32 v49, 0, v49
	s_waitcnt vmcnt(28)
	v_fma_f32 v50, v51, v106, -v50
	v_add_f32_e32 v49, v49, v50
	v_mul_f32_e32 v50, v54, v93
	s_waitcnt vmcnt(27)
	v_fma_f32 v50, v53, v107, -v50
	v_add_f32_e32 v49, v49, v50
	v_mul_f32_e32 v50, v56, v94
	;; [unrolled: 4-line block ×4, first 2 shown]
	s_waitcnt vmcnt(24)
	v_fma_f32 v50, v59, v110, -v50
	v_fmac_f32_e32 v82, v52, v106
	v_add_f32_e32 v81, 0, v81
	v_add_f32_e32 v49, v49, v50
	v_mul_f32_e32 v50, v62, v97
	v_fmac_f32_e32 v83, v54, v107
	v_add_f32_e32 v81, v81, v82
	s_waitcnt vmcnt(23)
	v_fma_f32 v50, v61, v111, -v50
	v_fmac_f32_e32 v84, v56, v108
	v_add_f32_e32 v81, v81, v83
	v_add_f32_e32 v49, v49, v50
	v_mul_f32_e32 v50, v64, v98
	v_fmac_f32_e32 v85, v58, v109
	v_add_f32_e32 v81, v81, v84
	;; [unrolled: 8-line block ×4, first 2 shown]
	s_waitcnt vmcnt(20)
	v_fma_f32 v50, v67, v114, -v50
	v_fmac_f32_e32 v90, v68, v114
	v_add_f32_e32 v81, v81, v89
	v_add_f32_e32 v49, v49, v50
	v_mul_f32_e32 v50, v70, v101
	s_waitcnt vmcnt(19)
	v_fmac_f32_e32 v135, v70, v115
	v_add_f32_e32 v81, v81, v90
	v_fma_f32 v50, v69, v115, -v50
	s_waitcnt vmcnt(18)
	v_fmac_f32_e32 v136, v72, v116
	v_add_f32_e32 v81, v81, v135
	v_add_f32_e32 v49, v49, v50
	v_mul_f32_e32 v50, v72, v102
	s_waitcnt vmcnt(17)
	v_fmac_f32_e32 v137, v74, v117
	v_add_f32_e32 v81, v81, v136
	v_fma_f32 v50, v71, v116, -v50
	v_add_f32_e32 v81, v81, v137
	s_waitcnt vmcnt(16)
	v_fmac_f32_e32 v138, v76, v118
	s_waitcnt vmcnt(15) lgkmcnt(0)
	v_mul_f32_e32 v82, v77, v119
	v_add_f32_e32 v49, v49, v50
	v_mul_f32_e32 v50, v74, v103
	v_add_f32_e32 v81, v81, v138
	s_waitcnt vmcnt(14)
	v_fmac_f32_e32 v82, v78, v120
	v_fma_f32 v50, v73, v117, -v50
	v_add_f32_e32 v85, v81, v82
	ds_read_b128 v[81:84], v48 offset:336
	v_add_f32_e32 v49, v49, v50
	v_mul_f32_e32 v50, v76, v104
	v_fma_f32 v50, v75, v118, -v50
	v_add_f32_e32 v49, v49, v50
	v_mul_f32_e32 v50, v78, v119
	s_waitcnt vmcnt(13)
	v_mul_f32_e32 v86, v79, v121
	v_fma_f32 v50, v77, v120, -v50
	s_waitcnt vmcnt(12)
	v_fmac_f32_e32 v86, v80, v122
	v_add_f32_e32 v49, v49, v50
	v_mul_f32_e32 v50, v80, v121
	v_add_f32_e32 v89, v85, v86
	ds_read_b128 v[85:88], v48 offset:352
	s_waitcnt vmcnt(11) lgkmcnt(1)
	v_mul_f32_e32 v90, v81, v123
	v_fma_f32 v50, v79, v122, -v50
	s_waitcnt vmcnt(10)
	v_fmac_f32_e32 v90, v82, v124
	v_add_f32_e32 v49, v49, v50
	v_mul_f32_e32 v50, v82, v123
	v_add_f32_e32 v89, v89, v90
	s_waitcnt vmcnt(9)
	v_mul_f32_e32 v90, v83, v125
	v_fma_f32 v50, v81, v124, -v50
	s_waitcnt vmcnt(8)
	v_fmac_f32_e32 v90, v84, v126
	v_add_f32_e32 v49, v49, v50
	v_mul_f32_e32 v50, v84, v125
	v_add_f32_e32 v135, v89, v90
	ds_read_b64 v[89:90], v48 offset:368
	v_fma_f32 v50, v83, v126, -v50
	v_add_f32_e32 v49, v49, v50
	s_waitcnt vmcnt(7) lgkmcnt(1)
	v_mul_f32_e32 v50, v86, v127
	v_mul_f32_e32 v136, v85, v127
	s_waitcnt vmcnt(6)
	v_fma_f32 v50, v85, v128, -v50
	v_fmac_f32_e32 v136, v86, v128
	v_add_f32_e32 v49, v49, v50
	s_waitcnt vmcnt(5)
	v_mul_f32_e32 v50, v88, v129
	v_add_f32_e32 v135, v135, v136
	v_mul_f32_e32 v136, v87, v129
	s_waitcnt vmcnt(4)
	v_fma_f32 v50, v87, v130, -v50
	v_fmac_f32_e32 v136, v88, v130
	v_add_f32_e32 v49, v49, v50
	s_waitcnt vmcnt(3) lgkmcnt(0)
	v_mul_f32_e32 v50, v90, v131
	v_add_f32_e32 v135, v135, v136
	v_mul_f32_e32 v136, v89, v131
	s_waitcnt vmcnt(2)
	v_fma_f32 v50, v89, v132, -v50
	v_fmac_f32_e32 v136, v90, v132
	v_add_f32_e32 v49, v49, v50
	v_add_f32_e32 v135, v135, v136
	s_waitcnt vmcnt(1)
	v_sub_f32_e32 v49, v133, v49
	s_waitcnt vmcnt(0)
	v_sub_f32_e32 v50, v134, v135
	buffer_store_dword v49, off, s[0:3], 0 offset:8
	buffer_store_dword v50, off, s[0:3], 0 offset:12
	s_and_saveexec_b64 s[4:5], vcc
	s_cbranch_execz .LBB86_151
; %bb.150:
	buffer_load_dword v49, off, s[0:3], 0
	buffer_load_dword v50, off, s[0:3], 0 offset:4
	s_waitcnt vmcnt(0)
	ds_write_b64 v47, v[49:50]
	buffer_store_dword v48, off, s[0:3], 0
	buffer_store_dword v48, off, s[0:3], 0 offset:4
.LBB86_151:
	s_or_b64 exec, exec, s[4:5]
	s_waitcnt lgkmcnt(0)
	; wave barrier
	buffer_load_dword v0, off, s[0:3], 0 offset:12
	buffer_load_dword v47, off, s[0:3], 0 offset:20
	;; [unrolled: 1-line block ×44, first 2 shown]
	buffer_load_dword v135, off, s[0:3], 0
	buffer_load_dword v136, off, s[0:3], 0 offset:4
	ds_read2_b64 v[49:52], v48 offset0:25 offset1:26
	ds_read2_b64 v[53:56], v48 offset0:27 offset1:28
	;; [unrolled: 1-line block ×8, first 2 shown]
	s_and_b64 vcc, exec, s[14:15]
	s_waitcnt vmcnt(45) lgkmcnt(7)
	v_mul_f32_e32 v81, v49, v0
	v_mul_f32_e32 v0, v50, v0
	s_waitcnt vmcnt(44)
	v_mul_f32_e32 v82, v51, v47
	v_mul_f32_e32 v47, v52, v47
	s_waitcnt vmcnt(43) lgkmcnt(6)
	v_mul_f32_e32 v83, v53, v93
	s_waitcnt vmcnt(42)
	v_mul_f32_e32 v84, v55, v94
	s_waitcnt vmcnt(41) lgkmcnt(5)
	v_mul_f32_e32 v85, v57, v95
	s_waitcnt vmcnt(40)
	;; [unrolled: 4-line block ×5, first 2 shown]
	v_fma_f32 v0, v49, v104, -v0
	v_add_f32_e32 v0, 0, v0
	s_waitcnt vmcnt(31)
	v_fma_f32 v47, v51, v105, -v47
	v_add_f32_e32 v0, v0, v47
	v_mul_f32_e32 v47, v54, v93
	s_waitcnt vmcnt(30)
	v_fma_f32 v47, v53, v106, -v47
	v_add_f32_e32 v0, v0, v47
	v_mul_f32_e32 v47, v56, v94
	;; [unrolled: 4-line block ×3, first 2 shown]
	s_waitcnt vmcnt(28)
	v_fma_f32 v47, v57, v108, -v47
	v_fmac_f32_e32 v81, v50, v104
	v_add_f32_e32 v0, v0, v47
	v_mul_f32_e32 v47, v60, v96
	v_fmac_f32_e32 v82, v52, v105
	v_add_f32_e32 v81, 0, v81
	s_waitcnt vmcnt(27)
	v_fma_f32 v47, v59, v109, -v47
	v_fmac_f32_e32 v83, v54, v106
	v_add_f32_e32 v81, v81, v82
	v_add_f32_e32 v0, v0, v47
	v_mul_f32_e32 v47, v62, v97
	v_fmac_f32_e32 v84, v56, v107
	v_add_f32_e32 v81, v81, v83
	s_waitcnt vmcnt(26)
	v_fma_f32 v47, v61, v110, -v47
	v_fmac_f32_e32 v85, v58, v108
	v_add_f32_e32 v81, v81, v84
	;; [unrolled: 8-line block ×4, first 2 shown]
	v_add_f32_e32 v0, v0, v47
	v_mul_f32_e32 v47, v68, v100
	s_waitcnt vmcnt(23)
	v_fmac_f32_e32 v90, v68, v113
	v_add_f32_e32 v81, v81, v89
	v_fma_f32 v47, v67, v113, -v47
	v_mul_f32_e32 v92, v71, v102
	s_waitcnt vmcnt(22)
	v_fmac_f32_e32 v91, v70, v114
	v_add_f32_e32 v81, v81, v90
	v_add_f32_e32 v0, v0, v47
	v_mul_f32_e32 v47, v70, v101
	s_waitcnt lgkmcnt(1)
	v_mul_f32_e32 v137, v73, v103
	s_waitcnt vmcnt(21)
	v_fmac_f32_e32 v92, v72, v115
	v_add_f32_e32 v81, v81, v91
	v_fma_f32 v47, v69, v114, -v47
	s_waitcnt vmcnt(20)
	v_fmac_f32_e32 v137, v74, v116
	v_add_f32_e32 v81, v81, v92
	s_waitcnt vmcnt(19)
	v_mul_f32_e32 v82, v75, v117
	v_add_f32_e32 v0, v0, v47
	v_mul_f32_e32 v47, v72, v102
	v_add_f32_e32 v81, v81, v137
	s_waitcnt vmcnt(18)
	v_fmac_f32_e32 v82, v76, v118
	v_fma_f32 v47, v71, v115, -v47
	v_add_f32_e32 v81, v81, v82
	s_waitcnt vmcnt(17) lgkmcnt(0)
	v_mul_f32_e32 v82, v77, v119
	v_add_f32_e32 v0, v0, v47
	v_mul_f32_e32 v47, v74, v103
	s_waitcnt vmcnt(16)
	v_fmac_f32_e32 v82, v78, v120
	v_fma_f32 v47, v73, v116, -v47
	v_add_f32_e32 v85, v81, v82
	ds_read2_b64 v[81:84], v48 offset0:41 offset1:42
	v_add_f32_e32 v0, v0, v47
	v_mul_f32_e32 v47, v76, v117
	v_fma_f32 v47, v75, v118, -v47
	v_add_f32_e32 v0, v0, v47
	v_mul_f32_e32 v47, v78, v119
	s_waitcnt vmcnt(15)
	v_mul_f32_e32 v86, v79, v121
	v_fma_f32 v47, v77, v120, -v47
	s_waitcnt vmcnt(14)
	v_fmac_f32_e32 v86, v80, v122
	v_add_f32_e32 v0, v0, v47
	v_mul_f32_e32 v47, v80, v121
	v_add_f32_e32 v89, v85, v86
	ds_read2_b64 v[85:88], v48 offset0:43 offset1:44
	s_waitcnt vmcnt(13) lgkmcnt(1)
	v_mul_f32_e32 v90, v81, v123
	v_fma_f32 v47, v79, v122, -v47
	s_waitcnt vmcnt(12)
	v_fmac_f32_e32 v90, v82, v124
	v_add_f32_e32 v0, v0, v47
	v_mul_f32_e32 v47, v82, v123
	v_add_f32_e32 v89, v89, v90
	s_waitcnt vmcnt(11)
	v_mul_f32_e32 v90, v83, v125
	v_fma_f32 v47, v81, v124, -v47
	s_waitcnt vmcnt(10)
	v_fmac_f32_e32 v90, v84, v126
	v_add_f32_e32 v0, v0, v47
	v_mul_f32_e32 v47, v84, v125
	v_add_f32_e32 v137, v89, v90
	ds_read2_b64 v[89:92], v48 offset0:45 offset1:46
	v_fma_f32 v47, v83, v126, -v47
	v_add_f32_e32 v0, v0, v47
	s_waitcnt vmcnt(9) lgkmcnt(1)
	v_mul_f32_e32 v47, v86, v127
	v_mul_f32_e32 v138, v85, v127
	s_waitcnt vmcnt(8)
	v_fma_f32 v47, v85, v128, -v47
	v_fmac_f32_e32 v138, v86, v128
	v_add_f32_e32 v0, v0, v47
	s_waitcnt vmcnt(7)
	v_mul_f32_e32 v47, v88, v129
	v_add_f32_e32 v48, v137, v138
	v_mul_f32_e32 v137, v87, v129
	s_waitcnt vmcnt(6)
	v_fma_f32 v47, v87, v130, -v47
	v_fmac_f32_e32 v137, v88, v130
	v_add_f32_e32 v0, v0, v47
	s_waitcnt vmcnt(5) lgkmcnt(0)
	v_mul_f32_e32 v47, v90, v131
	v_add_f32_e32 v48, v48, v137
	v_mul_f32_e32 v137, v89, v131
	s_waitcnt vmcnt(4)
	v_fma_f32 v47, v89, v132, -v47
	v_fmac_f32_e32 v137, v90, v132
	v_add_f32_e32 v0, v0, v47
	s_waitcnt vmcnt(3)
	v_mul_f32_e32 v47, v92, v133
	v_add_f32_e32 v48, v48, v137
	v_mul_f32_e32 v137, v91, v133
	s_waitcnt vmcnt(2)
	v_fma_f32 v47, v91, v134, -v47
	v_fmac_f32_e32 v137, v92, v134
	v_add_f32_e32 v0, v0, v47
	v_add_f32_e32 v48, v48, v137
	s_waitcnt vmcnt(1)
	v_sub_f32_e32 v0, v135, v0
	s_waitcnt vmcnt(0)
	v_sub_f32_e32 v47, v136, v48
	buffer_store_dword v0, off, s[0:3], 0
	buffer_store_dword v47, off, s[0:3], 0 offset:4
	s_cbranch_vccz .LBB86_196
; %bb.152:
	v_mov_b32_e32 v0, 0
	global_load_dword v47, v0, s[12:13] offset:84
	s_waitcnt vmcnt(0)
	v_add_u32_e32 v47, -1, v47
	v_cmp_ne_u32_e32 vcc, 21, v47
	s_cbranch_vccz .LBB86_154
; %bb.153:
	v_lshlrev_b32_e32 v47, 3, v47
	buffer_load_dword v48, v47, s[0:3], 0 offen
	buffer_load_dword v49, v47, s[0:3], 0 offen offset:4
	buffer_load_dword v50, off, s[0:3], 0 offset:168
	buffer_load_dword v51, off, s[0:3], 0 offset:172
	s_waitcnt vmcnt(3)
	buffer_store_dword v48, off, s[0:3], 0 offset:168
	s_waitcnt vmcnt(3)
	buffer_store_dword v49, off, s[0:3], 0 offset:172
	s_waitcnt vmcnt(3)
	buffer_store_dword v50, v47, s[0:3], 0 offen
	s_waitcnt vmcnt(3)
	buffer_store_dword v51, v47, s[0:3], 0 offen offset:4
.LBB86_154:
	global_load_dword v0, v0, s[12:13] offset:80
	s_waitcnt vmcnt(0)
	v_add_u32_e32 v0, -1, v0
	v_cmp_eq_u32_e32 vcc, 20, v0
	s_cbranch_vccnz .LBB86_156
; %bb.155:
	v_lshlrev_b32_e32 v0, 3, v0
	buffer_load_dword v47, v0, s[0:3], 0 offen
	buffer_load_dword v48, v0, s[0:3], 0 offen offset:4
	buffer_load_dword v49, off, s[0:3], 0 offset:164
	buffer_load_dword v50, off, s[0:3], 0 offset:160
	s_waitcnt vmcnt(3)
	buffer_store_dword v47, off, s[0:3], 0 offset:160
	s_waitcnt vmcnt(3)
	buffer_store_dword v48, off, s[0:3], 0 offset:164
	s_waitcnt vmcnt(3)
	buffer_store_dword v49, v0, s[0:3], 0 offen offset:4
	s_waitcnt vmcnt(3)
	buffer_store_dword v50, v0, s[0:3], 0 offen
.LBB86_156:
	v_mov_b32_e32 v0, 0
	global_load_dword v47, v0, s[12:13] offset:76
	s_waitcnt vmcnt(0)
	v_add_u32_e32 v47, -1, v47
	v_cmp_eq_u32_e32 vcc, 19, v47
	s_cbranch_vccnz .LBB86_158
; %bb.157:
	v_lshlrev_b32_e32 v47, 3, v47
	buffer_load_dword v48, v47, s[0:3], 0 offen
	buffer_load_dword v49, v47, s[0:3], 0 offen offset:4
	buffer_load_dword v50, off, s[0:3], 0 offset:152
	buffer_load_dword v51, off, s[0:3], 0 offset:156
	s_waitcnt vmcnt(3)
	buffer_store_dword v48, off, s[0:3], 0 offset:152
	s_waitcnt vmcnt(3)
	buffer_store_dword v49, off, s[0:3], 0 offset:156
	s_waitcnt vmcnt(3)
	buffer_store_dword v50, v47, s[0:3], 0 offen
	s_waitcnt vmcnt(3)
	buffer_store_dword v51, v47, s[0:3], 0 offen offset:4
.LBB86_158:
	global_load_dword v0, v0, s[12:13] offset:72
	s_waitcnt vmcnt(0)
	v_add_u32_e32 v0, -1, v0
	v_cmp_eq_u32_e32 vcc, 18, v0
	s_cbranch_vccnz .LBB86_160
; %bb.159:
	v_lshlrev_b32_e32 v0, 3, v0
	buffer_load_dword v47, v0, s[0:3], 0 offen
	buffer_load_dword v48, v0, s[0:3], 0 offen offset:4
	buffer_load_dword v49, off, s[0:3], 0 offset:148
	buffer_load_dword v50, off, s[0:3], 0 offset:144
	s_waitcnt vmcnt(3)
	buffer_store_dword v47, off, s[0:3], 0 offset:144
	s_waitcnt vmcnt(3)
	buffer_store_dword v48, off, s[0:3], 0 offset:148
	s_waitcnt vmcnt(3)
	buffer_store_dword v49, v0, s[0:3], 0 offen offset:4
	s_waitcnt vmcnt(3)
	buffer_store_dword v50, v0, s[0:3], 0 offen
.LBB86_160:
	v_mov_b32_e32 v0, 0
	global_load_dword v47, v0, s[12:13] offset:68
	s_waitcnt vmcnt(0)
	v_add_u32_e32 v47, -1, v47
	v_cmp_eq_u32_e32 vcc, 17, v47
	s_cbranch_vccnz .LBB86_162
; %bb.161:
	v_lshlrev_b32_e32 v47, 3, v47
	buffer_load_dword v48, v47, s[0:3], 0 offen
	buffer_load_dword v49, v47, s[0:3], 0 offen offset:4
	buffer_load_dword v50, off, s[0:3], 0 offset:136
	buffer_load_dword v51, off, s[0:3], 0 offset:140
	s_waitcnt vmcnt(3)
	buffer_store_dword v48, off, s[0:3], 0 offset:136
	s_waitcnt vmcnt(3)
	buffer_store_dword v49, off, s[0:3], 0 offset:140
	s_waitcnt vmcnt(3)
	buffer_store_dword v50, v47, s[0:3], 0 offen
	s_waitcnt vmcnt(3)
	buffer_store_dword v51, v47, s[0:3], 0 offen offset:4
.LBB86_162:
	global_load_dword v0, v0, s[12:13] offset:64
	s_waitcnt vmcnt(0)
	v_add_u32_e32 v0, -1, v0
	v_cmp_eq_u32_e32 vcc, 16, v0
	s_cbranch_vccnz .LBB86_164
; %bb.163:
	v_lshlrev_b32_e32 v0, 3, v0
	buffer_load_dword v47, v0, s[0:3], 0 offen
	buffer_load_dword v48, v0, s[0:3], 0 offen offset:4
	buffer_load_dword v49, off, s[0:3], 0 offset:132
	buffer_load_dword v50, off, s[0:3], 0 offset:128
	s_waitcnt vmcnt(3)
	buffer_store_dword v47, off, s[0:3], 0 offset:128
	s_waitcnt vmcnt(3)
	buffer_store_dword v48, off, s[0:3], 0 offset:132
	s_waitcnt vmcnt(3)
	buffer_store_dword v49, v0, s[0:3], 0 offen offset:4
	s_waitcnt vmcnt(3)
	buffer_store_dword v50, v0, s[0:3], 0 offen
.LBB86_164:
	v_mov_b32_e32 v0, 0
	global_load_dword v47, v0, s[12:13] offset:60
	s_waitcnt vmcnt(0)
	v_add_u32_e32 v47, -1, v47
	v_cmp_eq_u32_e32 vcc, 15, v47
	s_cbranch_vccnz .LBB86_166
; %bb.165:
	v_lshlrev_b32_e32 v47, 3, v47
	buffer_load_dword v48, v47, s[0:3], 0 offen
	buffer_load_dword v49, v47, s[0:3], 0 offen offset:4
	buffer_load_dword v50, off, s[0:3], 0 offset:120
	buffer_load_dword v51, off, s[0:3], 0 offset:124
	s_waitcnt vmcnt(3)
	buffer_store_dword v48, off, s[0:3], 0 offset:120
	s_waitcnt vmcnt(3)
	buffer_store_dword v49, off, s[0:3], 0 offset:124
	s_waitcnt vmcnt(3)
	buffer_store_dword v50, v47, s[0:3], 0 offen
	s_waitcnt vmcnt(3)
	buffer_store_dword v51, v47, s[0:3], 0 offen offset:4
.LBB86_166:
	global_load_dword v0, v0, s[12:13] offset:56
	s_waitcnt vmcnt(0)
	v_add_u32_e32 v0, -1, v0
	v_cmp_eq_u32_e32 vcc, 14, v0
	s_cbranch_vccnz .LBB86_168
; %bb.167:
	v_lshlrev_b32_e32 v0, 3, v0
	buffer_load_dword v47, v0, s[0:3], 0 offen
	buffer_load_dword v48, v0, s[0:3], 0 offen offset:4
	buffer_load_dword v49, off, s[0:3], 0 offset:116
	buffer_load_dword v50, off, s[0:3], 0 offset:112
	s_waitcnt vmcnt(3)
	buffer_store_dword v47, off, s[0:3], 0 offset:112
	s_waitcnt vmcnt(3)
	buffer_store_dword v48, off, s[0:3], 0 offset:116
	s_waitcnt vmcnt(3)
	buffer_store_dword v49, v0, s[0:3], 0 offen offset:4
	s_waitcnt vmcnt(3)
	buffer_store_dword v50, v0, s[0:3], 0 offen
.LBB86_168:
	v_mov_b32_e32 v0, 0
	global_load_dword v47, v0, s[12:13] offset:52
	s_waitcnt vmcnt(0)
	v_add_u32_e32 v47, -1, v47
	v_cmp_eq_u32_e32 vcc, 13, v47
	s_cbranch_vccnz .LBB86_170
; %bb.169:
	v_lshlrev_b32_e32 v47, 3, v47
	buffer_load_dword v48, v47, s[0:3], 0 offen
	buffer_load_dword v49, v47, s[0:3], 0 offen offset:4
	buffer_load_dword v50, off, s[0:3], 0 offset:104
	buffer_load_dword v51, off, s[0:3], 0 offset:108
	s_waitcnt vmcnt(3)
	buffer_store_dword v48, off, s[0:3], 0 offset:104
	s_waitcnt vmcnt(3)
	buffer_store_dword v49, off, s[0:3], 0 offset:108
	s_waitcnt vmcnt(3)
	buffer_store_dword v50, v47, s[0:3], 0 offen
	s_waitcnt vmcnt(3)
	buffer_store_dword v51, v47, s[0:3], 0 offen offset:4
.LBB86_170:
	global_load_dword v0, v0, s[12:13] offset:48
	s_waitcnt vmcnt(0)
	v_add_u32_e32 v0, -1, v0
	v_cmp_eq_u32_e32 vcc, 12, v0
	s_cbranch_vccnz .LBB86_172
; %bb.171:
	v_lshlrev_b32_e32 v0, 3, v0
	buffer_load_dword v47, v0, s[0:3], 0 offen
	buffer_load_dword v48, v0, s[0:3], 0 offen offset:4
	buffer_load_dword v49, off, s[0:3], 0 offset:100
	buffer_load_dword v50, off, s[0:3], 0 offset:96
	s_waitcnt vmcnt(3)
	buffer_store_dword v47, off, s[0:3], 0 offset:96
	s_waitcnt vmcnt(3)
	buffer_store_dword v48, off, s[0:3], 0 offset:100
	s_waitcnt vmcnt(3)
	buffer_store_dword v49, v0, s[0:3], 0 offen offset:4
	s_waitcnt vmcnt(3)
	buffer_store_dword v50, v0, s[0:3], 0 offen
.LBB86_172:
	v_mov_b32_e32 v0, 0
	global_load_dword v47, v0, s[12:13] offset:44
	s_waitcnt vmcnt(0)
	v_add_u32_e32 v47, -1, v47
	v_cmp_eq_u32_e32 vcc, 11, v47
	s_cbranch_vccnz .LBB86_174
; %bb.173:
	v_lshlrev_b32_e32 v47, 3, v47
	buffer_load_dword v48, v47, s[0:3], 0 offen
	buffer_load_dword v49, v47, s[0:3], 0 offen offset:4
	buffer_load_dword v50, off, s[0:3], 0 offset:88
	buffer_load_dword v51, off, s[0:3], 0 offset:92
	s_waitcnt vmcnt(3)
	buffer_store_dword v48, off, s[0:3], 0 offset:88
	s_waitcnt vmcnt(3)
	buffer_store_dword v49, off, s[0:3], 0 offset:92
	s_waitcnt vmcnt(3)
	buffer_store_dword v50, v47, s[0:3], 0 offen
	s_waitcnt vmcnt(3)
	buffer_store_dword v51, v47, s[0:3], 0 offen offset:4
.LBB86_174:
	global_load_dword v0, v0, s[12:13] offset:40
	s_waitcnt vmcnt(0)
	v_add_u32_e32 v0, -1, v0
	v_cmp_eq_u32_e32 vcc, 10, v0
	s_cbranch_vccnz .LBB86_176
; %bb.175:
	v_lshlrev_b32_e32 v0, 3, v0
	buffer_load_dword v47, v0, s[0:3], 0 offen
	buffer_load_dword v48, v0, s[0:3], 0 offen offset:4
	buffer_load_dword v49, off, s[0:3], 0 offset:84
	buffer_load_dword v50, off, s[0:3], 0 offset:80
	s_waitcnt vmcnt(3)
	buffer_store_dword v47, off, s[0:3], 0 offset:80
	s_waitcnt vmcnt(3)
	buffer_store_dword v48, off, s[0:3], 0 offset:84
	s_waitcnt vmcnt(3)
	buffer_store_dword v49, v0, s[0:3], 0 offen offset:4
	s_waitcnt vmcnt(3)
	buffer_store_dword v50, v0, s[0:3], 0 offen
.LBB86_176:
	v_mov_b32_e32 v0, 0
	global_load_dword v47, v0, s[12:13] offset:36
	s_waitcnt vmcnt(0)
	v_add_u32_e32 v47, -1, v47
	v_cmp_eq_u32_e32 vcc, 9, v47
	s_cbranch_vccnz .LBB86_178
; %bb.177:
	v_lshlrev_b32_e32 v47, 3, v47
	buffer_load_dword v48, v47, s[0:3], 0 offen
	buffer_load_dword v49, v47, s[0:3], 0 offen offset:4
	buffer_load_dword v50, off, s[0:3], 0 offset:72
	buffer_load_dword v51, off, s[0:3], 0 offset:76
	s_waitcnt vmcnt(3)
	buffer_store_dword v48, off, s[0:3], 0 offset:72
	s_waitcnt vmcnt(3)
	buffer_store_dword v49, off, s[0:3], 0 offset:76
	s_waitcnt vmcnt(3)
	buffer_store_dword v50, v47, s[0:3], 0 offen
	s_waitcnt vmcnt(3)
	buffer_store_dword v51, v47, s[0:3], 0 offen offset:4
.LBB86_178:
	global_load_dword v0, v0, s[12:13] offset:32
	s_waitcnt vmcnt(0)
	v_add_u32_e32 v0, -1, v0
	v_cmp_eq_u32_e32 vcc, 8, v0
	s_cbranch_vccnz .LBB86_180
; %bb.179:
	v_lshlrev_b32_e32 v0, 3, v0
	buffer_load_dword v47, v0, s[0:3], 0 offen
	buffer_load_dword v48, v0, s[0:3], 0 offen offset:4
	buffer_load_dword v49, off, s[0:3], 0 offset:68
	buffer_load_dword v50, off, s[0:3], 0 offset:64
	s_waitcnt vmcnt(3)
	buffer_store_dword v47, off, s[0:3], 0 offset:64
	s_waitcnt vmcnt(3)
	buffer_store_dword v48, off, s[0:3], 0 offset:68
	s_waitcnt vmcnt(3)
	buffer_store_dword v49, v0, s[0:3], 0 offen offset:4
	s_waitcnt vmcnt(3)
	buffer_store_dword v50, v0, s[0:3], 0 offen
.LBB86_180:
	v_mov_b32_e32 v0, 0
	global_load_dword v47, v0, s[12:13] offset:28
	s_waitcnt vmcnt(0)
	v_add_u32_e32 v47, -1, v47
	v_cmp_eq_u32_e32 vcc, 7, v47
	s_cbranch_vccnz .LBB86_182
; %bb.181:
	v_lshlrev_b32_e32 v47, 3, v47
	buffer_load_dword v48, v47, s[0:3], 0 offen
	buffer_load_dword v49, v47, s[0:3], 0 offen offset:4
	buffer_load_dword v50, off, s[0:3], 0 offset:56
	buffer_load_dword v51, off, s[0:3], 0 offset:60
	s_waitcnt vmcnt(3)
	buffer_store_dword v48, off, s[0:3], 0 offset:56
	s_waitcnt vmcnt(3)
	buffer_store_dword v49, off, s[0:3], 0 offset:60
	s_waitcnt vmcnt(3)
	buffer_store_dword v50, v47, s[0:3], 0 offen
	s_waitcnt vmcnt(3)
	buffer_store_dword v51, v47, s[0:3], 0 offen offset:4
.LBB86_182:
	global_load_dword v0, v0, s[12:13] offset:24
	s_waitcnt vmcnt(0)
	v_add_u32_e32 v0, -1, v0
	v_cmp_eq_u32_e32 vcc, 6, v0
	s_cbranch_vccnz .LBB86_184
; %bb.183:
	v_lshlrev_b32_e32 v0, 3, v0
	buffer_load_dword v47, v0, s[0:3], 0 offen
	buffer_load_dword v48, v0, s[0:3], 0 offen offset:4
	buffer_load_dword v49, off, s[0:3], 0 offset:52
	buffer_load_dword v50, off, s[0:3], 0 offset:48
	s_waitcnt vmcnt(3)
	buffer_store_dword v47, off, s[0:3], 0 offset:48
	s_waitcnt vmcnt(3)
	buffer_store_dword v48, off, s[0:3], 0 offset:52
	s_waitcnt vmcnt(3)
	buffer_store_dword v49, v0, s[0:3], 0 offen offset:4
	s_waitcnt vmcnt(3)
	buffer_store_dword v50, v0, s[0:3], 0 offen
.LBB86_184:
	v_mov_b32_e32 v0, 0
	global_load_dword v47, v0, s[12:13] offset:20
	s_waitcnt vmcnt(0)
	v_add_u32_e32 v47, -1, v47
	v_cmp_eq_u32_e32 vcc, 5, v47
	s_cbranch_vccnz .LBB86_186
; %bb.185:
	v_lshlrev_b32_e32 v47, 3, v47
	buffer_load_dword v48, v47, s[0:3], 0 offen
	buffer_load_dword v49, v47, s[0:3], 0 offen offset:4
	buffer_load_dword v50, off, s[0:3], 0 offset:40
	buffer_load_dword v51, off, s[0:3], 0 offset:44
	s_waitcnt vmcnt(3)
	buffer_store_dword v48, off, s[0:3], 0 offset:40
	s_waitcnt vmcnt(3)
	buffer_store_dword v49, off, s[0:3], 0 offset:44
	s_waitcnt vmcnt(3)
	buffer_store_dword v50, v47, s[0:3], 0 offen
	s_waitcnt vmcnt(3)
	buffer_store_dword v51, v47, s[0:3], 0 offen offset:4
.LBB86_186:
	global_load_dword v0, v0, s[12:13] offset:16
	s_waitcnt vmcnt(0)
	v_add_u32_e32 v0, -1, v0
	v_cmp_eq_u32_e32 vcc, 4, v0
	s_cbranch_vccnz .LBB86_188
; %bb.187:
	v_lshlrev_b32_e32 v0, 3, v0
	buffer_load_dword v47, v0, s[0:3], 0 offen
	buffer_load_dword v48, v0, s[0:3], 0 offen offset:4
	buffer_load_dword v49, off, s[0:3], 0 offset:36
	buffer_load_dword v50, off, s[0:3], 0 offset:32
	s_waitcnt vmcnt(3)
	buffer_store_dword v47, off, s[0:3], 0 offset:32
	s_waitcnt vmcnt(3)
	buffer_store_dword v48, off, s[0:3], 0 offset:36
	s_waitcnt vmcnt(3)
	buffer_store_dword v49, v0, s[0:3], 0 offen offset:4
	s_waitcnt vmcnt(3)
	buffer_store_dword v50, v0, s[0:3], 0 offen
.LBB86_188:
	v_mov_b32_e32 v0, 0
	global_load_dword v47, v0, s[12:13] offset:12
	s_waitcnt vmcnt(0)
	v_add_u32_e32 v47, -1, v47
	v_cmp_eq_u32_e32 vcc, 3, v47
	s_cbranch_vccnz .LBB86_190
; %bb.189:
	v_lshlrev_b32_e32 v47, 3, v47
	buffer_load_dword v48, v47, s[0:3], 0 offen
	buffer_load_dword v49, v47, s[0:3], 0 offen offset:4
	buffer_load_dword v50, off, s[0:3], 0 offset:24
	buffer_load_dword v51, off, s[0:3], 0 offset:28
	s_waitcnt vmcnt(3)
	buffer_store_dword v48, off, s[0:3], 0 offset:24
	s_waitcnt vmcnt(3)
	buffer_store_dword v49, off, s[0:3], 0 offset:28
	s_waitcnt vmcnt(3)
	buffer_store_dword v50, v47, s[0:3], 0 offen
	s_waitcnt vmcnt(3)
	buffer_store_dword v51, v47, s[0:3], 0 offen offset:4
.LBB86_190:
	global_load_dword v0, v0, s[12:13] offset:8
	s_waitcnt vmcnt(0)
	v_add_u32_e32 v0, -1, v0
	v_cmp_eq_u32_e32 vcc, 2, v0
	s_cbranch_vccnz .LBB86_192
; %bb.191:
	v_lshlrev_b32_e32 v0, 3, v0
	buffer_load_dword v47, v0, s[0:3], 0 offen
	buffer_load_dword v48, v0, s[0:3], 0 offen offset:4
	buffer_load_dword v49, off, s[0:3], 0 offset:20
	buffer_load_dword v50, off, s[0:3], 0 offset:16
	s_waitcnt vmcnt(3)
	buffer_store_dword v47, off, s[0:3], 0 offset:16
	s_waitcnt vmcnt(3)
	buffer_store_dword v48, off, s[0:3], 0 offset:20
	s_waitcnt vmcnt(3)
	buffer_store_dword v49, v0, s[0:3], 0 offen offset:4
	s_waitcnt vmcnt(3)
	buffer_store_dword v50, v0, s[0:3], 0 offen
.LBB86_192:
	v_mov_b32_e32 v0, 0
	global_load_dword v47, v0, s[12:13] offset:4
	s_waitcnt vmcnt(0)
	v_add_u32_e32 v47, -1, v47
	v_cmp_eq_u32_e32 vcc, 1, v47
	s_cbranch_vccnz .LBB86_194
; %bb.193:
	v_lshlrev_b32_e32 v47, 3, v47
	buffer_load_dword v48, v47, s[0:3], 0 offen
	buffer_load_dword v49, v47, s[0:3], 0 offen offset:4
	buffer_load_dword v50, off, s[0:3], 0 offset:8
	buffer_load_dword v51, off, s[0:3], 0 offset:12
	s_waitcnt vmcnt(3)
	buffer_store_dword v48, off, s[0:3], 0 offset:8
	s_waitcnt vmcnt(3)
	buffer_store_dword v49, off, s[0:3], 0 offset:12
	s_waitcnt vmcnt(3)
	buffer_store_dword v50, v47, s[0:3], 0 offen
	s_waitcnt vmcnt(3)
	buffer_store_dword v51, v47, s[0:3], 0 offen offset:4
.LBB86_194:
	global_load_dword v0, v0, s[12:13]
	s_waitcnt vmcnt(0)
	v_add_u32_e32 v0, -1, v0
	v_cmp_eq_u32_e32 vcc, 0, v0
	s_cbranch_vccnz .LBB86_196
; %bb.195:
	v_lshlrev_b32_e32 v0, 3, v0
	buffer_load_dword v47, v0, s[0:3], 0 offen
	buffer_load_dword v48, v0, s[0:3], 0 offen offset:4
	buffer_load_dword v49, off, s[0:3], 0 offset:4
	buffer_load_dword v50, off, s[0:3], 0
	s_waitcnt vmcnt(3)
	buffer_store_dword v47, off, s[0:3], 0
	s_waitcnt vmcnt(3)
	buffer_store_dword v48, off, s[0:3], 0 offset:4
	s_waitcnt vmcnt(3)
	buffer_store_dword v49, v0, s[0:3], 0 offen offset:4
	s_waitcnt vmcnt(3)
	buffer_store_dword v50, v0, s[0:3], 0 offen
.LBB86_196:
	buffer_load_dword v47, off, s[0:3], 0
	buffer_load_dword v48, off, s[0:3], 0 offset:4
	s_waitcnt vmcnt(0)
	flat_store_dwordx2 v[1:2], v[47:48]
	buffer_load_dword v0, off, s[0:3], 0 offset:8
	s_nop 0
	buffer_load_dword v1, off, s[0:3], 0 offset:12
	s_waitcnt vmcnt(0)
	flat_store_dwordx2 v[3:4], v[0:1]
	buffer_load_dword v0, off, s[0:3], 0 offset:16
	s_nop 0
	;; [unrolled: 5-line block ×22, first 2 shown]
	buffer_load_dword v1, off, s[0:3], 0 offset:180
	s_waitcnt vmcnt(0)
	flat_store_dwordx2 v[45:46], v[0:1]
	s_endpgm
	.section	.rodata,"a",@progbits
	.p2align	6, 0x0
	.amdhsa_kernel _ZN9rocsolver6v33100L18getri_kernel_smallILi23E19rocblas_complex_numIfEPKPS3_EEvT1_iilPiilS8_bb
		.amdhsa_group_segment_fixed_size 376
		.amdhsa_private_segment_fixed_size 192
		.amdhsa_kernarg_size 60
		.amdhsa_user_sgpr_count 6
		.amdhsa_user_sgpr_private_segment_buffer 1
		.amdhsa_user_sgpr_dispatch_ptr 0
		.amdhsa_user_sgpr_queue_ptr 0
		.amdhsa_user_sgpr_kernarg_segment_ptr 1
		.amdhsa_user_sgpr_dispatch_id 0
		.amdhsa_user_sgpr_flat_scratch_init 0
		.amdhsa_user_sgpr_private_segment_size 0
		.amdhsa_uses_dynamic_stack 0
		.amdhsa_system_sgpr_private_segment_wavefront_offset 1
		.amdhsa_system_sgpr_workgroup_id_x 1
		.amdhsa_system_sgpr_workgroup_id_y 0
		.amdhsa_system_sgpr_workgroup_id_z 0
		.amdhsa_system_sgpr_workgroup_info 0
		.amdhsa_system_vgpr_workitem_id 0
		.amdhsa_next_free_vgpr 140
		.amdhsa_next_free_sgpr 21
		.amdhsa_reserve_vcc 1
		.amdhsa_reserve_flat_scratch 0
		.amdhsa_float_round_mode_32 0
		.amdhsa_float_round_mode_16_64 0
		.amdhsa_float_denorm_mode_32 3
		.amdhsa_float_denorm_mode_16_64 3
		.amdhsa_dx10_clamp 1
		.amdhsa_ieee_mode 1
		.amdhsa_fp16_overflow 0
		.amdhsa_exception_fp_ieee_invalid_op 0
		.amdhsa_exception_fp_denorm_src 0
		.amdhsa_exception_fp_ieee_div_zero 0
		.amdhsa_exception_fp_ieee_overflow 0
		.amdhsa_exception_fp_ieee_underflow 0
		.amdhsa_exception_fp_ieee_inexact 0
		.amdhsa_exception_int_div_zero 0
	.end_amdhsa_kernel
	.section	.text._ZN9rocsolver6v33100L18getri_kernel_smallILi23E19rocblas_complex_numIfEPKPS3_EEvT1_iilPiilS8_bb,"axG",@progbits,_ZN9rocsolver6v33100L18getri_kernel_smallILi23E19rocblas_complex_numIfEPKPS3_EEvT1_iilPiilS8_bb,comdat
.Lfunc_end86:
	.size	_ZN9rocsolver6v33100L18getri_kernel_smallILi23E19rocblas_complex_numIfEPKPS3_EEvT1_iilPiilS8_bb, .Lfunc_end86-_ZN9rocsolver6v33100L18getri_kernel_smallILi23E19rocblas_complex_numIfEPKPS3_EEvT1_iilPiilS8_bb
                                        ; -- End function
	.set _ZN9rocsolver6v33100L18getri_kernel_smallILi23E19rocblas_complex_numIfEPKPS3_EEvT1_iilPiilS8_bb.num_vgpr, 140
	.set _ZN9rocsolver6v33100L18getri_kernel_smallILi23E19rocblas_complex_numIfEPKPS3_EEvT1_iilPiilS8_bb.num_agpr, 0
	.set _ZN9rocsolver6v33100L18getri_kernel_smallILi23E19rocblas_complex_numIfEPKPS3_EEvT1_iilPiilS8_bb.numbered_sgpr, 21
	.set _ZN9rocsolver6v33100L18getri_kernel_smallILi23E19rocblas_complex_numIfEPKPS3_EEvT1_iilPiilS8_bb.num_named_barrier, 0
	.set _ZN9rocsolver6v33100L18getri_kernel_smallILi23E19rocblas_complex_numIfEPKPS3_EEvT1_iilPiilS8_bb.private_seg_size, 192
	.set _ZN9rocsolver6v33100L18getri_kernel_smallILi23E19rocblas_complex_numIfEPKPS3_EEvT1_iilPiilS8_bb.uses_vcc, 1
	.set _ZN9rocsolver6v33100L18getri_kernel_smallILi23E19rocblas_complex_numIfEPKPS3_EEvT1_iilPiilS8_bb.uses_flat_scratch, 0
	.set _ZN9rocsolver6v33100L18getri_kernel_smallILi23E19rocblas_complex_numIfEPKPS3_EEvT1_iilPiilS8_bb.has_dyn_sized_stack, 0
	.set _ZN9rocsolver6v33100L18getri_kernel_smallILi23E19rocblas_complex_numIfEPKPS3_EEvT1_iilPiilS8_bb.has_recursion, 0
	.set _ZN9rocsolver6v33100L18getri_kernel_smallILi23E19rocblas_complex_numIfEPKPS3_EEvT1_iilPiilS8_bb.has_indirect_call, 0
	.section	.AMDGPU.csdata,"",@progbits
; Kernel info:
; codeLenInByte = 26584
; TotalNumSgprs: 25
; NumVgprs: 140
; ScratchSize: 192
; MemoryBound: 0
; FloatMode: 240
; IeeeMode: 1
; LDSByteSize: 376 bytes/workgroup (compile time only)
; SGPRBlocks: 3
; VGPRBlocks: 34
; NumSGPRsForWavesPerEU: 25
; NumVGPRsForWavesPerEU: 140
; Occupancy: 1
; WaveLimiterHint : 1
; COMPUTE_PGM_RSRC2:SCRATCH_EN: 1
; COMPUTE_PGM_RSRC2:USER_SGPR: 6
; COMPUTE_PGM_RSRC2:TRAP_HANDLER: 0
; COMPUTE_PGM_RSRC2:TGID_X_EN: 1
; COMPUTE_PGM_RSRC2:TGID_Y_EN: 0
; COMPUTE_PGM_RSRC2:TGID_Z_EN: 0
; COMPUTE_PGM_RSRC2:TIDIG_COMP_CNT: 0
	.section	.text._ZN9rocsolver6v33100L18getri_kernel_smallILi24E19rocblas_complex_numIfEPKPS3_EEvT1_iilPiilS8_bb,"axG",@progbits,_ZN9rocsolver6v33100L18getri_kernel_smallILi24E19rocblas_complex_numIfEPKPS3_EEvT1_iilPiilS8_bb,comdat
	.globl	_ZN9rocsolver6v33100L18getri_kernel_smallILi24E19rocblas_complex_numIfEPKPS3_EEvT1_iilPiilS8_bb ; -- Begin function _ZN9rocsolver6v33100L18getri_kernel_smallILi24E19rocblas_complex_numIfEPKPS3_EEvT1_iilPiilS8_bb
	.p2align	8
	.type	_ZN9rocsolver6v33100L18getri_kernel_smallILi24E19rocblas_complex_numIfEPKPS3_EEvT1_iilPiilS8_bb,@function
_ZN9rocsolver6v33100L18getri_kernel_smallILi24E19rocblas_complex_numIfEPKPS3_EEvT1_iilPiilS8_bb: ; @_ZN9rocsolver6v33100L18getri_kernel_smallILi24E19rocblas_complex_numIfEPKPS3_EEvT1_iilPiilS8_bb
; %bb.0:
	s_add_u32 s0, s0, s7
	s_addc_u32 s1, s1, 0
	v_cmp_gt_u32_e32 vcc, 24, v0
	s_and_saveexec_b64 s[8:9], vcc
	s_cbranch_execz .LBB87_110
; %bb.1:
	s_load_dword s18, s[4:5], 0x38
	s_load_dwordx2 s[12:13], s[4:5], 0x0
	s_load_dwordx4 s[8:11], s[4:5], 0x28
	s_waitcnt lgkmcnt(0)
	s_bitcmp1_b32 s18, 8
	s_cselect_b64 s[14:15], -1, 0
	s_ashr_i32 s7, s6, 31
	s_lshl_b64 s[16:17], s[6:7], 3
	s_add_u32 s12, s12, s16
	s_addc_u32 s13, s13, s17
	s_load_dwordx2 s[16:17], s[12:13], 0x0
	s_bfe_u32 s12, s18, 0x10008
	s_cmp_eq_u32 s12, 0
                                        ; implicit-def: $sgpr12_sgpr13
	s_cbranch_scc1 .LBB87_3
; %bb.2:
	s_load_dword s12, s[4:5], 0x20
	s_load_dwordx2 s[18:19], s[4:5], 0x18
	s_mul_i32 s13, s8, s7
	s_mul_hi_u32 s20, s8, s6
	s_add_i32 s20, s20, s13
	s_mul_i32 s9, s9, s6
	s_add_i32 s9, s20, s9
	s_mul_i32 s8, s8, s6
	s_waitcnt lgkmcnt(0)
	s_ashr_i32 s13, s12, 31
	s_lshl_b64 s[8:9], s[8:9], 2
	s_add_u32 s18, s18, s8
	s_addc_u32 s19, s19, s9
	s_lshl_b64 s[8:9], s[12:13], 2
	s_add_u32 s12, s18, s8
	s_addc_u32 s13, s19, s9
.LBB87_3:
	s_load_dwordx2 s[8:9], s[4:5], 0x8
	s_load_dword s18, s[4:5], 0x38
	v_lshlrev_b32_e32 v51, 3, v0
	s_waitcnt lgkmcnt(0)
	s_ashr_i32 s5, s8, 31
	s_mov_b32 s4, s8
	s_lshl_b64 s[4:5], s[4:5], 3
	s_add_u32 s4, s16, s4
	s_addc_u32 s5, s17, s5
	v_mov_b32_e32 v2, s5
	v_add_co_u32_e32 v1, vcc, s4, v51
	v_addc_co_u32_e32 v2, vcc, 0, v2, vcc
	flat_load_dwordx2 v[5:6], v[1:2]
	s_mov_b32 s16, s9
	s_ashr_i32 s17, s9, 31
	s_lshl_b64 s[16:17], s[16:17], 3
	v_mov_b32_e32 v4, s17
	v_add_co_u32_e32 v3, vcc, s16, v1
	v_addc_co_u32_e32 v4, vcc, v2, v4, vcc
	s_add_i32 s8, s9, s9
	v_add_u32_e32 v9, s8, v0
	v_ashrrev_i32_e32 v10, 31, v9
	v_mov_b32_e32 v11, s5
	v_add_u32_e32 v12, s9, v9
	v_ashrrev_i32_e32 v13, 31, v12
	v_mov_b32_e32 v14, s5
	v_mov_b32_e32 v15, s5
	;; [unrolled: 1-line block ×20, first 2 shown]
	s_bitcmp0_b32 s18, 0
	s_waitcnt vmcnt(0) lgkmcnt(0)
	buffer_store_dword v6, off, s[0:3], 0 offset:4
	buffer_store_dword v5, off, s[0:3], 0
	flat_load_dwordx2 v[7:8], v[3:4]
	v_lshlrev_b64 v[5:6], 3, v[9:10]
	s_waitcnt vmcnt(0) lgkmcnt(0)
	buffer_store_dword v8, off, s[0:3], 0 offset:12
	buffer_store_dword v7, off, s[0:3], 0 offset:8
	v_add_co_u32_e32 v5, vcc, s4, v5
	v_addc_co_u32_e32 v6, vcc, v11, v6, vcc
	flat_load_dwordx2 v[10:11], v[5:6]
	v_lshlrev_b64 v[7:8], 3, v[12:13]
	s_waitcnt vmcnt(0) lgkmcnt(0)
	buffer_store_dword v11, off, s[0:3], 0 offset:20
	buffer_store_dword v10, off, s[0:3], 0 offset:16
	v_add_co_u32_e32 v7, vcc, s4, v7
	v_addc_co_u32_e32 v8, vcc, v14, v8, vcc
	flat_load_dwordx2 v[13:14], v[7:8]
	v_add_u32_e32 v11, s9, v12
	v_ashrrev_i32_e32 v12, 31, v11
	v_lshlrev_b64 v[9:10], 3, v[11:12]
	s_waitcnt vmcnt(0) lgkmcnt(0)
	buffer_store_dword v14, off, s[0:3], 0 offset:28
	buffer_store_dword v13, off, s[0:3], 0 offset:24
	v_add_co_u32_e32 v9, vcc, s4, v9
	v_addc_co_u32_e32 v10, vcc, v15, v10, vcc
	flat_load_dwordx2 v[13:14], v[9:10]
	v_add_u32_e32 v15, s9, v11
	v_ashrrev_i32_e32 v16, 31, v15
	v_lshlrev_b64 v[11:12], 3, v[15:16]
	v_add_u32_e32 v18, s9, v15
	v_add_co_u32_e32 v11, vcc, s4, v11
	v_addc_co_u32_e32 v12, vcc, v17, v12, vcc
	v_ashrrev_i32_e32 v19, 31, v18
	s_waitcnt vmcnt(0) lgkmcnt(0)
	buffer_store_dword v14, off, s[0:3], 0 offset:36
	buffer_store_dword v13, off, s[0:3], 0 offset:32
	flat_load_dwordx2 v[16:17], v[11:12]
	v_lshlrev_b64 v[13:14], 3, v[18:19]
	s_waitcnt vmcnt(0) lgkmcnt(0)
	buffer_store_dword v17, off, s[0:3], 0 offset:44
	buffer_store_dword v16, off, s[0:3], 0 offset:40
	v_add_co_u32_e32 v13, vcc, s4, v13
	v_addc_co_u32_e32 v14, vcc, v20, v14, vcc
	flat_load_dwordx2 v[19:20], v[13:14]
	v_add_u32_e32 v17, s9, v18
	v_ashrrev_i32_e32 v18, 31, v17
	v_lshlrev_b64 v[15:16], 3, v[17:18]
	s_waitcnt vmcnt(0) lgkmcnt(0)
	buffer_store_dword v20, off, s[0:3], 0 offset:52
	buffer_store_dword v19, off, s[0:3], 0 offset:48
	v_add_co_u32_e32 v15, vcc, s4, v15
	v_addc_co_u32_e32 v16, vcc, v21, v16, vcc
	flat_load_dwordx2 v[19:20], v[15:16]
	v_add_u32_e32 v21, s9, v17
	v_ashrrev_i32_e32 v22, 31, v21
	v_lshlrev_b64 v[17:18], 3, v[21:22]
	v_add_u32_e32 v24, s9, v21
	v_add_co_u32_e32 v17, vcc, s4, v17
	v_addc_co_u32_e32 v18, vcc, v23, v18, vcc
	v_ashrrev_i32_e32 v25, 31, v24
	s_waitcnt vmcnt(0) lgkmcnt(0)
	buffer_store_dword v20, off, s[0:3], 0 offset:60
	buffer_store_dword v19, off, s[0:3], 0 offset:56
	;; [unrolled: 27-line block ×6, first 2 shown]
	flat_load_dwordx2 v[46:47], v[41:42]
	v_lshlrev_b64 v[43:44], 3, v[48:49]
	s_waitcnt vmcnt(0) lgkmcnt(0)
	buffer_store_dword v47, off, s[0:3], 0 offset:164
	buffer_store_dword v46, off, s[0:3], 0 offset:160
	v_add_co_u32_e32 v43, vcc, s4, v43
	v_addc_co_u32_e32 v44, vcc, v50, v44, vcc
	flat_load_dwordx2 v[49:50], v[43:44]
	v_add_u32_e32 v47, s9, v48
	v_ashrrev_i32_e32 v48, 31, v47
	v_lshlrev_b64 v[45:46], 3, v[47:48]
	v_add_u32_e32 v47, s9, v47
	v_add_co_u32_e32 v45, vcc, s4, v45
	v_addc_co_u32_e32 v46, vcc, v52, v46, vcc
	v_ashrrev_i32_e32 v48, 31, v47
	v_lshlrev_b64 v[47:48], 3, v[47:48]
	s_mov_b64 s[8:9], -1
	v_add_co_u32_e32 v47, vcc, s4, v47
	v_addc_co_u32_e32 v48, vcc, v52, v48, vcc
	s_waitcnt vmcnt(0) lgkmcnt(0)
	buffer_store_dword v50, off, s[0:3], 0 offset:172
	buffer_store_dword v49, off, s[0:3], 0 offset:168
	flat_load_dwordx2 v[49:50], v[45:46]
	s_waitcnt vmcnt(0) lgkmcnt(0)
	buffer_store_dword v50, off, s[0:3], 0 offset:180
	buffer_store_dword v49, off, s[0:3], 0 offset:176
	flat_load_dwordx2 v[49:50], v[47:48]
	s_waitcnt vmcnt(0) lgkmcnt(0)
	buffer_store_dword v50, off, s[0:3], 0 offset:188
	buffer_store_dword v49, off, s[0:3], 0 offset:184
	s_cbranch_scc1 .LBB87_108
; %bb.4:
	v_cmp_eq_u32_e64 s[4:5], 0, v0
	s_and_saveexec_b64 s[8:9], s[4:5]
; %bb.5:
	v_mov_b32_e32 v49, 0
	ds_write_b32 v49, v49 offset:384
; %bb.6:
	s_or_b64 exec, exec, s[8:9]
	v_mov_b32_e32 v49, 0
	v_lshl_add_u32 v53, v0, 3, v49
	s_waitcnt lgkmcnt(0)
	; wave barrier
	buffer_load_dword v49, v53, s[0:3], 0 offen
	buffer_load_dword v50, v53, s[0:3], 0 offen offset:4
	s_waitcnt vmcnt(1)
	v_cmp_eq_f32_e32 vcc, 0, v49
	s_waitcnt vmcnt(0)
	v_cmp_eq_f32_e64 s[8:9], 0, v50
	s_and_b64 s[8:9], vcc, s[8:9]
	s_and_saveexec_b64 s[16:17], s[8:9]
	s_cbranch_execz .LBB87_10
; %bb.7:
	v_mov_b32_e32 v49, 0
	ds_read_b32 v52, v49 offset:384
	v_add_u32_e32 v50, 1, v0
	s_waitcnt lgkmcnt(0)
	v_readfirstlane_b32 s8, v52
	s_cmp_eq_u32 s8, 0
	s_cselect_b64 s[18:19], -1, 0
	v_cmp_gt_i32_e32 vcc, s8, v50
	s_or_b64 s[18:19], s[18:19], vcc
	s_and_b64 exec, exec, s[18:19]
	s_cbranch_execz .LBB87_10
; %bb.8:
	s_mov_b64 s[18:19], 0
	v_mov_b32_e32 v52, s8
.LBB87_9:                               ; =>This Inner Loop Header: Depth=1
	ds_cmpst_rtn_b32 v52, v49, v52, v50 offset:384
	s_waitcnt lgkmcnt(0)
	v_cmp_ne_u32_e32 vcc, 0, v52
	v_cmp_le_i32_e64 s[8:9], v52, v50
	s_and_b64 s[8:9], vcc, s[8:9]
	s_and_b64 s[8:9], exec, s[8:9]
	s_or_b64 s[18:19], s[8:9], s[18:19]
	s_andn2_b64 exec, exec, s[18:19]
	s_cbranch_execnz .LBB87_9
.LBB87_10:
	s_or_b64 exec, exec, s[16:17]
	v_mov_b32_e32 v50, 0
	; wave barrier
	ds_read_b32 v49, v50 offset:384
	s_and_saveexec_b64 s[8:9], s[4:5]
	s_cbranch_execz .LBB87_12
; %bb.11:
	s_lshl_b64 s[16:17], s[6:7], 2
	s_add_u32 s16, s10, s16
	s_addc_u32 s17, s11, s17
	s_waitcnt lgkmcnt(0)
	global_store_dword v50, v49, s[16:17]
.LBB87_12:
	s_or_b64 exec, exec, s[8:9]
	s_waitcnt lgkmcnt(0)
	v_cmp_ne_u32_e32 vcc, 0, v49
	s_mov_b64 s[8:9], 0
	s_cbranch_vccnz .LBB87_108
; %bb.13:
	buffer_load_dword v50, v53, s[0:3], 0 offen
	buffer_load_dword v52, v53, s[0:3], 0 offen offset:4
                                        ; implicit-def: $vgpr55
                                        ; implicit-def: $vgpr54
                                        ; implicit-def: $vgpr49
	s_waitcnt vmcnt(0)
	v_cmp_ngt_f32_e64 s[8:9], |v50|, |v52|
	s_and_saveexec_b64 s[16:17], s[8:9]
	s_xor_b64 s[8:9], exec, s[16:17]
	s_cbranch_execz .LBB87_15
; %bb.14:
	v_div_scale_f32 v49, s[16:17], v52, v52, v50
	v_div_scale_f32 v54, vcc, v50, v52, v50
	v_rcp_f32_e32 v55, v49
	v_fma_f32 v56, -v49, v55, 1.0
	v_fmac_f32_e32 v55, v56, v55
	v_mul_f32_e32 v56, v54, v55
	v_fma_f32 v57, -v49, v56, v54
	v_fmac_f32_e32 v56, v57, v55
	v_fma_f32 v49, -v49, v56, v54
	v_div_fmas_f32 v49, v49, v55, v56
	v_div_fixup_f32 v49, v49, v52, v50
	v_fmac_f32_e32 v52, v50, v49
	v_div_scale_f32 v50, s[16:17], v52, v52, 1.0
	v_div_scale_f32 v54, vcc, 1.0, v52, 1.0
	v_rcp_f32_e32 v55, v50
	v_fma_f32 v56, -v50, v55, 1.0
	v_fmac_f32_e32 v55, v56, v55
	v_mul_f32_e32 v56, v54, v55
	v_fma_f32 v57, -v50, v56, v54
	v_fmac_f32_e32 v56, v57, v55
	v_fma_f32 v50, -v50, v56, v54
	v_div_fmas_f32 v50, v50, v55, v56
	v_div_fixup_f32 v50, v50, v52, 1.0
	v_mul_f32_e32 v55, v49, v50
	v_xor_b32_e32 v54, 0x80000000, v50
	v_xor_b32_e32 v49, 0x80000000, v55
                                        ; implicit-def: $vgpr50
                                        ; implicit-def: $vgpr52
.LBB87_15:
	s_andn2_saveexec_b64 s[8:9], s[8:9]
	s_cbranch_execz .LBB87_17
; %bb.16:
	v_div_scale_f32 v49, s[16:17], v50, v50, v52
	v_div_scale_f32 v54, vcc, v52, v50, v52
	v_rcp_f32_e32 v55, v49
	v_fma_f32 v56, -v49, v55, 1.0
	v_fmac_f32_e32 v55, v56, v55
	v_mul_f32_e32 v56, v54, v55
	v_fma_f32 v57, -v49, v56, v54
	v_fmac_f32_e32 v56, v57, v55
	v_fma_f32 v49, -v49, v56, v54
	v_div_fmas_f32 v49, v49, v55, v56
	v_div_fixup_f32 v54, v49, v50, v52
	v_fmac_f32_e32 v50, v52, v54
	v_div_scale_f32 v49, s[16:17], v50, v50, 1.0
	v_div_scale_f32 v52, vcc, 1.0, v50, 1.0
	v_rcp_f32_e32 v55, v49
	v_fma_f32 v56, -v49, v55, 1.0
	v_fmac_f32_e32 v55, v56, v55
	v_mul_f32_e32 v56, v52, v55
	v_fma_f32 v57, -v49, v56, v52
	v_fmac_f32_e32 v56, v57, v55
	v_fma_f32 v49, -v49, v56, v52
	v_div_fmas_f32 v49, v49, v55, v56
	v_div_fixup_f32 v55, v49, v50, 1.0
	v_xor_b32_e32 v49, 0x80000000, v55
	v_mul_f32_e64 v54, v54, -v55
.LBB87_17:
	s_or_b64 exec, exec, s[8:9]
	buffer_store_dword v55, v53, s[0:3], 0 offen
	buffer_store_dword v54, v53, s[0:3], 0 offen offset:4
	buffer_load_dword v56, off, s[0:3], 0 offset:12
	s_nop 0
	buffer_load_dword v55, off, s[0:3], 0 offset:8
	v_xor_b32_e32 v50, 0x80000000, v54
	v_add_u32_e32 v52, 0xc0, v51
	s_waitcnt vmcnt(0)
	ds_write2_b64 v51, v[49:50], v[55:56] offset1:24
	s_waitcnt lgkmcnt(0)
	; wave barrier
	s_and_saveexec_b64 s[8:9], s[4:5]
	s_cbranch_execz .LBB87_19
; %bb.18:
	buffer_load_dword v56, v53, s[0:3], 0 offen offset:4
	buffer_load_dword v57, v53, s[0:3], 0 offen
	ds_read_b64 v[49:50], v52
	v_mov_b32_e32 v54, 0
	ds_read_b64 v[54:55], v54 offset:8
	s_waitcnt vmcnt(1) lgkmcnt(1)
	v_mul_f32_e32 v58, v50, v56
	v_mul_f32_e32 v56, v49, v56
	s_waitcnt vmcnt(0)
	v_fmac_f32_e32 v56, v50, v57
	v_fma_f32 v49, v49, v57, -v58
	v_add_f32_e32 v50, 0, v56
	v_add_f32_e32 v49, 0, v49
	s_waitcnt lgkmcnt(0)
	v_mul_f32_e32 v56, v50, v55
	v_mul_f32_e32 v55, v49, v55
	v_fma_f32 v49, v49, v54, -v56
	v_fmac_f32_e32 v55, v50, v54
	buffer_store_dword v49, off, s[0:3], 0 offset:8
	buffer_store_dword v55, off, s[0:3], 0 offset:12
.LBB87_19:
	s_or_b64 exec, exec, s[8:9]
	; wave barrier
	buffer_load_dword v49, off, s[0:3], 0 offset:16
	buffer_load_dword v50, off, s[0:3], 0 offset:20
	v_cmp_gt_u32_e32 vcc, 2, v0
	s_waitcnt vmcnt(0)
	ds_write_b64 v52, v[49:50]
	s_waitcnt lgkmcnt(0)
	; wave barrier
	s_and_saveexec_b64 s[8:9], vcc
	s_cbranch_execz .LBB87_23
; %bb.20:
	buffer_load_dword v54, v53, s[0:3], 0 offen offset:4
	buffer_load_dword v55, v53, s[0:3], 0 offen
	ds_read_b64 v[49:50], v52
	s_waitcnt vmcnt(1) lgkmcnt(0)
	v_mul_f32_e32 v53, v50, v54
	v_mul_f32_e32 v54, v49, v54
	s_waitcnt vmcnt(0)
	v_fma_f32 v49, v49, v55, -v53
	v_fmac_f32_e32 v54, v50, v55
	v_add_f32_e32 v50, 0, v49
	v_add_f32_e32 v49, 0, v54
	s_and_saveexec_b64 s[16:17], s[4:5]
	s_cbranch_execz .LBB87_22
; %bb.21:
	buffer_load_dword v55, off, s[0:3], 0 offset:12
	buffer_load_dword v56, off, s[0:3], 0 offset:8
	v_mov_b32_e32 v53, 0
	ds_read_b64 v[53:54], v53 offset:200
	s_waitcnt vmcnt(1) lgkmcnt(0)
	v_mul_f32_e32 v57, v53, v55
	v_mul_f32_e32 v55, v54, v55
	s_waitcnt vmcnt(0)
	v_fmac_f32_e32 v57, v54, v56
	v_fma_f32 v53, v53, v56, -v55
	v_add_f32_e32 v49, v49, v57
	v_add_f32_e32 v50, v50, v53
.LBB87_22:
	s_or_b64 exec, exec, s[16:17]
	v_mov_b32_e32 v53, 0
	ds_read_b64 v[53:54], v53 offset:16
	s_waitcnt lgkmcnt(0)
	v_mul_f32_e32 v55, v49, v54
	v_mul_f32_e32 v54, v50, v54
	v_fma_f32 v50, v50, v53, -v55
	v_fmac_f32_e32 v54, v49, v53
	buffer_store_dword v50, off, s[0:3], 0 offset:16
	buffer_store_dword v54, off, s[0:3], 0 offset:20
.LBB87_23:
	s_or_b64 exec, exec, s[8:9]
	; wave barrier
	buffer_load_dword v49, off, s[0:3], 0 offset:24
	buffer_load_dword v50, off, s[0:3], 0 offset:28
	v_cmp_gt_u32_e32 vcc, 3, v0
	s_waitcnt vmcnt(0)
	ds_write_b64 v52, v[49:50]
	v_add_u32_e32 v49, -1, v0
	s_waitcnt lgkmcnt(0)
	; wave barrier
	s_and_saveexec_b64 s[4:5], vcc
	s_cbranch_execz .LBB87_27
; %bb.24:
	v_add_u32_e32 v53, -1, v0
	v_add_u32_e32 v54, 0xc0, v51
	v_mov_b32_e32 v55, v51
	v_mov_b32_e32 v50, 0
	s_mov_b64 s[8:9], 0
	v_mov_b32_e32 v56, 0
.LBB87_25:                              ; =>This Inner Loop Header: Depth=1
	buffer_load_dword v59, v55, s[0:3], 0 offen offset:4
	buffer_load_dword v60, v55, s[0:3], 0 offen
	ds_read_b64 v[57:58], v54
	v_add_u32_e32 v53, 1, v53
	v_cmp_lt_u32_e32 vcc, 1, v53
	v_add_u32_e32 v54, 8, v54
	v_add_u32_e32 v55, 8, v55
	s_or_b64 s[8:9], vcc, s[8:9]
	s_waitcnt vmcnt(1) lgkmcnt(0)
	v_mul_f32_e32 v61, v58, v59
	v_mul_f32_e32 v59, v57, v59
	s_waitcnt vmcnt(0)
	v_fma_f32 v57, v57, v60, -v61
	v_fmac_f32_e32 v59, v58, v60
	v_add_f32_e32 v56, v56, v57
	v_add_f32_e32 v50, v50, v59
	s_andn2_b64 exec, exec, s[8:9]
	s_cbranch_execnz .LBB87_25
; %bb.26:
	s_or_b64 exec, exec, s[8:9]
	v_mov_b32_e32 v53, 0
	ds_read_b64 v[53:54], v53 offset:24
	s_waitcnt lgkmcnt(0)
	v_mul_f32_e32 v55, v50, v54
	v_mul_f32_e32 v54, v56, v54
	v_fma_f32 v55, v56, v53, -v55
	v_fmac_f32_e32 v54, v50, v53
	buffer_store_dword v55, off, s[0:3], 0 offset:24
	buffer_store_dword v54, off, s[0:3], 0 offset:28
.LBB87_27:
	s_or_b64 exec, exec, s[4:5]
	; wave barrier
	buffer_load_dword v53, off, s[0:3], 0 offset:32
	buffer_load_dword v54, off, s[0:3], 0 offset:36
	v_cmp_gt_u32_e32 vcc, 4, v0
	s_waitcnt vmcnt(0)
	ds_write_b64 v52, v[53:54]
	s_waitcnt lgkmcnt(0)
	; wave barrier
	s_and_saveexec_b64 s[4:5], vcc
	s_cbranch_execz .LBB87_31
; %bb.28:
	v_add_u32_e32 v53, -1, v0
	v_add_u32_e32 v54, 0xc0, v51
	v_mov_b32_e32 v55, v51
	v_mov_b32_e32 v50, 0
	s_mov_b64 s[8:9], 0
	v_mov_b32_e32 v56, 0
.LBB87_29:                              ; =>This Inner Loop Header: Depth=1
	buffer_load_dword v59, v55, s[0:3], 0 offen offset:4
	buffer_load_dword v60, v55, s[0:3], 0 offen
	ds_read_b64 v[57:58], v54
	v_add_u32_e32 v53, 1, v53
	v_cmp_lt_u32_e32 vcc, 2, v53
	v_add_u32_e32 v54, 8, v54
	v_add_u32_e32 v55, 8, v55
	s_or_b64 s[8:9], vcc, s[8:9]
	s_waitcnt vmcnt(1) lgkmcnt(0)
	v_mul_f32_e32 v61, v58, v59
	v_mul_f32_e32 v59, v57, v59
	s_waitcnt vmcnt(0)
	v_fma_f32 v57, v57, v60, -v61
	v_fmac_f32_e32 v59, v58, v60
	v_add_f32_e32 v56, v56, v57
	v_add_f32_e32 v50, v50, v59
	s_andn2_b64 exec, exec, s[8:9]
	s_cbranch_execnz .LBB87_29
; %bb.30:
	s_or_b64 exec, exec, s[8:9]
	v_mov_b32_e32 v53, 0
	ds_read_b64 v[53:54], v53 offset:32
	s_waitcnt lgkmcnt(0)
	v_mul_f32_e32 v55, v50, v54
	v_mul_f32_e32 v54, v56, v54
	v_fma_f32 v55, v56, v53, -v55
	v_fmac_f32_e32 v54, v50, v53
	buffer_store_dword v55, off, s[0:3], 0 offset:32
	buffer_store_dword v54, off, s[0:3], 0 offset:36
.LBB87_31:
	s_or_b64 exec, exec, s[4:5]
	; wave barrier
	buffer_load_dword v53, off, s[0:3], 0 offset:40
	buffer_load_dword v54, off, s[0:3], 0 offset:44
	v_cmp_gt_u32_e32 vcc, 5, v0
	s_waitcnt vmcnt(0)
	ds_write_b64 v52, v[53:54]
	;; [unrolled: 49-line block ×19, first 2 shown]
	s_waitcnt lgkmcnt(0)
	; wave barrier
	s_and_saveexec_b64 s[4:5], vcc
	s_cbranch_execz .LBB87_103
; %bb.100:
	v_add_u32_e32 v53, -1, v0
	v_add_u32_e32 v54, 0xc0, v51
	v_mov_b32_e32 v55, v51
	v_mov_b32_e32 v50, 0
	s_mov_b64 s[8:9], 0
	v_mov_b32_e32 v56, 0
.LBB87_101:                             ; =>This Inner Loop Header: Depth=1
	buffer_load_dword v59, v55, s[0:3], 0 offen offset:4
	buffer_load_dword v60, v55, s[0:3], 0 offen
	ds_read_b64 v[57:58], v54
	v_add_u32_e32 v53, 1, v53
	v_cmp_lt_u32_e32 vcc, 20, v53
	v_add_u32_e32 v54, 8, v54
	v_add_u32_e32 v55, 8, v55
	s_or_b64 s[8:9], vcc, s[8:9]
	s_waitcnt vmcnt(1) lgkmcnt(0)
	v_mul_f32_e32 v61, v58, v59
	v_mul_f32_e32 v59, v57, v59
	s_waitcnt vmcnt(0)
	v_fma_f32 v57, v57, v60, -v61
	v_fmac_f32_e32 v59, v58, v60
	v_add_f32_e32 v56, v56, v57
	v_add_f32_e32 v50, v50, v59
	s_andn2_b64 exec, exec, s[8:9]
	s_cbranch_execnz .LBB87_101
; %bb.102:
	s_or_b64 exec, exec, s[8:9]
	v_mov_b32_e32 v53, 0
	ds_read_b64 v[53:54], v53 offset:176
	s_waitcnt lgkmcnt(0)
	v_mul_f32_e32 v55, v50, v54
	v_mul_f32_e32 v54, v56, v54
	v_fma_f32 v55, v56, v53, -v55
	v_fmac_f32_e32 v54, v50, v53
	buffer_store_dword v55, off, s[0:3], 0 offset:176
	buffer_store_dword v54, off, s[0:3], 0 offset:180
.LBB87_103:
	s_or_b64 exec, exec, s[4:5]
	; wave barrier
	buffer_load_dword v53, off, s[0:3], 0 offset:184
	buffer_load_dword v54, off, s[0:3], 0 offset:188
	v_cmp_ne_u32_e32 vcc, 23, v0
	s_waitcnt vmcnt(0)
	ds_write_b64 v52, v[53:54]
	s_waitcnt lgkmcnt(0)
	; wave barrier
	s_and_saveexec_b64 s[4:5], vcc
	s_cbranch_execz .LBB87_107
; %bb.104:
	v_add_u32_e32 v52, 0xc0, v51
	v_mov_b32_e32 v50, 0
	s_mov_b64 s[8:9], 0
	v_mov_b32_e32 v53, 0
.LBB87_105:                             ; =>This Inner Loop Header: Depth=1
	buffer_load_dword v56, v51, s[0:3], 0 offen offset:4
	buffer_load_dword v57, v51, s[0:3], 0 offen
	ds_read_b64 v[54:55], v52
	v_add_u32_e32 v49, 1, v49
	v_cmp_lt_u32_e32 vcc, 21, v49
	v_add_u32_e32 v52, 8, v52
	v_add_u32_e32 v51, 8, v51
	s_or_b64 s[8:9], vcc, s[8:9]
	s_waitcnt vmcnt(1) lgkmcnt(0)
	v_mul_f32_e32 v58, v55, v56
	v_mul_f32_e32 v56, v54, v56
	s_waitcnt vmcnt(0)
	v_fma_f32 v54, v54, v57, -v58
	v_fmac_f32_e32 v56, v55, v57
	v_add_f32_e32 v53, v53, v54
	v_add_f32_e32 v50, v50, v56
	s_andn2_b64 exec, exec, s[8:9]
	s_cbranch_execnz .LBB87_105
; %bb.106:
	s_or_b64 exec, exec, s[8:9]
	v_mov_b32_e32 v49, 0
	ds_read_b64 v[51:52], v49 offset:184
	s_waitcnt lgkmcnt(0)
	v_mul_f32_e32 v49, v50, v52
	v_mul_f32_e32 v52, v53, v52
	v_fma_f32 v49, v53, v51, -v49
	v_fmac_f32_e32 v52, v50, v51
	buffer_store_dword v49, off, s[0:3], 0 offset:184
	buffer_store_dword v52, off, s[0:3], 0 offset:188
.LBB87_107:
	s_or_b64 exec, exec, s[4:5]
	s_mov_b64 s[8:9], -1
	; wave barrier
.LBB87_108:
	s_and_b64 vcc, exec, s[8:9]
	s_cbranch_vccz .LBB87_110
; %bb.109:
	s_lshl_b64 s[4:5], s[6:7], 2
	s_add_u32 s4, s10, s4
	s_addc_u32 s5, s11, s5
	v_mov_b32_e32 v49, 0
	global_load_dword v49, v49, s[4:5]
	s_waitcnt vmcnt(0)
	v_cmp_ne_u32_e32 vcc, 0, v49
	s_cbranch_vccz .LBB87_111
.LBB87_110:
	s_endpgm
.LBB87_111:
	v_mov_b32_e32 v49, 0xc0
	v_lshl_add_u32 v49, v0, 3, v49
	v_cmp_eq_u32_e32 vcc, 23, v0
	s_and_saveexec_b64 s[4:5], vcc
	s_cbranch_execz .LBB87_113
; %bb.112:
	buffer_load_dword v50, off, s[0:3], 0 offset:176
	buffer_load_dword v51, off, s[0:3], 0 offset:180
	v_mov_b32_e32 v52, 0
	buffer_store_dword v52, off, s[0:3], 0 offset:176
	buffer_store_dword v52, off, s[0:3], 0 offset:180
	s_waitcnt vmcnt(2)
	ds_write_b64 v49, v[50:51]
.LBB87_113:
	s_or_b64 exec, exec, s[4:5]
	s_waitcnt lgkmcnt(0)
	; wave barrier
	buffer_load_dword v53, off, s[0:3], 0 offset:188
	buffer_load_dword v54, off, s[0:3], 0 offset:184
	;; [unrolled: 1-line block ×4, first 2 shown]
	v_mov_b32_e32 v50, 0
	ds_read_b64 v[51:52], v50 offset:376
	v_cmp_lt_u32_e32 vcc, 21, v0
	s_waitcnt vmcnt(3) lgkmcnt(0)
	v_mul_f32_e32 v57, v51, v53
	v_mul_f32_e32 v53, v52, v53
	s_waitcnt vmcnt(2)
	v_fma_f32 v51, v51, v54, -v53
	v_fmac_f32_e32 v57, v52, v54
	v_add_f32_e32 v51, 0, v51
	v_add_f32_e32 v52, 0, v57
	s_waitcnt vmcnt(1)
	v_sub_f32_e32 v51, v55, v51
	s_waitcnt vmcnt(0)
	v_sub_f32_e32 v52, v56, v52
	buffer_store_dword v51, off, s[0:3], 0 offset:176
	buffer_store_dword v52, off, s[0:3], 0 offset:180
	s_and_saveexec_b64 s[4:5], vcc
	s_cbranch_execz .LBB87_115
; %bb.114:
	buffer_load_dword v51, off, s[0:3], 0 offset:168
	buffer_load_dword v52, off, s[0:3], 0 offset:172
	s_waitcnt vmcnt(0)
	ds_write_b64 v49, v[51:52]
	buffer_store_dword v50, off, s[0:3], 0 offset:168
	buffer_store_dword v50, off, s[0:3], 0 offset:172
.LBB87_115:
	s_or_b64 exec, exec, s[4:5]
	s_waitcnt lgkmcnt(0)
	; wave barrier
	buffer_load_dword v54, off, s[0:3], 0 offset:180
	buffer_load_dword v55, off, s[0:3], 0 offset:188
	;; [unrolled: 1-line block ×6, first 2 shown]
	ds_read_b128 v[50:53], v50 offset:368
	v_cmp_lt_u32_e32 vcc, 20, v0
	s_waitcnt vmcnt(5) lgkmcnt(0)
	v_mul_f32_e32 v60, v50, v54
	v_mul_f32_e32 v54, v51, v54
	s_waitcnt vmcnt(4)
	v_mul_f32_e32 v61, v52, v55
	v_mul_f32_e32 v55, v53, v55
	s_waitcnt vmcnt(3)
	v_fma_f32 v50, v50, v56, -v54
	v_fmac_f32_e32 v60, v51, v56
	s_waitcnt vmcnt(2)
	v_fma_f32 v51, v52, v57, -v55
	v_add_f32_e32 v50, 0, v50
	v_fmac_f32_e32 v61, v53, v57
	v_add_f32_e32 v52, 0, v60
	v_add_f32_e32 v50, v50, v51
	;; [unrolled: 1-line block ×3, first 2 shown]
	s_waitcnt vmcnt(1)
	v_sub_f32_e32 v50, v58, v50
	s_waitcnt vmcnt(0)
	v_sub_f32_e32 v51, v59, v52
	buffer_store_dword v50, off, s[0:3], 0 offset:168
	buffer_store_dword v51, off, s[0:3], 0 offset:172
	s_and_saveexec_b64 s[4:5], vcc
	s_cbranch_execz .LBB87_117
; %bb.116:
	buffer_load_dword v50, off, s[0:3], 0 offset:160
	buffer_load_dword v51, off, s[0:3], 0 offset:164
	v_mov_b32_e32 v52, 0
	buffer_store_dword v52, off, s[0:3], 0 offset:160
	buffer_store_dword v52, off, s[0:3], 0 offset:164
	s_waitcnt vmcnt(2)
	ds_write_b64 v49, v[50:51]
.LBB87_117:
	s_or_b64 exec, exec, s[4:5]
	s_waitcnt lgkmcnt(0)
	; wave barrier
	buffer_load_dword v57, off, s[0:3], 0 offset:172
	buffer_load_dword v58, off, s[0:3], 0 offset:180
	;; [unrolled: 1-line block ×8, first 2 shown]
	v_mov_b32_e32 v50, 0
	ds_read2_b64 v[51:54], v50 offset0:45 offset1:46
	ds_read_b64 v[55:56], v50 offset:376
	v_cmp_lt_u32_e32 vcc, 19, v0
	s_waitcnt vmcnt(7) lgkmcnt(1)
	v_mul_f32_e32 v65, v51, v57
	v_mul_f32_e32 v57, v52, v57
	s_waitcnt vmcnt(6)
	v_mul_f32_e32 v66, v53, v58
	v_mul_f32_e32 v58, v54, v58
	s_waitcnt vmcnt(4)
	v_fma_f32 v51, v51, v60, -v57
	s_waitcnt lgkmcnt(0)
	v_mul_f32_e32 v67, v55, v59
	v_mul_f32_e32 v59, v56, v59
	v_fmac_f32_e32 v65, v52, v60
	s_waitcnt vmcnt(3)
	v_fma_f32 v52, v53, v61, -v58
	v_add_f32_e32 v51, 0, v51
	v_fmac_f32_e32 v66, v54, v61
	s_waitcnt vmcnt(2)
	v_fma_f32 v53, v55, v62, -v59
	v_add_f32_e32 v54, 0, v65
	v_add_f32_e32 v51, v51, v52
	v_fmac_f32_e32 v67, v56, v62
	v_add_f32_e32 v54, v54, v66
	v_add_f32_e32 v51, v51, v53
	;; [unrolled: 1-line block ×3, first 2 shown]
	s_waitcnt vmcnt(1)
	v_sub_f32_e32 v51, v63, v51
	s_waitcnt vmcnt(0)
	v_sub_f32_e32 v52, v64, v52
	buffer_store_dword v51, off, s[0:3], 0 offset:160
	buffer_store_dword v52, off, s[0:3], 0 offset:164
	s_and_saveexec_b64 s[4:5], vcc
	s_cbranch_execz .LBB87_119
; %bb.118:
	buffer_load_dword v51, off, s[0:3], 0 offset:152
	buffer_load_dword v52, off, s[0:3], 0 offset:156
	s_waitcnt vmcnt(0)
	ds_write_b64 v49, v[51:52]
	buffer_store_dword v50, off, s[0:3], 0 offset:152
	buffer_store_dword v50, off, s[0:3], 0 offset:156
.LBB87_119:
	s_or_b64 exec, exec, s[4:5]
	s_waitcnt lgkmcnt(0)
	; wave barrier
	buffer_load_dword v59, off, s[0:3], 0 offset:164
	buffer_load_dword v60, off, s[0:3], 0 offset:172
	;; [unrolled: 1-line block ×10, first 2 shown]
	ds_read_b128 v[51:54], v50 offset:352
	ds_read_b128 v[55:58], v50 offset:368
	v_cmp_lt_u32_e32 vcc, 18, v0
	s_waitcnt vmcnt(9) lgkmcnt(1)
	v_mul_f32_e32 v50, v51, v59
	v_mul_f32_e32 v59, v52, v59
	s_waitcnt vmcnt(8)
	v_mul_f32_e32 v69, v53, v60
	v_mul_f32_e32 v60, v54, v60
	s_waitcnt vmcnt(5)
	v_fma_f32 v51, v51, v63, -v59
	s_waitcnt lgkmcnt(0)
	v_mul_f32_e32 v70, v55, v61
	v_mul_f32_e32 v61, v56, v61
	v_fmac_f32_e32 v50, v52, v63
	s_waitcnt vmcnt(4)
	v_fma_f32 v52, v53, v64, -v60
	v_add_f32_e32 v51, 0, v51
	v_mul_f32_e32 v71, v57, v62
	v_mul_f32_e32 v62, v58, v62
	v_fmac_f32_e32 v69, v54, v64
	s_waitcnt vmcnt(3)
	v_fma_f32 v53, v55, v65, -v61
	v_add_f32_e32 v50, 0, v50
	v_add_f32_e32 v51, v51, v52
	v_fmac_f32_e32 v70, v56, v65
	s_waitcnt vmcnt(2)
	v_fma_f32 v54, v57, v66, -v62
	v_add_f32_e32 v50, v50, v69
	v_add_f32_e32 v51, v51, v53
	v_fmac_f32_e32 v71, v58, v66
	v_add_f32_e32 v50, v50, v70
	v_add_f32_e32 v51, v51, v54
	;; [unrolled: 1-line block ×3, first 2 shown]
	s_waitcnt vmcnt(1)
	v_sub_f32_e32 v51, v67, v51
	s_waitcnt vmcnt(0)
	v_sub_f32_e32 v50, v68, v50
	buffer_store_dword v51, off, s[0:3], 0 offset:152
	buffer_store_dword v50, off, s[0:3], 0 offset:156
	s_and_saveexec_b64 s[4:5], vcc
	s_cbranch_execz .LBB87_121
; %bb.120:
	buffer_load_dword v50, off, s[0:3], 0 offset:144
	buffer_load_dword v51, off, s[0:3], 0 offset:148
	v_mov_b32_e32 v52, 0
	buffer_store_dword v52, off, s[0:3], 0 offset:144
	buffer_store_dword v52, off, s[0:3], 0 offset:148
	s_waitcnt vmcnt(2)
	ds_write_b64 v49, v[50:51]
.LBB87_121:
	s_or_b64 exec, exec, s[4:5]
	s_waitcnt lgkmcnt(0)
	; wave barrier
	buffer_load_dword v61, off, s[0:3], 0 offset:156
	buffer_load_dword v62, off, s[0:3], 0 offset:164
	;; [unrolled: 1-line block ×12, first 2 shown]
	v_mov_b32_e32 v50, 0
	ds_read2_b64 v[51:54], v50 offset0:43 offset1:44
	ds_read2_b64 v[55:58], v50 offset0:45 offset1:46
	ds_read_b64 v[59:60], v50 offset:376
	v_cmp_lt_u32_e32 vcc, 17, v0
	s_waitcnt vmcnt(11) lgkmcnt(2)
	v_mul_f32_e32 v73, v51, v61
	v_mul_f32_e32 v61, v52, v61
	s_waitcnt vmcnt(10)
	v_mul_f32_e32 v74, v53, v62
	v_mul_f32_e32 v62, v54, v62
	s_waitcnt vmcnt(9) lgkmcnt(1)
	v_mul_f32_e32 v75, v55, v63
	s_waitcnt vmcnt(6)
	v_fma_f32 v51, v51, v66, -v61
	v_mul_f32_e32 v63, v56, v63
	v_fmac_f32_e32 v73, v52, v66
	s_waitcnt vmcnt(5)
	v_fma_f32 v52, v53, v67, -v62
	v_add_f32_e32 v51, 0, v51
	v_mul_f32_e32 v76, v57, v64
	v_mul_f32_e32 v64, v58, v64
	v_fmac_f32_e32 v74, v54, v67
	s_waitcnt vmcnt(4)
	v_fmac_f32_e32 v75, v56, v68
	v_fma_f32 v53, v55, v68, -v63
	v_add_f32_e32 v56, 0, v73
	v_add_f32_e32 v51, v51, v52
	s_waitcnt lgkmcnt(0)
	v_mul_f32_e32 v77, v59, v65
	v_mul_f32_e32 v65, v60, v65
	s_waitcnt vmcnt(3)
	v_fma_f32 v54, v57, v69, -v64
	v_add_f32_e32 v56, v56, v74
	v_add_f32_e32 v51, v51, v53
	v_fmac_f32_e32 v76, v58, v69
	s_waitcnt vmcnt(2)
	v_fma_f32 v55, v59, v70, -v65
	v_add_f32_e32 v52, v56, v75
	v_add_f32_e32 v51, v51, v54
	v_fmac_f32_e32 v77, v60, v70
	v_add_f32_e32 v52, v52, v76
	v_add_f32_e32 v51, v51, v55
	;; [unrolled: 1-line block ×3, first 2 shown]
	s_waitcnt vmcnt(1)
	v_sub_f32_e32 v51, v71, v51
	s_waitcnt vmcnt(0)
	v_sub_f32_e32 v52, v72, v52
	buffer_store_dword v51, off, s[0:3], 0 offset:144
	buffer_store_dword v52, off, s[0:3], 0 offset:148
	s_and_saveexec_b64 s[4:5], vcc
	s_cbranch_execz .LBB87_123
; %bb.122:
	buffer_load_dword v51, off, s[0:3], 0 offset:136
	buffer_load_dword v52, off, s[0:3], 0 offset:140
	s_waitcnt vmcnt(0)
	ds_write_b64 v49, v[51:52]
	buffer_store_dword v50, off, s[0:3], 0 offset:136
	buffer_store_dword v50, off, s[0:3], 0 offset:140
.LBB87_123:
	s_or_b64 exec, exec, s[4:5]
	s_waitcnt lgkmcnt(0)
	; wave barrier
	buffer_load_dword v63, off, s[0:3], 0 offset:148
	buffer_load_dword v64, off, s[0:3], 0 offset:156
	;; [unrolled: 1-line block ×14, first 2 shown]
	ds_read_b128 v[51:54], v50 offset:336
	ds_read_b128 v[55:58], v50 offset:352
	ds_read_b128 v[59:62], v50 offset:368
	v_cmp_lt_u32_e32 vcc, 16, v0
	s_waitcnt vmcnt(13) lgkmcnt(2)
	v_mul_f32_e32 v50, v51, v63
	v_mul_f32_e32 v63, v52, v63
	s_waitcnt vmcnt(12)
	v_mul_f32_e32 v77, v53, v64
	v_mul_f32_e32 v64, v54, v64
	s_waitcnt vmcnt(11) lgkmcnt(1)
	v_mul_f32_e32 v78, v55, v65
	v_mul_f32_e32 v65, v56, v65
	s_waitcnt vmcnt(7)
	v_fma_f32 v51, v51, v69, -v63
	v_fmac_f32_e32 v50, v52, v69
	s_waitcnt vmcnt(6)
	v_fma_f32 v52, v53, v70, -v64
	v_add_f32_e32 v51, 0, v51
	v_mul_f32_e32 v79, v57, v66
	v_mul_f32_e32 v66, v58, v66
	v_fmac_f32_e32 v77, v54, v70
	s_waitcnt vmcnt(5)
	v_fma_f32 v53, v55, v71, -v65
	v_add_f32_e32 v50, 0, v50
	v_add_f32_e32 v51, v51, v52
	s_waitcnt lgkmcnt(0)
	v_mul_f32_e32 v80, v59, v67
	v_mul_f32_e32 v67, v60, v67
	v_fmac_f32_e32 v78, v56, v71
	s_waitcnt vmcnt(4)
	v_fma_f32 v54, v57, v72, -v66
	v_add_f32_e32 v50, v50, v77
	v_add_f32_e32 v51, v51, v53
	v_mul_f32_e32 v81, v61, v68
	v_mul_f32_e32 v68, v62, v68
	v_fmac_f32_e32 v79, v58, v72
	s_waitcnt vmcnt(3)
	v_fma_f32 v55, v59, v73, -v67
	v_add_f32_e32 v50, v50, v78
	v_add_f32_e32 v51, v51, v54
	v_fmac_f32_e32 v80, v60, v73
	s_waitcnt vmcnt(2)
	v_fma_f32 v56, v61, v74, -v68
	v_add_f32_e32 v50, v50, v79
	v_add_f32_e32 v51, v51, v55
	v_fmac_f32_e32 v81, v62, v74
	v_add_f32_e32 v50, v50, v80
	v_add_f32_e32 v51, v51, v56
	v_add_f32_e32 v50, v50, v81
	s_waitcnt vmcnt(1)
	v_sub_f32_e32 v51, v75, v51
	s_waitcnt vmcnt(0)
	v_sub_f32_e32 v50, v76, v50
	buffer_store_dword v51, off, s[0:3], 0 offset:136
	buffer_store_dword v50, off, s[0:3], 0 offset:140
	s_and_saveexec_b64 s[4:5], vcc
	s_cbranch_execz .LBB87_125
; %bb.124:
	buffer_load_dword v50, off, s[0:3], 0 offset:128
	buffer_load_dword v51, off, s[0:3], 0 offset:132
	v_mov_b32_e32 v52, 0
	buffer_store_dword v52, off, s[0:3], 0 offset:128
	buffer_store_dword v52, off, s[0:3], 0 offset:132
	s_waitcnt vmcnt(2)
	ds_write_b64 v49, v[50:51]
.LBB87_125:
	s_or_b64 exec, exec, s[4:5]
	v_mov_b32_e32 v50, 0
	s_waitcnt lgkmcnt(0)
	; wave barrier
	ds_read2_b64 v[51:54], v50 offset0:41 offset1:42
	buffer_load_dword v65, off, s[0:3], 0 offset:128
	buffer_load_dword v66, off, s[0:3], 0 offset:132
	;; [unrolled: 1-line block ×16, first 2 shown]
	v_cmp_lt_u32_e32 vcc, 15, v0
	s_waitcnt vmcnt(12) lgkmcnt(0)
	v_mul_f32_e32 v55, v51, v68
	v_fmac_f32_e32 v55, v52, v67
	s_waitcnt vmcnt(10)
	v_mul_f32_e32 v56, v53, v70
	v_add_f32_e32 v55, 0, v55
	v_fmac_f32_e32 v56, v54, v69
	v_add_f32_e32 v59, v55, v56
	ds_read2_b64 v[55:58], v50 offset0:43 offset1:44
	v_mul_f32_e32 v52, v52, v68
	v_fma_f32 v51, v51, v67, -v52
	v_mul_f32_e32 v52, v54, v70
	v_add_f32_e32 v51, 0, v51
	s_waitcnt vmcnt(8) lgkmcnt(0)
	v_mul_f32_e32 v60, v55, v72
	v_fmac_f32_e32 v60, v56, v71
	v_add_f32_e32 v59, v59, v60
	s_waitcnt vmcnt(6)
	v_mul_f32_e32 v60, v57, v74
	v_fmac_f32_e32 v60, v58, v73
	v_add_f32_e32 v63, v59, v60
	ds_read2_b64 v[59:62], v50 offset0:45 offset1:46
	v_fma_f32 v52, v53, v69, -v52
	v_add_f32_e32 v51, v51, v52
	v_mul_f32_e32 v52, v56, v72
	v_fma_f32 v52, v55, v71, -v52
	s_waitcnt vmcnt(4) lgkmcnt(0)
	v_mul_f32_e32 v64, v59, v76
	v_fmac_f32_e32 v64, v60, v75
	v_add_f32_e32 v63, v63, v64
	s_waitcnt vmcnt(2)
	v_mul_f32_e32 v64, v61, v78
	v_fmac_f32_e32 v64, v62, v77
	v_add_f32_e32 v51, v51, v52
	v_mul_f32_e32 v52, v58, v74
	v_add_f32_e32 v81, v63, v64
	ds_read_b64 v[63:64], v50 offset:376
	v_fma_f32 v52, v57, v73, -v52
	v_add_f32_e32 v51, v51, v52
	v_mul_f32_e32 v52, v60, v76
	v_fma_f32 v52, v59, v75, -v52
	v_add_f32_e32 v51, v51, v52
	v_mul_f32_e32 v52, v62, v78
	v_fma_f32 v52, v61, v77, -v52
	v_add_f32_e32 v51, v51, v52
	s_waitcnt vmcnt(0) lgkmcnt(0)
	v_mul_f32_e32 v52, v64, v80
	v_mul_f32_e32 v82, v63, v80
	v_fma_f32 v52, v63, v79, -v52
	v_fmac_f32_e32 v82, v64, v79
	v_add_f32_e32 v51, v51, v52
	v_add_f32_e32 v81, v81, v82
	v_sub_f32_e32 v51, v65, v51
	v_sub_f32_e32 v52, v66, v81
	buffer_store_dword v51, off, s[0:3], 0 offset:128
	buffer_store_dword v52, off, s[0:3], 0 offset:132
	s_and_saveexec_b64 s[4:5], vcc
	s_cbranch_execz .LBB87_127
; %bb.126:
	buffer_load_dword v51, off, s[0:3], 0 offset:120
	buffer_load_dword v52, off, s[0:3], 0 offset:124
	s_waitcnt vmcnt(0)
	ds_write_b64 v49, v[51:52]
	buffer_store_dword v50, off, s[0:3], 0 offset:120
	buffer_store_dword v50, off, s[0:3], 0 offset:124
.LBB87_127:
	s_or_b64 exec, exec, s[4:5]
	s_waitcnt lgkmcnt(0)
	; wave barrier
	buffer_load_dword v67, off, s[0:3], 0 offset:132
	buffer_load_dword v68, off, s[0:3], 0 offset:140
	;; [unrolled: 1-line block ×18, first 2 shown]
	ds_read_b128 v[51:54], v50 offset:320
	ds_read_b128 v[55:58], v50 offset:336
	ds_read_b128 v[59:62], v50 offset:352
	ds_read_b128 v[63:66], v50 offset:368
	v_cmp_lt_u32_e32 vcc, 14, v0
	s_waitcnt vmcnt(17) lgkmcnt(3)
	v_mul_f32_e32 v50, v51, v67
	v_mul_f32_e32 v67, v52, v67
	s_waitcnt vmcnt(16)
	v_mul_f32_e32 v85, v53, v68
	v_mul_f32_e32 v68, v54, v68
	s_waitcnt vmcnt(15) lgkmcnt(2)
	v_mul_f32_e32 v86, v55, v69
	v_mul_f32_e32 v69, v56, v69
	s_waitcnt vmcnt(14)
	v_mul_f32_e32 v87, v57, v70
	v_mul_f32_e32 v70, v58, v70
	s_waitcnt vmcnt(9)
	v_fma_f32 v51, v51, v75, -v67
	v_fmac_f32_e32 v50, v52, v75
	s_waitcnt vmcnt(8)
	v_fma_f32 v52, v53, v76, -v68
	v_add_f32_e32 v51, 0, v51
	v_fmac_f32_e32 v85, v54, v76
	s_waitcnt vmcnt(7)
	v_fma_f32 v53, v55, v77, -v69
	v_add_f32_e32 v50, 0, v50
	v_add_f32_e32 v51, v51, v52
	s_waitcnt lgkmcnt(1)
	v_mul_f32_e32 v88, v59, v71
	v_mul_f32_e32 v71, v60, v71
	v_fmac_f32_e32 v86, v56, v77
	s_waitcnt vmcnt(6)
	v_fma_f32 v54, v57, v78, -v70
	v_add_f32_e32 v50, v50, v85
	v_add_f32_e32 v51, v51, v53
	v_mul_f32_e32 v89, v61, v72
	v_mul_f32_e32 v72, v62, v72
	v_fmac_f32_e32 v87, v58, v78
	s_waitcnt vmcnt(5)
	v_fma_f32 v55, v59, v79, -v71
	v_add_f32_e32 v50, v50, v86
	v_add_f32_e32 v51, v51, v54
	s_waitcnt lgkmcnt(0)
	v_mul_f32_e32 v90, v63, v73
	v_mul_f32_e32 v73, v64, v73
	v_fmac_f32_e32 v88, v60, v79
	s_waitcnt vmcnt(4)
	v_fma_f32 v56, v61, v80, -v72
	v_add_f32_e32 v50, v50, v87
	v_add_f32_e32 v51, v51, v55
	v_mul_f32_e32 v91, v65, v74
	v_mul_f32_e32 v74, v66, v74
	v_fmac_f32_e32 v89, v62, v80
	s_waitcnt vmcnt(3)
	v_fma_f32 v57, v63, v81, -v73
	v_add_f32_e32 v50, v50, v88
	v_add_f32_e32 v51, v51, v56
	v_fmac_f32_e32 v90, v64, v81
	s_waitcnt vmcnt(2)
	v_fma_f32 v58, v65, v82, -v74
	v_add_f32_e32 v50, v50, v89
	v_add_f32_e32 v51, v51, v57
	v_fmac_f32_e32 v91, v66, v82
	v_add_f32_e32 v50, v50, v90
	v_add_f32_e32 v51, v51, v58
	v_add_f32_e32 v50, v50, v91
	s_waitcnt vmcnt(1)
	v_sub_f32_e32 v51, v83, v51
	s_waitcnt vmcnt(0)
	v_sub_f32_e32 v50, v84, v50
	buffer_store_dword v51, off, s[0:3], 0 offset:120
	buffer_store_dword v50, off, s[0:3], 0 offset:124
	s_and_saveexec_b64 s[4:5], vcc
	s_cbranch_execz .LBB87_129
; %bb.128:
	buffer_load_dword v50, off, s[0:3], 0 offset:112
	buffer_load_dword v51, off, s[0:3], 0 offset:116
	v_mov_b32_e32 v52, 0
	buffer_store_dword v52, off, s[0:3], 0 offset:112
	buffer_store_dword v52, off, s[0:3], 0 offset:116
	s_waitcnt vmcnt(2)
	ds_write_b64 v49, v[50:51]
.LBB87_129:
	s_or_b64 exec, exec, s[4:5]
	s_waitcnt lgkmcnt(0)
	; wave barrier
	buffer_load_dword v69, off, s[0:3], 0 offset:124
	buffer_load_dword v70, off, s[0:3], 0 offset:132
	;; [unrolled: 1-line block ×20, first 2 shown]
	v_mov_b32_e32 v50, 0
	ds_read2_b64 v[51:54], v50 offset0:39 offset1:40
	ds_read2_b64 v[55:58], v50 offset0:41 offset1:42
	;; [unrolled: 1-line block ×4, first 2 shown]
	ds_read_b64 v[67:68], v50 offset:376
	v_cmp_lt_u32_e32 vcc, 13, v0
	s_waitcnt vmcnt(19) lgkmcnt(4)
	v_mul_f32_e32 v89, v51, v69
	v_mul_f32_e32 v69, v52, v69
	s_waitcnt vmcnt(18)
	v_mul_f32_e32 v90, v53, v70
	v_mul_f32_e32 v70, v54, v70
	s_waitcnt vmcnt(17) lgkmcnt(3)
	v_mul_f32_e32 v91, v55, v71
	s_waitcnt vmcnt(15) lgkmcnt(2)
	v_mul_f32_e32 v93, v59, v73
	v_mul_f32_e32 v71, v56, v71
	;; [unrolled: 1-line block ×4, first 2 shown]
	s_waitcnt vmcnt(10)
	v_fma_f32 v51, v51, v78, -v69
	v_fmac_f32_e32 v89, v52, v78
	s_waitcnt vmcnt(9)
	v_fma_f32 v52, v53, v79, -v70
	v_add_f32_e32 v51, 0, v51
	v_mul_f32_e32 v73, v60, v73
	v_fmac_f32_e32 v90, v54, v79
	s_waitcnt vmcnt(6)
	v_fmac_f32_e32 v93, v60, v82
	v_fma_f32 v53, v55, v80, -v71
	v_add_f32_e32 v60, 0, v89
	v_add_f32_e32 v51, v51, v52
	v_fmac_f32_e32 v91, v56, v80
	v_fma_f32 v54, v57, v81, -v72
	v_add_f32_e32 v60, v60, v90
	v_add_f32_e32 v51, v51, v53
	v_mul_f32_e32 v94, v61, v74
	v_mul_f32_e32 v74, v62, v74
	v_fmac_f32_e32 v92, v58, v81
	v_fma_f32 v55, v59, v82, -v73
	v_add_f32_e32 v52, v60, v91
	v_add_f32_e32 v51, v51, v54
	s_waitcnt lgkmcnt(1)
	v_mul_f32_e32 v95, v63, v75
	v_mul_f32_e32 v75, v64, v75
	s_waitcnt vmcnt(5)
	v_fma_f32 v56, v61, v83, -v74
	v_add_f32_e32 v52, v52, v92
	v_add_f32_e32 v51, v51, v55
	v_mul_f32_e32 v96, v65, v76
	v_mul_f32_e32 v76, v66, v76
	v_fmac_f32_e32 v94, v62, v83
	s_waitcnt vmcnt(4)
	v_fma_f32 v57, v63, v84, -v75
	v_add_f32_e32 v52, v52, v93
	v_add_f32_e32 v51, v51, v56
	s_waitcnt lgkmcnt(0)
	v_mul_f32_e32 v97, v67, v77
	v_mul_f32_e32 v77, v68, v77
	v_fmac_f32_e32 v95, v64, v84
	s_waitcnt vmcnt(3)
	v_fma_f32 v58, v65, v85, -v76
	v_add_f32_e32 v52, v52, v94
	v_add_f32_e32 v51, v51, v57
	v_fmac_f32_e32 v96, v66, v85
	s_waitcnt vmcnt(2)
	v_fma_f32 v59, v67, v86, -v77
	v_add_f32_e32 v52, v52, v95
	v_add_f32_e32 v51, v51, v58
	v_fmac_f32_e32 v97, v68, v86
	v_add_f32_e32 v52, v52, v96
	v_add_f32_e32 v51, v51, v59
	v_add_f32_e32 v52, v52, v97
	s_waitcnt vmcnt(1)
	v_sub_f32_e32 v51, v87, v51
	s_waitcnt vmcnt(0)
	v_sub_f32_e32 v52, v88, v52
	buffer_store_dword v51, off, s[0:3], 0 offset:112
	buffer_store_dword v52, off, s[0:3], 0 offset:116
	s_and_saveexec_b64 s[4:5], vcc
	s_cbranch_execz .LBB87_131
; %bb.130:
	buffer_load_dword v51, off, s[0:3], 0 offset:104
	buffer_load_dword v52, off, s[0:3], 0 offset:108
	s_waitcnt vmcnt(0)
	ds_write_b64 v49, v[51:52]
	buffer_store_dword v50, off, s[0:3], 0 offset:104
	buffer_store_dword v50, off, s[0:3], 0 offset:108
.LBB87_131:
	s_or_b64 exec, exec, s[4:5]
	s_waitcnt lgkmcnt(0)
	; wave barrier
	buffer_load_dword v71, off, s[0:3], 0 offset:116
	buffer_load_dword v72, off, s[0:3], 0 offset:124
	;; [unrolled: 1-line block ×22, first 2 shown]
	ds_read_b128 v[51:54], v50 offset:304
	ds_read_b128 v[55:58], v50 offset:320
	;; [unrolled: 1-line block ×5, first 2 shown]
	v_cmp_lt_u32_e32 vcc, 12, v0
	s_waitcnt vmcnt(21) lgkmcnt(4)
	v_mul_f32_e32 v50, v51, v71
	v_mul_f32_e32 v71, v52, v71
	s_waitcnt vmcnt(20)
	v_mul_f32_e32 v93, v53, v72
	v_mul_f32_e32 v72, v54, v72
	s_waitcnt vmcnt(19) lgkmcnt(3)
	v_mul_f32_e32 v94, v55, v73
	v_mul_f32_e32 v73, v56, v73
	s_waitcnt vmcnt(18)
	v_mul_f32_e32 v95, v57, v74
	v_mul_f32_e32 v74, v58, v74
	s_waitcnt vmcnt(17) lgkmcnt(2)
	v_mul_f32_e32 v96, v59, v75
	v_mul_f32_e32 v75, v60, v75
	s_waitcnt vmcnt(11)
	v_fma_f32 v51, v51, v81, -v71
	v_fmac_f32_e32 v50, v52, v81
	s_waitcnt vmcnt(10)
	v_fma_f32 v52, v53, v82, -v72
	v_add_f32_e32 v51, 0, v51
	v_fmac_f32_e32 v93, v54, v82
	s_waitcnt vmcnt(9)
	v_fma_f32 v53, v55, v83, -v73
	v_add_f32_e32 v50, 0, v50
	v_add_f32_e32 v51, v51, v52
	v_fmac_f32_e32 v94, v56, v83
	s_waitcnt vmcnt(8)
	v_fma_f32 v54, v57, v84, -v74
	v_add_f32_e32 v50, v50, v93
	v_add_f32_e32 v51, v51, v53
	v_mul_f32_e32 v97, v61, v76
	v_mul_f32_e32 v76, v62, v76
	v_fmac_f32_e32 v95, v58, v84
	s_waitcnt vmcnt(7)
	v_fma_f32 v55, v59, v85, -v75
	v_add_f32_e32 v50, v50, v94
	v_add_f32_e32 v51, v51, v54
	s_waitcnt lgkmcnt(1)
	v_mul_f32_e32 v98, v63, v77
	v_mul_f32_e32 v77, v64, v77
	v_fmac_f32_e32 v96, v60, v85
	s_waitcnt vmcnt(6)
	v_fma_f32 v56, v61, v86, -v76
	v_add_f32_e32 v50, v50, v95
	v_add_f32_e32 v51, v51, v55
	v_mul_f32_e32 v99, v65, v78
	v_mul_f32_e32 v78, v66, v78
	v_fmac_f32_e32 v97, v62, v86
	s_waitcnt vmcnt(5)
	v_fma_f32 v57, v63, v87, -v77
	v_add_f32_e32 v50, v50, v96
	v_add_f32_e32 v51, v51, v56
	s_waitcnt lgkmcnt(0)
	v_mul_f32_e32 v100, v67, v79
	v_mul_f32_e32 v79, v68, v79
	v_fmac_f32_e32 v98, v64, v87
	s_waitcnt vmcnt(4)
	v_fma_f32 v58, v65, v88, -v78
	v_add_f32_e32 v50, v50, v97
	v_add_f32_e32 v51, v51, v57
	v_mul_f32_e32 v101, v69, v80
	v_mul_f32_e32 v80, v70, v80
	v_fmac_f32_e32 v99, v66, v88
	s_waitcnt vmcnt(3)
	v_fma_f32 v59, v67, v89, -v79
	v_add_f32_e32 v50, v50, v98
	v_add_f32_e32 v51, v51, v58
	v_fmac_f32_e32 v100, v68, v89
	s_waitcnt vmcnt(2)
	v_fma_f32 v60, v69, v90, -v80
	v_add_f32_e32 v50, v50, v99
	v_add_f32_e32 v51, v51, v59
	v_fmac_f32_e32 v101, v70, v90
	v_add_f32_e32 v50, v50, v100
	v_add_f32_e32 v51, v51, v60
	;; [unrolled: 1-line block ×3, first 2 shown]
	s_waitcnt vmcnt(1)
	v_sub_f32_e32 v51, v91, v51
	s_waitcnt vmcnt(0)
	v_sub_f32_e32 v50, v92, v50
	buffer_store_dword v51, off, s[0:3], 0 offset:104
	buffer_store_dword v50, off, s[0:3], 0 offset:108
	s_and_saveexec_b64 s[4:5], vcc
	s_cbranch_execz .LBB87_133
; %bb.132:
	buffer_load_dword v50, off, s[0:3], 0 offset:96
	buffer_load_dword v51, off, s[0:3], 0 offset:100
	v_mov_b32_e32 v52, 0
	buffer_store_dword v52, off, s[0:3], 0 offset:96
	buffer_store_dword v52, off, s[0:3], 0 offset:100
	s_waitcnt vmcnt(2)
	ds_write_b64 v49, v[50:51]
.LBB87_133:
	s_or_b64 exec, exec, s[4:5]
	s_waitcnt lgkmcnt(0)
	; wave barrier
	buffer_load_dword v73, off, s[0:3], 0 offset:108
	buffer_load_dword v74, off, s[0:3], 0 offset:116
	;; [unrolled: 1-line block ×24, first 2 shown]
	v_mov_b32_e32 v50, 0
	ds_read2_b64 v[51:54], v50 offset0:37 offset1:38
	ds_read2_b64 v[55:58], v50 offset0:39 offset1:40
	;; [unrolled: 1-line block ×5, first 2 shown]
	ds_read_b64 v[71:72], v50 offset:376
	v_cmp_lt_u32_e32 vcc, 11, v0
	s_waitcnt vmcnt(23) lgkmcnt(5)
	v_mul_f32_e32 v97, v51, v73
	v_mul_f32_e32 v73, v52, v73
	s_waitcnt vmcnt(22)
	v_mul_f32_e32 v98, v53, v74
	v_mul_f32_e32 v74, v54, v74
	s_waitcnt vmcnt(21) lgkmcnt(4)
	v_mul_f32_e32 v99, v55, v75
	v_mul_f32_e32 v75, v56, v75
	s_waitcnt vmcnt(20)
	v_mul_f32_e32 v100, v57, v76
	s_waitcnt vmcnt(19) lgkmcnt(3)
	v_mul_f32_e32 v101, v59, v77
	v_mul_f32_e32 v76, v58, v76
	;; [unrolled: 1-line block ×3, first 2 shown]
	s_waitcnt vmcnt(18)
	v_mul_f32_e32 v102, v61, v78
	s_waitcnt vmcnt(12)
	v_fma_f32 v51, v51, v84, -v73
	v_fmac_f32_e32 v97, v52, v84
	s_waitcnt vmcnt(11)
	v_fma_f32 v52, v53, v85, -v74
	v_add_f32_e32 v51, 0, v51
	s_waitcnt vmcnt(10)
	v_fma_f32 v53, v55, v86, -v75
	v_add_f32_e32 v51, v51, v52
	v_fmac_f32_e32 v98, v54, v85
	s_waitcnt vmcnt(8)
	v_fmac_f32_e32 v101, v60, v88
	v_fma_f32 v54, v57, v87, -v76
	v_add_f32_e32 v60, 0, v97
	v_add_f32_e32 v51, v51, v53
	v_mul_f32_e32 v78, v62, v78
	v_fmac_f32_e32 v99, v56, v86
	v_fma_f32 v55, v59, v88, -v77
	v_add_f32_e32 v60, v60, v98
	v_add_f32_e32 v51, v51, v54
	s_waitcnt lgkmcnt(2)
	v_mul_f32_e32 v103, v63, v79
	v_mul_f32_e32 v79, v64, v79
	v_fmac_f32_e32 v100, v58, v87
	s_waitcnt vmcnt(7)
	v_fma_f32 v56, v61, v89, -v78
	v_add_f32_e32 v52, v60, v99
	v_add_f32_e32 v51, v51, v55
	v_mul_f32_e32 v104, v65, v80
	v_mul_f32_e32 v80, v66, v80
	s_waitcnt vmcnt(6)
	v_fma_f32 v57, v63, v90, -v79
	v_add_f32_e32 v52, v52, v100
	v_add_f32_e32 v51, v51, v56
	s_waitcnt lgkmcnt(1)
	v_mul_f32_e32 v105, v67, v81
	v_mul_f32_e32 v81, v68, v81
	v_fmac_f32_e32 v102, v62, v89
	s_waitcnt vmcnt(5)
	v_fma_f32 v58, v65, v91, -v80
	v_add_f32_e32 v52, v52, v101
	v_add_f32_e32 v51, v51, v57
	v_fmac_f32_e32 v103, v64, v90
	s_waitcnt vmcnt(4)
	v_fma_f32 v59, v67, v92, -v81
	v_add_f32_e32 v52, v52, v102
	v_add_f32_e32 v51, v51, v58
	v_mul_f32_e32 v53, v70, v82
	v_fmac_f32_e32 v104, v66, v91
	v_add_f32_e32 v52, v52, v103
	v_add_f32_e32 v51, v51, v59
	s_waitcnt vmcnt(3)
	v_fma_f32 v53, v69, v93, -v53
	v_mul_f32_e32 v106, v69, v82
	v_fmac_f32_e32 v105, v68, v92
	v_add_f32_e32 v52, v52, v104
	v_add_f32_e32 v51, v51, v53
	s_waitcnt lgkmcnt(0)
	v_mul_f32_e32 v53, v72, v83
	v_mul_f32_e32 v107, v71, v83
	v_fmac_f32_e32 v106, v70, v93
	v_add_f32_e32 v52, v52, v105
	s_waitcnt vmcnt(2)
	v_fma_f32 v53, v71, v94, -v53
	v_fmac_f32_e32 v107, v72, v94
	v_add_f32_e32 v52, v52, v106
	v_add_f32_e32 v51, v51, v53
	;; [unrolled: 1-line block ×3, first 2 shown]
	s_waitcnt vmcnt(1)
	v_sub_f32_e32 v51, v95, v51
	s_waitcnt vmcnt(0)
	v_sub_f32_e32 v52, v96, v52
	buffer_store_dword v51, off, s[0:3], 0 offset:96
	buffer_store_dword v52, off, s[0:3], 0 offset:100
	s_and_saveexec_b64 s[4:5], vcc
	s_cbranch_execz .LBB87_135
; %bb.134:
	buffer_load_dword v51, off, s[0:3], 0 offset:88
	buffer_load_dword v52, off, s[0:3], 0 offset:92
	s_waitcnt vmcnt(0)
	ds_write_b64 v49, v[51:52]
	buffer_store_dword v50, off, s[0:3], 0 offset:88
	buffer_store_dword v50, off, s[0:3], 0 offset:92
.LBB87_135:
	s_or_b64 exec, exec, s[4:5]
	s_waitcnt lgkmcnt(0)
	; wave barrier
	buffer_load_dword v75, off, s[0:3], 0 offset:100
	buffer_load_dword v76, off, s[0:3], 0 offset:108
	;; [unrolled: 1-line block ×26, first 2 shown]
	ds_read_b128 v[51:54], v50 offset:288
	ds_read_b128 v[55:58], v50 offset:304
	ds_read_b128 v[59:62], v50 offset:320
	ds_read_b128 v[63:66], v50 offset:336
	ds_read_b128 v[67:70], v50 offset:352
	ds_read_b128 v[71:74], v50 offset:368
	v_cmp_lt_u32_e32 vcc, 10, v0
	s_waitcnt vmcnt(25) lgkmcnt(5)
	v_mul_f32_e32 v50, v51, v75
	v_mul_f32_e32 v75, v52, v75
	s_waitcnt vmcnt(24)
	v_mul_f32_e32 v101, v53, v76
	v_mul_f32_e32 v76, v54, v76
	s_waitcnt vmcnt(23) lgkmcnt(4)
	v_mul_f32_e32 v102, v55, v77
	v_mul_f32_e32 v77, v56, v77
	s_waitcnt vmcnt(22)
	v_mul_f32_e32 v103, v57, v78
	v_mul_f32_e32 v78, v58, v78
	;; [unrolled: 6-line block ×3, first 2 shown]
	s_waitcnt vmcnt(13)
	v_fma_f32 v51, v51, v87, -v75
	v_fmac_f32_e32 v50, v52, v87
	s_waitcnt vmcnt(12)
	v_fma_f32 v52, v53, v88, -v76
	v_add_f32_e32 v51, 0, v51
	s_waitcnt vmcnt(11)
	v_fma_f32 v53, v55, v89, -v77
	v_add_f32_e32 v51, v51, v52
	v_fmac_f32_e32 v101, v54, v88
	s_waitcnt vmcnt(10)
	v_fma_f32 v54, v57, v90, -v78
	v_add_f32_e32 v51, v51, v53
	s_waitcnt vmcnt(9)
	v_fma_f32 v55, v59, v91, -v79
	v_add_f32_e32 v51, v51, v54
	s_waitcnt lgkmcnt(2)
	v_mul_f32_e32 v106, v63, v81
	v_mul_f32_e32 v81, v64, v81
	v_fmac_f32_e32 v102, v56, v89
	s_waitcnt vmcnt(8)
	v_fma_f32 v56, v61, v92, -v80
	v_add_f32_e32 v50, 0, v50
	v_add_f32_e32 v51, v51, v55
	v_mul_f32_e32 v107, v65, v82
	v_mul_f32_e32 v82, v66, v82
	s_waitcnt vmcnt(7)
	v_fma_f32 v57, v63, v93, -v81
	v_add_f32_e32 v50, v50, v101
	v_add_f32_e32 v51, v51, v56
	v_fmac_f32_e32 v103, v58, v90
	s_waitcnt vmcnt(6)
	v_fma_f32 v58, v65, v94, -v82
	v_add_f32_e32 v50, v50, v102
	v_add_f32_e32 v51, v51, v57
	s_waitcnt lgkmcnt(1)
	v_mul_f32_e32 v52, v68, v83
	v_fmac_f32_e32 v104, v60, v91
	v_add_f32_e32 v50, v50, v103
	v_add_f32_e32 v51, v51, v58
	s_waitcnt vmcnt(5)
	v_fma_f32 v52, v67, v95, -v52
	v_fmac_f32_e32 v105, v62, v92
	v_add_f32_e32 v50, v50, v104
	v_add_f32_e32 v51, v51, v52
	v_mul_f32_e32 v52, v70, v84
	v_fmac_f32_e32 v106, v64, v93
	v_add_f32_e32 v50, v50, v105
	s_waitcnt vmcnt(4)
	v_fma_f32 v52, v69, v96, -v52
	v_mul_f32_e32 v108, v67, v83
	v_fmac_f32_e32 v107, v66, v94
	v_add_f32_e32 v50, v50, v106
	v_add_f32_e32 v51, v51, v52
	s_waitcnt lgkmcnt(0)
	v_mul_f32_e32 v52, v72, v85
	v_mul_f32_e32 v109, v69, v84
	v_fmac_f32_e32 v108, v68, v95
	v_add_f32_e32 v50, v50, v107
	s_waitcnt vmcnt(3)
	v_fma_f32 v52, v71, v97, -v52
	v_mul_f32_e32 v110, v71, v85
	v_fmac_f32_e32 v109, v70, v96
	v_add_f32_e32 v50, v50, v108
	v_add_f32_e32 v51, v51, v52
	v_mul_f32_e32 v52, v74, v86
	v_mul_f32_e32 v111, v73, v86
	v_fmac_f32_e32 v110, v72, v97
	v_add_f32_e32 v50, v50, v109
	s_waitcnt vmcnt(2)
	v_fma_f32 v52, v73, v98, -v52
	v_fmac_f32_e32 v111, v74, v98
	v_add_f32_e32 v50, v50, v110
	v_add_f32_e32 v51, v51, v52
	;; [unrolled: 1-line block ×3, first 2 shown]
	s_waitcnt vmcnt(1)
	v_sub_f32_e32 v51, v99, v51
	s_waitcnt vmcnt(0)
	v_sub_f32_e32 v50, v100, v50
	buffer_store_dword v51, off, s[0:3], 0 offset:88
	buffer_store_dword v50, off, s[0:3], 0 offset:92
	s_and_saveexec_b64 s[4:5], vcc
	s_cbranch_execz .LBB87_137
; %bb.136:
	buffer_load_dword v50, off, s[0:3], 0 offset:80
	buffer_load_dword v51, off, s[0:3], 0 offset:84
	v_mov_b32_e32 v52, 0
	buffer_store_dword v52, off, s[0:3], 0 offset:80
	buffer_store_dword v52, off, s[0:3], 0 offset:84
	s_waitcnt vmcnt(2)
	ds_write_b64 v49, v[50:51]
.LBB87_137:
	s_or_b64 exec, exec, s[4:5]
	s_waitcnt lgkmcnt(0)
	; wave barrier
	buffer_load_dword v77, off, s[0:3], 0 offset:92
	buffer_load_dword v78, off, s[0:3], 0 offset:100
	;; [unrolled: 1-line block ×28, first 2 shown]
	v_mov_b32_e32 v50, 0
	ds_read2_b64 v[51:54], v50 offset0:35 offset1:36
	ds_read2_b64 v[55:58], v50 offset0:37 offset1:38
	;; [unrolled: 1-line block ×6, first 2 shown]
	ds_read_b64 v[75:76], v50 offset:376
	v_cmp_lt_u32_e32 vcc, 9, v0
	s_waitcnt vmcnt(27) lgkmcnt(6)
	v_mul_f32_e32 v105, v51, v77
	v_mul_f32_e32 v77, v52, v77
	s_waitcnt vmcnt(26)
	v_mul_f32_e32 v106, v53, v78
	v_mul_f32_e32 v78, v54, v78
	s_waitcnt vmcnt(25) lgkmcnt(5)
	v_mul_f32_e32 v107, v55, v79
	v_mul_f32_e32 v79, v56, v79
	s_waitcnt vmcnt(24)
	v_mul_f32_e32 v108, v57, v80
	v_mul_f32_e32 v80, v58, v80
	;; [unrolled: 6-line block ×3, first 2 shown]
	s_waitcnt vmcnt(21) lgkmcnt(3)
	v_mul_f32_e32 v111, v63, v83
	s_waitcnt vmcnt(14)
	v_fma_f32 v51, v51, v90, -v77
	v_fmac_f32_e32 v105, v52, v90
	s_waitcnt vmcnt(13)
	v_fma_f32 v52, v53, v91, -v78
	v_add_f32_e32 v51, 0, v51
	s_waitcnt vmcnt(12)
	v_fma_f32 v53, v55, v92, -v79
	v_add_f32_e32 v51, v51, v52
	v_fmac_f32_e32 v106, v54, v91
	s_waitcnt vmcnt(11)
	v_fma_f32 v54, v57, v93, -v80
	v_add_f32_e32 v51, v51, v53
	s_waitcnt vmcnt(10)
	v_fma_f32 v55, v59, v94, -v81
	v_add_f32_e32 v51, v51, v54
	v_fmac_f32_e32 v107, v56, v92
	s_waitcnt vmcnt(9)
	v_fma_f32 v56, v61, v95, -v82
	v_add_f32_e32 v51, v51, v55
	v_mul_f32_e32 v53, v64, v83
	v_add_f32_e32 v51, v51, v56
	s_waitcnt vmcnt(8)
	v_fma_f32 v53, v63, v96, -v53
	v_add_f32_e32 v51, v51, v53
	v_mul_f32_e32 v53, v66, v84
	v_add_f32_e32 v57, 0, v105
	s_waitcnt vmcnt(7)
	v_fma_f32 v53, v65, v97, -v53
	v_add_f32_e32 v57, v57, v106
	v_add_f32_e32 v51, v51, v53
	s_waitcnt lgkmcnt(2)
	v_mul_f32_e32 v53, v68, v85
	v_fmac_f32_e32 v108, v58, v93
	v_add_f32_e32 v52, v57, v107
	s_waitcnt vmcnt(6)
	v_fma_f32 v53, v67, v98, -v53
	v_fmac_f32_e32 v109, v60, v94
	v_add_f32_e32 v52, v52, v108
	v_add_f32_e32 v51, v51, v53
	v_mul_f32_e32 v53, v70, v86
	v_fmac_f32_e32 v110, v62, v95
	v_add_f32_e32 v52, v52, v109
	s_waitcnt vmcnt(5)
	v_fma_f32 v53, v69, v99, -v53
	v_mul_f32_e32 v112, v65, v84
	v_fmac_f32_e32 v111, v64, v96
	v_add_f32_e32 v52, v52, v110
	v_add_f32_e32 v51, v51, v53
	s_waitcnt lgkmcnt(1)
	v_mul_f32_e32 v53, v72, v87
	v_mul_f32_e32 v113, v67, v85
	v_fmac_f32_e32 v112, v66, v97
	v_add_f32_e32 v52, v52, v111
	s_waitcnt vmcnt(4)
	v_fma_f32 v53, v71, v100, -v53
	v_mul_f32_e32 v114, v69, v86
	v_fmac_f32_e32 v113, v68, v98
	v_add_f32_e32 v52, v52, v112
	v_add_f32_e32 v51, v51, v53
	v_mul_f32_e32 v53, v74, v88
	v_mul_f32_e32 v115, v71, v87
	v_fmac_f32_e32 v114, v70, v99
	v_add_f32_e32 v52, v52, v113
	s_waitcnt vmcnt(3)
	v_fma_f32 v53, v73, v101, -v53
	v_mul_f32_e32 v116, v73, v88
	v_fmac_f32_e32 v115, v72, v100
	v_add_f32_e32 v52, v52, v114
	v_add_f32_e32 v51, v51, v53
	s_waitcnt lgkmcnt(0)
	v_mul_f32_e32 v53, v76, v89
	v_mul_f32_e32 v117, v75, v89
	v_fmac_f32_e32 v116, v74, v101
	v_add_f32_e32 v52, v52, v115
	s_waitcnt vmcnt(2)
	v_fma_f32 v53, v75, v102, -v53
	v_fmac_f32_e32 v117, v76, v102
	v_add_f32_e32 v52, v52, v116
	v_add_f32_e32 v51, v51, v53
	v_add_f32_e32 v52, v52, v117
	s_waitcnt vmcnt(1)
	v_sub_f32_e32 v51, v103, v51
	s_waitcnt vmcnt(0)
	v_sub_f32_e32 v52, v104, v52
	buffer_store_dword v51, off, s[0:3], 0 offset:80
	buffer_store_dword v52, off, s[0:3], 0 offset:84
	s_and_saveexec_b64 s[4:5], vcc
	s_cbranch_execz .LBB87_139
; %bb.138:
	buffer_load_dword v51, off, s[0:3], 0 offset:72
	buffer_load_dword v52, off, s[0:3], 0 offset:76
	s_waitcnt vmcnt(0)
	ds_write_b64 v49, v[51:52]
	buffer_store_dword v50, off, s[0:3], 0 offset:72
	buffer_store_dword v50, off, s[0:3], 0 offset:76
.LBB87_139:
	s_or_b64 exec, exec, s[4:5]
	s_waitcnt lgkmcnt(0)
	; wave barrier
	buffer_load_dword v79, off, s[0:3], 0 offset:84
	buffer_load_dword v80, off, s[0:3], 0 offset:92
	;; [unrolled: 1-line block ×30, first 2 shown]
	ds_read_b128 v[51:54], v50 offset:272
	ds_read_b128 v[55:58], v50 offset:288
	;; [unrolled: 1-line block ×7, first 2 shown]
	v_cmp_lt_u32_e32 vcc, 8, v0
	s_waitcnt vmcnt(29) lgkmcnt(6)
	v_mul_f32_e32 v50, v51, v79
	v_mul_f32_e32 v79, v52, v79
	s_waitcnt vmcnt(28)
	v_mul_f32_e32 v109, v53, v80
	v_mul_f32_e32 v80, v54, v80
	s_waitcnt vmcnt(27) lgkmcnt(5)
	v_mul_f32_e32 v110, v55, v81
	v_mul_f32_e32 v81, v56, v81
	s_waitcnt vmcnt(26)
	v_mul_f32_e32 v111, v57, v82
	v_mul_f32_e32 v82, v58, v82
	s_waitcnt vmcnt(25) lgkmcnt(4)
	v_mul_f32_e32 v112, v59, v83
	v_mul_f32_e32 v83, v60, v83
	s_waitcnt vmcnt(24)
	v_mul_f32_e32 v113, v61, v84
	s_waitcnt vmcnt(23) lgkmcnt(3)
	v_mul_f32_e32 v114, v63, v85
	s_waitcnt vmcnt(22)
	v_mul_f32_e32 v115, v65, v86
	s_waitcnt vmcnt(21) lgkmcnt(2)
	v_mul_f32_e32 v116, v67, v87
	s_waitcnt vmcnt(15)
	v_fma_f32 v51, v51, v93, -v79
	v_fmac_f32_e32 v50, v52, v93
	s_waitcnt vmcnt(14)
	v_fma_f32 v52, v53, v94, -v80
	v_add_f32_e32 v51, 0, v51
	s_waitcnt vmcnt(13)
	v_fma_f32 v53, v55, v95, -v81
	v_add_f32_e32 v51, v51, v52
	v_fmac_f32_e32 v109, v54, v94
	s_waitcnt vmcnt(12)
	v_fma_f32 v54, v57, v96, -v82
	v_add_f32_e32 v51, v51, v53
	s_waitcnt vmcnt(11)
	v_fma_f32 v55, v59, v97, -v83
	v_add_f32_e32 v51, v51, v54
	v_mul_f32_e32 v52, v62, v84
	v_add_f32_e32 v51, v51, v55
	s_waitcnt vmcnt(10)
	v_fma_f32 v52, v61, v98, -v52
	v_add_f32_e32 v51, v51, v52
	v_mul_f32_e32 v52, v64, v85
	s_waitcnt vmcnt(9)
	v_fma_f32 v52, v63, v99, -v52
	v_add_f32_e32 v51, v51, v52
	v_mul_f32_e32 v52, v66, v86
	s_waitcnt vmcnt(8)
	v_fma_f32 v52, v65, v100, -v52
	v_add_f32_e32 v50, 0, v50
	v_add_f32_e32 v51, v51, v52
	v_mul_f32_e32 v52, v68, v87
	v_fmac_f32_e32 v110, v56, v95
	v_add_f32_e32 v50, v50, v109
	s_waitcnt vmcnt(7)
	v_fma_f32 v52, v67, v101, -v52
	v_fmac_f32_e32 v111, v58, v96
	v_add_f32_e32 v50, v50, v110
	v_add_f32_e32 v51, v51, v52
	v_mul_f32_e32 v52, v70, v88
	v_fmac_f32_e32 v112, v60, v97
	v_add_f32_e32 v50, v50, v111
	s_waitcnt vmcnt(6)
	v_fma_f32 v52, v69, v102, -v52
	v_fmac_f32_e32 v113, v62, v98
	v_add_f32_e32 v50, v50, v112
	v_add_f32_e32 v51, v51, v52
	s_waitcnt lgkmcnt(1)
	v_mul_f32_e32 v52, v72, v89
	v_fmac_f32_e32 v114, v64, v99
	v_add_f32_e32 v50, v50, v113
	s_waitcnt vmcnt(5)
	v_fma_f32 v52, v71, v103, -v52
	v_fmac_f32_e32 v115, v66, v100
	v_add_f32_e32 v50, v50, v114
	v_add_f32_e32 v51, v51, v52
	v_mul_f32_e32 v52, v74, v90
	v_mul_f32_e32 v117, v69, v88
	v_fmac_f32_e32 v116, v68, v101
	v_add_f32_e32 v50, v50, v115
	s_waitcnt vmcnt(4)
	v_fma_f32 v52, v73, v104, -v52
	v_mul_f32_e32 v118, v71, v89
	v_fmac_f32_e32 v117, v70, v102
	v_add_f32_e32 v50, v50, v116
	v_add_f32_e32 v51, v51, v52
	s_waitcnt lgkmcnt(0)
	v_mul_f32_e32 v52, v76, v91
	v_mul_f32_e32 v119, v73, v90
	v_fmac_f32_e32 v118, v72, v103
	v_add_f32_e32 v50, v50, v117
	s_waitcnt vmcnt(3)
	v_fma_f32 v52, v75, v105, -v52
	v_mul_f32_e32 v120, v75, v91
	v_fmac_f32_e32 v119, v74, v104
	v_add_f32_e32 v50, v50, v118
	v_add_f32_e32 v51, v51, v52
	v_mul_f32_e32 v52, v78, v92
	v_mul_f32_e32 v121, v77, v92
	v_fmac_f32_e32 v120, v76, v105
	v_add_f32_e32 v50, v50, v119
	s_waitcnt vmcnt(2)
	v_fma_f32 v52, v77, v106, -v52
	v_fmac_f32_e32 v121, v78, v106
	v_add_f32_e32 v50, v50, v120
	v_add_f32_e32 v51, v51, v52
	;; [unrolled: 1-line block ×3, first 2 shown]
	s_waitcnt vmcnt(1)
	v_sub_f32_e32 v51, v107, v51
	s_waitcnt vmcnt(0)
	v_sub_f32_e32 v50, v108, v50
	buffer_store_dword v51, off, s[0:3], 0 offset:72
	buffer_store_dword v50, off, s[0:3], 0 offset:76
	s_and_saveexec_b64 s[4:5], vcc
	s_cbranch_execz .LBB87_141
; %bb.140:
	buffer_load_dword v50, off, s[0:3], 0 offset:64
	buffer_load_dword v51, off, s[0:3], 0 offset:68
	v_mov_b32_e32 v52, 0
	buffer_store_dword v52, off, s[0:3], 0 offset:64
	buffer_store_dword v52, off, s[0:3], 0 offset:68
	s_waitcnt vmcnt(2)
	ds_write_b64 v49, v[50:51]
.LBB87_141:
	s_or_b64 exec, exec, s[4:5]
	v_mov_b32_e32 v50, 0
	s_waitcnt lgkmcnt(0)
	; wave barrier
	ds_read2_b64 v[51:54], v50 offset0:33 offset1:34
	buffer_load_dword v81, off, s[0:3], 0 offset:64
	buffer_load_dword v82, off, s[0:3], 0 offset:68
	;; [unrolled: 1-line block ×16, first 2 shown]
	v_cmp_lt_u32_e32 vcc, 7, v0
	s_waitcnt vmcnt(12) lgkmcnt(0)
	v_mul_f32_e32 v55, v51, v84
	v_fmac_f32_e32 v55, v52, v83
	s_waitcnt vmcnt(10)
	v_mul_f32_e32 v56, v53, v86
	v_add_f32_e32 v55, 0, v55
	v_fmac_f32_e32 v56, v54, v85
	v_add_f32_e32 v59, v55, v56
	ds_read2_b64 v[55:58], v50 offset0:35 offset1:36
	v_mul_f32_e32 v52, v52, v84
	v_fma_f32 v51, v51, v83, -v52
	v_mul_f32_e32 v52, v54, v86
	v_add_f32_e32 v51, 0, v51
	s_waitcnt vmcnt(8) lgkmcnt(0)
	v_mul_f32_e32 v60, v55, v88
	v_fmac_f32_e32 v60, v56, v87
	v_add_f32_e32 v59, v59, v60
	s_waitcnt vmcnt(6)
	v_mul_f32_e32 v60, v57, v90
	v_fmac_f32_e32 v60, v58, v89
	v_add_f32_e32 v63, v59, v60
	ds_read2_b64 v[59:62], v50 offset0:37 offset1:38
	v_fma_f32 v52, v53, v85, -v52
	v_add_f32_e32 v51, v51, v52
	v_mul_f32_e32 v52, v56, v88
	v_fma_f32 v52, v55, v87, -v52
	s_waitcnt vmcnt(4) lgkmcnt(0)
	v_mul_f32_e32 v64, v59, v92
	v_fmac_f32_e32 v64, v60, v91
	v_add_f32_e32 v63, v63, v64
	s_waitcnt vmcnt(2)
	v_mul_f32_e32 v64, v61, v94
	v_fmac_f32_e32 v64, v62, v93
	v_add_f32_e32 v67, v63, v64
	ds_read2_b64 v[63:66], v50 offset0:39 offset1:40
	buffer_load_dword v97, off, s[0:3], 0 offset:128
	buffer_load_dword v98, off, s[0:3], 0 offset:132
	v_add_f32_e32 v51, v51, v52
	v_mul_f32_e32 v52, v58, v90
	v_fma_f32 v52, v57, v89, -v52
	s_waitcnt vmcnt(2) lgkmcnt(0)
	v_mul_f32_e32 v68, v63, v96
	v_fmac_f32_e32 v68, v64, v95
	v_add_f32_e32 v67, v67, v68
	v_add_f32_e32 v51, v51, v52
	v_mul_f32_e32 v52, v60, v92
	v_fma_f32 v52, v59, v91, -v52
	v_add_f32_e32 v51, v51, v52
	v_mul_f32_e32 v52, v62, v94
	v_fma_f32 v52, v61, v93, -v52
	;; [unrolled: 3-line block ×3, first 2 shown]
	v_add_f32_e32 v51, v51, v52
	s_waitcnt vmcnt(0)
	v_mul_f32_e32 v68, v65, v98
	v_fmac_f32_e32 v68, v66, v97
	v_add_f32_e32 v71, v67, v68
	ds_read2_b64 v[67:70], v50 offset0:41 offset1:42
	buffer_load_dword v99, off, s[0:3], 0 offset:136
	buffer_load_dword v100, off, s[0:3], 0 offset:140
	;; [unrolled: 1-line block ×4, first 2 shown]
	v_mul_f32_e32 v52, v66, v98
	v_fma_f32 v52, v65, v97, -v52
	v_add_f32_e32 v51, v51, v52
	s_waitcnt vmcnt(2) lgkmcnt(0)
	v_mul_f32_e32 v72, v67, v100
	v_fmac_f32_e32 v72, v68, v99
	v_add_f32_e32 v71, v71, v72
	s_waitcnt vmcnt(0)
	v_mul_f32_e32 v72, v69, v102
	v_fmac_f32_e32 v72, v70, v101
	v_add_f32_e32 v75, v71, v72
	ds_read2_b64 v[71:74], v50 offset0:43 offset1:44
	buffer_load_dword v103, off, s[0:3], 0 offset:152
	buffer_load_dword v104, off, s[0:3], 0 offset:156
	;; [unrolled: 1-line block ×4, first 2 shown]
	v_mul_f32_e32 v52, v68, v100
	v_fma_f32 v52, v67, v99, -v52
	v_add_f32_e32 v51, v51, v52
	v_mul_f32_e32 v52, v70, v102
	v_fma_f32 v52, v69, v101, -v52
	v_add_f32_e32 v51, v51, v52
	s_waitcnt vmcnt(2) lgkmcnt(0)
	v_mul_f32_e32 v76, v71, v104
	v_fmac_f32_e32 v76, v72, v103
	v_add_f32_e32 v75, v75, v76
	s_waitcnt vmcnt(0)
	v_mul_f32_e32 v76, v73, v106
	v_fmac_f32_e32 v76, v74, v105
	v_add_f32_e32 v79, v75, v76
	ds_read2_b64 v[75:78], v50 offset0:45 offset1:46
	buffer_load_dword v107, off, s[0:3], 0 offset:168
	buffer_load_dword v108, off, s[0:3], 0 offset:172
	;; [unrolled: 1-line block ×4, first 2 shown]
	v_mul_f32_e32 v52, v72, v104
	v_fma_f32 v52, v71, v103, -v52
	v_add_f32_e32 v51, v51, v52
	v_mul_f32_e32 v52, v74, v106
	v_fma_f32 v52, v73, v105, -v52
	v_add_f32_e32 v51, v51, v52
	s_waitcnt vmcnt(2) lgkmcnt(0)
	v_mul_f32_e32 v80, v75, v108
	v_fmac_f32_e32 v80, v76, v107
	v_add_f32_e32 v79, v79, v80
	s_waitcnt vmcnt(0)
	v_mul_f32_e32 v80, v77, v110
	v_fmac_f32_e32 v80, v78, v109
	v_add_f32_e32 v111, v79, v80
	ds_read_b64 v[79:80], v50 offset:376
	buffer_load_dword v112, off, s[0:3], 0 offset:184
	buffer_load_dword v113, off, s[0:3], 0 offset:188
	v_mul_f32_e32 v52, v76, v108
	v_fma_f32 v52, v75, v107, -v52
	v_add_f32_e32 v51, v51, v52
	v_mul_f32_e32 v52, v78, v110
	v_fma_f32 v52, v77, v109, -v52
	v_add_f32_e32 v51, v51, v52
	s_waitcnt vmcnt(0) lgkmcnt(0)
	v_mul_f32_e32 v52, v80, v113
	v_mul_f32_e32 v114, v79, v113
	v_fma_f32 v52, v79, v112, -v52
	v_fmac_f32_e32 v114, v80, v112
	v_add_f32_e32 v51, v51, v52
	v_add_f32_e32 v111, v111, v114
	v_sub_f32_e32 v51, v81, v51
	v_sub_f32_e32 v52, v82, v111
	buffer_store_dword v51, off, s[0:3], 0 offset:64
	buffer_store_dword v52, off, s[0:3], 0 offset:68
	s_and_saveexec_b64 s[4:5], vcc
	s_cbranch_execz .LBB87_143
; %bb.142:
	buffer_load_dword v51, off, s[0:3], 0 offset:56
	buffer_load_dword v52, off, s[0:3], 0 offset:60
	s_waitcnt vmcnt(0)
	ds_write_b64 v49, v[51:52]
	buffer_store_dword v50, off, s[0:3], 0 offset:56
	buffer_store_dword v50, off, s[0:3], 0 offset:60
.LBB87_143:
	s_or_b64 exec, exec, s[4:5]
	s_waitcnt lgkmcnt(0)
	; wave barrier
	ds_read_b128 v[51:54], v50 offset:256
	ds_read_b128 v[55:58], v50 offset:272
	;; [unrolled: 1-line block ×4, first 2 shown]
	buffer_load_dword v83, off, s[0:3], 0 offset:56
	buffer_load_dword v84, off, s[0:3], 0 offset:60
	;; [unrolled: 1-line block ×18, first 2 shown]
	v_cmp_lt_u32_e32 vcc, 6, v0
	s_waitcnt vmcnt(14) lgkmcnt(3)
	v_mul_f32_e32 v67, v51, v86
	v_fmac_f32_e32 v67, v52, v85
	s_waitcnt vmcnt(12)
	v_mul_f32_e32 v68, v53, v88
	v_add_f32_e32 v67, 0, v67
	v_fmac_f32_e32 v68, v54, v87
	v_add_f32_e32 v67, v67, v68
	s_waitcnt vmcnt(10) lgkmcnt(2)
	v_mul_f32_e32 v68, v55, v90
	v_fmac_f32_e32 v68, v56, v89
	v_add_f32_e32 v67, v67, v68
	s_waitcnt vmcnt(8)
	v_mul_f32_e32 v68, v57, v92
	v_fmac_f32_e32 v68, v58, v91
	v_add_f32_e32 v67, v67, v68
	s_waitcnt vmcnt(6) lgkmcnt(1)
	v_mul_f32_e32 v68, v59, v94
	v_fmac_f32_e32 v68, v60, v93
	v_add_f32_e32 v67, v67, v68
	s_waitcnt vmcnt(4)
	v_mul_f32_e32 v68, v61, v96
	;; [unrolled: 8-line block ×3, first 2 shown]
	v_fmac_f32_e32 v68, v66, v99
	v_add_f32_e32 v71, v67, v68
	ds_read_b128 v[67:70], v50 offset:320
	buffer_load_dword v101, off, s[0:3], 0 offset:128
	buffer_load_dword v102, off, s[0:3], 0 offset:132
	;; [unrolled: 1-line block ×4, first 2 shown]
	v_mul_f32_e32 v52, v52, v86
	v_fma_f32 v51, v51, v85, -v52
	v_mul_f32_e32 v52, v54, v88
	v_add_f32_e32 v51, 0, v51
	v_fma_f32 v52, v53, v87, -v52
	v_add_f32_e32 v51, v51, v52
	v_mul_f32_e32 v52, v56, v90
	v_fma_f32 v52, v55, v89, -v52
	v_add_f32_e32 v51, v51, v52
	v_mul_f32_e32 v52, v58, v92
	v_fma_f32 v52, v57, v91, -v52
	v_add_f32_e32 v51, v51, v52
	v_mul_f32_e32 v52, v60, v94
	v_fma_f32 v52, v59, v93, -v52
	v_add_f32_e32 v51, v51, v52
	v_mul_f32_e32 v52, v62, v96
	v_fma_f32 v52, v61, v95, -v52
	v_add_f32_e32 v51, v51, v52
	v_mul_f32_e32 v52, v64, v98
	v_fma_f32 v52, v63, v97, -v52
	v_add_f32_e32 v51, v51, v52
	v_mul_f32_e32 v52, v66, v100
	v_fma_f32 v52, v65, v99, -v52
	v_add_f32_e32 v51, v51, v52
	s_waitcnt vmcnt(2) lgkmcnt(0)
	v_mul_f32_e32 v72, v67, v102
	v_fmac_f32_e32 v72, v68, v101
	v_add_f32_e32 v71, v71, v72
	s_waitcnt vmcnt(0)
	v_mul_f32_e32 v72, v69, v104
	v_fmac_f32_e32 v72, v70, v103
	v_add_f32_e32 v75, v71, v72
	ds_read_b128 v[71:74], v50 offset:336
	buffer_load_dword v105, off, s[0:3], 0 offset:144
	buffer_load_dword v106, off, s[0:3], 0 offset:148
	;; [unrolled: 1-line block ×4, first 2 shown]
	v_mul_f32_e32 v52, v68, v102
	v_fma_f32 v52, v67, v101, -v52
	v_add_f32_e32 v51, v51, v52
	v_mul_f32_e32 v52, v70, v104
	v_fma_f32 v52, v69, v103, -v52
	v_add_f32_e32 v51, v51, v52
	s_waitcnt vmcnt(2) lgkmcnt(0)
	v_mul_f32_e32 v76, v71, v106
	v_fmac_f32_e32 v76, v72, v105
	v_add_f32_e32 v75, v75, v76
	s_waitcnt vmcnt(0)
	v_mul_f32_e32 v76, v73, v108
	v_fmac_f32_e32 v76, v74, v107
	v_add_f32_e32 v79, v75, v76
	ds_read_b128 v[75:78], v50 offset:352
	buffer_load_dword v109, off, s[0:3], 0 offset:160
	buffer_load_dword v110, off, s[0:3], 0 offset:164
	;; [unrolled: 1-line block ×4, first 2 shown]
	v_mul_f32_e32 v52, v72, v106
	v_fma_f32 v52, v71, v105, -v52
	v_add_f32_e32 v51, v51, v52
	v_mul_f32_e32 v52, v74, v108
	v_fma_f32 v52, v73, v107, -v52
	v_add_f32_e32 v51, v51, v52
	s_waitcnt vmcnt(2) lgkmcnt(0)
	v_mul_f32_e32 v80, v75, v110
	v_fmac_f32_e32 v80, v76, v109
	v_add_f32_e32 v79, v79, v80
	s_waitcnt vmcnt(0)
	v_mul_f32_e32 v80, v77, v112
	v_fmac_f32_e32 v80, v78, v111
	v_add_f32_e32 v113, v79, v80
	ds_read_b128 v[79:82], v50 offset:368
	buffer_load_dword v50, off, s[0:3], 0 offset:176
	buffer_load_dword v114, off, s[0:3], 0 offset:180
	v_mul_f32_e32 v52, v76, v110
	v_fma_f32 v52, v75, v109, -v52
	v_add_f32_e32 v51, v51, v52
	v_mul_f32_e32 v52, v78, v112
	v_fma_f32 v52, v77, v111, -v52
	v_add_f32_e32 v51, v51, v52
	s_waitcnt vmcnt(0) lgkmcnt(0)
	v_mul_f32_e32 v115, v79, v114
	v_fmac_f32_e32 v115, v80, v50
	v_add_f32_e32 v113, v113, v115
	buffer_load_dword v115, off, s[0:3], 0 offset:184
	buffer_load_dword v116, off, s[0:3], 0 offset:188
	v_mul_f32_e32 v52, v80, v114
	v_fma_f32 v50, v79, v50, -v52
	v_add_f32_e32 v50, v51, v50
	s_waitcnt vmcnt(0)
	v_mul_f32_e32 v51, v82, v116
	v_mul_f32_e32 v117, v81, v116
	v_fma_f32 v51, v81, v115, -v51
	v_fmac_f32_e32 v117, v82, v115
	v_add_f32_e32 v50, v50, v51
	v_add_f32_e32 v113, v113, v117
	v_sub_f32_e32 v50, v83, v50
	v_sub_f32_e32 v51, v84, v113
	buffer_store_dword v50, off, s[0:3], 0 offset:56
	buffer_store_dword v51, off, s[0:3], 0 offset:60
	s_and_saveexec_b64 s[4:5], vcc
	s_cbranch_execz .LBB87_145
; %bb.144:
	buffer_load_dword v50, off, s[0:3], 0 offset:48
	buffer_load_dword v51, off, s[0:3], 0 offset:52
	v_mov_b32_e32 v52, 0
	buffer_store_dword v52, off, s[0:3], 0 offset:48
	buffer_store_dword v52, off, s[0:3], 0 offset:52
	s_waitcnt vmcnt(2)
	ds_write_b64 v49, v[50:51]
.LBB87_145:
	s_or_b64 exec, exec, s[4:5]
	v_mov_b32_e32 v50, 0
	s_waitcnt lgkmcnt(0)
	; wave barrier
	ds_read2_b64 v[51:54], v50 offset0:31 offset1:32
	buffer_load_dword v85, off, s[0:3], 0 offset:48
	buffer_load_dword v86, off, s[0:3], 0 offset:52
	buffer_load_dword v87, off, s[0:3], 0 offset:56
	buffer_load_dword v88, off, s[0:3], 0 offset:60
	buffer_load_dword v89, off, s[0:3], 0 offset:64
	buffer_load_dword v90, off, s[0:3], 0 offset:68
	buffer_load_dword v91, off, s[0:3], 0 offset:72
	buffer_load_dword v92, off, s[0:3], 0 offset:76
	buffer_load_dword v93, off, s[0:3], 0 offset:80
	buffer_load_dword v94, off, s[0:3], 0 offset:84
	buffer_load_dword v95, off, s[0:3], 0 offset:88
	buffer_load_dword v96, off, s[0:3], 0 offset:92
	buffer_load_dword v97, off, s[0:3], 0 offset:96
	buffer_load_dword v98, off, s[0:3], 0 offset:100
	buffer_load_dword v99, off, s[0:3], 0 offset:104
	buffer_load_dword v100, off, s[0:3], 0 offset:108
	v_cmp_lt_u32_e32 vcc, 5, v0
	s_waitcnt vmcnt(12) lgkmcnt(0)
	v_mul_f32_e32 v55, v51, v88
	v_fmac_f32_e32 v55, v52, v87
	s_waitcnt vmcnt(10)
	v_mul_f32_e32 v56, v53, v90
	v_add_f32_e32 v55, 0, v55
	v_fmac_f32_e32 v56, v54, v89
	v_add_f32_e32 v59, v55, v56
	ds_read2_b64 v[55:58], v50 offset0:33 offset1:34
	v_mul_f32_e32 v52, v52, v88
	v_fma_f32 v51, v51, v87, -v52
	v_mul_f32_e32 v52, v54, v90
	v_add_f32_e32 v51, 0, v51
	s_waitcnt vmcnt(8) lgkmcnt(0)
	v_mul_f32_e32 v60, v55, v92
	v_fmac_f32_e32 v60, v56, v91
	v_add_f32_e32 v59, v59, v60
	s_waitcnt vmcnt(6)
	v_mul_f32_e32 v60, v57, v94
	v_fmac_f32_e32 v60, v58, v93
	v_add_f32_e32 v63, v59, v60
	ds_read2_b64 v[59:62], v50 offset0:35 offset1:36
	v_fma_f32 v52, v53, v89, -v52
	v_add_f32_e32 v51, v51, v52
	v_mul_f32_e32 v52, v56, v92
	v_fma_f32 v52, v55, v91, -v52
	s_waitcnt vmcnt(4) lgkmcnt(0)
	v_mul_f32_e32 v64, v59, v96
	v_fmac_f32_e32 v64, v60, v95
	v_add_f32_e32 v63, v63, v64
	s_waitcnt vmcnt(2)
	v_mul_f32_e32 v64, v61, v98
	v_fmac_f32_e32 v64, v62, v97
	v_add_f32_e32 v67, v63, v64
	ds_read2_b64 v[63:66], v50 offset0:37 offset1:38
	buffer_load_dword v101, off, s[0:3], 0 offset:112
	buffer_load_dword v102, off, s[0:3], 0 offset:116
	v_add_f32_e32 v51, v51, v52
	v_mul_f32_e32 v52, v58, v94
	v_fma_f32 v52, v57, v93, -v52
	s_waitcnt vmcnt(2) lgkmcnt(0)
	v_mul_f32_e32 v68, v63, v100
	v_fmac_f32_e32 v68, v64, v99
	v_add_f32_e32 v67, v67, v68
	v_add_f32_e32 v51, v51, v52
	v_mul_f32_e32 v52, v60, v96
	v_fma_f32 v52, v59, v95, -v52
	v_add_f32_e32 v51, v51, v52
	v_mul_f32_e32 v52, v62, v98
	v_fma_f32 v52, v61, v97, -v52
	;; [unrolled: 3-line block ×3, first 2 shown]
	v_add_f32_e32 v51, v51, v52
	s_waitcnt vmcnt(0)
	v_mul_f32_e32 v68, v65, v102
	v_fmac_f32_e32 v68, v66, v101
	v_add_f32_e32 v71, v67, v68
	ds_read2_b64 v[67:70], v50 offset0:39 offset1:40
	buffer_load_dword v103, off, s[0:3], 0 offset:120
	buffer_load_dword v104, off, s[0:3], 0 offset:124
	;; [unrolled: 1-line block ×4, first 2 shown]
	v_mul_f32_e32 v52, v66, v102
	v_fma_f32 v52, v65, v101, -v52
	v_add_f32_e32 v51, v51, v52
	s_waitcnt vmcnt(2) lgkmcnt(0)
	v_mul_f32_e32 v72, v67, v104
	v_fmac_f32_e32 v72, v68, v103
	v_add_f32_e32 v71, v71, v72
	s_waitcnt vmcnt(0)
	v_mul_f32_e32 v72, v69, v106
	v_fmac_f32_e32 v72, v70, v105
	v_add_f32_e32 v75, v71, v72
	ds_read2_b64 v[71:74], v50 offset0:41 offset1:42
	buffer_load_dword v107, off, s[0:3], 0 offset:136
	buffer_load_dword v108, off, s[0:3], 0 offset:140
	buffer_load_dword v109, off, s[0:3], 0 offset:144
	buffer_load_dword v110, off, s[0:3], 0 offset:148
	v_mul_f32_e32 v52, v68, v104
	v_fma_f32 v52, v67, v103, -v52
	v_add_f32_e32 v51, v51, v52
	v_mul_f32_e32 v52, v70, v106
	v_fma_f32 v52, v69, v105, -v52
	v_add_f32_e32 v51, v51, v52
	s_waitcnt vmcnt(2) lgkmcnt(0)
	v_mul_f32_e32 v76, v71, v108
	v_fmac_f32_e32 v76, v72, v107
	v_add_f32_e32 v75, v75, v76
	s_waitcnt vmcnt(0)
	v_mul_f32_e32 v76, v73, v110
	v_fmac_f32_e32 v76, v74, v109
	v_add_f32_e32 v79, v75, v76
	ds_read2_b64 v[75:78], v50 offset0:43 offset1:44
	buffer_load_dword v111, off, s[0:3], 0 offset:152
	buffer_load_dword v112, off, s[0:3], 0 offset:156
	buffer_load_dword v113, off, s[0:3], 0 offset:160
	buffer_load_dword v114, off, s[0:3], 0 offset:164
	v_mul_f32_e32 v52, v72, v108
	v_fma_f32 v52, v71, v107, -v52
	v_add_f32_e32 v51, v51, v52
	;; [unrolled: 19-line block ×3, first 2 shown]
	v_mul_f32_e32 v52, v78, v114
	v_fma_f32 v52, v77, v113, -v52
	v_add_f32_e32 v51, v51, v52
	s_waitcnt vmcnt(2) lgkmcnt(0)
	v_mul_f32_e32 v84, v79, v116
	v_fmac_f32_e32 v84, v80, v115
	v_add_f32_e32 v83, v83, v84
	s_waitcnt vmcnt(0)
	v_mul_f32_e32 v84, v81, v118
	v_fmac_f32_e32 v84, v82, v117
	v_add_f32_e32 v119, v83, v84
	ds_read_b64 v[83:84], v50 offset:376
	buffer_load_dword v120, off, s[0:3], 0 offset:184
	buffer_load_dword v121, off, s[0:3], 0 offset:188
	v_mul_f32_e32 v52, v80, v116
	v_fma_f32 v52, v79, v115, -v52
	v_add_f32_e32 v51, v51, v52
	v_mul_f32_e32 v52, v82, v118
	v_fma_f32 v52, v81, v117, -v52
	v_add_f32_e32 v51, v51, v52
	s_waitcnt vmcnt(0) lgkmcnt(0)
	v_mul_f32_e32 v52, v84, v121
	v_mul_f32_e32 v122, v83, v121
	v_fma_f32 v52, v83, v120, -v52
	v_fmac_f32_e32 v122, v84, v120
	v_add_f32_e32 v51, v51, v52
	v_add_f32_e32 v119, v119, v122
	v_sub_f32_e32 v51, v85, v51
	v_sub_f32_e32 v52, v86, v119
	buffer_store_dword v51, off, s[0:3], 0 offset:48
	buffer_store_dword v52, off, s[0:3], 0 offset:52
	s_and_saveexec_b64 s[4:5], vcc
	s_cbranch_execz .LBB87_147
; %bb.146:
	buffer_load_dword v51, off, s[0:3], 0 offset:40
	buffer_load_dword v52, off, s[0:3], 0 offset:44
	s_waitcnt vmcnt(0)
	ds_write_b64 v49, v[51:52]
	buffer_store_dword v50, off, s[0:3], 0 offset:40
	buffer_store_dword v50, off, s[0:3], 0 offset:44
.LBB87_147:
	s_or_b64 exec, exec, s[4:5]
	s_waitcnt lgkmcnt(0)
	; wave barrier
	ds_read_b128 v[51:54], v50 offset:240
	ds_read_b128 v[55:58], v50 offset:256
	;; [unrolled: 1-line block ×4, first 2 shown]
	buffer_load_dword v87, off, s[0:3], 0 offset:40
	buffer_load_dword v88, off, s[0:3], 0 offset:44
	;; [unrolled: 1-line block ×18, first 2 shown]
	v_cmp_lt_u32_e32 vcc, 4, v0
	s_waitcnt vmcnt(14) lgkmcnt(3)
	v_mul_f32_e32 v67, v51, v90
	v_fmac_f32_e32 v67, v52, v89
	s_waitcnt vmcnt(12)
	v_mul_f32_e32 v68, v53, v92
	v_add_f32_e32 v67, 0, v67
	v_fmac_f32_e32 v68, v54, v91
	v_add_f32_e32 v67, v67, v68
	s_waitcnt vmcnt(10) lgkmcnt(2)
	v_mul_f32_e32 v68, v55, v94
	v_fmac_f32_e32 v68, v56, v93
	v_add_f32_e32 v67, v67, v68
	s_waitcnt vmcnt(8)
	v_mul_f32_e32 v68, v57, v96
	v_fmac_f32_e32 v68, v58, v95
	v_add_f32_e32 v67, v67, v68
	s_waitcnt vmcnt(6) lgkmcnt(1)
	v_mul_f32_e32 v68, v59, v98
	v_fmac_f32_e32 v68, v60, v97
	v_add_f32_e32 v67, v67, v68
	s_waitcnt vmcnt(4)
	v_mul_f32_e32 v68, v61, v100
	;; [unrolled: 8-line block ×3, first 2 shown]
	v_fmac_f32_e32 v68, v66, v103
	v_add_f32_e32 v71, v67, v68
	ds_read_b128 v[67:70], v50 offset:304
	buffer_load_dword v105, off, s[0:3], 0 offset:112
	buffer_load_dword v106, off, s[0:3], 0 offset:116
	;; [unrolled: 1-line block ×4, first 2 shown]
	v_mul_f32_e32 v52, v52, v90
	v_fma_f32 v51, v51, v89, -v52
	v_mul_f32_e32 v52, v54, v92
	v_add_f32_e32 v51, 0, v51
	v_fma_f32 v52, v53, v91, -v52
	v_add_f32_e32 v51, v51, v52
	v_mul_f32_e32 v52, v56, v94
	v_fma_f32 v52, v55, v93, -v52
	v_add_f32_e32 v51, v51, v52
	v_mul_f32_e32 v52, v58, v96
	;; [unrolled: 3-line block ×6, first 2 shown]
	v_fma_f32 v52, v65, v103, -v52
	v_add_f32_e32 v51, v51, v52
	s_waitcnt vmcnt(2) lgkmcnt(0)
	v_mul_f32_e32 v72, v67, v106
	v_fmac_f32_e32 v72, v68, v105
	v_add_f32_e32 v71, v71, v72
	s_waitcnt vmcnt(0)
	v_mul_f32_e32 v72, v69, v108
	v_fmac_f32_e32 v72, v70, v107
	v_add_f32_e32 v75, v71, v72
	ds_read_b128 v[71:74], v50 offset:320
	buffer_load_dword v109, off, s[0:3], 0 offset:128
	buffer_load_dword v110, off, s[0:3], 0 offset:132
	buffer_load_dword v111, off, s[0:3], 0 offset:136
	buffer_load_dword v112, off, s[0:3], 0 offset:140
	v_mul_f32_e32 v52, v68, v106
	v_fma_f32 v52, v67, v105, -v52
	v_add_f32_e32 v51, v51, v52
	v_mul_f32_e32 v52, v70, v108
	v_fma_f32 v52, v69, v107, -v52
	v_add_f32_e32 v51, v51, v52
	s_waitcnt vmcnt(2) lgkmcnt(0)
	v_mul_f32_e32 v76, v71, v110
	v_fmac_f32_e32 v76, v72, v109
	v_add_f32_e32 v75, v75, v76
	s_waitcnt vmcnt(0)
	v_mul_f32_e32 v76, v73, v112
	v_fmac_f32_e32 v76, v74, v111
	v_add_f32_e32 v79, v75, v76
	ds_read_b128 v[75:78], v50 offset:336
	buffer_load_dword v113, off, s[0:3], 0 offset:144
	buffer_load_dword v114, off, s[0:3], 0 offset:148
	buffer_load_dword v115, off, s[0:3], 0 offset:152
	buffer_load_dword v116, off, s[0:3], 0 offset:156
	v_mul_f32_e32 v52, v72, v110
	v_fma_f32 v52, v71, v109, -v52
	v_add_f32_e32 v51, v51, v52
	v_mul_f32_e32 v52, v74, v112
	;; [unrolled: 19-line block ×3, first 2 shown]
	v_fma_f32 v52, v77, v115, -v52
	v_add_f32_e32 v51, v51, v52
	s_waitcnt vmcnt(2) lgkmcnt(0)
	v_mul_f32_e32 v84, v79, v118
	v_fmac_f32_e32 v84, v80, v117
	v_add_f32_e32 v83, v83, v84
	s_waitcnt vmcnt(0)
	v_mul_f32_e32 v84, v81, v120
	v_fmac_f32_e32 v84, v82, v119
	v_add_f32_e32 v121, v83, v84
	ds_read_b128 v[83:86], v50 offset:368
	buffer_load_dword v50, off, s[0:3], 0 offset:176
	buffer_load_dword v122, off, s[0:3], 0 offset:180
	v_mul_f32_e32 v52, v80, v118
	v_fma_f32 v52, v79, v117, -v52
	v_add_f32_e32 v51, v51, v52
	v_mul_f32_e32 v52, v82, v120
	v_fma_f32 v52, v81, v119, -v52
	v_add_f32_e32 v51, v51, v52
	s_waitcnt vmcnt(0) lgkmcnt(0)
	v_mul_f32_e32 v123, v83, v122
	v_fmac_f32_e32 v123, v84, v50
	v_add_f32_e32 v121, v121, v123
	buffer_load_dword v123, off, s[0:3], 0 offset:184
	buffer_load_dword v124, off, s[0:3], 0 offset:188
	v_mul_f32_e32 v52, v84, v122
	v_fma_f32 v50, v83, v50, -v52
	v_add_f32_e32 v50, v51, v50
	s_waitcnt vmcnt(0)
	v_mul_f32_e32 v51, v86, v124
	v_mul_f32_e32 v125, v85, v124
	v_fma_f32 v51, v85, v123, -v51
	v_fmac_f32_e32 v125, v86, v123
	v_add_f32_e32 v50, v50, v51
	v_add_f32_e32 v121, v121, v125
	v_sub_f32_e32 v50, v87, v50
	v_sub_f32_e32 v51, v88, v121
	buffer_store_dword v50, off, s[0:3], 0 offset:40
	buffer_store_dword v51, off, s[0:3], 0 offset:44
	s_and_saveexec_b64 s[4:5], vcc
	s_cbranch_execz .LBB87_149
; %bb.148:
	buffer_load_dword v50, off, s[0:3], 0 offset:32
	buffer_load_dword v51, off, s[0:3], 0 offset:36
	v_mov_b32_e32 v52, 0
	buffer_store_dword v52, off, s[0:3], 0 offset:32
	buffer_store_dword v52, off, s[0:3], 0 offset:36
	s_waitcnt vmcnt(2)
	ds_write_b64 v49, v[50:51]
.LBB87_149:
	s_or_b64 exec, exec, s[4:5]
	s_waitcnt lgkmcnt(0)
	; wave barrier
	buffer_load_dword v89, off, s[0:3], 0 offset:44
	buffer_load_dword v90, off, s[0:3], 0 offset:52
	buffer_load_dword v91, off, s[0:3], 0 offset:60
	buffer_load_dword v92, off, s[0:3], 0 offset:68
	buffer_load_dword v93, off, s[0:3], 0 offset:76
	buffer_load_dword v94, off, s[0:3], 0 offset:84
	buffer_load_dword v95, off, s[0:3], 0 offset:92
	buffer_load_dword v96, off, s[0:3], 0 offset:100
	buffer_load_dword v97, off, s[0:3], 0 offset:108
	buffer_load_dword v98, off, s[0:3], 0 offset:116
	buffer_load_dword v99, off, s[0:3], 0 offset:124
	buffer_load_dword v100, off, s[0:3], 0 offset:132
	buffer_load_dword v101, off, s[0:3], 0 offset:140
	buffer_load_dword v102, off, s[0:3], 0 offset:148
	buffer_load_dword v103, off, s[0:3], 0 offset:156
	buffer_load_dword v104, off, s[0:3], 0 offset:40
	buffer_load_dword v105, off, s[0:3], 0 offset:48
	buffer_load_dword v106, off, s[0:3], 0 offset:56
	buffer_load_dword v107, off, s[0:3], 0 offset:64
	buffer_load_dword v108, off, s[0:3], 0 offset:72
	buffer_load_dword v109, off, s[0:3], 0 offset:80
	buffer_load_dword v110, off, s[0:3], 0 offset:88
	buffer_load_dword v111, off, s[0:3], 0 offset:96
	buffer_load_dword v112, off, s[0:3], 0 offset:104
	buffer_load_dword v113, off, s[0:3], 0 offset:112
	buffer_load_dword v114, off, s[0:3], 0 offset:120
	buffer_load_dword v115, off, s[0:3], 0 offset:128
	buffer_load_dword v116, off, s[0:3], 0 offset:136
	buffer_load_dword v117, off, s[0:3], 0 offset:144
	buffer_load_dword v118, off, s[0:3], 0 offset:152
	buffer_load_dword v119, off, s[0:3], 0 offset:164
	buffer_load_dword v120, off, s[0:3], 0 offset:160
	buffer_load_dword v121, off, s[0:3], 0 offset:172
	buffer_load_dword v122, off, s[0:3], 0 offset:168
	buffer_load_dword v123, off, s[0:3], 0 offset:180
	buffer_load_dword v124, off, s[0:3], 0 offset:176
	buffer_load_dword v125, off, s[0:3], 0 offset:188
	buffer_load_dword v126, off, s[0:3], 0 offset:184
	buffer_load_dword v127, off, s[0:3], 0 offset:32
	buffer_load_dword v128, off, s[0:3], 0 offset:36
	v_mov_b32_e32 v50, 0
	ds_read2_b64 v[51:54], v50 offset0:29 offset1:30
	ds_read2_b64 v[55:58], v50 offset0:31 offset1:32
	;; [unrolled: 1-line block ×9, first 2 shown]
	v_cmp_lt_u32_e32 vcc, 3, v0
	s_waitcnt vmcnt(39) lgkmcnt(8)
	v_mul_f32_e32 v87, v51, v89
	s_waitcnt vmcnt(38)
	v_mul_f32_e32 v88, v53, v90
	s_waitcnt vmcnt(37) lgkmcnt(7)
	v_mul_f32_e32 v129, v55, v91
	s_waitcnt vmcnt(36)
	v_mul_f32_e32 v130, v57, v92
	;; [unrolled: 4-line block ×7, first 2 shown]
	s_waitcnt vmcnt(25) lgkmcnt(1)
	v_mul_f32_e32 v141, v79, v103
	s_waitcnt vmcnt(24)
	v_fmac_f32_e32 v87, v52, v104
	v_mul_f32_e32 v52, v52, v89
	v_fma_f32 v51, v51, v104, -v52
	v_mul_f32_e32 v52, v54, v90
	v_add_f32_e32 v51, 0, v51
	s_waitcnt vmcnt(23)
	v_fma_f32 v52, v53, v105, -v52
	v_add_f32_e32 v51, v51, v52
	v_mul_f32_e32 v52, v56, v91
	s_waitcnt vmcnt(22)
	v_fma_f32 v52, v55, v106, -v52
	v_add_f32_e32 v51, v51, v52
	v_mul_f32_e32 v52, v58, v92
	;; [unrolled: 4-line block ×6, first 2 shown]
	s_waitcnt vmcnt(17)
	v_fma_f32 v52, v65, v111, -v52
	v_fmac_f32_e32 v88, v54, v105
	v_add_f32_e32 v87, 0, v87
	v_add_f32_e32 v51, v51, v52
	v_mul_f32_e32 v52, v68, v97
	v_fmac_f32_e32 v129, v56, v106
	v_add_f32_e32 v87, v87, v88
	s_waitcnt vmcnt(16)
	v_fma_f32 v52, v67, v112, -v52
	v_fmac_f32_e32 v130, v58, v107
	v_add_f32_e32 v87, v87, v129
	v_add_f32_e32 v51, v51, v52
	v_mul_f32_e32 v52, v70, v98
	v_fmac_f32_e32 v131, v60, v108
	v_add_f32_e32 v87, v87, v130
	;; [unrolled: 8-line block ×6, first 2 shown]
	s_waitcnt vmcnt(11)
	v_fma_f32 v52, v77, v117, -v52
	v_fmac_f32_e32 v140, v78, v117
	v_add_f32_e32 v87, v87, v139
	v_add_f32_e32 v51, v51, v52
	v_mul_f32_e32 v52, v80, v103
	s_waitcnt vmcnt(10)
	v_fmac_f32_e32 v141, v80, v118
	v_add_f32_e32 v87, v87, v140
	s_waitcnt vmcnt(9)
	v_mul_f32_e32 v88, v81, v119
	v_fma_f32 v52, v79, v118, -v52
	v_add_f32_e32 v87, v87, v141
	s_waitcnt vmcnt(8)
	v_fmac_f32_e32 v88, v82, v120
	v_add_f32_e32 v51, v51, v52
	v_mul_f32_e32 v52, v82, v119
	v_add_f32_e32 v129, v87, v88
	ds_read_b64 v[87:88], v50 offset:376
	v_fma_f32 v52, v81, v120, -v52
	v_add_f32_e32 v51, v51, v52
	s_waitcnt vmcnt(7) lgkmcnt(1)
	v_mul_f32_e32 v52, v84, v121
	v_mul_f32_e32 v130, v83, v121
	s_waitcnt vmcnt(6)
	v_fma_f32 v52, v83, v122, -v52
	v_fmac_f32_e32 v130, v84, v122
	v_add_f32_e32 v51, v51, v52
	s_waitcnt vmcnt(5)
	v_mul_f32_e32 v52, v86, v123
	v_add_f32_e32 v129, v129, v130
	v_mul_f32_e32 v130, v85, v123
	s_waitcnt vmcnt(4)
	v_fma_f32 v52, v85, v124, -v52
	v_fmac_f32_e32 v130, v86, v124
	v_add_f32_e32 v51, v51, v52
	s_waitcnt vmcnt(3) lgkmcnt(0)
	v_mul_f32_e32 v52, v88, v125
	v_add_f32_e32 v129, v129, v130
	v_mul_f32_e32 v130, v87, v125
	s_waitcnt vmcnt(2)
	v_fma_f32 v52, v87, v126, -v52
	v_fmac_f32_e32 v130, v88, v126
	v_add_f32_e32 v51, v51, v52
	v_add_f32_e32 v129, v129, v130
	s_waitcnt vmcnt(1)
	v_sub_f32_e32 v51, v127, v51
	s_waitcnt vmcnt(0)
	v_sub_f32_e32 v52, v128, v129
	buffer_store_dword v51, off, s[0:3], 0 offset:32
	buffer_store_dword v52, off, s[0:3], 0 offset:36
	s_and_saveexec_b64 s[4:5], vcc
	s_cbranch_execz .LBB87_151
; %bb.150:
	buffer_load_dword v51, off, s[0:3], 0 offset:24
	buffer_load_dword v52, off, s[0:3], 0 offset:28
	s_waitcnt vmcnt(0)
	ds_write_b64 v49, v[51:52]
	buffer_store_dword v50, off, s[0:3], 0 offset:24
	buffer_store_dword v50, off, s[0:3], 0 offset:28
.LBB87_151:
	s_or_b64 exec, exec, s[4:5]
	s_waitcnt lgkmcnt(0)
	; wave barrier
	buffer_load_dword v91, off, s[0:3], 0 offset:36
	buffer_load_dword v92, off, s[0:3], 0 offset:44
	buffer_load_dword v93, off, s[0:3], 0 offset:52
	buffer_load_dword v94, off, s[0:3], 0 offset:60
	buffer_load_dword v95, off, s[0:3], 0 offset:68
	buffer_load_dword v96, off, s[0:3], 0 offset:76
	buffer_load_dword v97, off, s[0:3], 0 offset:84
	buffer_load_dword v98, off, s[0:3], 0 offset:92
	buffer_load_dword v99, off, s[0:3], 0 offset:100
	buffer_load_dword v100, off, s[0:3], 0 offset:108
	buffer_load_dword v101, off, s[0:3], 0 offset:116
	buffer_load_dword v102, off, s[0:3], 0 offset:124
	buffer_load_dword v103, off, s[0:3], 0 offset:132
	buffer_load_dword v104, off, s[0:3], 0 offset:140
	buffer_load_dword v105, off, s[0:3], 0 offset:148
	buffer_load_dword v106, off, s[0:3], 0 offset:32
	buffer_load_dword v107, off, s[0:3], 0 offset:40
	buffer_load_dword v108, off, s[0:3], 0 offset:48
	buffer_load_dword v109, off, s[0:3], 0 offset:56
	buffer_load_dword v110, off, s[0:3], 0 offset:64
	buffer_load_dword v111, off, s[0:3], 0 offset:72
	buffer_load_dword v112, off, s[0:3], 0 offset:80
	buffer_load_dword v113, off, s[0:3], 0 offset:88
	buffer_load_dword v114, off, s[0:3], 0 offset:96
	buffer_load_dword v115, off, s[0:3], 0 offset:104
	buffer_load_dword v116, off, s[0:3], 0 offset:112
	buffer_load_dword v117, off, s[0:3], 0 offset:120
	buffer_load_dword v118, off, s[0:3], 0 offset:128
	buffer_load_dword v119, off, s[0:3], 0 offset:136
	buffer_load_dword v120, off, s[0:3], 0 offset:144
	buffer_load_dword v121, off, s[0:3], 0 offset:156
	buffer_load_dword v122, off, s[0:3], 0 offset:152
	buffer_load_dword v123, off, s[0:3], 0 offset:164
	buffer_load_dword v124, off, s[0:3], 0 offset:160
	buffer_load_dword v125, off, s[0:3], 0 offset:172
	buffer_load_dword v126, off, s[0:3], 0 offset:168
	buffer_load_dword v127, off, s[0:3], 0 offset:180
	buffer_load_dword v128, off, s[0:3], 0 offset:176
	buffer_load_dword v129, off, s[0:3], 0 offset:188
	buffer_load_dword v130, off, s[0:3], 0 offset:184
	buffer_load_dword v131, off, s[0:3], 0 offset:24
	buffer_load_dword v132, off, s[0:3], 0 offset:28
	ds_read_b128 v[51:54], v50 offset:224
	ds_read_b128 v[55:58], v50 offset:240
	;; [unrolled: 1-line block ×8, first 2 shown]
	v_cmp_lt_u32_e32 vcc, 2, v0
	s_waitcnt vmcnt(41) lgkmcnt(7)
	v_mul_f32_e32 v83, v51, v91
	s_waitcnt vmcnt(40)
	v_mul_f32_e32 v84, v53, v92
	s_waitcnt vmcnt(39) lgkmcnt(6)
	v_mul_f32_e32 v85, v55, v93
	s_waitcnt vmcnt(38)
	v_mul_f32_e32 v86, v57, v94
	;; [unrolled: 4-line block ×7, first 2 shown]
	s_waitcnt vmcnt(27) lgkmcnt(0)
	v_mul_f32_e32 v139, v79, v105
	s_waitcnt vmcnt(26)
	v_fmac_f32_e32 v83, v52, v106
	v_mul_f32_e32 v52, v52, v91
	v_fma_f32 v51, v51, v106, -v52
	v_mul_f32_e32 v52, v54, v92
	v_add_f32_e32 v51, 0, v51
	s_waitcnt vmcnt(25)
	v_fma_f32 v52, v53, v107, -v52
	v_add_f32_e32 v51, v51, v52
	v_mul_f32_e32 v52, v56, v93
	s_waitcnt vmcnt(24)
	v_fma_f32 v52, v55, v108, -v52
	v_add_f32_e32 v51, v51, v52
	v_mul_f32_e32 v52, v58, v94
	s_waitcnt vmcnt(23)
	v_fma_f32 v52, v57, v109, -v52
	v_add_f32_e32 v51, v51, v52
	v_mul_f32_e32 v52, v60, v95
	s_waitcnt vmcnt(22)
	v_fma_f32 v52, v59, v110, -v52
	v_add_f32_e32 v51, v51, v52
	v_mul_f32_e32 v52, v62, v96
	s_waitcnt vmcnt(21)
	v_fma_f32 v52, v61, v111, -v52
	v_add_f32_e32 v51, v51, v52
	v_mul_f32_e32 v52, v64, v97
	v_fmac_f32_e32 v84, v54, v107
	v_add_f32_e32 v83, 0, v83
	s_waitcnt vmcnt(20)
	v_fma_f32 v52, v63, v112, -v52
	v_fmac_f32_e32 v85, v56, v108
	v_add_f32_e32 v83, v83, v84
	v_add_f32_e32 v51, v51, v52
	v_mul_f32_e32 v52, v66, v98
	v_fmac_f32_e32 v86, v58, v109
	v_add_f32_e32 v83, v83, v85
	s_waitcnt vmcnt(19)
	v_fma_f32 v52, v65, v113, -v52
	v_fmac_f32_e32 v87, v60, v110
	v_add_f32_e32 v83, v83, v86
	v_add_f32_e32 v51, v51, v52
	v_mul_f32_e32 v52, v68, v99
	;; [unrolled: 8-line block ×5, first 2 shown]
	s_waitcnt vmcnt(15)
	v_fmac_f32_e32 v136, v74, v117
	v_add_f32_e32 v83, v83, v135
	v_fma_f32 v52, v73, v117, -v52
	s_waitcnt vmcnt(14)
	v_fmac_f32_e32 v137, v76, v118
	v_add_f32_e32 v83, v83, v136
	v_add_f32_e32 v51, v51, v52
	v_mul_f32_e32 v52, v76, v103
	s_waitcnt vmcnt(13)
	v_fmac_f32_e32 v138, v78, v119
	v_add_f32_e32 v83, v83, v137
	v_fma_f32 v52, v75, v118, -v52
	s_waitcnt vmcnt(12)
	v_fmac_f32_e32 v139, v80, v120
	v_add_f32_e32 v83, v83, v138
	v_add_f32_e32 v51, v51, v52
	v_mul_f32_e32 v52, v78, v104
	v_add_f32_e32 v87, v83, v139
	ds_read_b128 v[83:86], v50 offset:352
	v_fma_f32 v52, v77, v119, -v52
	v_add_f32_e32 v51, v51, v52
	v_mul_f32_e32 v52, v80, v105
	s_waitcnt vmcnt(11)
	v_mul_f32_e32 v88, v81, v121
	v_fma_f32 v52, v79, v120, -v52
	s_waitcnt vmcnt(10)
	v_fmac_f32_e32 v88, v82, v122
	v_add_f32_e32 v51, v51, v52
	v_mul_f32_e32 v52, v82, v121
	v_add_f32_e32 v133, v87, v88
	ds_read_b128 v[87:90], v50 offset:368
	v_fma_f32 v52, v81, v122, -v52
	v_add_f32_e32 v51, v51, v52
	s_waitcnt vmcnt(9) lgkmcnt(1)
	v_mul_f32_e32 v52, v84, v123
	v_mul_f32_e32 v50, v83, v123
	s_waitcnt vmcnt(8)
	v_fma_f32 v52, v83, v124, -v52
	v_fmac_f32_e32 v50, v84, v124
	v_add_f32_e32 v51, v51, v52
	s_waitcnt vmcnt(7)
	v_mul_f32_e32 v52, v86, v125
	v_add_f32_e32 v50, v133, v50
	v_mul_f32_e32 v133, v85, v125
	s_waitcnt vmcnt(6)
	v_fma_f32 v52, v85, v126, -v52
	v_fmac_f32_e32 v133, v86, v126
	v_add_f32_e32 v51, v51, v52
	s_waitcnt vmcnt(5) lgkmcnt(0)
	v_mul_f32_e32 v52, v88, v127
	v_add_f32_e32 v50, v50, v133
	v_mul_f32_e32 v133, v87, v127
	s_waitcnt vmcnt(4)
	v_fma_f32 v52, v87, v128, -v52
	v_fmac_f32_e32 v133, v88, v128
	v_add_f32_e32 v51, v51, v52
	s_waitcnt vmcnt(3)
	v_mul_f32_e32 v52, v90, v129
	v_add_f32_e32 v50, v50, v133
	v_mul_f32_e32 v133, v89, v129
	s_waitcnt vmcnt(2)
	v_fma_f32 v52, v89, v130, -v52
	v_fmac_f32_e32 v133, v90, v130
	v_add_f32_e32 v51, v51, v52
	v_add_f32_e32 v50, v50, v133
	s_waitcnt vmcnt(1)
	v_sub_f32_e32 v51, v131, v51
	s_waitcnt vmcnt(0)
	v_sub_f32_e32 v50, v132, v50
	buffer_store_dword v51, off, s[0:3], 0 offset:24
	buffer_store_dword v50, off, s[0:3], 0 offset:28
	s_and_saveexec_b64 s[4:5], vcc
	s_cbranch_execz .LBB87_153
; %bb.152:
	buffer_load_dword v50, off, s[0:3], 0 offset:16
	buffer_load_dword v51, off, s[0:3], 0 offset:20
	v_mov_b32_e32 v52, 0
	buffer_store_dword v52, off, s[0:3], 0 offset:16
	buffer_store_dword v52, off, s[0:3], 0 offset:20
	s_waitcnt vmcnt(2)
	ds_write_b64 v49, v[50:51]
.LBB87_153:
	s_or_b64 exec, exec, s[4:5]
	s_waitcnt lgkmcnt(0)
	; wave barrier
	buffer_load_dword v93, off, s[0:3], 0 offset:28
	buffer_load_dword v94, off, s[0:3], 0 offset:36
	;; [unrolled: 1-line block ×44, first 2 shown]
	v_mov_b32_e32 v50, 0
	ds_read2_b64 v[51:54], v50 offset0:27 offset1:28
	ds_read2_b64 v[55:58], v50 offset0:29 offset1:30
	;; [unrolled: 1-line block ×8, first 2 shown]
	v_cmp_lt_u32_e32 vcc, 1, v0
	s_waitcnt vmcnt(43) lgkmcnt(7)
	v_mul_f32_e32 v83, v51, v93
	s_waitcnt vmcnt(42)
	v_mul_f32_e32 v84, v53, v94
	s_waitcnt vmcnt(41) lgkmcnt(6)
	v_mul_f32_e32 v85, v55, v95
	s_waitcnt vmcnt(40)
	v_mul_f32_e32 v86, v57, v96
	;; [unrolled: 4-line block ×7, first 2 shown]
	s_waitcnt vmcnt(29)
	v_fmac_f32_e32 v83, v52, v107
	v_mul_f32_e32 v52, v52, v93
	v_fma_f32 v51, v51, v107, -v52
	v_mul_f32_e32 v52, v54, v94
	v_add_f32_e32 v51, 0, v51
	s_waitcnt vmcnt(28)
	v_fma_f32 v52, v53, v108, -v52
	v_add_f32_e32 v51, v51, v52
	v_mul_f32_e32 v52, v56, v95
	s_waitcnt vmcnt(27)
	v_fma_f32 v52, v55, v109, -v52
	v_add_f32_e32 v51, v51, v52
	v_mul_f32_e32 v52, v58, v96
	;; [unrolled: 4-line block ×4, first 2 shown]
	s_waitcnt vmcnt(24)
	v_fma_f32 v52, v61, v112, -v52
	v_fmac_f32_e32 v84, v54, v108
	v_add_f32_e32 v83, 0, v83
	v_add_f32_e32 v51, v51, v52
	v_mul_f32_e32 v52, v64, v99
	v_fmac_f32_e32 v85, v56, v109
	v_add_f32_e32 v83, v83, v84
	s_waitcnt vmcnt(23)
	v_fma_f32 v52, v63, v113, -v52
	v_fmac_f32_e32 v86, v58, v110
	v_add_f32_e32 v83, v83, v85
	v_add_f32_e32 v51, v51, v52
	v_mul_f32_e32 v52, v66, v100
	v_fmac_f32_e32 v87, v60, v111
	v_add_f32_e32 v83, v83, v86
	;; [unrolled: 8-line block ×4, first 2 shown]
	s_waitcnt vmcnt(20)
	v_fma_f32 v52, v69, v116, -v52
	v_fmac_f32_e32 v92, v70, v116
	v_add_f32_e32 v83, v83, v91
	v_add_f32_e32 v51, v51, v52
	v_mul_f32_e32 v52, v72, v103
	s_waitcnt vmcnt(19)
	v_fmac_f32_e32 v137, v72, v117
	v_add_f32_e32 v83, v83, v92
	v_fma_f32 v52, v71, v117, -v52
	s_waitcnt vmcnt(18)
	v_fmac_f32_e32 v138, v74, v118
	v_add_f32_e32 v83, v83, v137
	v_add_f32_e32 v51, v51, v52
	v_mul_f32_e32 v52, v74, v104
	s_waitcnt vmcnt(17)
	v_fmac_f32_e32 v139, v76, v119
	v_add_f32_e32 v83, v83, v138
	v_fma_f32 v52, v73, v118, -v52
	v_add_f32_e32 v83, v83, v139
	s_waitcnt vmcnt(16)
	v_fmac_f32_e32 v140, v78, v120
	s_waitcnt vmcnt(15) lgkmcnt(0)
	v_mul_f32_e32 v84, v79, v121
	v_add_f32_e32 v51, v51, v52
	v_mul_f32_e32 v52, v76, v105
	v_add_f32_e32 v83, v83, v140
	s_waitcnt vmcnt(14)
	v_fmac_f32_e32 v84, v80, v122
	v_fma_f32 v52, v75, v119, -v52
	v_add_f32_e32 v87, v83, v84
	ds_read2_b64 v[83:86], v50 offset0:43 offset1:44
	v_add_f32_e32 v51, v51, v52
	v_mul_f32_e32 v52, v78, v106
	v_fma_f32 v52, v77, v120, -v52
	v_add_f32_e32 v51, v51, v52
	v_mul_f32_e32 v52, v80, v121
	s_waitcnt vmcnt(13)
	v_mul_f32_e32 v88, v81, v123
	v_fma_f32 v52, v79, v122, -v52
	s_waitcnt vmcnt(12)
	v_fmac_f32_e32 v88, v82, v124
	v_add_f32_e32 v51, v51, v52
	v_mul_f32_e32 v52, v82, v123
	v_add_f32_e32 v91, v87, v88
	ds_read2_b64 v[87:90], v50 offset0:45 offset1:46
	s_waitcnt vmcnt(11) lgkmcnt(1)
	v_mul_f32_e32 v92, v83, v125
	v_fma_f32 v52, v81, v124, -v52
	s_waitcnt vmcnt(10)
	v_fmac_f32_e32 v92, v84, v126
	v_add_f32_e32 v51, v51, v52
	v_mul_f32_e32 v52, v84, v125
	v_add_f32_e32 v91, v91, v92
	s_waitcnt vmcnt(9)
	v_mul_f32_e32 v92, v85, v127
	v_fma_f32 v52, v83, v126, -v52
	s_waitcnt vmcnt(8)
	v_fmac_f32_e32 v92, v86, v128
	v_add_f32_e32 v51, v51, v52
	v_mul_f32_e32 v52, v86, v127
	v_add_f32_e32 v137, v91, v92
	ds_read_b64 v[91:92], v50 offset:376
	v_fma_f32 v52, v85, v128, -v52
	v_add_f32_e32 v51, v51, v52
	s_waitcnt vmcnt(7) lgkmcnt(1)
	v_mul_f32_e32 v52, v88, v129
	v_mul_f32_e32 v138, v87, v129
	s_waitcnt vmcnt(6)
	v_fma_f32 v52, v87, v130, -v52
	v_fmac_f32_e32 v138, v88, v130
	v_add_f32_e32 v51, v51, v52
	s_waitcnt vmcnt(5)
	v_mul_f32_e32 v52, v90, v131
	v_add_f32_e32 v137, v137, v138
	v_mul_f32_e32 v138, v89, v131
	s_waitcnt vmcnt(4)
	v_fma_f32 v52, v89, v132, -v52
	v_fmac_f32_e32 v138, v90, v132
	v_add_f32_e32 v51, v51, v52
	s_waitcnt vmcnt(3) lgkmcnt(0)
	v_mul_f32_e32 v52, v92, v133
	v_add_f32_e32 v137, v137, v138
	v_mul_f32_e32 v138, v91, v133
	s_waitcnt vmcnt(2)
	v_fma_f32 v52, v91, v134, -v52
	v_fmac_f32_e32 v138, v92, v134
	v_add_f32_e32 v51, v51, v52
	v_add_f32_e32 v137, v137, v138
	s_waitcnt vmcnt(1)
	v_sub_f32_e32 v51, v135, v51
	s_waitcnt vmcnt(0)
	v_sub_f32_e32 v52, v136, v137
	buffer_store_dword v51, off, s[0:3], 0 offset:16
	buffer_store_dword v52, off, s[0:3], 0 offset:20
	s_and_saveexec_b64 s[4:5], vcc
	s_cbranch_execz .LBB87_155
; %bb.154:
	buffer_load_dword v51, off, s[0:3], 0 offset:8
	buffer_load_dword v52, off, s[0:3], 0 offset:12
	s_waitcnt vmcnt(0)
	ds_write_b64 v49, v[51:52]
	buffer_store_dword v50, off, s[0:3], 0 offset:8
	buffer_store_dword v50, off, s[0:3], 0 offset:12
.LBB87_155:
	s_or_b64 exec, exec, s[4:5]
	s_waitcnt lgkmcnt(0)
	; wave barrier
	buffer_load_dword v95, off, s[0:3], 0 offset:20
	buffer_load_dword v96, off, s[0:3], 0 offset:28
	buffer_load_dword v97, off, s[0:3], 0 offset:36
	buffer_load_dword v98, off, s[0:3], 0 offset:44
	buffer_load_dword v99, off, s[0:3], 0 offset:52
	buffer_load_dword v100, off, s[0:3], 0 offset:60
	buffer_load_dword v101, off, s[0:3], 0 offset:68
	buffer_load_dword v102, off, s[0:3], 0 offset:76
	buffer_load_dword v103, off, s[0:3], 0 offset:84
	buffer_load_dword v104, off, s[0:3], 0 offset:92
	buffer_load_dword v105, off, s[0:3], 0 offset:100
	buffer_load_dword v106, off, s[0:3], 0 offset:108
	buffer_load_dword v107, off, s[0:3], 0 offset:116
	buffer_load_dword v108, off, s[0:3], 0 offset:16
	buffer_load_dword v109, off, s[0:3], 0 offset:24
	buffer_load_dword v110, off, s[0:3], 0 offset:32
	buffer_load_dword v111, off, s[0:3], 0 offset:40
	buffer_load_dword v112, off, s[0:3], 0 offset:48
	buffer_load_dword v113, off, s[0:3], 0 offset:56
	buffer_load_dword v114, off, s[0:3], 0 offset:64
	buffer_load_dword v115, off, s[0:3], 0 offset:72
	buffer_load_dword v116, off, s[0:3], 0 offset:80
	buffer_load_dword v117, off, s[0:3], 0 offset:88
	buffer_load_dword v118, off, s[0:3], 0 offset:96
	buffer_load_dword v119, off, s[0:3], 0 offset:104
	buffer_load_dword v120, off, s[0:3], 0 offset:112
	buffer_load_dword v121, off, s[0:3], 0 offset:124
	buffer_load_dword v122, off, s[0:3], 0 offset:120
	buffer_load_dword v123, off, s[0:3], 0 offset:132
	buffer_load_dword v124, off, s[0:3], 0 offset:128
	buffer_load_dword v125, off, s[0:3], 0 offset:140
	buffer_load_dword v126, off, s[0:3], 0 offset:136
	buffer_load_dword v127, off, s[0:3], 0 offset:148
	buffer_load_dword v128, off, s[0:3], 0 offset:144
	buffer_load_dword v129, off, s[0:3], 0 offset:156
	buffer_load_dword v130, off, s[0:3], 0 offset:152
	buffer_load_dword v131, off, s[0:3], 0 offset:164
	buffer_load_dword v132, off, s[0:3], 0 offset:160
	buffer_load_dword v133, off, s[0:3], 0 offset:172
	buffer_load_dword v134, off, s[0:3], 0 offset:168
	buffer_load_dword v135, off, s[0:3], 0 offset:180
	buffer_load_dword v136, off, s[0:3], 0 offset:176
	buffer_load_dword v137, off, s[0:3], 0 offset:188
	buffer_load_dword v138, off, s[0:3], 0 offset:184
	buffer_load_dword v139, off, s[0:3], 0 offset:8
	buffer_load_dword v140, off, s[0:3], 0 offset:12
	ds_read_b128 v[51:54], v50 offset:208
	ds_read_b128 v[55:58], v50 offset:224
	;; [unrolled: 1-line block ×8, first 2 shown]
	v_cmp_ne_u32_e32 vcc, 0, v0
	s_waitcnt vmcnt(45) lgkmcnt(7)
	v_mul_f32_e32 v83, v51, v95
	s_waitcnt vmcnt(44)
	v_mul_f32_e32 v84, v53, v96
	s_waitcnt vmcnt(43) lgkmcnt(6)
	v_mul_f32_e32 v85, v55, v97
	s_waitcnt vmcnt(42)
	v_mul_f32_e32 v86, v57, v98
	;; [unrolled: 4-line block ×6, first 2 shown]
	s_waitcnt vmcnt(33) lgkmcnt(1)
	v_mul_f32_e32 v141, v75, v107
	s_waitcnt vmcnt(32)
	v_fmac_f32_e32 v83, v52, v108
	v_mul_f32_e32 v52, v52, v95
	v_fma_f32 v51, v51, v108, -v52
	v_mul_f32_e32 v52, v54, v96
	v_add_f32_e32 v51, 0, v51
	s_waitcnt vmcnt(31)
	v_fma_f32 v52, v53, v109, -v52
	v_add_f32_e32 v51, v51, v52
	v_mul_f32_e32 v52, v56, v97
	s_waitcnt vmcnt(30)
	v_fma_f32 v52, v55, v110, -v52
	v_add_f32_e32 v51, v51, v52
	v_mul_f32_e32 v52, v58, v98
	;; [unrolled: 4-line block ×4, first 2 shown]
	v_fmac_f32_e32 v84, v54, v109
	v_add_f32_e32 v83, 0, v83
	s_waitcnt vmcnt(27)
	v_fma_f32 v52, v61, v113, -v52
	v_fmac_f32_e32 v85, v56, v110
	v_add_f32_e32 v83, v83, v84
	v_add_f32_e32 v51, v51, v52
	v_mul_f32_e32 v52, v64, v101
	v_fmac_f32_e32 v86, v58, v111
	v_add_f32_e32 v83, v83, v85
	s_waitcnt vmcnt(26)
	v_fma_f32 v52, v63, v114, -v52
	v_fmac_f32_e32 v87, v60, v112
	v_add_f32_e32 v83, v83, v86
	v_add_f32_e32 v51, v51, v52
	v_mul_f32_e32 v52, v66, v102
	;; [unrolled: 8-line block ×4, first 2 shown]
	s_waitcnt vmcnt(23)
	v_fmac_f32_e32 v92, v70, v117
	v_add_f32_e32 v83, v83, v91
	v_fma_f32 v52, v69, v117, -v52
	s_waitcnt vmcnt(22)
	v_fmac_f32_e32 v93, v72, v118
	v_add_f32_e32 v83, v83, v92
	v_add_f32_e32 v51, v51, v52
	v_mul_f32_e32 v52, v72, v105
	s_waitcnt vmcnt(21)
	v_fmac_f32_e32 v94, v74, v119
	v_add_f32_e32 v83, v83, v93
	v_fma_f32 v52, v71, v118, -v52
	s_waitcnt vmcnt(20)
	v_fmac_f32_e32 v141, v76, v120
	v_add_f32_e32 v83, v83, v94
	s_waitcnt vmcnt(19)
	v_mul_f32_e32 v84, v77, v121
	v_add_f32_e32 v51, v51, v52
	v_mul_f32_e32 v52, v74, v106
	v_add_f32_e32 v83, v83, v141
	s_waitcnt vmcnt(18)
	v_fmac_f32_e32 v84, v78, v122
	v_fma_f32 v52, v73, v119, -v52
	v_add_f32_e32 v83, v83, v84
	s_waitcnt vmcnt(17) lgkmcnt(0)
	v_mul_f32_e32 v84, v79, v123
	v_add_f32_e32 v51, v51, v52
	v_mul_f32_e32 v52, v76, v107
	s_waitcnt vmcnt(16)
	v_fmac_f32_e32 v84, v80, v124
	v_fma_f32 v52, v75, v120, -v52
	v_add_f32_e32 v87, v83, v84
	ds_read_b128 v[83:86], v50 offset:336
	v_add_f32_e32 v51, v51, v52
	v_mul_f32_e32 v52, v78, v121
	v_fma_f32 v52, v77, v122, -v52
	v_add_f32_e32 v51, v51, v52
	v_mul_f32_e32 v52, v80, v123
	s_waitcnt vmcnt(15)
	v_mul_f32_e32 v88, v81, v125
	v_fma_f32 v52, v79, v124, -v52
	s_waitcnt vmcnt(14)
	v_fmac_f32_e32 v88, v82, v126
	v_add_f32_e32 v51, v51, v52
	v_mul_f32_e32 v52, v82, v125
	v_add_f32_e32 v91, v87, v88
	ds_read_b128 v[87:90], v50 offset:352
	s_waitcnt vmcnt(13) lgkmcnt(1)
	v_mul_f32_e32 v92, v83, v127
	v_fma_f32 v52, v81, v126, -v52
	s_waitcnt vmcnt(12)
	v_fmac_f32_e32 v92, v84, v128
	v_add_f32_e32 v51, v51, v52
	v_mul_f32_e32 v52, v84, v127
	v_add_f32_e32 v91, v91, v92
	s_waitcnt vmcnt(11)
	v_mul_f32_e32 v92, v85, v129
	v_fma_f32 v52, v83, v128, -v52
	s_waitcnt vmcnt(10)
	v_fmac_f32_e32 v92, v86, v130
	v_add_f32_e32 v51, v51, v52
	v_mul_f32_e32 v52, v86, v129
	v_add_f32_e32 v141, v91, v92
	ds_read_b128 v[91:94], v50 offset:368
	v_fma_f32 v52, v85, v130, -v52
	v_add_f32_e32 v51, v51, v52
	s_waitcnt vmcnt(9) lgkmcnt(1)
	v_mul_f32_e32 v52, v88, v131
	v_mul_f32_e32 v142, v87, v131
	s_waitcnt vmcnt(8)
	v_fma_f32 v52, v87, v132, -v52
	v_fmac_f32_e32 v142, v88, v132
	v_add_f32_e32 v51, v51, v52
	s_waitcnt vmcnt(7)
	v_mul_f32_e32 v52, v90, v133
	v_add_f32_e32 v50, v141, v142
	v_mul_f32_e32 v141, v89, v133
	s_waitcnt vmcnt(6)
	v_fma_f32 v52, v89, v134, -v52
	v_fmac_f32_e32 v141, v90, v134
	v_add_f32_e32 v51, v51, v52
	s_waitcnt vmcnt(5) lgkmcnt(0)
	v_mul_f32_e32 v52, v92, v135
	v_add_f32_e32 v50, v50, v141
	v_mul_f32_e32 v141, v91, v135
	s_waitcnt vmcnt(4)
	v_fma_f32 v52, v91, v136, -v52
	v_fmac_f32_e32 v141, v92, v136
	v_add_f32_e32 v51, v51, v52
	s_waitcnt vmcnt(3)
	v_mul_f32_e32 v52, v94, v137
	v_add_f32_e32 v50, v50, v141
	v_mul_f32_e32 v141, v93, v137
	s_waitcnt vmcnt(2)
	v_fma_f32 v52, v93, v138, -v52
	v_fmac_f32_e32 v141, v94, v138
	v_add_f32_e32 v51, v51, v52
	v_add_f32_e32 v50, v50, v141
	s_waitcnt vmcnt(1)
	v_sub_f32_e32 v51, v139, v51
	s_waitcnt vmcnt(0)
	v_sub_f32_e32 v50, v140, v50
	buffer_store_dword v51, off, s[0:3], 0 offset:8
	buffer_store_dword v50, off, s[0:3], 0 offset:12
	s_and_saveexec_b64 s[4:5], vcc
	s_cbranch_execz .LBB87_157
; %bb.156:
	buffer_load_dword v50, off, s[0:3], 0
	buffer_load_dword v51, off, s[0:3], 0 offset:4
	v_mov_b32_e32 v0, 0
	buffer_store_dword v0, off, s[0:3], 0
	buffer_store_dword v0, off, s[0:3], 0 offset:4
	s_waitcnt vmcnt(2)
	ds_write_b64 v49, v[50:51]
.LBB87_157:
	s_or_b64 exec, exec, s[4:5]
	s_waitcnt lgkmcnt(0)
	; wave barrier
	buffer_load_dword v95, off, s[0:3], 0 offset:12
	buffer_load_dword v96, off, s[0:3], 0 offset:20
	;; [unrolled: 1-line block ×42, first 2 shown]
	buffer_load_dword v137, off, s[0:3], 0
	buffer_load_dword v138, off, s[0:3], 0 offset:4
	buffer_load_dword v139, off, s[0:3], 0 offset:180
	;; [unrolled: 1-line block ×5, first 2 shown]
	v_mov_b32_e32 v0, 0
	ds_read2_b64 v[49:52], v0 offset0:25 offset1:26
	ds_read2_b64 v[53:56], v0 offset0:27 offset1:28
	;; [unrolled: 1-line block ×7, first 2 shown]
	s_and_b64 vcc, exec, s[14:15]
	s_waitcnt vmcnt(47) lgkmcnt(6)
	v_mul_f32_e32 v77, v49, v95
	s_waitcnt vmcnt(46)
	v_mul_f32_e32 v78, v51, v96
	s_waitcnt vmcnt(45) lgkmcnt(5)
	v_mul_f32_e32 v79, v53, v97
	s_waitcnt vmcnt(44)
	v_mul_f32_e32 v80, v55, v98
	;; [unrolled: 4-line block ×6, first 2 shown]
	s_waitcnt vmcnt(35)
	v_fmac_f32_e32 v77, v50, v107
	v_mul_f32_e32 v50, v50, v95
	v_fma_f32 v49, v49, v107, -v50
	v_mul_f32_e32 v50, v52, v96
	v_add_f32_e32 v49, 0, v49
	s_waitcnt vmcnt(34)
	v_fma_f32 v50, v51, v108, -v50
	v_add_f32_e32 v49, v49, v50
	v_mul_f32_e32 v50, v54, v97
	s_waitcnt vmcnt(33)
	v_fma_f32 v50, v53, v109, -v50
	v_fmac_f32_e32 v78, v52, v108
	v_add_f32_e32 v77, 0, v77
	v_add_f32_e32 v49, v49, v50
	v_mul_f32_e32 v50, v56, v98
	v_fmac_f32_e32 v79, v54, v109
	v_add_f32_e32 v77, v77, v78
	s_waitcnt vmcnt(32)
	v_fma_f32 v50, v55, v110, -v50
	v_fmac_f32_e32 v80, v56, v110
	v_add_f32_e32 v77, v77, v79
	v_add_f32_e32 v49, v49, v50
	v_mul_f32_e32 v50, v58, v99
	s_waitcnt vmcnt(31)
	v_fmac_f32_e32 v81, v58, v111
	v_add_f32_e32 v77, v77, v80
	v_fma_f32 v50, v57, v111, -v50
	s_waitcnt vmcnt(30)
	v_fmac_f32_e32 v82, v60, v112
	v_add_f32_e32 v77, v77, v81
	v_add_f32_e32 v49, v49, v50
	v_mul_f32_e32 v50, v60, v100
	s_waitcnt vmcnt(29)
	v_fmac_f32_e32 v83, v62, v113
	v_add_f32_e32 v77, v77, v82
	v_fma_f32 v50, v59, v112, -v50
	s_waitcnt vmcnt(28)
	;; [unrolled: 9-line block ×4, first 2 shown]
	v_fmac_f32_e32 v88, v72, v118
	v_add_f32_e32 v77, v77, v87
	v_add_f32_e32 v49, v49, v50
	v_mul_f32_e32 v50, v66, v103
	v_add_f32_e32 v81, v77, v88
	ds_read2_b64 v[77:80], v0 offset0:39 offset1:40
	v_fma_f32 v50, v65, v115, -v50
	s_waitcnt vmcnt(23) lgkmcnt(1)
	v_mul_f32_e32 v82, v73, v119
	v_add_f32_e32 v49, v49, v50
	v_mul_f32_e32 v50, v68, v104
	s_waitcnt vmcnt(22)
	v_fmac_f32_e32 v82, v74, v120
	v_fma_f32 v50, v67, v116, -v50
	v_add_f32_e32 v81, v81, v82
	s_waitcnt vmcnt(21)
	v_mul_f32_e32 v82, v75, v121
	v_add_f32_e32 v49, v49, v50
	v_mul_f32_e32 v50, v70, v105
	s_waitcnt vmcnt(20)
	v_fmac_f32_e32 v82, v76, v122
	v_fma_f32 v50, v69, v117, -v50
	v_add_f32_e32 v81, v81, v82
	s_waitcnt vmcnt(19) lgkmcnt(0)
	v_mul_f32_e32 v82, v77, v123
	v_add_f32_e32 v49, v49, v50
	v_mul_f32_e32 v50, v72, v106
	s_waitcnt vmcnt(18)
	v_fmac_f32_e32 v82, v78, v124
	v_fma_f32 v50, v71, v118, -v50
	v_add_f32_e32 v85, v81, v82
	ds_read2_b64 v[81:84], v0 offset0:41 offset1:42
	v_add_f32_e32 v49, v49, v50
	v_mul_f32_e32 v50, v74, v119
	v_fma_f32 v50, v73, v120, -v50
	s_waitcnt vmcnt(17)
	v_mul_f32_e32 v86, v79, v125
	v_add_f32_e32 v49, v49, v50
	v_mul_f32_e32 v50, v76, v121
	s_waitcnt vmcnt(16)
	v_fmac_f32_e32 v86, v80, v126
	v_fma_f32 v50, v75, v122, -v50
	v_add_f32_e32 v89, v85, v86
	ds_read2_b64 v[85:88], v0 offset0:43 offset1:44
	v_add_f32_e32 v49, v49, v50
	v_mul_f32_e32 v50, v78, v123
	s_waitcnt vmcnt(15) lgkmcnt(1)
	v_mul_f32_e32 v90, v81, v127
	v_fma_f32 v50, v77, v124, -v50
	s_waitcnt vmcnt(14)
	v_fmac_f32_e32 v90, v82, v128
	v_add_f32_e32 v49, v49, v50
	v_mul_f32_e32 v50, v80, v125
	v_add_f32_e32 v89, v89, v90
	s_waitcnt vmcnt(13)
	v_mul_f32_e32 v90, v83, v129
	v_fma_f32 v50, v79, v126, -v50
	s_waitcnt vmcnt(12)
	v_fmac_f32_e32 v90, v84, v130
	v_add_f32_e32 v49, v49, v50
	v_mul_f32_e32 v50, v82, v127
	v_add_f32_e32 v89, v89, v90
	s_waitcnt vmcnt(11) lgkmcnt(0)
	v_mul_f32_e32 v90, v85, v131
	v_fma_f32 v50, v81, v128, -v50
	s_waitcnt vmcnt(10)
	v_fmac_f32_e32 v90, v86, v132
	v_add_f32_e32 v49, v49, v50
	v_mul_f32_e32 v50, v84, v129
	v_add_f32_e32 v93, v89, v90
	ds_read2_b64 v[89:92], v0 offset0:45 offset1:46
	v_fma_f32 v50, v83, v130, -v50
	v_add_f32_e32 v49, v49, v50
	v_mul_f32_e32 v50, v86, v131
	s_waitcnt vmcnt(9)
	v_mul_f32_e32 v94, v87, v133
	v_fma_f32 v50, v85, v132, -v50
	s_waitcnt vmcnt(8)
	v_fmac_f32_e32 v94, v88, v134
	v_add_f32_e32 v49, v49, v50
	v_mul_f32_e32 v50, v88, v133
	v_add_f32_e32 v143, v93, v94
	ds_read_b64 v[93:94], v0 offset:376
	v_fma_f32 v50, v87, v134, -v50
	v_add_f32_e32 v49, v49, v50
	s_waitcnt vmcnt(6) lgkmcnt(1)
	v_mul_f32_e32 v50, v90, v136
	v_mul_f32_e32 v144, v89, v136
	v_fma_f32 v50, v89, v135, -v50
	v_fmac_f32_e32 v144, v90, v135
	v_add_f32_e32 v49, v49, v50
	s_waitcnt vmcnt(3)
	v_mul_f32_e32 v50, v92, v139
	v_add_f32_e32 v143, v143, v144
	v_mul_f32_e32 v144, v91, v139
	s_waitcnt vmcnt(2)
	v_fma_f32 v50, v91, v140, -v50
	v_fmac_f32_e32 v144, v92, v140
	v_add_f32_e32 v49, v49, v50
	s_waitcnt vmcnt(0) lgkmcnt(0)
	v_mul_f32_e32 v50, v94, v142
	v_add_f32_e32 v143, v143, v144
	v_mul_f32_e32 v144, v93, v142
	v_fma_f32 v50, v93, v141, -v50
	v_fmac_f32_e32 v144, v94, v141
	v_add_f32_e32 v49, v49, v50
	v_add_f32_e32 v143, v143, v144
	v_sub_f32_e32 v49, v137, v49
	v_sub_f32_e32 v50, v138, v143
	buffer_store_dword v49, off, s[0:3], 0
	buffer_store_dword v50, off, s[0:3], 0 offset:4
	s_cbranch_vccz .LBB87_204
; %bb.158:
	global_load_dword v0, v0, s[12:13] offset:88
	s_waitcnt vmcnt(0)
	v_add_u32_e32 v0, -1, v0
	v_cmp_ne_u32_e32 vcc, 22, v0
	s_cbranch_vccz .LBB87_160
; %bb.159:
	v_lshlrev_b32_e32 v0, 3, v0
	buffer_load_dword v49, v0, s[0:3], 0 offen
	buffer_load_dword v50, v0, s[0:3], 0 offen offset:4
	buffer_load_dword v51, off, s[0:3], 0 offset:180
	buffer_load_dword v52, off, s[0:3], 0 offset:176
	s_waitcnt vmcnt(3)
	buffer_store_dword v49, off, s[0:3], 0 offset:176
	s_waitcnt vmcnt(3)
	buffer_store_dword v50, off, s[0:3], 0 offset:180
	s_waitcnt vmcnt(3)
	buffer_store_dword v51, v0, s[0:3], 0 offen offset:4
	s_waitcnt vmcnt(3)
	buffer_store_dword v52, v0, s[0:3], 0 offen
.LBB87_160:
	v_mov_b32_e32 v0, 0
	global_load_dword v49, v0, s[12:13] offset:84
	s_waitcnt vmcnt(0)
	v_add_u32_e32 v49, -1, v49
	v_cmp_eq_u32_e32 vcc, 21, v49
	s_cbranch_vccnz .LBB87_162
; %bb.161:
	v_lshlrev_b32_e32 v49, 3, v49
	buffer_load_dword v50, v49, s[0:3], 0 offen
	buffer_load_dword v51, v49, s[0:3], 0 offen offset:4
	buffer_load_dword v52, off, s[0:3], 0 offset:168
	buffer_load_dword v53, off, s[0:3], 0 offset:172
	s_waitcnt vmcnt(3)
	buffer_store_dword v50, off, s[0:3], 0 offset:168
	s_waitcnt vmcnt(3)
	buffer_store_dword v51, off, s[0:3], 0 offset:172
	s_waitcnt vmcnt(3)
	buffer_store_dword v52, v49, s[0:3], 0 offen
	s_waitcnt vmcnt(3)
	buffer_store_dword v53, v49, s[0:3], 0 offen offset:4
.LBB87_162:
	global_load_dword v0, v0, s[12:13] offset:80
	s_waitcnt vmcnt(0)
	v_add_u32_e32 v0, -1, v0
	v_cmp_eq_u32_e32 vcc, 20, v0
	s_cbranch_vccnz .LBB87_164
; %bb.163:
	v_lshlrev_b32_e32 v0, 3, v0
	buffer_load_dword v49, v0, s[0:3], 0 offen
	buffer_load_dword v50, v0, s[0:3], 0 offen offset:4
	buffer_load_dword v51, off, s[0:3], 0 offset:164
	buffer_load_dword v52, off, s[0:3], 0 offset:160
	s_waitcnt vmcnt(3)
	buffer_store_dword v49, off, s[0:3], 0 offset:160
	s_waitcnt vmcnt(3)
	buffer_store_dword v50, off, s[0:3], 0 offset:164
	s_waitcnt vmcnt(3)
	buffer_store_dword v51, v0, s[0:3], 0 offen offset:4
	s_waitcnt vmcnt(3)
	buffer_store_dword v52, v0, s[0:3], 0 offen
.LBB87_164:
	v_mov_b32_e32 v0, 0
	global_load_dword v49, v0, s[12:13] offset:76
	s_waitcnt vmcnt(0)
	v_add_u32_e32 v49, -1, v49
	v_cmp_eq_u32_e32 vcc, 19, v49
	s_cbranch_vccnz .LBB87_166
; %bb.165:
	v_lshlrev_b32_e32 v49, 3, v49
	buffer_load_dword v50, v49, s[0:3], 0 offen
	buffer_load_dword v51, v49, s[0:3], 0 offen offset:4
	buffer_load_dword v52, off, s[0:3], 0 offset:152
	buffer_load_dword v53, off, s[0:3], 0 offset:156
	s_waitcnt vmcnt(3)
	buffer_store_dword v50, off, s[0:3], 0 offset:152
	s_waitcnt vmcnt(3)
	buffer_store_dword v51, off, s[0:3], 0 offset:156
	s_waitcnt vmcnt(3)
	buffer_store_dword v52, v49, s[0:3], 0 offen
	s_waitcnt vmcnt(3)
	buffer_store_dword v53, v49, s[0:3], 0 offen offset:4
.LBB87_166:
	global_load_dword v0, v0, s[12:13] offset:72
	s_waitcnt vmcnt(0)
	v_add_u32_e32 v0, -1, v0
	v_cmp_eq_u32_e32 vcc, 18, v0
	s_cbranch_vccnz .LBB87_168
; %bb.167:
	v_lshlrev_b32_e32 v0, 3, v0
	buffer_load_dword v49, v0, s[0:3], 0 offen
	buffer_load_dword v50, v0, s[0:3], 0 offen offset:4
	buffer_load_dword v51, off, s[0:3], 0 offset:148
	buffer_load_dword v52, off, s[0:3], 0 offset:144
	s_waitcnt vmcnt(3)
	buffer_store_dword v49, off, s[0:3], 0 offset:144
	s_waitcnt vmcnt(3)
	buffer_store_dword v50, off, s[0:3], 0 offset:148
	s_waitcnt vmcnt(3)
	buffer_store_dword v51, v0, s[0:3], 0 offen offset:4
	s_waitcnt vmcnt(3)
	buffer_store_dword v52, v0, s[0:3], 0 offen
.LBB87_168:
	;; [unrolled: 41-line block ×10, first 2 shown]
	v_mov_b32_e32 v0, 0
	global_load_dword v49, v0, s[12:13] offset:4
	s_waitcnt vmcnt(0)
	v_add_u32_e32 v49, -1, v49
	v_cmp_eq_u32_e32 vcc, 1, v49
	s_cbranch_vccnz .LBB87_202
; %bb.201:
	v_lshlrev_b32_e32 v49, 3, v49
	buffer_load_dword v50, v49, s[0:3], 0 offen
	buffer_load_dword v51, v49, s[0:3], 0 offen offset:4
	buffer_load_dword v52, off, s[0:3], 0 offset:8
	buffer_load_dword v53, off, s[0:3], 0 offset:12
	s_waitcnt vmcnt(3)
	buffer_store_dword v50, off, s[0:3], 0 offset:8
	s_waitcnt vmcnt(3)
	buffer_store_dword v51, off, s[0:3], 0 offset:12
	s_waitcnt vmcnt(3)
	buffer_store_dword v52, v49, s[0:3], 0 offen
	s_waitcnt vmcnt(3)
	buffer_store_dword v53, v49, s[0:3], 0 offen offset:4
.LBB87_202:
	global_load_dword v0, v0, s[12:13]
	s_waitcnt vmcnt(0)
	v_add_u32_e32 v0, -1, v0
	v_cmp_eq_u32_e32 vcc, 0, v0
	s_cbranch_vccnz .LBB87_204
; %bb.203:
	v_lshlrev_b32_e32 v0, 3, v0
	buffer_load_dword v49, v0, s[0:3], 0 offen
	buffer_load_dword v50, v0, s[0:3], 0 offen offset:4
	buffer_load_dword v51, off, s[0:3], 0 offset:4
	buffer_load_dword v52, off, s[0:3], 0
	s_waitcnt vmcnt(3)
	buffer_store_dword v49, off, s[0:3], 0
	s_waitcnt vmcnt(3)
	buffer_store_dword v50, off, s[0:3], 0 offset:4
	s_waitcnt vmcnt(3)
	buffer_store_dword v51, v0, s[0:3], 0 offen offset:4
	s_waitcnt vmcnt(3)
	buffer_store_dword v52, v0, s[0:3], 0 offen
.LBB87_204:
	buffer_load_dword v49, off, s[0:3], 0
	buffer_load_dword v50, off, s[0:3], 0 offset:4
	s_waitcnt vmcnt(0)
	flat_store_dwordx2 v[1:2], v[49:50]
	buffer_load_dword v0, off, s[0:3], 0 offset:8
	s_nop 0
	buffer_load_dword v1, off, s[0:3], 0 offset:12
	s_waitcnt vmcnt(0)
	flat_store_dwordx2 v[3:4], v[0:1]
	buffer_load_dword v0, off, s[0:3], 0 offset:16
	s_nop 0
	;; [unrolled: 5-line block ×23, first 2 shown]
	buffer_load_dword v1, off, s[0:3], 0 offset:188
	s_waitcnt vmcnt(0)
	flat_store_dwordx2 v[47:48], v[0:1]
	s_endpgm
	.section	.rodata,"a",@progbits
	.p2align	6, 0x0
	.amdhsa_kernel _ZN9rocsolver6v33100L18getri_kernel_smallILi24E19rocblas_complex_numIfEPKPS3_EEvT1_iilPiilS8_bb
		.amdhsa_group_segment_fixed_size 388
		.amdhsa_private_segment_fixed_size 208
		.amdhsa_kernarg_size 60
		.amdhsa_user_sgpr_count 6
		.amdhsa_user_sgpr_private_segment_buffer 1
		.amdhsa_user_sgpr_dispatch_ptr 0
		.amdhsa_user_sgpr_queue_ptr 0
		.amdhsa_user_sgpr_kernarg_segment_ptr 1
		.amdhsa_user_sgpr_dispatch_id 0
		.amdhsa_user_sgpr_flat_scratch_init 0
		.amdhsa_user_sgpr_private_segment_size 0
		.amdhsa_uses_dynamic_stack 0
		.amdhsa_system_sgpr_private_segment_wavefront_offset 1
		.amdhsa_system_sgpr_workgroup_id_x 1
		.amdhsa_system_sgpr_workgroup_id_y 0
		.amdhsa_system_sgpr_workgroup_id_z 0
		.amdhsa_system_sgpr_workgroup_info 0
		.amdhsa_system_vgpr_workitem_id 0
		.amdhsa_next_free_vgpr 145
		.amdhsa_next_free_sgpr 21
		.amdhsa_reserve_vcc 1
		.amdhsa_reserve_flat_scratch 0
		.amdhsa_float_round_mode_32 0
		.amdhsa_float_round_mode_16_64 0
		.amdhsa_float_denorm_mode_32 3
		.amdhsa_float_denorm_mode_16_64 3
		.amdhsa_dx10_clamp 1
		.amdhsa_ieee_mode 1
		.amdhsa_fp16_overflow 0
		.amdhsa_exception_fp_ieee_invalid_op 0
		.amdhsa_exception_fp_denorm_src 0
		.amdhsa_exception_fp_ieee_div_zero 0
		.amdhsa_exception_fp_ieee_overflow 0
		.amdhsa_exception_fp_ieee_underflow 0
		.amdhsa_exception_fp_ieee_inexact 0
		.amdhsa_exception_int_div_zero 0
	.end_amdhsa_kernel
	.section	.text._ZN9rocsolver6v33100L18getri_kernel_smallILi24E19rocblas_complex_numIfEPKPS3_EEvT1_iilPiilS8_bb,"axG",@progbits,_ZN9rocsolver6v33100L18getri_kernel_smallILi24E19rocblas_complex_numIfEPKPS3_EEvT1_iilPiilS8_bb,comdat
.Lfunc_end87:
	.size	_ZN9rocsolver6v33100L18getri_kernel_smallILi24E19rocblas_complex_numIfEPKPS3_EEvT1_iilPiilS8_bb, .Lfunc_end87-_ZN9rocsolver6v33100L18getri_kernel_smallILi24E19rocblas_complex_numIfEPKPS3_EEvT1_iilPiilS8_bb
                                        ; -- End function
	.set _ZN9rocsolver6v33100L18getri_kernel_smallILi24E19rocblas_complex_numIfEPKPS3_EEvT1_iilPiilS8_bb.num_vgpr, 145
	.set _ZN9rocsolver6v33100L18getri_kernel_smallILi24E19rocblas_complex_numIfEPKPS3_EEvT1_iilPiilS8_bb.num_agpr, 0
	.set _ZN9rocsolver6v33100L18getri_kernel_smallILi24E19rocblas_complex_numIfEPKPS3_EEvT1_iilPiilS8_bb.numbered_sgpr, 21
	.set _ZN9rocsolver6v33100L18getri_kernel_smallILi24E19rocblas_complex_numIfEPKPS3_EEvT1_iilPiilS8_bb.num_named_barrier, 0
	.set _ZN9rocsolver6v33100L18getri_kernel_smallILi24E19rocblas_complex_numIfEPKPS3_EEvT1_iilPiilS8_bb.private_seg_size, 208
	.set _ZN9rocsolver6v33100L18getri_kernel_smallILi24E19rocblas_complex_numIfEPKPS3_EEvT1_iilPiilS8_bb.uses_vcc, 1
	.set _ZN9rocsolver6v33100L18getri_kernel_smallILi24E19rocblas_complex_numIfEPKPS3_EEvT1_iilPiilS8_bb.uses_flat_scratch, 0
	.set _ZN9rocsolver6v33100L18getri_kernel_smallILi24E19rocblas_complex_numIfEPKPS3_EEvT1_iilPiilS8_bb.has_dyn_sized_stack, 0
	.set _ZN9rocsolver6v33100L18getri_kernel_smallILi24E19rocblas_complex_numIfEPKPS3_EEvT1_iilPiilS8_bb.has_recursion, 0
	.set _ZN9rocsolver6v33100L18getri_kernel_smallILi24E19rocblas_complex_numIfEPKPS3_EEvT1_iilPiilS8_bb.has_indirect_call, 0
	.section	.AMDGPU.csdata,"",@progbits
; Kernel info:
; codeLenInByte = 28332
; TotalNumSgprs: 25
; NumVgprs: 145
; ScratchSize: 208
; MemoryBound: 0
; FloatMode: 240
; IeeeMode: 1
; LDSByteSize: 388 bytes/workgroup (compile time only)
; SGPRBlocks: 3
; VGPRBlocks: 36
; NumSGPRsForWavesPerEU: 25
; NumVGPRsForWavesPerEU: 145
; Occupancy: 1
; WaveLimiterHint : 1
; COMPUTE_PGM_RSRC2:SCRATCH_EN: 1
; COMPUTE_PGM_RSRC2:USER_SGPR: 6
; COMPUTE_PGM_RSRC2:TRAP_HANDLER: 0
; COMPUTE_PGM_RSRC2:TGID_X_EN: 1
; COMPUTE_PGM_RSRC2:TGID_Y_EN: 0
; COMPUTE_PGM_RSRC2:TGID_Z_EN: 0
; COMPUTE_PGM_RSRC2:TIDIG_COMP_CNT: 0
	.section	.text._ZN9rocsolver6v33100L18getri_kernel_smallILi25E19rocblas_complex_numIfEPKPS3_EEvT1_iilPiilS8_bb,"axG",@progbits,_ZN9rocsolver6v33100L18getri_kernel_smallILi25E19rocblas_complex_numIfEPKPS3_EEvT1_iilPiilS8_bb,comdat
	.globl	_ZN9rocsolver6v33100L18getri_kernel_smallILi25E19rocblas_complex_numIfEPKPS3_EEvT1_iilPiilS8_bb ; -- Begin function _ZN9rocsolver6v33100L18getri_kernel_smallILi25E19rocblas_complex_numIfEPKPS3_EEvT1_iilPiilS8_bb
	.p2align	8
	.type	_ZN9rocsolver6v33100L18getri_kernel_smallILi25E19rocblas_complex_numIfEPKPS3_EEvT1_iilPiilS8_bb,@function
_ZN9rocsolver6v33100L18getri_kernel_smallILi25E19rocblas_complex_numIfEPKPS3_EEvT1_iilPiilS8_bb: ; @_ZN9rocsolver6v33100L18getri_kernel_smallILi25E19rocblas_complex_numIfEPKPS3_EEvT1_iilPiilS8_bb
; %bb.0:
	s_add_u32 s0, s0, s7
	s_addc_u32 s1, s1, 0
	v_cmp_gt_u32_e32 vcc, 25, v0
	s_and_saveexec_b64 s[8:9], vcc
	s_cbranch_execz .LBB88_114
; %bb.1:
	s_load_dword s18, s[4:5], 0x38
	s_load_dwordx2 s[12:13], s[4:5], 0x0
	s_load_dwordx4 s[8:11], s[4:5], 0x28
	s_waitcnt lgkmcnt(0)
	s_bitcmp1_b32 s18, 8
	s_cselect_b64 s[14:15], -1, 0
	s_ashr_i32 s7, s6, 31
	s_lshl_b64 s[16:17], s[6:7], 3
	s_add_u32 s12, s12, s16
	s_addc_u32 s13, s13, s17
	s_load_dwordx2 s[16:17], s[12:13], 0x0
	s_bfe_u32 s12, s18, 0x10008
	s_cmp_eq_u32 s12, 0
                                        ; implicit-def: $sgpr12_sgpr13
	s_cbranch_scc1 .LBB88_3
; %bb.2:
	s_load_dword s12, s[4:5], 0x20
	s_load_dwordx2 s[18:19], s[4:5], 0x18
	s_mul_i32 s13, s8, s7
	s_mul_hi_u32 s20, s8, s6
	s_add_i32 s20, s20, s13
	s_mul_i32 s9, s9, s6
	s_add_i32 s9, s20, s9
	s_mul_i32 s8, s8, s6
	s_waitcnt lgkmcnt(0)
	s_ashr_i32 s13, s12, 31
	s_lshl_b64 s[8:9], s[8:9], 2
	s_add_u32 s18, s18, s8
	s_addc_u32 s19, s19, s9
	s_lshl_b64 s[8:9], s[12:13], 2
	s_add_u32 s12, s18, s8
	s_addc_u32 s13, s19, s9
.LBB88_3:
	s_load_dwordx2 s[8:9], s[4:5], 0x8
	s_load_dword s18, s[4:5], 0x38
	v_lshlrev_b32_e32 v53, 3, v0
	s_waitcnt lgkmcnt(0)
	s_ashr_i32 s5, s8, 31
	s_mov_b32 s4, s8
	s_lshl_b64 s[4:5], s[4:5], 3
	s_add_u32 s4, s16, s4
	s_addc_u32 s5, s17, s5
	v_mov_b32_e32 v2, s5
	v_add_co_u32_e32 v1, vcc, s4, v53
	v_addc_co_u32_e32 v2, vcc, 0, v2, vcc
	flat_load_dwordx2 v[5:6], v[1:2]
	s_mov_b32 s16, s9
	s_ashr_i32 s17, s9, 31
	s_lshl_b64 s[16:17], s[16:17], 3
	v_mov_b32_e32 v4, s17
	v_add_co_u32_e32 v3, vcc, s16, v1
	v_addc_co_u32_e32 v4, vcc, v2, v4, vcc
	s_add_i32 s8, s9, s9
	v_add_u32_e32 v9, s8, v0
	v_ashrrev_i32_e32 v10, 31, v9
	v_mov_b32_e32 v11, s5
	v_add_u32_e32 v12, s9, v9
	v_ashrrev_i32_e32 v13, 31, v12
	v_mov_b32_e32 v14, s5
	v_mov_b32_e32 v15, s5
	;; [unrolled: 1-line block ×21, first 2 shown]
	s_bitcmp0_b32 s18, 0
	s_waitcnt vmcnt(0) lgkmcnt(0)
	buffer_store_dword v6, off, s[0:3], 0 offset:4
	buffer_store_dword v5, off, s[0:3], 0
	flat_load_dwordx2 v[7:8], v[3:4]
	v_lshlrev_b64 v[5:6], 3, v[9:10]
	s_waitcnt vmcnt(0) lgkmcnt(0)
	buffer_store_dword v8, off, s[0:3], 0 offset:12
	buffer_store_dword v7, off, s[0:3], 0 offset:8
	v_add_co_u32_e32 v5, vcc, s4, v5
	v_addc_co_u32_e32 v6, vcc, v11, v6, vcc
	flat_load_dwordx2 v[10:11], v[5:6]
	v_lshlrev_b64 v[7:8], 3, v[12:13]
	s_waitcnt vmcnt(0) lgkmcnt(0)
	buffer_store_dword v11, off, s[0:3], 0 offset:20
	buffer_store_dword v10, off, s[0:3], 0 offset:16
	v_add_co_u32_e32 v7, vcc, s4, v7
	v_addc_co_u32_e32 v8, vcc, v14, v8, vcc
	flat_load_dwordx2 v[13:14], v[7:8]
	v_add_u32_e32 v11, s9, v12
	v_ashrrev_i32_e32 v12, 31, v11
	v_lshlrev_b64 v[9:10], 3, v[11:12]
	s_waitcnt vmcnt(0) lgkmcnt(0)
	buffer_store_dword v14, off, s[0:3], 0 offset:28
	buffer_store_dword v13, off, s[0:3], 0 offset:24
	v_add_co_u32_e32 v9, vcc, s4, v9
	v_addc_co_u32_e32 v10, vcc, v15, v10, vcc
	flat_load_dwordx2 v[13:14], v[9:10]
	v_add_u32_e32 v15, s9, v11
	v_ashrrev_i32_e32 v16, 31, v15
	v_lshlrev_b64 v[11:12], 3, v[15:16]
	v_add_u32_e32 v18, s9, v15
	v_add_co_u32_e32 v11, vcc, s4, v11
	v_addc_co_u32_e32 v12, vcc, v17, v12, vcc
	v_ashrrev_i32_e32 v19, 31, v18
	s_waitcnt vmcnt(0) lgkmcnt(0)
	buffer_store_dword v14, off, s[0:3], 0 offset:36
	buffer_store_dword v13, off, s[0:3], 0 offset:32
	flat_load_dwordx2 v[16:17], v[11:12]
	v_lshlrev_b64 v[13:14], 3, v[18:19]
	s_waitcnt vmcnt(0) lgkmcnt(0)
	buffer_store_dword v17, off, s[0:3], 0 offset:44
	buffer_store_dword v16, off, s[0:3], 0 offset:40
	v_add_co_u32_e32 v13, vcc, s4, v13
	v_addc_co_u32_e32 v14, vcc, v20, v14, vcc
	flat_load_dwordx2 v[19:20], v[13:14]
	v_add_u32_e32 v17, s9, v18
	v_ashrrev_i32_e32 v18, 31, v17
	v_lshlrev_b64 v[15:16], 3, v[17:18]
	s_waitcnt vmcnt(0) lgkmcnt(0)
	buffer_store_dword v20, off, s[0:3], 0 offset:52
	buffer_store_dword v19, off, s[0:3], 0 offset:48
	v_add_co_u32_e32 v15, vcc, s4, v15
	v_addc_co_u32_e32 v16, vcc, v21, v16, vcc
	flat_load_dwordx2 v[19:20], v[15:16]
	v_add_u32_e32 v21, s9, v17
	v_ashrrev_i32_e32 v22, 31, v21
	v_lshlrev_b64 v[17:18], 3, v[21:22]
	v_add_u32_e32 v24, s9, v21
	v_add_co_u32_e32 v17, vcc, s4, v17
	v_addc_co_u32_e32 v18, vcc, v23, v18, vcc
	v_ashrrev_i32_e32 v25, 31, v24
	s_waitcnt vmcnt(0) lgkmcnt(0)
	buffer_store_dword v20, off, s[0:3], 0 offset:60
	buffer_store_dword v19, off, s[0:3], 0 offset:56
	;; [unrolled: 27-line block ×6, first 2 shown]
	flat_load_dwordx2 v[46:47], v[41:42]
	v_lshlrev_b64 v[43:44], 3, v[48:49]
	s_waitcnt vmcnt(0) lgkmcnt(0)
	buffer_store_dword v47, off, s[0:3], 0 offset:164
	buffer_store_dword v46, off, s[0:3], 0 offset:160
	v_add_co_u32_e32 v43, vcc, s4, v43
	v_addc_co_u32_e32 v44, vcc, v50, v44, vcc
	flat_load_dwordx2 v[49:50], v[43:44]
	v_add_u32_e32 v47, s9, v48
	v_ashrrev_i32_e32 v48, 31, v47
	v_lshlrev_b64 v[45:46], 3, v[47:48]
	s_waitcnt vmcnt(0) lgkmcnt(0)
	buffer_store_dword v50, off, s[0:3], 0 offset:172
	buffer_store_dword v49, off, s[0:3], 0 offset:168
	v_add_co_u32_e32 v45, vcc, s4, v45
	v_addc_co_u32_e32 v46, vcc, v51, v46, vcc
	flat_load_dwordx2 v[49:50], v[45:46]
	v_add_u32_e32 v51, s9, v47
	v_ashrrev_i32_e32 v52, 31, v51
	v_lshlrev_b64 v[47:48], 3, v[51:52]
	v_mov_b32_e32 v52, s5
	v_add_co_u32_e32 v47, vcc, s4, v47
	v_addc_co_u32_e32 v48, vcc, v54, v48, vcc
	s_waitcnt vmcnt(0) lgkmcnt(0)
	buffer_store_dword v50, off, s[0:3], 0 offset:180
	buffer_store_dword v49, off, s[0:3], 0 offset:176
	flat_load_dwordx2 v[54:55], v[47:48]
	v_add_u32_e32 v49, s9, v51
	v_ashrrev_i32_e32 v50, 31, v49
	v_lshlrev_b64 v[49:50], 3, v[49:50]
	s_mov_b64 s[8:9], -1
	v_add_co_u32_e32 v49, vcc, s4, v49
	v_addc_co_u32_e32 v50, vcc, v52, v50, vcc
	s_waitcnt vmcnt(0) lgkmcnt(0)
	buffer_store_dword v55, off, s[0:3], 0 offset:188
	buffer_store_dword v54, off, s[0:3], 0 offset:184
	flat_load_dwordx2 v[51:52], v[49:50]
	s_waitcnt vmcnt(0) lgkmcnt(0)
	buffer_store_dword v52, off, s[0:3], 0 offset:196
	buffer_store_dword v51, off, s[0:3], 0 offset:192
	s_cbranch_scc1 .LBB88_112
; %bb.4:
	v_cmp_eq_u32_e64 s[4:5], 0, v0
	s_and_saveexec_b64 s[8:9], s[4:5]
; %bb.5:
	v_mov_b32_e32 v51, 0
	ds_write_b32 v51, v51 offset:200
; %bb.6:
	s_or_b64 exec, exec, s[8:9]
	v_mov_b32_e32 v51, 0
	v_lshl_add_u32 v55, v0, 3, v51
	s_waitcnt lgkmcnt(0)
	; wave barrier
	buffer_load_dword v51, v55, s[0:3], 0 offen
	buffer_load_dword v52, v55, s[0:3], 0 offen offset:4
	s_waitcnt vmcnt(1)
	v_cmp_eq_f32_e32 vcc, 0, v51
	s_waitcnt vmcnt(0)
	v_cmp_eq_f32_e64 s[8:9], 0, v52
	s_and_b64 s[8:9], vcc, s[8:9]
	s_and_saveexec_b64 s[16:17], s[8:9]
	s_cbranch_execz .LBB88_10
; %bb.7:
	v_mov_b32_e32 v51, 0
	ds_read_b32 v54, v51 offset:200
	v_add_u32_e32 v52, 1, v0
	s_waitcnt lgkmcnt(0)
	v_readfirstlane_b32 s8, v54
	s_cmp_eq_u32 s8, 0
	s_cselect_b64 s[18:19], -1, 0
	v_cmp_gt_i32_e32 vcc, s8, v52
	s_or_b64 s[18:19], s[18:19], vcc
	s_and_b64 exec, exec, s[18:19]
	s_cbranch_execz .LBB88_10
; %bb.8:
	s_mov_b64 s[18:19], 0
	v_mov_b32_e32 v54, s8
.LBB88_9:                               ; =>This Inner Loop Header: Depth=1
	ds_cmpst_rtn_b32 v54, v51, v54, v52 offset:200
	s_waitcnt lgkmcnt(0)
	v_cmp_ne_u32_e32 vcc, 0, v54
	v_cmp_le_i32_e64 s[8:9], v54, v52
	s_and_b64 s[8:9], vcc, s[8:9]
	s_and_b64 s[8:9], exec, s[8:9]
	s_or_b64 s[18:19], s[8:9], s[18:19]
	s_andn2_b64 exec, exec, s[18:19]
	s_cbranch_execnz .LBB88_9
.LBB88_10:
	s_or_b64 exec, exec, s[16:17]
	v_mov_b32_e32 v52, 0
	; wave barrier
	ds_read_b32 v51, v52 offset:200
	s_and_saveexec_b64 s[8:9], s[4:5]
	s_cbranch_execz .LBB88_12
; %bb.11:
	s_lshl_b64 s[16:17], s[6:7], 2
	s_add_u32 s16, s10, s16
	s_addc_u32 s17, s11, s17
	s_waitcnt lgkmcnt(0)
	global_store_dword v52, v51, s[16:17]
.LBB88_12:
	s_or_b64 exec, exec, s[8:9]
	s_waitcnt lgkmcnt(0)
	v_cmp_ne_u32_e32 vcc, 0, v51
	s_mov_b64 s[8:9], 0
	s_cbranch_vccnz .LBB88_112
; %bb.13:
	buffer_load_dword v52, v55, s[0:3], 0 offen
	buffer_load_dword v54, v55, s[0:3], 0 offen offset:4
                                        ; implicit-def: $vgpr57
                                        ; implicit-def: $vgpr56
                                        ; implicit-def: $vgpr51
	s_waitcnt vmcnt(0)
	v_cmp_ngt_f32_e64 s[8:9], |v52|, |v54|
	s_and_saveexec_b64 s[16:17], s[8:9]
	s_xor_b64 s[8:9], exec, s[16:17]
	s_cbranch_execz .LBB88_15
; %bb.14:
	v_div_scale_f32 v51, s[16:17], v54, v54, v52
	v_div_scale_f32 v56, vcc, v52, v54, v52
	v_rcp_f32_e32 v57, v51
	v_fma_f32 v58, -v51, v57, 1.0
	v_fmac_f32_e32 v57, v58, v57
	v_mul_f32_e32 v58, v56, v57
	v_fma_f32 v59, -v51, v58, v56
	v_fmac_f32_e32 v58, v59, v57
	v_fma_f32 v51, -v51, v58, v56
	v_div_fmas_f32 v51, v51, v57, v58
	v_div_fixup_f32 v51, v51, v54, v52
	v_fmac_f32_e32 v54, v52, v51
	v_div_scale_f32 v52, s[16:17], v54, v54, 1.0
	v_div_scale_f32 v56, vcc, 1.0, v54, 1.0
	v_rcp_f32_e32 v57, v52
	v_fma_f32 v58, -v52, v57, 1.0
	v_fmac_f32_e32 v57, v58, v57
	v_mul_f32_e32 v58, v56, v57
	v_fma_f32 v59, -v52, v58, v56
	v_fmac_f32_e32 v58, v59, v57
	v_fma_f32 v52, -v52, v58, v56
	v_div_fmas_f32 v52, v52, v57, v58
	v_div_fixup_f32 v52, v52, v54, 1.0
	v_mul_f32_e32 v57, v51, v52
	v_xor_b32_e32 v56, 0x80000000, v52
	v_xor_b32_e32 v51, 0x80000000, v57
                                        ; implicit-def: $vgpr52
                                        ; implicit-def: $vgpr54
.LBB88_15:
	s_andn2_saveexec_b64 s[8:9], s[8:9]
	s_cbranch_execz .LBB88_17
; %bb.16:
	v_div_scale_f32 v51, s[16:17], v52, v52, v54
	v_div_scale_f32 v56, vcc, v54, v52, v54
	v_rcp_f32_e32 v57, v51
	v_fma_f32 v58, -v51, v57, 1.0
	v_fmac_f32_e32 v57, v58, v57
	v_mul_f32_e32 v58, v56, v57
	v_fma_f32 v59, -v51, v58, v56
	v_fmac_f32_e32 v58, v59, v57
	v_fma_f32 v51, -v51, v58, v56
	v_div_fmas_f32 v51, v51, v57, v58
	v_div_fixup_f32 v56, v51, v52, v54
	v_fmac_f32_e32 v52, v54, v56
	v_div_scale_f32 v51, s[16:17], v52, v52, 1.0
	v_div_scale_f32 v54, vcc, 1.0, v52, 1.0
	v_rcp_f32_e32 v57, v51
	v_fma_f32 v58, -v51, v57, 1.0
	v_fmac_f32_e32 v57, v58, v57
	v_mul_f32_e32 v58, v54, v57
	v_fma_f32 v59, -v51, v58, v54
	v_fmac_f32_e32 v58, v59, v57
	v_fma_f32 v51, -v51, v58, v54
	v_div_fmas_f32 v51, v51, v57, v58
	v_div_fixup_f32 v57, v51, v52, 1.0
	v_xor_b32_e32 v51, 0x80000000, v57
	v_mul_f32_e64 v56, v56, -v57
.LBB88_17:
	s_or_b64 exec, exec, s[8:9]
	buffer_store_dword v57, v55, s[0:3], 0 offen
	buffer_store_dword v56, v55, s[0:3], 0 offen offset:4
	buffer_load_dword v58, off, s[0:3], 0 offset:12
	s_nop 0
	buffer_load_dword v57, off, s[0:3], 0 offset:8
	v_xor_b32_e32 v52, 0x80000000, v56
	v_add_u32_e32 v54, 0xd0, v53
	s_waitcnt vmcnt(0)
	ds_write2_b64 v53, v[51:52], v[57:58] offset1:26
	s_waitcnt lgkmcnt(0)
	; wave barrier
	s_and_saveexec_b64 s[8:9], s[4:5]
	s_cbranch_execz .LBB88_19
; %bb.18:
	buffer_load_dword v58, v55, s[0:3], 0 offen offset:4
	buffer_load_dword v59, v55, s[0:3], 0 offen
	ds_read_b64 v[51:52], v54
	v_mov_b32_e32 v56, 0
	ds_read_b64 v[56:57], v56 offset:8
	s_waitcnt vmcnt(1) lgkmcnt(1)
	v_mul_f32_e32 v60, v52, v58
	v_mul_f32_e32 v58, v51, v58
	s_waitcnt vmcnt(0)
	v_fmac_f32_e32 v58, v52, v59
	v_fma_f32 v51, v51, v59, -v60
	v_add_f32_e32 v52, 0, v58
	v_add_f32_e32 v51, 0, v51
	s_waitcnt lgkmcnt(0)
	v_mul_f32_e32 v58, v52, v57
	v_mul_f32_e32 v57, v51, v57
	v_fma_f32 v51, v51, v56, -v58
	v_fmac_f32_e32 v57, v52, v56
	buffer_store_dword v51, off, s[0:3], 0 offset:8
	buffer_store_dword v57, off, s[0:3], 0 offset:12
.LBB88_19:
	s_or_b64 exec, exec, s[8:9]
	; wave barrier
	buffer_load_dword v51, off, s[0:3], 0 offset:16
	buffer_load_dword v52, off, s[0:3], 0 offset:20
	v_cmp_gt_u32_e32 vcc, 2, v0
	s_waitcnt vmcnt(0)
	ds_write_b64 v54, v[51:52]
	s_waitcnt lgkmcnt(0)
	; wave barrier
	s_and_saveexec_b64 s[8:9], vcc
	s_cbranch_execz .LBB88_23
; %bb.20:
	buffer_load_dword v56, v55, s[0:3], 0 offen offset:4
	buffer_load_dword v57, v55, s[0:3], 0 offen
	ds_read_b64 v[51:52], v54
	s_waitcnt vmcnt(1) lgkmcnt(0)
	v_mul_f32_e32 v55, v52, v56
	v_mul_f32_e32 v56, v51, v56
	s_waitcnt vmcnt(0)
	v_fma_f32 v51, v51, v57, -v55
	v_fmac_f32_e32 v56, v52, v57
	v_add_f32_e32 v52, 0, v51
	v_add_f32_e32 v51, 0, v56
	s_and_saveexec_b64 s[16:17], s[4:5]
	s_cbranch_execz .LBB88_22
; %bb.21:
	buffer_load_dword v57, off, s[0:3], 0 offset:12
	buffer_load_dword v58, off, s[0:3], 0 offset:8
	v_mov_b32_e32 v55, 0
	ds_read_b64 v[55:56], v55 offset:216
	s_waitcnt vmcnt(1) lgkmcnt(0)
	v_mul_f32_e32 v59, v55, v57
	v_mul_f32_e32 v57, v56, v57
	s_waitcnt vmcnt(0)
	v_fmac_f32_e32 v59, v56, v58
	v_fma_f32 v55, v55, v58, -v57
	v_add_f32_e32 v51, v51, v59
	v_add_f32_e32 v52, v52, v55
.LBB88_22:
	s_or_b64 exec, exec, s[16:17]
	v_mov_b32_e32 v55, 0
	ds_read_b64 v[55:56], v55 offset:16
	s_waitcnt lgkmcnt(0)
	v_mul_f32_e32 v57, v51, v56
	v_mul_f32_e32 v56, v52, v56
	v_fma_f32 v52, v52, v55, -v57
	v_fmac_f32_e32 v56, v51, v55
	buffer_store_dword v52, off, s[0:3], 0 offset:16
	buffer_store_dword v56, off, s[0:3], 0 offset:20
.LBB88_23:
	s_or_b64 exec, exec, s[8:9]
	; wave barrier
	buffer_load_dword v51, off, s[0:3], 0 offset:24
	buffer_load_dword v52, off, s[0:3], 0 offset:28
	v_cmp_gt_u32_e32 vcc, 3, v0
	s_waitcnt vmcnt(0)
	ds_write_b64 v54, v[51:52]
	v_add_u32_e32 v51, -1, v0
	s_waitcnt lgkmcnt(0)
	; wave barrier
	s_and_saveexec_b64 s[4:5], vcc
	s_cbranch_execz .LBB88_27
; %bb.24:
	v_add_u32_e32 v55, -1, v0
	v_add_u32_e32 v56, 0xd0, v53
	v_mov_b32_e32 v57, v53
	v_mov_b32_e32 v52, 0
	s_mov_b64 s[8:9], 0
	v_mov_b32_e32 v58, 0
.LBB88_25:                              ; =>This Inner Loop Header: Depth=1
	buffer_load_dword v61, v57, s[0:3], 0 offen offset:4
	buffer_load_dword v62, v57, s[0:3], 0 offen
	ds_read_b64 v[59:60], v56
	v_add_u32_e32 v55, 1, v55
	v_cmp_lt_u32_e32 vcc, 1, v55
	v_add_u32_e32 v56, 8, v56
	v_add_u32_e32 v57, 8, v57
	s_or_b64 s[8:9], vcc, s[8:9]
	s_waitcnt vmcnt(1) lgkmcnt(0)
	v_mul_f32_e32 v63, v60, v61
	v_mul_f32_e32 v61, v59, v61
	s_waitcnt vmcnt(0)
	v_fma_f32 v59, v59, v62, -v63
	v_fmac_f32_e32 v61, v60, v62
	v_add_f32_e32 v58, v58, v59
	v_add_f32_e32 v52, v52, v61
	s_andn2_b64 exec, exec, s[8:9]
	s_cbranch_execnz .LBB88_25
; %bb.26:
	s_or_b64 exec, exec, s[8:9]
	v_mov_b32_e32 v55, 0
	ds_read_b64 v[55:56], v55 offset:24
	s_waitcnt lgkmcnt(0)
	v_mul_f32_e32 v57, v52, v56
	v_mul_f32_e32 v56, v58, v56
	v_fma_f32 v57, v58, v55, -v57
	v_fmac_f32_e32 v56, v52, v55
	buffer_store_dword v57, off, s[0:3], 0 offset:24
	buffer_store_dword v56, off, s[0:3], 0 offset:28
.LBB88_27:
	s_or_b64 exec, exec, s[4:5]
	; wave barrier
	buffer_load_dword v55, off, s[0:3], 0 offset:32
	buffer_load_dword v56, off, s[0:3], 0 offset:36
	v_cmp_gt_u32_e32 vcc, 4, v0
	s_waitcnt vmcnt(0)
	ds_write_b64 v54, v[55:56]
	s_waitcnt lgkmcnt(0)
	; wave barrier
	s_and_saveexec_b64 s[4:5], vcc
	s_cbranch_execz .LBB88_31
; %bb.28:
	v_add_u32_e32 v55, -1, v0
	v_add_u32_e32 v56, 0xd0, v53
	v_mov_b32_e32 v57, v53
	v_mov_b32_e32 v52, 0
	s_mov_b64 s[8:9], 0
	v_mov_b32_e32 v58, 0
.LBB88_29:                              ; =>This Inner Loop Header: Depth=1
	buffer_load_dword v61, v57, s[0:3], 0 offen offset:4
	buffer_load_dword v62, v57, s[0:3], 0 offen
	ds_read_b64 v[59:60], v56
	v_add_u32_e32 v55, 1, v55
	v_cmp_lt_u32_e32 vcc, 2, v55
	v_add_u32_e32 v56, 8, v56
	v_add_u32_e32 v57, 8, v57
	s_or_b64 s[8:9], vcc, s[8:9]
	s_waitcnt vmcnt(1) lgkmcnt(0)
	v_mul_f32_e32 v63, v60, v61
	v_mul_f32_e32 v61, v59, v61
	s_waitcnt vmcnt(0)
	v_fma_f32 v59, v59, v62, -v63
	v_fmac_f32_e32 v61, v60, v62
	v_add_f32_e32 v58, v58, v59
	v_add_f32_e32 v52, v52, v61
	s_andn2_b64 exec, exec, s[8:9]
	s_cbranch_execnz .LBB88_29
; %bb.30:
	s_or_b64 exec, exec, s[8:9]
	v_mov_b32_e32 v55, 0
	ds_read_b64 v[55:56], v55 offset:32
	s_waitcnt lgkmcnt(0)
	v_mul_f32_e32 v57, v52, v56
	v_mul_f32_e32 v56, v58, v56
	v_fma_f32 v57, v58, v55, -v57
	v_fmac_f32_e32 v56, v52, v55
	buffer_store_dword v57, off, s[0:3], 0 offset:32
	buffer_store_dword v56, off, s[0:3], 0 offset:36
.LBB88_31:
	s_or_b64 exec, exec, s[4:5]
	; wave barrier
	buffer_load_dword v55, off, s[0:3], 0 offset:40
	buffer_load_dword v56, off, s[0:3], 0 offset:44
	v_cmp_gt_u32_e32 vcc, 5, v0
	s_waitcnt vmcnt(0)
	ds_write_b64 v54, v[55:56]
	;; [unrolled: 49-line block ×19, first 2 shown]
	s_waitcnt lgkmcnt(0)
	; wave barrier
	s_and_saveexec_b64 s[4:5], vcc
	s_cbranch_execz .LBB88_103
; %bb.100:
	v_add_u32_e32 v55, -1, v0
	v_add_u32_e32 v56, 0xd0, v53
	v_mov_b32_e32 v57, v53
	v_mov_b32_e32 v52, 0
	s_mov_b64 s[8:9], 0
	v_mov_b32_e32 v58, 0
.LBB88_101:                             ; =>This Inner Loop Header: Depth=1
	buffer_load_dword v61, v57, s[0:3], 0 offen offset:4
	buffer_load_dword v62, v57, s[0:3], 0 offen
	ds_read_b64 v[59:60], v56
	v_add_u32_e32 v55, 1, v55
	v_cmp_lt_u32_e32 vcc, 20, v55
	v_add_u32_e32 v56, 8, v56
	v_add_u32_e32 v57, 8, v57
	s_or_b64 s[8:9], vcc, s[8:9]
	s_waitcnt vmcnt(1) lgkmcnt(0)
	v_mul_f32_e32 v63, v60, v61
	v_mul_f32_e32 v61, v59, v61
	s_waitcnt vmcnt(0)
	v_fma_f32 v59, v59, v62, -v63
	v_fmac_f32_e32 v61, v60, v62
	v_add_f32_e32 v58, v58, v59
	v_add_f32_e32 v52, v52, v61
	s_andn2_b64 exec, exec, s[8:9]
	s_cbranch_execnz .LBB88_101
; %bb.102:
	s_or_b64 exec, exec, s[8:9]
	v_mov_b32_e32 v55, 0
	ds_read_b64 v[55:56], v55 offset:176
	s_waitcnt lgkmcnt(0)
	v_mul_f32_e32 v57, v52, v56
	v_mul_f32_e32 v56, v58, v56
	v_fma_f32 v57, v58, v55, -v57
	v_fmac_f32_e32 v56, v52, v55
	buffer_store_dword v57, off, s[0:3], 0 offset:176
	buffer_store_dword v56, off, s[0:3], 0 offset:180
.LBB88_103:
	s_or_b64 exec, exec, s[4:5]
	; wave barrier
	buffer_load_dword v55, off, s[0:3], 0 offset:184
	buffer_load_dword v56, off, s[0:3], 0 offset:188
	v_cmp_gt_u32_e32 vcc, 23, v0
	s_waitcnt vmcnt(0)
	ds_write_b64 v54, v[55:56]
	s_waitcnt lgkmcnt(0)
	; wave barrier
	s_and_saveexec_b64 s[4:5], vcc
	s_cbranch_execz .LBB88_107
; %bb.104:
	v_add_u32_e32 v55, -1, v0
	v_add_u32_e32 v56, 0xd0, v53
	v_mov_b32_e32 v57, v53
	v_mov_b32_e32 v52, 0
	s_mov_b64 s[8:9], 0
	v_mov_b32_e32 v58, 0
.LBB88_105:                             ; =>This Inner Loop Header: Depth=1
	buffer_load_dword v61, v57, s[0:3], 0 offen offset:4
	buffer_load_dword v62, v57, s[0:3], 0 offen
	ds_read_b64 v[59:60], v56
	v_add_u32_e32 v55, 1, v55
	v_cmp_lt_u32_e32 vcc, 21, v55
	v_add_u32_e32 v56, 8, v56
	v_add_u32_e32 v57, 8, v57
	s_or_b64 s[8:9], vcc, s[8:9]
	s_waitcnt vmcnt(1) lgkmcnt(0)
	v_mul_f32_e32 v63, v60, v61
	v_mul_f32_e32 v61, v59, v61
	s_waitcnt vmcnt(0)
	v_fma_f32 v59, v59, v62, -v63
	v_fmac_f32_e32 v61, v60, v62
	v_add_f32_e32 v58, v58, v59
	v_add_f32_e32 v52, v52, v61
	s_andn2_b64 exec, exec, s[8:9]
	s_cbranch_execnz .LBB88_105
; %bb.106:
	s_or_b64 exec, exec, s[8:9]
	v_mov_b32_e32 v55, 0
	ds_read_b64 v[55:56], v55 offset:184
	s_waitcnt lgkmcnt(0)
	v_mul_f32_e32 v57, v52, v56
	v_mul_f32_e32 v56, v58, v56
	v_fma_f32 v57, v58, v55, -v57
	v_fmac_f32_e32 v56, v52, v55
	buffer_store_dword v57, off, s[0:3], 0 offset:184
	buffer_store_dword v56, off, s[0:3], 0 offset:188
.LBB88_107:
	s_or_b64 exec, exec, s[4:5]
	; wave barrier
	buffer_load_dword v55, off, s[0:3], 0 offset:192
	buffer_load_dword v56, off, s[0:3], 0 offset:196
	v_cmp_ne_u32_e32 vcc, 24, v0
	s_waitcnt vmcnt(0)
	ds_write_b64 v54, v[55:56]
	s_waitcnt lgkmcnt(0)
	; wave barrier
	s_and_saveexec_b64 s[4:5], vcc
	s_cbranch_execz .LBB88_111
; %bb.108:
	v_add_u32_e32 v54, 0xd0, v53
	v_mov_b32_e32 v52, 0
	s_mov_b64 s[8:9], 0
	v_mov_b32_e32 v55, 0
.LBB88_109:                             ; =>This Inner Loop Header: Depth=1
	buffer_load_dword v58, v53, s[0:3], 0 offen offset:4
	buffer_load_dword v59, v53, s[0:3], 0 offen
	ds_read_b64 v[56:57], v54
	v_add_u32_e32 v51, 1, v51
	v_cmp_lt_u32_e32 vcc, 22, v51
	v_add_u32_e32 v54, 8, v54
	v_add_u32_e32 v53, 8, v53
	s_or_b64 s[8:9], vcc, s[8:9]
	s_waitcnt vmcnt(1) lgkmcnt(0)
	v_mul_f32_e32 v60, v57, v58
	v_mul_f32_e32 v58, v56, v58
	s_waitcnt vmcnt(0)
	v_fma_f32 v56, v56, v59, -v60
	v_fmac_f32_e32 v58, v57, v59
	v_add_f32_e32 v55, v55, v56
	v_add_f32_e32 v52, v52, v58
	s_andn2_b64 exec, exec, s[8:9]
	s_cbranch_execnz .LBB88_109
; %bb.110:
	s_or_b64 exec, exec, s[8:9]
	v_mov_b32_e32 v51, 0
	ds_read_b64 v[53:54], v51 offset:192
	s_waitcnt lgkmcnt(0)
	v_mul_f32_e32 v51, v52, v54
	v_mul_f32_e32 v54, v55, v54
	v_fma_f32 v51, v55, v53, -v51
	v_fmac_f32_e32 v54, v52, v53
	buffer_store_dword v51, off, s[0:3], 0 offset:192
	buffer_store_dword v54, off, s[0:3], 0 offset:196
.LBB88_111:
	s_or_b64 exec, exec, s[4:5]
	s_mov_b64 s[8:9], -1
	; wave barrier
.LBB88_112:
	s_and_b64 vcc, exec, s[8:9]
	s_cbranch_vccz .LBB88_114
; %bb.113:
	s_lshl_b64 s[4:5], s[6:7], 2
	s_add_u32 s4, s10, s4
	s_addc_u32 s5, s11, s5
	v_mov_b32_e32 v51, 0
	global_load_dword v51, v51, s[4:5]
	s_waitcnt vmcnt(0)
	v_cmp_ne_u32_e32 vcc, 0, v51
	s_cbranch_vccz .LBB88_115
.LBB88_114:
	s_endpgm
.LBB88_115:
	v_mov_b32_e32 v51, 0xd0
	v_lshl_add_u32 v51, v0, 3, v51
	v_cmp_eq_u32_e32 vcc, 24, v0
	s_and_saveexec_b64 s[4:5], vcc
	s_cbranch_execz .LBB88_117
; %bb.116:
	buffer_load_dword v52, off, s[0:3], 0 offset:184
	buffer_load_dword v53, off, s[0:3], 0 offset:188
	v_mov_b32_e32 v54, 0
	buffer_store_dword v54, off, s[0:3], 0 offset:184
	buffer_store_dword v54, off, s[0:3], 0 offset:188
	s_waitcnt vmcnt(2)
	ds_write_b64 v51, v[52:53]
.LBB88_117:
	s_or_b64 exec, exec, s[4:5]
	s_waitcnt lgkmcnt(0)
	; wave barrier
	buffer_load_dword v55, off, s[0:3], 0 offset:196
	buffer_load_dword v56, off, s[0:3], 0 offset:192
	;; [unrolled: 1-line block ×4, first 2 shown]
	v_mov_b32_e32 v52, 0
	ds_read_b64 v[53:54], v52 offset:400
	v_cmp_lt_u32_e32 vcc, 22, v0
	s_waitcnt vmcnt(3) lgkmcnt(0)
	v_mul_f32_e32 v59, v53, v55
	v_mul_f32_e32 v55, v54, v55
	s_waitcnt vmcnt(2)
	v_fma_f32 v53, v53, v56, -v55
	v_fmac_f32_e32 v59, v54, v56
	v_add_f32_e32 v53, 0, v53
	v_add_f32_e32 v54, 0, v59
	s_waitcnt vmcnt(1)
	v_sub_f32_e32 v53, v57, v53
	s_waitcnt vmcnt(0)
	v_sub_f32_e32 v54, v58, v54
	buffer_store_dword v53, off, s[0:3], 0 offset:184
	buffer_store_dword v54, off, s[0:3], 0 offset:188
	s_and_saveexec_b64 s[4:5], vcc
	s_cbranch_execz .LBB88_119
; %bb.118:
	buffer_load_dword v53, off, s[0:3], 0 offset:176
	buffer_load_dword v54, off, s[0:3], 0 offset:180
	s_waitcnt vmcnt(0)
	ds_write_b64 v51, v[53:54]
	buffer_store_dword v52, off, s[0:3], 0 offset:176
	buffer_store_dword v52, off, s[0:3], 0 offset:180
.LBB88_119:
	s_or_b64 exec, exec, s[4:5]
	s_waitcnt lgkmcnt(0)
	; wave barrier
	buffer_load_dword v56, off, s[0:3], 0 offset:188
	buffer_load_dword v57, off, s[0:3], 0 offset:196
	;; [unrolled: 1-line block ×6, first 2 shown]
	ds_read2_b64 v[52:55], v52 offset0:49 offset1:50
	v_cmp_lt_u32_e32 vcc, 21, v0
	s_waitcnt vmcnt(5) lgkmcnt(0)
	v_mul_f32_e32 v62, v52, v56
	v_mul_f32_e32 v56, v53, v56
	s_waitcnt vmcnt(4)
	v_mul_f32_e32 v63, v54, v57
	v_mul_f32_e32 v57, v55, v57
	s_waitcnt vmcnt(3)
	v_fma_f32 v52, v52, v58, -v56
	v_fmac_f32_e32 v62, v53, v58
	s_waitcnt vmcnt(2)
	v_fma_f32 v53, v54, v59, -v57
	v_add_f32_e32 v52, 0, v52
	v_fmac_f32_e32 v63, v55, v59
	v_add_f32_e32 v54, 0, v62
	v_add_f32_e32 v52, v52, v53
	v_add_f32_e32 v54, v54, v63
	s_waitcnt vmcnt(1)
	v_sub_f32_e32 v52, v60, v52
	s_waitcnt vmcnt(0)
	v_sub_f32_e32 v53, v61, v54
	buffer_store_dword v52, off, s[0:3], 0 offset:176
	buffer_store_dword v53, off, s[0:3], 0 offset:180
	s_and_saveexec_b64 s[4:5], vcc
	s_cbranch_execz .LBB88_121
; %bb.120:
	buffer_load_dword v52, off, s[0:3], 0 offset:168
	buffer_load_dword v53, off, s[0:3], 0 offset:172
	v_mov_b32_e32 v54, 0
	buffer_store_dword v54, off, s[0:3], 0 offset:168
	buffer_store_dword v54, off, s[0:3], 0 offset:172
	s_waitcnt vmcnt(2)
	ds_write_b64 v51, v[52:53]
.LBB88_121:
	s_or_b64 exec, exec, s[4:5]
	s_waitcnt lgkmcnt(0)
	; wave barrier
	buffer_load_dword v59, off, s[0:3], 0 offset:180
	buffer_load_dword v60, off, s[0:3], 0 offset:188
	;; [unrolled: 1-line block ×8, first 2 shown]
	v_mov_b32_e32 v52, 0
	ds_read_b128 v[53:56], v52 offset:384
	ds_read_b64 v[57:58], v52 offset:400
	v_cmp_lt_u32_e32 vcc, 20, v0
	s_waitcnt vmcnt(7) lgkmcnt(1)
	v_mul_f32_e32 v67, v53, v59
	v_mul_f32_e32 v59, v54, v59
	s_waitcnt vmcnt(6)
	v_mul_f32_e32 v68, v55, v60
	v_mul_f32_e32 v60, v56, v60
	s_waitcnt vmcnt(4)
	v_fma_f32 v53, v53, v62, -v59
	s_waitcnt lgkmcnt(0)
	v_mul_f32_e32 v69, v57, v61
	v_mul_f32_e32 v61, v58, v61
	v_fmac_f32_e32 v67, v54, v62
	s_waitcnt vmcnt(3)
	v_fma_f32 v54, v55, v63, -v60
	v_add_f32_e32 v53, 0, v53
	v_fmac_f32_e32 v68, v56, v63
	s_waitcnt vmcnt(2)
	v_fma_f32 v55, v57, v64, -v61
	v_add_f32_e32 v56, 0, v67
	v_add_f32_e32 v53, v53, v54
	v_fmac_f32_e32 v69, v58, v64
	v_add_f32_e32 v56, v56, v68
	v_add_f32_e32 v53, v53, v55
	;; [unrolled: 1-line block ×3, first 2 shown]
	s_waitcnt vmcnt(1)
	v_sub_f32_e32 v53, v65, v53
	s_waitcnt vmcnt(0)
	v_sub_f32_e32 v54, v66, v54
	buffer_store_dword v53, off, s[0:3], 0 offset:168
	buffer_store_dword v54, off, s[0:3], 0 offset:172
	s_and_saveexec_b64 s[4:5], vcc
	s_cbranch_execz .LBB88_123
; %bb.122:
	buffer_load_dword v53, off, s[0:3], 0 offset:160
	buffer_load_dword v54, off, s[0:3], 0 offset:164
	s_waitcnt vmcnt(0)
	ds_write_b64 v51, v[53:54]
	buffer_store_dword v52, off, s[0:3], 0 offset:160
	buffer_store_dword v52, off, s[0:3], 0 offset:164
.LBB88_123:
	s_or_b64 exec, exec, s[4:5]
	s_waitcnt lgkmcnt(0)
	; wave barrier
	buffer_load_dword v61, off, s[0:3], 0 offset:172
	buffer_load_dword v62, off, s[0:3], 0 offset:180
	;; [unrolled: 1-line block ×10, first 2 shown]
	ds_read2_b64 v[53:56], v52 offset0:47 offset1:48
	ds_read2_b64 v[57:60], v52 offset0:49 offset1:50
	v_cmp_lt_u32_e32 vcc, 19, v0
	s_waitcnt vmcnt(9) lgkmcnt(1)
	v_mul_f32_e32 v52, v53, v61
	v_mul_f32_e32 v61, v54, v61
	s_waitcnt vmcnt(8)
	v_mul_f32_e32 v71, v55, v62
	v_mul_f32_e32 v62, v56, v62
	s_waitcnt vmcnt(5)
	v_fma_f32 v53, v53, v65, -v61
	s_waitcnt lgkmcnt(0)
	v_mul_f32_e32 v72, v57, v63
	v_mul_f32_e32 v63, v58, v63
	v_fmac_f32_e32 v52, v54, v65
	s_waitcnt vmcnt(4)
	v_fma_f32 v54, v55, v66, -v62
	v_add_f32_e32 v53, 0, v53
	v_mul_f32_e32 v73, v59, v64
	v_mul_f32_e32 v64, v60, v64
	v_fmac_f32_e32 v71, v56, v66
	s_waitcnt vmcnt(3)
	v_fma_f32 v55, v57, v67, -v63
	v_add_f32_e32 v52, 0, v52
	v_add_f32_e32 v53, v53, v54
	v_fmac_f32_e32 v72, v58, v67
	s_waitcnt vmcnt(2)
	v_fma_f32 v56, v59, v68, -v64
	v_add_f32_e32 v52, v52, v71
	v_add_f32_e32 v53, v53, v55
	v_fmac_f32_e32 v73, v60, v68
	v_add_f32_e32 v52, v52, v72
	v_add_f32_e32 v53, v53, v56
	v_add_f32_e32 v52, v52, v73
	s_waitcnt vmcnt(1)
	v_sub_f32_e32 v53, v69, v53
	s_waitcnt vmcnt(0)
	v_sub_f32_e32 v52, v70, v52
	buffer_store_dword v53, off, s[0:3], 0 offset:160
	buffer_store_dword v52, off, s[0:3], 0 offset:164
	s_and_saveexec_b64 s[4:5], vcc
	s_cbranch_execz .LBB88_125
; %bb.124:
	buffer_load_dword v52, off, s[0:3], 0 offset:152
	buffer_load_dword v53, off, s[0:3], 0 offset:156
	v_mov_b32_e32 v54, 0
	buffer_store_dword v54, off, s[0:3], 0 offset:152
	buffer_store_dword v54, off, s[0:3], 0 offset:156
	s_waitcnt vmcnt(2)
	ds_write_b64 v51, v[52:53]
.LBB88_125:
	s_or_b64 exec, exec, s[4:5]
	s_waitcnt lgkmcnt(0)
	; wave barrier
	buffer_load_dword v63, off, s[0:3], 0 offset:164
	buffer_load_dword v64, off, s[0:3], 0 offset:172
	;; [unrolled: 1-line block ×12, first 2 shown]
	v_mov_b32_e32 v52, 0
	ds_read_b128 v[53:56], v52 offset:368
	ds_read_b128 v[57:60], v52 offset:384
	ds_read_b64 v[61:62], v52 offset:400
	v_cmp_lt_u32_e32 vcc, 18, v0
	s_waitcnt vmcnt(11) lgkmcnt(2)
	v_mul_f32_e32 v75, v53, v63
	v_mul_f32_e32 v63, v54, v63
	s_waitcnt vmcnt(10)
	v_mul_f32_e32 v76, v55, v64
	v_mul_f32_e32 v64, v56, v64
	s_waitcnt vmcnt(9) lgkmcnt(1)
	v_mul_f32_e32 v77, v57, v65
	s_waitcnt vmcnt(6)
	v_fma_f32 v53, v53, v68, -v63
	v_mul_f32_e32 v65, v58, v65
	v_fmac_f32_e32 v75, v54, v68
	s_waitcnt vmcnt(5)
	v_fma_f32 v54, v55, v69, -v64
	v_add_f32_e32 v53, 0, v53
	v_mul_f32_e32 v78, v59, v66
	v_mul_f32_e32 v66, v60, v66
	v_fmac_f32_e32 v76, v56, v69
	s_waitcnt vmcnt(4)
	v_fmac_f32_e32 v77, v58, v70
	v_fma_f32 v55, v57, v70, -v65
	v_add_f32_e32 v58, 0, v75
	v_add_f32_e32 v53, v53, v54
	s_waitcnt lgkmcnt(0)
	v_mul_f32_e32 v79, v61, v67
	v_mul_f32_e32 v67, v62, v67
	s_waitcnt vmcnt(3)
	v_fma_f32 v56, v59, v71, -v66
	v_add_f32_e32 v58, v58, v76
	v_add_f32_e32 v53, v53, v55
	v_fmac_f32_e32 v78, v60, v71
	s_waitcnt vmcnt(2)
	v_fma_f32 v57, v61, v72, -v67
	v_add_f32_e32 v54, v58, v77
	v_add_f32_e32 v53, v53, v56
	v_fmac_f32_e32 v79, v62, v72
	v_add_f32_e32 v54, v54, v78
	v_add_f32_e32 v53, v53, v57
	;; [unrolled: 1-line block ×3, first 2 shown]
	s_waitcnt vmcnt(1)
	v_sub_f32_e32 v53, v73, v53
	s_waitcnt vmcnt(0)
	v_sub_f32_e32 v54, v74, v54
	buffer_store_dword v53, off, s[0:3], 0 offset:152
	buffer_store_dword v54, off, s[0:3], 0 offset:156
	s_and_saveexec_b64 s[4:5], vcc
	s_cbranch_execz .LBB88_127
; %bb.126:
	buffer_load_dword v53, off, s[0:3], 0 offset:144
	buffer_load_dword v54, off, s[0:3], 0 offset:148
	s_waitcnt vmcnt(0)
	ds_write_b64 v51, v[53:54]
	buffer_store_dword v52, off, s[0:3], 0 offset:144
	buffer_store_dword v52, off, s[0:3], 0 offset:148
.LBB88_127:
	s_or_b64 exec, exec, s[4:5]
	s_waitcnt lgkmcnt(0)
	; wave barrier
	ds_read2_b64 v[53:56], v52 offset0:45 offset1:46
	buffer_load_dword v65, off, s[0:3], 0 offset:144
	buffer_load_dword v66, off, s[0:3], 0 offset:148
	buffer_load_dword v67, off, s[0:3], 0 offset:152
	buffer_load_dword v68, off, s[0:3], 0 offset:156
	buffer_load_dword v69, off, s[0:3], 0 offset:160
	buffer_load_dword v70, off, s[0:3], 0 offset:164
	buffer_load_dword v71, off, s[0:3], 0 offset:168
	buffer_load_dword v72, off, s[0:3], 0 offset:172
	buffer_load_dword v73, off, s[0:3], 0 offset:176
	buffer_load_dword v74, off, s[0:3], 0 offset:180
	buffer_load_dword v75, off, s[0:3], 0 offset:184
	buffer_load_dword v76, off, s[0:3], 0 offset:188
	buffer_load_dword v77, off, s[0:3], 0 offset:192
	buffer_load_dword v78, off, s[0:3], 0 offset:196
	v_cmp_lt_u32_e32 vcc, 17, v0
	s_waitcnt vmcnt(10) lgkmcnt(0)
	v_mul_f32_e32 v57, v53, v68
	v_fmac_f32_e32 v57, v54, v67
	s_waitcnt vmcnt(8)
	v_mul_f32_e32 v58, v55, v70
	v_add_f32_e32 v57, 0, v57
	v_fmac_f32_e32 v58, v56, v69
	v_add_f32_e32 v61, v57, v58
	ds_read2_b64 v[57:60], v52 offset0:47 offset1:48
	v_mul_f32_e32 v54, v54, v68
	v_fma_f32 v53, v53, v67, -v54
	v_mul_f32_e32 v54, v56, v70
	v_add_f32_e32 v53, 0, v53
	s_waitcnt vmcnt(6) lgkmcnt(0)
	v_mul_f32_e32 v62, v57, v72
	v_fmac_f32_e32 v62, v58, v71
	v_add_f32_e32 v61, v61, v62
	s_waitcnt vmcnt(4)
	v_mul_f32_e32 v62, v59, v74
	v_fmac_f32_e32 v62, v60, v73
	v_add_f32_e32 v79, v61, v62
	ds_read2_b64 v[61:64], v52 offset0:49 offset1:50
	v_fma_f32 v54, v55, v69, -v54
	v_add_f32_e32 v53, v53, v54
	v_mul_f32_e32 v54, v58, v72
	v_fma_f32 v54, v57, v71, -v54
	v_add_f32_e32 v53, v53, v54
	v_mul_f32_e32 v54, v60, v74
	v_fma_f32 v54, v59, v73, -v54
	v_add_f32_e32 v53, v53, v54
	s_waitcnt vmcnt(2) lgkmcnt(0)
	v_mul_f32_e32 v54, v62, v76
	v_mul_f32_e32 v52, v61, v76
	v_fma_f32 v54, v61, v75, -v54
	v_fmac_f32_e32 v52, v62, v75
	v_add_f32_e32 v53, v53, v54
	s_waitcnt vmcnt(0)
	v_mul_f32_e32 v54, v64, v78
	v_add_f32_e32 v52, v79, v52
	v_mul_f32_e32 v79, v63, v78
	v_fma_f32 v54, v63, v77, -v54
	v_fmac_f32_e32 v79, v64, v77
	v_add_f32_e32 v53, v53, v54
	v_add_f32_e32 v52, v52, v79
	v_sub_f32_e32 v53, v65, v53
	v_sub_f32_e32 v52, v66, v52
	buffer_store_dword v53, off, s[0:3], 0 offset:144
	buffer_store_dword v52, off, s[0:3], 0 offset:148
	s_and_saveexec_b64 s[4:5], vcc
	s_cbranch_execz .LBB88_129
; %bb.128:
	buffer_load_dword v52, off, s[0:3], 0 offset:136
	buffer_load_dword v53, off, s[0:3], 0 offset:140
	v_mov_b32_e32 v54, 0
	buffer_store_dword v54, off, s[0:3], 0 offset:136
	buffer_store_dword v54, off, s[0:3], 0 offset:140
	s_waitcnt vmcnt(2)
	ds_write_b64 v51, v[52:53]
.LBB88_129:
	s_or_b64 exec, exec, s[4:5]
	s_waitcnt lgkmcnt(0)
	; wave barrier
	buffer_load_dword v67, off, s[0:3], 0 offset:148
	buffer_load_dword v68, off, s[0:3], 0 offset:156
	buffer_load_dword v69, off, s[0:3], 0 offset:164
	buffer_load_dword v70, off, s[0:3], 0 offset:172
	buffer_load_dword v71, off, s[0:3], 0 offset:180
	buffer_load_dword v72, off, s[0:3], 0 offset:188
	buffer_load_dword v73, off, s[0:3], 0 offset:196
	buffer_load_dword v74, off, s[0:3], 0 offset:144
	buffer_load_dword v75, off, s[0:3], 0 offset:152
	buffer_load_dword v76, off, s[0:3], 0 offset:160
	buffer_load_dword v77, off, s[0:3], 0 offset:168
	buffer_load_dword v78, off, s[0:3], 0 offset:176
	buffer_load_dword v79, off, s[0:3], 0 offset:184
	buffer_load_dword v80, off, s[0:3], 0 offset:192
	buffer_load_dword v81, off, s[0:3], 0 offset:136
	buffer_load_dword v82, off, s[0:3], 0 offset:140
	v_mov_b32_e32 v52, 0
	ds_read_b128 v[53:56], v52 offset:352
	ds_read_b128 v[57:60], v52 offset:368
	;; [unrolled: 1-line block ×3, first 2 shown]
	ds_read_b64 v[65:66], v52 offset:400
	v_cmp_lt_u32_e32 vcc, 16, v0
	s_waitcnt vmcnt(15) lgkmcnt(3)
	v_mul_f32_e32 v83, v53, v67
	v_mul_f32_e32 v67, v54, v67
	s_waitcnt vmcnt(14)
	v_mul_f32_e32 v84, v55, v68
	v_mul_f32_e32 v68, v56, v68
	s_waitcnt vmcnt(13) lgkmcnt(2)
	v_mul_f32_e32 v85, v57, v69
	s_waitcnt vmcnt(12)
	v_mul_f32_e32 v86, v59, v70
	v_mul_f32_e32 v69, v58, v69
	s_waitcnt vmcnt(8)
	v_fma_f32 v53, v53, v74, -v67
	v_fmac_f32_e32 v83, v54, v74
	s_waitcnt vmcnt(7)
	v_fma_f32 v54, v55, v75, -v68
	v_add_f32_e32 v53, 0, v53
	v_mul_f32_e32 v70, v60, v70
	v_fmac_f32_e32 v84, v56, v75
	s_waitcnt vmcnt(5)
	v_fmac_f32_e32 v86, v60, v77
	v_fma_f32 v55, v57, v76, -v69
	v_add_f32_e32 v60, 0, v83
	v_add_f32_e32 v53, v53, v54
	s_waitcnt lgkmcnt(1)
	v_mul_f32_e32 v87, v61, v71
	v_mul_f32_e32 v71, v62, v71
	v_fmac_f32_e32 v85, v58, v76
	v_fma_f32 v56, v59, v77, -v70
	v_add_f32_e32 v60, v60, v84
	v_add_f32_e32 v53, v53, v55
	v_mul_f32_e32 v88, v63, v72
	v_mul_f32_e32 v72, v64, v72
	s_waitcnt vmcnt(4)
	v_fma_f32 v57, v61, v78, -v71
	v_add_f32_e32 v54, v60, v85
	v_add_f32_e32 v53, v53, v56
	s_waitcnt lgkmcnt(0)
	v_mul_f32_e32 v89, v65, v73
	v_mul_f32_e32 v73, v66, v73
	v_fmac_f32_e32 v87, v62, v78
	s_waitcnt vmcnt(3)
	v_fma_f32 v58, v63, v79, -v72
	v_add_f32_e32 v54, v54, v86
	v_add_f32_e32 v53, v53, v57
	v_fmac_f32_e32 v88, v64, v79
	s_waitcnt vmcnt(2)
	v_fma_f32 v59, v65, v80, -v73
	v_add_f32_e32 v54, v54, v87
	v_add_f32_e32 v53, v53, v58
	v_fmac_f32_e32 v89, v66, v80
	v_add_f32_e32 v54, v54, v88
	v_add_f32_e32 v53, v53, v59
	;; [unrolled: 1-line block ×3, first 2 shown]
	s_waitcnt vmcnt(1)
	v_sub_f32_e32 v53, v81, v53
	s_waitcnt vmcnt(0)
	v_sub_f32_e32 v54, v82, v54
	buffer_store_dword v53, off, s[0:3], 0 offset:136
	buffer_store_dword v54, off, s[0:3], 0 offset:140
	s_and_saveexec_b64 s[4:5], vcc
	s_cbranch_execz .LBB88_131
; %bb.130:
	buffer_load_dword v53, off, s[0:3], 0 offset:128
	buffer_load_dword v54, off, s[0:3], 0 offset:132
	s_waitcnt vmcnt(0)
	ds_write_b64 v51, v[53:54]
	buffer_store_dword v52, off, s[0:3], 0 offset:128
	buffer_store_dword v52, off, s[0:3], 0 offset:132
.LBB88_131:
	s_or_b64 exec, exec, s[4:5]
	s_waitcnt lgkmcnt(0)
	; wave barrier
	buffer_load_dword v69, off, s[0:3], 0 offset:140
	buffer_load_dword v70, off, s[0:3], 0 offset:148
	;; [unrolled: 1-line block ×18, first 2 shown]
	ds_read2_b64 v[53:56], v52 offset0:43 offset1:44
	ds_read2_b64 v[57:60], v52 offset0:45 offset1:46
	;; [unrolled: 1-line block ×4, first 2 shown]
	v_cmp_lt_u32_e32 vcc, 15, v0
	s_waitcnt vmcnt(17) lgkmcnt(3)
	v_mul_f32_e32 v52, v53, v69
	v_mul_f32_e32 v69, v54, v69
	s_waitcnt vmcnt(16)
	v_mul_f32_e32 v87, v55, v70
	v_mul_f32_e32 v70, v56, v70
	s_waitcnt vmcnt(15) lgkmcnt(2)
	v_mul_f32_e32 v88, v57, v71
	v_mul_f32_e32 v71, v58, v71
	s_waitcnt vmcnt(14)
	v_mul_f32_e32 v89, v59, v72
	v_mul_f32_e32 v72, v60, v72
	s_waitcnt vmcnt(9)
	v_fma_f32 v53, v53, v77, -v69
	v_fmac_f32_e32 v52, v54, v77
	s_waitcnt vmcnt(8)
	v_fma_f32 v54, v55, v78, -v70
	v_add_f32_e32 v53, 0, v53
	v_fmac_f32_e32 v87, v56, v78
	s_waitcnt vmcnt(7)
	v_fma_f32 v55, v57, v79, -v71
	v_add_f32_e32 v52, 0, v52
	v_add_f32_e32 v53, v53, v54
	s_waitcnt lgkmcnt(1)
	v_mul_f32_e32 v90, v61, v73
	v_mul_f32_e32 v73, v62, v73
	v_fmac_f32_e32 v88, v58, v79
	s_waitcnt vmcnt(6)
	v_fma_f32 v56, v59, v80, -v72
	v_add_f32_e32 v52, v52, v87
	v_add_f32_e32 v53, v53, v55
	v_mul_f32_e32 v91, v63, v74
	v_mul_f32_e32 v74, v64, v74
	v_fmac_f32_e32 v89, v60, v80
	s_waitcnt vmcnt(5)
	v_fma_f32 v57, v61, v81, -v73
	v_add_f32_e32 v52, v52, v88
	v_add_f32_e32 v53, v53, v56
	s_waitcnt lgkmcnt(0)
	v_mul_f32_e32 v92, v65, v75
	v_mul_f32_e32 v75, v66, v75
	v_fmac_f32_e32 v90, v62, v81
	s_waitcnt vmcnt(4)
	v_fma_f32 v58, v63, v82, -v74
	v_add_f32_e32 v52, v52, v89
	v_add_f32_e32 v53, v53, v57
	v_mul_f32_e32 v93, v67, v76
	v_mul_f32_e32 v76, v68, v76
	v_fmac_f32_e32 v91, v64, v82
	s_waitcnt vmcnt(3)
	v_fma_f32 v59, v65, v83, -v75
	v_add_f32_e32 v52, v52, v90
	v_add_f32_e32 v53, v53, v58
	v_fmac_f32_e32 v92, v66, v83
	s_waitcnt vmcnt(2)
	v_fma_f32 v60, v67, v84, -v76
	v_add_f32_e32 v52, v52, v91
	v_add_f32_e32 v53, v53, v59
	v_fmac_f32_e32 v93, v68, v84
	v_add_f32_e32 v52, v52, v92
	v_add_f32_e32 v53, v53, v60
	;; [unrolled: 1-line block ×3, first 2 shown]
	s_waitcnt vmcnt(1)
	v_sub_f32_e32 v53, v85, v53
	s_waitcnt vmcnt(0)
	v_sub_f32_e32 v52, v86, v52
	buffer_store_dword v53, off, s[0:3], 0 offset:128
	buffer_store_dword v52, off, s[0:3], 0 offset:132
	s_and_saveexec_b64 s[4:5], vcc
	s_cbranch_execz .LBB88_133
; %bb.132:
	buffer_load_dword v52, off, s[0:3], 0 offset:120
	buffer_load_dword v53, off, s[0:3], 0 offset:124
	v_mov_b32_e32 v54, 0
	buffer_store_dword v54, off, s[0:3], 0 offset:120
	buffer_store_dword v54, off, s[0:3], 0 offset:124
	s_waitcnt vmcnt(2)
	ds_write_b64 v51, v[52:53]
.LBB88_133:
	s_or_b64 exec, exec, s[4:5]
	s_waitcnt lgkmcnt(0)
	; wave barrier
	buffer_load_dword v71, off, s[0:3], 0 offset:132
	buffer_load_dword v72, off, s[0:3], 0 offset:140
	;; [unrolled: 1-line block ×20, first 2 shown]
	v_mov_b32_e32 v52, 0
	ds_read_b128 v[53:56], v52 offset:336
	ds_read_b128 v[57:60], v52 offset:352
	;; [unrolled: 1-line block ×4, first 2 shown]
	ds_read_b64 v[69:70], v52 offset:400
	v_cmp_lt_u32_e32 vcc, 14, v0
	s_waitcnt vmcnt(19) lgkmcnt(4)
	v_mul_f32_e32 v91, v53, v71
	v_mul_f32_e32 v71, v54, v71
	s_waitcnt vmcnt(18)
	v_mul_f32_e32 v92, v55, v72
	v_mul_f32_e32 v72, v56, v72
	s_waitcnt vmcnt(17) lgkmcnt(3)
	v_mul_f32_e32 v93, v57, v73
	s_waitcnt vmcnt(15) lgkmcnt(2)
	v_mul_f32_e32 v95, v61, v75
	v_mul_f32_e32 v73, v58, v73
	;; [unrolled: 1-line block ×4, first 2 shown]
	s_waitcnt vmcnt(10)
	v_fma_f32 v53, v53, v80, -v71
	v_fmac_f32_e32 v91, v54, v80
	s_waitcnt vmcnt(9)
	v_fma_f32 v54, v55, v81, -v72
	v_add_f32_e32 v53, 0, v53
	v_mul_f32_e32 v75, v62, v75
	v_fmac_f32_e32 v92, v56, v81
	s_waitcnt vmcnt(6)
	v_fmac_f32_e32 v95, v62, v84
	v_fma_f32 v55, v57, v82, -v73
	v_add_f32_e32 v62, 0, v91
	v_add_f32_e32 v53, v53, v54
	v_fmac_f32_e32 v93, v58, v82
	v_fma_f32 v56, v59, v83, -v74
	v_add_f32_e32 v62, v62, v92
	v_add_f32_e32 v53, v53, v55
	v_mul_f32_e32 v96, v63, v76
	v_mul_f32_e32 v76, v64, v76
	v_fmac_f32_e32 v94, v60, v83
	v_fma_f32 v57, v61, v84, -v75
	v_add_f32_e32 v54, v62, v93
	v_add_f32_e32 v53, v53, v56
	s_waitcnt lgkmcnt(1)
	v_mul_f32_e32 v97, v65, v77
	v_mul_f32_e32 v77, v66, v77
	s_waitcnt vmcnt(5)
	v_fma_f32 v58, v63, v85, -v76
	v_add_f32_e32 v54, v54, v94
	v_add_f32_e32 v53, v53, v57
	v_mul_f32_e32 v98, v67, v78
	v_mul_f32_e32 v78, v68, v78
	v_fmac_f32_e32 v96, v64, v85
	s_waitcnt vmcnt(4)
	v_fma_f32 v59, v65, v86, -v77
	v_add_f32_e32 v54, v54, v95
	v_add_f32_e32 v53, v53, v58
	s_waitcnt lgkmcnt(0)
	v_mul_f32_e32 v99, v69, v79
	v_mul_f32_e32 v79, v70, v79
	v_fmac_f32_e32 v97, v66, v86
	s_waitcnt vmcnt(3)
	v_fma_f32 v60, v67, v87, -v78
	v_add_f32_e32 v54, v54, v96
	v_add_f32_e32 v53, v53, v59
	v_fmac_f32_e32 v98, v68, v87
	s_waitcnt vmcnt(2)
	v_fma_f32 v61, v69, v88, -v79
	v_add_f32_e32 v54, v54, v97
	v_add_f32_e32 v53, v53, v60
	v_fmac_f32_e32 v99, v70, v88
	v_add_f32_e32 v54, v54, v98
	v_add_f32_e32 v53, v53, v61
	;; [unrolled: 1-line block ×3, first 2 shown]
	s_waitcnt vmcnt(1)
	v_sub_f32_e32 v53, v89, v53
	s_waitcnt vmcnt(0)
	v_sub_f32_e32 v54, v90, v54
	buffer_store_dword v53, off, s[0:3], 0 offset:120
	buffer_store_dword v54, off, s[0:3], 0 offset:124
	s_and_saveexec_b64 s[4:5], vcc
	s_cbranch_execz .LBB88_135
; %bb.134:
	buffer_load_dword v53, off, s[0:3], 0 offset:112
	buffer_load_dword v54, off, s[0:3], 0 offset:116
	s_waitcnt vmcnt(0)
	ds_write_b64 v51, v[53:54]
	buffer_store_dword v52, off, s[0:3], 0 offset:112
	buffer_store_dword v52, off, s[0:3], 0 offset:116
.LBB88_135:
	s_or_b64 exec, exec, s[4:5]
	s_waitcnt lgkmcnt(0)
	; wave barrier
	buffer_load_dword v73, off, s[0:3], 0 offset:124
	buffer_load_dword v74, off, s[0:3], 0 offset:132
	;; [unrolled: 1-line block ×22, first 2 shown]
	ds_read2_b64 v[53:56], v52 offset0:41 offset1:42
	ds_read2_b64 v[57:60], v52 offset0:43 offset1:44
	;; [unrolled: 1-line block ×5, first 2 shown]
	v_cmp_lt_u32_e32 vcc, 13, v0
	s_waitcnt vmcnt(21) lgkmcnt(4)
	v_mul_f32_e32 v52, v53, v73
	v_mul_f32_e32 v73, v54, v73
	s_waitcnt vmcnt(20)
	v_mul_f32_e32 v95, v55, v74
	v_mul_f32_e32 v74, v56, v74
	s_waitcnt vmcnt(19) lgkmcnt(3)
	v_mul_f32_e32 v96, v57, v75
	v_mul_f32_e32 v75, v58, v75
	s_waitcnt vmcnt(18)
	v_mul_f32_e32 v97, v59, v76
	v_mul_f32_e32 v76, v60, v76
	s_waitcnt vmcnt(17) lgkmcnt(2)
	v_mul_f32_e32 v98, v61, v77
	v_mul_f32_e32 v77, v62, v77
	s_waitcnt vmcnt(11)
	v_fma_f32 v53, v53, v83, -v73
	v_fmac_f32_e32 v52, v54, v83
	s_waitcnt vmcnt(10)
	v_fma_f32 v54, v55, v84, -v74
	v_add_f32_e32 v53, 0, v53
	v_fmac_f32_e32 v95, v56, v84
	s_waitcnt vmcnt(9)
	v_fma_f32 v55, v57, v85, -v75
	v_add_f32_e32 v52, 0, v52
	v_add_f32_e32 v53, v53, v54
	v_fmac_f32_e32 v96, v58, v85
	s_waitcnt vmcnt(8)
	v_fma_f32 v56, v59, v86, -v76
	v_add_f32_e32 v52, v52, v95
	v_add_f32_e32 v53, v53, v55
	v_mul_f32_e32 v99, v63, v78
	v_mul_f32_e32 v78, v64, v78
	v_fmac_f32_e32 v97, v60, v86
	s_waitcnt vmcnt(7)
	v_fma_f32 v57, v61, v87, -v77
	v_add_f32_e32 v52, v52, v96
	v_add_f32_e32 v53, v53, v56
	s_waitcnt lgkmcnt(1)
	v_mul_f32_e32 v100, v65, v79
	v_mul_f32_e32 v79, v66, v79
	v_fmac_f32_e32 v98, v62, v87
	s_waitcnt vmcnt(6)
	v_fma_f32 v58, v63, v88, -v78
	v_add_f32_e32 v52, v52, v97
	v_add_f32_e32 v53, v53, v57
	v_mul_f32_e32 v101, v67, v80
	v_mul_f32_e32 v80, v68, v80
	v_fmac_f32_e32 v99, v64, v88
	s_waitcnt vmcnt(5)
	v_fma_f32 v59, v65, v89, -v79
	v_add_f32_e32 v52, v52, v98
	v_add_f32_e32 v53, v53, v58
	s_waitcnt lgkmcnt(0)
	v_mul_f32_e32 v102, v69, v81
	v_mul_f32_e32 v81, v70, v81
	v_fmac_f32_e32 v100, v66, v89
	s_waitcnt vmcnt(4)
	v_fma_f32 v60, v67, v90, -v80
	v_add_f32_e32 v52, v52, v99
	v_add_f32_e32 v53, v53, v59
	v_mul_f32_e32 v103, v71, v82
	v_mul_f32_e32 v82, v72, v82
	v_fmac_f32_e32 v101, v68, v90
	s_waitcnt vmcnt(3)
	v_fma_f32 v61, v69, v91, -v81
	v_add_f32_e32 v52, v52, v100
	v_add_f32_e32 v53, v53, v60
	v_fmac_f32_e32 v102, v70, v91
	s_waitcnt vmcnt(2)
	v_fma_f32 v62, v71, v92, -v82
	v_add_f32_e32 v52, v52, v101
	v_add_f32_e32 v53, v53, v61
	v_fmac_f32_e32 v103, v72, v92
	v_add_f32_e32 v52, v52, v102
	v_add_f32_e32 v53, v53, v62
	;; [unrolled: 1-line block ×3, first 2 shown]
	s_waitcnt vmcnt(1)
	v_sub_f32_e32 v53, v93, v53
	s_waitcnt vmcnt(0)
	v_sub_f32_e32 v52, v94, v52
	buffer_store_dword v53, off, s[0:3], 0 offset:112
	buffer_store_dword v52, off, s[0:3], 0 offset:116
	s_and_saveexec_b64 s[4:5], vcc
	s_cbranch_execz .LBB88_137
; %bb.136:
	buffer_load_dword v52, off, s[0:3], 0 offset:104
	buffer_load_dword v53, off, s[0:3], 0 offset:108
	v_mov_b32_e32 v54, 0
	buffer_store_dword v54, off, s[0:3], 0 offset:104
	buffer_store_dword v54, off, s[0:3], 0 offset:108
	s_waitcnt vmcnt(2)
	ds_write_b64 v51, v[52:53]
.LBB88_137:
	s_or_b64 exec, exec, s[4:5]
	s_waitcnt lgkmcnt(0)
	; wave barrier
	buffer_load_dword v75, off, s[0:3], 0 offset:116
	buffer_load_dword v76, off, s[0:3], 0 offset:124
	;; [unrolled: 1-line block ×24, first 2 shown]
	v_mov_b32_e32 v52, 0
	ds_read_b128 v[53:56], v52 offset:320
	ds_read_b128 v[57:60], v52 offset:336
	;; [unrolled: 1-line block ×5, first 2 shown]
	ds_read_b64 v[73:74], v52 offset:400
	v_cmp_lt_u32_e32 vcc, 12, v0
	s_waitcnt vmcnt(23) lgkmcnt(5)
	v_mul_f32_e32 v99, v53, v75
	v_mul_f32_e32 v75, v54, v75
	s_waitcnt vmcnt(22)
	v_mul_f32_e32 v100, v55, v76
	v_mul_f32_e32 v76, v56, v76
	s_waitcnt vmcnt(21) lgkmcnt(4)
	v_mul_f32_e32 v101, v57, v77
	v_mul_f32_e32 v77, v58, v77
	s_waitcnt vmcnt(20)
	v_mul_f32_e32 v102, v59, v78
	s_waitcnt vmcnt(19) lgkmcnt(3)
	v_mul_f32_e32 v103, v61, v79
	v_mul_f32_e32 v78, v60, v78
	;; [unrolled: 1-line block ×3, first 2 shown]
	s_waitcnt vmcnt(18)
	v_mul_f32_e32 v104, v63, v80
	s_waitcnt vmcnt(12)
	v_fma_f32 v53, v53, v86, -v75
	v_fmac_f32_e32 v99, v54, v86
	s_waitcnt vmcnt(11)
	v_fma_f32 v54, v55, v87, -v76
	v_add_f32_e32 v53, 0, v53
	s_waitcnt vmcnt(10)
	v_fma_f32 v55, v57, v88, -v77
	v_add_f32_e32 v53, v53, v54
	v_fmac_f32_e32 v100, v56, v87
	s_waitcnt vmcnt(8)
	v_fmac_f32_e32 v103, v62, v90
	v_fma_f32 v56, v59, v89, -v78
	v_add_f32_e32 v62, 0, v99
	v_add_f32_e32 v53, v53, v55
	v_mul_f32_e32 v80, v64, v80
	v_fmac_f32_e32 v101, v58, v88
	v_fma_f32 v57, v61, v90, -v79
	v_add_f32_e32 v62, v62, v100
	v_add_f32_e32 v53, v53, v56
	s_waitcnt lgkmcnt(2)
	v_mul_f32_e32 v105, v65, v81
	v_mul_f32_e32 v81, v66, v81
	v_fmac_f32_e32 v102, v60, v89
	s_waitcnt vmcnt(7)
	v_fma_f32 v58, v63, v91, -v80
	v_add_f32_e32 v54, v62, v101
	v_add_f32_e32 v53, v53, v57
	v_mul_f32_e32 v106, v67, v82
	v_mul_f32_e32 v82, v68, v82
	s_waitcnt vmcnt(6)
	v_fma_f32 v59, v65, v92, -v81
	v_add_f32_e32 v54, v54, v102
	v_add_f32_e32 v53, v53, v58
	s_waitcnt lgkmcnt(1)
	v_mul_f32_e32 v107, v69, v83
	v_mul_f32_e32 v83, v70, v83
	v_fmac_f32_e32 v104, v64, v91
	s_waitcnt vmcnt(5)
	v_fma_f32 v60, v67, v93, -v82
	v_add_f32_e32 v54, v54, v103
	v_add_f32_e32 v53, v53, v59
	v_fmac_f32_e32 v105, v66, v92
	s_waitcnt vmcnt(4)
	v_fma_f32 v61, v69, v94, -v83
	v_add_f32_e32 v54, v54, v104
	v_add_f32_e32 v53, v53, v60
	v_mul_f32_e32 v55, v72, v84
	v_fmac_f32_e32 v106, v68, v93
	v_add_f32_e32 v54, v54, v105
	v_add_f32_e32 v53, v53, v61
	s_waitcnt vmcnt(3)
	v_fma_f32 v55, v71, v95, -v55
	v_mul_f32_e32 v108, v71, v84
	v_fmac_f32_e32 v107, v70, v94
	v_add_f32_e32 v54, v54, v106
	v_add_f32_e32 v53, v53, v55
	s_waitcnt lgkmcnt(0)
	v_mul_f32_e32 v55, v74, v85
	v_mul_f32_e32 v109, v73, v85
	v_fmac_f32_e32 v108, v72, v95
	v_add_f32_e32 v54, v54, v107
	s_waitcnt vmcnt(2)
	v_fma_f32 v55, v73, v96, -v55
	v_fmac_f32_e32 v109, v74, v96
	v_add_f32_e32 v54, v54, v108
	v_add_f32_e32 v53, v53, v55
	;; [unrolled: 1-line block ×3, first 2 shown]
	s_waitcnt vmcnt(1)
	v_sub_f32_e32 v53, v97, v53
	s_waitcnt vmcnt(0)
	v_sub_f32_e32 v54, v98, v54
	buffer_store_dword v53, off, s[0:3], 0 offset:104
	buffer_store_dword v54, off, s[0:3], 0 offset:108
	s_and_saveexec_b64 s[4:5], vcc
	s_cbranch_execz .LBB88_139
; %bb.138:
	buffer_load_dword v53, off, s[0:3], 0 offset:96
	buffer_load_dword v54, off, s[0:3], 0 offset:100
	s_waitcnt vmcnt(0)
	ds_write_b64 v51, v[53:54]
	buffer_store_dword v52, off, s[0:3], 0 offset:96
	buffer_store_dword v52, off, s[0:3], 0 offset:100
.LBB88_139:
	s_or_b64 exec, exec, s[4:5]
	s_waitcnt lgkmcnt(0)
	; wave barrier
	buffer_load_dword v77, off, s[0:3], 0 offset:108
	buffer_load_dword v78, off, s[0:3], 0 offset:116
	buffer_load_dword v79, off, s[0:3], 0 offset:124
	buffer_load_dword v80, off, s[0:3], 0 offset:132
	buffer_load_dword v81, off, s[0:3], 0 offset:140
	buffer_load_dword v82, off, s[0:3], 0 offset:148
	buffer_load_dword v83, off, s[0:3], 0 offset:156
	buffer_load_dword v84, off, s[0:3], 0 offset:164
	buffer_load_dword v85, off, s[0:3], 0 offset:172
	buffer_load_dword v86, off, s[0:3], 0 offset:180
	buffer_load_dword v87, off, s[0:3], 0 offset:188
	buffer_load_dword v88, off, s[0:3], 0 offset:196
	buffer_load_dword v89, off, s[0:3], 0 offset:104
	buffer_load_dword v90, off, s[0:3], 0 offset:112
	buffer_load_dword v91, off, s[0:3], 0 offset:120
	buffer_load_dword v92, off, s[0:3], 0 offset:128
	buffer_load_dword v93, off, s[0:3], 0 offset:136
	buffer_load_dword v94, off, s[0:3], 0 offset:144
	buffer_load_dword v95, off, s[0:3], 0 offset:152
	buffer_load_dword v96, off, s[0:3], 0 offset:160
	buffer_load_dword v97, off, s[0:3], 0 offset:168
	buffer_load_dword v98, off, s[0:3], 0 offset:176
	buffer_load_dword v99, off, s[0:3], 0 offset:184
	buffer_load_dword v100, off, s[0:3], 0 offset:192
	buffer_load_dword v101, off, s[0:3], 0 offset:96
	buffer_load_dword v102, off, s[0:3], 0 offset:100
	ds_read2_b64 v[53:56], v52 offset0:39 offset1:40
	ds_read2_b64 v[57:60], v52 offset0:41 offset1:42
	;; [unrolled: 1-line block ×6, first 2 shown]
	v_cmp_lt_u32_e32 vcc, 11, v0
	s_waitcnt vmcnt(25) lgkmcnt(5)
	v_mul_f32_e32 v52, v53, v77
	v_mul_f32_e32 v77, v54, v77
	s_waitcnt vmcnt(24)
	v_mul_f32_e32 v103, v55, v78
	v_mul_f32_e32 v78, v56, v78
	s_waitcnt vmcnt(23) lgkmcnt(4)
	v_mul_f32_e32 v104, v57, v79
	v_mul_f32_e32 v79, v58, v79
	s_waitcnt vmcnt(22)
	v_mul_f32_e32 v105, v59, v80
	v_mul_f32_e32 v80, v60, v80
	;; [unrolled: 6-line block ×3, first 2 shown]
	s_waitcnt vmcnt(13)
	v_fma_f32 v53, v53, v89, -v77
	v_fmac_f32_e32 v52, v54, v89
	s_waitcnt vmcnt(12)
	v_fma_f32 v54, v55, v90, -v78
	v_add_f32_e32 v53, 0, v53
	s_waitcnt vmcnt(11)
	v_fma_f32 v55, v57, v91, -v79
	v_add_f32_e32 v53, v53, v54
	v_fmac_f32_e32 v103, v56, v90
	s_waitcnt vmcnt(10)
	v_fma_f32 v56, v59, v92, -v80
	v_add_f32_e32 v53, v53, v55
	s_waitcnt vmcnt(9)
	v_fma_f32 v57, v61, v93, -v81
	v_add_f32_e32 v53, v53, v56
	s_waitcnt lgkmcnt(2)
	v_mul_f32_e32 v108, v65, v83
	v_mul_f32_e32 v83, v66, v83
	v_fmac_f32_e32 v104, v58, v91
	s_waitcnt vmcnt(8)
	v_fma_f32 v58, v63, v94, -v82
	v_add_f32_e32 v52, 0, v52
	v_add_f32_e32 v53, v53, v57
	v_mul_f32_e32 v109, v67, v84
	v_mul_f32_e32 v84, v68, v84
	s_waitcnt vmcnt(7)
	v_fma_f32 v59, v65, v95, -v83
	v_add_f32_e32 v52, v52, v103
	v_add_f32_e32 v53, v53, v58
	v_fmac_f32_e32 v105, v60, v92
	s_waitcnt vmcnt(6)
	v_fma_f32 v60, v67, v96, -v84
	v_add_f32_e32 v52, v52, v104
	v_add_f32_e32 v53, v53, v59
	s_waitcnt lgkmcnt(1)
	v_mul_f32_e32 v54, v70, v85
	v_fmac_f32_e32 v106, v62, v93
	v_add_f32_e32 v52, v52, v105
	v_add_f32_e32 v53, v53, v60
	s_waitcnt vmcnt(5)
	v_fma_f32 v54, v69, v97, -v54
	v_fmac_f32_e32 v107, v64, v94
	v_add_f32_e32 v52, v52, v106
	v_add_f32_e32 v53, v53, v54
	v_mul_f32_e32 v54, v72, v86
	v_fmac_f32_e32 v108, v66, v95
	v_add_f32_e32 v52, v52, v107
	s_waitcnt vmcnt(4)
	v_fma_f32 v54, v71, v98, -v54
	v_mul_f32_e32 v110, v69, v85
	v_fmac_f32_e32 v109, v68, v96
	v_add_f32_e32 v52, v52, v108
	v_add_f32_e32 v53, v53, v54
	s_waitcnt lgkmcnt(0)
	v_mul_f32_e32 v54, v74, v87
	v_mul_f32_e32 v111, v71, v86
	v_fmac_f32_e32 v110, v70, v97
	v_add_f32_e32 v52, v52, v109
	s_waitcnt vmcnt(3)
	v_fma_f32 v54, v73, v99, -v54
	v_mul_f32_e32 v112, v73, v87
	v_fmac_f32_e32 v111, v72, v98
	v_add_f32_e32 v52, v52, v110
	v_add_f32_e32 v53, v53, v54
	v_mul_f32_e32 v54, v76, v88
	v_mul_f32_e32 v113, v75, v88
	v_fmac_f32_e32 v112, v74, v99
	v_add_f32_e32 v52, v52, v111
	s_waitcnt vmcnt(2)
	v_fma_f32 v54, v75, v100, -v54
	v_fmac_f32_e32 v113, v76, v100
	v_add_f32_e32 v52, v52, v112
	v_add_f32_e32 v53, v53, v54
	;; [unrolled: 1-line block ×3, first 2 shown]
	s_waitcnt vmcnt(1)
	v_sub_f32_e32 v53, v101, v53
	s_waitcnt vmcnt(0)
	v_sub_f32_e32 v52, v102, v52
	buffer_store_dword v53, off, s[0:3], 0 offset:96
	buffer_store_dword v52, off, s[0:3], 0 offset:100
	s_and_saveexec_b64 s[4:5], vcc
	s_cbranch_execz .LBB88_141
; %bb.140:
	buffer_load_dword v52, off, s[0:3], 0 offset:88
	buffer_load_dword v53, off, s[0:3], 0 offset:92
	v_mov_b32_e32 v54, 0
	buffer_store_dword v54, off, s[0:3], 0 offset:88
	buffer_store_dword v54, off, s[0:3], 0 offset:92
	s_waitcnt vmcnt(2)
	ds_write_b64 v51, v[52:53]
.LBB88_141:
	s_or_b64 exec, exec, s[4:5]
	s_waitcnt lgkmcnt(0)
	; wave barrier
	buffer_load_dword v79, off, s[0:3], 0 offset:100
	buffer_load_dword v80, off, s[0:3], 0 offset:108
	;; [unrolled: 1-line block ×28, first 2 shown]
	v_mov_b32_e32 v52, 0
	ds_read_b128 v[53:56], v52 offset:304
	ds_read_b128 v[57:60], v52 offset:320
	;; [unrolled: 1-line block ×6, first 2 shown]
	ds_read_b64 v[77:78], v52 offset:400
	v_cmp_lt_u32_e32 vcc, 10, v0
	s_waitcnt vmcnt(27) lgkmcnt(6)
	v_mul_f32_e32 v107, v53, v79
	v_mul_f32_e32 v79, v54, v79
	s_waitcnt vmcnt(26)
	v_mul_f32_e32 v108, v55, v80
	v_mul_f32_e32 v80, v56, v80
	s_waitcnt vmcnt(25) lgkmcnt(5)
	v_mul_f32_e32 v109, v57, v81
	v_mul_f32_e32 v81, v58, v81
	s_waitcnt vmcnt(24)
	v_mul_f32_e32 v110, v59, v82
	v_mul_f32_e32 v82, v60, v82
	;; [unrolled: 6-line block ×3, first 2 shown]
	s_waitcnt vmcnt(21) lgkmcnt(3)
	v_mul_f32_e32 v113, v65, v85
	s_waitcnt vmcnt(14)
	v_fma_f32 v53, v53, v92, -v79
	v_fmac_f32_e32 v107, v54, v92
	s_waitcnt vmcnt(13)
	v_fma_f32 v54, v55, v93, -v80
	v_add_f32_e32 v53, 0, v53
	s_waitcnt vmcnt(12)
	v_fma_f32 v55, v57, v94, -v81
	v_add_f32_e32 v53, v53, v54
	v_fmac_f32_e32 v108, v56, v93
	s_waitcnt vmcnt(11)
	v_fma_f32 v56, v59, v95, -v82
	v_add_f32_e32 v53, v53, v55
	s_waitcnt vmcnt(10)
	v_fma_f32 v57, v61, v96, -v83
	v_add_f32_e32 v53, v53, v56
	v_fmac_f32_e32 v109, v58, v94
	s_waitcnt vmcnt(9)
	v_fma_f32 v58, v63, v97, -v84
	v_add_f32_e32 v53, v53, v57
	v_mul_f32_e32 v55, v66, v85
	v_add_f32_e32 v53, v53, v58
	s_waitcnt vmcnt(8)
	v_fma_f32 v55, v65, v98, -v55
	v_add_f32_e32 v53, v53, v55
	v_mul_f32_e32 v55, v68, v86
	v_add_f32_e32 v59, 0, v107
	s_waitcnt vmcnt(7)
	v_fma_f32 v55, v67, v99, -v55
	v_add_f32_e32 v59, v59, v108
	v_add_f32_e32 v53, v53, v55
	s_waitcnt lgkmcnt(2)
	v_mul_f32_e32 v55, v70, v87
	v_fmac_f32_e32 v110, v60, v95
	v_add_f32_e32 v54, v59, v109
	s_waitcnt vmcnt(6)
	v_fma_f32 v55, v69, v100, -v55
	v_fmac_f32_e32 v111, v62, v96
	v_add_f32_e32 v54, v54, v110
	v_add_f32_e32 v53, v53, v55
	v_mul_f32_e32 v55, v72, v88
	v_fmac_f32_e32 v112, v64, v97
	v_add_f32_e32 v54, v54, v111
	s_waitcnt vmcnt(5)
	v_fma_f32 v55, v71, v101, -v55
	v_mul_f32_e32 v114, v67, v86
	v_fmac_f32_e32 v113, v66, v98
	v_add_f32_e32 v54, v54, v112
	v_add_f32_e32 v53, v53, v55
	s_waitcnt lgkmcnt(1)
	v_mul_f32_e32 v55, v74, v89
	v_mul_f32_e32 v115, v69, v87
	v_fmac_f32_e32 v114, v68, v99
	v_add_f32_e32 v54, v54, v113
	s_waitcnt vmcnt(4)
	v_fma_f32 v55, v73, v102, -v55
	v_mul_f32_e32 v116, v71, v88
	v_fmac_f32_e32 v115, v70, v100
	v_add_f32_e32 v54, v54, v114
	v_add_f32_e32 v53, v53, v55
	v_mul_f32_e32 v55, v76, v90
	v_mul_f32_e32 v117, v73, v89
	v_fmac_f32_e32 v116, v72, v101
	v_add_f32_e32 v54, v54, v115
	s_waitcnt vmcnt(3)
	v_fma_f32 v55, v75, v103, -v55
	v_mul_f32_e32 v118, v75, v90
	v_fmac_f32_e32 v117, v74, v102
	v_add_f32_e32 v54, v54, v116
	v_add_f32_e32 v53, v53, v55
	s_waitcnt lgkmcnt(0)
	v_mul_f32_e32 v55, v78, v91
	v_mul_f32_e32 v119, v77, v91
	v_fmac_f32_e32 v118, v76, v103
	v_add_f32_e32 v54, v54, v117
	s_waitcnt vmcnt(2)
	v_fma_f32 v55, v77, v104, -v55
	v_fmac_f32_e32 v119, v78, v104
	v_add_f32_e32 v54, v54, v118
	v_add_f32_e32 v53, v53, v55
	v_add_f32_e32 v54, v54, v119
	s_waitcnt vmcnt(1)
	v_sub_f32_e32 v53, v105, v53
	s_waitcnt vmcnt(0)
	v_sub_f32_e32 v54, v106, v54
	buffer_store_dword v53, off, s[0:3], 0 offset:88
	buffer_store_dword v54, off, s[0:3], 0 offset:92
	s_and_saveexec_b64 s[4:5], vcc
	s_cbranch_execz .LBB88_143
; %bb.142:
	buffer_load_dword v53, off, s[0:3], 0 offset:80
	buffer_load_dword v54, off, s[0:3], 0 offset:84
	s_waitcnt vmcnt(0)
	ds_write_b64 v51, v[53:54]
	buffer_store_dword v52, off, s[0:3], 0 offset:80
	buffer_store_dword v52, off, s[0:3], 0 offset:84
.LBB88_143:
	s_or_b64 exec, exec, s[4:5]
	s_waitcnt lgkmcnt(0)
	; wave barrier
	buffer_load_dword v81, off, s[0:3], 0 offset:92
	buffer_load_dword v82, off, s[0:3], 0 offset:100
	;; [unrolled: 1-line block ×30, first 2 shown]
	ds_read2_b64 v[53:56], v52 offset0:37 offset1:38
	ds_read2_b64 v[57:60], v52 offset0:39 offset1:40
	;; [unrolled: 1-line block ×7, first 2 shown]
	v_cmp_lt_u32_e32 vcc, 9, v0
	s_waitcnt vmcnt(29) lgkmcnt(6)
	v_mul_f32_e32 v52, v53, v81
	v_mul_f32_e32 v81, v54, v81
	s_waitcnt vmcnt(28)
	v_mul_f32_e32 v111, v55, v82
	v_mul_f32_e32 v82, v56, v82
	s_waitcnt vmcnt(27) lgkmcnt(5)
	v_mul_f32_e32 v112, v57, v83
	v_mul_f32_e32 v83, v58, v83
	s_waitcnt vmcnt(26)
	v_mul_f32_e32 v113, v59, v84
	v_mul_f32_e32 v84, v60, v84
	s_waitcnt vmcnt(25) lgkmcnt(4)
	v_mul_f32_e32 v114, v61, v85
	v_mul_f32_e32 v85, v62, v85
	s_waitcnt vmcnt(24)
	v_mul_f32_e32 v115, v63, v86
	s_waitcnt vmcnt(23) lgkmcnt(3)
	v_mul_f32_e32 v116, v65, v87
	s_waitcnt vmcnt(22)
	v_mul_f32_e32 v117, v67, v88
	s_waitcnt vmcnt(21) lgkmcnt(2)
	v_mul_f32_e32 v118, v69, v89
	s_waitcnt vmcnt(15)
	v_fma_f32 v53, v53, v95, -v81
	v_fmac_f32_e32 v52, v54, v95
	s_waitcnt vmcnt(14)
	v_fma_f32 v54, v55, v96, -v82
	v_add_f32_e32 v53, 0, v53
	s_waitcnt vmcnt(13)
	v_fma_f32 v55, v57, v97, -v83
	v_add_f32_e32 v53, v53, v54
	v_fmac_f32_e32 v111, v56, v96
	s_waitcnt vmcnt(12)
	v_fma_f32 v56, v59, v98, -v84
	v_add_f32_e32 v53, v53, v55
	s_waitcnt vmcnt(11)
	v_fma_f32 v57, v61, v99, -v85
	v_add_f32_e32 v53, v53, v56
	v_mul_f32_e32 v54, v64, v86
	v_add_f32_e32 v53, v53, v57
	s_waitcnt vmcnt(10)
	v_fma_f32 v54, v63, v100, -v54
	v_add_f32_e32 v53, v53, v54
	v_mul_f32_e32 v54, v66, v87
	s_waitcnt vmcnt(9)
	v_fma_f32 v54, v65, v101, -v54
	v_add_f32_e32 v53, v53, v54
	v_mul_f32_e32 v54, v68, v88
	s_waitcnt vmcnt(8)
	v_fma_f32 v54, v67, v102, -v54
	v_add_f32_e32 v52, 0, v52
	v_add_f32_e32 v53, v53, v54
	v_mul_f32_e32 v54, v70, v89
	v_fmac_f32_e32 v112, v58, v97
	v_add_f32_e32 v52, v52, v111
	s_waitcnt vmcnt(7)
	v_fma_f32 v54, v69, v103, -v54
	v_fmac_f32_e32 v113, v60, v98
	v_add_f32_e32 v52, v52, v112
	v_add_f32_e32 v53, v53, v54
	v_mul_f32_e32 v54, v72, v90
	v_fmac_f32_e32 v114, v62, v99
	v_add_f32_e32 v52, v52, v113
	s_waitcnt vmcnt(6)
	v_fma_f32 v54, v71, v104, -v54
	v_fmac_f32_e32 v115, v64, v100
	v_add_f32_e32 v52, v52, v114
	v_add_f32_e32 v53, v53, v54
	s_waitcnt lgkmcnt(1)
	v_mul_f32_e32 v54, v74, v91
	v_fmac_f32_e32 v116, v66, v101
	v_add_f32_e32 v52, v52, v115
	s_waitcnt vmcnt(5)
	v_fma_f32 v54, v73, v105, -v54
	v_fmac_f32_e32 v117, v68, v102
	v_add_f32_e32 v52, v52, v116
	v_add_f32_e32 v53, v53, v54
	v_mul_f32_e32 v54, v76, v92
	v_mul_f32_e32 v119, v71, v90
	v_fmac_f32_e32 v118, v70, v103
	v_add_f32_e32 v52, v52, v117
	s_waitcnt vmcnt(4)
	v_fma_f32 v54, v75, v106, -v54
	v_mul_f32_e32 v120, v73, v91
	v_fmac_f32_e32 v119, v72, v104
	v_add_f32_e32 v52, v52, v118
	v_add_f32_e32 v53, v53, v54
	s_waitcnt lgkmcnt(0)
	v_mul_f32_e32 v54, v78, v93
	v_mul_f32_e32 v121, v75, v92
	v_fmac_f32_e32 v120, v74, v105
	v_add_f32_e32 v52, v52, v119
	s_waitcnt vmcnt(3)
	v_fma_f32 v54, v77, v107, -v54
	v_mul_f32_e32 v122, v77, v93
	v_fmac_f32_e32 v121, v76, v106
	v_add_f32_e32 v52, v52, v120
	v_add_f32_e32 v53, v53, v54
	v_mul_f32_e32 v54, v80, v94
	v_mul_f32_e32 v123, v79, v94
	v_fmac_f32_e32 v122, v78, v107
	v_add_f32_e32 v52, v52, v121
	s_waitcnt vmcnt(2)
	v_fma_f32 v54, v79, v108, -v54
	v_fmac_f32_e32 v123, v80, v108
	v_add_f32_e32 v52, v52, v122
	v_add_f32_e32 v53, v53, v54
	;; [unrolled: 1-line block ×3, first 2 shown]
	s_waitcnt vmcnt(1)
	v_sub_f32_e32 v53, v109, v53
	s_waitcnt vmcnt(0)
	v_sub_f32_e32 v52, v110, v52
	buffer_store_dword v53, off, s[0:3], 0 offset:80
	buffer_store_dword v52, off, s[0:3], 0 offset:84
	s_and_saveexec_b64 s[4:5], vcc
	s_cbranch_execz .LBB88_145
; %bb.144:
	buffer_load_dword v52, off, s[0:3], 0 offset:72
	buffer_load_dword v53, off, s[0:3], 0 offset:76
	v_mov_b32_e32 v54, 0
	buffer_store_dword v54, off, s[0:3], 0 offset:72
	buffer_store_dword v54, off, s[0:3], 0 offset:76
	s_waitcnt vmcnt(2)
	ds_write_b64 v51, v[52:53]
.LBB88_145:
	s_or_b64 exec, exec, s[4:5]
	v_mov_b32_e32 v52, 0
	s_waitcnt lgkmcnt(0)
	; wave barrier
	ds_read_b128 v[53:56], v52 offset:288
	ds_read_b128 v[57:60], v52 offset:304
	;; [unrolled: 1-line block ×4, first 2 shown]
	buffer_load_dword v83, off, s[0:3], 0 offset:72
	buffer_load_dword v84, off, s[0:3], 0 offset:76
	;; [unrolled: 1-line block ×18, first 2 shown]
	v_cmp_lt_u32_e32 vcc, 8, v0
	s_waitcnt vmcnt(14) lgkmcnt(3)
	v_mul_f32_e32 v69, v53, v86
	v_fmac_f32_e32 v69, v54, v85
	s_waitcnt vmcnt(12)
	v_mul_f32_e32 v70, v55, v88
	v_add_f32_e32 v69, 0, v69
	v_fmac_f32_e32 v70, v56, v87
	v_add_f32_e32 v69, v69, v70
	s_waitcnt vmcnt(10) lgkmcnt(2)
	v_mul_f32_e32 v70, v57, v90
	v_fmac_f32_e32 v70, v58, v89
	v_add_f32_e32 v69, v69, v70
	s_waitcnt vmcnt(8)
	v_mul_f32_e32 v70, v59, v92
	v_fmac_f32_e32 v70, v60, v91
	v_add_f32_e32 v69, v69, v70
	s_waitcnt vmcnt(6) lgkmcnt(1)
	v_mul_f32_e32 v70, v61, v94
	v_fmac_f32_e32 v70, v62, v93
	v_add_f32_e32 v69, v69, v70
	s_waitcnt vmcnt(4)
	v_mul_f32_e32 v70, v63, v96
	;; [unrolled: 8-line block ×3, first 2 shown]
	v_fmac_f32_e32 v70, v68, v99
	v_add_f32_e32 v73, v69, v70
	ds_read_b128 v[69:72], v52 offset:352
	buffer_load_dword v101, off, s[0:3], 0 offset:144
	buffer_load_dword v102, off, s[0:3], 0 offset:148
	;; [unrolled: 1-line block ×4, first 2 shown]
	v_mul_f32_e32 v54, v54, v86
	v_fma_f32 v53, v53, v85, -v54
	v_mul_f32_e32 v54, v56, v88
	v_add_f32_e32 v53, 0, v53
	v_fma_f32 v54, v55, v87, -v54
	v_add_f32_e32 v53, v53, v54
	v_mul_f32_e32 v54, v58, v90
	v_fma_f32 v54, v57, v89, -v54
	v_add_f32_e32 v53, v53, v54
	v_mul_f32_e32 v54, v60, v92
	;; [unrolled: 3-line block ×6, first 2 shown]
	v_fma_f32 v54, v67, v99, -v54
	v_add_f32_e32 v53, v53, v54
	s_waitcnt vmcnt(2) lgkmcnt(0)
	v_mul_f32_e32 v74, v69, v102
	v_fmac_f32_e32 v74, v70, v101
	v_add_f32_e32 v73, v73, v74
	s_waitcnt vmcnt(0)
	v_mul_f32_e32 v74, v71, v104
	v_fmac_f32_e32 v74, v72, v103
	v_add_f32_e32 v77, v73, v74
	ds_read_b128 v[73:76], v52 offset:368
	buffer_load_dword v105, off, s[0:3], 0 offset:160
	buffer_load_dword v106, off, s[0:3], 0 offset:164
	buffer_load_dword v107, off, s[0:3], 0 offset:168
	buffer_load_dword v108, off, s[0:3], 0 offset:172
	v_mul_f32_e32 v54, v70, v102
	v_fma_f32 v54, v69, v101, -v54
	v_add_f32_e32 v53, v53, v54
	v_mul_f32_e32 v54, v72, v104
	v_fma_f32 v54, v71, v103, -v54
	v_add_f32_e32 v53, v53, v54
	s_waitcnt vmcnt(2) lgkmcnt(0)
	v_mul_f32_e32 v78, v73, v106
	v_fmac_f32_e32 v78, v74, v105
	v_add_f32_e32 v77, v77, v78
	s_waitcnt vmcnt(0)
	v_mul_f32_e32 v78, v75, v108
	v_fmac_f32_e32 v78, v76, v107
	v_add_f32_e32 v81, v77, v78
	ds_read_b128 v[77:80], v52 offset:384
	buffer_load_dword v109, off, s[0:3], 0 offset:176
	buffer_load_dword v110, off, s[0:3], 0 offset:180
	;; [unrolled: 1-line block ×4, first 2 shown]
	v_mul_f32_e32 v54, v74, v106
	v_fma_f32 v54, v73, v105, -v54
	v_add_f32_e32 v53, v53, v54
	v_mul_f32_e32 v54, v76, v108
	v_fma_f32 v54, v75, v107, -v54
	v_add_f32_e32 v53, v53, v54
	s_waitcnt vmcnt(2) lgkmcnt(0)
	v_mul_f32_e32 v82, v77, v110
	v_fmac_f32_e32 v82, v78, v109
	v_add_f32_e32 v81, v81, v82
	s_waitcnt vmcnt(0)
	v_mul_f32_e32 v82, v79, v112
	v_fmac_f32_e32 v82, v80, v111
	v_add_f32_e32 v113, v81, v82
	ds_read_b64 v[81:82], v52 offset:400
	buffer_load_dword v114, off, s[0:3], 0 offset:192
	buffer_load_dword v115, off, s[0:3], 0 offset:196
	v_mul_f32_e32 v54, v78, v110
	v_fma_f32 v54, v77, v109, -v54
	v_add_f32_e32 v53, v53, v54
	v_mul_f32_e32 v54, v80, v112
	v_fma_f32 v54, v79, v111, -v54
	v_add_f32_e32 v53, v53, v54
	s_waitcnt vmcnt(0) lgkmcnt(0)
	v_mul_f32_e32 v54, v82, v115
	v_mul_f32_e32 v116, v81, v115
	v_fma_f32 v54, v81, v114, -v54
	v_fmac_f32_e32 v116, v82, v114
	v_add_f32_e32 v53, v53, v54
	v_add_f32_e32 v113, v113, v116
	v_sub_f32_e32 v53, v83, v53
	v_sub_f32_e32 v54, v84, v113
	buffer_store_dword v53, off, s[0:3], 0 offset:72
	buffer_store_dword v54, off, s[0:3], 0 offset:76
	s_and_saveexec_b64 s[4:5], vcc
	s_cbranch_execz .LBB88_147
; %bb.146:
	buffer_load_dword v53, off, s[0:3], 0 offset:64
	buffer_load_dword v54, off, s[0:3], 0 offset:68
	s_waitcnt vmcnt(0)
	ds_write_b64 v51, v[53:54]
	buffer_store_dword v52, off, s[0:3], 0 offset:64
	buffer_store_dword v52, off, s[0:3], 0 offset:68
.LBB88_147:
	s_or_b64 exec, exec, s[4:5]
	s_waitcnt lgkmcnt(0)
	; wave barrier
	ds_read2_b64 v[53:56], v52 offset0:35 offset1:36
	buffer_load_dword v85, off, s[0:3], 0 offset:64
	buffer_load_dword v86, off, s[0:3], 0 offset:68
	;; [unrolled: 1-line block ×16, first 2 shown]
	v_cmp_lt_u32_e32 vcc, 7, v0
	s_waitcnt vmcnt(12) lgkmcnt(0)
	v_mul_f32_e32 v57, v53, v88
	v_fmac_f32_e32 v57, v54, v87
	s_waitcnt vmcnt(10)
	v_mul_f32_e32 v58, v55, v90
	v_add_f32_e32 v57, 0, v57
	v_fmac_f32_e32 v58, v56, v89
	v_add_f32_e32 v61, v57, v58
	ds_read2_b64 v[57:60], v52 offset0:37 offset1:38
	v_mul_f32_e32 v54, v54, v88
	v_fma_f32 v53, v53, v87, -v54
	v_mul_f32_e32 v54, v56, v90
	v_add_f32_e32 v53, 0, v53
	s_waitcnt vmcnt(8) lgkmcnt(0)
	v_mul_f32_e32 v62, v57, v92
	v_fmac_f32_e32 v62, v58, v91
	v_add_f32_e32 v61, v61, v62
	s_waitcnt vmcnt(6)
	v_mul_f32_e32 v62, v59, v94
	v_fmac_f32_e32 v62, v60, v93
	v_add_f32_e32 v65, v61, v62
	ds_read2_b64 v[61:64], v52 offset0:39 offset1:40
	v_fma_f32 v54, v55, v89, -v54
	v_add_f32_e32 v53, v53, v54
	v_mul_f32_e32 v54, v58, v92
	v_fma_f32 v54, v57, v91, -v54
	s_waitcnt vmcnt(4) lgkmcnt(0)
	v_mul_f32_e32 v66, v61, v96
	v_fmac_f32_e32 v66, v62, v95
	v_add_f32_e32 v65, v65, v66
	s_waitcnt vmcnt(2)
	v_mul_f32_e32 v66, v63, v98
	v_fmac_f32_e32 v66, v64, v97
	v_add_f32_e32 v69, v65, v66
	ds_read2_b64 v[65:68], v52 offset0:41 offset1:42
	buffer_load_dword v101, off, s[0:3], 0 offset:128
	buffer_load_dword v102, off, s[0:3], 0 offset:132
	v_add_f32_e32 v53, v53, v54
	v_mul_f32_e32 v54, v60, v94
	v_fma_f32 v54, v59, v93, -v54
	s_waitcnt vmcnt(2) lgkmcnt(0)
	v_mul_f32_e32 v70, v65, v100
	v_fmac_f32_e32 v70, v66, v99
	v_add_f32_e32 v69, v69, v70
	v_add_f32_e32 v53, v53, v54
	v_mul_f32_e32 v54, v62, v96
	v_fma_f32 v54, v61, v95, -v54
	v_add_f32_e32 v53, v53, v54
	v_mul_f32_e32 v54, v64, v98
	v_fma_f32 v54, v63, v97, -v54
	;; [unrolled: 3-line block ×3, first 2 shown]
	v_add_f32_e32 v53, v53, v54
	s_waitcnt vmcnt(0)
	v_mul_f32_e32 v70, v67, v102
	v_fmac_f32_e32 v70, v68, v101
	v_add_f32_e32 v73, v69, v70
	ds_read2_b64 v[69:72], v52 offset0:43 offset1:44
	buffer_load_dword v103, off, s[0:3], 0 offset:136
	buffer_load_dword v104, off, s[0:3], 0 offset:140
	;; [unrolled: 1-line block ×4, first 2 shown]
	v_mul_f32_e32 v54, v68, v102
	v_fma_f32 v54, v67, v101, -v54
	v_add_f32_e32 v53, v53, v54
	s_waitcnt vmcnt(2) lgkmcnt(0)
	v_mul_f32_e32 v74, v69, v104
	v_fmac_f32_e32 v74, v70, v103
	v_add_f32_e32 v73, v73, v74
	s_waitcnt vmcnt(0)
	v_mul_f32_e32 v74, v71, v106
	v_fmac_f32_e32 v74, v72, v105
	v_add_f32_e32 v77, v73, v74
	ds_read2_b64 v[73:76], v52 offset0:45 offset1:46
	buffer_load_dword v107, off, s[0:3], 0 offset:152
	buffer_load_dword v108, off, s[0:3], 0 offset:156
	;; [unrolled: 1-line block ×4, first 2 shown]
	v_mul_f32_e32 v54, v70, v104
	v_fma_f32 v54, v69, v103, -v54
	v_add_f32_e32 v53, v53, v54
	v_mul_f32_e32 v54, v72, v106
	v_fma_f32 v54, v71, v105, -v54
	v_add_f32_e32 v53, v53, v54
	s_waitcnt vmcnt(2) lgkmcnt(0)
	v_mul_f32_e32 v78, v73, v108
	v_fmac_f32_e32 v78, v74, v107
	v_add_f32_e32 v77, v77, v78
	s_waitcnt vmcnt(0)
	v_mul_f32_e32 v78, v75, v110
	v_fmac_f32_e32 v78, v76, v109
	v_add_f32_e32 v81, v77, v78
	ds_read2_b64 v[77:80], v52 offset0:47 offset1:48
	buffer_load_dword v111, off, s[0:3], 0 offset:168
	buffer_load_dword v112, off, s[0:3], 0 offset:172
	;; [unrolled: 1-line block ×4, first 2 shown]
	v_mul_f32_e32 v54, v74, v108
	v_fma_f32 v54, v73, v107, -v54
	v_add_f32_e32 v53, v53, v54
	v_mul_f32_e32 v54, v76, v110
	v_fma_f32 v54, v75, v109, -v54
	v_add_f32_e32 v53, v53, v54
	s_waitcnt vmcnt(2) lgkmcnt(0)
	v_mul_f32_e32 v82, v77, v112
	v_fmac_f32_e32 v82, v78, v111
	v_add_f32_e32 v81, v81, v82
	s_waitcnt vmcnt(0)
	v_mul_f32_e32 v82, v79, v114
	v_fmac_f32_e32 v82, v80, v113
	v_add_f32_e32 v115, v81, v82
	ds_read2_b64 v[81:84], v52 offset0:49 offset1:50
	buffer_load_dword v52, off, s[0:3], 0 offset:184
	buffer_load_dword v116, off, s[0:3], 0 offset:188
	v_mul_f32_e32 v54, v78, v112
	v_fma_f32 v54, v77, v111, -v54
	v_add_f32_e32 v53, v53, v54
	v_mul_f32_e32 v54, v80, v114
	v_fma_f32 v54, v79, v113, -v54
	v_add_f32_e32 v53, v53, v54
	s_waitcnt vmcnt(0) lgkmcnt(0)
	v_mul_f32_e32 v117, v81, v116
	v_fmac_f32_e32 v117, v82, v52
	v_add_f32_e32 v115, v115, v117
	buffer_load_dword v117, off, s[0:3], 0 offset:192
	buffer_load_dword v118, off, s[0:3], 0 offset:196
	v_mul_f32_e32 v54, v82, v116
	v_fma_f32 v52, v81, v52, -v54
	v_add_f32_e32 v52, v53, v52
	s_waitcnt vmcnt(0)
	v_mul_f32_e32 v53, v84, v118
	v_mul_f32_e32 v119, v83, v118
	v_fma_f32 v53, v83, v117, -v53
	v_fmac_f32_e32 v119, v84, v117
	v_add_f32_e32 v52, v52, v53
	v_add_f32_e32 v115, v115, v119
	v_sub_f32_e32 v52, v85, v52
	v_sub_f32_e32 v53, v86, v115
	buffer_store_dword v52, off, s[0:3], 0 offset:64
	buffer_store_dword v53, off, s[0:3], 0 offset:68
	s_and_saveexec_b64 s[4:5], vcc
	s_cbranch_execz .LBB88_149
; %bb.148:
	buffer_load_dword v52, off, s[0:3], 0 offset:56
	buffer_load_dword v53, off, s[0:3], 0 offset:60
	v_mov_b32_e32 v54, 0
	buffer_store_dword v54, off, s[0:3], 0 offset:56
	buffer_store_dword v54, off, s[0:3], 0 offset:60
	s_waitcnt vmcnt(2)
	ds_write_b64 v51, v[52:53]
.LBB88_149:
	s_or_b64 exec, exec, s[4:5]
	v_mov_b32_e32 v52, 0
	s_waitcnt lgkmcnt(0)
	; wave barrier
	ds_read_b128 v[53:56], v52 offset:272
	ds_read_b128 v[57:60], v52 offset:288
	;; [unrolled: 1-line block ×4, first 2 shown]
	buffer_load_dword v87, off, s[0:3], 0 offset:56
	buffer_load_dword v88, off, s[0:3], 0 offset:60
	buffer_load_dword v89, off, s[0:3], 0 offset:64
	buffer_load_dword v90, off, s[0:3], 0 offset:68
	buffer_load_dword v91, off, s[0:3], 0 offset:72
	buffer_load_dword v92, off, s[0:3], 0 offset:76
	buffer_load_dword v93, off, s[0:3], 0 offset:80
	buffer_load_dword v94, off, s[0:3], 0 offset:84
	buffer_load_dword v95, off, s[0:3], 0 offset:88
	buffer_load_dword v96, off, s[0:3], 0 offset:92
	buffer_load_dword v97, off, s[0:3], 0 offset:96
	buffer_load_dword v98, off, s[0:3], 0 offset:100
	buffer_load_dword v99, off, s[0:3], 0 offset:104
	buffer_load_dword v100, off, s[0:3], 0 offset:108
	buffer_load_dword v101, off, s[0:3], 0 offset:112
	buffer_load_dword v102, off, s[0:3], 0 offset:116
	buffer_load_dword v103, off, s[0:3], 0 offset:120
	buffer_load_dword v104, off, s[0:3], 0 offset:124
	v_cmp_lt_u32_e32 vcc, 6, v0
	s_waitcnt vmcnt(14) lgkmcnt(3)
	v_mul_f32_e32 v69, v53, v90
	v_fmac_f32_e32 v69, v54, v89
	s_waitcnt vmcnt(12)
	v_mul_f32_e32 v70, v55, v92
	v_add_f32_e32 v69, 0, v69
	v_fmac_f32_e32 v70, v56, v91
	v_add_f32_e32 v69, v69, v70
	s_waitcnt vmcnt(10) lgkmcnt(2)
	v_mul_f32_e32 v70, v57, v94
	v_fmac_f32_e32 v70, v58, v93
	v_add_f32_e32 v69, v69, v70
	s_waitcnt vmcnt(8)
	v_mul_f32_e32 v70, v59, v96
	v_fmac_f32_e32 v70, v60, v95
	v_add_f32_e32 v69, v69, v70
	s_waitcnt vmcnt(6) lgkmcnt(1)
	v_mul_f32_e32 v70, v61, v98
	v_fmac_f32_e32 v70, v62, v97
	v_add_f32_e32 v69, v69, v70
	s_waitcnt vmcnt(4)
	v_mul_f32_e32 v70, v63, v100
	;; [unrolled: 8-line block ×3, first 2 shown]
	v_fmac_f32_e32 v70, v68, v103
	v_add_f32_e32 v73, v69, v70
	ds_read_b128 v[69:72], v52 offset:336
	buffer_load_dword v105, off, s[0:3], 0 offset:128
	buffer_load_dword v106, off, s[0:3], 0 offset:132
	;; [unrolled: 1-line block ×4, first 2 shown]
	v_mul_f32_e32 v54, v54, v90
	v_fma_f32 v53, v53, v89, -v54
	v_mul_f32_e32 v54, v56, v92
	v_add_f32_e32 v53, 0, v53
	v_fma_f32 v54, v55, v91, -v54
	v_add_f32_e32 v53, v53, v54
	v_mul_f32_e32 v54, v58, v94
	v_fma_f32 v54, v57, v93, -v54
	v_add_f32_e32 v53, v53, v54
	v_mul_f32_e32 v54, v60, v96
	;; [unrolled: 3-line block ×6, first 2 shown]
	v_fma_f32 v54, v67, v103, -v54
	v_add_f32_e32 v53, v53, v54
	s_waitcnt vmcnt(2) lgkmcnt(0)
	v_mul_f32_e32 v74, v69, v106
	v_fmac_f32_e32 v74, v70, v105
	v_add_f32_e32 v73, v73, v74
	s_waitcnt vmcnt(0)
	v_mul_f32_e32 v74, v71, v108
	v_fmac_f32_e32 v74, v72, v107
	v_add_f32_e32 v77, v73, v74
	ds_read_b128 v[73:76], v52 offset:352
	buffer_load_dword v109, off, s[0:3], 0 offset:144
	buffer_load_dword v110, off, s[0:3], 0 offset:148
	buffer_load_dword v111, off, s[0:3], 0 offset:152
	buffer_load_dword v112, off, s[0:3], 0 offset:156
	v_mul_f32_e32 v54, v70, v106
	v_fma_f32 v54, v69, v105, -v54
	v_add_f32_e32 v53, v53, v54
	v_mul_f32_e32 v54, v72, v108
	v_fma_f32 v54, v71, v107, -v54
	v_add_f32_e32 v53, v53, v54
	s_waitcnt vmcnt(2) lgkmcnt(0)
	v_mul_f32_e32 v78, v73, v110
	v_fmac_f32_e32 v78, v74, v109
	v_add_f32_e32 v77, v77, v78
	s_waitcnt vmcnt(0)
	v_mul_f32_e32 v78, v75, v112
	v_fmac_f32_e32 v78, v76, v111
	v_add_f32_e32 v81, v77, v78
	ds_read_b128 v[77:80], v52 offset:368
	buffer_load_dword v113, off, s[0:3], 0 offset:160
	buffer_load_dword v114, off, s[0:3], 0 offset:164
	buffer_load_dword v115, off, s[0:3], 0 offset:168
	buffer_load_dword v116, off, s[0:3], 0 offset:172
	v_mul_f32_e32 v54, v74, v110
	v_fma_f32 v54, v73, v109, -v54
	v_add_f32_e32 v53, v53, v54
	v_mul_f32_e32 v54, v76, v112
	v_fma_f32 v54, v75, v111, -v54
	v_add_f32_e32 v53, v53, v54
	s_waitcnt vmcnt(2) lgkmcnt(0)
	v_mul_f32_e32 v82, v77, v114
	v_fmac_f32_e32 v82, v78, v113
	v_add_f32_e32 v81, v81, v82
	s_waitcnt vmcnt(0)
	v_mul_f32_e32 v82, v79, v116
	v_fmac_f32_e32 v82, v80, v115
	v_add_f32_e32 v85, v81, v82
	ds_read_b128 v[81:84], v52 offset:384
	buffer_load_dword v117, off, s[0:3], 0 offset:176
	buffer_load_dword v118, off, s[0:3], 0 offset:180
	buffer_load_dword v119, off, s[0:3], 0 offset:184
	buffer_load_dword v120, off, s[0:3], 0 offset:188
	v_mul_f32_e32 v54, v78, v114
	v_fma_f32 v54, v77, v113, -v54
	v_add_f32_e32 v53, v53, v54
	v_mul_f32_e32 v54, v80, v116
	v_fma_f32 v54, v79, v115, -v54
	v_add_f32_e32 v53, v53, v54
	s_waitcnt vmcnt(2) lgkmcnt(0)
	v_mul_f32_e32 v86, v81, v118
	v_fmac_f32_e32 v86, v82, v117
	v_add_f32_e32 v85, v85, v86
	s_waitcnt vmcnt(0)
	v_mul_f32_e32 v86, v83, v120
	v_fmac_f32_e32 v86, v84, v119
	v_add_f32_e32 v121, v85, v86
	ds_read_b64 v[85:86], v52 offset:400
	buffer_load_dword v122, off, s[0:3], 0 offset:192
	buffer_load_dword v123, off, s[0:3], 0 offset:196
	v_mul_f32_e32 v54, v82, v118
	v_fma_f32 v54, v81, v117, -v54
	v_add_f32_e32 v53, v53, v54
	v_mul_f32_e32 v54, v84, v120
	v_fma_f32 v54, v83, v119, -v54
	v_add_f32_e32 v53, v53, v54
	s_waitcnt vmcnt(0) lgkmcnt(0)
	v_mul_f32_e32 v54, v86, v123
	v_mul_f32_e32 v124, v85, v123
	v_fma_f32 v54, v85, v122, -v54
	v_fmac_f32_e32 v124, v86, v122
	v_add_f32_e32 v53, v53, v54
	v_add_f32_e32 v121, v121, v124
	v_sub_f32_e32 v53, v87, v53
	v_sub_f32_e32 v54, v88, v121
	buffer_store_dword v53, off, s[0:3], 0 offset:56
	buffer_store_dword v54, off, s[0:3], 0 offset:60
	s_and_saveexec_b64 s[4:5], vcc
	s_cbranch_execz .LBB88_151
; %bb.150:
	buffer_load_dword v53, off, s[0:3], 0 offset:48
	buffer_load_dword v54, off, s[0:3], 0 offset:52
	s_waitcnt vmcnt(0)
	ds_write_b64 v51, v[53:54]
	buffer_store_dword v52, off, s[0:3], 0 offset:48
	buffer_store_dword v52, off, s[0:3], 0 offset:52
.LBB88_151:
	s_or_b64 exec, exec, s[4:5]
	s_waitcnt lgkmcnt(0)
	; wave barrier
	buffer_load_dword v89, off, s[0:3], 0 offset:60
	buffer_load_dword v90, off, s[0:3], 0 offset:68
	;; [unrolled: 1-line block ×38, first 2 shown]
	ds_read2_b64 v[53:56], v52 offset0:33 offset1:34
	ds_read2_b64 v[57:60], v52 offset0:35 offset1:36
	;; [unrolled: 1-line block ×9, first 2 shown]
	v_cmp_lt_u32_e32 vcc, 5, v0
	s_waitcnt vmcnt(37) lgkmcnt(8)
	v_mul_f32_e32 v52, v53, v89
	s_waitcnt vmcnt(36)
	v_mul_f32_e32 v127, v55, v90
	s_waitcnt vmcnt(35) lgkmcnt(7)
	v_mul_f32_e32 v128, v57, v91
	s_waitcnt vmcnt(34)
	v_mul_f32_e32 v129, v59, v92
	;; [unrolled: 4-line block ×8, first 2 shown]
	s_waitcnt vmcnt(21) lgkmcnt(0)
	v_mul_f32_e32 v142, v85, v105
	s_waitcnt vmcnt(20)
	v_fmac_f32_e32 v52, v54, v106
	v_mul_f32_e32 v54, v54, v89
	v_fma_f32 v53, v53, v106, -v54
	v_mul_f32_e32 v54, v56, v90
	v_add_f32_e32 v53, 0, v53
	s_waitcnt vmcnt(19)
	v_fma_f32 v54, v55, v107, -v54
	v_add_f32_e32 v53, v53, v54
	v_mul_f32_e32 v54, v58, v91
	s_waitcnt vmcnt(18)
	v_fma_f32 v54, v57, v108, -v54
	v_add_f32_e32 v53, v53, v54
	v_mul_f32_e32 v54, v60, v92
	;; [unrolled: 4-line block ×8, first 2 shown]
	s_waitcnt vmcnt(11)
	v_fma_f32 v54, v71, v115, -v54
	v_fmac_f32_e32 v127, v56, v107
	v_add_f32_e32 v52, 0, v52
	v_add_f32_e32 v53, v53, v54
	v_mul_f32_e32 v54, v74, v99
	v_fmac_f32_e32 v128, v58, v108
	v_add_f32_e32 v52, v52, v127
	s_waitcnt vmcnt(10)
	v_fma_f32 v54, v73, v116, -v54
	v_fmac_f32_e32 v129, v60, v109
	v_add_f32_e32 v52, v52, v128
	v_add_f32_e32 v53, v53, v54
	v_mul_f32_e32 v54, v76, v100
	v_fmac_f32_e32 v130, v62, v110
	v_add_f32_e32 v52, v52, v129
	;; [unrolled: 8-line block ×7, first 2 shown]
	s_waitcnt vmcnt(4)
	v_fma_f32 v54, v85, v122, -v54
	v_fmac_f32_e32 v141, v84, v121
	v_add_f32_e32 v52, v52, v140
	v_add_f32_e32 v53, v53, v54
	s_waitcnt vmcnt(3)
	v_mul_f32_e32 v54, v88, v123
	v_add_f32_e32 v52, v52, v141
	v_fmac_f32_e32 v142, v86, v122
	v_mul_f32_e32 v127, v87, v123
	s_waitcnt vmcnt(2)
	v_fma_f32 v54, v87, v124, -v54
	v_add_f32_e32 v52, v52, v142
	v_fmac_f32_e32 v127, v88, v124
	v_add_f32_e32 v53, v53, v54
	v_add_f32_e32 v52, v52, v127
	s_waitcnt vmcnt(1)
	v_sub_f32_e32 v53, v125, v53
	s_waitcnt vmcnt(0)
	v_sub_f32_e32 v52, v126, v52
	buffer_store_dword v53, off, s[0:3], 0 offset:48
	buffer_store_dword v52, off, s[0:3], 0 offset:52
	s_and_saveexec_b64 s[4:5], vcc
	s_cbranch_execz .LBB88_153
; %bb.152:
	buffer_load_dword v52, off, s[0:3], 0 offset:40
	buffer_load_dword v53, off, s[0:3], 0 offset:44
	v_mov_b32_e32 v54, 0
	buffer_store_dword v54, off, s[0:3], 0 offset:40
	buffer_store_dword v54, off, s[0:3], 0 offset:44
	s_waitcnt vmcnt(2)
	ds_write_b64 v51, v[52:53]
.LBB88_153:
	s_or_b64 exec, exec, s[4:5]
	s_waitcnt lgkmcnt(0)
	; wave barrier
	buffer_load_dword v91, off, s[0:3], 0 offset:52
	buffer_load_dword v92, off, s[0:3], 0 offset:60
	;; [unrolled: 1-line block ×40, first 2 shown]
	v_mov_b32_e32 v52, 0
	ds_read_b128 v[53:56], v52 offset:256
	ds_read_b128 v[57:60], v52 offset:272
	;; [unrolled: 1-line block ×9, first 2 shown]
	v_cmp_lt_u32_e32 vcc, 4, v0
	s_waitcnt vmcnt(39) lgkmcnt(8)
	v_mul_f32_e32 v89, v53, v91
	s_waitcnt vmcnt(38)
	v_mul_f32_e32 v90, v55, v92
	s_waitcnt vmcnt(37) lgkmcnt(7)
	v_mul_f32_e32 v131, v57, v93
	s_waitcnt vmcnt(36)
	v_mul_f32_e32 v132, v59, v94
	;; [unrolled: 4-line block ×7, first 2 shown]
	s_waitcnt vmcnt(25) lgkmcnt(1)
	v_mul_f32_e32 v143, v81, v105
	s_waitcnt vmcnt(24)
	v_fmac_f32_e32 v89, v54, v106
	v_mul_f32_e32 v54, v54, v91
	v_fma_f32 v53, v53, v106, -v54
	v_mul_f32_e32 v54, v56, v92
	v_add_f32_e32 v53, 0, v53
	s_waitcnt vmcnt(23)
	v_fma_f32 v54, v55, v107, -v54
	v_add_f32_e32 v53, v53, v54
	v_mul_f32_e32 v54, v58, v93
	s_waitcnt vmcnt(22)
	v_fma_f32 v54, v57, v108, -v54
	v_add_f32_e32 v53, v53, v54
	v_mul_f32_e32 v54, v60, v94
	;; [unrolled: 4-line block ×6, first 2 shown]
	s_waitcnt vmcnt(17)
	v_fma_f32 v54, v67, v113, -v54
	v_fmac_f32_e32 v90, v56, v107
	v_add_f32_e32 v89, 0, v89
	v_add_f32_e32 v53, v53, v54
	v_mul_f32_e32 v54, v70, v99
	v_fmac_f32_e32 v131, v58, v108
	v_add_f32_e32 v89, v89, v90
	s_waitcnt vmcnt(16)
	v_fma_f32 v54, v69, v114, -v54
	v_fmac_f32_e32 v132, v60, v109
	v_add_f32_e32 v89, v89, v131
	v_add_f32_e32 v53, v53, v54
	v_mul_f32_e32 v54, v72, v100
	v_fmac_f32_e32 v133, v62, v110
	v_add_f32_e32 v89, v89, v132
	;; [unrolled: 8-line block ×6, first 2 shown]
	s_waitcnt vmcnt(11)
	v_fma_f32 v54, v79, v119, -v54
	v_fmac_f32_e32 v142, v80, v119
	v_add_f32_e32 v89, v89, v141
	v_add_f32_e32 v53, v53, v54
	v_mul_f32_e32 v54, v82, v105
	s_waitcnt vmcnt(10)
	v_fmac_f32_e32 v143, v82, v120
	v_add_f32_e32 v89, v89, v142
	s_waitcnt vmcnt(9)
	v_mul_f32_e32 v90, v83, v121
	v_fma_f32 v54, v81, v120, -v54
	v_add_f32_e32 v89, v89, v143
	s_waitcnt vmcnt(8)
	v_fmac_f32_e32 v90, v84, v122
	v_add_f32_e32 v53, v53, v54
	v_mul_f32_e32 v54, v84, v121
	v_add_f32_e32 v131, v89, v90
	ds_read_b64 v[89:90], v52 offset:400
	v_fma_f32 v54, v83, v122, -v54
	v_add_f32_e32 v53, v53, v54
	s_waitcnt vmcnt(7) lgkmcnt(1)
	v_mul_f32_e32 v54, v86, v123
	v_mul_f32_e32 v132, v85, v123
	s_waitcnt vmcnt(6)
	v_fma_f32 v54, v85, v124, -v54
	v_fmac_f32_e32 v132, v86, v124
	v_add_f32_e32 v53, v53, v54
	s_waitcnt vmcnt(5)
	v_mul_f32_e32 v54, v88, v125
	v_add_f32_e32 v131, v131, v132
	v_mul_f32_e32 v132, v87, v125
	s_waitcnt vmcnt(4)
	v_fma_f32 v54, v87, v126, -v54
	v_fmac_f32_e32 v132, v88, v126
	v_add_f32_e32 v53, v53, v54
	s_waitcnt vmcnt(3) lgkmcnt(0)
	v_mul_f32_e32 v54, v90, v127
	v_add_f32_e32 v131, v131, v132
	v_mul_f32_e32 v132, v89, v127
	s_waitcnt vmcnt(2)
	v_fma_f32 v54, v89, v128, -v54
	v_fmac_f32_e32 v132, v90, v128
	v_add_f32_e32 v53, v53, v54
	v_add_f32_e32 v131, v131, v132
	s_waitcnt vmcnt(1)
	v_sub_f32_e32 v53, v129, v53
	s_waitcnt vmcnt(0)
	v_sub_f32_e32 v54, v130, v131
	buffer_store_dword v53, off, s[0:3], 0 offset:40
	buffer_store_dword v54, off, s[0:3], 0 offset:44
	s_and_saveexec_b64 s[4:5], vcc
	s_cbranch_execz .LBB88_155
; %bb.154:
	buffer_load_dword v53, off, s[0:3], 0 offset:32
	buffer_load_dword v54, off, s[0:3], 0 offset:36
	s_waitcnt vmcnt(0)
	ds_write_b64 v51, v[53:54]
	buffer_store_dword v52, off, s[0:3], 0 offset:32
	buffer_store_dword v52, off, s[0:3], 0 offset:36
.LBB88_155:
	s_or_b64 exec, exec, s[4:5]
	s_waitcnt lgkmcnt(0)
	; wave barrier
	buffer_load_dword v93, off, s[0:3], 0 offset:44
	buffer_load_dword v94, off, s[0:3], 0 offset:52
	;; [unrolled: 1-line block ×42, first 2 shown]
	ds_read2_b64 v[53:56], v52 offset0:31 offset1:32
	ds_read2_b64 v[57:60], v52 offset0:33 offset1:34
	;; [unrolled: 1-line block ×8, first 2 shown]
	v_cmp_lt_u32_e32 vcc, 3, v0
	s_waitcnt vmcnt(41) lgkmcnt(7)
	v_mul_f32_e32 v85, v53, v93
	s_waitcnt vmcnt(40)
	v_mul_f32_e32 v86, v55, v94
	s_waitcnt vmcnt(39) lgkmcnt(6)
	v_mul_f32_e32 v87, v57, v95
	s_waitcnt vmcnt(38)
	v_mul_f32_e32 v88, v59, v96
	;; [unrolled: 4-line block ×7, first 2 shown]
	s_waitcnt vmcnt(27) lgkmcnt(0)
	v_mul_f32_e32 v141, v81, v107
	s_waitcnt vmcnt(26)
	v_fmac_f32_e32 v85, v54, v108
	v_mul_f32_e32 v54, v54, v93
	v_fma_f32 v53, v53, v108, -v54
	v_mul_f32_e32 v54, v56, v94
	v_add_f32_e32 v53, 0, v53
	s_waitcnt vmcnt(25)
	v_fma_f32 v54, v55, v109, -v54
	v_add_f32_e32 v53, v53, v54
	v_mul_f32_e32 v54, v58, v95
	s_waitcnt vmcnt(24)
	v_fma_f32 v54, v57, v110, -v54
	v_add_f32_e32 v53, v53, v54
	v_mul_f32_e32 v54, v60, v96
	;; [unrolled: 4-line block ×5, first 2 shown]
	v_fmac_f32_e32 v86, v56, v109
	v_add_f32_e32 v85, 0, v85
	s_waitcnt vmcnt(20)
	v_fma_f32 v54, v65, v114, -v54
	v_fmac_f32_e32 v87, v58, v110
	v_add_f32_e32 v85, v85, v86
	v_add_f32_e32 v53, v53, v54
	v_mul_f32_e32 v54, v68, v100
	v_fmac_f32_e32 v88, v60, v111
	v_add_f32_e32 v85, v85, v87
	s_waitcnt vmcnt(19)
	v_fma_f32 v54, v67, v115, -v54
	v_fmac_f32_e32 v89, v62, v112
	v_add_f32_e32 v85, v85, v88
	v_add_f32_e32 v53, v53, v54
	v_mul_f32_e32 v54, v70, v101
	;; [unrolled: 8-line block ×5, first 2 shown]
	s_waitcnt vmcnt(15)
	v_fmac_f32_e32 v138, v76, v119
	v_add_f32_e32 v85, v85, v137
	v_fma_f32 v54, v75, v119, -v54
	s_waitcnt vmcnt(14)
	v_fmac_f32_e32 v139, v78, v120
	v_add_f32_e32 v85, v85, v138
	v_add_f32_e32 v53, v53, v54
	v_mul_f32_e32 v54, v78, v105
	s_waitcnt vmcnt(13)
	v_fmac_f32_e32 v140, v80, v121
	v_add_f32_e32 v85, v85, v139
	v_fma_f32 v54, v77, v120, -v54
	s_waitcnt vmcnt(12)
	v_fmac_f32_e32 v141, v82, v122
	v_add_f32_e32 v85, v85, v140
	v_add_f32_e32 v53, v53, v54
	v_mul_f32_e32 v54, v80, v106
	v_add_f32_e32 v89, v85, v141
	ds_read2_b64 v[85:88], v52 offset0:47 offset1:48
	v_fma_f32 v54, v79, v121, -v54
	v_add_f32_e32 v53, v53, v54
	v_mul_f32_e32 v54, v82, v107
	s_waitcnt vmcnt(11)
	v_mul_f32_e32 v90, v83, v123
	v_fma_f32 v54, v81, v122, -v54
	s_waitcnt vmcnt(10)
	v_fmac_f32_e32 v90, v84, v124
	v_add_f32_e32 v53, v53, v54
	v_mul_f32_e32 v54, v84, v123
	v_add_f32_e32 v135, v89, v90
	ds_read2_b64 v[89:92], v52 offset0:49 offset1:50
	v_fma_f32 v54, v83, v124, -v54
	v_add_f32_e32 v53, v53, v54
	s_waitcnt vmcnt(9) lgkmcnt(1)
	v_mul_f32_e32 v54, v86, v125
	v_mul_f32_e32 v52, v85, v125
	s_waitcnt vmcnt(8)
	v_fma_f32 v54, v85, v126, -v54
	v_fmac_f32_e32 v52, v86, v126
	v_add_f32_e32 v53, v53, v54
	s_waitcnt vmcnt(7)
	v_mul_f32_e32 v54, v88, v127
	v_add_f32_e32 v52, v135, v52
	v_mul_f32_e32 v135, v87, v127
	s_waitcnt vmcnt(6)
	v_fma_f32 v54, v87, v128, -v54
	v_fmac_f32_e32 v135, v88, v128
	v_add_f32_e32 v53, v53, v54
	s_waitcnt vmcnt(5) lgkmcnt(0)
	v_mul_f32_e32 v54, v90, v129
	v_add_f32_e32 v52, v52, v135
	v_mul_f32_e32 v135, v89, v129
	s_waitcnt vmcnt(4)
	v_fma_f32 v54, v89, v130, -v54
	v_fmac_f32_e32 v135, v90, v130
	v_add_f32_e32 v53, v53, v54
	s_waitcnt vmcnt(3)
	v_mul_f32_e32 v54, v92, v131
	v_add_f32_e32 v52, v52, v135
	v_mul_f32_e32 v135, v91, v131
	s_waitcnt vmcnt(2)
	v_fma_f32 v54, v91, v132, -v54
	v_fmac_f32_e32 v135, v92, v132
	v_add_f32_e32 v53, v53, v54
	v_add_f32_e32 v52, v52, v135
	s_waitcnt vmcnt(1)
	v_sub_f32_e32 v53, v133, v53
	s_waitcnt vmcnt(0)
	v_sub_f32_e32 v52, v134, v52
	buffer_store_dword v53, off, s[0:3], 0 offset:32
	buffer_store_dword v52, off, s[0:3], 0 offset:36
	s_and_saveexec_b64 s[4:5], vcc
	s_cbranch_execz .LBB88_157
; %bb.156:
	buffer_load_dword v52, off, s[0:3], 0 offset:24
	buffer_load_dword v53, off, s[0:3], 0 offset:28
	v_mov_b32_e32 v54, 0
	buffer_store_dword v54, off, s[0:3], 0 offset:24
	buffer_store_dword v54, off, s[0:3], 0 offset:28
	s_waitcnt vmcnt(2)
	ds_write_b64 v51, v[52:53]
.LBB88_157:
	s_or_b64 exec, exec, s[4:5]
	s_waitcnt lgkmcnt(0)
	; wave barrier
	buffer_load_dword v95, off, s[0:3], 0 offset:36
	buffer_load_dword v96, off, s[0:3], 0 offset:44
	buffer_load_dword v97, off, s[0:3], 0 offset:52
	buffer_load_dword v98, off, s[0:3], 0 offset:60
	buffer_load_dword v99, off, s[0:3], 0 offset:68
	buffer_load_dword v100, off, s[0:3], 0 offset:76
	buffer_load_dword v101, off, s[0:3], 0 offset:84
	buffer_load_dword v102, off, s[0:3], 0 offset:92
	buffer_load_dword v103, off, s[0:3], 0 offset:100
	buffer_load_dword v104, off, s[0:3], 0 offset:108
	buffer_load_dword v105, off, s[0:3], 0 offset:116
	buffer_load_dword v106, off, s[0:3], 0 offset:124
	buffer_load_dword v107, off, s[0:3], 0 offset:132
	buffer_load_dword v108, off, s[0:3], 0 offset:140
	buffer_load_dword v109, off, s[0:3], 0 offset:32
	buffer_load_dword v110, off, s[0:3], 0 offset:40
	buffer_load_dword v111, off, s[0:3], 0 offset:48
	buffer_load_dword v112, off, s[0:3], 0 offset:56
	buffer_load_dword v113, off, s[0:3], 0 offset:64
	buffer_load_dword v114, off, s[0:3], 0 offset:72
	buffer_load_dword v115, off, s[0:3], 0 offset:80
	buffer_load_dword v116, off, s[0:3], 0 offset:88
	buffer_load_dword v117, off, s[0:3], 0 offset:96
	buffer_load_dword v118, off, s[0:3], 0 offset:104
	buffer_load_dword v119, off, s[0:3], 0 offset:112
	buffer_load_dword v120, off, s[0:3], 0 offset:120
	buffer_load_dword v121, off, s[0:3], 0 offset:128
	buffer_load_dword v122, off, s[0:3], 0 offset:136
	buffer_load_dword v123, off, s[0:3], 0 offset:148
	buffer_load_dword v124, off, s[0:3], 0 offset:144
	buffer_load_dword v125, off, s[0:3], 0 offset:156
	buffer_load_dword v126, off, s[0:3], 0 offset:152
	buffer_load_dword v127, off, s[0:3], 0 offset:164
	buffer_load_dword v128, off, s[0:3], 0 offset:160
	buffer_load_dword v129, off, s[0:3], 0 offset:172
	buffer_load_dword v130, off, s[0:3], 0 offset:168
	buffer_load_dword v131, off, s[0:3], 0 offset:180
	buffer_load_dword v132, off, s[0:3], 0 offset:176
	buffer_load_dword v133, off, s[0:3], 0 offset:188
	buffer_load_dword v134, off, s[0:3], 0 offset:184
	buffer_load_dword v135, off, s[0:3], 0 offset:196
	buffer_load_dword v136, off, s[0:3], 0 offset:192
	buffer_load_dword v137, off, s[0:3], 0 offset:24
	buffer_load_dword v138, off, s[0:3], 0 offset:28
	v_mov_b32_e32 v52, 0
	ds_read_b128 v[53:56], v52 offset:240
	ds_read_b128 v[57:60], v52 offset:256
	ds_read_b128 v[61:64], v52 offset:272
	ds_read_b128 v[65:68], v52 offset:288
	ds_read_b128 v[69:72], v52 offset:304
	ds_read_b128 v[73:76], v52 offset:320
	ds_read_b128 v[77:80], v52 offset:336
	ds_read_b128 v[81:84], v52 offset:352
	v_cmp_lt_u32_e32 vcc, 2, v0
	s_waitcnt vmcnt(43) lgkmcnt(7)
	v_mul_f32_e32 v85, v53, v95
	s_waitcnt vmcnt(42)
	v_mul_f32_e32 v86, v55, v96
	s_waitcnt vmcnt(41) lgkmcnt(6)
	v_mul_f32_e32 v87, v57, v97
	s_waitcnt vmcnt(40)
	v_mul_f32_e32 v88, v59, v98
	;; [unrolled: 4-line block ×7, first 2 shown]
	s_waitcnt vmcnt(29)
	v_fmac_f32_e32 v85, v54, v109
	v_mul_f32_e32 v54, v54, v95
	v_fma_f32 v53, v53, v109, -v54
	v_mul_f32_e32 v54, v56, v96
	v_add_f32_e32 v53, 0, v53
	s_waitcnt vmcnt(28)
	v_fma_f32 v54, v55, v110, -v54
	v_add_f32_e32 v53, v53, v54
	v_mul_f32_e32 v54, v58, v97
	s_waitcnt vmcnt(27)
	v_fma_f32 v54, v57, v111, -v54
	v_add_f32_e32 v53, v53, v54
	v_mul_f32_e32 v54, v60, v98
	;; [unrolled: 4-line block ×4, first 2 shown]
	s_waitcnt vmcnt(24)
	v_fma_f32 v54, v63, v114, -v54
	v_fmac_f32_e32 v86, v56, v110
	v_add_f32_e32 v85, 0, v85
	v_add_f32_e32 v53, v53, v54
	v_mul_f32_e32 v54, v66, v101
	v_fmac_f32_e32 v87, v58, v111
	v_add_f32_e32 v85, v85, v86
	s_waitcnt vmcnt(23)
	v_fma_f32 v54, v65, v115, -v54
	v_fmac_f32_e32 v88, v60, v112
	v_add_f32_e32 v85, v85, v87
	v_add_f32_e32 v53, v53, v54
	v_mul_f32_e32 v54, v68, v102
	v_fmac_f32_e32 v89, v62, v113
	v_add_f32_e32 v85, v85, v88
	;; [unrolled: 8-line block ×4, first 2 shown]
	s_waitcnt vmcnt(20)
	v_fma_f32 v54, v71, v118, -v54
	v_fmac_f32_e32 v94, v72, v118
	v_add_f32_e32 v85, v85, v93
	v_add_f32_e32 v53, v53, v54
	v_mul_f32_e32 v54, v74, v105
	s_waitcnt vmcnt(19)
	v_fmac_f32_e32 v139, v74, v119
	v_add_f32_e32 v85, v85, v94
	v_fma_f32 v54, v73, v119, -v54
	s_waitcnt vmcnt(18)
	v_fmac_f32_e32 v140, v76, v120
	v_add_f32_e32 v85, v85, v139
	v_add_f32_e32 v53, v53, v54
	v_mul_f32_e32 v54, v76, v106
	s_waitcnt vmcnt(17)
	v_fmac_f32_e32 v141, v78, v121
	v_add_f32_e32 v85, v85, v140
	v_fma_f32 v54, v75, v120, -v54
	v_add_f32_e32 v85, v85, v141
	s_waitcnt vmcnt(16)
	v_fmac_f32_e32 v142, v80, v122
	s_waitcnt vmcnt(15) lgkmcnt(0)
	v_mul_f32_e32 v86, v81, v123
	v_add_f32_e32 v53, v53, v54
	v_mul_f32_e32 v54, v78, v107
	v_add_f32_e32 v85, v85, v142
	s_waitcnt vmcnt(14)
	v_fmac_f32_e32 v86, v82, v124
	v_fma_f32 v54, v77, v121, -v54
	v_add_f32_e32 v89, v85, v86
	ds_read_b128 v[85:88], v52 offset:368
	v_add_f32_e32 v53, v53, v54
	v_mul_f32_e32 v54, v80, v108
	v_fma_f32 v54, v79, v122, -v54
	v_add_f32_e32 v53, v53, v54
	v_mul_f32_e32 v54, v82, v123
	s_waitcnt vmcnt(13)
	v_mul_f32_e32 v90, v83, v125
	v_fma_f32 v54, v81, v124, -v54
	s_waitcnt vmcnt(12)
	v_fmac_f32_e32 v90, v84, v126
	v_add_f32_e32 v53, v53, v54
	v_mul_f32_e32 v54, v84, v125
	v_add_f32_e32 v93, v89, v90
	ds_read_b128 v[89:92], v52 offset:384
	s_waitcnt vmcnt(11) lgkmcnt(1)
	v_mul_f32_e32 v94, v85, v127
	v_fma_f32 v54, v83, v126, -v54
	s_waitcnt vmcnt(10)
	v_fmac_f32_e32 v94, v86, v128
	v_add_f32_e32 v53, v53, v54
	v_mul_f32_e32 v54, v86, v127
	v_add_f32_e32 v93, v93, v94
	s_waitcnt vmcnt(9)
	v_mul_f32_e32 v94, v87, v129
	v_fma_f32 v54, v85, v128, -v54
	s_waitcnt vmcnt(8)
	v_fmac_f32_e32 v94, v88, v130
	v_add_f32_e32 v53, v53, v54
	v_mul_f32_e32 v54, v88, v129
	v_add_f32_e32 v139, v93, v94
	ds_read_b64 v[93:94], v52 offset:400
	v_fma_f32 v54, v87, v130, -v54
	v_add_f32_e32 v53, v53, v54
	s_waitcnt vmcnt(7) lgkmcnt(1)
	v_mul_f32_e32 v54, v90, v131
	v_mul_f32_e32 v140, v89, v131
	s_waitcnt vmcnt(6)
	v_fma_f32 v54, v89, v132, -v54
	v_fmac_f32_e32 v140, v90, v132
	v_add_f32_e32 v53, v53, v54
	s_waitcnt vmcnt(5)
	v_mul_f32_e32 v54, v92, v133
	v_add_f32_e32 v139, v139, v140
	v_mul_f32_e32 v140, v91, v133
	s_waitcnt vmcnt(4)
	v_fma_f32 v54, v91, v134, -v54
	v_fmac_f32_e32 v140, v92, v134
	v_add_f32_e32 v53, v53, v54
	s_waitcnt vmcnt(3) lgkmcnt(0)
	v_mul_f32_e32 v54, v94, v135
	v_add_f32_e32 v139, v139, v140
	v_mul_f32_e32 v140, v93, v135
	s_waitcnt vmcnt(2)
	v_fma_f32 v54, v93, v136, -v54
	v_fmac_f32_e32 v140, v94, v136
	v_add_f32_e32 v53, v53, v54
	v_add_f32_e32 v139, v139, v140
	s_waitcnt vmcnt(1)
	v_sub_f32_e32 v53, v137, v53
	s_waitcnt vmcnt(0)
	v_sub_f32_e32 v54, v138, v139
	buffer_store_dword v53, off, s[0:3], 0 offset:24
	buffer_store_dword v54, off, s[0:3], 0 offset:28
	s_and_saveexec_b64 s[4:5], vcc
	s_cbranch_execz .LBB88_159
; %bb.158:
	buffer_load_dword v53, off, s[0:3], 0 offset:16
	buffer_load_dword v54, off, s[0:3], 0 offset:20
	s_waitcnt vmcnt(0)
	ds_write_b64 v51, v[53:54]
	buffer_store_dword v52, off, s[0:3], 0 offset:16
	buffer_store_dword v52, off, s[0:3], 0 offset:20
.LBB88_159:
	s_or_b64 exec, exec, s[4:5]
	s_waitcnt lgkmcnt(0)
	; wave barrier
	buffer_load_dword v97, off, s[0:3], 0 offset:28
	buffer_load_dword v98, off, s[0:3], 0 offset:36
	;; [unrolled: 1-line block ×46, first 2 shown]
	ds_read2_b64 v[53:56], v52 offset0:29 offset1:30
	ds_read2_b64 v[57:60], v52 offset0:31 offset1:32
	;; [unrolled: 1-line block ×8, first 2 shown]
	v_cmp_lt_u32_e32 vcc, 1, v0
	s_waitcnt vmcnt(45) lgkmcnt(7)
	v_mul_f32_e32 v85, v53, v97
	s_waitcnt vmcnt(44)
	v_mul_f32_e32 v86, v55, v98
	s_waitcnt vmcnt(43) lgkmcnt(6)
	v_mul_f32_e32 v87, v57, v99
	s_waitcnt vmcnt(42)
	v_mul_f32_e32 v88, v59, v100
	;; [unrolled: 4-line block ×6, first 2 shown]
	s_waitcnt vmcnt(33) lgkmcnt(1)
	v_mul_f32_e32 v143, v77, v109
	s_waitcnt vmcnt(32)
	v_fmac_f32_e32 v85, v54, v110
	v_mul_f32_e32 v54, v54, v97
	v_fma_f32 v53, v53, v110, -v54
	v_mul_f32_e32 v54, v56, v98
	v_add_f32_e32 v53, 0, v53
	s_waitcnt vmcnt(31)
	v_fma_f32 v54, v55, v111, -v54
	v_add_f32_e32 v53, v53, v54
	v_mul_f32_e32 v54, v58, v99
	s_waitcnt vmcnt(30)
	v_fma_f32 v54, v57, v112, -v54
	v_add_f32_e32 v53, v53, v54
	v_mul_f32_e32 v54, v60, v100
	;; [unrolled: 4-line block ×4, first 2 shown]
	v_fmac_f32_e32 v86, v56, v111
	v_add_f32_e32 v85, 0, v85
	s_waitcnt vmcnt(27)
	v_fma_f32 v54, v63, v115, -v54
	v_fmac_f32_e32 v87, v58, v112
	v_add_f32_e32 v85, v85, v86
	v_add_f32_e32 v53, v53, v54
	v_mul_f32_e32 v54, v66, v103
	v_fmac_f32_e32 v88, v60, v113
	v_add_f32_e32 v85, v85, v87
	s_waitcnt vmcnt(26)
	v_fma_f32 v54, v65, v116, -v54
	v_fmac_f32_e32 v89, v62, v114
	v_add_f32_e32 v85, v85, v88
	v_add_f32_e32 v53, v53, v54
	v_mul_f32_e32 v54, v68, v104
	;; [unrolled: 8-line block ×4, first 2 shown]
	s_waitcnt vmcnt(23)
	v_fmac_f32_e32 v94, v72, v119
	v_add_f32_e32 v85, v85, v93
	v_fma_f32 v54, v71, v119, -v54
	s_waitcnt vmcnt(22)
	v_fmac_f32_e32 v95, v74, v120
	v_add_f32_e32 v85, v85, v94
	v_add_f32_e32 v53, v53, v54
	v_mul_f32_e32 v54, v74, v107
	s_waitcnt vmcnt(21)
	v_fmac_f32_e32 v96, v76, v121
	v_add_f32_e32 v85, v85, v95
	v_fma_f32 v54, v73, v120, -v54
	s_waitcnt vmcnt(20)
	v_fmac_f32_e32 v143, v78, v122
	v_add_f32_e32 v85, v85, v96
	s_waitcnt vmcnt(19)
	v_mul_f32_e32 v86, v79, v123
	v_add_f32_e32 v53, v53, v54
	v_mul_f32_e32 v54, v76, v108
	v_add_f32_e32 v85, v85, v143
	s_waitcnt vmcnt(18)
	v_fmac_f32_e32 v86, v80, v124
	v_fma_f32 v54, v75, v121, -v54
	v_add_f32_e32 v85, v85, v86
	s_waitcnt vmcnt(17) lgkmcnt(0)
	v_mul_f32_e32 v86, v81, v125
	v_add_f32_e32 v53, v53, v54
	v_mul_f32_e32 v54, v78, v109
	s_waitcnt vmcnt(16)
	v_fmac_f32_e32 v86, v82, v126
	v_fma_f32 v54, v77, v122, -v54
	v_add_f32_e32 v89, v85, v86
	ds_read2_b64 v[85:88], v52 offset0:45 offset1:46
	v_add_f32_e32 v53, v53, v54
	v_mul_f32_e32 v54, v80, v123
	v_fma_f32 v54, v79, v124, -v54
	v_add_f32_e32 v53, v53, v54
	v_mul_f32_e32 v54, v82, v125
	s_waitcnt vmcnt(15)
	v_mul_f32_e32 v90, v83, v127
	v_fma_f32 v54, v81, v126, -v54
	s_waitcnt vmcnt(14)
	v_fmac_f32_e32 v90, v84, v128
	v_add_f32_e32 v53, v53, v54
	v_mul_f32_e32 v54, v84, v127
	v_add_f32_e32 v93, v89, v90
	ds_read2_b64 v[89:92], v52 offset0:47 offset1:48
	s_waitcnt vmcnt(13) lgkmcnt(1)
	v_mul_f32_e32 v94, v85, v129
	v_fma_f32 v54, v83, v128, -v54
	s_waitcnt vmcnt(12)
	v_fmac_f32_e32 v94, v86, v130
	v_add_f32_e32 v53, v53, v54
	v_mul_f32_e32 v54, v86, v129
	v_add_f32_e32 v93, v93, v94
	s_waitcnt vmcnt(11)
	v_mul_f32_e32 v94, v87, v131
	v_fma_f32 v54, v85, v130, -v54
	s_waitcnt vmcnt(10)
	v_fmac_f32_e32 v94, v88, v132
	v_add_f32_e32 v53, v53, v54
	v_mul_f32_e32 v54, v88, v131
	v_add_f32_e32 v143, v93, v94
	ds_read2_b64 v[93:96], v52 offset0:49 offset1:50
	v_fma_f32 v54, v87, v132, -v54
	v_add_f32_e32 v53, v53, v54
	s_waitcnt vmcnt(9) lgkmcnt(1)
	v_mul_f32_e32 v54, v90, v133
	v_mul_f32_e32 v144, v89, v133
	s_waitcnt vmcnt(8)
	v_fma_f32 v54, v89, v134, -v54
	v_fmac_f32_e32 v144, v90, v134
	v_add_f32_e32 v53, v53, v54
	s_waitcnt vmcnt(7)
	v_mul_f32_e32 v54, v92, v135
	v_add_f32_e32 v52, v143, v144
	v_mul_f32_e32 v143, v91, v135
	s_waitcnt vmcnt(6)
	v_fma_f32 v54, v91, v136, -v54
	v_fmac_f32_e32 v143, v92, v136
	v_add_f32_e32 v53, v53, v54
	s_waitcnt vmcnt(5) lgkmcnt(0)
	v_mul_f32_e32 v54, v94, v137
	v_add_f32_e32 v52, v52, v143
	v_mul_f32_e32 v143, v93, v137
	s_waitcnt vmcnt(4)
	v_fma_f32 v54, v93, v138, -v54
	v_fmac_f32_e32 v143, v94, v138
	v_add_f32_e32 v53, v53, v54
	s_waitcnt vmcnt(3)
	v_mul_f32_e32 v54, v96, v139
	v_add_f32_e32 v52, v52, v143
	v_mul_f32_e32 v143, v95, v139
	s_waitcnt vmcnt(2)
	v_fma_f32 v54, v95, v140, -v54
	v_fmac_f32_e32 v143, v96, v140
	v_add_f32_e32 v53, v53, v54
	v_add_f32_e32 v52, v52, v143
	s_waitcnt vmcnt(1)
	v_sub_f32_e32 v53, v141, v53
	s_waitcnt vmcnt(0)
	v_sub_f32_e32 v52, v142, v52
	buffer_store_dword v53, off, s[0:3], 0 offset:16
	buffer_store_dword v52, off, s[0:3], 0 offset:20
	s_and_saveexec_b64 s[4:5], vcc
	s_cbranch_execz .LBB88_161
; %bb.160:
	buffer_load_dword v52, off, s[0:3], 0 offset:8
	buffer_load_dword v53, off, s[0:3], 0 offset:12
	v_mov_b32_e32 v54, 0
	buffer_store_dword v54, off, s[0:3], 0 offset:8
	buffer_store_dword v54, off, s[0:3], 0 offset:12
	s_waitcnt vmcnt(2)
	ds_write_b64 v51, v[52:53]
.LBB88_161:
	s_or_b64 exec, exec, s[4:5]
	s_waitcnt lgkmcnt(0)
	; wave barrier
	buffer_load_dword v99, off, s[0:3], 0 offset:20
	buffer_load_dword v100, off, s[0:3], 0 offset:28
	;; [unrolled: 1-line block ×48, first 2 shown]
	v_mov_b32_e32 v52, 0
	ds_read_b128 v[53:56], v52 offset:224
	ds_read_b128 v[57:60], v52 offset:240
	;; [unrolled: 1-line block ×7, first 2 shown]
	v_cmp_ne_u32_e32 vcc, 0, v0
	s_waitcnt vmcnt(47) lgkmcnt(6)
	v_mul_f32_e32 v81, v53, v99
	s_waitcnt vmcnt(46)
	v_mul_f32_e32 v82, v55, v100
	s_waitcnt vmcnt(45) lgkmcnt(5)
	v_mul_f32_e32 v83, v57, v101
	s_waitcnt vmcnt(44)
	v_mul_f32_e32 v84, v59, v102
	;; [unrolled: 4-line block ×6, first 2 shown]
	s_waitcnt vmcnt(35)
	v_fmac_f32_e32 v81, v54, v111
	v_mul_f32_e32 v54, v54, v99
	v_fma_f32 v53, v53, v111, -v54
	v_mul_f32_e32 v54, v56, v100
	v_add_f32_e32 v53, 0, v53
	s_waitcnt vmcnt(34)
	v_fma_f32 v54, v55, v112, -v54
	v_add_f32_e32 v53, v53, v54
	v_mul_f32_e32 v54, v58, v101
	s_waitcnt vmcnt(33)
	v_fma_f32 v54, v57, v113, -v54
	v_fmac_f32_e32 v82, v56, v112
	v_add_f32_e32 v81, 0, v81
	v_add_f32_e32 v53, v53, v54
	v_mul_f32_e32 v54, v60, v102
	v_fmac_f32_e32 v83, v58, v113
	v_add_f32_e32 v81, v81, v82
	s_waitcnt vmcnt(32)
	v_fma_f32 v54, v59, v114, -v54
	v_fmac_f32_e32 v84, v60, v114
	v_add_f32_e32 v81, v81, v83
	v_add_f32_e32 v53, v53, v54
	v_mul_f32_e32 v54, v62, v103
	s_waitcnt vmcnt(31)
	v_fmac_f32_e32 v85, v62, v115
	v_add_f32_e32 v81, v81, v84
	v_fma_f32 v54, v61, v115, -v54
	s_waitcnt vmcnt(30)
	v_fmac_f32_e32 v86, v64, v116
	v_add_f32_e32 v81, v81, v85
	v_add_f32_e32 v53, v53, v54
	v_mul_f32_e32 v54, v64, v104
	s_waitcnt vmcnt(29)
	v_fmac_f32_e32 v87, v66, v117
	v_add_f32_e32 v81, v81, v86
	v_fma_f32 v54, v63, v116, -v54
	s_waitcnt vmcnt(28)
	v_fmac_f32_e32 v88, v68, v118
	v_add_f32_e32 v81, v81, v87
	v_add_f32_e32 v53, v53, v54
	v_mul_f32_e32 v54, v66, v105
	s_waitcnt vmcnt(27)
	v_fmac_f32_e32 v89, v70, v119
	v_add_f32_e32 v81, v81, v88
	v_fma_f32 v54, v65, v117, -v54
	s_waitcnt vmcnt(26)
	v_fmac_f32_e32 v90, v72, v120
	v_add_f32_e32 v81, v81, v89
	v_add_f32_e32 v53, v53, v54
	v_mul_f32_e32 v54, v68, v106
	s_waitcnt vmcnt(25)
	v_fmac_f32_e32 v91, v74, v121
	v_add_f32_e32 v81, v81, v90
	v_fma_f32 v54, v67, v118, -v54
	s_waitcnt vmcnt(24)
	v_fmac_f32_e32 v92, v76, v122
	v_add_f32_e32 v81, v81, v91
	v_add_f32_e32 v53, v53, v54
	v_mul_f32_e32 v54, v70, v107
	v_add_f32_e32 v85, v81, v92
	ds_read_b128 v[81:84], v52 offset:336
	v_fma_f32 v54, v69, v119, -v54
	s_waitcnt vmcnt(23) lgkmcnt(1)
	v_mul_f32_e32 v86, v77, v123
	v_add_f32_e32 v53, v53, v54
	v_mul_f32_e32 v54, v72, v108
	s_waitcnt vmcnt(22)
	v_fmac_f32_e32 v86, v78, v124
	v_fma_f32 v54, v71, v120, -v54
	v_add_f32_e32 v85, v85, v86
	s_waitcnt vmcnt(21)
	v_mul_f32_e32 v86, v79, v125
	v_add_f32_e32 v53, v53, v54
	v_mul_f32_e32 v54, v74, v109
	s_waitcnt vmcnt(20)
	v_fmac_f32_e32 v86, v80, v126
	v_fma_f32 v54, v73, v121, -v54
	v_add_f32_e32 v85, v85, v86
	s_waitcnt vmcnt(19) lgkmcnt(0)
	v_mul_f32_e32 v86, v81, v127
	v_add_f32_e32 v53, v53, v54
	v_mul_f32_e32 v54, v76, v110
	s_waitcnt vmcnt(18)
	v_fmac_f32_e32 v86, v82, v128
	v_fma_f32 v54, v75, v122, -v54
	v_add_f32_e32 v89, v85, v86
	ds_read_b128 v[85:88], v52 offset:352
	v_add_f32_e32 v53, v53, v54
	v_mul_f32_e32 v54, v78, v123
	v_fma_f32 v54, v77, v124, -v54
	s_waitcnt vmcnt(17)
	v_mul_f32_e32 v90, v83, v129
	v_add_f32_e32 v53, v53, v54
	v_mul_f32_e32 v54, v80, v125
	s_waitcnt vmcnt(16)
	v_fmac_f32_e32 v90, v84, v130
	v_fma_f32 v54, v79, v126, -v54
	v_add_f32_e32 v93, v89, v90
	ds_read_b128 v[89:92], v52 offset:368
	v_add_f32_e32 v53, v53, v54
	v_mul_f32_e32 v54, v82, v127
	s_waitcnt vmcnt(15) lgkmcnt(1)
	v_mul_f32_e32 v94, v85, v131
	v_fma_f32 v54, v81, v128, -v54
	s_waitcnt vmcnt(14)
	v_fmac_f32_e32 v94, v86, v132
	v_add_f32_e32 v53, v53, v54
	v_mul_f32_e32 v54, v84, v129
	v_add_f32_e32 v93, v93, v94
	s_waitcnt vmcnt(13)
	v_mul_f32_e32 v94, v87, v133
	v_fma_f32 v54, v83, v130, -v54
	s_waitcnt vmcnt(12)
	v_fmac_f32_e32 v94, v88, v134
	v_add_f32_e32 v53, v53, v54
	v_mul_f32_e32 v54, v86, v131
	v_add_f32_e32 v93, v93, v94
	s_waitcnt vmcnt(11) lgkmcnt(0)
	v_mul_f32_e32 v94, v89, v135
	v_fma_f32 v54, v85, v132, -v54
	s_waitcnt vmcnt(10)
	v_fmac_f32_e32 v94, v90, v136
	v_add_f32_e32 v53, v53, v54
	v_mul_f32_e32 v54, v88, v133
	v_add_f32_e32 v97, v93, v94
	ds_read_b128 v[93:96], v52 offset:384
	v_fma_f32 v54, v87, v134, -v54
	v_add_f32_e32 v53, v53, v54
	v_mul_f32_e32 v54, v90, v135
	s_waitcnt vmcnt(9)
	v_mul_f32_e32 v98, v91, v137
	v_fma_f32 v54, v89, v136, -v54
	s_waitcnt vmcnt(8)
	v_fmac_f32_e32 v98, v92, v138
	v_add_f32_e32 v53, v53, v54
	v_mul_f32_e32 v54, v92, v137
	v_add_f32_e32 v147, v97, v98
	ds_read_b64 v[97:98], v52 offset:400
	v_fma_f32 v54, v91, v138, -v54
	v_add_f32_e32 v53, v53, v54
	s_waitcnt vmcnt(6) lgkmcnt(1)
	v_mul_f32_e32 v54, v94, v140
	v_mul_f32_e32 v148, v93, v140
	v_fma_f32 v54, v93, v139, -v54
	v_fmac_f32_e32 v148, v94, v139
	v_add_f32_e32 v53, v53, v54
	s_waitcnt vmcnt(3)
	v_mul_f32_e32 v54, v96, v143
	v_add_f32_e32 v147, v147, v148
	v_mul_f32_e32 v148, v95, v143
	s_waitcnt vmcnt(2)
	v_fma_f32 v54, v95, v144, -v54
	v_fmac_f32_e32 v148, v96, v144
	v_add_f32_e32 v53, v53, v54
	s_waitcnt vmcnt(0) lgkmcnt(0)
	v_mul_f32_e32 v54, v98, v146
	v_add_f32_e32 v147, v147, v148
	v_mul_f32_e32 v148, v97, v146
	v_fma_f32 v54, v97, v145, -v54
	v_fmac_f32_e32 v148, v98, v145
	v_add_f32_e32 v53, v53, v54
	v_add_f32_e32 v147, v147, v148
	v_sub_f32_e32 v53, v141, v53
	v_sub_f32_e32 v54, v142, v147
	buffer_store_dword v53, off, s[0:3], 0 offset:8
	buffer_store_dword v54, off, s[0:3], 0 offset:12
	s_and_saveexec_b64 s[4:5], vcc
	s_cbranch_execz .LBB88_163
; %bb.162:
	buffer_load_dword v53, off, s[0:3], 0
	buffer_load_dword v54, off, s[0:3], 0 offset:4
	s_waitcnt vmcnt(0)
	ds_write_b64 v51, v[53:54]
	buffer_store_dword v52, off, s[0:3], 0
	buffer_store_dword v52, off, s[0:3], 0 offset:4
.LBB88_163:
	s_or_b64 exec, exec, s[4:5]
	s_waitcnt lgkmcnt(0)
	; wave barrier
	buffer_load_dword v0, off, s[0:3], 0 offset:12
	buffer_load_dword v51, off, s[0:3], 0 offset:20
	buffer_load_dword v101, off, s[0:3], 0 offset:28
	buffer_load_dword v102, off, s[0:3], 0 offset:36
	buffer_load_dword v103, off, s[0:3], 0 offset:44
	buffer_load_dword v104, off, s[0:3], 0 offset:52
	buffer_load_dword v105, off, s[0:3], 0 offset:60
	buffer_load_dword v106, off, s[0:3], 0 offset:68
	buffer_load_dword v107, off, s[0:3], 0 offset:76
	buffer_load_dword v108, off, s[0:3], 0 offset:84
	buffer_load_dword v109, off, s[0:3], 0 offset:92
	buffer_load_dword v110, off, s[0:3], 0 offset:100
	buffer_load_dword v111, off, s[0:3], 0 offset:8
	buffer_load_dword v112, off, s[0:3], 0 offset:16
	buffer_load_dword v113, off, s[0:3], 0 offset:24
	buffer_load_dword v114, off, s[0:3], 0 offset:32
	buffer_load_dword v115, off, s[0:3], 0 offset:40
	buffer_load_dword v116, off, s[0:3], 0 offset:48
	buffer_load_dword v117, off, s[0:3], 0 offset:56
	buffer_load_dword v118, off, s[0:3], 0 offset:64
	buffer_load_dword v119, off, s[0:3], 0 offset:72
	buffer_load_dword v120, off, s[0:3], 0 offset:80
	buffer_load_dword v121, off, s[0:3], 0 offset:88
	buffer_load_dword v122, off, s[0:3], 0 offset:96
	buffer_load_dword v123, off, s[0:3], 0 offset:108
	buffer_load_dword v124, off, s[0:3], 0 offset:104
	buffer_load_dword v125, off, s[0:3], 0 offset:116
	buffer_load_dword v126, off, s[0:3], 0 offset:112
	buffer_load_dword v127, off, s[0:3], 0 offset:124
	buffer_load_dword v128, off, s[0:3], 0 offset:120
	buffer_load_dword v129, off, s[0:3], 0 offset:132
	buffer_load_dword v130, off, s[0:3], 0 offset:128
	buffer_load_dword v131, off, s[0:3], 0 offset:140
	buffer_load_dword v132, off, s[0:3], 0 offset:136
	buffer_load_dword v133, off, s[0:3], 0 offset:148
	buffer_load_dword v134, off, s[0:3], 0 offset:144
	buffer_load_dword v135, off, s[0:3], 0 offset:156
	buffer_load_dword v136, off, s[0:3], 0 offset:152
	buffer_load_dword v137, off, s[0:3], 0 offset:164
	buffer_load_dword v138, off, s[0:3], 0 offset:160
	buffer_load_dword v139, off, s[0:3], 0
	buffer_load_dword v140, off, s[0:3], 0 offset:4
	buffer_load_dword v141, off, s[0:3], 0 offset:172
	;; [unrolled: 1-line block ×7, first 2 shown]
	ds_read2_b64 v[53:56], v52 offset0:27 offset1:28
	ds_read2_b64 v[57:60], v52 offset0:29 offset1:30
	buffer_load_dword v147, off, s[0:3], 0 offset:192
	buffer_load_dword v148, off, s[0:3], 0 offset:196
	ds_read2_b64 v[61:64], v52 offset0:31 offset1:32
	ds_read2_b64 v[65:68], v52 offset0:33 offset1:34
	;; [unrolled: 1-line block ×5, first 2 shown]
	s_and_b64 vcc, exec, s[14:15]
	s_waitcnt vmcnt(49) lgkmcnt(6)
	v_mul_f32_e32 v81, v53, v0
	v_mul_f32_e32 v0, v54, v0
	s_waitcnt vmcnt(48)
	v_mul_f32_e32 v82, v55, v51
	v_mul_f32_e32 v51, v56, v51
	s_waitcnt vmcnt(47) lgkmcnt(5)
	v_mul_f32_e32 v83, v57, v101
	s_waitcnt vmcnt(46)
	v_mul_f32_e32 v84, v59, v102
	s_waitcnt vmcnt(45) lgkmcnt(4)
	v_mul_f32_e32 v85, v61, v103
	s_waitcnt vmcnt(44)
	;; [unrolled: 4-line block ×4, first 2 shown]
	v_mul_f32_e32 v90, v71, v108
	s_waitcnt vmcnt(37)
	v_fma_f32 v0, v53, v111, -v0
	v_add_f32_e32 v0, 0, v0
	s_waitcnt vmcnt(36)
	v_fma_f32 v51, v55, v112, -v51
	v_add_f32_e32 v0, v0, v51
	v_mul_f32_e32 v51, v58, v101
	v_fmac_f32_e32 v81, v54, v111
	s_waitcnt vmcnt(35)
	v_fma_f32 v51, v57, v113, -v51
	v_fmac_f32_e32 v82, v56, v112
	v_add_f32_e32 v81, 0, v81
	v_add_f32_e32 v0, v0, v51
	v_mul_f32_e32 v51, v60, v102
	v_fmac_f32_e32 v83, v58, v113
	v_add_f32_e32 v81, v81, v82
	s_waitcnt vmcnt(34)
	v_fma_f32 v51, v59, v114, -v51
	v_fmac_f32_e32 v84, v60, v114
	v_add_f32_e32 v81, v81, v83
	v_add_f32_e32 v0, v0, v51
	v_mul_f32_e32 v51, v62, v103
	s_waitcnt vmcnt(33)
	v_fmac_f32_e32 v85, v62, v115
	v_add_f32_e32 v81, v81, v84
	v_fma_f32 v51, v61, v115, -v51
	s_waitcnt vmcnt(32)
	v_fmac_f32_e32 v86, v64, v116
	v_add_f32_e32 v81, v81, v85
	v_add_f32_e32 v0, v0, v51
	v_mul_f32_e32 v51, v64, v104
	s_waitcnt vmcnt(31)
	v_fmac_f32_e32 v87, v66, v117
	v_add_f32_e32 v81, v81, v86
	v_fma_f32 v51, v63, v116, -v51
	s_waitcnt vmcnt(30)
	v_fmac_f32_e32 v88, v68, v118
	v_add_f32_e32 v81, v81, v87
	v_add_f32_e32 v0, v0, v51
	v_mul_f32_e32 v51, v66, v105
	s_waitcnt vmcnt(29)
	v_fmac_f32_e32 v89, v70, v119
	v_add_f32_e32 v81, v81, v88
	v_fma_f32 v51, v65, v117, -v51
	s_waitcnt lgkmcnt(1)
	v_mul_f32_e32 v91, v73, v109
	s_waitcnt vmcnt(28)
	v_fmac_f32_e32 v90, v72, v120
	v_add_f32_e32 v81, v81, v89
	v_add_f32_e32 v0, v0, v51
	v_mul_f32_e32 v51, v68, v106
	v_mul_f32_e32 v92, v75, v110
	s_waitcnt vmcnt(27)
	v_fmac_f32_e32 v91, v74, v121
	v_add_f32_e32 v81, v81, v90
	v_fma_f32 v51, v67, v118, -v51
	v_add_f32_e32 v81, v81, v91
	s_waitcnt vmcnt(26)
	v_fmac_f32_e32 v92, v76, v122
	v_add_f32_e32 v0, v0, v51
	v_mul_f32_e32 v51, v70, v107
	v_add_f32_e32 v85, v81, v92
	ds_read2_b64 v[81:84], v52 offset0:41 offset1:42
	v_fma_f32 v51, v69, v119, -v51
	s_waitcnt vmcnt(25) lgkmcnt(1)
	v_mul_f32_e32 v86, v77, v123
	v_add_f32_e32 v0, v0, v51
	v_mul_f32_e32 v51, v72, v108
	s_waitcnt vmcnt(24)
	v_fmac_f32_e32 v86, v78, v124
	v_fma_f32 v51, v71, v120, -v51
	v_add_f32_e32 v85, v85, v86
	s_waitcnt vmcnt(23)
	v_mul_f32_e32 v86, v79, v125
	v_add_f32_e32 v0, v0, v51
	v_mul_f32_e32 v51, v74, v109
	s_waitcnt vmcnt(22)
	v_fmac_f32_e32 v86, v80, v126
	v_fma_f32 v51, v73, v121, -v51
	v_add_f32_e32 v85, v85, v86
	s_waitcnt vmcnt(21) lgkmcnt(0)
	v_mul_f32_e32 v86, v81, v127
	v_add_f32_e32 v0, v0, v51
	v_mul_f32_e32 v51, v76, v110
	s_waitcnt vmcnt(20)
	v_fmac_f32_e32 v86, v82, v128
	v_fma_f32 v51, v75, v122, -v51
	v_add_f32_e32 v89, v85, v86
	ds_read2_b64 v[85:88], v52 offset0:43 offset1:44
	v_add_f32_e32 v0, v0, v51
	v_mul_f32_e32 v51, v78, v123
	v_fma_f32 v51, v77, v124, -v51
	s_waitcnt vmcnt(19)
	v_mul_f32_e32 v90, v83, v129
	v_add_f32_e32 v0, v0, v51
	v_mul_f32_e32 v51, v80, v125
	s_waitcnt vmcnt(18)
	v_fmac_f32_e32 v90, v84, v130
	v_fma_f32 v51, v79, v126, -v51
	v_add_f32_e32 v93, v89, v90
	ds_read2_b64 v[89:92], v52 offset0:45 offset1:46
	v_add_f32_e32 v0, v0, v51
	v_mul_f32_e32 v51, v82, v127
	s_waitcnt vmcnt(17) lgkmcnt(1)
	v_mul_f32_e32 v94, v85, v131
	v_fma_f32 v51, v81, v128, -v51
	s_waitcnt vmcnt(16)
	v_fmac_f32_e32 v94, v86, v132
	v_add_f32_e32 v0, v0, v51
	v_mul_f32_e32 v51, v84, v129
	v_add_f32_e32 v93, v93, v94
	s_waitcnt vmcnt(15)
	v_mul_f32_e32 v94, v87, v133
	v_fma_f32 v51, v83, v130, -v51
	s_waitcnt vmcnt(14)
	v_fmac_f32_e32 v94, v88, v134
	v_add_f32_e32 v0, v0, v51
	v_mul_f32_e32 v51, v86, v131
	v_add_f32_e32 v93, v93, v94
	s_waitcnt vmcnt(13) lgkmcnt(0)
	v_mul_f32_e32 v94, v89, v135
	v_fma_f32 v51, v85, v132, -v51
	s_waitcnt vmcnt(12)
	v_fmac_f32_e32 v94, v90, v136
	v_add_f32_e32 v0, v0, v51
	v_mul_f32_e32 v51, v88, v133
	v_add_f32_e32 v97, v93, v94
	ds_read2_b64 v[93:96], v52 offset0:47 offset1:48
	v_fma_f32 v51, v87, v134, -v51
	v_add_f32_e32 v0, v0, v51
	v_mul_f32_e32 v51, v90, v135
	s_waitcnt vmcnt(11)
	v_mul_f32_e32 v98, v91, v137
	v_fma_f32 v51, v89, v136, -v51
	s_waitcnt vmcnt(10)
	v_fmac_f32_e32 v98, v92, v138
	v_add_f32_e32 v0, v0, v51
	v_mul_f32_e32 v51, v92, v137
	v_add_f32_e32 v149, v97, v98
	ds_read2_b64 v[97:100], v52 offset0:49 offset1:50
	v_fma_f32 v51, v91, v138, -v51
	v_add_f32_e32 v0, v0, v51
	s_waitcnt vmcnt(7) lgkmcnt(1)
	v_mul_f32_e32 v51, v94, v141
	v_mul_f32_e32 v52, v93, v141
	s_waitcnt vmcnt(6)
	v_fma_f32 v51, v93, v142, -v51
	v_fmac_f32_e32 v52, v94, v142
	v_add_f32_e32 v0, v0, v51
	s_waitcnt vmcnt(4)
	v_mul_f32_e32 v51, v96, v144
	v_add_f32_e32 v52, v149, v52
	v_mul_f32_e32 v149, v95, v144
	v_fma_f32 v51, v95, v143, -v51
	v_fmac_f32_e32 v149, v96, v143
	v_add_f32_e32 v0, v0, v51
	s_waitcnt vmcnt(2) lgkmcnt(0)
	v_mul_f32_e32 v51, v98, v146
	v_add_f32_e32 v52, v52, v149
	v_mul_f32_e32 v149, v97, v146
	v_fma_f32 v51, v97, v145, -v51
	v_fmac_f32_e32 v149, v98, v145
	v_add_f32_e32 v0, v0, v51
	s_waitcnt vmcnt(0)
	v_mul_f32_e32 v51, v100, v148
	v_add_f32_e32 v52, v52, v149
	v_mul_f32_e32 v149, v99, v148
	v_fma_f32 v51, v99, v147, -v51
	v_fmac_f32_e32 v149, v100, v147
	v_add_f32_e32 v0, v0, v51
	v_add_f32_e32 v52, v52, v149
	v_sub_f32_e32 v0, v139, v0
	v_sub_f32_e32 v51, v140, v52
	buffer_store_dword v0, off, s[0:3], 0
	buffer_store_dword v51, off, s[0:3], 0 offset:4
	s_cbranch_vccz .LBB88_212
; %bb.164:
	v_mov_b32_e32 v0, 0
	global_load_dword v51, v0, s[12:13] offset:92
	s_waitcnt vmcnt(0)
	v_add_u32_e32 v51, -1, v51
	v_cmp_ne_u32_e32 vcc, 23, v51
	s_cbranch_vccz .LBB88_166
; %bb.165:
	v_lshlrev_b32_e32 v51, 3, v51
	buffer_load_dword v52, v51, s[0:3], 0 offen
	buffer_load_dword v53, v51, s[0:3], 0 offen offset:4
	buffer_load_dword v54, off, s[0:3], 0 offset:184
	buffer_load_dword v55, off, s[0:3], 0 offset:188
	s_waitcnt vmcnt(3)
	buffer_store_dword v52, off, s[0:3], 0 offset:184
	s_waitcnt vmcnt(3)
	buffer_store_dword v53, off, s[0:3], 0 offset:188
	s_waitcnt vmcnt(3)
	buffer_store_dword v54, v51, s[0:3], 0 offen
	s_waitcnt vmcnt(3)
	buffer_store_dword v55, v51, s[0:3], 0 offen offset:4
.LBB88_166:
	global_load_dword v0, v0, s[12:13] offset:88
	s_waitcnt vmcnt(0)
	v_add_u32_e32 v0, -1, v0
	v_cmp_eq_u32_e32 vcc, 22, v0
	s_cbranch_vccnz .LBB88_168
; %bb.167:
	v_lshlrev_b32_e32 v0, 3, v0
	buffer_load_dword v51, v0, s[0:3], 0 offen
	buffer_load_dword v52, v0, s[0:3], 0 offen offset:4
	buffer_load_dword v53, off, s[0:3], 0 offset:180
	buffer_load_dword v54, off, s[0:3], 0 offset:176
	s_waitcnt vmcnt(3)
	buffer_store_dword v51, off, s[0:3], 0 offset:176
	s_waitcnt vmcnt(3)
	buffer_store_dword v52, off, s[0:3], 0 offset:180
	s_waitcnt vmcnt(3)
	buffer_store_dword v53, v0, s[0:3], 0 offen offset:4
	s_waitcnt vmcnt(3)
	buffer_store_dword v54, v0, s[0:3], 0 offen
.LBB88_168:
	v_mov_b32_e32 v0, 0
	global_load_dword v51, v0, s[12:13] offset:84
	s_waitcnt vmcnt(0)
	v_add_u32_e32 v51, -1, v51
	v_cmp_eq_u32_e32 vcc, 21, v51
	s_cbranch_vccnz .LBB88_170
; %bb.169:
	v_lshlrev_b32_e32 v51, 3, v51
	buffer_load_dword v52, v51, s[0:3], 0 offen
	buffer_load_dword v53, v51, s[0:3], 0 offen offset:4
	buffer_load_dword v54, off, s[0:3], 0 offset:168
	buffer_load_dword v55, off, s[0:3], 0 offset:172
	s_waitcnt vmcnt(3)
	buffer_store_dword v52, off, s[0:3], 0 offset:168
	s_waitcnt vmcnt(3)
	buffer_store_dword v53, off, s[0:3], 0 offset:172
	s_waitcnt vmcnt(3)
	buffer_store_dword v54, v51, s[0:3], 0 offen
	s_waitcnt vmcnt(3)
	buffer_store_dword v55, v51, s[0:3], 0 offen offset:4
.LBB88_170:
	global_load_dword v0, v0, s[12:13] offset:80
	s_waitcnt vmcnt(0)
	v_add_u32_e32 v0, -1, v0
	v_cmp_eq_u32_e32 vcc, 20, v0
	s_cbranch_vccnz .LBB88_172
; %bb.171:
	v_lshlrev_b32_e32 v0, 3, v0
	buffer_load_dword v51, v0, s[0:3], 0 offen
	buffer_load_dword v52, v0, s[0:3], 0 offen offset:4
	buffer_load_dword v53, off, s[0:3], 0 offset:164
	buffer_load_dword v54, off, s[0:3], 0 offset:160
	s_waitcnt vmcnt(3)
	buffer_store_dword v51, off, s[0:3], 0 offset:160
	s_waitcnt vmcnt(3)
	buffer_store_dword v52, off, s[0:3], 0 offset:164
	s_waitcnt vmcnt(3)
	buffer_store_dword v53, v0, s[0:3], 0 offen offset:4
	s_waitcnt vmcnt(3)
	buffer_store_dword v54, v0, s[0:3], 0 offen
.LBB88_172:
	v_mov_b32_e32 v0, 0
	global_load_dword v51, v0, s[12:13] offset:76
	s_waitcnt vmcnt(0)
	v_add_u32_e32 v51, -1, v51
	v_cmp_eq_u32_e32 vcc, 19, v51
	s_cbranch_vccnz .LBB88_174
; %bb.173:
	v_lshlrev_b32_e32 v51, 3, v51
	buffer_load_dword v52, v51, s[0:3], 0 offen
	buffer_load_dword v53, v51, s[0:3], 0 offen offset:4
	buffer_load_dword v54, off, s[0:3], 0 offset:152
	buffer_load_dword v55, off, s[0:3], 0 offset:156
	s_waitcnt vmcnt(3)
	buffer_store_dword v52, off, s[0:3], 0 offset:152
	s_waitcnt vmcnt(3)
	buffer_store_dword v53, off, s[0:3], 0 offset:156
	s_waitcnt vmcnt(3)
	buffer_store_dword v54, v51, s[0:3], 0 offen
	s_waitcnt vmcnt(3)
	buffer_store_dword v55, v51, s[0:3], 0 offen offset:4
.LBB88_174:
	;; [unrolled: 41-line block ×11, first 2 shown]
	global_load_dword v0, v0, s[12:13]
	s_waitcnt vmcnt(0)
	v_add_u32_e32 v0, -1, v0
	v_cmp_eq_u32_e32 vcc, 0, v0
	s_cbranch_vccnz .LBB88_212
; %bb.211:
	v_lshlrev_b32_e32 v0, 3, v0
	buffer_load_dword v51, v0, s[0:3], 0 offen
	buffer_load_dword v52, v0, s[0:3], 0 offen offset:4
	buffer_load_dword v53, off, s[0:3], 0 offset:4
	buffer_load_dword v54, off, s[0:3], 0
	s_waitcnt vmcnt(3)
	buffer_store_dword v51, off, s[0:3], 0
	s_waitcnt vmcnt(3)
	buffer_store_dword v52, off, s[0:3], 0 offset:4
	s_waitcnt vmcnt(3)
	buffer_store_dword v53, v0, s[0:3], 0 offen offset:4
	s_waitcnt vmcnt(3)
	buffer_store_dword v54, v0, s[0:3], 0 offen
.LBB88_212:
	buffer_load_dword v51, off, s[0:3], 0
	buffer_load_dword v52, off, s[0:3], 0 offset:4
	s_waitcnt vmcnt(0)
	flat_store_dwordx2 v[1:2], v[51:52]
	buffer_load_dword v0, off, s[0:3], 0 offset:8
	s_nop 0
	buffer_load_dword v1, off, s[0:3], 0 offset:12
	s_waitcnt vmcnt(0)
	flat_store_dwordx2 v[3:4], v[0:1]
	buffer_load_dword v0, off, s[0:3], 0 offset:16
	s_nop 0
	;; [unrolled: 5-line block ×24, first 2 shown]
	buffer_load_dword v1, off, s[0:3], 0 offset:196
	s_waitcnt vmcnt(0)
	flat_store_dwordx2 v[49:50], v[0:1]
	s_endpgm
	.section	.rodata,"a",@progbits
	.p2align	6, 0x0
	.amdhsa_kernel _ZN9rocsolver6v33100L18getri_kernel_smallILi25E19rocblas_complex_numIfEPKPS3_EEvT1_iilPiilS8_bb
		.amdhsa_group_segment_fixed_size 408
		.amdhsa_private_segment_fixed_size 208
		.amdhsa_kernarg_size 60
		.amdhsa_user_sgpr_count 6
		.amdhsa_user_sgpr_private_segment_buffer 1
		.amdhsa_user_sgpr_dispatch_ptr 0
		.amdhsa_user_sgpr_queue_ptr 0
		.amdhsa_user_sgpr_kernarg_segment_ptr 1
		.amdhsa_user_sgpr_dispatch_id 0
		.amdhsa_user_sgpr_flat_scratch_init 0
		.amdhsa_user_sgpr_private_segment_size 0
		.amdhsa_uses_dynamic_stack 0
		.amdhsa_system_sgpr_private_segment_wavefront_offset 1
		.amdhsa_system_sgpr_workgroup_id_x 1
		.amdhsa_system_sgpr_workgroup_id_y 0
		.amdhsa_system_sgpr_workgroup_id_z 0
		.amdhsa_system_sgpr_workgroup_info 0
		.amdhsa_system_vgpr_workitem_id 0
		.amdhsa_next_free_vgpr 150
		.amdhsa_next_free_sgpr 21
		.amdhsa_reserve_vcc 1
		.amdhsa_reserve_flat_scratch 0
		.amdhsa_float_round_mode_32 0
		.amdhsa_float_round_mode_16_64 0
		.amdhsa_float_denorm_mode_32 3
		.amdhsa_float_denorm_mode_16_64 3
		.amdhsa_dx10_clamp 1
		.amdhsa_ieee_mode 1
		.amdhsa_fp16_overflow 0
		.amdhsa_exception_fp_ieee_invalid_op 0
		.amdhsa_exception_fp_denorm_src 0
		.amdhsa_exception_fp_ieee_div_zero 0
		.amdhsa_exception_fp_ieee_overflow 0
		.amdhsa_exception_fp_ieee_underflow 0
		.amdhsa_exception_fp_ieee_inexact 0
		.amdhsa_exception_int_div_zero 0
	.end_amdhsa_kernel
	.section	.text._ZN9rocsolver6v33100L18getri_kernel_smallILi25E19rocblas_complex_numIfEPKPS3_EEvT1_iilPiilS8_bb,"axG",@progbits,_ZN9rocsolver6v33100L18getri_kernel_smallILi25E19rocblas_complex_numIfEPKPS3_EEvT1_iilPiilS8_bb,comdat
.Lfunc_end88:
	.size	_ZN9rocsolver6v33100L18getri_kernel_smallILi25E19rocblas_complex_numIfEPKPS3_EEvT1_iilPiilS8_bb, .Lfunc_end88-_ZN9rocsolver6v33100L18getri_kernel_smallILi25E19rocblas_complex_numIfEPKPS3_EEvT1_iilPiilS8_bb
                                        ; -- End function
	.set _ZN9rocsolver6v33100L18getri_kernel_smallILi25E19rocblas_complex_numIfEPKPS3_EEvT1_iilPiilS8_bb.num_vgpr, 150
	.set _ZN9rocsolver6v33100L18getri_kernel_smallILi25E19rocblas_complex_numIfEPKPS3_EEvT1_iilPiilS8_bb.num_agpr, 0
	.set _ZN9rocsolver6v33100L18getri_kernel_smallILi25E19rocblas_complex_numIfEPKPS3_EEvT1_iilPiilS8_bb.numbered_sgpr, 21
	.set _ZN9rocsolver6v33100L18getri_kernel_smallILi25E19rocblas_complex_numIfEPKPS3_EEvT1_iilPiilS8_bb.num_named_barrier, 0
	.set _ZN9rocsolver6v33100L18getri_kernel_smallILi25E19rocblas_complex_numIfEPKPS3_EEvT1_iilPiilS8_bb.private_seg_size, 208
	.set _ZN9rocsolver6v33100L18getri_kernel_smallILi25E19rocblas_complex_numIfEPKPS3_EEvT1_iilPiilS8_bb.uses_vcc, 1
	.set _ZN9rocsolver6v33100L18getri_kernel_smallILi25E19rocblas_complex_numIfEPKPS3_EEvT1_iilPiilS8_bb.uses_flat_scratch, 0
	.set _ZN9rocsolver6v33100L18getri_kernel_smallILi25E19rocblas_complex_numIfEPKPS3_EEvT1_iilPiilS8_bb.has_dyn_sized_stack, 0
	.set _ZN9rocsolver6v33100L18getri_kernel_smallILi25E19rocblas_complex_numIfEPKPS3_EEvT1_iilPiilS8_bb.has_recursion, 0
	.set _ZN9rocsolver6v33100L18getri_kernel_smallILi25E19rocblas_complex_numIfEPKPS3_EEvT1_iilPiilS8_bb.has_indirect_call, 0
	.section	.AMDGPU.csdata,"",@progbits
; Kernel info:
; codeLenInByte = 30272
; TotalNumSgprs: 25
; NumVgprs: 150
; ScratchSize: 208
; MemoryBound: 0
; FloatMode: 240
; IeeeMode: 1
; LDSByteSize: 408 bytes/workgroup (compile time only)
; SGPRBlocks: 3
; VGPRBlocks: 37
; NumSGPRsForWavesPerEU: 25
; NumVGPRsForWavesPerEU: 150
; Occupancy: 1
; WaveLimiterHint : 1
; COMPUTE_PGM_RSRC2:SCRATCH_EN: 1
; COMPUTE_PGM_RSRC2:USER_SGPR: 6
; COMPUTE_PGM_RSRC2:TRAP_HANDLER: 0
; COMPUTE_PGM_RSRC2:TGID_X_EN: 1
; COMPUTE_PGM_RSRC2:TGID_Y_EN: 0
; COMPUTE_PGM_RSRC2:TGID_Z_EN: 0
; COMPUTE_PGM_RSRC2:TIDIG_COMP_CNT: 0
	.section	.text._ZN9rocsolver6v33100L18getri_kernel_smallILi26E19rocblas_complex_numIfEPKPS3_EEvT1_iilPiilS8_bb,"axG",@progbits,_ZN9rocsolver6v33100L18getri_kernel_smallILi26E19rocblas_complex_numIfEPKPS3_EEvT1_iilPiilS8_bb,comdat
	.globl	_ZN9rocsolver6v33100L18getri_kernel_smallILi26E19rocblas_complex_numIfEPKPS3_EEvT1_iilPiilS8_bb ; -- Begin function _ZN9rocsolver6v33100L18getri_kernel_smallILi26E19rocblas_complex_numIfEPKPS3_EEvT1_iilPiilS8_bb
	.p2align	8
	.type	_ZN9rocsolver6v33100L18getri_kernel_smallILi26E19rocblas_complex_numIfEPKPS3_EEvT1_iilPiilS8_bb,@function
_ZN9rocsolver6v33100L18getri_kernel_smallILi26E19rocblas_complex_numIfEPKPS3_EEvT1_iilPiilS8_bb: ; @_ZN9rocsolver6v33100L18getri_kernel_smallILi26E19rocblas_complex_numIfEPKPS3_EEvT1_iilPiilS8_bb
; %bb.0:
	s_add_u32 s0, s0, s7
	s_addc_u32 s1, s1, 0
	v_cmp_gt_u32_e32 vcc, 26, v0
	s_and_saveexec_b64 s[8:9], vcc
	s_cbranch_execz .LBB89_118
; %bb.1:
	s_load_dword s18, s[4:5], 0x38
	s_load_dwordx2 s[12:13], s[4:5], 0x0
	s_load_dwordx4 s[8:11], s[4:5], 0x28
	s_waitcnt lgkmcnt(0)
	s_bitcmp1_b32 s18, 8
	s_cselect_b64 s[14:15], -1, 0
	s_ashr_i32 s7, s6, 31
	s_lshl_b64 s[16:17], s[6:7], 3
	s_add_u32 s12, s12, s16
	s_addc_u32 s13, s13, s17
	s_load_dwordx2 s[16:17], s[12:13], 0x0
	s_bfe_u32 s12, s18, 0x10008
	s_cmp_eq_u32 s12, 0
                                        ; implicit-def: $sgpr12_sgpr13
	s_cbranch_scc1 .LBB89_3
; %bb.2:
	s_load_dword s12, s[4:5], 0x20
	s_load_dwordx2 s[18:19], s[4:5], 0x18
	s_mul_i32 s13, s8, s7
	s_mul_hi_u32 s20, s8, s6
	s_add_i32 s20, s20, s13
	s_mul_i32 s9, s9, s6
	s_add_i32 s9, s20, s9
	s_mul_i32 s8, s8, s6
	s_waitcnt lgkmcnt(0)
	s_ashr_i32 s13, s12, 31
	s_lshl_b64 s[8:9], s[8:9], 2
	s_add_u32 s18, s18, s8
	s_addc_u32 s19, s19, s9
	s_lshl_b64 s[8:9], s[12:13], 2
	s_add_u32 s12, s18, s8
	s_addc_u32 s13, s19, s9
.LBB89_3:
	s_load_dwordx2 s[8:9], s[4:5], 0x8
	s_load_dword s18, s[4:5], 0x38
	v_lshlrev_b32_e32 v55, 3, v0
	s_waitcnt lgkmcnt(0)
	s_ashr_i32 s5, s8, 31
	s_mov_b32 s4, s8
	s_lshl_b64 s[4:5], s[4:5], 3
	s_add_u32 s4, s16, s4
	s_addc_u32 s5, s17, s5
	v_mov_b32_e32 v2, s5
	v_add_co_u32_e32 v1, vcc, s4, v55
	v_addc_co_u32_e32 v2, vcc, 0, v2, vcc
	flat_load_dwordx2 v[5:6], v[1:2]
	s_mov_b32 s16, s9
	s_ashr_i32 s17, s9, 31
	s_lshl_b64 s[16:17], s[16:17], 3
	v_mov_b32_e32 v4, s17
	v_add_co_u32_e32 v3, vcc, s16, v1
	v_addc_co_u32_e32 v4, vcc, v2, v4, vcc
	s_add_i32 s8, s9, s9
	v_add_u32_e32 v9, s8, v0
	v_ashrrev_i32_e32 v10, 31, v9
	v_mov_b32_e32 v11, s5
	v_add_u32_e32 v12, s9, v9
	v_ashrrev_i32_e32 v13, 31, v12
	v_mov_b32_e32 v14, s5
	v_mov_b32_e32 v15, s5
	;; [unrolled: 1-line block ×22, first 2 shown]
	s_bitcmp0_b32 s18, 0
	s_waitcnt vmcnt(0) lgkmcnt(0)
	buffer_store_dword v6, off, s[0:3], 0 offset:4
	buffer_store_dword v5, off, s[0:3], 0
	flat_load_dwordx2 v[7:8], v[3:4]
	v_lshlrev_b64 v[5:6], 3, v[9:10]
	s_waitcnt vmcnt(0) lgkmcnt(0)
	buffer_store_dword v8, off, s[0:3], 0 offset:12
	buffer_store_dword v7, off, s[0:3], 0 offset:8
	v_add_co_u32_e32 v5, vcc, s4, v5
	v_addc_co_u32_e32 v6, vcc, v11, v6, vcc
	flat_load_dwordx2 v[10:11], v[5:6]
	v_lshlrev_b64 v[7:8], 3, v[12:13]
	s_waitcnt vmcnt(0) lgkmcnt(0)
	buffer_store_dword v11, off, s[0:3], 0 offset:20
	buffer_store_dword v10, off, s[0:3], 0 offset:16
	v_add_co_u32_e32 v7, vcc, s4, v7
	v_addc_co_u32_e32 v8, vcc, v14, v8, vcc
	flat_load_dwordx2 v[13:14], v[7:8]
	v_add_u32_e32 v11, s9, v12
	v_ashrrev_i32_e32 v12, 31, v11
	v_lshlrev_b64 v[9:10], 3, v[11:12]
	s_waitcnt vmcnt(0) lgkmcnt(0)
	buffer_store_dword v14, off, s[0:3], 0 offset:28
	buffer_store_dword v13, off, s[0:3], 0 offset:24
	v_add_co_u32_e32 v9, vcc, s4, v9
	v_addc_co_u32_e32 v10, vcc, v15, v10, vcc
	flat_load_dwordx2 v[13:14], v[9:10]
	v_add_u32_e32 v15, s9, v11
	v_ashrrev_i32_e32 v16, 31, v15
	v_lshlrev_b64 v[11:12], 3, v[15:16]
	v_add_u32_e32 v18, s9, v15
	v_add_co_u32_e32 v11, vcc, s4, v11
	v_addc_co_u32_e32 v12, vcc, v17, v12, vcc
	v_ashrrev_i32_e32 v19, 31, v18
	s_waitcnt vmcnt(0) lgkmcnt(0)
	buffer_store_dword v14, off, s[0:3], 0 offset:36
	buffer_store_dword v13, off, s[0:3], 0 offset:32
	flat_load_dwordx2 v[16:17], v[11:12]
	v_lshlrev_b64 v[13:14], 3, v[18:19]
	s_waitcnt vmcnt(0) lgkmcnt(0)
	buffer_store_dword v17, off, s[0:3], 0 offset:44
	buffer_store_dword v16, off, s[0:3], 0 offset:40
	v_add_co_u32_e32 v13, vcc, s4, v13
	v_addc_co_u32_e32 v14, vcc, v20, v14, vcc
	flat_load_dwordx2 v[19:20], v[13:14]
	v_add_u32_e32 v17, s9, v18
	v_ashrrev_i32_e32 v18, 31, v17
	v_lshlrev_b64 v[15:16], 3, v[17:18]
	s_waitcnt vmcnt(0) lgkmcnt(0)
	buffer_store_dword v20, off, s[0:3], 0 offset:52
	buffer_store_dword v19, off, s[0:3], 0 offset:48
	v_add_co_u32_e32 v15, vcc, s4, v15
	v_addc_co_u32_e32 v16, vcc, v21, v16, vcc
	flat_load_dwordx2 v[19:20], v[15:16]
	v_add_u32_e32 v21, s9, v17
	v_ashrrev_i32_e32 v22, 31, v21
	v_lshlrev_b64 v[17:18], 3, v[21:22]
	v_add_u32_e32 v24, s9, v21
	v_add_co_u32_e32 v17, vcc, s4, v17
	v_addc_co_u32_e32 v18, vcc, v23, v18, vcc
	v_ashrrev_i32_e32 v25, 31, v24
	s_waitcnt vmcnt(0) lgkmcnt(0)
	buffer_store_dword v20, off, s[0:3], 0 offset:60
	buffer_store_dword v19, off, s[0:3], 0 offset:56
	;; [unrolled: 27-line block ×6, first 2 shown]
	flat_load_dwordx2 v[46:47], v[41:42]
	v_lshlrev_b64 v[43:44], 3, v[48:49]
	s_waitcnt vmcnt(0) lgkmcnt(0)
	buffer_store_dword v47, off, s[0:3], 0 offset:164
	buffer_store_dword v46, off, s[0:3], 0 offset:160
	v_add_co_u32_e32 v43, vcc, s4, v43
	v_addc_co_u32_e32 v44, vcc, v50, v44, vcc
	flat_load_dwordx2 v[49:50], v[43:44]
	v_add_u32_e32 v47, s9, v48
	v_ashrrev_i32_e32 v48, 31, v47
	v_lshlrev_b64 v[45:46], 3, v[47:48]
	s_waitcnt vmcnt(0) lgkmcnt(0)
	buffer_store_dword v50, off, s[0:3], 0 offset:172
	buffer_store_dword v49, off, s[0:3], 0 offset:168
	v_add_co_u32_e32 v45, vcc, s4, v45
	v_addc_co_u32_e32 v46, vcc, v51, v46, vcc
	flat_load_dwordx2 v[49:50], v[45:46]
	v_add_u32_e32 v51, s9, v47
	v_ashrrev_i32_e32 v52, 31, v51
	v_lshlrev_b64 v[47:48], 3, v[51:52]
	v_add_u32_e32 v56, s9, v51
	v_add_co_u32_e32 v47, vcc, s4, v47
	v_addc_co_u32_e32 v48, vcc, v53, v48, vcc
	v_ashrrev_i32_e32 v57, 31, v56
	v_add_u32_e32 v51, s9, v56
	s_mov_b64 s[8:9], -1
	s_waitcnt vmcnt(0) lgkmcnt(0)
	buffer_store_dword v50, off, s[0:3], 0 offset:180
	buffer_store_dword v49, off, s[0:3], 0 offset:176
	flat_load_dwordx2 v[52:53], v[47:48]
	v_lshlrev_b64 v[49:50], 3, v[56:57]
	v_mov_b32_e32 v57, s5
	v_add_co_u32_e32 v49, vcc, s4, v49
	v_addc_co_u32_e32 v50, vcc, v54, v50, vcc
	s_waitcnt vmcnt(0) lgkmcnt(0)
	buffer_store_dword v53, off, s[0:3], 0 offset:188
	buffer_store_dword v52, off, s[0:3], 0 offset:184
	flat_load_dwordx2 v[53:54], v[49:50]
	v_ashrrev_i32_e32 v52, 31, v51
	v_lshlrev_b64 v[51:52], 3, v[51:52]
	s_waitcnt vmcnt(0) lgkmcnt(0)
	buffer_store_dword v54, off, s[0:3], 0 offset:196
	buffer_store_dword v53, off, s[0:3], 0 offset:192
	v_add_co_u32_e32 v51, vcc, s4, v51
	v_addc_co_u32_e32 v52, vcc, v57, v52, vcc
	flat_load_dwordx2 v[53:54], v[51:52]
	s_waitcnt vmcnt(0) lgkmcnt(0)
	buffer_store_dword v54, off, s[0:3], 0 offset:204
	buffer_store_dword v53, off, s[0:3], 0 offset:200
	s_cbranch_scc1 .LBB89_116
; %bb.4:
	v_cmp_eq_u32_e64 s[4:5], 0, v0
	s_and_saveexec_b64 s[8:9], s[4:5]
; %bb.5:
	v_mov_b32_e32 v53, 0
	ds_write_b32 v53, v53 offset:416
; %bb.6:
	s_or_b64 exec, exec, s[8:9]
	v_mov_b32_e32 v53, 0
	v_lshl_add_u32 v57, v0, 3, v53
	s_waitcnt lgkmcnt(0)
	; wave barrier
	buffer_load_dword v53, v57, s[0:3], 0 offen
	buffer_load_dword v54, v57, s[0:3], 0 offen offset:4
	s_waitcnt vmcnt(1)
	v_cmp_eq_f32_e32 vcc, 0, v53
	s_waitcnt vmcnt(0)
	v_cmp_eq_f32_e64 s[8:9], 0, v54
	s_and_b64 s[8:9], vcc, s[8:9]
	s_and_saveexec_b64 s[16:17], s[8:9]
	s_cbranch_execz .LBB89_10
; %bb.7:
	v_mov_b32_e32 v53, 0
	ds_read_b32 v56, v53 offset:416
	v_add_u32_e32 v54, 1, v0
	s_waitcnt lgkmcnt(0)
	v_readfirstlane_b32 s8, v56
	s_cmp_eq_u32 s8, 0
	s_cselect_b64 s[18:19], -1, 0
	v_cmp_gt_i32_e32 vcc, s8, v54
	s_or_b64 s[18:19], s[18:19], vcc
	s_and_b64 exec, exec, s[18:19]
	s_cbranch_execz .LBB89_10
; %bb.8:
	s_mov_b64 s[18:19], 0
	v_mov_b32_e32 v56, s8
.LBB89_9:                               ; =>This Inner Loop Header: Depth=1
	ds_cmpst_rtn_b32 v56, v53, v56, v54 offset:416
	s_waitcnt lgkmcnt(0)
	v_cmp_ne_u32_e32 vcc, 0, v56
	v_cmp_le_i32_e64 s[8:9], v56, v54
	s_and_b64 s[8:9], vcc, s[8:9]
	s_and_b64 s[8:9], exec, s[8:9]
	s_or_b64 s[18:19], s[8:9], s[18:19]
	s_andn2_b64 exec, exec, s[18:19]
	s_cbranch_execnz .LBB89_9
.LBB89_10:
	s_or_b64 exec, exec, s[16:17]
	v_mov_b32_e32 v54, 0
	; wave barrier
	ds_read_b32 v53, v54 offset:416
	s_and_saveexec_b64 s[8:9], s[4:5]
	s_cbranch_execz .LBB89_12
; %bb.11:
	s_lshl_b64 s[16:17], s[6:7], 2
	s_add_u32 s16, s10, s16
	s_addc_u32 s17, s11, s17
	s_waitcnt lgkmcnt(0)
	global_store_dword v54, v53, s[16:17]
.LBB89_12:
	s_or_b64 exec, exec, s[8:9]
	s_waitcnt lgkmcnt(0)
	v_cmp_ne_u32_e32 vcc, 0, v53
	s_mov_b64 s[8:9], 0
	s_cbranch_vccnz .LBB89_116
; %bb.13:
	buffer_load_dword v54, v57, s[0:3], 0 offen
	buffer_load_dword v56, v57, s[0:3], 0 offen offset:4
                                        ; implicit-def: $vgpr59
                                        ; implicit-def: $vgpr58
                                        ; implicit-def: $vgpr53
	s_waitcnt vmcnt(0)
	v_cmp_ngt_f32_e64 s[8:9], |v54|, |v56|
	s_and_saveexec_b64 s[16:17], s[8:9]
	s_xor_b64 s[8:9], exec, s[16:17]
	s_cbranch_execz .LBB89_15
; %bb.14:
	v_div_scale_f32 v53, s[16:17], v56, v56, v54
	v_div_scale_f32 v58, vcc, v54, v56, v54
	v_rcp_f32_e32 v59, v53
	v_fma_f32 v60, -v53, v59, 1.0
	v_fmac_f32_e32 v59, v60, v59
	v_mul_f32_e32 v60, v58, v59
	v_fma_f32 v61, -v53, v60, v58
	v_fmac_f32_e32 v60, v61, v59
	v_fma_f32 v53, -v53, v60, v58
	v_div_fmas_f32 v53, v53, v59, v60
	v_div_fixup_f32 v53, v53, v56, v54
	v_fmac_f32_e32 v56, v54, v53
	v_div_scale_f32 v54, s[16:17], v56, v56, 1.0
	v_div_scale_f32 v58, vcc, 1.0, v56, 1.0
	v_rcp_f32_e32 v59, v54
	v_fma_f32 v60, -v54, v59, 1.0
	v_fmac_f32_e32 v59, v60, v59
	v_mul_f32_e32 v60, v58, v59
	v_fma_f32 v61, -v54, v60, v58
	v_fmac_f32_e32 v60, v61, v59
	v_fma_f32 v54, -v54, v60, v58
	v_div_fmas_f32 v54, v54, v59, v60
	v_div_fixup_f32 v54, v54, v56, 1.0
	v_mul_f32_e32 v59, v53, v54
	v_xor_b32_e32 v58, 0x80000000, v54
	v_xor_b32_e32 v53, 0x80000000, v59
                                        ; implicit-def: $vgpr54
                                        ; implicit-def: $vgpr56
.LBB89_15:
	s_andn2_saveexec_b64 s[8:9], s[8:9]
	s_cbranch_execz .LBB89_17
; %bb.16:
	v_div_scale_f32 v53, s[16:17], v54, v54, v56
	v_div_scale_f32 v58, vcc, v56, v54, v56
	v_rcp_f32_e32 v59, v53
	v_fma_f32 v60, -v53, v59, 1.0
	v_fmac_f32_e32 v59, v60, v59
	v_mul_f32_e32 v60, v58, v59
	v_fma_f32 v61, -v53, v60, v58
	v_fmac_f32_e32 v60, v61, v59
	v_fma_f32 v53, -v53, v60, v58
	v_div_fmas_f32 v53, v53, v59, v60
	v_div_fixup_f32 v58, v53, v54, v56
	v_fmac_f32_e32 v54, v56, v58
	v_div_scale_f32 v53, s[16:17], v54, v54, 1.0
	v_div_scale_f32 v56, vcc, 1.0, v54, 1.0
	v_rcp_f32_e32 v59, v53
	v_fma_f32 v60, -v53, v59, 1.0
	v_fmac_f32_e32 v59, v60, v59
	v_mul_f32_e32 v60, v56, v59
	v_fma_f32 v61, -v53, v60, v56
	v_fmac_f32_e32 v60, v61, v59
	v_fma_f32 v53, -v53, v60, v56
	v_div_fmas_f32 v53, v53, v59, v60
	v_div_fixup_f32 v59, v53, v54, 1.0
	v_xor_b32_e32 v53, 0x80000000, v59
	v_mul_f32_e64 v58, v58, -v59
.LBB89_17:
	s_or_b64 exec, exec, s[8:9]
	buffer_store_dword v59, v57, s[0:3], 0 offen
	buffer_store_dword v58, v57, s[0:3], 0 offen offset:4
	buffer_load_dword v60, off, s[0:3], 0 offset:12
	s_nop 0
	buffer_load_dword v59, off, s[0:3], 0 offset:8
	v_xor_b32_e32 v54, 0x80000000, v58
	v_add_u32_e32 v56, 0xd0, v55
	s_waitcnt vmcnt(0)
	ds_write2_b64 v55, v[53:54], v[59:60] offset1:26
	s_waitcnt lgkmcnt(0)
	; wave barrier
	s_and_saveexec_b64 s[8:9], s[4:5]
	s_cbranch_execz .LBB89_19
; %bb.18:
	buffer_load_dword v60, v57, s[0:3], 0 offen offset:4
	buffer_load_dword v61, v57, s[0:3], 0 offen
	ds_read_b64 v[53:54], v56
	v_mov_b32_e32 v58, 0
	ds_read_b64 v[58:59], v58 offset:8
	s_waitcnt vmcnt(1) lgkmcnt(1)
	v_mul_f32_e32 v62, v54, v60
	v_mul_f32_e32 v60, v53, v60
	s_waitcnt vmcnt(0)
	v_fmac_f32_e32 v60, v54, v61
	v_fma_f32 v53, v53, v61, -v62
	v_add_f32_e32 v54, 0, v60
	v_add_f32_e32 v53, 0, v53
	s_waitcnt lgkmcnt(0)
	v_mul_f32_e32 v60, v54, v59
	v_mul_f32_e32 v59, v53, v59
	v_fma_f32 v53, v53, v58, -v60
	v_fmac_f32_e32 v59, v54, v58
	buffer_store_dword v53, off, s[0:3], 0 offset:8
	buffer_store_dword v59, off, s[0:3], 0 offset:12
.LBB89_19:
	s_or_b64 exec, exec, s[8:9]
	; wave barrier
	buffer_load_dword v53, off, s[0:3], 0 offset:16
	buffer_load_dword v54, off, s[0:3], 0 offset:20
	v_cmp_gt_u32_e32 vcc, 2, v0
	s_waitcnt vmcnt(0)
	ds_write_b64 v56, v[53:54]
	s_waitcnt lgkmcnt(0)
	; wave barrier
	s_and_saveexec_b64 s[8:9], vcc
	s_cbranch_execz .LBB89_23
; %bb.20:
	buffer_load_dword v58, v57, s[0:3], 0 offen offset:4
	buffer_load_dword v59, v57, s[0:3], 0 offen
	ds_read_b64 v[53:54], v56
	s_waitcnt vmcnt(1) lgkmcnt(0)
	v_mul_f32_e32 v57, v54, v58
	v_mul_f32_e32 v58, v53, v58
	s_waitcnt vmcnt(0)
	v_fma_f32 v53, v53, v59, -v57
	v_fmac_f32_e32 v58, v54, v59
	v_add_f32_e32 v54, 0, v53
	v_add_f32_e32 v53, 0, v58
	s_and_saveexec_b64 s[16:17], s[4:5]
	s_cbranch_execz .LBB89_22
; %bb.21:
	buffer_load_dword v59, off, s[0:3], 0 offset:12
	buffer_load_dword v60, off, s[0:3], 0 offset:8
	v_mov_b32_e32 v57, 0
	ds_read_b64 v[57:58], v57 offset:216
	s_waitcnt vmcnt(1) lgkmcnt(0)
	v_mul_f32_e32 v61, v57, v59
	v_mul_f32_e32 v59, v58, v59
	s_waitcnt vmcnt(0)
	v_fmac_f32_e32 v61, v58, v60
	v_fma_f32 v57, v57, v60, -v59
	v_add_f32_e32 v53, v53, v61
	v_add_f32_e32 v54, v54, v57
.LBB89_22:
	s_or_b64 exec, exec, s[16:17]
	v_mov_b32_e32 v57, 0
	ds_read_b64 v[57:58], v57 offset:16
	s_waitcnt lgkmcnt(0)
	v_mul_f32_e32 v59, v53, v58
	v_mul_f32_e32 v58, v54, v58
	v_fma_f32 v54, v54, v57, -v59
	v_fmac_f32_e32 v58, v53, v57
	buffer_store_dword v54, off, s[0:3], 0 offset:16
	buffer_store_dword v58, off, s[0:3], 0 offset:20
.LBB89_23:
	s_or_b64 exec, exec, s[8:9]
	; wave barrier
	buffer_load_dword v53, off, s[0:3], 0 offset:24
	buffer_load_dword v54, off, s[0:3], 0 offset:28
	v_cmp_gt_u32_e32 vcc, 3, v0
	s_waitcnt vmcnt(0)
	ds_write_b64 v56, v[53:54]
	v_add_u32_e32 v53, -1, v0
	s_waitcnt lgkmcnt(0)
	; wave barrier
	s_and_saveexec_b64 s[4:5], vcc
	s_cbranch_execz .LBB89_27
; %bb.24:
	v_add_u32_e32 v57, -1, v0
	v_add_u32_e32 v58, 0xd0, v55
	v_mov_b32_e32 v59, v55
	v_mov_b32_e32 v54, 0
	s_mov_b64 s[8:9], 0
	v_mov_b32_e32 v60, 0
.LBB89_25:                              ; =>This Inner Loop Header: Depth=1
	buffer_load_dword v63, v59, s[0:3], 0 offen offset:4
	buffer_load_dword v64, v59, s[0:3], 0 offen
	ds_read_b64 v[61:62], v58
	v_add_u32_e32 v57, 1, v57
	v_cmp_lt_u32_e32 vcc, 1, v57
	v_add_u32_e32 v58, 8, v58
	v_add_u32_e32 v59, 8, v59
	s_or_b64 s[8:9], vcc, s[8:9]
	s_waitcnt vmcnt(1) lgkmcnt(0)
	v_mul_f32_e32 v65, v62, v63
	v_mul_f32_e32 v63, v61, v63
	s_waitcnt vmcnt(0)
	v_fma_f32 v61, v61, v64, -v65
	v_fmac_f32_e32 v63, v62, v64
	v_add_f32_e32 v60, v60, v61
	v_add_f32_e32 v54, v54, v63
	s_andn2_b64 exec, exec, s[8:9]
	s_cbranch_execnz .LBB89_25
; %bb.26:
	s_or_b64 exec, exec, s[8:9]
	v_mov_b32_e32 v57, 0
	ds_read_b64 v[57:58], v57 offset:24
	s_waitcnt lgkmcnt(0)
	v_mul_f32_e32 v59, v54, v58
	v_mul_f32_e32 v58, v60, v58
	v_fma_f32 v59, v60, v57, -v59
	v_fmac_f32_e32 v58, v54, v57
	buffer_store_dword v59, off, s[0:3], 0 offset:24
	buffer_store_dword v58, off, s[0:3], 0 offset:28
.LBB89_27:
	s_or_b64 exec, exec, s[4:5]
	; wave barrier
	buffer_load_dword v57, off, s[0:3], 0 offset:32
	buffer_load_dword v58, off, s[0:3], 0 offset:36
	v_cmp_gt_u32_e32 vcc, 4, v0
	s_waitcnt vmcnt(0)
	ds_write_b64 v56, v[57:58]
	s_waitcnt lgkmcnt(0)
	; wave barrier
	s_and_saveexec_b64 s[4:5], vcc
	s_cbranch_execz .LBB89_31
; %bb.28:
	v_add_u32_e32 v57, -1, v0
	v_add_u32_e32 v58, 0xd0, v55
	v_mov_b32_e32 v59, v55
	v_mov_b32_e32 v54, 0
	s_mov_b64 s[8:9], 0
	v_mov_b32_e32 v60, 0
.LBB89_29:                              ; =>This Inner Loop Header: Depth=1
	buffer_load_dword v63, v59, s[0:3], 0 offen offset:4
	buffer_load_dword v64, v59, s[0:3], 0 offen
	ds_read_b64 v[61:62], v58
	v_add_u32_e32 v57, 1, v57
	v_cmp_lt_u32_e32 vcc, 2, v57
	v_add_u32_e32 v58, 8, v58
	v_add_u32_e32 v59, 8, v59
	s_or_b64 s[8:9], vcc, s[8:9]
	s_waitcnt vmcnt(1) lgkmcnt(0)
	v_mul_f32_e32 v65, v62, v63
	v_mul_f32_e32 v63, v61, v63
	s_waitcnt vmcnt(0)
	v_fma_f32 v61, v61, v64, -v65
	v_fmac_f32_e32 v63, v62, v64
	v_add_f32_e32 v60, v60, v61
	v_add_f32_e32 v54, v54, v63
	s_andn2_b64 exec, exec, s[8:9]
	s_cbranch_execnz .LBB89_29
; %bb.30:
	s_or_b64 exec, exec, s[8:9]
	v_mov_b32_e32 v57, 0
	ds_read_b64 v[57:58], v57 offset:32
	s_waitcnt lgkmcnt(0)
	v_mul_f32_e32 v59, v54, v58
	v_mul_f32_e32 v58, v60, v58
	v_fma_f32 v59, v60, v57, -v59
	v_fmac_f32_e32 v58, v54, v57
	buffer_store_dword v59, off, s[0:3], 0 offset:32
	buffer_store_dword v58, off, s[0:3], 0 offset:36
.LBB89_31:
	s_or_b64 exec, exec, s[4:5]
	; wave barrier
	buffer_load_dword v57, off, s[0:3], 0 offset:40
	buffer_load_dword v58, off, s[0:3], 0 offset:44
	v_cmp_gt_u32_e32 vcc, 5, v0
	s_waitcnt vmcnt(0)
	ds_write_b64 v56, v[57:58]
	;; [unrolled: 49-line block ×19, first 2 shown]
	s_waitcnt lgkmcnt(0)
	; wave barrier
	s_and_saveexec_b64 s[4:5], vcc
	s_cbranch_execz .LBB89_103
; %bb.100:
	v_add_u32_e32 v57, -1, v0
	v_add_u32_e32 v58, 0xd0, v55
	v_mov_b32_e32 v59, v55
	v_mov_b32_e32 v54, 0
	s_mov_b64 s[8:9], 0
	v_mov_b32_e32 v60, 0
.LBB89_101:                             ; =>This Inner Loop Header: Depth=1
	buffer_load_dword v63, v59, s[0:3], 0 offen offset:4
	buffer_load_dword v64, v59, s[0:3], 0 offen
	ds_read_b64 v[61:62], v58
	v_add_u32_e32 v57, 1, v57
	v_cmp_lt_u32_e32 vcc, 20, v57
	v_add_u32_e32 v58, 8, v58
	v_add_u32_e32 v59, 8, v59
	s_or_b64 s[8:9], vcc, s[8:9]
	s_waitcnt vmcnt(1) lgkmcnt(0)
	v_mul_f32_e32 v65, v62, v63
	v_mul_f32_e32 v63, v61, v63
	s_waitcnt vmcnt(0)
	v_fma_f32 v61, v61, v64, -v65
	v_fmac_f32_e32 v63, v62, v64
	v_add_f32_e32 v60, v60, v61
	v_add_f32_e32 v54, v54, v63
	s_andn2_b64 exec, exec, s[8:9]
	s_cbranch_execnz .LBB89_101
; %bb.102:
	s_or_b64 exec, exec, s[8:9]
	v_mov_b32_e32 v57, 0
	ds_read_b64 v[57:58], v57 offset:176
	s_waitcnt lgkmcnt(0)
	v_mul_f32_e32 v59, v54, v58
	v_mul_f32_e32 v58, v60, v58
	v_fma_f32 v59, v60, v57, -v59
	v_fmac_f32_e32 v58, v54, v57
	buffer_store_dword v59, off, s[0:3], 0 offset:176
	buffer_store_dword v58, off, s[0:3], 0 offset:180
.LBB89_103:
	s_or_b64 exec, exec, s[4:5]
	; wave barrier
	buffer_load_dword v57, off, s[0:3], 0 offset:184
	buffer_load_dword v58, off, s[0:3], 0 offset:188
	v_cmp_gt_u32_e32 vcc, 23, v0
	s_waitcnt vmcnt(0)
	ds_write_b64 v56, v[57:58]
	s_waitcnt lgkmcnt(0)
	; wave barrier
	s_and_saveexec_b64 s[4:5], vcc
	s_cbranch_execz .LBB89_107
; %bb.104:
	v_add_u32_e32 v57, -1, v0
	v_add_u32_e32 v58, 0xd0, v55
	v_mov_b32_e32 v59, v55
	v_mov_b32_e32 v54, 0
	s_mov_b64 s[8:9], 0
	v_mov_b32_e32 v60, 0
.LBB89_105:                             ; =>This Inner Loop Header: Depth=1
	buffer_load_dword v63, v59, s[0:3], 0 offen offset:4
	buffer_load_dword v64, v59, s[0:3], 0 offen
	ds_read_b64 v[61:62], v58
	v_add_u32_e32 v57, 1, v57
	v_cmp_lt_u32_e32 vcc, 21, v57
	v_add_u32_e32 v58, 8, v58
	v_add_u32_e32 v59, 8, v59
	s_or_b64 s[8:9], vcc, s[8:9]
	s_waitcnt vmcnt(1) lgkmcnt(0)
	v_mul_f32_e32 v65, v62, v63
	v_mul_f32_e32 v63, v61, v63
	s_waitcnt vmcnt(0)
	v_fma_f32 v61, v61, v64, -v65
	v_fmac_f32_e32 v63, v62, v64
	v_add_f32_e32 v60, v60, v61
	v_add_f32_e32 v54, v54, v63
	s_andn2_b64 exec, exec, s[8:9]
	s_cbranch_execnz .LBB89_105
; %bb.106:
	s_or_b64 exec, exec, s[8:9]
	v_mov_b32_e32 v57, 0
	ds_read_b64 v[57:58], v57 offset:184
	s_waitcnt lgkmcnt(0)
	v_mul_f32_e32 v59, v54, v58
	v_mul_f32_e32 v58, v60, v58
	v_fma_f32 v59, v60, v57, -v59
	v_fmac_f32_e32 v58, v54, v57
	buffer_store_dword v59, off, s[0:3], 0 offset:184
	buffer_store_dword v58, off, s[0:3], 0 offset:188
.LBB89_107:
	s_or_b64 exec, exec, s[4:5]
	; wave barrier
	buffer_load_dword v57, off, s[0:3], 0 offset:192
	buffer_load_dword v58, off, s[0:3], 0 offset:196
	v_cmp_gt_u32_e32 vcc, 24, v0
	s_waitcnt vmcnt(0)
	ds_write_b64 v56, v[57:58]
	s_waitcnt lgkmcnt(0)
	; wave barrier
	s_and_saveexec_b64 s[4:5], vcc
	s_cbranch_execz .LBB89_111
; %bb.108:
	v_add_u32_e32 v57, -1, v0
	v_add_u32_e32 v58, 0xd0, v55
	v_mov_b32_e32 v59, v55
	v_mov_b32_e32 v54, 0
	s_mov_b64 s[8:9], 0
	v_mov_b32_e32 v60, 0
.LBB89_109:                             ; =>This Inner Loop Header: Depth=1
	buffer_load_dword v63, v59, s[0:3], 0 offen offset:4
	buffer_load_dword v64, v59, s[0:3], 0 offen
	ds_read_b64 v[61:62], v58
	v_add_u32_e32 v57, 1, v57
	v_cmp_lt_u32_e32 vcc, 22, v57
	v_add_u32_e32 v58, 8, v58
	v_add_u32_e32 v59, 8, v59
	s_or_b64 s[8:9], vcc, s[8:9]
	s_waitcnt vmcnt(1) lgkmcnt(0)
	v_mul_f32_e32 v65, v62, v63
	v_mul_f32_e32 v63, v61, v63
	s_waitcnt vmcnt(0)
	v_fma_f32 v61, v61, v64, -v65
	v_fmac_f32_e32 v63, v62, v64
	v_add_f32_e32 v60, v60, v61
	v_add_f32_e32 v54, v54, v63
	s_andn2_b64 exec, exec, s[8:9]
	s_cbranch_execnz .LBB89_109
; %bb.110:
	s_or_b64 exec, exec, s[8:9]
	v_mov_b32_e32 v57, 0
	ds_read_b64 v[57:58], v57 offset:192
	s_waitcnt lgkmcnt(0)
	v_mul_f32_e32 v59, v54, v58
	v_mul_f32_e32 v58, v60, v58
	v_fma_f32 v59, v60, v57, -v59
	v_fmac_f32_e32 v58, v54, v57
	buffer_store_dword v59, off, s[0:3], 0 offset:192
	buffer_store_dword v58, off, s[0:3], 0 offset:196
.LBB89_111:
	s_or_b64 exec, exec, s[4:5]
	; wave barrier
	buffer_load_dword v57, off, s[0:3], 0 offset:200
	buffer_load_dword v58, off, s[0:3], 0 offset:204
	v_cmp_ne_u32_e32 vcc, 25, v0
	s_waitcnt vmcnt(0)
	ds_write_b64 v56, v[57:58]
	s_waitcnt lgkmcnt(0)
	; wave barrier
	s_and_saveexec_b64 s[4:5], vcc
	s_cbranch_execz .LBB89_115
; %bb.112:
	v_add_u32_e32 v56, 0xd0, v55
	v_mov_b32_e32 v54, 0
	s_mov_b64 s[8:9], 0
	v_mov_b32_e32 v57, 0
.LBB89_113:                             ; =>This Inner Loop Header: Depth=1
	buffer_load_dword v60, v55, s[0:3], 0 offen offset:4
	buffer_load_dword v61, v55, s[0:3], 0 offen
	ds_read_b64 v[58:59], v56
	v_add_u32_e32 v53, 1, v53
	v_cmp_lt_u32_e32 vcc, 23, v53
	v_add_u32_e32 v56, 8, v56
	v_add_u32_e32 v55, 8, v55
	s_or_b64 s[8:9], vcc, s[8:9]
	s_waitcnt vmcnt(1) lgkmcnt(0)
	v_mul_f32_e32 v62, v59, v60
	v_mul_f32_e32 v60, v58, v60
	s_waitcnt vmcnt(0)
	v_fma_f32 v58, v58, v61, -v62
	v_fmac_f32_e32 v60, v59, v61
	v_add_f32_e32 v57, v57, v58
	v_add_f32_e32 v54, v54, v60
	s_andn2_b64 exec, exec, s[8:9]
	s_cbranch_execnz .LBB89_113
; %bb.114:
	s_or_b64 exec, exec, s[8:9]
	v_mov_b32_e32 v53, 0
	ds_read_b64 v[55:56], v53 offset:200
	s_waitcnt lgkmcnt(0)
	v_mul_f32_e32 v53, v54, v56
	v_mul_f32_e32 v56, v57, v56
	v_fma_f32 v53, v57, v55, -v53
	v_fmac_f32_e32 v56, v54, v55
	buffer_store_dword v53, off, s[0:3], 0 offset:200
	buffer_store_dword v56, off, s[0:3], 0 offset:204
.LBB89_115:
	s_or_b64 exec, exec, s[4:5]
	s_mov_b64 s[8:9], -1
	; wave barrier
.LBB89_116:
	s_and_b64 vcc, exec, s[8:9]
	s_cbranch_vccz .LBB89_118
; %bb.117:
	s_lshl_b64 s[4:5], s[6:7], 2
	s_add_u32 s4, s10, s4
	s_addc_u32 s5, s11, s5
	v_mov_b32_e32 v53, 0
	global_load_dword v53, v53, s[4:5]
	s_waitcnt vmcnt(0)
	v_cmp_ne_u32_e32 vcc, 0, v53
	s_cbranch_vccz .LBB89_119
.LBB89_118:
	s_endpgm
.LBB89_119:
	v_mov_b32_e32 v53, 0xd0
	v_lshl_add_u32 v53, v0, 3, v53
	v_cmp_eq_u32_e32 vcc, 25, v0
	s_and_saveexec_b64 s[4:5], vcc
	s_cbranch_execz .LBB89_121
; %bb.120:
	buffer_load_dword v54, off, s[0:3], 0 offset:192
	buffer_load_dword v55, off, s[0:3], 0 offset:196
	v_mov_b32_e32 v56, 0
	buffer_store_dword v56, off, s[0:3], 0 offset:192
	buffer_store_dword v56, off, s[0:3], 0 offset:196
	s_waitcnt vmcnt(2)
	ds_write_b64 v53, v[54:55]
.LBB89_121:
	s_or_b64 exec, exec, s[4:5]
	s_waitcnt lgkmcnt(0)
	; wave barrier
	buffer_load_dword v57, off, s[0:3], 0 offset:204
	buffer_load_dword v58, off, s[0:3], 0 offset:200
	;; [unrolled: 1-line block ×4, first 2 shown]
	v_mov_b32_e32 v54, 0
	ds_read_b64 v[55:56], v54 offset:408
	v_cmp_lt_u32_e32 vcc, 23, v0
	s_waitcnt vmcnt(3) lgkmcnt(0)
	v_mul_f32_e32 v61, v55, v57
	v_mul_f32_e32 v57, v56, v57
	s_waitcnt vmcnt(2)
	v_fma_f32 v55, v55, v58, -v57
	v_fmac_f32_e32 v61, v56, v58
	v_add_f32_e32 v55, 0, v55
	v_add_f32_e32 v56, 0, v61
	s_waitcnt vmcnt(1)
	v_sub_f32_e32 v55, v59, v55
	s_waitcnt vmcnt(0)
	v_sub_f32_e32 v56, v60, v56
	buffer_store_dword v55, off, s[0:3], 0 offset:192
	buffer_store_dword v56, off, s[0:3], 0 offset:196
	s_and_saveexec_b64 s[4:5], vcc
	s_cbranch_execz .LBB89_123
; %bb.122:
	buffer_load_dword v55, off, s[0:3], 0 offset:184
	buffer_load_dword v56, off, s[0:3], 0 offset:188
	s_waitcnt vmcnt(0)
	ds_write_b64 v53, v[55:56]
	buffer_store_dword v54, off, s[0:3], 0 offset:184
	buffer_store_dword v54, off, s[0:3], 0 offset:188
.LBB89_123:
	s_or_b64 exec, exec, s[4:5]
	s_waitcnt lgkmcnt(0)
	; wave barrier
	buffer_load_dword v58, off, s[0:3], 0 offset:196
	buffer_load_dword v59, off, s[0:3], 0 offset:204
	;; [unrolled: 1-line block ×6, first 2 shown]
	ds_read_b128 v[54:57], v54 offset:400
	v_cmp_lt_u32_e32 vcc, 22, v0
	s_waitcnt vmcnt(5) lgkmcnt(0)
	v_mul_f32_e32 v64, v54, v58
	v_mul_f32_e32 v58, v55, v58
	s_waitcnt vmcnt(4)
	v_mul_f32_e32 v65, v56, v59
	v_mul_f32_e32 v59, v57, v59
	s_waitcnt vmcnt(3)
	v_fma_f32 v54, v54, v60, -v58
	v_fmac_f32_e32 v64, v55, v60
	s_waitcnt vmcnt(2)
	v_fma_f32 v55, v56, v61, -v59
	v_add_f32_e32 v54, 0, v54
	v_fmac_f32_e32 v65, v57, v61
	v_add_f32_e32 v56, 0, v64
	v_add_f32_e32 v54, v54, v55
	;; [unrolled: 1-line block ×3, first 2 shown]
	s_waitcnt vmcnt(1)
	v_sub_f32_e32 v54, v62, v54
	s_waitcnt vmcnt(0)
	v_sub_f32_e32 v55, v63, v56
	buffer_store_dword v54, off, s[0:3], 0 offset:184
	buffer_store_dword v55, off, s[0:3], 0 offset:188
	s_and_saveexec_b64 s[4:5], vcc
	s_cbranch_execz .LBB89_125
; %bb.124:
	buffer_load_dword v54, off, s[0:3], 0 offset:176
	buffer_load_dword v55, off, s[0:3], 0 offset:180
	v_mov_b32_e32 v56, 0
	buffer_store_dword v56, off, s[0:3], 0 offset:176
	buffer_store_dword v56, off, s[0:3], 0 offset:180
	s_waitcnt vmcnt(2)
	ds_write_b64 v53, v[54:55]
.LBB89_125:
	s_or_b64 exec, exec, s[4:5]
	s_waitcnt lgkmcnt(0)
	; wave barrier
	buffer_load_dword v61, off, s[0:3], 0 offset:188
	buffer_load_dword v62, off, s[0:3], 0 offset:196
	;; [unrolled: 1-line block ×8, first 2 shown]
	v_mov_b32_e32 v54, 0
	ds_read2_b64 v[55:58], v54 offset0:49 offset1:50
	ds_read_b64 v[59:60], v54 offset:408
	v_cmp_lt_u32_e32 vcc, 21, v0
	s_waitcnt vmcnt(7) lgkmcnt(1)
	v_mul_f32_e32 v69, v55, v61
	v_mul_f32_e32 v61, v56, v61
	s_waitcnt vmcnt(6)
	v_mul_f32_e32 v70, v57, v62
	v_mul_f32_e32 v62, v58, v62
	s_waitcnt vmcnt(4)
	v_fma_f32 v55, v55, v64, -v61
	s_waitcnt lgkmcnt(0)
	v_mul_f32_e32 v71, v59, v63
	v_mul_f32_e32 v63, v60, v63
	v_fmac_f32_e32 v69, v56, v64
	s_waitcnt vmcnt(3)
	v_fma_f32 v56, v57, v65, -v62
	v_add_f32_e32 v55, 0, v55
	v_fmac_f32_e32 v70, v58, v65
	s_waitcnt vmcnt(2)
	v_fma_f32 v57, v59, v66, -v63
	v_add_f32_e32 v58, 0, v69
	v_add_f32_e32 v55, v55, v56
	v_fmac_f32_e32 v71, v60, v66
	v_add_f32_e32 v58, v58, v70
	v_add_f32_e32 v55, v55, v57
	;; [unrolled: 1-line block ×3, first 2 shown]
	s_waitcnt vmcnt(1)
	v_sub_f32_e32 v55, v67, v55
	s_waitcnt vmcnt(0)
	v_sub_f32_e32 v56, v68, v56
	buffer_store_dword v55, off, s[0:3], 0 offset:176
	buffer_store_dword v56, off, s[0:3], 0 offset:180
	s_and_saveexec_b64 s[4:5], vcc
	s_cbranch_execz .LBB89_127
; %bb.126:
	buffer_load_dword v55, off, s[0:3], 0 offset:168
	buffer_load_dword v56, off, s[0:3], 0 offset:172
	s_waitcnt vmcnt(0)
	ds_write_b64 v53, v[55:56]
	buffer_store_dword v54, off, s[0:3], 0 offset:168
	buffer_store_dword v54, off, s[0:3], 0 offset:172
.LBB89_127:
	s_or_b64 exec, exec, s[4:5]
	s_waitcnt lgkmcnt(0)
	; wave barrier
	buffer_load_dword v63, off, s[0:3], 0 offset:180
	buffer_load_dword v64, off, s[0:3], 0 offset:188
	;; [unrolled: 1-line block ×10, first 2 shown]
	ds_read_b128 v[55:58], v54 offset:384
	ds_read_b128 v[59:62], v54 offset:400
	v_cmp_lt_u32_e32 vcc, 20, v0
	s_waitcnt vmcnt(9) lgkmcnt(1)
	v_mul_f32_e32 v54, v55, v63
	v_mul_f32_e32 v63, v56, v63
	s_waitcnt vmcnt(8)
	v_mul_f32_e32 v73, v57, v64
	v_mul_f32_e32 v64, v58, v64
	s_waitcnt vmcnt(5)
	v_fma_f32 v55, v55, v67, -v63
	s_waitcnt lgkmcnt(0)
	v_mul_f32_e32 v74, v59, v65
	v_mul_f32_e32 v65, v60, v65
	v_fmac_f32_e32 v54, v56, v67
	s_waitcnt vmcnt(4)
	v_fma_f32 v56, v57, v68, -v64
	v_add_f32_e32 v55, 0, v55
	v_mul_f32_e32 v75, v61, v66
	v_mul_f32_e32 v66, v62, v66
	v_fmac_f32_e32 v73, v58, v68
	s_waitcnt vmcnt(3)
	v_fma_f32 v57, v59, v69, -v65
	v_add_f32_e32 v54, 0, v54
	v_add_f32_e32 v55, v55, v56
	v_fmac_f32_e32 v74, v60, v69
	s_waitcnt vmcnt(2)
	v_fma_f32 v58, v61, v70, -v66
	v_add_f32_e32 v54, v54, v73
	v_add_f32_e32 v55, v55, v57
	v_fmac_f32_e32 v75, v62, v70
	v_add_f32_e32 v54, v54, v74
	v_add_f32_e32 v55, v55, v58
	;; [unrolled: 1-line block ×3, first 2 shown]
	s_waitcnt vmcnt(1)
	v_sub_f32_e32 v55, v71, v55
	s_waitcnt vmcnt(0)
	v_sub_f32_e32 v54, v72, v54
	buffer_store_dword v55, off, s[0:3], 0 offset:168
	buffer_store_dword v54, off, s[0:3], 0 offset:172
	s_and_saveexec_b64 s[4:5], vcc
	s_cbranch_execz .LBB89_129
; %bb.128:
	buffer_load_dword v54, off, s[0:3], 0 offset:160
	buffer_load_dword v55, off, s[0:3], 0 offset:164
	v_mov_b32_e32 v56, 0
	buffer_store_dword v56, off, s[0:3], 0 offset:160
	buffer_store_dword v56, off, s[0:3], 0 offset:164
	s_waitcnt vmcnt(2)
	ds_write_b64 v53, v[54:55]
.LBB89_129:
	s_or_b64 exec, exec, s[4:5]
	s_waitcnt lgkmcnt(0)
	; wave barrier
	buffer_load_dword v65, off, s[0:3], 0 offset:172
	buffer_load_dword v66, off, s[0:3], 0 offset:180
	;; [unrolled: 1-line block ×12, first 2 shown]
	v_mov_b32_e32 v54, 0
	ds_read2_b64 v[55:58], v54 offset0:47 offset1:48
	ds_read2_b64 v[59:62], v54 offset0:49 offset1:50
	ds_read_b64 v[63:64], v54 offset:408
	v_cmp_lt_u32_e32 vcc, 19, v0
	s_waitcnt vmcnt(11) lgkmcnt(2)
	v_mul_f32_e32 v77, v55, v65
	v_mul_f32_e32 v65, v56, v65
	s_waitcnt vmcnt(10)
	v_mul_f32_e32 v78, v57, v66
	v_mul_f32_e32 v66, v58, v66
	s_waitcnt vmcnt(9) lgkmcnt(1)
	v_mul_f32_e32 v79, v59, v67
	s_waitcnt vmcnt(6)
	v_fma_f32 v55, v55, v70, -v65
	v_mul_f32_e32 v67, v60, v67
	v_fmac_f32_e32 v77, v56, v70
	s_waitcnt vmcnt(5)
	v_fma_f32 v56, v57, v71, -v66
	v_add_f32_e32 v55, 0, v55
	v_mul_f32_e32 v80, v61, v68
	v_mul_f32_e32 v68, v62, v68
	v_fmac_f32_e32 v78, v58, v71
	s_waitcnt vmcnt(4)
	v_fmac_f32_e32 v79, v60, v72
	v_fma_f32 v57, v59, v72, -v67
	v_add_f32_e32 v60, 0, v77
	v_add_f32_e32 v55, v55, v56
	s_waitcnt lgkmcnt(0)
	v_mul_f32_e32 v81, v63, v69
	v_mul_f32_e32 v69, v64, v69
	s_waitcnt vmcnt(3)
	v_fma_f32 v58, v61, v73, -v68
	v_add_f32_e32 v60, v60, v78
	v_add_f32_e32 v55, v55, v57
	v_fmac_f32_e32 v80, v62, v73
	s_waitcnt vmcnt(2)
	v_fma_f32 v59, v63, v74, -v69
	v_add_f32_e32 v56, v60, v79
	v_add_f32_e32 v55, v55, v58
	v_fmac_f32_e32 v81, v64, v74
	v_add_f32_e32 v56, v56, v80
	v_add_f32_e32 v55, v55, v59
	;; [unrolled: 1-line block ×3, first 2 shown]
	s_waitcnt vmcnt(1)
	v_sub_f32_e32 v55, v75, v55
	s_waitcnt vmcnt(0)
	v_sub_f32_e32 v56, v76, v56
	buffer_store_dword v55, off, s[0:3], 0 offset:160
	buffer_store_dword v56, off, s[0:3], 0 offset:164
	s_and_saveexec_b64 s[4:5], vcc
	s_cbranch_execz .LBB89_131
; %bb.130:
	buffer_load_dword v55, off, s[0:3], 0 offset:152
	buffer_load_dword v56, off, s[0:3], 0 offset:156
	s_waitcnt vmcnt(0)
	ds_write_b64 v53, v[55:56]
	buffer_store_dword v54, off, s[0:3], 0 offset:152
	buffer_store_dword v54, off, s[0:3], 0 offset:156
.LBB89_131:
	s_or_b64 exec, exec, s[4:5]
	s_waitcnt lgkmcnt(0)
	; wave barrier
	ds_read_b128 v[55:58], v54 offset:368
	ds_read_b128 v[59:62], v54 offset:384
	;; [unrolled: 1-line block ×3, first 2 shown]
	buffer_load_dword v54, off, s[0:3], 0 offset:152
	buffer_load_dword v67, off, s[0:3], 0 offset:156
	;; [unrolled: 1-line block ×14, first 2 shown]
	v_cmp_lt_u32_e32 vcc, 18, v0
	s_waitcnt vmcnt(10) lgkmcnt(2)
	v_mul_f32_e32 v80, v55, v69
	v_fmac_f32_e32 v80, v56, v68
	v_mul_f32_e32 v56, v56, v69
	v_fma_f32 v55, v55, v68, -v56
	s_waitcnt vmcnt(8)
	v_mul_f32_e32 v56, v58, v71
	v_mul_f32_e32 v81, v57, v71
	v_add_f32_e32 v55, 0, v55
	v_fma_f32 v56, v57, v70, -v56
	v_add_f32_e32 v80, 0, v80
	v_fmac_f32_e32 v81, v58, v70
	v_add_f32_e32 v55, v55, v56
	s_waitcnt vmcnt(6) lgkmcnt(1)
	v_mul_f32_e32 v56, v60, v73
	v_add_f32_e32 v80, v80, v81
	v_mul_f32_e32 v81, v59, v73
	v_fma_f32 v56, v59, v72, -v56
	v_fmac_f32_e32 v81, v60, v72
	v_add_f32_e32 v55, v55, v56
	s_waitcnt vmcnt(4)
	v_mul_f32_e32 v56, v62, v75
	v_add_f32_e32 v80, v80, v81
	v_mul_f32_e32 v81, v61, v75
	v_fma_f32 v56, v61, v74, -v56
	v_fmac_f32_e32 v81, v62, v74
	v_add_f32_e32 v55, v55, v56
	s_waitcnt vmcnt(2) lgkmcnt(0)
	v_mul_f32_e32 v56, v64, v77
	v_add_f32_e32 v80, v80, v81
	v_mul_f32_e32 v81, v63, v77
	v_fma_f32 v56, v63, v76, -v56
	v_fmac_f32_e32 v81, v64, v76
	v_add_f32_e32 v55, v55, v56
	s_waitcnt vmcnt(0)
	v_mul_f32_e32 v56, v66, v79
	v_add_f32_e32 v80, v80, v81
	v_mul_f32_e32 v81, v65, v79
	v_fma_f32 v56, v65, v78, -v56
	v_fmac_f32_e32 v81, v66, v78
	v_add_f32_e32 v55, v55, v56
	v_add_f32_e32 v80, v80, v81
	v_sub_f32_e32 v54, v54, v55
	v_sub_f32_e32 v55, v67, v80
	buffer_store_dword v54, off, s[0:3], 0 offset:152
	buffer_store_dword v55, off, s[0:3], 0 offset:156
	s_and_saveexec_b64 s[4:5], vcc
	s_cbranch_execz .LBB89_133
; %bb.132:
	buffer_load_dword v54, off, s[0:3], 0 offset:144
	buffer_load_dword v55, off, s[0:3], 0 offset:148
	v_mov_b32_e32 v56, 0
	buffer_store_dword v56, off, s[0:3], 0 offset:144
	buffer_store_dword v56, off, s[0:3], 0 offset:148
	s_waitcnt vmcnt(2)
	ds_write_b64 v53, v[54:55]
.LBB89_133:
	s_or_b64 exec, exec, s[4:5]
	s_waitcnt lgkmcnt(0)
	; wave barrier
	buffer_load_dword v69, off, s[0:3], 0 offset:156
	buffer_load_dword v70, off, s[0:3], 0 offset:164
	;; [unrolled: 1-line block ×16, first 2 shown]
	v_mov_b32_e32 v54, 0
	ds_read2_b64 v[55:58], v54 offset0:45 offset1:46
	ds_read2_b64 v[59:62], v54 offset0:47 offset1:48
	;; [unrolled: 1-line block ×3, first 2 shown]
	ds_read_b64 v[67:68], v54 offset:408
	v_cmp_lt_u32_e32 vcc, 17, v0
	s_waitcnt vmcnt(15) lgkmcnt(3)
	v_mul_f32_e32 v85, v55, v69
	v_mul_f32_e32 v69, v56, v69
	s_waitcnt vmcnt(14)
	v_mul_f32_e32 v86, v57, v70
	v_mul_f32_e32 v70, v58, v70
	s_waitcnt vmcnt(13) lgkmcnt(2)
	v_mul_f32_e32 v87, v59, v71
	s_waitcnt vmcnt(12)
	v_mul_f32_e32 v88, v61, v72
	v_mul_f32_e32 v71, v60, v71
	s_waitcnt vmcnt(8)
	v_fma_f32 v55, v55, v76, -v69
	v_fmac_f32_e32 v85, v56, v76
	s_waitcnt vmcnt(7)
	v_fma_f32 v56, v57, v77, -v70
	v_add_f32_e32 v55, 0, v55
	v_mul_f32_e32 v72, v62, v72
	v_fmac_f32_e32 v86, v58, v77
	s_waitcnt vmcnt(5)
	v_fmac_f32_e32 v88, v62, v79
	v_fma_f32 v57, v59, v78, -v71
	v_add_f32_e32 v62, 0, v85
	v_add_f32_e32 v55, v55, v56
	s_waitcnt lgkmcnt(1)
	v_mul_f32_e32 v89, v63, v73
	v_mul_f32_e32 v73, v64, v73
	v_fmac_f32_e32 v87, v60, v78
	v_fma_f32 v58, v61, v79, -v72
	v_add_f32_e32 v62, v62, v86
	v_add_f32_e32 v55, v55, v57
	v_mul_f32_e32 v90, v65, v74
	v_mul_f32_e32 v74, v66, v74
	s_waitcnt vmcnt(4)
	v_fma_f32 v59, v63, v80, -v73
	v_add_f32_e32 v56, v62, v87
	v_add_f32_e32 v55, v55, v58
	s_waitcnt lgkmcnt(0)
	v_mul_f32_e32 v91, v67, v75
	v_mul_f32_e32 v75, v68, v75
	v_fmac_f32_e32 v89, v64, v80
	s_waitcnt vmcnt(3)
	v_fma_f32 v60, v65, v81, -v74
	v_add_f32_e32 v56, v56, v88
	v_add_f32_e32 v55, v55, v59
	v_fmac_f32_e32 v90, v66, v81
	s_waitcnt vmcnt(2)
	v_fma_f32 v61, v67, v82, -v75
	v_add_f32_e32 v56, v56, v89
	v_add_f32_e32 v55, v55, v60
	v_fmac_f32_e32 v91, v68, v82
	v_add_f32_e32 v56, v56, v90
	v_add_f32_e32 v55, v55, v61
	;; [unrolled: 1-line block ×3, first 2 shown]
	s_waitcnt vmcnt(1)
	v_sub_f32_e32 v55, v83, v55
	s_waitcnt vmcnt(0)
	v_sub_f32_e32 v56, v84, v56
	buffer_store_dword v55, off, s[0:3], 0 offset:144
	buffer_store_dword v56, off, s[0:3], 0 offset:148
	s_and_saveexec_b64 s[4:5], vcc
	s_cbranch_execz .LBB89_135
; %bb.134:
	buffer_load_dword v55, off, s[0:3], 0 offset:136
	buffer_load_dword v56, off, s[0:3], 0 offset:140
	s_waitcnt vmcnt(0)
	ds_write_b64 v53, v[55:56]
	buffer_store_dword v54, off, s[0:3], 0 offset:136
	buffer_store_dword v54, off, s[0:3], 0 offset:140
.LBB89_135:
	s_or_b64 exec, exec, s[4:5]
	s_waitcnt lgkmcnt(0)
	; wave barrier
	buffer_load_dword v71, off, s[0:3], 0 offset:148
	buffer_load_dword v72, off, s[0:3], 0 offset:156
	;; [unrolled: 1-line block ×18, first 2 shown]
	ds_read_b128 v[55:58], v54 offset:352
	ds_read_b128 v[59:62], v54 offset:368
	;; [unrolled: 1-line block ×4, first 2 shown]
	v_cmp_lt_u32_e32 vcc, 16, v0
	s_waitcnt vmcnt(17) lgkmcnt(3)
	v_mul_f32_e32 v54, v55, v71
	v_mul_f32_e32 v71, v56, v71
	s_waitcnt vmcnt(16)
	v_mul_f32_e32 v89, v57, v72
	v_mul_f32_e32 v72, v58, v72
	s_waitcnt vmcnt(15) lgkmcnt(2)
	v_mul_f32_e32 v90, v59, v73
	v_mul_f32_e32 v73, v60, v73
	s_waitcnt vmcnt(14)
	v_mul_f32_e32 v91, v61, v74
	v_mul_f32_e32 v74, v62, v74
	s_waitcnt vmcnt(9)
	v_fma_f32 v55, v55, v79, -v71
	v_fmac_f32_e32 v54, v56, v79
	s_waitcnt vmcnt(8)
	v_fma_f32 v56, v57, v80, -v72
	v_add_f32_e32 v55, 0, v55
	v_fmac_f32_e32 v89, v58, v80
	s_waitcnt vmcnt(7)
	v_fma_f32 v57, v59, v81, -v73
	v_add_f32_e32 v54, 0, v54
	v_add_f32_e32 v55, v55, v56
	s_waitcnt lgkmcnt(1)
	v_mul_f32_e32 v92, v63, v75
	v_mul_f32_e32 v75, v64, v75
	v_fmac_f32_e32 v90, v60, v81
	s_waitcnt vmcnt(6)
	v_fma_f32 v58, v61, v82, -v74
	v_add_f32_e32 v54, v54, v89
	v_add_f32_e32 v55, v55, v57
	v_mul_f32_e32 v93, v65, v76
	v_mul_f32_e32 v76, v66, v76
	v_fmac_f32_e32 v91, v62, v82
	s_waitcnt vmcnt(5)
	v_fma_f32 v59, v63, v83, -v75
	v_add_f32_e32 v54, v54, v90
	v_add_f32_e32 v55, v55, v58
	s_waitcnt lgkmcnt(0)
	v_mul_f32_e32 v94, v67, v77
	v_mul_f32_e32 v77, v68, v77
	v_fmac_f32_e32 v92, v64, v83
	s_waitcnt vmcnt(4)
	v_fma_f32 v60, v65, v84, -v76
	v_add_f32_e32 v54, v54, v91
	v_add_f32_e32 v55, v55, v59
	v_mul_f32_e32 v95, v69, v78
	v_mul_f32_e32 v78, v70, v78
	v_fmac_f32_e32 v93, v66, v84
	s_waitcnt vmcnt(3)
	v_fma_f32 v61, v67, v85, -v77
	v_add_f32_e32 v54, v54, v92
	v_add_f32_e32 v55, v55, v60
	v_fmac_f32_e32 v94, v68, v85
	s_waitcnt vmcnt(2)
	v_fma_f32 v62, v69, v86, -v78
	v_add_f32_e32 v54, v54, v93
	v_add_f32_e32 v55, v55, v61
	v_fmac_f32_e32 v95, v70, v86
	v_add_f32_e32 v54, v54, v94
	v_add_f32_e32 v55, v55, v62
	;; [unrolled: 1-line block ×3, first 2 shown]
	s_waitcnt vmcnt(1)
	v_sub_f32_e32 v55, v87, v55
	s_waitcnt vmcnt(0)
	v_sub_f32_e32 v54, v88, v54
	buffer_store_dword v55, off, s[0:3], 0 offset:136
	buffer_store_dword v54, off, s[0:3], 0 offset:140
	s_and_saveexec_b64 s[4:5], vcc
	s_cbranch_execz .LBB89_137
; %bb.136:
	buffer_load_dword v54, off, s[0:3], 0 offset:128
	buffer_load_dword v55, off, s[0:3], 0 offset:132
	v_mov_b32_e32 v56, 0
	buffer_store_dword v56, off, s[0:3], 0 offset:128
	buffer_store_dword v56, off, s[0:3], 0 offset:132
	s_waitcnt vmcnt(2)
	ds_write_b64 v53, v[54:55]
.LBB89_137:
	s_or_b64 exec, exec, s[4:5]
	s_waitcnt lgkmcnt(0)
	; wave barrier
	buffer_load_dword v73, off, s[0:3], 0 offset:140
	buffer_load_dword v74, off, s[0:3], 0 offset:148
	;; [unrolled: 1-line block ×20, first 2 shown]
	v_mov_b32_e32 v54, 0
	ds_read2_b64 v[55:58], v54 offset0:43 offset1:44
	ds_read2_b64 v[59:62], v54 offset0:45 offset1:46
	;; [unrolled: 1-line block ×4, first 2 shown]
	ds_read_b64 v[71:72], v54 offset:408
	v_cmp_lt_u32_e32 vcc, 15, v0
	s_waitcnt vmcnt(19) lgkmcnt(4)
	v_mul_f32_e32 v93, v55, v73
	v_mul_f32_e32 v73, v56, v73
	s_waitcnt vmcnt(18)
	v_mul_f32_e32 v94, v57, v74
	v_mul_f32_e32 v74, v58, v74
	s_waitcnt vmcnt(17) lgkmcnt(3)
	v_mul_f32_e32 v95, v59, v75
	s_waitcnt vmcnt(15) lgkmcnt(2)
	v_mul_f32_e32 v97, v63, v77
	v_mul_f32_e32 v75, v60, v75
	v_mul_f32_e32 v96, v61, v76
	v_mul_f32_e32 v76, v62, v76
	s_waitcnt vmcnt(10)
	v_fma_f32 v55, v55, v82, -v73
	v_fmac_f32_e32 v93, v56, v82
	s_waitcnt vmcnt(9)
	v_fma_f32 v56, v57, v83, -v74
	v_add_f32_e32 v55, 0, v55
	v_mul_f32_e32 v77, v64, v77
	v_fmac_f32_e32 v94, v58, v83
	s_waitcnt vmcnt(6)
	v_fmac_f32_e32 v97, v64, v86
	v_fma_f32 v57, v59, v84, -v75
	v_add_f32_e32 v64, 0, v93
	v_add_f32_e32 v55, v55, v56
	v_fmac_f32_e32 v95, v60, v84
	v_fma_f32 v58, v61, v85, -v76
	v_add_f32_e32 v64, v64, v94
	v_add_f32_e32 v55, v55, v57
	v_mul_f32_e32 v98, v65, v78
	v_mul_f32_e32 v78, v66, v78
	v_fmac_f32_e32 v96, v62, v85
	v_fma_f32 v59, v63, v86, -v77
	v_add_f32_e32 v56, v64, v95
	v_add_f32_e32 v55, v55, v58
	s_waitcnt lgkmcnt(1)
	v_mul_f32_e32 v99, v67, v79
	v_mul_f32_e32 v79, v68, v79
	s_waitcnt vmcnt(5)
	v_fma_f32 v60, v65, v87, -v78
	v_add_f32_e32 v56, v56, v96
	v_add_f32_e32 v55, v55, v59
	v_mul_f32_e32 v100, v69, v80
	v_mul_f32_e32 v80, v70, v80
	v_fmac_f32_e32 v98, v66, v87
	s_waitcnt vmcnt(4)
	v_fma_f32 v61, v67, v88, -v79
	v_add_f32_e32 v56, v56, v97
	v_add_f32_e32 v55, v55, v60
	s_waitcnt lgkmcnt(0)
	v_mul_f32_e32 v101, v71, v81
	v_mul_f32_e32 v81, v72, v81
	v_fmac_f32_e32 v99, v68, v88
	s_waitcnt vmcnt(3)
	v_fma_f32 v62, v69, v89, -v80
	v_add_f32_e32 v56, v56, v98
	v_add_f32_e32 v55, v55, v61
	v_fmac_f32_e32 v100, v70, v89
	s_waitcnt vmcnt(2)
	v_fma_f32 v63, v71, v90, -v81
	v_add_f32_e32 v56, v56, v99
	v_add_f32_e32 v55, v55, v62
	v_fmac_f32_e32 v101, v72, v90
	v_add_f32_e32 v56, v56, v100
	v_add_f32_e32 v55, v55, v63
	;; [unrolled: 1-line block ×3, first 2 shown]
	s_waitcnt vmcnt(1)
	v_sub_f32_e32 v55, v91, v55
	s_waitcnt vmcnt(0)
	v_sub_f32_e32 v56, v92, v56
	buffer_store_dword v55, off, s[0:3], 0 offset:128
	buffer_store_dword v56, off, s[0:3], 0 offset:132
	s_and_saveexec_b64 s[4:5], vcc
	s_cbranch_execz .LBB89_139
; %bb.138:
	buffer_load_dword v55, off, s[0:3], 0 offset:120
	buffer_load_dword v56, off, s[0:3], 0 offset:124
	s_waitcnt vmcnt(0)
	ds_write_b64 v53, v[55:56]
	buffer_store_dword v54, off, s[0:3], 0 offset:120
	buffer_store_dword v54, off, s[0:3], 0 offset:124
.LBB89_139:
	s_or_b64 exec, exec, s[4:5]
	s_waitcnt lgkmcnt(0)
	; wave barrier
	buffer_load_dword v75, off, s[0:3], 0 offset:132
	buffer_load_dword v76, off, s[0:3], 0 offset:140
	;; [unrolled: 1-line block ×22, first 2 shown]
	ds_read_b128 v[55:58], v54 offset:336
	ds_read_b128 v[59:62], v54 offset:352
	;; [unrolled: 1-line block ×5, first 2 shown]
	v_cmp_lt_u32_e32 vcc, 14, v0
	s_waitcnt vmcnt(21) lgkmcnt(4)
	v_mul_f32_e32 v54, v55, v75
	v_mul_f32_e32 v75, v56, v75
	s_waitcnt vmcnt(20)
	v_mul_f32_e32 v97, v57, v76
	v_mul_f32_e32 v76, v58, v76
	s_waitcnt vmcnt(19) lgkmcnt(3)
	v_mul_f32_e32 v98, v59, v77
	v_mul_f32_e32 v77, v60, v77
	s_waitcnt vmcnt(18)
	v_mul_f32_e32 v99, v61, v78
	v_mul_f32_e32 v78, v62, v78
	s_waitcnt vmcnt(17) lgkmcnt(2)
	v_mul_f32_e32 v100, v63, v79
	v_mul_f32_e32 v79, v64, v79
	s_waitcnt vmcnt(11)
	v_fma_f32 v55, v55, v85, -v75
	v_fmac_f32_e32 v54, v56, v85
	s_waitcnt vmcnt(10)
	v_fma_f32 v56, v57, v86, -v76
	v_add_f32_e32 v55, 0, v55
	v_fmac_f32_e32 v97, v58, v86
	s_waitcnt vmcnt(9)
	v_fma_f32 v57, v59, v87, -v77
	v_add_f32_e32 v54, 0, v54
	v_add_f32_e32 v55, v55, v56
	v_fmac_f32_e32 v98, v60, v87
	s_waitcnt vmcnt(8)
	v_fma_f32 v58, v61, v88, -v78
	v_add_f32_e32 v54, v54, v97
	v_add_f32_e32 v55, v55, v57
	v_mul_f32_e32 v101, v65, v80
	v_mul_f32_e32 v80, v66, v80
	v_fmac_f32_e32 v99, v62, v88
	s_waitcnt vmcnt(7)
	v_fma_f32 v59, v63, v89, -v79
	v_add_f32_e32 v54, v54, v98
	v_add_f32_e32 v55, v55, v58
	s_waitcnt lgkmcnt(1)
	v_mul_f32_e32 v102, v67, v81
	v_mul_f32_e32 v81, v68, v81
	v_fmac_f32_e32 v100, v64, v89
	s_waitcnt vmcnt(6)
	v_fma_f32 v60, v65, v90, -v80
	v_add_f32_e32 v54, v54, v99
	v_add_f32_e32 v55, v55, v59
	v_mul_f32_e32 v103, v69, v82
	v_mul_f32_e32 v82, v70, v82
	v_fmac_f32_e32 v101, v66, v90
	s_waitcnt vmcnt(5)
	v_fma_f32 v61, v67, v91, -v81
	v_add_f32_e32 v54, v54, v100
	v_add_f32_e32 v55, v55, v60
	s_waitcnt lgkmcnt(0)
	v_mul_f32_e32 v104, v71, v83
	v_mul_f32_e32 v83, v72, v83
	v_fmac_f32_e32 v102, v68, v91
	s_waitcnt vmcnt(4)
	v_fma_f32 v62, v69, v92, -v82
	v_add_f32_e32 v54, v54, v101
	v_add_f32_e32 v55, v55, v61
	v_mul_f32_e32 v105, v73, v84
	v_mul_f32_e32 v84, v74, v84
	v_fmac_f32_e32 v103, v70, v92
	s_waitcnt vmcnt(3)
	v_fma_f32 v63, v71, v93, -v83
	v_add_f32_e32 v54, v54, v102
	v_add_f32_e32 v55, v55, v62
	v_fmac_f32_e32 v104, v72, v93
	s_waitcnt vmcnt(2)
	v_fma_f32 v64, v73, v94, -v84
	v_add_f32_e32 v54, v54, v103
	v_add_f32_e32 v55, v55, v63
	v_fmac_f32_e32 v105, v74, v94
	v_add_f32_e32 v54, v54, v104
	v_add_f32_e32 v55, v55, v64
	;; [unrolled: 1-line block ×3, first 2 shown]
	s_waitcnt vmcnt(1)
	v_sub_f32_e32 v55, v95, v55
	s_waitcnt vmcnt(0)
	v_sub_f32_e32 v54, v96, v54
	buffer_store_dword v55, off, s[0:3], 0 offset:120
	buffer_store_dword v54, off, s[0:3], 0 offset:124
	s_and_saveexec_b64 s[4:5], vcc
	s_cbranch_execz .LBB89_141
; %bb.140:
	buffer_load_dword v54, off, s[0:3], 0 offset:112
	buffer_load_dword v55, off, s[0:3], 0 offset:116
	v_mov_b32_e32 v56, 0
	buffer_store_dword v56, off, s[0:3], 0 offset:112
	buffer_store_dword v56, off, s[0:3], 0 offset:116
	s_waitcnt vmcnt(2)
	ds_write_b64 v53, v[54:55]
.LBB89_141:
	s_or_b64 exec, exec, s[4:5]
	s_waitcnt lgkmcnt(0)
	; wave barrier
	buffer_load_dword v77, off, s[0:3], 0 offset:124
	buffer_load_dword v78, off, s[0:3], 0 offset:132
	;; [unrolled: 1-line block ×24, first 2 shown]
	v_mov_b32_e32 v54, 0
	ds_read2_b64 v[55:58], v54 offset0:41 offset1:42
	ds_read2_b64 v[59:62], v54 offset0:43 offset1:44
	;; [unrolled: 1-line block ×5, first 2 shown]
	ds_read_b64 v[75:76], v54 offset:408
	v_cmp_lt_u32_e32 vcc, 13, v0
	s_waitcnt vmcnt(23) lgkmcnt(5)
	v_mul_f32_e32 v101, v55, v77
	v_mul_f32_e32 v77, v56, v77
	s_waitcnt vmcnt(22)
	v_mul_f32_e32 v102, v57, v78
	v_mul_f32_e32 v78, v58, v78
	s_waitcnt vmcnt(21) lgkmcnt(4)
	v_mul_f32_e32 v103, v59, v79
	v_mul_f32_e32 v79, v60, v79
	s_waitcnt vmcnt(20)
	v_mul_f32_e32 v104, v61, v80
	s_waitcnt vmcnt(19) lgkmcnt(3)
	v_mul_f32_e32 v105, v63, v81
	v_mul_f32_e32 v80, v62, v80
	;; [unrolled: 1-line block ×3, first 2 shown]
	s_waitcnt vmcnt(18)
	v_mul_f32_e32 v106, v65, v82
	s_waitcnt vmcnt(12)
	v_fma_f32 v55, v55, v88, -v77
	v_fmac_f32_e32 v101, v56, v88
	s_waitcnt vmcnt(11)
	v_fma_f32 v56, v57, v89, -v78
	v_add_f32_e32 v55, 0, v55
	s_waitcnt vmcnt(10)
	v_fma_f32 v57, v59, v90, -v79
	v_add_f32_e32 v55, v55, v56
	v_fmac_f32_e32 v102, v58, v89
	s_waitcnt vmcnt(8)
	v_fmac_f32_e32 v105, v64, v92
	v_fma_f32 v58, v61, v91, -v80
	v_add_f32_e32 v64, 0, v101
	v_add_f32_e32 v55, v55, v57
	v_mul_f32_e32 v82, v66, v82
	v_fmac_f32_e32 v103, v60, v90
	v_fma_f32 v59, v63, v92, -v81
	v_add_f32_e32 v64, v64, v102
	v_add_f32_e32 v55, v55, v58
	s_waitcnt lgkmcnt(2)
	v_mul_f32_e32 v107, v67, v83
	v_mul_f32_e32 v83, v68, v83
	v_fmac_f32_e32 v104, v62, v91
	s_waitcnt vmcnt(7)
	v_fma_f32 v60, v65, v93, -v82
	v_add_f32_e32 v56, v64, v103
	v_add_f32_e32 v55, v55, v59
	v_mul_f32_e32 v108, v69, v84
	v_mul_f32_e32 v84, v70, v84
	s_waitcnt vmcnt(6)
	v_fma_f32 v61, v67, v94, -v83
	v_add_f32_e32 v56, v56, v104
	v_add_f32_e32 v55, v55, v60
	s_waitcnt lgkmcnt(1)
	v_mul_f32_e32 v109, v71, v85
	v_mul_f32_e32 v85, v72, v85
	v_fmac_f32_e32 v106, v66, v93
	s_waitcnt vmcnt(5)
	v_fma_f32 v62, v69, v95, -v84
	v_add_f32_e32 v56, v56, v105
	v_add_f32_e32 v55, v55, v61
	v_fmac_f32_e32 v107, v68, v94
	s_waitcnt vmcnt(4)
	v_fma_f32 v63, v71, v96, -v85
	v_add_f32_e32 v56, v56, v106
	v_add_f32_e32 v55, v55, v62
	v_mul_f32_e32 v57, v74, v86
	v_fmac_f32_e32 v108, v70, v95
	v_add_f32_e32 v56, v56, v107
	v_add_f32_e32 v55, v55, v63
	s_waitcnt vmcnt(3)
	v_fma_f32 v57, v73, v97, -v57
	v_mul_f32_e32 v110, v73, v86
	v_fmac_f32_e32 v109, v72, v96
	v_add_f32_e32 v56, v56, v108
	v_add_f32_e32 v55, v55, v57
	s_waitcnt lgkmcnt(0)
	v_mul_f32_e32 v57, v76, v87
	v_mul_f32_e32 v111, v75, v87
	v_fmac_f32_e32 v110, v74, v97
	v_add_f32_e32 v56, v56, v109
	s_waitcnt vmcnt(2)
	v_fma_f32 v57, v75, v98, -v57
	v_fmac_f32_e32 v111, v76, v98
	v_add_f32_e32 v56, v56, v110
	v_add_f32_e32 v55, v55, v57
	;; [unrolled: 1-line block ×3, first 2 shown]
	s_waitcnt vmcnt(1)
	v_sub_f32_e32 v55, v99, v55
	s_waitcnt vmcnt(0)
	v_sub_f32_e32 v56, v100, v56
	buffer_store_dword v55, off, s[0:3], 0 offset:112
	buffer_store_dword v56, off, s[0:3], 0 offset:116
	s_and_saveexec_b64 s[4:5], vcc
	s_cbranch_execz .LBB89_143
; %bb.142:
	buffer_load_dword v55, off, s[0:3], 0 offset:104
	buffer_load_dword v56, off, s[0:3], 0 offset:108
	s_waitcnt vmcnt(0)
	ds_write_b64 v53, v[55:56]
	buffer_store_dword v54, off, s[0:3], 0 offset:104
	buffer_store_dword v54, off, s[0:3], 0 offset:108
.LBB89_143:
	s_or_b64 exec, exec, s[4:5]
	s_waitcnt lgkmcnt(0)
	; wave barrier
	buffer_load_dword v79, off, s[0:3], 0 offset:116
	buffer_load_dword v80, off, s[0:3], 0 offset:124
	;; [unrolled: 1-line block ×26, first 2 shown]
	ds_read_b128 v[55:58], v54 offset:320
	ds_read_b128 v[59:62], v54 offset:336
	ds_read_b128 v[63:66], v54 offset:352
	ds_read_b128 v[67:70], v54 offset:368
	ds_read_b128 v[71:74], v54 offset:384
	ds_read_b128 v[75:78], v54 offset:400
	v_cmp_lt_u32_e32 vcc, 12, v0
	s_waitcnt vmcnt(25) lgkmcnt(5)
	v_mul_f32_e32 v54, v55, v79
	v_mul_f32_e32 v79, v56, v79
	s_waitcnt vmcnt(24)
	v_mul_f32_e32 v105, v57, v80
	v_mul_f32_e32 v80, v58, v80
	s_waitcnt vmcnt(23) lgkmcnt(4)
	v_mul_f32_e32 v106, v59, v81
	v_mul_f32_e32 v81, v60, v81
	s_waitcnt vmcnt(22)
	v_mul_f32_e32 v107, v61, v82
	v_mul_f32_e32 v82, v62, v82
	s_waitcnt vmcnt(21) lgkmcnt(3)
	v_mul_f32_e32 v108, v63, v83
	v_mul_f32_e32 v83, v64, v83
	s_waitcnt vmcnt(20)
	v_mul_f32_e32 v109, v65, v84
	v_mul_f32_e32 v84, v66, v84
	s_waitcnt vmcnt(13)
	v_fma_f32 v55, v55, v91, -v79
	v_fmac_f32_e32 v54, v56, v91
	s_waitcnt vmcnt(12)
	v_fma_f32 v56, v57, v92, -v80
	v_add_f32_e32 v55, 0, v55
	s_waitcnt vmcnt(11)
	v_fma_f32 v57, v59, v93, -v81
	v_add_f32_e32 v55, v55, v56
	v_fmac_f32_e32 v105, v58, v92
	s_waitcnt vmcnt(10)
	v_fma_f32 v58, v61, v94, -v82
	v_add_f32_e32 v55, v55, v57
	s_waitcnt vmcnt(9)
	v_fma_f32 v59, v63, v95, -v83
	v_add_f32_e32 v55, v55, v58
	s_waitcnt lgkmcnt(2)
	v_mul_f32_e32 v110, v67, v85
	v_mul_f32_e32 v85, v68, v85
	v_fmac_f32_e32 v106, v60, v93
	s_waitcnt vmcnt(8)
	v_fma_f32 v60, v65, v96, -v84
	v_add_f32_e32 v54, 0, v54
	v_add_f32_e32 v55, v55, v59
	v_mul_f32_e32 v111, v69, v86
	v_mul_f32_e32 v86, v70, v86
	s_waitcnt vmcnt(7)
	v_fma_f32 v61, v67, v97, -v85
	v_add_f32_e32 v54, v54, v105
	v_add_f32_e32 v55, v55, v60
	v_fmac_f32_e32 v107, v62, v94
	s_waitcnt vmcnt(6)
	v_fma_f32 v62, v69, v98, -v86
	v_add_f32_e32 v54, v54, v106
	v_add_f32_e32 v55, v55, v61
	s_waitcnt lgkmcnt(1)
	v_mul_f32_e32 v56, v72, v87
	v_fmac_f32_e32 v108, v64, v95
	v_add_f32_e32 v54, v54, v107
	v_add_f32_e32 v55, v55, v62
	s_waitcnt vmcnt(5)
	v_fma_f32 v56, v71, v99, -v56
	v_fmac_f32_e32 v109, v66, v96
	v_add_f32_e32 v54, v54, v108
	v_add_f32_e32 v55, v55, v56
	v_mul_f32_e32 v56, v74, v88
	v_fmac_f32_e32 v110, v68, v97
	v_add_f32_e32 v54, v54, v109
	s_waitcnt vmcnt(4)
	v_fma_f32 v56, v73, v100, -v56
	v_mul_f32_e32 v112, v71, v87
	v_fmac_f32_e32 v111, v70, v98
	v_add_f32_e32 v54, v54, v110
	v_add_f32_e32 v55, v55, v56
	s_waitcnt lgkmcnt(0)
	v_mul_f32_e32 v56, v76, v89
	v_mul_f32_e32 v113, v73, v88
	v_fmac_f32_e32 v112, v72, v99
	v_add_f32_e32 v54, v54, v111
	s_waitcnt vmcnt(3)
	v_fma_f32 v56, v75, v101, -v56
	v_mul_f32_e32 v114, v75, v89
	v_fmac_f32_e32 v113, v74, v100
	v_add_f32_e32 v54, v54, v112
	v_add_f32_e32 v55, v55, v56
	v_mul_f32_e32 v56, v78, v90
	v_mul_f32_e32 v115, v77, v90
	v_fmac_f32_e32 v114, v76, v101
	v_add_f32_e32 v54, v54, v113
	s_waitcnt vmcnt(2)
	v_fma_f32 v56, v77, v102, -v56
	v_fmac_f32_e32 v115, v78, v102
	v_add_f32_e32 v54, v54, v114
	v_add_f32_e32 v55, v55, v56
	;; [unrolled: 1-line block ×3, first 2 shown]
	s_waitcnt vmcnt(1)
	v_sub_f32_e32 v55, v103, v55
	s_waitcnt vmcnt(0)
	v_sub_f32_e32 v54, v104, v54
	buffer_store_dword v55, off, s[0:3], 0 offset:104
	buffer_store_dword v54, off, s[0:3], 0 offset:108
	s_and_saveexec_b64 s[4:5], vcc
	s_cbranch_execz .LBB89_145
; %bb.144:
	buffer_load_dword v54, off, s[0:3], 0 offset:96
	buffer_load_dword v55, off, s[0:3], 0 offset:100
	v_mov_b32_e32 v56, 0
	buffer_store_dword v56, off, s[0:3], 0 offset:96
	buffer_store_dword v56, off, s[0:3], 0 offset:100
	s_waitcnt vmcnt(2)
	ds_write_b64 v53, v[54:55]
.LBB89_145:
	s_or_b64 exec, exec, s[4:5]
	s_waitcnt lgkmcnt(0)
	; wave barrier
	buffer_load_dword v81, off, s[0:3], 0 offset:108
	buffer_load_dword v82, off, s[0:3], 0 offset:116
	;; [unrolled: 1-line block ×28, first 2 shown]
	v_mov_b32_e32 v54, 0
	ds_read2_b64 v[55:58], v54 offset0:39 offset1:40
	ds_read2_b64 v[59:62], v54 offset0:41 offset1:42
	;; [unrolled: 1-line block ×6, first 2 shown]
	ds_read_b64 v[79:80], v54 offset:408
	v_cmp_lt_u32_e32 vcc, 11, v0
	s_waitcnt vmcnt(27) lgkmcnt(6)
	v_mul_f32_e32 v109, v55, v81
	v_mul_f32_e32 v81, v56, v81
	s_waitcnt vmcnt(26)
	v_mul_f32_e32 v110, v57, v82
	v_mul_f32_e32 v82, v58, v82
	s_waitcnt vmcnt(25) lgkmcnt(5)
	v_mul_f32_e32 v111, v59, v83
	v_mul_f32_e32 v83, v60, v83
	s_waitcnt vmcnt(24)
	v_mul_f32_e32 v112, v61, v84
	v_mul_f32_e32 v84, v62, v84
	;; [unrolled: 6-line block ×3, first 2 shown]
	s_waitcnt vmcnt(21) lgkmcnt(3)
	v_mul_f32_e32 v115, v67, v87
	s_waitcnt vmcnt(14)
	v_fma_f32 v55, v55, v94, -v81
	v_fmac_f32_e32 v109, v56, v94
	s_waitcnt vmcnt(13)
	v_fma_f32 v56, v57, v95, -v82
	v_add_f32_e32 v55, 0, v55
	s_waitcnt vmcnt(12)
	v_fma_f32 v57, v59, v96, -v83
	v_add_f32_e32 v55, v55, v56
	v_fmac_f32_e32 v110, v58, v95
	s_waitcnt vmcnt(11)
	v_fma_f32 v58, v61, v97, -v84
	v_add_f32_e32 v55, v55, v57
	s_waitcnt vmcnt(10)
	v_fma_f32 v59, v63, v98, -v85
	v_add_f32_e32 v55, v55, v58
	v_fmac_f32_e32 v111, v60, v96
	s_waitcnt vmcnt(9)
	v_fma_f32 v60, v65, v99, -v86
	v_add_f32_e32 v55, v55, v59
	v_mul_f32_e32 v57, v68, v87
	v_add_f32_e32 v55, v55, v60
	s_waitcnt vmcnt(8)
	v_fma_f32 v57, v67, v100, -v57
	v_add_f32_e32 v55, v55, v57
	v_mul_f32_e32 v57, v70, v88
	v_add_f32_e32 v61, 0, v109
	s_waitcnt vmcnt(7)
	v_fma_f32 v57, v69, v101, -v57
	v_add_f32_e32 v61, v61, v110
	v_add_f32_e32 v55, v55, v57
	s_waitcnt lgkmcnt(2)
	v_mul_f32_e32 v57, v72, v89
	v_fmac_f32_e32 v112, v62, v97
	v_add_f32_e32 v56, v61, v111
	s_waitcnt vmcnt(6)
	v_fma_f32 v57, v71, v102, -v57
	v_fmac_f32_e32 v113, v64, v98
	v_add_f32_e32 v56, v56, v112
	v_add_f32_e32 v55, v55, v57
	v_mul_f32_e32 v57, v74, v90
	v_fmac_f32_e32 v114, v66, v99
	v_add_f32_e32 v56, v56, v113
	s_waitcnt vmcnt(5)
	v_fma_f32 v57, v73, v103, -v57
	v_mul_f32_e32 v116, v69, v88
	v_fmac_f32_e32 v115, v68, v100
	v_add_f32_e32 v56, v56, v114
	v_add_f32_e32 v55, v55, v57
	s_waitcnt lgkmcnt(1)
	v_mul_f32_e32 v57, v76, v91
	v_mul_f32_e32 v117, v71, v89
	v_fmac_f32_e32 v116, v70, v101
	v_add_f32_e32 v56, v56, v115
	s_waitcnt vmcnt(4)
	v_fma_f32 v57, v75, v104, -v57
	v_mul_f32_e32 v118, v73, v90
	v_fmac_f32_e32 v117, v72, v102
	v_add_f32_e32 v56, v56, v116
	v_add_f32_e32 v55, v55, v57
	v_mul_f32_e32 v57, v78, v92
	v_mul_f32_e32 v119, v75, v91
	v_fmac_f32_e32 v118, v74, v103
	v_add_f32_e32 v56, v56, v117
	s_waitcnt vmcnt(3)
	v_fma_f32 v57, v77, v105, -v57
	v_mul_f32_e32 v120, v77, v92
	v_fmac_f32_e32 v119, v76, v104
	v_add_f32_e32 v56, v56, v118
	v_add_f32_e32 v55, v55, v57
	s_waitcnt lgkmcnt(0)
	v_mul_f32_e32 v57, v80, v93
	v_mul_f32_e32 v121, v79, v93
	v_fmac_f32_e32 v120, v78, v105
	v_add_f32_e32 v56, v56, v119
	s_waitcnt vmcnt(2)
	v_fma_f32 v57, v79, v106, -v57
	v_fmac_f32_e32 v121, v80, v106
	v_add_f32_e32 v56, v56, v120
	v_add_f32_e32 v55, v55, v57
	;; [unrolled: 1-line block ×3, first 2 shown]
	s_waitcnt vmcnt(1)
	v_sub_f32_e32 v55, v107, v55
	s_waitcnt vmcnt(0)
	v_sub_f32_e32 v56, v108, v56
	buffer_store_dword v55, off, s[0:3], 0 offset:96
	buffer_store_dword v56, off, s[0:3], 0 offset:100
	s_and_saveexec_b64 s[4:5], vcc
	s_cbranch_execz .LBB89_147
; %bb.146:
	buffer_load_dword v55, off, s[0:3], 0 offset:88
	buffer_load_dword v56, off, s[0:3], 0 offset:92
	s_waitcnt vmcnt(0)
	ds_write_b64 v53, v[55:56]
	buffer_store_dword v54, off, s[0:3], 0 offset:88
	buffer_store_dword v54, off, s[0:3], 0 offset:92
.LBB89_147:
	s_or_b64 exec, exec, s[4:5]
	s_waitcnt lgkmcnt(0)
	; wave barrier
	buffer_load_dword v83, off, s[0:3], 0 offset:100
	buffer_load_dword v84, off, s[0:3], 0 offset:108
	;; [unrolled: 1-line block ×30, first 2 shown]
	ds_read_b128 v[55:58], v54 offset:304
	ds_read_b128 v[59:62], v54 offset:320
	;; [unrolled: 1-line block ×7, first 2 shown]
	v_cmp_lt_u32_e32 vcc, 10, v0
	s_waitcnt vmcnt(29) lgkmcnt(6)
	v_mul_f32_e32 v54, v55, v83
	v_mul_f32_e32 v83, v56, v83
	s_waitcnt vmcnt(28)
	v_mul_f32_e32 v113, v57, v84
	v_mul_f32_e32 v84, v58, v84
	s_waitcnt vmcnt(27) lgkmcnt(5)
	v_mul_f32_e32 v114, v59, v85
	v_mul_f32_e32 v85, v60, v85
	s_waitcnt vmcnt(26)
	v_mul_f32_e32 v115, v61, v86
	v_mul_f32_e32 v86, v62, v86
	s_waitcnt vmcnt(25) lgkmcnt(4)
	v_mul_f32_e32 v116, v63, v87
	v_mul_f32_e32 v87, v64, v87
	s_waitcnt vmcnt(24)
	v_mul_f32_e32 v117, v65, v88
	s_waitcnt vmcnt(23) lgkmcnt(3)
	v_mul_f32_e32 v118, v67, v89
	s_waitcnt vmcnt(22)
	v_mul_f32_e32 v119, v69, v90
	s_waitcnt vmcnt(21) lgkmcnt(2)
	v_mul_f32_e32 v120, v71, v91
	s_waitcnt vmcnt(15)
	v_fma_f32 v55, v55, v97, -v83
	v_fmac_f32_e32 v54, v56, v97
	s_waitcnt vmcnt(14)
	v_fma_f32 v56, v57, v98, -v84
	v_add_f32_e32 v55, 0, v55
	s_waitcnt vmcnt(13)
	v_fma_f32 v57, v59, v99, -v85
	v_add_f32_e32 v55, v55, v56
	v_fmac_f32_e32 v113, v58, v98
	s_waitcnt vmcnt(12)
	v_fma_f32 v58, v61, v100, -v86
	v_add_f32_e32 v55, v55, v57
	s_waitcnt vmcnt(11)
	v_fma_f32 v59, v63, v101, -v87
	v_add_f32_e32 v55, v55, v58
	v_mul_f32_e32 v56, v66, v88
	v_add_f32_e32 v55, v55, v59
	s_waitcnt vmcnt(10)
	v_fma_f32 v56, v65, v102, -v56
	v_add_f32_e32 v55, v55, v56
	v_mul_f32_e32 v56, v68, v89
	s_waitcnt vmcnt(9)
	v_fma_f32 v56, v67, v103, -v56
	v_add_f32_e32 v55, v55, v56
	v_mul_f32_e32 v56, v70, v90
	s_waitcnt vmcnt(8)
	v_fma_f32 v56, v69, v104, -v56
	v_add_f32_e32 v54, 0, v54
	v_add_f32_e32 v55, v55, v56
	v_mul_f32_e32 v56, v72, v91
	v_fmac_f32_e32 v114, v60, v99
	v_add_f32_e32 v54, v54, v113
	s_waitcnt vmcnt(7)
	v_fma_f32 v56, v71, v105, -v56
	v_fmac_f32_e32 v115, v62, v100
	v_add_f32_e32 v54, v54, v114
	v_add_f32_e32 v55, v55, v56
	v_mul_f32_e32 v56, v74, v92
	v_fmac_f32_e32 v116, v64, v101
	v_add_f32_e32 v54, v54, v115
	s_waitcnt vmcnt(6)
	v_fma_f32 v56, v73, v106, -v56
	v_fmac_f32_e32 v117, v66, v102
	v_add_f32_e32 v54, v54, v116
	v_add_f32_e32 v55, v55, v56
	s_waitcnt lgkmcnt(1)
	v_mul_f32_e32 v56, v76, v93
	v_fmac_f32_e32 v118, v68, v103
	v_add_f32_e32 v54, v54, v117
	s_waitcnt vmcnt(5)
	v_fma_f32 v56, v75, v107, -v56
	v_fmac_f32_e32 v119, v70, v104
	v_add_f32_e32 v54, v54, v118
	v_add_f32_e32 v55, v55, v56
	v_mul_f32_e32 v56, v78, v94
	v_mul_f32_e32 v121, v73, v92
	v_fmac_f32_e32 v120, v72, v105
	v_add_f32_e32 v54, v54, v119
	s_waitcnt vmcnt(4)
	v_fma_f32 v56, v77, v108, -v56
	v_mul_f32_e32 v122, v75, v93
	v_fmac_f32_e32 v121, v74, v106
	v_add_f32_e32 v54, v54, v120
	v_add_f32_e32 v55, v55, v56
	s_waitcnt lgkmcnt(0)
	v_mul_f32_e32 v56, v80, v95
	v_mul_f32_e32 v123, v77, v94
	v_fmac_f32_e32 v122, v76, v107
	v_add_f32_e32 v54, v54, v121
	s_waitcnt vmcnt(3)
	v_fma_f32 v56, v79, v109, -v56
	v_mul_f32_e32 v124, v79, v95
	v_fmac_f32_e32 v123, v78, v108
	v_add_f32_e32 v54, v54, v122
	v_add_f32_e32 v55, v55, v56
	v_mul_f32_e32 v56, v82, v96
	v_mul_f32_e32 v125, v81, v96
	v_fmac_f32_e32 v124, v80, v109
	v_add_f32_e32 v54, v54, v123
	s_waitcnt vmcnt(2)
	v_fma_f32 v56, v81, v110, -v56
	v_fmac_f32_e32 v125, v82, v110
	v_add_f32_e32 v54, v54, v124
	v_add_f32_e32 v55, v55, v56
	;; [unrolled: 1-line block ×3, first 2 shown]
	s_waitcnt vmcnt(1)
	v_sub_f32_e32 v55, v111, v55
	s_waitcnt vmcnt(0)
	v_sub_f32_e32 v54, v112, v54
	buffer_store_dword v55, off, s[0:3], 0 offset:88
	buffer_store_dword v54, off, s[0:3], 0 offset:92
	s_and_saveexec_b64 s[4:5], vcc
	s_cbranch_execz .LBB89_149
; %bb.148:
	buffer_load_dword v54, off, s[0:3], 0 offset:80
	buffer_load_dword v55, off, s[0:3], 0 offset:84
	v_mov_b32_e32 v56, 0
	buffer_store_dword v56, off, s[0:3], 0 offset:80
	buffer_store_dword v56, off, s[0:3], 0 offset:84
	s_waitcnt vmcnt(2)
	ds_write_b64 v53, v[54:55]
.LBB89_149:
	s_or_b64 exec, exec, s[4:5]
	v_mov_b32_e32 v54, 0
	s_waitcnt lgkmcnt(0)
	; wave barrier
	ds_read2_b64 v[55:58], v54 offset0:37 offset1:38
	buffer_load_dword v85, off, s[0:3], 0 offset:80
	buffer_load_dword v86, off, s[0:3], 0 offset:84
	;; [unrolled: 1-line block ×16, first 2 shown]
	v_cmp_lt_u32_e32 vcc, 9, v0
	s_waitcnt vmcnt(12) lgkmcnt(0)
	v_mul_f32_e32 v59, v55, v88
	v_fmac_f32_e32 v59, v56, v87
	s_waitcnt vmcnt(10)
	v_mul_f32_e32 v60, v57, v90
	v_add_f32_e32 v59, 0, v59
	v_fmac_f32_e32 v60, v58, v89
	v_add_f32_e32 v63, v59, v60
	ds_read2_b64 v[59:62], v54 offset0:39 offset1:40
	v_mul_f32_e32 v56, v56, v88
	v_fma_f32 v55, v55, v87, -v56
	v_mul_f32_e32 v56, v58, v90
	v_add_f32_e32 v55, 0, v55
	s_waitcnt vmcnt(8) lgkmcnt(0)
	v_mul_f32_e32 v64, v59, v92
	v_fmac_f32_e32 v64, v60, v91
	v_add_f32_e32 v63, v63, v64
	s_waitcnt vmcnt(6)
	v_mul_f32_e32 v64, v61, v94
	v_fmac_f32_e32 v64, v62, v93
	v_add_f32_e32 v67, v63, v64
	ds_read2_b64 v[63:66], v54 offset0:41 offset1:42
	v_fma_f32 v56, v57, v89, -v56
	v_add_f32_e32 v55, v55, v56
	v_mul_f32_e32 v56, v60, v92
	v_fma_f32 v56, v59, v91, -v56
	s_waitcnt vmcnt(4) lgkmcnt(0)
	v_mul_f32_e32 v68, v63, v96
	v_fmac_f32_e32 v68, v64, v95
	v_add_f32_e32 v67, v67, v68
	s_waitcnt vmcnt(2)
	v_mul_f32_e32 v68, v65, v98
	v_fmac_f32_e32 v68, v66, v97
	v_add_f32_e32 v71, v67, v68
	ds_read2_b64 v[67:70], v54 offset0:43 offset1:44
	buffer_load_dword v101, off, s[0:3], 0 offset:144
	buffer_load_dword v102, off, s[0:3], 0 offset:148
	v_add_f32_e32 v55, v55, v56
	v_mul_f32_e32 v56, v62, v94
	v_fma_f32 v56, v61, v93, -v56
	s_waitcnt vmcnt(2) lgkmcnt(0)
	v_mul_f32_e32 v72, v67, v100
	v_fmac_f32_e32 v72, v68, v99
	v_add_f32_e32 v71, v71, v72
	v_add_f32_e32 v55, v55, v56
	v_mul_f32_e32 v56, v64, v96
	v_fma_f32 v56, v63, v95, -v56
	v_add_f32_e32 v55, v55, v56
	v_mul_f32_e32 v56, v66, v98
	v_fma_f32 v56, v65, v97, -v56
	;; [unrolled: 3-line block ×3, first 2 shown]
	v_add_f32_e32 v55, v55, v56
	s_waitcnt vmcnt(0)
	v_mul_f32_e32 v72, v69, v102
	v_fmac_f32_e32 v72, v70, v101
	v_add_f32_e32 v75, v71, v72
	ds_read2_b64 v[71:74], v54 offset0:45 offset1:46
	buffer_load_dword v103, off, s[0:3], 0 offset:152
	buffer_load_dword v104, off, s[0:3], 0 offset:156
	;; [unrolled: 1-line block ×4, first 2 shown]
	v_mul_f32_e32 v56, v70, v102
	v_fma_f32 v56, v69, v101, -v56
	v_add_f32_e32 v55, v55, v56
	s_waitcnt vmcnt(2) lgkmcnt(0)
	v_mul_f32_e32 v76, v71, v104
	v_fmac_f32_e32 v76, v72, v103
	v_add_f32_e32 v75, v75, v76
	s_waitcnt vmcnt(0)
	v_mul_f32_e32 v76, v73, v106
	v_fmac_f32_e32 v76, v74, v105
	v_add_f32_e32 v79, v75, v76
	ds_read2_b64 v[75:78], v54 offset0:47 offset1:48
	buffer_load_dword v107, off, s[0:3], 0 offset:168
	buffer_load_dword v108, off, s[0:3], 0 offset:172
	;; [unrolled: 1-line block ×4, first 2 shown]
	v_mul_f32_e32 v56, v72, v104
	v_fma_f32 v56, v71, v103, -v56
	v_add_f32_e32 v55, v55, v56
	v_mul_f32_e32 v56, v74, v106
	v_fma_f32 v56, v73, v105, -v56
	v_add_f32_e32 v55, v55, v56
	s_waitcnt vmcnt(2) lgkmcnt(0)
	v_mul_f32_e32 v80, v75, v108
	v_fmac_f32_e32 v80, v76, v107
	v_add_f32_e32 v79, v79, v80
	s_waitcnt vmcnt(0)
	v_mul_f32_e32 v80, v77, v110
	v_fmac_f32_e32 v80, v78, v109
	v_add_f32_e32 v83, v79, v80
	ds_read2_b64 v[79:82], v54 offset0:49 offset1:50
	buffer_load_dword v111, off, s[0:3], 0 offset:184
	buffer_load_dword v112, off, s[0:3], 0 offset:188
	;; [unrolled: 1-line block ×4, first 2 shown]
	v_mul_f32_e32 v56, v76, v108
	v_fma_f32 v56, v75, v107, -v56
	v_add_f32_e32 v55, v55, v56
	v_mul_f32_e32 v56, v78, v110
	v_fma_f32 v56, v77, v109, -v56
	v_add_f32_e32 v55, v55, v56
	s_waitcnt vmcnt(2) lgkmcnt(0)
	v_mul_f32_e32 v84, v79, v112
	v_fmac_f32_e32 v84, v80, v111
	v_add_f32_e32 v83, v83, v84
	s_waitcnt vmcnt(0)
	v_mul_f32_e32 v84, v81, v114
	v_fmac_f32_e32 v84, v82, v113
	v_add_f32_e32 v115, v83, v84
	ds_read_b64 v[83:84], v54 offset:408
	buffer_load_dword v116, off, s[0:3], 0 offset:200
	buffer_load_dword v117, off, s[0:3], 0 offset:204
	v_mul_f32_e32 v56, v80, v112
	v_fma_f32 v56, v79, v111, -v56
	v_add_f32_e32 v55, v55, v56
	v_mul_f32_e32 v56, v82, v114
	v_fma_f32 v56, v81, v113, -v56
	v_add_f32_e32 v55, v55, v56
	s_waitcnt vmcnt(0) lgkmcnt(0)
	v_mul_f32_e32 v56, v84, v117
	v_mul_f32_e32 v118, v83, v117
	v_fma_f32 v56, v83, v116, -v56
	v_fmac_f32_e32 v118, v84, v116
	v_add_f32_e32 v55, v55, v56
	v_add_f32_e32 v115, v115, v118
	v_sub_f32_e32 v55, v85, v55
	v_sub_f32_e32 v56, v86, v115
	buffer_store_dword v55, off, s[0:3], 0 offset:80
	buffer_store_dword v56, off, s[0:3], 0 offset:84
	s_and_saveexec_b64 s[4:5], vcc
	s_cbranch_execz .LBB89_151
; %bb.150:
	buffer_load_dword v55, off, s[0:3], 0 offset:72
	buffer_load_dword v56, off, s[0:3], 0 offset:76
	s_waitcnt vmcnt(0)
	ds_write_b64 v53, v[55:56]
	buffer_store_dword v54, off, s[0:3], 0 offset:72
	buffer_store_dword v54, off, s[0:3], 0 offset:76
.LBB89_151:
	s_or_b64 exec, exec, s[4:5]
	s_waitcnt lgkmcnt(0)
	; wave barrier
	ds_read_b128 v[55:58], v54 offset:288
	ds_read_b128 v[59:62], v54 offset:304
	ds_read_b128 v[63:66], v54 offset:320
	ds_read_b128 v[67:70], v54 offset:336
	buffer_load_dword v87, off, s[0:3], 0 offset:72
	buffer_load_dword v88, off, s[0:3], 0 offset:76
	;; [unrolled: 1-line block ×18, first 2 shown]
	v_cmp_lt_u32_e32 vcc, 8, v0
	s_waitcnt vmcnt(14) lgkmcnt(3)
	v_mul_f32_e32 v71, v55, v90
	v_fmac_f32_e32 v71, v56, v89
	s_waitcnt vmcnt(12)
	v_mul_f32_e32 v72, v57, v92
	v_add_f32_e32 v71, 0, v71
	v_fmac_f32_e32 v72, v58, v91
	v_add_f32_e32 v71, v71, v72
	s_waitcnt vmcnt(10) lgkmcnt(2)
	v_mul_f32_e32 v72, v59, v94
	v_fmac_f32_e32 v72, v60, v93
	v_add_f32_e32 v71, v71, v72
	s_waitcnt vmcnt(8)
	v_mul_f32_e32 v72, v61, v96
	v_fmac_f32_e32 v72, v62, v95
	v_add_f32_e32 v71, v71, v72
	s_waitcnt vmcnt(6) lgkmcnt(1)
	v_mul_f32_e32 v72, v63, v98
	v_fmac_f32_e32 v72, v64, v97
	v_add_f32_e32 v71, v71, v72
	s_waitcnt vmcnt(4)
	v_mul_f32_e32 v72, v65, v100
	;; [unrolled: 8-line block ×3, first 2 shown]
	v_fmac_f32_e32 v72, v70, v103
	v_add_f32_e32 v75, v71, v72
	ds_read_b128 v[71:74], v54 offset:352
	buffer_load_dword v105, off, s[0:3], 0 offset:144
	buffer_load_dword v106, off, s[0:3], 0 offset:148
	;; [unrolled: 1-line block ×4, first 2 shown]
	v_mul_f32_e32 v56, v56, v90
	v_fma_f32 v55, v55, v89, -v56
	v_mul_f32_e32 v56, v58, v92
	v_add_f32_e32 v55, 0, v55
	v_fma_f32 v56, v57, v91, -v56
	v_add_f32_e32 v55, v55, v56
	v_mul_f32_e32 v56, v60, v94
	v_fma_f32 v56, v59, v93, -v56
	v_add_f32_e32 v55, v55, v56
	v_mul_f32_e32 v56, v62, v96
	;; [unrolled: 3-line block ×6, first 2 shown]
	v_fma_f32 v56, v69, v103, -v56
	v_add_f32_e32 v55, v55, v56
	s_waitcnt vmcnt(2) lgkmcnt(0)
	v_mul_f32_e32 v76, v71, v106
	v_fmac_f32_e32 v76, v72, v105
	v_add_f32_e32 v75, v75, v76
	s_waitcnt vmcnt(0)
	v_mul_f32_e32 v76, v73, v108
	v_fmac_f32_e32 v76, v74, v107
	v_add_f32_e32 v79, v75, v76
	ds_read_b128 v[75:78], v54 offset:368
	buffer_load_dword v109, off, s[0:3], 0 offset:160
	buffer_load_dword v110, off, s[0:3], 0 offset:164
	;; [unrolled: 1-line block ×4, first 2 shown]
	v_mul_f32_e32 v56, v72, v106
	v_fma_f32 v56, v71, v105, -v56
	v_add_f32_e32 v55, v55, v56
	v_mul_f32_e32 v56, v74, v108
	v_fma_f32 v56, v73, v107, -v56
	v_add_f32_e32 v55, v55, v56
	s_waitcnt vmcnt(2) lgkmcnt(0)
	v_mul_f32_e32 v80, v75, v110
	v_fmac_f32_e32 v80, v76, v109
	v_add_f32_e32 v79, v79, v80
	s_waitcnt vmcnt(0)
	v_mul_f32_e32 v80, v77, v112
	v_fmac_f32_e32 v80, v78, v111
	v_add_f32_e32 v83, v79, v80
	ds_read_b128 v[79:82], v54 offset:384
	buffer_load_dword v113, off, s[0:3], 0 offset:176
	buffer_load_dword v114, off, s[0:3], 0 offset:180
	;; [unrolled: 1-line block ×4, first 2 shown]
	v_mul_f32_e32 v56, v76, v110
	v_fma_f32 v56, v75, v109, -v56
	v_add_f32_e32 v55, v55, v56
	v_mul_f32_e32 v56, v78, v112
	v_fma_f32 v56, v77, v111, -v56
	v_add_f32_e32 v55, v55, v56
	s_waitcnt vmcnt(2) lgkmcnt(0)
	v_mul_f32_e32 v84, v79, v114
	v_fmac_f32_e32 v84, v80, v113
	v_add_f32_e32 v83, v83, v84
	s_waitcnt vmcnt(0)
	v_mul_f32_e32 v84, v81, v116
	v_fmac_f32_e32 v84, v82, v115
	v_add_f32_e32 v117, v83, v84
	ds_read_b128 v[83:86], v54 offset:400
	buffer_load_dword v54, off, s[0:3], 0 offset:192
	buffer_load_dword v118, off, s[0:3], 0 offset:196
	v_mul_f32_e32 v56, v80, v114
	v_fma_f32 v56, v79, v113, -v56
	v_add_f32_e32 v55, v55, v56
	v_mul_f32_e32 v56, v82, v116
	v_fma_f32 v56, v81, v115, -v56
	v_add_f32_e32 v55, v55, v56
	s_waitcnt vmcnt(0) lgkmcnt(0)
	v_mul_f32_e32 v119, v83, v118
	v_fmac_f32_e32 v119, v84, v54
	v_add_f32_e32 v117, v117, v119
	buffer_load_dword v119, off, s[0:3], 0 offset:200
	buffer_load_dword v120, off, s[0:3], 0 offset:204
	v_mul_f32_e32 v56, v84, v118
	v_fma_f32 v54, v83, v54, -v56
	v_add_f32_e32 v54, v55, v54
	s_waitcnt vmcnt(0)
	v_mul_f32_e32 v55, v86, v120
	v_mul_f32_e32 v121, v85, v120
	v_fma_f32 v55, v85, v119, -v55
	v_fmac_f32_e32 v121, v86, v119
	v_add_f32_e32 v54, v54, v55
	v_add_f32_e32 v117, v117, v121
	v_sub_f32_e32 v54, v87, v54
	v_sub_f32_e32 v55, v88, v117
	buffer_store_dword v54, off, s[0:3], 0 offset:72
	buffer_store_dword v55, off, s[0:3], 0 offset:76
	s_and_saveexec_b64 s[4:5], vcc
	s_cbranch_execz .LBB89_153
; %bb.152:
	buffer_load_dword v54, off, s[0:3], 0 offset:64
	buffer_load_dword v55, off, s[0:3], 0 offset:68
	v_mov_b32_e32 v56, 0
	buffer_store_dword v56, off, s[0:3], 0 offset:64
	buffer_store_dword v56, off, s[0:3], 0 offset:68
	s_waitcnt vmcnt(2)
	ds_write_b64 v53, v[54:55]
.LBB89_153:
	s_or_b64 exec, exec, s[4:5]
	v_mov_b32_e32 v54, 0
	s_waitcnt lgkmcnt(0)
	; wave barrier
	ds_read2_b64 v[55:58], v54 offset0:35 offset1:36
	buffer_load_dword v89, off, s[0:3], 0 offset:64
	buffer_load_dword v90, off, s[0:3], 0 offset:68
	;; [unrolled: 1-line block ×16, first 2 shown]
	v_cmp_lt_u32_e32 vcc, 7, v0
	s_waitcnt vmcnt(12) lgkmcnt(0)
	v_mul_f32_e32 v59, v55, v92
	v_fmac_f32_e32 v59, v56, v91
	s_waitcnt vmcnt(10)
	v_mul_f32_e32 v60, v57, v94
	v_add_f32_e32 v59, 0, v59
	v_fmac_f32_e32 v60, v58, v93
	v_add_f32_e32 v63, v59, v60
	ds_read2_b64 v[59:62], v54 offset0:37 offset1:38
	v_mul_f32_e32 v56, v56, v92
	v_fma_f32 v55, v55, v91, -v56
	v_mul_f32_e32 v56, v58, v94
	v_add_f32_e32 v55, 0, v55
	s_waitcnt vmcnt(8) lgkmcnt(0)
	v_mul_f32_e32 v64, v59, v96
	v_fmac_f32_e32 v64, v60, v95
	v_add_f32_e32 v63, v63, v64
	s_waitcnt vmcnt(6)
	v_mul_f32_e32 v64, v61, v98
	v_fmac_f32_e32 v64, v62, v97
	v_add_f32_e32 v67, v63, v64
	ds_read2_b64 v[63:66], v54 offset0:39 offset1:40
	v_fma_f32 v56, v57, v93, -v56
	v_add_f32_e32 v55, v55, v56
	v_mul_f32_e32 v56, v60, v96
	v_fma_f32 v56, v59, v95, -v56
	s_waitcnt vmcnt(4) lgkmcnt(0)
	v_mul_f32_e32 v68, v63, v100
	v_fmac_f32_e32 v68, v64, v99
	v_add_f32_e32 v67, v67, v68
	s_waitcnt vmcnt(2)
	v_mul_f32_e32 v68, v65, v102
	v_fmac_f32_e32 v68, v66, v101
	v_add_f32_e32 v71, v67, v68
	ds_read2_b64 v[67:70], v54 offset0:41 offset1:42
	buffer_load_dword v105, off, s[0:3], 0 offset:128
	buffer_load_dword v106, off, s[0:3], 0 offset:132
	v_add_f32_e32 v55, v55, v56
	v_mul_f32_e32 v56, v62, v98
	v_fma_f32 v56, v61, v97, -v56
	s_waitcnt vmcnt(2) lgkmcnt(0)
	v_mul_f32_e32 v72, v67, v104
	v_fmac_f32_e32 v72, v68, v103
	v_add_f32_e32 v71, v71, v72
	v_add_f32_e32 v55, v55, v56
	v_mul_f32_e32 v56, v64, v100
	v_fma_f32 v56, v63, v99, -v56
	v_add_f32_e32 v55, v55, v56
	v_mul_f32_e32 v56, v66, v102
	v_fma_f32 v56, v65, v101, -v56
	;; [unrolled: 3-line block ×3, first 2 shown]
	v_add_f32_e32 v55, v55, v56
	s_waitcnt vmcnt(0)
	v_mul_f32_e32 v72, v69, v106
	v_fmac_f32_e32 v72, v70, v105
	v_add_f32_e32 v75, v71, v72
	ds_read2_b64 v[71:74], v54 offset0:43 offset1:44
	buffer_load_dword v107, off, s[0:3], 0 offset:136
	buffer_load_dword v108, off, s[0:3], 0 offset:140
	;; [unrolled: 1-line block ×4, first 2 shown]
	v_mul_f32_e32 v56, v70, v106
	v_fma_f32 v56, v69, v105, -v56
	v_add_f32_e32 v55, v55, v56
	s_waitcnt vmcnt(2) lgkmcnt(0)
	v_mul_f32_e32 v76, v71, v108
	v_fmac_f32_e32 v76, v72, v107
	v_add_f32_e32 v75, v75, v76
	s_waitcnt vmcnt(0)
	v_mul_f32_e32 v76, v73, v110
	v_fmac_f32_e32 v76, v74, v109
	v_add_f32_e32 v79, v75, v76
	ds_read2_b64 v[75:78], v54 offset0:45 offset1:46
	buffer_load_dword v111, off, s[0:3], 0 offset:152
	buffer_load_dword v112, off, s[0:3], 0 offset:156
	buffer_load_dword v113, off, s[0:3], 0 offset:160
	buffer_load_dword v114, off, s[0:3], 0 offset:164
	v_mul_f32_e32 v56, v72, v108
	v_fma_f32 v56, v71, v107, -v56
	v_add_f32_e32 v55, v55, v56
	v_mul_f32_e32 v56, v74, v110
	v_fma_f32 v56, v73, v109, -v56
	v_add_f32_e32 v55, v55, v56
	s_waitcnt vmcnt(2) lgkmcnt(0)
	v_mul_f32_e32 v80, v75, v112
	v_fmac_f32_e32 v80, v76, v111
	v_add_f32_e32 v79, v79, v80
	s_waitcnt vmcnt(0)
	v_mul_f32_e32 v80, v77, v114
	v_fmac_f32_e32 v80, v78, v113
	v_add_f32_e32 v83, v79, v80
	ds_read2_b64 v[79:82], v54 offset0:47 offset1:48
	buffer_load_dword v115, off, s[0:3], 0 offset:168
	buffer_load_dword v116, off, s[0:3], 0 offset:172
	buffer_load_dword v117, off, s[0:3], 0 offset:176
	buffer_load_dword v118, off, s[0:3], 0 offset:180
	v_mul_f32_e32 v56, v76, v112
	v_fma_f32 v56, v75, v111, -v56
	v_add_f32_e32 v55, v55, v56
	;; [unrolled: 19-line block ×3, first 2 shown]
	v_mul_f32_e32 v56, v82, v118
	v_fma_f32 v56, v81, v117, -v56
	v_add_f32_e32 v55, v55, v56
	s_waitcnt vmcnt(2) lgkmcnt(0)
	v_mul_f32_e32 v88, v83, v120
	v_fmac_f32_e32 v88, v84, v119
	v_add_f32_e32 v87, v87, v88
	s_waitcnt vmcnt(0)
	v_mul_f32_e32 v88, v85, v122
	v_fmac_f32_e32 v88, v86, v121
	v_add_f32_e32 v123, v87, v88
	ds_read_b64 v[87:88], v54 offset:408
	buffer_load_dword v124, off, s[0:3], 0 offset:200
	buffer_load_dword v125, off, s[0:3], 0 offset:204
	v_mul_f32_e32 v56, v84, v120
	v_fma_f32 v56, v83, v119, -v56
	v_add_f32_e32 v55, v55, v56
	v_mul_f32_e32 v56, v86, v122
	v_fma_f32 v56, v85, v121, -v56
	v_add_f32_e32 v55, v55, v56
	s_waitcnt vmcnt(0) lgkmcnt(0)
	v_mul_f32_e32 v56, v88, v125
	v_mul_f32_e32 v126, v87, v125
	v_fma_f32 v56, v87, v124, -v56
	v_fmac_f32_e32 v126, v88, v124
	v_add_f32_e32 v55, v55, v56
	v_add_f32_e32 v123, v123, v126
	v_sub_f32_e32 v55, v89, v55
	v_sub_f32_e32 v56, v90, v123
	buffer_store_dword v55, off, s[0:3], 0 offset:64
	buffer_store_dword v56, off, s[0:3], 0 offset:68
	s_and_saveexec_b64 s[4:5], vcc
	s_cbranch_execz .LBB89_155
; %bb.154:
	buffer_load_dword v55, off, s[0:3], 0 offset:56
	buffer_load_dword v56, off, s[0:3], 0 offset:60
	s_waitcnt vmcnt(0)
	ds_write_b64 v53, v[55:56]
	buffer_store_dword v54, off, s[0:3], 0 offset:56
	buffer_store_dword v54, off, s[0:3], 0 offset:60
.LBB89_155:
	s_or_b64 exec, exec, s[4:5]
	s_waitcnt lgkmcnt(0)
	; wave barrier
	buffer_load_dword v91, off, s[0:3], 0 offset:68
	buffer_load_dword v92, off, s[0:3], 0 offset:76
	;; [unrolled: 1-line block ×38, first 2 shown]
	ds_read_b128 v[55:58], v54 offset:272
	ds_read_b128 v[59:62], v54 offset:288
	;; [unrolled: 1-line block ×9, first 2 shown]
	v_cmp_lt_u32_e32 vcc, 6, v0
	s_waitcnt vmcnt(37) lgkmcnt(8)
	v_mul_f32_e32 v54, v55, v91
	s_waitcnt vmcnt(36)
	v_mul_f32_e32 v129, v57, v92
	s_waitcnt vmcnt(35) lgkmcnt(7)
	v_mul_f32_e32 v130, v59, v93
	s_waitcnt vmcnt(34)
	v_mul_f32_e32 v131, v61, v94
	;; [unrolled: 4-line block ×8, first 2 shown]
	s_waitcnt vmcnt(21) lgkmcnt(0)
	v_mul_f32_e32 v144, v87, v107
	s_waitcnt vmcnt(20)
	v_fmac_f32_e32 v54, v56, v108
	v_mul_f32_e32 v56, v56, v91
	v_fma_f32 v55, v55, v108, -v56
	v_mul_f32_e32 v56, v58, v92
	v_add_f32_e32 v55, 0, v55
	s_waitcnt vmcnt(19)
	v_fma_f32 v56, v57, v109, -v56
	v_add_f32_e32 v55, v55, v56
	v_mul_f32_e32 v56, v60, v93
	s_waitcnt vmcnt(18)
	v_fma_f32 v56, v59, v110, -v56
	v_add_f32_e32 v55, v55, v56
	v_mul_f32_e32 v56, v62, v94
	;; [unrolled: 4-line block ×8, first 2 shown]
	s_waitcnt vmcnt(11)
	v_fma_f32 v56, v73, v117, -v56
	v_fmac_f32_e32 v129, v58, v109
	v_add_f32_e32 v54, 0, v54
	v_add_f32_e32 v55, v55, v56
	v_mul_f32_e32 v56, v76, v101
	v_fmac_f32_e32 v130, v60, v110
	v_add_f32_e32 v54, v54, v129
	s_waitcnt vmcnt(10)
	v_fma_f32 v56, v75, v118, -v56
	v_fmac_f32_e32 v131, v62, v111
	v_add_f32_e32 v54, v54, v130
	v_add_f32_e32 v55, v55, v56
	v_mul_f32_e32 v56, v78, v102
	v_fmac_f32_e32 v132, v64, v112
	v_add_f32_e32 v54, v54, v131
	;; [unrolled: 8-line block ×7, first 2 shown]
	s_waitcnt vmcnt(4)
	v_fma_f32 v56, v87, v124, -v56
	v_fmac_f32_e32 v143, v86, v123
	v_add_f32_e32 v54, v54, v142
	v_add_f32_e32 v55, v55, v56
	s_waitcnt vmcnt(3)
	v_mul_f32_e32 v56, v90, v125
	v_add_f32_e32 v54, v54, v143
	v_fmac_f32_e32 v144, v88, v124
	v_mul_f32_e32 v129, v89, v125
	s_waitcnt vmcnt(2)
	v_fma_f32 v56, v89, v126, -v56
	v_add_f32_e32 v54, v54, v144
	v_fmac_f32_e32 v129, v90, v126
	v_add_f32_e32 v55, v55, v56
	v_add_f32_e32 v54, v54, v129
	s_waitcnt vmcnt(1)
	v_sub_f32_e32 v55, v127, v55
	s_waitcnt vmcnt(0)
	v_sub_f32_e32 v54, v128, v54
	buffer_store_dword v55, off, s[0:3], 0 offset:56
	buffer_store_dword v54, off, s[0:3], 0 offset:60
	s_and_saveexec_b64 s[4:5], vcc
	s_cbranch_execz .LBB89_157
; %bb.156:
	buffer_load_dword v54, off, s[0:3], 0 offset:48
	buffer_load_dword v55, off, s[0:3], 0 offset:52
	v_mov_b32_e32 v56, 0
	buffer_store_dword v56, off, s[0:3], 0 offset:48
	buffer_store_dword v56, off, s[0:3], 0 offset:52
	s_waitcnt vmcnt(2)
	ds_write_b64 v53, v[54:55]
.LBB89_157:
	s_or_b64 exec, exec, s[4:5]
	s_waitcnt lgkmcnt(0)
	; wave barrier
	buffer_load_dword v93, off, s[0:3], 0 offset:60
	buffer_load_dword v94, off, s[0:3], 0 offset:68
	;; [unrolled: 1-line block ×40, first 2 shown]
	v_mov_b32_e32 v54, 0
	ds_read2_b64 v[55:58], v54 offset0:33 offset1:34
	ds_read2_b64 v[59:62], v54 offset0:35 offset1:36
	;; [unrolled: 1-line block ×9, first 2 shown]
	v_cmp_lt_u32_e32 vcc, 5, v0
	s_waitcnt vmcnt(39) lgkmcnt(8)
	v_mul_f32_e32 v91, v55, v93
	s_waitcnt vmcnt(38)
	v_mul_f32_e32 v92, v57, v94
	s_waitcnt vmcnt(37) lgkmcnt(7)
	v_mul_f32_e32 v133, v59, v95
	s_waitcnt vmcnt(36)
	v_mul_f32_e32 v134, v61, v96
	;; [unrolled: 4-line block ×7, first 2 shown]
	s_waitcnt vmcnt(25) lgkmcnt(1)
	v_mul_f32_e32 v145, v83, v107
	s_waitcnt vmcnt(24)
	v_fmac_f32_e32 v91, v56, v108
	v_mul_f32_e32 v56, v56, v93
	v_fma_f32 v55, v55, v108, -v56
	v_mul_f32_e32 v56, v58, v94
	v_add_f32_e32 v55, 0, v55
	s_waitcnt vmcnt(23)
	v_fma_f32 v56, v57, v109, -v56
	v_add_f32_e32 v55, v55, v56
	v_mul_f32_e32 v56, v60, v95
	s_waitcnt vmcnt(22)
	v_fma_f32 v56, v59, v110, -v56
	v_add_f32_e32 v55, v55, v56
	v_mul_f32_e32 v56, v62, v96
	;; [unrolled: 4-line block ×6, first 2 shown]
	s_waitcnt vmcnt(17)
	v_fma_f32 v56, v69, v115, -v56
	v_fmac_f32_e32 v92, v58, v109
	v_add_f32_e32 v91, 0, v91
	v_add_f32_e32 v55, v55, v56
	v_mul_f32_e32 v56, v72, v101
	v_fmac_f32_e32 v133, v60, v110
	v_add_f32_e32 v91, v91, v92
	s_waitcnt vmcnt(16)
	v_fma_f32 v56, v71, v116, -v56
	v_fmac_f32_e32 v134, v62, v111
	v_add_f32_e32 v91, v91, v133
	v_add_f32_e32 v55, v55, v56
	v_mul_f32_e32 v56, v74, v102
	v_fmac_f32_e32 v135, v64, v112
	v_add_f32_e32 v91, v91, v134
	;; [unrolled: 8-line block ×6, first 2 shown]
	s_waitcnt vmcnt(11)
	v_fma_f32 v56, v81, v121, -v56
	v_fmac_f32_e32 v144, v82, v121
	v_add_f32_e32 v91, v91, v143
	v_add_f32_e32 v55, v55, v56
	v_mul_f32_e32 v56, v84, v107
	s_waitcnt vmcnt(10)
	v_fmac_f32_e32 v145, v84, v122
	v_add_f32_e32 v91, v91, v144
	s_waitcnt vmcnt(9)
	v_mul_f32_e32 v92, v85, v123
	v_fma_f32 v56, v83, v122, -v56
	v_add_f32_e32 v91, v91, v145
	s_waitcnt vmcnt(8)
	v_fmac_f32_e32 v92, v86, v124
	v_add_f32_e32 v55, v55, v56
	v_mul_f32_e32 v56, v86, v123
	v_add_f32_e32 v133, v91, v92
	ds_read_b64 v[91:92], v54 offset:408
	v_fma_f32 v56, v85, v124, -v56
	v_add_f32_e32 v55, v55, v56
	s_waitcnt vmcnt(7) lgkmcnt(1)
	v_mul_f32_e32 v56, v88, v125
	v_mul_f32_e32 v134, v87, v125
	s_waitcnt vmcnt(6)
	v_fma_f32 v56, v87, v126, -v56
	v_fmac_f32_e32 v134, v88, v126
	v_add_f32_e32 v55, v55, v56
	s_waitcnt vmcnt(5)
	v_mul_f32_e32 v56, v90, v127
	v_add_f32_e32 v133, v133, v134
	v_mul_f32_e32 v134, v89, v127
	s_waitcnt vmcnt(4)
	v_fma_f32 v56, v89, v128, -v56
	v_fmac_f32_e32 v134, v90, v128
	v_add_f32_e32 v55, v55, v56
	s_waitcnt vmcnt(3) lgkmcnt(0)
	v_mul_f32_e32 v56, v92, v129
	v_add_f32_e32 v133, v133, v134
	v_mul_f32_e32 v134, v91, v129
	s_waitcnt vmcnt(2)
	v_fma_f32 v56, v91, v130, -v56
	v_fmac_f32_e32 v134, v92, v130
	v_add_f32_e32 v55, v55, v56
	v_add_f32_e32 v133, v133, v134
	s_waitcnt vmcnt(1)
	v_sub_f32_e32 v55, v131, v55
	s_waitcnt vmcnt(0)
	v_sub_f32_e32 v56, v132, v133
	buffer_store_dword v55, off, s[0:3], 0 offset:48
	buffer_store_dword v56, off, s[0:3], 0 offset:52
	s_and_saveexec_b64 s[4:5], vcc
	s_cbranch_execz .LBB89_159
; %bb.158:
	buffer_load_dword v55, off, s[0:3], 0 offset:40
	buffer_load_dword v56, off, s[0:3], 0 offset:44
	s_waitcnt vmcnt(0)
	ds_write_b64 v53, v[55:56]
	buffer_store_dword v54, off, s[0:3], 0 offset:40
	buffer_store_dword v54, off, s[0:3], 0 offset:44
.LBB89_159:
	s_or_b64 exec, exec, s[4:5]
	s_waitcnt lgkmcnt(0)
	; wave barrier
	buffer_load_dword v95, off, s[0:3], 0 offset:52
	buffer_load_dword v96, off, s[0:3], 0 offset:60
	;; [unrolled: 1-line block ×42, first 2 shown]
	ds_read_b128 v[55:58], v54 offset:256
	ds_read_b128 v[59:62], v54 offset:272
	;; [unrolled: 1-line block ×8, first 2 shown]
	v_cmp_lt_u32_e32 vcc, 4, v0
	s_waitcnt vmcnt(41) lgkmcnt(7)
	v_mul_f32_e32 v87, v55, v95
	s_waitcnt vmcnt(40)
	v_mul_f32_e32 v88, v57, v96
	s_waitcnt vmcnt(39) lgkmcnt(6)
	v_mul_f32_e32 v89, v59, v97
	s_waitcnt vmcnt(38)
	v_mul_f32_e32 v90, v61, v98
	;; [unrolled: 4-line block ×7, first 2 shown]
	s_waitcnt vmcnt(27) lgkmcnt(0)
	v_mul_f32_e32 v143, v83, v109
	s_waitcnt vmcnt(26)
	v_fmac_f32_e32 v87, v56, v110
	v_mul_f32_e32 v56, v56, v95
	v_fma_f32 v55, v55, v110, -v56
	v_mul_f32_e32 v56, v58, v96
	v_add_f32_e32 v55, 0, v55
	s_waitcnt vmcnt(25)
	v_fma_f32 v56, v57, v111, -v56
	v_add_f32_e32 v55, v55, v56
	v_mul_f32_e32 v56, v60, v97
	s_waitcnt vmcnt(24)
	v_fma_f32 v56, v59, v112, -v56
	v_add_f32_e32 v55, v55, v56
	v_mul_f32_e32 v56, v62, v98
	;; [unrolled: 4-line block ×5, first 2 shown]
	v_fmac_f32_e32 v88, v58, v111
	v_add_f32_e32 v87, 0, v87
	s_waitcnt vmcnt(20)
	v_fma_f32 v56, v67, v116, -v56
	v_fmac_f32_e32 v89, v60, v112
	v_add_f32_e32 v87, v87, v88
	v_add_f32_e32 v55, v55, v56
	v_mul_f32_e32 v56, v70, v102
	v_fmac_f32_e32 v90, v62, v113
	v_add_f32_e32 v87, v87, v89
	s_waitcnt vmcnt(19)
	v_fma_f32 v56, v69, v117, -v56
	v_fmac_f32_e32 v91, v64, v114
	v_add_f32_e32 v87, v87, v90
	v_add_f32_e32 v55, v55, v56
	v_mul_f32_e32 v56, v72, v103
	;; [unrolled: 8-line block ×5, first 2 shown]
	s_waitcnt vmcnt(15)
	v_fmac_f32_e32 v140, v78, v121
	v_add_f32_e32 v87, v87, v139
	v_fma_f32 v56, v77, v121, -v56
	s_waitcnt vmcnt(14)
	v_fmac_f32_e32 v141, v80, v122
	v_add_f32_e32 v87, v87, v140
	v_add_f32_e32 v55, v55, v56
	v_mul_f32_e32 v56, v80, v107
	s_waitcnt vmcnt(13)
	v_fmac_f32_e32 v142, v82, v123
	v_add_f32_e32 v87, v87, v141
	v_fma_f32 v56, v79, v122, -v56
	s_waitcnt vmcnt(12)
	v_fmac_f32_e32 v143, v84, v124
	v_add_f32_e32 v87, v87, v142
	v_add_f32_e32 v55, v55, v56
	v_mul_f32_e32 v56, v82, v108
	v_add_f32_e32 v91, v87, v143
	ds_read_b128 v[87:90], v54 offset:384
	v_fma_f32 v56, v81, v123, -v56
	v_add_f32_e32 v55, v55, v56
	v_mul_f32_e32 v56, v84, v109
	s_waitcnt vmcnt(11)
	v_mul_f32_e32 v92, v85, v125
	v_fma_f32 v56, v83, v124, -v56
	s_waitcnt vmcnt(10)
	v_fmac_f32_e32 v92, v86, v126
	v_add_f32_e32 v55, v55, v56
	v_mul_f32_e32 v56, v86, v125
	v_add_f32_e32 v137, v91, v92
	ds_read_b128 v[91:94], v54 offset:400
	v_fma_f32 v56, v85, v126, -v56
	v_add_f32_e32 v55, v55, v56
	s_waitcnt vmcnt(9) lgkmcnt(1)
	v_mul_f32_e32 v56, v88, v127
	v_mul_f32_e32 v54, v87, v127
	s_waitcnt vmcnt(8)
	v_fma_f32 v56, v87, v128, -v56
	v_fmac_f32_e32 v54, v88, v128
	v_add_f32_e32 v55, v55, v56
	s_waitcnt vmcnt(7)
	v_mul_f32_e32 v56, v90, v129
	v_add_f32_e32 v54, v137, v54
	v_mul_f32_e32 v137, v89, v129
	s_waitcnt vmcnt(6)
	v_fma_f32 v56, v89, v130, -v56
	v_fmac_f32_e32 v137, v90, v130
	v_add_f32_e32 v55, v55, v56
	s_waitcnt vmcnt(5) lgkmcnt(0)
	v_mul_f32_e32 v56, v92, v131
	v_add_f32_e32 v54, v54, v137
	v_mul_f32_e32 v137, v91, v131
	s_waitcnt vmcnt(4)
	v_fma_f32 v56, v91, v132, -v56
	v_fmac_f32_e32 v137, v92, v132
	v_add_f32_e32 v55, v55, v56
	s_waitcnt vmcnt(3)
	v_mul_f32_e32 v56, v94, v133
	v_add_f32_e32 v54, v54, v137
	v_mul_f32_e32 v137, v93, v133
	s_waitcnt vmcnt(2)
	v_fma_f32 v56, v93, v134, -v56
	v_fmac_f32_e32 v137, v94, v134
	v_add_f32_e32 v55, v55, v56
	v_add_f32_e32 v54, v54, v137
	s_waitcnt vmcnt(1)
	v_sub_f32_e32 v55, v135, v55
	s_waitcnt vmcnt(0)
	v_sub_f32_e32 v54, v136, v54
	buffer_store_dword v55, off, s[0:3], 0 offset:40
	buffer_store_dword v54, off, s[0:3], 0 offset:44
	s_and_saveexec_b64 s[4:5], vcc
	s_cbranch_execz .LBB89_161
; %bb.160:
	buffer_load_dword v54, off, s[0:3], 0 offset:32
	buffer_load_dword v55, off, s[0:3], 0 offset:36
	v_mov_b32_e32 v56, 0
	buffer_store_dword v56, off, s[0:3], 0 offset:32
	buffer_store_dword v56, off, s[0:3], 0 offset:36
	s_waitcnt vmcnt(2)
	ds_write_b64 v53, v[54:55]
.LBB89_161:
	s_or_b64 exec, exec, s[4:5]
	s_waitcnt lgkmcnt(0)
	; wave barrier
	buffer_load_dword v97, off, s[0:3], 0 offset:44
	buffer_load_dword v98, off, s[0:3], 0 offset:52
	;; [unrolled: 1-line block ×44, first 2 shown]
	v_mov_b32_e32 v54, 0
	ds_read2_b64 v[55:58], v54 offset0:31 offset1:32
	ds_read2_b64 v[59:62], v54 offset0:33 offset1:34
	;; [unrolled: 1-line block ×8, first 2 shown]
	v_cmp_lt_u32_e32 vcc, 3, v0
	s_waitcnt vmcnt(43) lgkmcnt(7)
	v_mul_f32_e32 v87, v55, v97
	s_waitcnt vmcnt(42)
	v_mul_f32_e32 v88, v57, v98
	s_waitcnt vmcnt(41) lgkmcnt(6)
	v_mul_f32_e32 v89, v59, v99
	s_waitcnt vmcnt(40)
	v_mul_f32_e32 v90, v61, v100
	;; [unrolled: 4-line block ×7, first 2 shown]
	s_waitcnt vmcnt(29)
	v_fmac_f32_e32 v87, v56, v111
	v_mul_f32_e32 v56, v56, v97
	v_fma_f32 v55, v55, v111, -v56
	v_mul_f32_e32 v56, v58, v98
	v_add_f32_e32 v55, 0, v55
	s_waitcnt vmcnt(28)
	v_fma_f32 v56, v57, v112, -v56
	v_add_f32_e32 v55, v55, v56
	v_mul_f32_e32 v56, v60, v99
	s_waitcnt vmcnt(27)
	v_fma_f32 v56, v59, v113, -v56
	v_add_f32_e32 v55, v55, v56
	v_mul_f32_e32 v56, v62, v100
	;; [unrolled: 4-line block ×4, first 2 shown]
	s_waitcnt vmcnt(24)
	v_fma_f32 v56, v65, v116, -v56
	v_fmac_f32_e32 v88, v58, v112
	v_add_f32_e32 v87, 0, v87
	v_add_f32_e32 v55, v55, v56
	v_mul_f32_e32 v56, v68, v103
	v_fmac_f32_e32 v89, v60, v113
	v_add_f32_e32 v87, v87, v88
	s_waitcnt vmcnt(23)
	v_fma_f32 v56, v67, v117, -v56
	v_fmac_f32_e32 v90, v62, v114
	v_add_f32_e32 v87, v87, v89
	v_add_f32_e32 v55, v55, v56
	v_mul_f32_e32 v56, v70, v104
	v_fmac_f32_e32 v91, v64, v115
	v_add_f32_e32 v87, v87, v90
	s_waitcnt vmcnt(22)
	v_fma_f32 v56, v69, v118, -v56
	v_fmac_f32_e32 v92, v66, v116
	v_add_f32_e32 v87, v87, v91
	v_add_f32_e32 v55, v55, v56
	v_mul_f32_e32 v56, v72, v105
	v_fmac_f32_e32 v93, v68, v117
	v_add_f32_e32 v87, v87, v92
	s_waitcnt vmcnt(21)
	v_fma_f32 v56, v71, v119, -v56
	v_fmac_f32_e32 v94, v70, v118
	v_add_f32_e32 v87, v87, v93
	v_add_f32_e32 v55, v55, v56
	v_mul_f32_e32 v56, v74, v106
	v_fmac_f32_e32 v95, v72, v119
	v_add_f32_e32 v87, v87, v94
	s_waitcnt vmcnt(20)
	v_fma_f32 v56, v73, v120, -v56
	v_fmac_f32_e32 v96, v74, v120
	v_add_f32_e32 v87, v87, v95
	v_add_f32_e32 v55, v55, v56
	v_mul_f32_e32 v56, v76, v107
	s_waitcnt vmcnt(19)
	v_fmac_f32_e32 v141, v76, v121
	v_add_f32_e32 v87, v87, v96
	v_fma_f32 v56, v75, v121, -v56
	s_waitcnt vmcnt(18)
	v_fmac_f32_e32 v142, v78, v122
	v_add_f32_e32 v87, v87, v141
	v_add_f32_e32 v55, v55, v56
	v_mul_f32_e32 v56, v78, v108
	s_waitcnt vmcnt(17)
	v_fmac_f32_e32 v143, v80, v123
	v_add_f32_e32 v87, v87, v142
	v_fma_f32 v56, v77, v122, -v56
	v_add_f32_e32 v87, v87, v143
	s_waitcnt vmcnt(16)
	v_fmac_f32_e32 v144, v82, v124
	s_waitcnt vmcnt(15) lgkmcnt(0)
	v_mul_f32_e32 v88, v83, v125
	v_add_f32_e32 v55, v55, v56
	v_mul_f32_e32 v56, v80, v109
	v_add_f32_e32 v87, v87, v144
	s_waitcnt vmcnt(14)
	v_fmac_f32_e32 v88, v84, v126
	v_fma_f32 v56, v79, v123, -v56
	v_add_f32_e32 v91, v87, v88
	ds_read2_b64 v[87:90], v54 offset0:47 offset1:48
	v_add_f32_e32 v55, v55, v56
	v_mul_f32_e32 v56, v82, v110
	v_fma_f32 v56, v81, v124, -v56
	v_add_f32_e32 v55, v55, v56
	v_mul_f32_e32 v56, v84, v125
	s_waitcnt vmcnt(13)
	v_mul_f32_e32 v92, v85, v127
	v_fma_f32 v56, v83, v126, -v56
	s_waitcnt vmcnt(12)
	v_fmac_f32_e32 v92, v86, v128
	v_add_f32_e32 v55, v55, v56
	v_mul_f32_e32 v56, v86, v127
	v_add_f32_e32 v95, v91, v92
	ds_read2_b64 v[91:94], v54 offset0:49 offset1:50
	s_waitcnt vmcnt(11) lgkmcnt(1)
	v_mul_f32_e32 v96, v87, v129
	v_fma_f32 v56, v85, v128, -v56
	s_waitcnt vmcnt(10)
	v_fmac_f32_e32 v96, v88, v130
	v_add_f32_e32 v55, v55, v56
	v_mul_f32_e32 v56, v88, v129
	v_add_f32_e32 v95, v95, v96
	s_waitcnt vmcnt(9)
	v_mul_f32_e32 v96, v89, v131
	v_fma_f32 v56, v87, v130, -v56
	s_waitcnt vmcnt(8)
	v_fmac_f32_e32 v96, v90, v132
	v_add_f32_e32 v55, v55, v56
	v_mul_f32_e32 v56, v90, v131
	v_add_f32_e32 v141, v95, v96
	ds_read_b64 v[95:96], v54 offset:408
	v_fma_f32 v56, v89, v132, -v56
	v_add_f32_e32 v55, v55, v56
	s_waitcnt vmcnt(7) lgkmcnt(1)
	v_mul_f32_e32 v56, v92, v133
	v_mul_f32_e32 v142, v91, v133
	s_waitcnt vmcnt(6)
	v_fma_f32 v56, v91, v134, -v56
	v_fmac_f32_e32 v142, v92, v134
	v_add_f32_e32 v55, v55, v56
	s_waitcnt vmcnt(5)
	v_mul_f32_e32 v56, v94, v135
	v_add_f32_e32 v141, v141, v142
	v_mul_f32_e32 v142, v93, v135
	s_waitcnt vmcnt(4)
	v_fma_f32 v56, v93, v136, -v56
	v_fmac_f32_e32 v142, v94, v136
	v_add_f32_e32 v55, v55, v56
	s_waitcnt vmcnt(3) lgkmcnt(0)
	v_mul_f32_e32 v56, v96, v137
	v_add_f32_e32 v141, v141, v142
	v_mul_f32_e32 v142, v95, v137
	s_waitcnt vmcnt(2)
	v_fma_f32 v56, v95, v138, -v56
	v_fmac_f32_e32 v142, v96, v138
	v_add_f32_e32 v55, v55, v56
	v_add_f32_e32 v141, v141, v142
	s_waitcnt vmcnt(1)
	v_sub_f32_e32 v55, v139, v55
	s_waitcnt vmcnt(0)
	v_sub_f32_e32 v56, v140, v141
	buffer_store_dword v55, off, s[0:3], 0 offset:32
	buffer_store_dword v56, off, s[0:3], 0 offset:36
	s_and_saveexec_b64 s[4:5], vcc
	s_cbranch_execz .LBB89_163
; %bb.162:
	buffer_load_dword v55, off, s[0:3], 0 offset:24
	buffer_load_dword v56, off, s[0:3], 0 offset:28
	s_waitcnt vmcnt(0)
	ds_write_b64 v53, v[55:56]
	buffer_store_dword v54, off, s[0:3], 0 offset:24
	buffer_store_dword v54, off, s[0:3], 0 offset:28
.LBB89_163:
	s_or_b64 exec, exec, s[4:5]
	s_waitcnt lgkmcnt(0)
	; wave barrier
	buffer_load_dword v99, off, s[0:3], 0 offset:36
	buffer_load_dword v100, off, s[0:3], 0 offset:44
	;; [unrolled: 1-line block ×46, first 2 shown]
	ds_read_b128 v[55:58], v54 offset:240
	ds_read_b128 v[59:62], v54 offset:256
	;; [unrolled: 1-line block ×8, first 2 shown]
	v_cmp_lt_u32_e32 vcc, 2, v0
	s_waitcnt vmcnt(45) lgkmcnt(7)
	v_mul_f32_e32 v87, v55, v99
	s_waitcnt vmcnt(44)
	v_mul_f32_e32 v88, v57, v100
	s_waitcnt vmcnt(43) lgkmcnt(6)
	v_mul_f32_e32 v89, v59, v101
	s_waitcnt vmcnt(42)
	v_mul_f32_e32 v90, v61, v102
	;; [unrolled: 4-line block ×6, first 2 shown]
	s_waitcnt vmcnt(33) lgkmcnt(1)
	v_mul_f32_e32 v145, v79, v111
	s_waitcnt vmcnt(32)
	v_fmac_f32_e32 v87, v56, v112
	v_mul_f32_e32 v56, v56, v99
	v_fma_f32 v55, v55, v112, -v56
	v_mul_f32_e32 v56, v58, v100
	v_add_f32_e32 v55, 0, v55
	s_waitcnt vmcnt(31)
	v_fma_f32 v56, v57, v113, -v56
	v_add_f32_e32 v55, v55, v56
	v_mul_f32_e32 v56, v60, v101
	s_waitcnt vmcnt(30)
	v_fma_f32 v56, v59, v114, -v56
	v_add_f32_e32 v55, v55, v56
	v_mul_f32_e32 v56, v62, v102
	;; [unrolled: 4-line block ×4, first 2 shown]
	v_fmac_f32_e32 v88, v58, v113
	v_add_f32_e32 v87, 0, v87
	s_waitcnt vmcnt(27)
	v_fma_f32 v56, v65, v117, -v56
	v_fmac_f32_e32 v89, v60, v114
	v_add_f32_e32 v87, v87, v88
	v_add_f32_e32 v55, v55, v56
	v_mul_f32_e32 v56, v68, v105
	v_fmac_f32_e32 v90, v62, v115
	v_add_f32_e32 v87, v87, v89
	s_waitcnt vmcnt(26)
	v_fma_f32 v56, v67, v118, -v56
	v_fmac_f32_e32 v91, v64, v116
	v_add_f32_e32 v87, v87, v90
	v_add_f32_e32 v55, v55, v56
	v_mul_f32_e32 v56, v70, v106
	;; [unrolled: 8-line block ×4, first 2 shown]
	s_waitcnt vmcnt(23)
	v_fmac_f32_e32 v96, v74, v121
	v_add_f32_e32 v87, v87, v95
	v_fma_f32 v56, v73, v121, -v56
	s_waitcnt vmcnt(22)
	v_fmac_f32_e32 v97, v76, v122
	v_add_f32_e32 v87, v87, v96
	v_add_f32_e32 v55, v55, v56
	v_mul_f32_e32 v56, v76, v109
	s_waitcnt vmcnt(21)
	v_fmac_f32_e32 v98, v78, v123
	v_add_f32_e32 v87, v87, v97
	v_fma_f32 v56, v75, v122, -v56
	s_waitcnt vmcnt(20)
	v_fmac_f32_e32 v145, v80, v124
	v_add_f32_e32 v87, v87, v98
	s_waitcnt vmcnt(19)
	v_mul_f32_e32 v88, v81, v125
	v_add_f32_e32 v55, v55, v56
	v_mul_f32_e32 v56, v78, v110
	v_add_f32_e32 v87, v87, v145
	s_waitcnt vmcnt(18)
	v_fmac_f32_e32 v88, v82, v126
	v_fma_f32 v56, v77, v123, -v56
	v_add_f32_e32 v87, v87, v88
	s_waitcnt vmcnt(17) lgkmcnt(0)
	v_mul_f32_e32 v88, v83, v127
	v_add_f32_e32 v55, v55, v56
	v_mul_f32_e32 v56, v80, v111
	s_waitcnt vmcnt(16)
	v_fmac_f32_e32 v88, v84, v128
	v_fma_f32 v56, v79, v124, -v56
	v_add_f32_e32 v91, v87, v88
	ds_read_b128 v[87:90], v54 offset:368
	v_add_f32_e32 v55, v55, v56
	v_mul_f32_e32 v56, v82, v125
	v_fma_f32 v56, v81, v126, -v56
	v_add_f32_e32 v55, v55, v56
	v_mul_f32_e32 v56, v84, v127
	s_waitcnt vmcnt(15)
	v_mul_f32_e32 v92, v85, v129
	v_fma_f32 v56, v83, v128, -v56
	s_waitcnt vmcnt(14)
	v_fmac_f32_e32 v92, v86, v130
	v_add_f32_e32 v55, v55, v56
	v_mul_f32_e32 v56, v86, v129
	v_add_f32_e32 v95, v91, v92
	ds_read_b128 v[91:94], v54 offset:384
	s_waitcnt vmcnt(13) lgkmcnt(1)
	v_mul_f32_e32 v96, v87, v131
	v_fma_f32 v56, v85, v130, -v56
	s_waitcnt vmcnt(12)
	v_fmac_f32_e32 v96, v88, v132
	v_add_f32_e32 v55, v55, v56
	v_mul_f32_e32 v56, v88, v131
	v_add_f32_e32 v95, v95, v96
	s_waitcnt vmcnt(11)
	v_mul_f32_e32 v96, v89, v133
	v_fma_f32 v56, v87, v132, -v56
	s_waitcnt vmcnt(10)
	v_fmac_f32_e32 v96, v90, v134
	v_add_f32_e32 v55, v55, v56
	v_mul_f32_e32 v56, v90, v133
	v_add_f32_e32 v145, v95, v96
	ds_read_b128 v[95:98], v54 offset:400
	v_fma_f32 v56, v89, v134, -v56
	v_add_f32_e32 v55, v55, v56
	s_waitcnt vmcnt(9) lgkmcnt(1)
	v_mul_f32_e32 v56, v92, v135
	v_mul_f32_e32 v146, v91, v135
	s_waitcnt vmcnt(8)
	v_fma_f32 v56, v91, v136, -v56
	v_fmac_f32_e32 v146, v92, v136
	v_add_f32_e32 v55, v55, v56
	s_waitcnt vmcnt(7)
	v_mul_f32_e32 v56, v94, v137
	v_add_f32_e32 v54, v145, v146
	v_mul_f32_e32 v145, v93, v137
	s_waitcnt vmcnt(6)
	v_fma_f32 v56, v93, v138, -v56
	v_fmac_f32_e32 v145, v94, v138
	v_add_f32_e32 v55, v55, v56
	s_waitcnt vmcnt(5) lgkmcnt(0)
	v_mul_f32_e32 v56, v96, v139
	v_add_f32_e32 v54, v54, v145
	v_mul_f32_e32 v145, v95, v139
	s_waitcnt vmcnt(4)
	v_fma_f32 v56, v95, v140, -v56
	v_fmac_f32_e32 v145, v96, v140
	v_add_f32_e32 v55, v55, v56
	s_waitcnt vmcnt(3)
	v_mul_f32_e32 v56, v98, v141
	v_add_f32_e32 v54, v54, v145
	v_mul_f32_e32 v145, v97, v141
	s_waitcnt vmcnt(2)
	v_fma_f32 v56, v97, v142, -v56
	v_fmac_f32_e32 v145, v98, v142
	v_add_f32_e32 v55, v55, v56
	v_add_f32_e32 v54, v54, v145
	s_waitcnt vmcnt(1)
	v_sub_f32_e32 v55, v143, v55
	s_waitcnt vmcnt(0)
	v_sub_f32_e32 v54, v144, v54
	buffer_store_dword v55, off, s[0:3], 0 offset:24
	buffer_store_dword v54, off, s[0:3], 0 offset:28
	s_and_saveexec_b64 s[4:5], vcc
	s_cbranch_execz .LBB89_165
; %bb.164:
	buffer_load_dword v54, off, s[0:3], 0 offset:16
	buffer_load_dword v55, off, s[0:3], 0 offset:20
	v_mov_b32_e32 v56, 0
	buffer_store_dword v56, off, s[0:3], 0 offset:16
	buffer_store_dword v56, off, s[0:3], 0 offset:20
	s_waitcnt vmcnt(2)
	ds_write_b64 v53, v[54:55]
.LBB89_165:
	s_or_b64 exec, exec, s[4:5]
	s_waitcnt lgkmcnt(0)
	; wave barrier
	buffer_load_dword v101, off, s[0:3], 0 offset:28
	buffer_load_dword v102, off, s[0:3], 0 offset:36
	;; [unrolled: 1-line block ×48, first 2 shown]
	v_mov_b32_e32 v54, 0
	ds_read2_b64 v[55:58], v54 offset0:29 offset1:30
	ds_read2_b64 v[59:62], v54 offset0:31 offset1:32
	;; [unrolled: 1-line block ×7, first 2 shown]
	v_cmp_lt_u32_e32 vcc, 1, v0
	s_waitcnt vmcnt(47) lgkmcnt(6)
	v_mul_f32_e32 v83, v55, v101
	s_waitcnt vmcnt(46)
	v_mul_f32_e32 v84, v57, v102
	s_waitcnt vmcnt(45) lgkmcnt(5)
	v_mul_f32_e32 v85, v59, v103
	s_waitcnt vmcnt(44)
	v_mul_f32_e32 v86, v61, v104
	s_waitcnt vmcnt(43) lgkmcnt(4)
	v_mul_f32_e32 v87, v63, v105
	s_waitcnt vmcnt(42)
	v_mul_f32_e32 v88, v65, v106
	s_waitcnt vmcnt(41) lgkmcnt(3)
	v_mul_f32_e32 v89, v67, v107
	s_waitcnt vmcnt(40)
	v_mul_f32_e32 v90, v69, v108
	s_waitcnt vmcnt(39) lgkmcnt(2)
	v_mul_f32_e32 v91, v71, v109
	s_waitcnt vmcnt(38)
	v_mul_f32_e32 v92, v73, v110
	s_waitcnt vmcnt(37) lgkmcnt(1)
	v_mul_f32_e32 v93, v75, v111
	s_waitcnt vmcnt(36)
	v_mul_f32_e32 v94, v77, v112
	s_waitcnt vmcnt(35)
	v_fmac_f32_e32 v83, v56, v113
	v_mul_f32_e32 v56, v56, v101
	v_fma_f32 v55, v55, v113, -v56
	v_mul_f32_e32 v56, v58, v102
	v_add_f32_e32 v55, 0, v55
	s_waitcnt vmcnt(34)
	v_fma_f32 v56, v57, v114, -v56
	v_add_f32_e32 v55, v55, v56
	v_mul_f32_e32 v56, v60, v103
	s_waitcnt vmcnt(33)
	v_fma_f32 v56, v59, v115, -v56
	v_fmac_f32_e32 v84, v58, v114
	v_add_f32_e32 v83, 0, v83
	v_add_f32_e32 v55, v55, v56
	v_mul_f32_e32 v56, v62, v104
	v_fmac_f32_e32 v85, v60, v115
	v_add_f32_e32 v83, v83, v84
	s_waitcnt vmcnt(32)
	v_fma_f32 v56, v61, v116, -v56
	v_fmac_f32_e32 v86, v62, v116
	v_add_f32_e32 v83, v83, v85
	v_add_f32_e32 v55, v55, v56
	v_mul_f32_e32 v56, v64, v105
	s_waitcnt vmcnt(31)
	v_fmac_f32_e32 v87, v64, v117
	v_add_f32_e32 v83, v83, v86
	v_fma_f32 v56, v63, v117, -v56
	s_waitcnt vmcnt(30)
	v_fmac_f32_e32 v88, v66, v118
	v_add_f32_e32 v83, v83, v87
	v_add_f32_e32 v55, v55, v56
	v_mul_f32_e32 v56, v66, v106
	s_waitcnt vmcnt(29)
	v_fmac_f32_e32 v89, v68, v119
	v_add_f32_e32 v83, v83, v88
	v_fma_f32 v56, v65, v118, -v56
	s_waitcnt vmcnt(28)
	;; [unrolled: 9-line block ×4, first 2 shown]
	v_fmac_f32_e32 v94, v78, v124
	v_add_f32_e32 v83, v83, v93
	v_add_f32_e32 v55, v55, v56
	v_mul_f32_e32 v56, v72, v109
	v_add_f32_e32 v87, v83, v94
	ds_read2_b64 v[83:86], v54 offset0:43 offset1:44
	v_fma_f32 v56, v71, v121, -v56
	s_waitcnt vmcnt(23) lgkmcnt(1)
	v_mul_f32_e32 v88, v79, v125
	v_add_f32_e32 v55, v55, v56
	v_mul_f32_e32 v56, v74, v110
	s_waitcnt vmcnt(22)
	v_fmac_f32_e32 v88, v80, v126
	v_fma_f32 v56, v73, v122, -v56
	v_add_f32_e32 v87, v87, v88
	s_waitcnt vmcnt(21)
	v_mul_f32_e32 v88, v81, v127
	v_add_f32_e32 v55, v55, v56
	v_mul_f32_e32 v56, v76, v111
	s_waitcnt vmcnt(20)
	v_fmac_f32_e32 v88, v82, v128
	v_fma_f32 v56, v75, v123, -v56
	v_add_f32_e32 v87, v87, v88
	s_waitcnt vmcnt(19) lgkmcnt(0)
	v_mul_f32_e32 v88, v83, v129
	v_add_f32_e32 v55, v55, v56
	v_mul_f32_e32 v56, v78, v112
	s_waitcnt vmcnt(18)
	v_fmac_f32_e32 v88, v84, v130
	v_fma_f32 v56, v77, v124, -v56
	v_add_f32_e32 v91, v87, v88
	ds_read2_b64 v[87:90], v54 offset0:45 offset1:46
	v_add_f32_e32 v55, v55, v56
	v_mul_f32_e32 v56, v80, v125
	v_fma_f32 v56, v79, v126, -v56
	s_waitcnt vmcnt(17)
	v_mul_f32_e32 v92, v85, v131
	v_add_f32_e32 v55, v55, v56
	v_mul_f32_e32 v56, v82, v127
	s_waitcnt vmcnt(16)
	v_fmac_f32_e32 v92, v86, v132
	v_fma_f32 v56, v81, v128, -v56
	v_add_f32_e32 v95, v91, v92
	ds_read2_b64 v[91:94], v54 offset0:47 offset1:48
	v_add_f32_e32 v55, v55, v56
	v_mul_f32_e32 v56, v84, v129
	s_waitcnt vmcnt(15) lgkmcnt(1)
	v_mul_f32_e32 v96, v87, v133
	v_fma_f32 v56, v83, v130, -v56
	s_waitcnt vmcnt(14)
	v_fmac_f32_e32 v96, v88, v134
	v_add_f32_e32 v55, v55, v56
	v_mul_f32_e32 v56, v86, v131
	v_add_f32_e32 v95, v95, v96
	s_waitcnt vmcnt(13)
	v_mul_f32_e32 v96, v89, v135
	v_fma_f32 v56, v85, v132, -v56
	s_waitcnt vmcnt(12)
	v_fmac_f32_e32 v96, v90, v136
	v_add_f32_e32 v55, v55, v56
	v_mul_f32_e32 v56, v88, v133
	v_add_f32_e32 v95, v95, v96
	s_waitcnt vmcnt(11) lgkmcnt(0)
	v_mul_f32_e32 v96, v91, v137
	v_fma_f32 v56, v87, v134, -v56
	s_waitcnt vmcnt(10)
	v_fmac_f32_e32 v96, v92, v138
	v_add_f32_e32 v55, v55, v56
	v_mul_f32_e32 v56, v90, v135
	v_add_f32_e32 v99, v95, v96
	ds_read2_b64 v[95:98], v54 offset0:49 offset1:50
	v_fma_f32 v56, v89, v136, -v56
	v_add_f32_e32 v55, v55, v56
	v_mul_f32_e32 v56, v92, v137
	s_waitcnt vmcnt(9)
	v_mul_f32_e32 v100, v93, v139
	v_fma_f32 v56, v91, v138, -v56
	s_waitcnt vmcnt(8)
	v_fmac_f32_e32 v100, v94, v140
	v_add_f32_e32 v55, v55, v56
	v_mul_f32_e32 v56, v94, v139
	v_add_f32_e32 v149, v99, v100
	ds_read_b64 v[99:100], v54 offset:408
	v_fma_f32 v56, v93, v140, -v56
	v_add_f32_e32 v55, v55, v56
	s_waitcnt vmcnt(6) lgkmcnt(1)
	v_mul_f32_e32 v56, v96, v142
	v_mul_f32_e32 v150, v95, v142
	v_fma_f32 v56, v95, v141, -v56
	v_fmac_f32_e32 v150, v96, v141
	v_add_f32_e32 v55, v55, v56
	s_waitcnt vmcnt(3)
	v_mul_f32_e32 v56, v98, v145
	v_add_f32_e32 v149, v149, v150
	v_mul_f32_e32 v150, v97, v145
	s_waitcnt vmcnt(2)
	v_fma_f32 v56, v97, v146, -v56
	v_fmac_f32_e32 v150, v98, v146
	v_add_f32_e32 v55, v55, v56
	s_waitcnt vmcnt(0) lgkmcnt(0)
	v_mul_f32_e32 v56, v100, v148
	v_add_f32_e32 v149, v149, v150
	v_mul_f32_e32 v150, v99, v148
	v_fma_f32 v56, v99, v147, -v56
	v_fmac_f32_e32 v150, v100, v147
	v_add_f32_e32 v55, v55, v56
	v_add_f32_e32 v149, v149, v150
	v_sub_f32_e32 v55, v143, v55
	v_sub_f32_e32 v56, v144, v149
	buffer_store_dword v55, off, s[0:3], 0 offset:16
	buffer_store_dword v56, off, s[0:3], 0 offset:20
	s_and_saveexec_b64 s[4:5], vcc
	s_cbranch_execz .LBB89_167
; %bb.166:
	buffer_load_dword v55, off, s[0:3], 0 offset:8
	buffer_load_dword v56, off, s[0:3], 0 offset:12
	s_waitcnt vmcnt(0)
	ds_write_b64 v53, v[55:56]
	buffer_store_dword v54, off, s[0:3], 0 offset:8
	buffer_store_dword v54, off, s[0:3], 0 offset:12
.LBB89_167:
	s_or_b64 exec, exec, s[4:5]
	s_waitcnt lgkmcnt(0)
	; wave barrier
	buffer_load_dword v103, off, s[0:3], 0 offset:20
	buffer_load_dword v104, off, s[0:3], 0 offset:28
	;; [unrolled: 1-line block ×48, first 2 shown]
	ds_read_b128 v[55:58], v54 offset:224
	ds_read_b128 v[59:62], v54 offset:240
	buffer_load_dword v151, off, s[0:3], 0 offset:200
	buffer_load_dword v152, off, s[0:3], 0 offset:204
	ds_read_b128 v[63:66], v54 offset:256
	ds_read_b128 v[67:70], v54 offset:272
	ds_read_b128 v[71:74], v54 offset:288
	ds_read_b128 v[75:78], v54 offset:304
	ds_read_b128 v[79:82], v54 offset:320
	v_cmp_ne_u32_e32 vcc, 0, v0
	s_waitcnt vmcnt(49) lgkmcnt(6)
	v_mul_f32_e32 v83, v55, v103
	s_waitcnt vmcnt(48)
	v_mul_f32_e32 v84, v57, v104
	s_waitcnt vmcnt(47) lgkmcnt(5)
	v_mul_f32_e32 v85, v59, v105
	s_waitcnt vmcnt(46)
	v_mul_f32_e32 v86, v61, v106
	;; [unrolled: 4-line block ×6, first 2 shown]
	s_waitcnt vmcnt(37)
	v_fmac_f32_e32 v83, v56, v115
	v_mul_f32_e32 v56, v56, v103
	v_fma_f32 v55, v55, v115, -v56
	v_mul_f32_e32 v56, v58, v104
	v_add_f32_e32 v55, 0, v55
	s_waitcnt vmcnt(36)
	v_fma_f32 v56, v57, v116, -v56
	v_add_f32_e32 v55, v55, v56
	v_mul_f32_e32 v56, v60, v105
	s_waitcnt vmcnt(35)
	v_fma_f32 v56, v59, v117, -v56
	v_fmac_f32_e32 v84, v58, v116
	v_add_f32_e32 v83, 0, v83
	v_add_f32_e32 v55, v55, v56
	v_mul_f32_e32 v56, v62, v106
	v_fmac_f32_e32 v85, v60, v117
	v_add_f32_e32 v83, v83, v84
	s_waitcnt vmcnt(34)
	v_fma_f32 v56, v61, v118, -v56
	v_fmac_f32_e32 v86, v62, v118
	v_add_f32_e32 v83, v83, v85
	v_add_f32_e32 v55, v55, v56
	v_mul_f32_e32 v56, v64, v107
	s_waitcnt vmcnt(33)
	v_fmac_f32_e32 v87, v64, v119
	v_add_f32_e32 v83, v83, v86
	v_fma_f32 v56, v63, v119, -v56
	s_waitcnt vmcnt(32)
	v_fmac_f32_e32 v88, v66, v120
	v_add_f32_e32 v83, v83, v87
	v_add_f32_e32 v55, v55, v56
	v_mul_f32_e32 v56, v66, v108
	s_waitcnt vmcnt(31)
	v_fmac_f32_e32 v89, v68, v121
	v_add_f32_e32 v83, v83, v88
	v_fma_f32 v56, v65, v120, -v56
	s_waitcnt vmcnt(30)
	;; [unrolled: 9-line block ×3, first 2 shown]
	v_fmac_f32_e32 v92, v74, v124
	v_add_f32_e32 v83, v83, v91
	v_add_f32_e32 v55, v55, v56
	v_mul_f32_e32 v56, v70, v110
	s_waitcnt vmcnt(27)
	v_fmac_f32_e32 v93, v76, v125
	v_add_f32_e32 v83, v83, v92
	v_fma_f32 v56, v69, v122, -v56
	v_add_f32_e32 v83, v83, v93
	s_waitcnt vmcnt(26)
	v_fmac_f32_e32 v94, v78, v126
	v_add_f32_e32 v55, v55, v56
	v_mul_f32_e32 v56, v72, v111
	v_add_f32_e32 v87, v83, v94
	ds_read_b128 v[83:86], v54 offset:336
	v_fma_f32 v56, v71, v123, -v56
	s_waitcnt vmcnt(25) lgkmcnt(1)
	v_mul_f32_e32 v88, v79, v127
	v_add_f32_e32 v55, v55, v56
	v_mul_f32_e32 v56, v74, v112
	s_waitcnt vmcnt(24)
	v_fmac_f32_e32 v88, v80, v128
	v_fma_f32 v56, v73, v124, -v56
	v_add_f32_e32 v87, v87, v88
	s_waitcnt vmcnt(23)
	v_mul_f32_e32 v88, v81, v129
	v_add_f32_e32 v55, v55, v56
	v_mul_f32_e32 v56, v76, v113
	s_waitcnt vmcnt(22)
	v_fmac_f32_e32 v88, v82, v130
	v_fma_f32 v56, v75, v125, -v56
	v_add_f32_e32 v87, v87, v88
	s_waitcnt vmcnt(21) lgkmcnt(0)
	v_mul_f32_e32 v88, v83, v131
	v_add_f32_e32 v55, v55, v56
	v_mul_f32_e32 v56, v78, v114
	s_waitcnt vmcnt(20)
	v_fmac_f32_e32 v88, v84, v132
	v_fma_f32 v56, v77, v126, -v56
	v_add_f32_e32 v91, v87, v88
	ds_read_b128 v[87:90], v54 offset:352
	v_add_f32_e32 v55, v55, v56
	v_mul_f32_e32 v56, v80, v127
	v_fma_f32 v56, v79, v128, -v56
	s_waitcnt vmcnt(19)
	v_mul_f32_e32 v92, v85, v133
	v_add_f32_e32 v55, v55, v56
	v_mul_f32_e32 v56, v82, v129
	s_waitcnt vmcnt(18)
	v_fmac_f32_e32 v92, v86, v134
	v_fma_f32 v56, v81, v130, -v56
	v_add_f32_e32 v95, v91, v92
	ds_read_b128 v[91:94], v54 offset:368
	v_add_f32_e32 v55, v55, v56
	v_mul_f32_e32 v56, v84, v131
	s_waitcnt vmcnt(17) lgkmcnt(1)
	v_mul_f32_e32 v96, v87, v135
	v_fma_f32 v56, v83, v132, -v56
	s_waitcnt vmcnt(16)
	v_fmac_f32_e32 v96, v88, v136
	v_add_f32_e32 v55, v55, v56
	v_mul_f32_e32 v56, v86, v133
	v_add_f32_e32 v95, v95, v96
	s_waitcnt vmcnt(15)
	v_mul_f32_e32 v96, v89, v137
	v_fma_f32 v56, v85, v134, -v56
	s_waitcnt vmcnt(14)
	v_fmac_f32_e32 v96, v90, v138
	v_add_f32_e32 v55, v55, v56
	v_mul_f32_e32 v56, v88, v135
	v_add_f32_e32 v95, v95, v96
	s_waitcnt vmcnt(13) lgkmcnt(0)
	v_mul_f32_e32 v96, v91, v139
	v_fma_f32 v56, v87, v136, -v56
	s_waitcnt vmcnt(12)
	v_fmac_f32_e32 v96, v92, v140
	v_add_f32_e32 v55, v55, v56
	v_mul_f32_e32 v56, v90, v137
	v_add_f32_e32 v99, v95, v96
	ds_read_b128 v[95:98], v54 offset:384
	v_fma_f32 v56, v89, v138, -v56
	v_add_f32_e32 v55, v55, v56
	v_mul_f32_e32 v56, v92, v139
	s_waitcnt vmcnt(11)
	v_mul_f32_e32 v100, v93, v141
	v_fma_f32 v56, v91, v140, -v56
	s_waitcnt vmcnt(10)
	v_fmac_f32_e32 v100, v94, v142
	v_add_f32_e32 v55, v55, v56
	v_mul_f32_e32 v56, v94, v141
	v_add_f32_e32 v153, v99, v100
	ds_read_b128 v[99:102], v54 offset:400
	v_fma_f32 v56, v93, v142, -v56
	v_add_f32_e32 v55, v55, v56
	s_waitcnt vmcnt(7) lgkmcnt(1)
	v_mul_f32_e32 v56, v96, v145
	v_mul_f32_e32 v54, v95, v145
	s_waitcnt vmcnt(6)
	v_fma_f32 v56, v95, v146, -v56
	v_fmac_f32_e32 v54, v96, v146
	v_add_f32_e32 v55, v55, v56
	s_waitcnt vmcnt(4)
	v_mul_f32_e32 v56, v98, v148
	v_add_f32_e32 v54, v153, v54
	v_mul_f32_e32 v153, v97, v148
	v_fma_f32 v56, v97, v147, -v56
	v_fmac_f32_e32 v153, v98, v147
	v_add_f32_e32 v55, v55, v56
	s_waitcnt vmcnt(2) lgkmcnt(0)
	v_mul_f32_e32 v56, v100, v150
	v_add_f32_e32 v54, v54, v153
	v_mul_f32_e32 v153, v99, v150
	v_fma_f32 v56, v99, v149, -v56
	v_fmac_f32_e32 v153, v100, v149
	v_add_f32_e32 v55, v55, v56
	s_waitcnt vmcnt(0)
	v_mul_f32_e32 v56, v102, v152
	v_add_f32_e32 v54, v54, v153
	v_mul_f32_e32 v153, v101, v152
	v_fma_f32 v56, v101, v151, -v56
	v_fmac_f32_e32 v153, v102, v151
	v_add_f32_e32 v55, v55, v56
	v_add_f32_e32 v54, v54, v153
	v_sub_f32_e32 v55, v143, v55
	v_sub_f32_e32 v54, v144, v54
	buffer_store_dword v55, off, s[0:3], 0 offset:8
	buffer_store_dword v54, off, s[0:3], 0 offset:12
	s_and_saveexec_b64 s[4:5], vcc
	s_cbranch_execz .LBB89_169
; %bb.168:
	buffer_load_dword v54, off, s[0:3], 0
	buffer_load_dword v55, off, s[0:3], 0 offset:4
	v_mov_b32_e32 v0, 0
	buffer_store_dword v0, off, s[0:3], 0
	buffer_store_dword v0, off, s[0:3], 0 offset:4
	s_waitcnt vmcnt(2)
	ds_write_b64 v53, v[54:55]
.LBB89_169:
	s_or_b64 exec, exec, s[4:5]
	s_waitcnt lgkmcnt(0)
	; wave barrier
	buffer_load_dword v103, off, s[0:3], 0 offset:12
	buffer_load_dword v104, off, s[0:3], 0 offset:20
	;; [unrolled: 1-line block ×38, first 2 shown]
	buffer_load_dword v141, off, s[0:3], 0
	buffer_load_dword v142, off, s[0:3], 0 offset:4
	buffer_load_dword v143, off, s[0:3], 0 offset:164
	;; [unrolled: 1-line block ×13, first 2 shown]
	v_mov_b32_e32 v0, 0
	ds_read2_b64 v[53:56], v0 offset0:27 offset1:28
	ds_read2_b64 v[57:60], v0 offset0:29 offset1:30
	;; [unrolled: 1-line block ×6, first 2 shown]
	s_and_b64 vcc, exec, s[14:15]
	s_waitcnt vmcnt(51) lgkmcnt(5)
	v_mul_f32_e32 v77, v53, v103
	s_waitcnt vmcnt(50)
	v_mul_f32_e32 v78, v55, v104
	s_waitcnt vmcnt(49) lgkmcnt(4)
	v_mul_f32_e32 v79, v57, v105
	s_waitcnt vmcnt(48)
	v_mul_f32_e32 v80, v59, v106
	;; [unrolled: 4-line block ×5, first 2 shown]
	s_waitcnt vmcnt(41) lgkmcnt(0)
	v_mul_f32_e32 v87, v73, v113
	s_waitcnt vmcnt(40)
	v_fmac_f32_e32 v77, v54, v114
	v_mul_f32_e32 v54, v54, v103
	s_waitcnt vmcnt(39)
	v_fmac_f32_e32 v78, v56, v115
	v_add_f32_e32 v77, 0, v77
	v_fma_f32 v53, v53, v114, -v54
	v_mul_f32_e32 v54, v56, v104
	s_waitcnt vmcnt(38)
	v_fmac_f32_e32 v79, v58, v116
	v_add_f32_e32 v77, v77, v78
	v_add_f32_e32 v53, 0, v53
	v_fma_f32 v54, v55, v115, -v54
	s_waitcnt vmcnt(37)
	v_fmac_f32_e32 v80, v60, v117
	v_add_f32_e32 v77, v77, v79
	v_add_f32_e32 v53, v53, v54
	v_mul_f32_e32 v54, v58, v105
	s_waitcnt vmcnt(36)
	v_fmac_f32_e32 v81, v62, v118
	v_add_f32_e32 v77, v77, v80
	v_fma_f32 v54, v57, v116, -v54
	s_waitcnt vmcnt(35)
	v_fmac_f32_e32 v82, v64, v119
	v_add_f32_e32 v77, v77, v81
	v_add_f32_e32 v53, v53, v54
	v_mul_f32_e32 v54, v60, v106
	s_waitcnt vmcnt(34)
	v_fmac_f32_e32 v83, v66, v120
	;; [unrolled: 9-line block ×3, first 2 shown]
	v_add_f32_e32 v77, v77, v84
	v_fma_f32 v54, v61, v118, -v54
	s_waitcnt vmcnt(31)
	v_fmac_f32_e32 v86, v72, v123
	v_add_f32_e32 v77, v77, v85
	v_add_f32_e32 v53, v53, v54
	v_mul_f32_e32 v54, v64, v108
	v_add_f32_e32 v77, v77, v86
	s_waitcnt vmcnt(30)
	v_fmac_f32_e32 v87, v74, v124
	v_fma_f32 v54, v63, v119, -v54
	v_add_f32_e32 v81, v77, v87
	ds_read2_b64 v[77:80], v0 offset0:39 offset1:40
	v_add_f32_e32 v53, v53, v54
	v_mul_f32_e32 v54, v66, v109
	v_fma_f32 v54, v65, v120, -v54
	s_waitcnt vmcnt(29)
	v_mul_f32_e32 v82, v75, v125
	v_add_f32_e32 v53, v53, v54
	v_mul_f32_e32 v54, v68, v110
	s_waitcnt vmcnt(28)
	v_fmac_f32_e32 v82, v76, v126
	v_fma_f32 v54, v67, v121, -v54
	v_add_f32_e32 v85, v81, v82
	ds_read2_b64 v[81:84], v0 offset0:41 offset1:42
	v_add_f32_e32 v53, v53, v54
	v_mul_f32_e32 v54, v70, v111
	s_waitcnt vmcnt(27) lgkmcnt(1)
	v_mul_f32_e32 v86, v77, v127
	v_fma_f32 v54, v69, v122, -v54
	s_waitcnt vmcnt(26)
	v_fmac_f32_e32 v86, v78, v128
	v_add_f32_e32 v53, v53, v54
	v_mul_f32_e32 v54, v72, v112
	v_add_f32_e32 v85, v85, v86
	s_waitcnt vmcnt(25)
	v_mul_f32_e32 v86, v79, v129
	v_fma_f32 v54, v71, v123, -v54
	s_waitcnt vmcnt(24)
	v_fmac_f32_e32 v86, v80, v130
	v_add_f32_e32 v53, v53, v54
	v_mul_f32_e32 v54, v74, v113
	v_add_f32_e32 v85, v85, v86
	s_waitcnt vmcnt(23) lgkmcnt(0)
	v_mul_f32_e32 v86, v81, v131
	v_fma_f32 v54, v73, v124, -v54
	s_waitcnt vmcnt(22)
	v_fmac_f32_e32 v86, v82, v132
	v_add_f32_e32 v53, v53, v54
	v_mul_f32_e32 v54, v76, v125
	v_add_f32_e32 v89, v85, v86
	ds_read2_b64 v[85:88], v0 offset0:43 offset1:44
	v_fma_f32 v54, v75, v126, -v54
	v_add_f32_e32 v53, v53, v54
	v_mul_f32_e32 v54, v78, v127
	s_waitcnt vmcnt(21)
	v_mul_f32_e32 v90, v83, v133
	v_fma_f32 v54, v77, v128, -v54
	s_waitcnt vmcnt(20)
	v_fmac_f32_e32 v90, v84, v134
	v_add_f32_e32 v53, v53, v54
	v_mul_f32_e32 v54, v80, v129
	v_add_f32_e32 v93, v89, v90
	ds_read2_b64 v[89:92], v0 offset0:45 offset1:46
	v_fma_f32 v54, v79, v130, -v54
	s_waitcnt vmcnt(19) lgkmcnt(1)
	v_mul_f32_e32 v94, v85, v135
	v_add_f32_e32 v53, v53, v54
	v_mul_f32_e32 v54, v82, v131
	s_waitcnt vmcnt(18)
	v_fmac_f32_e32 v94, v86, v136
	v_fma_f32 v54, v81, v132, -v54
	v_add_f32_e32 v93, v93, v94
	s_waitcnt vmcnt(17)
	v_mul_f32_e32 v94, v87, v137
	v_add_f32_e32 v53, v53, v54
	v_mul_f32_e32 v54, v84, v133
	s_waitcnt vmcnt(16)
	v_fmac_f32_e32 v94, v88, v138
	v_fma_f32 v54, v83, v134, -v54
	v_add_f32_e32 v93, v93, v94
	s_waitcnt vmcnt(14) lgkmcnt(0)
	v_mul_f32_e32 v94, v89, v140
	v_add_f32_e32 v53, v53, v54
	v_mul_f32_e32 v54, v86, v135
	v_fmac_f32_e32 v94, v90, v139
	v_fma_f32 v54, v85, v136, -v54
	v_add_f32_e32 v97, v93, v94
	ds_read2_b64 v[93:96], v0 offset0:47 offset1:48
	v_add_f32_e32 v53, v53, v54
	v_mul_f32_e32 v54, v88, v137
	v_fma_f32 v54, v87, v138, -v54
	v_add_f32_e32 v53, v53, v54
	v_mul_f32_e32 v54, v90, v140
	s_waitcnt vmcnt(11)
	v_mul_f32_e32 v98, v91, v143
	v_fma_f32 v54, v89, v139, -v54
	s_waitcnt vmcnt(10)
	v_fmac_f32_e32 v98, v92, v144
	v_add_f32_e32 v53, v53, v54
	v_mul_f32_e32 v54, v92, v143
	v_add_f32_e32 v101, v97, v98
	ds_read2_b64 v[97:100], v0 offset0:49 offset1:50
	s_waitcnt vmcnt(8) lgkmcnt(1)
	v_mul_f32_e32 v102, v93, v146
	v_fma_f32 v54, v91, v144, -v54
	v_fmac_f32_e32 v102, v94, v145
	v_add_f32_e32 v53, v53, v54
	v_mul_f32_e32 v54, v94, v146
	v_add_f32_e32 v101, v101, v102
	s_waitcnt vmcnt(6)
	v_mul_f32_e32 v102, v95, v148
	v_fma_f32 v54, v93, v145, -v54
	v_fmac_f32_e32 v102, v96, v147
	v_add_f32_e32 v53, v53, v54
	v_mul_f32_e32 v54, v96, v148
	v_add_f32_e32 v155, v101, v102
	ds_read_b64 v[101:102], v0 offset:408
	v_fma_f32 v54, v95, v147, -v54
	v_add_f32_e32 v53, v53, v54
	s_waitcnt vmcnt(4) lgkmcnt(1)
	v_mul_f32_e32 v54, v98, v150
	v_mul_f32_e32 v156, v97, v150
	v_fma_f32 v54, v97, v149, -v54
	v_fmac_f32_e32 v156, v98, v149
	v_add_f32_e32 v53, v53, v54
	s_waitcnt vmcnt(2)
	v_mul_f32_e32 v54, v100, v152
	v_add_f32_e32 v155, v155, v156
	v_mul_f32_e32 v156, v99, v152
	v_fma_f32 v54, v99, v151, -v54
	v_fmac_f32_e32 v156, v100, v151
	v_add_f32_e32 v53, v53, v54
	s_waitcnt vmcnt(0) lgkmcnt(0)
	v_mul_f32_e32 v54, v102, v154
	v_add_f32_e32 v155, v155, v156
	v_mul_f32_e32 v156, v101, v154
	v_fma_f32 v54, v101, v153, -v54
	v_fmac_f32_e32 v156, v102, v153
	v_add_f32_e32 v53, v53, v54
	v_add_f32_e32 v155, v155, v156
	v_sub_f32_e32 v53, v141, v53
	v_sub_f32_e32 v54, v142, v155
	buffer_store_dword v53, off, s[0:3], 0
	buffer_store_dword v54, off, s[0:3], 0 offset:4
	s_cbranch_vccz .LBB89_220
; %bb.170:
	global_load_dword v0, v0, s[12:13] offset:96
	s_waitcnt vmcnt(0)
	v_add_u32_e32 v0, -1, v0
	v_cmp_ne_u32_e32 vcc, 24, v0
	s_cbranch_vccz .LBB89_172
; %bb.171:
	v_lshlrev_b32_e32 v0, 3, v0
	buffer_load_dword v53, v0, s[0:3], 0 offen
	buffer_load_dword v54, v0, s[0:3], 0 offen offset:4
	buffer_load_dword v55, off, s[0:3], 0 offset:196
	buffer_load_dword v56, off, s[0:3], 0 offset:192
	s_waitcnt vmcnt(3)
	buffer_store_dword v53, off, s[0:3], 0 offset:192
	s_waitcnt vmcnt(3)
	buffer_store_dword v54, off, s[0:3], 0 offset:196
	s_waitcnt vmcnt(3)
	buffer_store_dword v55, v0, s[0:3], 0 offen offset:4
	s_waitcnt vmcnt(3)
	buffer_store_dword v56, v0, s[0:3], 0 offen
.LBB89_172:
	v_mov_b32_e32 v0, 0
	global_load_dword v53, v0, s[12:13] offset:92
	s_waitcnt vmcnt(0)
	v_add_u32_e32 v53, -1, v53
	v_cmp_eq_u32_e32 vcc, 23, v53
	s_cbranch_vccnz .LBB89_174
; %bb.173:
	v_lshlrev_b32_e32 v53, 3, v53
	buffer_load_dword v54, v53, s[0:3], 0 offen
	buffer_load_dword v55, v53, s[0:3], 0 offen offset:4
	buffer_load_dword v56, off, s[0:3], 0 offset:184
	buffer_load_dword v57, off, s[0:3], 0 offset:188
	s_waitcnt vmcnt(3)
	buffer_store_dword v54, off, s[0:3], 0 offset:184
	s_waitcnt vmcnt(3)
	buffer_store_dword v55, off, s[0:3], 0 offset:188
	s_waitcnt vmcnt(3)
	buffer_store_dword v56, v53, s[0:3], 0 offen
	s_waitcnt vmcnt(3)
	buffer_store_dword v57, v53, s[0:3], 0 offen offset:4
.LBB89_174:
	global_load_dword v0, v0, s[12:13] offset:88
	s_waitcnt vmcnt(0)
	v_add_u32_e32 v0, -1, v0
	v_cmp_eq_u32_e32 vcc, 22, v0
	s_cbranch_vccnz .LBB89_176
; %bb.175:
	v_lshlrev_b32_e32 v0, 3, v0
	buffer_load_dword v53, v0, s[0:3], 0 offen
	buffer_load_dword v54, v0, s[0:3], 0 offen offset:4
	buffer_load_dword v55, off, s[0:3], 0 offset:180
	buffer_load_dword v56, off, s[0:3], 0 offset:176
	s_waitcnt vmcnt(3)
	buffer_store_dword v53, off, s[0:3], 0 offset:176
	s_waitcnt vmcnt(3)
	buffer_store_dword v54, off, s[0:3], 0 offset:180
	s_waitcnt vmcnt(3)
	buffer_store_dword v55, v0, s[0:3], 0 offen offset:4
	s_waitcnt vmcnt(3)
	buffer_store_dword v56, v0, s[0:3], 0 offen
.LBB89_176:
	v_mov_b32_e32 v0, 0
	global_load_dword v53, v0, s[12:13] offset:84
	s_waitcnt vmcnt(0)
	v_add_u32_e32 v53, -1, v53
	v_cmp_eq_u32_e32 vcc, 21, v53
	s_cbranch_vccnz .LBB89_178
; %bb.177:
	v_lshlrev_b32_e32 v53, 3, v53
	buffer_load_dword v54, v53, s[0:3], 0 offen
	buffer_load_dword v55, v53, s[0:3], 0 offen offset:4
	buffer_load_dword v56, off, s[0:3], 0 offset:168
	buffer_load_dword v57, off, s[0:3], 0 offset:172
	s_waitcnt vmcnt(3)
	buffer_store_dword v54, off, s[0:3], 0 offset:168
	s_waitcnt vmcnt(3)
	buffer_store_dword v55, off, s[0:3], 0 offset:172
	s_waitcnt vmcnt(3)
	buffer_store_dword v56, v53, s[0:3], 0 offen
	s_waitcnt vmcnt(3)
	buffer_store_dword v57, v53, s[0:3], 0 offen offset:4
.LBB89_178:
	global_load_dword v0, v0, s[12:13] offset:80
	s_waitcnt vmcnt(0)
	v_add_u32_e32 v0, -1, v0
	v_cmp_eq_u32_e32 vcc, 20, v0
	s_cbranch_vccnz .LBB89_180
; %bb.179:
	v_lshlrev_b32_e32 v0, 3, v0
	buffer_load_dword v53, v0, s[0:3], 0 offen
	buffer_load_dword v54, v0, s[0:3], 0 offen offset:4
	buffer_load_dword v55, off, s[0:3], 0 offset:164
	buffer_load_dword v56, off, s[0:3], 0 offset:160
	s_waitcnt vmcnt(3)
	buffer_store_dword v53, off, s[0:3], 0 offset:160
	s_waitcnt vmcnt(3)
	buffer_store_dword v54, off, s[0:3], 0 offset:164
	s_waitcnt vmcnt(3)
	buffer_store_dword v55, v0, s[0:3], 0 offen offset:4
	s_waitcnt vmcnt(3)
	buffer_store_dword v56, v0, s[0:3], 0 offen
.LBB89_180:
	v_mov_b32_e32 v0, 0
	global_load_dword v53, v0, s[12:13] offset:76
	s_waitcnt vmcnt(0)
	v_add_u32_e32 v53, -1, v53
	v_cmp_eq_u32_e32 vcc, 19, v53
	s_cbranch_vccnz .LBB89_182
; %bb.181:
	v_lshlrev_b32_e32 v53, 3, v53
	buffer_load_dword v54, v53, s[0:3], 0 offen
	buffer_load_dword v55, v53, s[0:3], 0 offen offset:4
	buffer_load_dword v56, off, s[0:3], 0 offset:152
	buffer_load_dword v57, off, s[0:3], 0 offset:156
	s_waitcnt vmcnt(3)
	buffer_store_dword v54, off, s[0:3], 0 offset:152
	s_waitcnt vmcnt(3)
	buffer_store_dword v55, off, s[0:3], 0 offset:156
	s_waitcnt vmcnt(3)
	buffer_store_dword v56, v53, s[0:3], 0 offen
	s_waitcnt vmcnt(3)
	buffer_store_dword v57, v53, s[0:3], 0 offen offset:4
.LBB89_182:
	global_load_dword v0, v0, s[12:13] offset:72
	s_waitcnt vmcnt(0)
	v_add_u32_e32 v0, -1, v0
	v_cmp_eq_u32_e32 vcc, 18, v0
	s_cbranch_vccnz .LBB89_184
; %bb.183:
	v_lshlrev_b32_e32 v0, 3, v0
	buffer_load_dword v53, v0, s[0:3], 0 offen
	buffer_load_dword v54, v0, s[0:3], 0 offen offset:4
	buffer_load_dword v55, off, s[0:3], 0 offset:148
	buffer_load_dword v56, off, s[0:3], 0 offset:144
	s_waitcnt vmcnt(3)
	buffer_store_dword v53, off, s[0:3], 0 offset:144
	s_waitcnt vmcnt(3)
	buffer_store_dword v54, off, s[0:3], 0 offset:148
	s_waitcnt vmcnt(3)
	buffer_store_dword v55, v0, s[0:3], 0 offen offset:4
	s_waitcnt vmcnt(3)
	buffer_store_dword v56, v0, s[0:3], 0 offen
.LBB89_184:
	v_mov_b32_e32 v0, 0
	global_load_dword v53, v0, s[12:13] offset:68
	s_waitcnt vmcnt(0)
	v_add_u32_e32 v53, -1, v53
	v_cmp_eq_u32_e32 vcc, 17, v53
	s_cbranch_vccnz .LBB89_186
; %bb.185:
	v_lshlrev_b32_e32 v53, 3, v53
	buffer_load_dword v54, v53, s[0:3], 0 offen
	buffer_load_dword v55, v53, s[0:3], 0 offen offset:4
	buffer_load_dword v56, off, s[0:3], 0 offset:136
	buffer_load_dword v57, off, s[0:3], 0 offset:140
	s_waitcnt vmcnt(3)
	buffer_store_dword v54, off, s[0:3], 0 offset:136
	s_waitcnt vmcnt(3)
	buffer_store_dword v55, off, s[0:3], 0 offset:140
	s_waitcnt vmcnt(3)
	buffer_store_dword v56, v53, s[0:3], 0 offen
	s_waitcnt vmcnt(3)
	buffer_store_dword v57, v53, s[0:3], 0 offen offset:4
.LBB89_186:
	global_load_dword v0, v0, s[12:13] offset:64
	s_waitcnt vmcnt(0)
	v_add_u32_e32 v0, -1, v0
	v_cmp_eq_u32_e32 vcc, 16, v0
	s_cbranch_vccnz .LBB89_188
; %bb.187:
	v_lshlrev_b32_e32 v0, 3, v0
	buffer_load_dword v53, v0, s[0:3], 0 offen
	buffer_load_dword v54, v0, s[0:3], 0 offen offset:4
	buffer_load_dword v55, off, s[0:3], 0 offset:132
	buffer_load_dword v56, off, s[0:3], 0 offset:128
	s_waitcnt vmcnt(3)
	buffer_store_dword v53, off, s[0:3], 0 offset:128
	s_waitcnt vmcnt(3)
	buffer_store_dword v54, off, s[0:3], 0 offset:132
	s_waitcnt vmcnt(3)
	buffer_store_dword v55, v0, s[0:3], 0 offen offset:4
	s_waitcnt vmcnt(3)
	buffer_store_dword v56, v0, s[0:3], 0 offen
.LBB89_188:
	v_mov_b32_e32 v0, 0
	global_load_dword v53, v0, s[12:13] offset:60
	s_waitcnt vmcnt(0)
	v_add_u32_e32 v53, -1, v53
	v_cmp_eq_u32_e32 vcc, 15, v53
	s_cbranch_vccnz .LBB89_190
; %bb.189:
	v_lshlrev_b32_e32 v53, 3, v53
	buffer_load_dword v54, v53, s[0:3], 0 offen
	buffer_load_dword v55, v53, s[0:3], 0 offen offset:4
	buffer_load_dword v56, off, s[0:3], 0 offset:120
	buffer_load_dword v57, off, s[0:3], 0 offset:124
	s_waitcnt vmcnt(3)
	buffer_store_dword v54, off, s[0:3], 0 offset:120
	s_waitcnt vmcnt(3)
	buffer_store_dword v55, off, s[0:3], 0 offset:124
	s_waitcnt vmcnt(3)
	buffer_store_dword v56, v53, s[0:3], 0 offen
	s_waitcnt vmcnt(3)
	buffer_store_dword v57, v53, s[0:3], 0 offen offset:4
.LBB89_190:
	global_load_dword v0, v0, s[12:13] offset:56
	s_waitcnt vmcnt(0)
	v_add_u32_e32 v0, -1, v0
	v_cmp_eq_u32_e32 vcc, 14, v0
	s_cbranch_vccnz .LBB89_192
; %bb.191:
	v_lshlrev_b32_e32 v0, 3, v0
	buffer_load_dword v53, v0, s[0:3], 0 offen
	buffer_load_dword v54, v0, s[0:3], 0 offen offset:4
	buffer_load_dword v55, off, s[0:3], 0 offset:116
	buffer_load_dword v56, off, s[0:3], 0 offset:112
	s_waitcnt vmcnt(3)
	buffer_store_dword v53, off, s[0:3], 0 offset:112
	s_waitcnt vmcnt(3)
	buffer_store_dword v54, off, s[0:3], 0 offset:116
	s_waitcnt vmcnt(3)
	buffer_store_dword v55, v0, s[0:3], 0 offen offset:4
	s_waitcnt vmcnt(3)
	buffer_store_dword v56, v0, s[0:3], 0 offen
.LBB89_192:
	v_mov_b32_e32 v0, 0
	global_load_dword v53, v0, s[12:13] offset:52
	s_waitcnt vmcnt(0)
	v_add_u32_e32 v53, -1, v53
	v_cmp_eq_u32_e32 vcc, 13, v53
	s_cbranch_vccnz .LBB89_194
; %bb.193:
	v_lshlrev_b32_e32 v53, 3, v53
	buffer_load_dword v54, v53, s[0:3], 0 offen
	buffer_load_dword v55, v53, s[0:3], 0 offen offset:4
	buffer_load_dword v56, off, s[0:3], 0 offset:104
	buffer_load_dword v57, off, s[0:3], 0 offset:108
	s_waitcnt vmcnt(3)
	buffer_store_dword v54, off, s[0:3], 0 offset:104
	s_waitcnt vmcnt(3)
	buffer_store_dword v55, off, s[0:3], 0 offset:108
	s_waitcnt vmcnt(3)
	buffer_store_dword v56, v53, s[0:3], 0 offen
	s_waitcnt vmcnt(3)
	buffer_store_dword v57, v53, s[0:3], 0 offen offset:4
.LBB89_194:
	global_load_dword v0, v0, s[12:13] offset:48
	s_waitcnt vmcnt(0)
	v_add_u32_e32 v0, -1, v0
	v_cmp_eq_u32_e32 vcc, 12, v0
	s_cbranch_vccnz .LBB89_196
; %bb.195:
	v_lshlrev_b32_e32 v0, 3, v0
	buffer_load_dword v53, v0, s[0:3], 0 offen
	buffer_load_dword v54, v0, s[0:3], 0 offen offset:4
	buffer_load_dword v55, off, s[0:3], 0 offset:100
	buffer_load_dword v56, off, s[0:3], 0 offset:96
	s_waitcnt vmcnt(3)
	buffer_store_dword v53, off, s[0:3], 0 offset:96
	s_waitcnt vmcnt(3)
	buffer_store_dword v54, off, s[0:3], 0 offset:100
	s_waitcnt vmcnt(3)
	buffer_store_dword v55, v0, s[0:3], 0 offen offset:4
	s_waitcnt vmcnt(3)
	buffer_store_dword v56, v0, s[0:3], 0 offen
.LBB89_196:
	v_mov_b32_e32 v0, 0
	global_load_dword v53, v0, s[12:13] offset:44
	s_waitcnt vmcnt(0)
	v_add_u32_e32 v53, -1, v53
	v_cmp_eq_u32_e32 vcc, 11, v53
	s_cbranch_vccnz .LBB89_198
; %bb.197:
	v_lshlrev_b32_e32 v53, 3, v53
	buffer_load_dword v54, v53, s[0:3], 0 offen
	buffer_load_dword v55, v53, s[0:3], 0 offen offset:4
	buffer_load_dword v56, off, s[0:3], 0 offset:88
	buffer_load_dword v57, off, s[0:3], 0 offset:92
	s_waitcnt vmcnt(3)
	buffer_store_dword v54, off, s[0:3], 0 offset:88
	s_waitcnt vmcnt(3)
	buffer_store_dword v55, off, s[0:3], 0 offset:92
	s_waitcnt vmcnt(3)
	buffer_store_dword v56, v53, s[0:3], 0 offen
	s_waitcnt vmcnt(3)
	buffer_store_dword v57, v53, s[0:3], 0 offen offset:4
.LBB89_198:
	global_load_dword v0, v0, s[12:13] offset:40
	s_waitcnt vmcnt(0)
	v_add_u32_e32 v0, -1, v0
	v_cmp_eq_u32_e32 vcc, 10, v0
	s_cbranch_vccnz .LBB89_200
; %bb.199:
	v_lshlrev_b32_e32 v0, 3, v0
	buffer_load_dword v53, v0, s[0:3], 0 offen
	buffer_load_dword v54, v0, s[0:3], 0 offen offset:4
	buffer_load_dword v55, off, s[0:3], 0 offset:84
	buffer_load_dword v56, off, s[0:3], 0 offset:80
	s_waitcnt vmcnt(3)
	buffer_store_dword v53, off, s[0:3], 0 offset:80
	s_waitcnt vmcnt(3)
	buffer_store_dword v54, off, s[0:3], 0 offset:84
	s_waitcnt vmcnt(3)
	buffer_store_dword v55, v0, s[0:3], 0 offen offset:4
	s_waitcnt vmcnt(3)
	buffer_store_dword v56, v0, s[0:3], 0 offen
.LBB89_200:
	v_mov_b32_e32 v0, 0
	global_load_dword v53, v0, s[12:13] offset:36
	s_waitcnt vmcnt(0)
	v_add_u32_e32 v53, -1, v53
	v_cmp_eq_u32_e32 vcc, 9, v53
	s_cbranch_vccnz .LBB89_202
; %bb.201:
	v_lshlrev_b32_e32 v53, 3, v53
	buffer_load_dword v54, v53, s[0:3], 0 offen
	buffer_load_dword v55, v53, s[0:3], 0 offen offset:4
	buffer_load_dword v56, off, s[0:3], 0 offset:72
	buffer_load_dword v57, off, s[0:3], 0 offset:76
	s_waitcnt vmcnt(3)
	buffer_store_dword v54, off, s[0:3], 0 offset:72
	s_waitcnt vmcnt(3)
	buffer_store_dword v55, off, s[0:3], 0 offset:76
	s_waitcnt vmcnt(3)
	buffer_store_dword v56, v53, s[0:3], 0 offen
	s_waitcnt vmcnt(3)
	buffer_store_dword v57, v53, s[0:3], 0 offen offset:4
.LBB89_202:
	global_load_dword v0, v0, s[12:13] offset:32
	s_waitcnt vmcnt(0)
	v_add_u32_e32 v0, -1, v0
	v_cmp_eq_u32_e32 vcc, 8, v0
	s_cbranch_vccnz .LBB89_204
; %bb.203:
	v_lshlrev_b32_e32 v0, 3, v0
	buffer_load_dword v53, v0, s[0:3], 0 offen
	buffer_load_dword v54, v0, s[0:3], 0 offen offset:4
	buffer_load_dword v55, off, s[0:3], 0 offset:68
	buffer_load_dword v56, off, s[0:3], 0 offset:64
	s_waitcnt vmcnt(3)
	buffer_store_dword v53, off, s[0:3], 0 offset:64
	s_waitcnt vmcnt(3)
	buffer_store_dword v54, off, s[0:3], 0 offset:68
	s_waitcnt vmcnt(3)
	buffer_store_dword v55, v0, s[0:3], 0 offen offset:4
	s_waitcnt vmcnt(3)
	buffer_store_dword v56, v0, s[0:3], 0 offen
.LBB89_204:
	v_mov_b32_e32 v0, 0
	global_load_dword v53, v0, s[12:13] offset:28
	s_waitcnt vmcnt(0)
	v_add_u32_e32 v53, -1, v53
	v_cmp_eq_u32_e32 vcc, 7, v53
	s_cbranch_vccnz .LBB89_206
; %bb.205:
	v_lshlrev_b32_e32 v53, 3, v53
	buffer_load_dword v54, v53, s[0:3], 0 offen
	buffer_load_dword v55, v53, s[0:3], 0 offen offset:4
	buffer_load_dword v56, off, s[0:3], 0 offset:56
	buffer_load_dword v57, off, s[0:3], 0 offset:60
	s_waitcnt vmcnt(3)
	buffer_store_dword v54, off, s[0:3], 0 offset:56
	s_waitcnt vmcnt(3)
	buffer_store_dword v55, off, s[0:3], 0 offset:60
	s_waitcnt vmcnt(3)
	buffer_store_dword v56, v53, s[0:3], 0 offen
	s_waitcnt vmcnt(3)
	buffer_store_dword v57, v53, s[0:3], 0 offen offset:4
.LBB89_206:
	global_load_dword v0, v0, s[12:13] offset:24
	s_waitcnt vmcnt(0)
	v_add_u32_e32 v0, -1, v0
	v_cmp_eq_u32_e32 vcc, 6, v0
	s_cbranch_vccnz .LBB89_208
; %bb.207:
	v_lshlrev_b32_e32 v0, 3, v0
	buffer_load_dword v53, v0, s[0:3], 0 offen
	buffer_load_dword v54, v0, s[0:3], 0 offen offset:4
	buffer_load_dword v55, off, s[0:3], 0 offset:52
	buffer_load_dword v56, off, s[0:3], 0 offset:48
	s_waitcnt vmcnt(3)
	buffer_store_dword v53, off, s[0:3], 0 offset:48
	s_waitcnt vmcnt(3)
	buffer_store_dword v54, off, s[0:3], 0 offset:52
	s_waitcnt vmcnt(3)
	buffer_store_dword v55, v0, s[0:3], 0 offen offset:4
	s_waitcnt vmcnt(3)
	buffer_store_dword v56, v0, s[0:3], 0 offen
.LBB89_208:
	v_mov_b32_e32 v0, 0
	global_load_dword v53, v0, s[12:13] offset:20
	s_waitcnt vmcnt(0)
	v_add_u32_e32 v53, -1, v53
	v_cmp_eq_u32_e32 vcc, 5, v53
	s_cbranch_vccnz .LBB89_210
; %bb.209:
	v_lshlrev_b32_e32 v53, 3, v53
	buffer_load_dword v54, v53, s[0:3], 0 offen
	buffer_load_dword v55, v53, s[0:3], 0 offen offset:4
	buffer_load_dword v56, off, s[0:3], 0 offset:40
	buffer_load_dword v57, off, s[0:3], 0 offset:44
	s_waitcnt vmcnt(3)
	buffer_store_dword v54, off, s[0:3], 0 offset:40
	s_waitcnt vmcnt(3)
	buffer_store_dword v55, off, s[0:3], 0 offset:44
	s_waitcnt vmcnt(3)
	buffer_store_dword v56, v53, s[0:3], 0 offen
	s_waitcnt vmcnt(3)
	buffer_store_dword v57, v53, s[0:3], 0 offen offset:4
.LBB89_210:
	global_load_dword v0, v0, s[12:13] offset:16
	s_waitcnt vmcnt(0)
	v_add_u32_e32 v0, -1, v0
	v_cmp_eq_u32_e32 vcc, 4, v0
	s_cbranch_vccnz .LBB89_212
; %bb.211:
	v_lshlrev_b32_e32 v0, 3, v0
	buffer_load_dword v53, v0, s[0:3], 0 offen
	buffer_load_dword v54, v0, s[0:3], 0 offen offset:4
	buffer_load_dword v55, off, s[0:3], 0 offset:36
	buffer_load_dword v56, off, s[0:3], 0 offset:32
	s_waitcnt vmcnt(3)
	buffer_store_dword v53, off, s[0:3], 0 offset:32
	s_waitcnt vmcnt(3)
	buffer_store_dword v54, off, s[0:3], 0 offset:36
	s_waitcnt vmcnt(3)
	buffer_store_dword v55, v0, s[0:3], 0 offen offset:4
	s_waitcnt vmcnt(3)
	buffer_store_dword v56, v0, s[0:3], 0 offen
.LBB89_212:
	v_mov_b32_e32 v0, 0
	global_load_dword v53, v0, s[12:13] offset:12
	s_waitcnt vmcnt(0)
	v_add_u32_e32 v53, -1, v53
	v_cmp_eq_u32_e32 vcc, 3, v53
	s_cbranch_vccnz .LBB89_214
; %bb.213:
	v_lshlrev_b32_e32 v53, 3, v53
	buffer_load_dword v54, v53, s[0:3], 0 offen
	buffer_load_dword v55, v53, s[0:3], 0 offen offset:4
	buffer_load_dword v56, off, s[0:3], 0 offset:24
	buffer_load_dword v57, off, s[0:3], 0 offset:28
	s_waitcnt vmcnt(3)
	buffer_store_dword v54, off, s[0:3], 0 offset:24
	s_waitcnt vmcnt(3)
	buffer_store_dword v55, off, s[0:3], 0 offset:28
	s_waitcnt vmcnt(3)
	buffer_store_dword v56, v53, s[0:3], 0 offen
	s_waitcnt vmcnt(3)
	buffer_store_dword v57, v53, s[0:3], 0 offen offset:4
.LBB89_214:
	global_load_dword v0, v0, s[12:13] offset:8
	s_waitcnt vmcnt(0)
	v_add_u32_e32 v0, -1, v0
	v_cmp_eq_u32_e32 vcc, 2, v0
	s_cbranch_vccnz .LBB89_216
; %bb.215:
	v_lshlrev_b32_e32 v0, 3, v0
	buffer_load_dword v53, v0, s[0:3], 0 offen
	buffer_load_dword v54, v0, s[0:3], 0 offen offset:4
	buffer_load_dword v55, off, s[0:3], 0 offset:20
	buffer_load_dword v56, off, s[0:3], 0 offset:16
	s_waitcnt vmcnt(3)
	buffer_store_dword v53, off, s[0:3], 0 offset:16
	s_waitcnt vmcnt(3)
	buffer_store_dword v54, off, s[0:3], 0 offset:20
	s_waitcnt vmcnt(3)
	buffer_store_dword v55, v0, s[0:3], 0 offen offset:4
	s_waitcnt vmcnt(3)
	buffer_store_dword v56, v0, s[0:3], 0 offen
.LBB89_216:
	v_mov_b32_e32 v0, 0
	global_load_dword v53, v0, s[12:13] offset:4
	s_waitcnt vmcnt(0)
	v_add_u32_e32 v53, -1, v53
	v_cmp_eq_u32_e32 vcc, 1, v53
	s_cbranch_vccnz .LBB89_218
; %bb.217:
	v_lshlrev_b32_e32 v53, 3, v53
	buffer_load_dword v54, v53, s[0:3], 0 offen
	buffer_load_dword v55, v53, s[0:3], 0 offen offset:4
	buffer_load_dword v56, off, s[0:3], 0 offset:8
	buffer_load_dword v57, off, s[0:3], 0 offset:12
	s_waitcnt vmcnt(3)
	buffer_store_dword v54, off, s[0:3], 0 offset:8
	s_waitcnt vmcnt(3)
	buffer_store_dword v55, off, s[0:3], 0 offset:12
	s_waitcnt vmcnt(3)
	buffer_store_dword v56, v53, s[0:3], 0 offen
	s_waitcnt vmcnt(3)
	buffer_store_dword v57, v53, s[0:3], 0 offen offset:4
.LBB89_218:
	global_load_dword v0, v0, s[12:13]
	s_waitcnt vmcnt(0)
	v_add_u32_e32 v0, -1, v0
	v_cmp_eq_u32_e32 vcc, 0, v0
	s_cbranch_vccnz .LBB89_220
; %bb.219:
	v_lshlrev_b32_e32 v0, 3, v0
	buffer_load_dword v53, v0, s[0:3], 0 offen
	buffer_load_dword v54, v0, s[0:3], 0 offen offset:4
	buffer_load_dword v55, off, s[0:3], 0 offset:4
	buffer_load_dword v56, off, s[0:3], 0
	s_waitcnt vmcnt(3)
	buffer_store_dword v53, off, s[0:3], 0
	s_waitcnt vmcnt(3)
	buffer_store_dword v54, off, s[0:3], 0 offset:4
	s_waitcnt vmcnt(3)
	buffer_store_dword v55, v0, s[0:3], 0 offen offset:4
	s_waitcnt vmcnt(3)
	buffer_store_dword v56, v0, s[0:3], 0 offen
.LBB89_220:
	buffer_load_dword v53, off, s[0:3], 0
	buffer_load_dword v54, off, s[0:3], 0 offset:4
	s_waitcnt vmcnt(0)
	flat_store_dwordx2 v[1:2], v[53:54]
	buffer_load_dword v0, off, s[0:3], 0 offset:8
	s_nop 0
	buffer_load_dword v1, off, s[0:3], 0 offset:12
	s_waitcnt vmcnt(0)
	flat_store_dwordx2 v[3:4], v[0:1]
	buffer_load_dword v0, off, s[0:3], 0 offset:16
	s_nop 0
	;; [unrolled: 5-line block ×25, first 2 shown]
	buffer_load_dword v1, off, s[0:3], 0 offset:204
	s_waitcnt vmcnt(0)
	flat_store_dwordx2 v[51:52], v[0:1]
	s_endpgm
	.section	.rodata,"a",@progbits
	.p2align	6, 0x0
	.amdhsa_kernel _ZN9rocsolver6v33100L18getri_kernel_smallILi26E19rocblas_complex_numIfEPKPS3_EEvT1_iilPiilS8_bb
		.amdhsa_group_segment_fixed_size 420
		.amdhsa_private_segment_fixed_size 224
		.amdhsa_kernarg_size 60
		.amdhsa_user_sgpr_count 6
		.amdhsa_user_sgpr_private_segment_buffer 1
		.amdhsa_user_sgpr_dispatch_ptr 0
		.amdhsa_user_sgpr_queue_ptr 0
		.amdhsa_user_sgpr_kernarg_segment_ptr 1
		.amdhsa_user_sgpr_dispatch_id 0
		.amdhsa_user_sgpr_flat_scratch_init 0
		.amdhsa_user_sgpr_private_segment_size 0
		.amdhsa_uses_dynamic_stack 0
		.amdhsa_system_sgpr_private_segment_wavefront_offset 1
		.amdhsa_system_sgpr_workgroup_id_x 1
		.amdhsa_system_sgpr_workgroup_id_y 0
		.amdhsa_system_sgpr_workgroup_id_z 0
		.amdhsa_system_sgpr_workgroup_info 0
		.amdhsa_system_vgpr_workitem_id 0
		.amdhsa_next_free_vgpr 157
		.amdhsa_next_free_sgpr 21
		.amdhsa_reserve_vcc 1
		.amdhsa_reserve_flat_scratch 0
		.amdhsa_float_round_mode_32 0
		.amdhsa_float_round_mode_16_64 0
		.amdhsa_float_denorm_mode_32 3
		.amdhsa_float_denorm_mode_16_64 3
		.amdhsa_dx10_clamp 1
		.amdhsa_ieee_mode 1
		.amdhsa_fp16_overflow 0
		.amdhsa_exception_fp_ieee_invalid_op 0
		.amdhsa_exception_fp_denorm_src 0
		.amdhsa_exception_fp_ieee_div_zero 0
		.amdhsa_exception_fp_ieee_overflow 0
		.amdhsa_exception_fp_ieee_underflow 0
		.amdhsa_exception_fp_ieee_inexact 0
		.amdhsa_exception_int_div_zero 0
	.end_amdhsa_kernel
	.section	.text._ZN9rocsolver6v33100L18getri_kernel_smallILi26E19rocblas_complex_numIfEPKPS3_EEvT1_iilPiilS8_bb,"axG",@progbits,_ZN9rocsolver6v33100L18getri_kernel_smallILi26E19rocblas_complex_numIfEPKPS3_EEvT1_iilPiilS8_bb,comdat
.Lfunc_end89:
	.size	_ZN9rocsolver6v33100L18getri_kernel_smallILi26E19rocblas_complex_numIfEPKPS3_EEvT1_iilPiilS8_bb, .Lfunc_end89-_ZN9rocsolver6v33100L18getri_kernel_smallILi26E19rocblas_complex_numIfEPKPS3_EEvT1_iilPiilS8_bb
                                        ; -- End function
	.set _ZN9rocsolver6v33100L18getri_kernel_smallILi26E19rocblas_complex_numIfEPKPS3_EEvT1_iilPiilS8_bb.num_vgpr, 157
	.set _ZN9rocsolver6v33100L18getri_kernel_smallILi26E19rocblas_complex_numIfEPKPS3_EEvT1_iilPiilS8_bb.num_agpr, 0
	.set _ZN9rocsolver6v33100L18getri_kernel_smallILi26E19rocblas_complex_numIfEPKPS3_EEvT1_iilPiilS8_bb.numbered_sgpr, 21
	.set _ZN9rocsolver6v33100L18getri_kernel_smallILi26E19rocblas_complex_numIfEPKPS3_EEvT1_iilPiilS8_bb.num_named_barrier, 0
	.set _ZN9rocsolver6v33100L18getri_kernel_smallILi26E19rocblas_complex_numIfEPKPS3_EEvT1_iilPiilS8_bb.private_seg_size, 224
	.set _ZN9rocsolver6v33100L18getri_kernel_smallILi26E19rocblas_complex_numIfEPKPS3_EEvT1_iilPiilS8_bb.uses_vcc, 1
	.set _ZN9rocsolver6v33100L18getri_kernel_smallILi26E19rocblas_complex_numIfEPKPS3_EEvT1_iilPiilS8_bb.uses_flat_scratch, 0
	.set _ZN9rocsolver6v33100L18getri_kernel_smallILi26E19rocblas_complex_numIfEPKPS3_EEvT1_iilPiilS8_bb.has_dyn_sized_stack, 0
	.set _ZN9rocsolver6v33100L18getri_kernel_smallILi26E19rocblas_complex_numIfEPKPS3_EEvT1_iilPiilS8_bb.has_recursion, 0
	.set _ZN9rocsolver6v33100L18getri_kernel_smallILi26E19rocblas_complex_numIfEPKPS3_EEvT1_iilPiilS8_bb.has_indirect_call, 0
	.section	.AMDGPU.csdata,"",@progbits
; Kernel info:
; codeLenInByte = 32184
; TotalNumSgprs: 25
; NumVgprs: 157
; ScratchSize: 224
; MemoryBound: 0
; FloatMode: 240
; IeeeMode: 1
; LDSByteSize: 420 bytes/workgroup (compile time only)
; SGPRBlocks: 3
; VGPRBlocks: 39
; NumSGPRsForWavesPerEU: 25
; NumVGPRsForWavesPerEU: 157
; Occupancy: 1
; WaveLimiterHint : 1
; COMPUTE_PGM_RSRC2:SCRATCH_EN: 1
; COMPUTE_PGM_RSRC2:USER_SGPR: 6
; COMPUTE_PGM_RSRC2:TRAP_HANDLER: 0
; COMPUTE_PGM_RSRC2:TGID_X_EN: 1
; COMPUTE_PGM_RSRC2:TGID_Y_EN: 0
; COMPUTE_PGM_RSRC2:TGID_Z_EN: 0
; COMPUTE_PGM_RSRC2:TIDIG_COMP_CNT: 0
	.section	.text._ZN9rocsolver6v33100L18getri_kernel_smallILi27E19rocblas_complex_numIfEPKPS3_EEvT1_iilPiilS8_bb,"axG",@progbits,_ZN9rocsolver6v33100L18getri_kernel_smallILi27E19rocblas_complex_numIfEPKPS3_EEvT1_iilPiilS8_bb,comdat
	.globl	_ZN9rocsolver6v33100L18getri_kernel_smallILi27E19rocblas_complex_numIfEPKPS3_EEvT1_iilPiilS8_bb ; -- Begin function _ZN9rocsolver6v33100L18getri_kernel_smallILi27E19rocblas_complex_numIfEPKPS3_EEvT1_iilPiilS8_bb
	.p2align	8
	.type	_ZN9rocsolver6v33100L18getri_kernel_smallILi27E19rocblas_complex_numIfEPKPS3_EEvT1_iilPiilS8_bb,@function
_ZN9rocsolver6v33100L18getri_kernel_smallILi27E19rocblas_complex_numIfEPKPS3_EEvT1_iilPiilS8_bb: ; @_ZN9rocsolver6v33100L18getri_kernel_smallILi27E19rocblas_complex_numIfEPKPS3_EEvT1_iilPiilS8_bb
; %bb.0:
	s_add_u32 s0, s0, s7
	s_addc_u32 s1, s1, 0
	v_cmp_gt_u32_e32 vcc, 27, v0
	s_and_saveexec_b64 s[8:9], vcc
	s_cbranch_execz .LBB90_122
; %bb.1:
	s_load_dword s18, s[4:5], 0x38
	s_load_dwordx2 s[12:13], s[4:5], 0x0
	s_load_dwordx4 s[8:11], s[4:5], 0x28
	s_waitcnt lgkmcnt(0)
	s_bitcmp1_b32 s18, 8
	s_cselect_b64 s[14:15], -1, 0
	s_ashr_i32 s7, s6, 31
	s_lshl_b64 s[16:17], s[6:7], 3
	s_add_u32 s12, s12, s16
	s_addc_u32 s13, s13, s17
	s_load_dwordx2 s[16:17], s[12:13], 0x0
	s_bfe_u32 s12, s18, 0x10008
	s_cmp_eq_u32 s12, 0
                                        ; implicit-def: $sgpr12_sgpr13
	s_cbranch_scc1 .LBB90_3
; %bb.2:
	s_load_dword s12, s[4:5], 0x20
	s_load_dwordx2 s[18:19], s[4:5], 0x18
	s_mul_i32 s13, s8, s7
	s_mul_hi_u32 s20, s8, s6
	s_add_i32 s20, s20, s13
	s_mul_i32 s9, s9, s6
	s_add_i32 s9, s20, s9
	s_mul_i32 s8, s8, s6
	s_waitcnt lgkmcnt(0)
	s_ashr_i32 s13, s12, 31
	s_lshl_b64 s[8:9], s[8:9], 2
	s_add_u32 s18, s18, s8
	s_addc_u32 s19, s19, s9
	s_lshl_b64 s[8:9], s[12:13], 2
	s_add_u32 s12, s18, s8
	s_addc_u32 s13, s19, s9
.LBB90_3:
	s_load_dwordx2 s[8:9], s[4:5], 0x8
	s_load_dword s18, s[4:5], 0x38
	v_lshlrev_b32_e32 v57, 3, v0
	s_waitcnt lgkmcnt(0)
	s_ashr_i32 s5, s8, 31
	s_mov_b32 s4, s8
	s_lshl_b64 s[4:5], s[4:5], 3
	s_add_u32 s4, s16, s4
	s_addc_u32 s5, s17, s5
	v_mov_b32_e32 v2, s5
	v_add_co_u32_e32 v1, vcc, s4, v57
	v_addc_co_u32_e32 v2, vcc, 0, v2, vcc
	flat_load_dwordx2 v[5:6], v[1:2]
	s_mov_b32 s16, s9
	s_ashr_i32 s17, s9, 31
	s_lshl_b64 s[16:17], s[16:17], 3
	v_mov_b32_e32 v4, s17
	v_add_co_u32_e32 v3, vcc, s16, v1
	v_addc_co_u32_e32 v4, vcc, v2, v4, vcc
	s_add_i32 s8, s9, s9
	v_add_u32_e32 v9, s8, v0
	v_ashrrev_i32_e32 v10, 31, v9
	v_mov_b32_e32 v11, s5
	v_add_u32_e32 v12, s9, v9
	v_ashrrev_i32_e32 v13, 31, v12
	v_mov_b32_e32 v14, s5
	v_mov_b32_e32 v15, s5
	;; [unrolled: 1-line block ×23, first 2 shown]
	s_bitcmp0_b32 s18, 0
	s_waitcnt vmcnt(0) lgkmcnt(0)
	buffer_store_dword v6, off, s[0:3], 0 offset:4
	buffer_store_dword v5, off, s[0:3], 0
	flat_load_dwordx2 v[7:8], v[3:4]
	v_lshlrev_b64 v[5:6], 3, v[9:10]
	s_waitcnt vmcnt(0) lgkmcnt(0)
	buffer_store_dword v8, off, s[0:3], 0 offset:12
	buffer_store_dword v7, off, s[0:3], 0 offset:8
	v_add_co_u32_e32 v5, vcc, s4, v5
	v_addc_co_u32_e32 v6, vcc, v11, v6, vcc
	flat_load_dwordx2 v[10:11], v[5:6]
	v_lshlrev_b64 v[7:8], 3, v[12:13]
	s_waitcnt vmcnt(0) lgkmcnt(0)
	buffer_store_dword v11, off, s[0:3], 0 offset:20
	buffer_store_dword v10, off, s[0:3], 0 offset:16
	v_add_co_u32_e32 v7, vcc, s4, v7
	v_addc_co_u32_e32 v8, vcc, v14, v8, vcc
	flat_load_dwordx2 v[13:14], v[7:8]
	v_add_u32_e32 v11, s9, v12
	v_ashrrev_i32_e32 v12, 31, v11
	v_lshlrev_b64 v[9:10], 3, v[11:12]
	s_waitcnt vmcnt(0) lgkmcnt(0)
	buffer_store_dword v14, off, s[0:3], 0 offset:28
	buffer_store_dword v13, off, s[0:3], 0 offset:24
	v_add_co_u32_e32 v9, vcc, s4, v9
	v_addc_co_u32_e32 v10, vcc, v15, v10, vcc
	flat_load_dwordx2 v[13:14], v[9:10]
	v_add_u32_e32 v15, s9, v11
	v_ashrrev_i32_e32 v16, 31, v15
	v_lshlrev_b64 v[11:12], 3, v[15:16]
	v_add_u32_e32 v18, s9, v15
	v_add_co_u32_e32 v11, vcc, s4, v11
	v_addc_co_u32_e32 v12, vcc, v17, v12, vcc
	v_ashrrev_i32_e32 v19, 31, v18
	s_waitcnt vmcnt(0) lgkmcnt(0)
	buffer_store_dword v14, off, s[0:3], 0 offset:36
	buffer_store_dword v13, off, s[0:3], 0 offset:32
	flat_load_dwordx2 v[16:17], v[11:12]
	v_lshlrev_b64 v[13:14], 3, v[18:19]
	s_waitcnt vmcnt(0) lgkmcnt(0)
	buffer_store_dword v17, off, s[0:3], 0 offset:44
	buffer_store_dword v16, off, s[0:3], 0 offset:40
	v_add_co_u32_e32 v13, vcc, s4, v13
	v_addc_co_u32_e32 v14, vcc, v20, v14, vcc
	flat_load_dwordx2 v[19:20], v[13:14]
	v_add_u32_e32 v17, s9, v18
	v_ashrrev_i32_e32 v18, 31, v17
	v_lshlrev_b64 v[15:16], 3, v[17:18]
	s_waitcnt vmcnt(0) lgkmcnt(0)
	buffer_store_dword v20, off, s[0:3], 0 offset:52
	buffer_store_dword v19, off, s[0:3], 0 offset:48
	v_add_co_u32_e32 v15, vcc, s4, v15
	v_addc_co_u32_e32 v16, vcc, v21, v16, vcc
	flat_load_dwordx2 v[19:20], v[15:16]
	v_add_u32_e32 v21, s9, v17
	v_ashrrev_i32_e32 v22, 31, v21
	v_lshlrev_b64 v[17:18], 3, v[21:22]
	v_add_u32_e32 v24, s9, v21
	v_add_co_u32_e32 v17, vcc, s4, v17
	v_addc_co_u32_e32 v18, vcc, v23, v18, vcc
	v_ashrrev_i32_e32 v25, 31, v24
	s_waitcnt vmcnt(0) lgkmcnt(0)
	buffer_store_dword v20, off, s[0:3], 0 offset:60
	buffer_store_dword v19, off, s[0:3], 0 offset:56
	;; [unrolled: 27-line block ×7, first 2 shown]
	flat_load_dwordx2 v[52:53], v[47:48]
	v_lshlrev_b64 v[49:50], 3, v[54:55]
	s_waitcnt vmcnt(0) lgkmcnt(0)
	buffer_store_dword v53, off, s[0:3], 0 offset:188
	buffer_store_dword v52, off, s[0:3], 0 offset:184
	v_add_co_u32_e32 v49, vcc, s4, v49
	v_addc_co_u32_e32 v50, vcc, v56, v50, vcc
	flat_load_dwordx2 v[55:56], v[49:50]
	v_add_u32_e32 v53, s9, v54
	v_ashrrev_i32_e32 v54, 31, v53
	v_lshlrev_b64 v[51:52], 3, v[53:54]
	v_add_u32_e32 v53, s9, v53
	v_add_co_u32_e32 v51, vcc, s4, v51
	v_addc_co_u32_e32 v52, vcc, v58, v52, vcc
	v_ashrrev_i32_e32 v54, 31, v53
	v_lshlrev_b64 v[53:54], 3, v[53:54]
	s_mov_b64 s[8:9], -1
	s_waitcnt vmcnt(0) lgkmcnt(0)
	buffer_store_dword v56, off, s[0:3], 0 offset:196
	buffer_store_dword v55, off, s[0:3], 0 offset:192
	flat_load_dwordx2 v[55:56], v[51:52]
	v_add_co_u32_e32 v53, vcc, s4, v53
	v_addc_co_u32_e32 v54, vcc, v58, v54, vcc
	s_waitcnt vmcnt(0) lgkmcnt(0)
	buffer_store_dword v56, off, s[0:3], 0 offset:204
	buffer_store_dword v55, off, s[0:3], 0 offset:200
	flat_load_dwordx2 v[55:56], v[53:54]
	s_waitcnt vmcnt(0) lgkmcnt(0)
	buffer_store_dword v56, off, s[0:3], 0 offset:212
	buffer_store_dword v55, off, s[0:3], 0 offset:208
	s_cbranch_scc1 .LBB90_120
; %bb.4:
	v_cmp_eq_u32_e64 s[4:5], 0, v0
	s_and_saveexec_b64 s[8:9], s[4:5]
; %bb.5:
	v_mov_b32_e32 v55, 0
	ds_write_b32 v55, v55 offset:216
; %bb.6:
	s_or_b64 exec, exec, s[8:9]
	v_mov_b32_e32 v55, 0
	v_lshl_add_u32 v59, v0, 3, v55
	s_waitcnt lgkmcnt(0)
	; wave barrier
	buffer_load_dword v55, v59, s[0:3], 0 offen
	buffer_load_dword v56, v59, s[0:3], 0 offen offset:4
	s_waitcnt vmcnt(1)
	v_cmp_eq_f32_e32 vcc, 0, v55
	s_waitcnt vmcnt(0)
	v_cmp_eq_f32_e64 s[8:9], 0, v56
	s_and_b64 s[8:9], vcc, s[8:9]
	s_and_saveexec_b64 s[16:17], s[8:9]
	s_cbranch_execz .LBB90_10
; %bb.7:
	v_mov_b32_e32 v55, 0
	ds_read_b32 v58, v55 offset:216
	v_add_u32_e32 v56, 1, v0
	s_waitcnt lgkmcnt(0)
	v_readfirstlane_b32 s8, v58
	s_cmp_eq_u32 s8, 0
	s_cselect_b64 s[18:19], -1, 0
	v_cmp_gt_i32_e32 vcc, s8, v56
	s_or_b64 s[18:19], s[18:19], vcc
	s_and_b64 exec, exec, s[18:19]
	s_cbranch_execz .LBB90_10
; %bb.8:
	s_mov_b64 s[18:19], 0
	v_mov_b32_e32 v58, s8
.LBB90_9:                               ; =>This Inner Loop Header: Depth=1
	ds_cmpst_rtn_b32 v58, v55, v58, v56 offset:216
	s_waitcnt lgkmcnt(0)
	v_cmp_ne_u32_e32 vcc, 0, v58
	v_cmp_le_i32_e64 s[8:9], v58, v56
	s_and_b64 s[8:9], vcc, s[8:9]
	s_and_b64 s[8:9], exec, s[8:9]
	s_or_b64 s[18:19], s[8:9], s[18:19]
	s_andn2_b64 exec, exec, s[18:19]
	s_cbranch_execnz .LBB90_9
.LBB90_10:
	s_or_b64 exec, exec, s[16:17]
	v_mov_b32_e32 v56, 0
	; wave barrier
	ds_read_b32 v55, v56 offset:216
	s_and_saveexec_b64 s[8:9], s[4:5]
	s_cbranch_execz .LBB90_12
; %bb.11:
	s_lshl_b64 s[16:17], s[6:7], 2
	s_add_u32 s16, s10, s16
	s_addc_u32 s17, s11, s17
	s_waitcnt lgkmcnt(0)
	global_store_dword v56, v55, s[16:17]
.LBB90_12:
	s_or_b64 exec, exec, s[8:9]
	s_waitcnt lgkmcnt(0)
	v_cmp_ne_u32_e32 vcc, 0, v55
	s_mov_b64 s[8:9], 0
	s_cbranch_vccnz .LBB90_120
; %bb.13:
	buffer_load_dword v56, v59, s[0:3], 0 offen
	buffer_load_dword v58, v59, s[0:3], 0 offen offset:4
                                        ; implicit-def: $vgpr61
                                        ; implicit-def: $vgpr60
                                        ; implicit-def: $vgpr55
	s_waitcnt vmcnt(0)
	v_cmp_ngt_f32_e64 s[8:9], |v56|, |v58|
	s_and_saveexec_b64 s[16:17], s[8:9]
	s_xor_b64 s[8:9], exec, s[16:17]
	s_cbranch_execz .LBB90_15
; %bb.14:
	v_div_scale_f32 v55, s[16:17], v58, v58, v56
	v_div_scale_f32 v60, vcc, v56, v58, v56
	v_rcp_f32_e32 v61, v55
	v_fma_f32 v62, -v55, v61, 1.0
	v_fmac_f32_e32 v61, v62, v61
	v_mul_f32_e32 v62, v60, v61
	v_fma_f32 v63, -v55, v62, v60
	v_fmac_f32_e32 v62, v63, v61
	v_fma_f32 v55, -v55, v62, v60
	v_div_fmas_f32 v55, v55, v61, v62
	v_div_fixup_f32 v55, v55, v58, v56
	v_fmac_f32_e32 v58, v56, v55
	v_div_scale_f32 v56, s[16:17], v58, v58, 1.0
	v_div_scale_f32 v60, vcc, 1.0, v58, 1.0
	v_rcp_f32_e32 v61, v56
	v_fma_f32 v62, -v56, v61, 1.0
	v_fmac_f32_e32 v61, v62, v61
	v_mul_f32_e32 v62, v60, v61
	v_fma_f32 v63, -v56, v62, v60
	v_fmac_f32_e32 v62, v63, v61
	v_fma_f32 v56, -v56, v62, v60
	v_div_fmas_f32 v56, v56, v61, v62
	v_div_fixup_f32 v56, v56, v58, 1.0
	v_mul_f32_e32 v61, v55, v56
	v_xor_b32_e32 v60, 0x80000000, v56
	v_xor_b32_e32 v55, 0x80000000, v61
                                        ; implicit-def: $vgpr56
                                        ; implicit-def: $vgpr58
.LBB90_15:
	s_andn2_saveexec_b64 s[8:9], s[8:9]
	s_cbranch_execz .LBB90_17
; %bb.16:
	v_div_scale_f32 v55, s[16:17], v56, v56, v58
	v_div_scale_f32 v60, vcc, v58, v56, v58
	v_rcp_f32_e32 v61, v55
	v_fma_f32 v62, -v55, v61, 1.0
	v_fmac_f32_e32 v61, v62, v61
	v_mul_f32_e32 v62, v60, v61
	v_fma_f32 v63, -v55, v62, v60
	v_fmac_f32_e32 v62, v63, v61
	v_fma_f32 v55, -v55, v62, v60
	v_div_fmas_f32 v55, v55, v61, v62
	v_div_fixup_f32 v60, v55, v56, v58
	v_fmac_f32_e32 v56, v58, v60
	v_div_scale_f32 v55, s[16:17], v56, v56, 1.0
	v_div_scale_f32 v58, vcc, 1.0, v56, 1.0
	v_rcp_f32_e32 v61, v55
	v_fma_f32 v62, -v55, v61, 1.0
	v_fmac_f32_e32 v61, v62, v61
	v_mul_f32_e32 v62, v58, v61
	v_fma_f32 v63, -v55, v62, v58
	v_fmac_f32_e32 v62, v63, v61
	v_fma_f32 v55, -v55, v62, v58
	v_div_fmas_f32 v55, v55, v61, v62
	v_div_fixup_f32 v61, v55, v56, 1.0
	v_xor_b32_e32 v55, 0x80000000, v61
	v_mul_f32_e64 v60, v60, -v61
.LBB90_17:
	s_or_b64 exec, exec, s[8:9]
	buffer_store_dword v61, v59, s[0:3], 0 offen
	buffer_store_dword v60, v59, s[0:3], 0 offen offset:4
	buffer_load_dword v62, off, s[0:3], 0 offset:12
	s_nop 0
	buffer_load_dword v61, off, s[0:3], 0 offset:8
	v_xor_b32_e32 v56, 0x80000000, v60
	v_add_u32_e32 v58, 0xe0, v57
	s_waitcnt vmcnt(0)
	ds_write2_b64 v57, v[55:56], v[61:62] offset1:28
	s_waitcnt lgkmcnt(0)
	; wave barrier
	s_and_saveexec_b64 s[8:9], s[4:5]
	s_cbranch_execz .LBB90_19
; %bb.18:
	buffer_load_dword v60, v59, s[0:3], 0 offen
	buffer_load_dword v61, v59, s[0:3], 0 offen offset:4
	ds_read_b64 v[55:56], v58
	s_waitcnt vmcnt(0) lgkmcnt(0)
	v_mul_f32_e32 v62, v56, v61
	v_fma_f32 v62, v55, v60, -v62
	v_mul_f32_e32 v55, v55, v61
	v_fmac_f32_e32 v55, v56, v60
	v_add_f32_e32 v61, 0, v55
	v_mov_b32_e32 v55, 0
	ds_read_b64 v[55:56], v55 offset:8
	v_add_f32_e32 v60, 0, v62
	s_waitcnt lgkmcnt(0)
	v_mul_f32_e32 v62, v61, v56
	v_fma_f32 v62, v60, v55, -v62
	v_mul_f32_e32 v56, v60, v56
	v_fmac_f32_e32 v56, v61, v55
	buffer_store_dword v62, off, s[0:3], 0 offset:8
	buffer_store_dword v56, off, s[0:3], 0 offset:12
.LBB90_19:
	s_or_b64 exec, exec, s[8:9]
	; wave barrier
	buffer_load_dword v55, off, s[0:3], 0 offset:16
	buffer_load_dword v56, off, s[0:3], 0 offset:20
	v_cmp_gt_u32_e32 vcc, 2, v0
	s_waitcnt vmcnt(0)
	ds_write_b64 v58, v[55:56]
	s_waitcnt lgkmcnt(0)
	; wave barrier
	s_and_saveexec_b64 s[8:9], vcc
	s_cbranch_execz .LBB90_23
; %bb.20:
	buffer_load_dword v60, v59, s[0:3], 0 offen offset:4
	buffer_load_dword v61, v59, s[0:3], 0 offen
	ds_read_b64 v[55:56], v58
	s_waitcnt vmcnt(1) lgkmcnt(0)
	v_mul_f32_e32 v59, v56, v60
	v_mul_f32_e32 v60, v55, v60
	s_waitcnt vmcnt(0)
	v_fma_f32 v55, v55, v61, -v59
	v_fmac_f32_e32 v60, v56, v61
	v_add_f32_e32 v56, 0, v55
	v_add_f32_e32 v55, 0, v60
	s_and_saveexec_b64 s[16:17], s[4:5]
	s_cbranch_execz .LBB90_22
; %bb.21:
	v_mov_b32_e32 v59, 0
	ds_read_b64 v[59:60], v59 offset:232
	buffer_load_dword v61, off, s[0:3], 0 offset:8
	buffer_load_dword v62, off, s[0:3], 0 offset:12
	s_waitcnt vmcnt(0) lgkmcnt(0)
	v_mul_f32_e32 v63, v59, v62
	v_fmac_f32_e32 v63, v60, v61
	v_mul_f32_e32 v60, v60, v62
	v_fma_f32 v59, v59, v61, -v60
	v_add_f32_e32 v55, v55, v63
	v_add_f32_e32 v56, v56, v59
.LBB90_22:
	s_or_b64 exec, exec, s[16:17]
	v_mov_b32_e32 v59, 0
	ds_read_b64 v[59:60], v59 offset:16
	s_waitcnt lgkmcnt(0)
	v_mul_f32_e32 v61, v55, v60
	v_mul_f32_e32 v60, v56, v60
	v_fma_f32 v56, v56, v59, -v61
	v_fmac_f32_e32 v60, v55, v59
	buffer_store_dword v56, off, s[0:3], 0 offset:16
	buffer_store_dword v60, off, s[0:3], 0 offset:20
.LBB90_23:
	s_or_b64 exec, exec, s[8:9]
	; wave barrier
	buffer_load_dword v55, off, s[0:3], 0 offset:24
	buffer_load_dword v56, off, s[0:3], 0 offset:28
	v_cmp_gt_u32_e32 vcc, 3, v0
	s_waitcnt vmcnt(0)
	ds_write_b64 v58, v[55:56]
	v_add_u32_e32 v55, -1, v0
	s_waitcnt lgkmcnt(0)
	; wave barrier
	s_and_saveexec_b64 s[4:5], vcc
	s_cbranch_execz .LBB90_27
; %bb.24:
	v_add_u32_e32 v59, -1, v0
	v_add_u32_e32 v60, 0xe0, v57
	v_mov_b32_e32 v61, v57
	v_mov_b32_e32 v56, 0
	s_mov_b64 s[8:9], 0
	v_mov_b32_e32 v62, 0
.LBB90_25:                              ; =>This Inner Loop Header: Depth=1
	buffer_load_dword v65, v61, s[0:3], 0 offen offset:4
	buffer_load_dword v66, v61, s[0:3], 0 offen
	ds_read_b64 v[63:64], v60
	v_add_u32_e32 v59, 1, v59
	v_cmp_lt_u32_e32 vcc, 1, v59
	v_add_u32_e32 v60, 8, v60
	v_add_u32_e32 v61, 8, v61
	s_or_b64 s[8:9], vcc, s[8:9]
	s_waitcnt vmcnt(1) lgkmcnt(0)
	v_mul_f32_e32 v67, v64, v65
	v_mul_f32_e32 v65, v63, v65
	s_waitcnt vmcnt(0)
	v_fma_f32 v63, v63, v66, -v67
	v_fmac_f32_e32 v65, v64, v66
	v_add_f32_e32 v62, v62, v63
	v_add_f32_e32 v56, v56, v65
	s_andn2_b64 exec, exec, s[8:9]
	s_cbranch_execnz .LBB90_25
; %bb.26:
	s_or_b64 exec, exec, s[8:9]
	v_mov_b32_e32 v59, 0
	ds_read_b64 v[59:60], v59 offset:24
	s_waitcnt lgkmcnt(0)
	v_mul_f32_e32 v61, v56, v60
	v_mul_f32_e32 v60, v62, v60
	v_fma_f32 v61, v62, v59, -v61
	v_fmac_f32_e32 v60, v56, v59
	buffer_store_dword v61, off, s[0:3], 0 offset:24
	buffer_store_dword v60, off, s[0:3], 0 offset:28
.LBB90_27:
	s_or_b64 exec, exec, s[4:5]
	; wave barrier
	buffer_load_dword v59, off, s[0:3], 0 offset:32
	buffer_load_dword v60, off, s[0:3], 0 offset:36
	v_cmp_gt_u32_e32 vcc, 4, v0
	s_waitcnt vmcnt(0)
	ds_write_b64 v58, v[59:60]
	s_waitcnt lgkmcnt(0)
	; wave barrier
	s_and_saveexec_b64 s[4:5], vcc
	s_cbranch_execz .LBB90_31
; %bb.28:
	v_add_u32_e32 v59, -1, v0
	v_add_u32_e32 v60, 0xe0, v57
	v_mov_b32_e32 v61, v57
	v_mov_b32_e32 v56, 0
	s_mov_b64 s[8:9], 0
	v_mov_b32_e32 v62, 0
.LBB90_29:                              ; =>This Inner Loop Header: Depth=1
	buffer_load_dword v65, v61, s[0:3], 0 offen offset:4
	buffer_load_dword v66, v61, s[0:3], 0 offen
	ds_read_b64 v[63:64], v60
	v_add_u32_e32 v59, 1, v59
	v_cmp_lt_u32_e32 vcc, 2, v59
	v_add_u32_e32 v60, 8, v60
	v_add_u32_e32 v61, 8, v61
	s_or_b64 s[8:9], vcc, s[8:9]
	s_waitcnt vmcnt(1) lgkmcnt(0)
	v_mul_f32_e32 v67, v64, v65
	v_mul_f32_e32 v65, v63, v65
	s_waitcnt vmcnt(0)
	v_fma_f32 v63, v63, v66, -v67
	v_fmac_f32_e32 v65, v64, v66
	v_add_f32_e32 v62, v62, v63
	v_add_f32_e32 v56, v56, v65
	s_andn2_b64 exec, exec, s[8:9]
	s_cbranch_execnz .LBB90_29
; %bb.30:
	s_or_b64 exec, exec, s[8:9]
	v_mov_b32_e32 v59, 0
	ds_read_b64 v[59:60], v59 offset:32
	s_waitcnt lgkmcnt(0)
	v_mul_f32_e32 v61, v56, v60
	v_mul_f32_e32 v60, v62, v60
	v_fma_f32 v61, v62, v59, -v61
	v_fmac_f32_e32 v60, v56, v59
	buffer_store_dword v61, off, s[0:3], 0 offset:32
	buffer_store_dword v60, off, s[0:3], 0 offset:36
.LBB90_31:
	s_or_b64 exec, exec, s[4:5]
	; wave barrier
	buffer_load_dword v59, off, s[0:3], 0 offset:40
	buffer_load_dword v60, off, s[0:3], 0 offset:44
	v_cmp_gt_u32_e32 vcc, 5, v0
	s_waitcnt vmcnt(0)
	ds_write_b64 v58, v[59:60]
	;; [unrolled: 49-line block ×19, first 2 shown]
	s_waitcnt lgkmcnt(0)
	; wave barrier
	s_and_saveexec_b64 s[4:5], vcc
	s_cbranch_execz .LBB90_103
; %bb.100:
	v_add_u32_e32 v59, -1, v0
	v_add_u32_e32 v60, 0xe0, v57
	v_mov_b32_e32 v61, v57
	v_mov_b32_e32 v56, 0
	s_mov_b64 s[8:9], 0
	v_mov_b32_e32 v62, 0
.LBB90_101:                             ; =>This Inner Loop Header: Depth=1
	buffer_load_dword v65, v61, s[0:3], 0 offen offset:4
	buffer_load_dword v66, v61, s[0:3], 0 offen
	ds_read_b64 v[63:64], v60
	v_add_u32_e32 v59, 1, v59
	v_cmp_lt_u32_e32 vcc, 20, v59
	v_add_u32_e32 v60, 8, v60
	v_add_u32_e32 v61, 8, v61
	s_or_b64 s[8:9], vcc, s[8:9]
	s_waitcnt vmcnt(1) lgkmcnt(0)
	v_mul_f32_e32 v67, v64, v65
	v_mul_f32_e32 v65, v63, v65
	s_waitcnt vmcnt(0)
	v_fma_f32 v63, v63, v66, -v67
	v_fmac_f32_e32 v65, v64, v66
	v_add_f32_e32 v62, v62, v63
	v_add_f32_e32 v56, v56, v65
	s_andn2_b64 exec, exec, s[8:9]
	s_cbranch_execnz .LBB90_101
; %bb.102:
	s_or_b64 exec, exec, s[8:9]
	v_mov_b32_e32 v59, 0
	ds_read_b64 v[59:60], v59 offset:176
	s_waitcnt lgkmcnt(0)
	v_mul_f32_e32 v61, v56, v60
	v_mul_f32_e32 v60, v62, v60
	v_fma_f32 v61, v62, v59, -v61
	v_fmac_f32_e32 v60, v56, v59
	buffer_store_dword v61, off, s[0:3], 0 offset:176
	buffer_store_dword v60, off, s[0:3], 0 offset:180
.LBB90_103:
	s_or_b64 exec, exec, s[4:5]
	; wave barrier
	buffer_load_dword v59, off, s[0:3], 0 offset:184
	buffer_load_dword v60, off, s[0:3], 0 offset:188
	v_cmp_gt_u32_e32 vcc, 23, v0
	s_waitcnt vmcnt(0)
	ds_write_b64 v58, v[59:60]
	s_waitcnt lgkmcnt(0)
	; wave barrier
	s_and_saveexec_b64 s[4:5], vcc
	s_cbranch_execz .LBB90_107
; %bb.104:
	v_add_u32_e32 v59, -1, v0
	v_add_u32_e32 v60, 0xe0, v57
	v_mov_b32_e32 v61, v57
	v_mov_b32_e32 v56, 0
	s_mov_b64 s[8:9], 0
	v_mov_b32_e32 v62, 0
.LBB90_105:                             ; =>This Inner Loop Header: Depth=1
	buffer_load_dword v65, v61, s[0:3], 0 offen offset:4
	buffer_load_dword v66, v61, s[0:3], 0 offen
	ds_read_b64 v[63:64], v60
	v_add_u32_e32 v59, 1, v59
	v_cmp_lt_u32_e32 vcc, 21, v59
	v_add_u32_e32 v60, 8, v60
	v_add_u32_e32 v61, 8, v61
	s_or_b64 s[8:9], vcc, s[8:9]
	s_waitcnt vmcnt(1) lgkmcnt(0)
	v_mul_f32_e32 v67, v64, v65
	v_mul_f32_e32 v65, v63, v65
	s_waitcnt vmcnt(0)
	v_fma_f32 v63, v63, v66, -v67
	v_fmac_f32_e32 v65, v64, v66
	v_add_f32_e32 v62, v62, v63
	v_add_f32_e32 v56, v56, v65
	s_andn2_b64 exec, exec, s[8:9]
	s_cbranch_execnz .LBB90_105
; %bb.106:
	s_or_b64 exec, exec, s[8:9]
	v_mov_b32_e32 v59, 0
	ds_read_b64 v[59:60], v59 offset:184
	s_waitcnt lgkmcnt(0)
	v_mul_f32_e32 v61, v56, v60
	v_mul_f32_e32 v60, v62, v60
	v_fma_f32 v61, v62, v59, -v61
	v_fmac_f32_e32 v60, v56, v59
	buffer_store_dword v61, off, s[0:3], 0 offset:184
	buffer_store_dword v60, off, s[0:3], 0 offset:188
.LBB90_107:
	s_or_b64 exec, exec, s[4:5]
	; wave barrier
	buffer_load_dword v59, off, s[0:3], 0 offset:192
	buffer_load_dword v60, off, s[0:3], 0 offset:196
	v_cmp_gt_u32_e32 vcc, 24, v0
	s_waitcnt vmcnt(0)
	ds_write_b64 v58, v[59:60]
	;; [unrolled: 49-line block ×3, first 2 shown]
	s_waitcnt lgkmcnt(0)
	; wave barrier
	s_and_saveexec_b64 s[4:5], vcc
	s_cbranch_execz .LBB90_115
; %bb.112:
	v_add_u32_e32 v59, -1, v0
	v_add_u32_e32 v60, 0xe0, v57
	v_mov_b32_e32 v61, v57
	v_mov_b32_e32 v56, 0
	s_mov_b64 s[8:9], 0
	v_mov_b32_e32 v62, 0
.LBB90_113:                             ; =>This Inner Loop Header: Depth=1
	buffer_load_dword v65, v61, s[0:3], 0 offen offset:4
	buffer_load_dword v66, v61, s[0:3], 0 offen
	ds_read_b64 v[63:64], v60
	v_add_u32_e32 v59, 1, v59
	v_cmp_lt_u32_e32 vcc, 23, v59
	v_add_u32_e32 v60, 8, v60
	v_add_u32_e32 v61, 8, v61
	s_or_b64 s[8:9], vcc, s[8:9]
	s_waitcnt vmcnt(1) lgkmcnt(0)
	v_mul_f32_e32 v67, v64, v65
	v_mul_f32_e32 v65, v63, v65
	s_waitcnt vmcnt(0)
	v_fma_f32 v63, v63, v66, -v67
	v_fmac_f32_e32 v65, v64, v66
	v_add_f32_e32 v62, v62, v63
	v_add_f32_e32 v56, v56, v65
	s_andn2_b64 exec, exec, s[8:9]
	s_cbranch_execnz .LBB90_113
; %bb.114:
	s_or_b64 exec, exec, s[8:9]
	v_mov_b32_e32 v59, 0
	ds_read_b64 v[59:60], v59 offset:200
	s_waitcnt lgkmcnt(0)
	v_mul_f32_e32 v61, v56, v60
	v_mul_f32_e32 v60, v62, v60
	v_fma_f32 v61, v62, v59, -v61
	v_fmac_f32_e32 v60, v56, v59
	buffer_store_dword v61, off, s[0:3], 0 offset:200
	buffer_store_dword v60, off, s[0:3], 0 offset:204
.LBB90_115:
	s_or_b64 exec, exec, s[4:5]
	; wave barrier
	buffer_load_dword v59, off, s[0:3], 0 offset:208
	buffer_load_dword v60, off, s[0:3], 0 offset:212
	v_cmp_ne_u32_e32 vcc, 26, v0
	s_waitcnt vmcnt(0)
	ds_write_b64 v58, v[59:60]
	s_waitcnt lgkmcnt(0)
	; wave barrier
	s_and_saveexec_b64 s[4:5], vcc
	s_cbranch_execz .LBB90_119
; %bb.116:
	v_add_u32_e32 v58, 0xe0, v57
	v_mov_b32_e32 v56, 0
	s_mov_b64 s[8:9], 0
	v_mov_b32_e32 v59, 0
.LBB90_117:                             ; =>This Inner Loop Header: Depth=1
	buffer_load_dword v62, v57, s[0:3], 0 offen offset:4
	buffer_load_dword v63, v57, s[0:3], 0 offen
	ds_read_b64 v[60:61], v58
	v_add_u32_e32 v55, 1, v55
	v_cmp_lt_u32_e32 vcc, 24, v55
	v_add_u32_e32 v58, 8, v58
	v_add_u32_e32 v57, 8, v57
	s_or_b64 s[8:9], vcc, s[8:9]
	s_waitcnt vmcnt(1) lgkmcnt(0)
	v_mul_f32_e32 v64, v61, v62
	v_mul_f32_e32 v62, v60, v62
	s_waitcnt vmcnt(0)
	v_fma_f32 v60, v60, v63, -v64
	v_fmac_f32_e32 v62, v61, v63
	v_add_f32_e32 v59, v59, v60
	v_add_f32_e32 v56, v56, v62
	s_andn2_b64 exec, exec, s[8:9]
	s_cbranch_execnz .LBB90_117
; %bb.118:
	s_or_b64 exec, exec, s[8:9]
	v_mov_b32_e32 v55, 0
	ds_read_b64 v[57:58], v55 offset:208
	s_waitcnt lgkmcnt(0)
	v_mul_f32_e32 v55, v56, v58
	v_mul_f32_e32 v58, v59, v58
	v_fma_f32 v55, v59, v57, -v55
	v_fmac_f32_e32 v58, v56, v57
	buffer_store_dword v55, off, s[0:3], 0 offset:208
	buffer_store_dword v58, off, s[0:3], 0 offset:212
.LBB90_119:
	s_or_b64 exec, exec, s[4:5]
	s_mov_b64 s[8:9], -1
	; wave barrier
.LBB90_120:
	s_and_b64 vcc, exec, s[8:9]
	s_cbranch_vccz .LBB90_122
; %bb.121:
	s_lshl_b64 s[4:5], s[6:7], 2
	s_add_u32 s4, s10, s4
	s_addc_u32 s5, s11, s5
	v_mov_b32_e32 v55, 0
	global_load_dword v55, v55, s[4:5]
	s_waitcnt vmcnt(0)
	v_cmp_ne_u32_e32 vcc, 0, v55
	s_cbranch_vccz .LBB90_123
.LBB90_122:
	s_endpgm
.LBB90_123:
	v_mov_b32_e32 v55, 0xe0
	v_lshl_add_u32 v55, v0, 3, v55
	v_cmp_eq_u32_e32 vcc, 26, v0
	s_and_saveexec_b64 s[4:5], vcc
	s_cbranch_execz .LBB90_125
; %bb.124:
	buffer_load_dword v56, off, s[0:3], 0 offset:200
	buffer_load_dword v57, off, s[0:3], 0 offset:204
	v_mov_b32_e32 v58, 0
	buffer_store_dword v58, off, s[0:3], 0 offset:200
	buffer_store_dword v58, off, s[0:3], 0 offset:204
	s_waitcnt vmcnt(2)
	ds_write_b64 v55, v[56:57]
.LBB90_125:
	s_or_b64 exec, exec, s[4:5]
	s_waitcnt lgkmcnt(0)
	; wave barrier
	buffer_load_dword v59, off, s[0:3], 0 offset:212
	buffer_load_dword v60, off, s[0:3], 0 offset:208
	;; [unrolled: 1-line block ×4, first 2 shown]
	v_mov_b32_e32 v56, 0
	ds_read_b64 v[57:58], v56 offset:432
	v_cmp_lt_u32_e32 vcc, 24, v0
	s_waitcnt vmcnt(3) lgkmcnt(0)
	v_mul_f32_e32 v63, v57, v59
	v_mul_f32_e32 v59, v58, v59
	s_waitcnt vmcnt(2)
	v_fma_f32 v57, v57, v60, -v59
	v_fmac_f32_e32 v63, v58, v60
	v_add_f32_e32 v57, 0, v57
	v_add_f32_e32 v58, 0, v63
	s_waitcnt vmcnt(1)
	v_sub_f32_e32 v57, v61, v57
	s_waitcnt vmcnt(0)
	v_sub_f32_e32 v58, v62, v58
	buffer_store_dword v57, off, s[0:3], 0 offset:200
	buffer_store_dword v58, off, s[0:3], 0 offset:204
	s_and_saveexec_b64 s[4:5], vcc
	s_cbranch_execz .LBB90_127
; %bb.126:
	buffer_load_dword v57, off, s[0:3], 0 offset:192
	buffer_load_dword v58, off, s[0:3], 0 offset:196
	s_waitcnt vmcnt(0)
	ds_write_b64 v55, v[57:58]
	buffer_store_dword v56, off, s[0:3], 0 offset:192
	buffer_store_dword v56, off, s[0:3], 0 offset:196
.LBB90_127:
	s_or_b64 exec, exec, s[4:5]
	s_waitcnt lgkmcnt(0)
	; wave barrier
	buffer_load_dword v60, off, s[0:3], 0 offset:204
	buffer_load_dword v61, off, s[0:3], 0 offset:212
	buffer_load_dword v62, off, s[0:3], 0 offset:200
	buffer_load_dword v63, off, s[0:3], 0 offset:208
	buffer_load_dword v64, off, s[0:3], 0 offset:192
	buffer_load_dword v65, off, s[0:3], 0 offset:196
	ds_read2_b64 v[56:59], v56 offset0:53 offset1:54
	v_cmp_lt_u32_e32 vcc, 23, v0
	s_waitcnt vmcnt(5) lgkmcnt(0)
	v_mul_f32_e32 v66, v56, v60
	v_mul_f32_e32 v60, v57, v60
	s_waitcnt vmcnt(4)
	v_mul_f32_e32 v67, v58, v61
	v_mul_f32_e32 v61, v59, v61
	s_waitcnt vmcnt(3)
	v_fma_f32 v56, v56, v62, -v60
	v_fmac_f32_e32 v66, v57, v62
	s_waitcnt vmcnt(2)
	v_fma_f32 v57, v58, v63, -v61
	v_add_f32_e32 v56, 0, v56
	v_fmac_f32_e32 v67, v59, v63
	v_add_f32_e32 v58, 0, v66
	v_add_f32_e32 v56, v56, v57
	;; [unrolled: 1-line block ×3, first 2 shown]
	s_waitcnt vmcnt(1)
	v_sub_f32_e32 v56, v64, v56
	s_waitcnt vmcnt(0)
	v_sub_f32_e32 v57, v65, v58
	buffer_store_dword v56, off, s[0:3], 0 offset:192
	buffer_store_dword v57, off, s[0:3], 0 offset:196
	s_and_saveexec_b64 s[4:5], vcc
	s_cbranch_execz .LBB90_129
; %bb.128:
	buffer_load_dword v56, off, s[0:3], 0 offset:184
	buffer_load_dword v57, off, s[0:3], 0 offset:188
	v_mov_b32_e32 v58, 0
	buffer_store_dword v58, off, s[0:3], 0 offset:184
	buffer_store_dword v58, off, s[0:3], 0 offset:188
	s_waitcnt vmcnt(2)
	ds_write_b64 v55, v[56:57]
.LBB90_129:
	s_or_b64 exec, exec, s[4:5]
	s_waitcnt lgkmcnt(0)
	; wave barrier
	buffer_load_dword v63, off, s[0:3], 0 offset:196
	buffer_load_dword v64, off, s[0:3], 0 offset:204
	;; [unrolled: 1-line block ×8, first 2 shown]
	v_mov_b32_e32 v56, 0
	ds_read_b128 v[57:60], v56 offset:416
	ds_read_b64 v[61:62], v56 offset:432
	v_cmp_lt_u32_e32 vcc, 22, v0
	s_waitcnt vmcnt(7) lgkmcnt(1)
	v_mul_f32_e32 v71, v57, v63
	v_mul_f32_e32 v63, v58, v63
	s_waitcnt vmcnt(6)
	v_mul_f32_e32 v72, v59, v64
	v_mul_f32_e32 v64, v60, v64
	s_waitcnt vmcnt(4)
	v_fma_f32 v57, v57, v66, -v63
	s_waitcnt lgkmcnt(0)
	v_mul_f32_e32 v73, v61, v65
	v_mul_f32_e32 v65, v62, v65
	v_fmac_f32_e32 v71, v58, v66
	s_waitcnt vmcnt(3)
	v_fma_f32 v58, v59, v67, -v64
	v_add_f32_e32 v57, 0, v57
	v_fmac_f32_e32 v72, v60, v67
	s_waitcnt vmcnt(2)
	v_fma_f32 v59, v61, v68, -v65
	v_add_f32_e32 v60, 0, v71
	v_add_f32_e32 v57, v57, v58
	v_fmac_f32_e32 v73, v62, v68
	v_add_f32_e32 v60, v60, v72
	v_add_f32_e32 v57, v57, v59
	;; [unrolled: 1-line block ×3, first 2 shown]
	s_waitcnt vmcnt(1)
	v_sub_f32_e32 v57, v69, v57
	s_waitcnt vmcnt(0)
	v_sub_f32_e32 v58, v70, v58
	buffer_store_dword v57, off, s[0:3], 0 offset:184
	buffer_store_dword v58, off, s[0:3], 0 offset:188
	s_and_saveexec_b64 s[4:5], vcc
	s_cbranch_execz .LBB90_131
; %bb.130:
	buffer_load_dword v57, off, s[0:3], 0 offset:176
	buffer_load_dword v58, off, s[0:3], 0 offset:180
	s_waitcnt vmcnt(0)
	ds_write_b64 v55, v[57:58]
	buffer_store_dword v56, off, s[0:3], 0 offset:176
	buffer_store_dword v56, off, s[0:3], 0 offset:180
.LBB90_131:
	s_or_b64 exec, exec, s[4:5]
	s_waitcnt lgkmcnt(0)
	; wave barrier
	buffer_load_dword v65, off, s[0:3], 0 offset:188
	buffer_load_dword v66, off, s[0:3], 0 offset:196
	;; [unrolled: 1-line block ×10, first 2 shown]
	ds_read2_b64 v[57:60], v56 offset0:51 offset1:52
	ds_read2_b64 v[61:64], v56 offset0:53 offset1:54
	v_cmp_lt_u32_e32 vcc, 21, v0
	s_waitcnt vmcnt(9) lgkmcnt(1)
	v_mul_f32_e32 v56, v57, v65
	v_mul_f32_e32 v65, v58, v65
	s_waitcnt vmcnt(8)
	v_mul_f32_e32 v75, v59, v66
	v_mul_f32_e32 v66, v60, v66
	s_waitcnt vmcnt(5)
	v_fma_f32 v57, v57, v69, -v65
	s_waitcnt lgkmcnt(0)
	v_mul_f32_e32 v76, v61, v67
	v_mul_f32_e32 v67, v62, v67
	v_fmac_f32_e32 v56, v58, v69
	s_waitcnt vmcnt(4)
	v_fma_f32 v58, v59, v70, -v66
	v_add_f32_e32 v57, 0, v57
	v_mul_f32_e32 v77, v63, v68
	v_mul_f32_e32 v68, v64, v68
	v_fmac_f32_e32 v75, v60, v70
	s_waitcnt vmcnt(3)
	v_fma_f32 v59, v61, v71, -v67
	v_add_f32_e32 v56, 0, v56
	v_add_f32_e32 v57, v57, v58
	v_fmac_f32_e32 v76, v62, v71
	s_waitcnt vmcnt(2)
	v_fma_f32 v60, v63, v72, -v68
	v_add_f32_e32 v56, v56, v75
	v_add_f32_e32 v57, v57, v59
	v_fmac_f32_e32 v77, v64, v72
	v_add_f32_e32 v56, v56, v76
	v_add_f32_e32 v57, v57, v60
	;; [unrolled: 1-line block ×3, first 2 shown]
	s_waitcnt vmcnt(1)
	v_sub_f32_e32 v57, v73, v57
	s_waitcnt vmcnt(0)
	v_sub_f32_e32 v56, v74, v56
	buffer_store_dword v57, off, s[0:3], 0 offset:176
	buffer_store_dword v56, off, s[0:3], 0 offset:180
	s_and_saveexec_b64 s[4:5], vcc
	s_cbranch_execz .LBB90_133
; %bb.132:
	buffer_load_dword v56, off, s[0:3], 0 offset:168
	buffer_load_dword v57, off, s[0:3], 0 offset:172
	v_mov_b32_e32 v58, 0
	buffer_store_dword v58, off, s[0:3], 0 offset:168
	buffer_store_dword v58, off, s[0:3], 0 offset:172
	s_waitcnt vmcnt(2)
	ds_write_b64 v55, v[56:57]
.LBB90_133:
	s_or_b64 exec, exec, s[4:5]
	v_mov_b32_e32 v56, 0
	s_waitcnt lgkmcnt(0)
	; wave barrier
	ds_read_b128 v[57:60], v56 offset:400
	ds_read_b128 v[61:64], v56 offset:416
	ds_read_b64 v[65:66], v56 offset:432
	buffer_load_dword v67, off, s[0:3], 0 offset:168
	buffer_load_dword v68, off, s[0:3], 0 offset:172
	;; [unrolled: 1-line block ×12, first 2 shown]
	v_cmp_lt_u32_e32 vcc, 20, v0
	s_waitcnt vmcnt(8) lgkmcnt(2)
	v_mul_f32_e32 v79, v57, v70
	v_fmac_f32_e32 v79, v58, v69
	v_mul_f32_e32 v58, v58, v70
	v_fma_f32 v57, v57, v69, -v58
	s_waitcnt vmcnt(6)
	v_mul_f32_e32 v58, v60, v72
	v_mul_f32_e32 v80, v59, v72
	v_add_f32_e32 v57, 0, v57
	v_fma_f32 v58, v59, v71, -v58
	v_add_f32_e32 v79, 0, v79
	v_fmac_f32_e32 v80, v60, v71
	v_add_f32_e32 v57, v57, v58
	s_waitcnt vmcnt(4) lgkmcnt(1)
	v_mul_f32_e32 v58, v62, v74
	v_add_f32_e32 v79, v79, v80
	v_mul_f32_e32 v80, v61, v74
	v_fma_f32 v58, v61, v73, -v58
	v_fmac_f32_e32 v80, v62, v73
	v_add_f32_e32 v57, v57, v58
	s_waitcnt vmcnt(2)
	v_mul_f32_e32 v58, v64, v76
	v_add_f32_e32 v79, v79, v80
	v_mul_f32_e32 v80, v63, v76
	v_fma_f32 v58, v63, v75, -v58
	v_fmac_f32_e32 v80, v64, v75
	v_add_f32_e32 v57, v57, v58
	s_waitcnt vmcnt(0) lgkmcnt(0)
	v_mul_f32_e32 v58, v66, v78
	v_add_f32_e32 v79, v79, v80
	v_mul_f32_e32 v80, v65, v78
	v_fma_f32 v58, v65, v77, -v58
	v_fmac_f32_e32 v80, v66, v77
	v_add_f32_e32 v57, v57, v58
	v_add_f32_e32 v79, v79, v80
	v_sub_f32_e32 v57, v67, v57
	v_sub_f32_e32 v58, v68, v79
	buffer_store_dword v57, off, s[0:3], 0 offset:168
	buffer_store_dword v58, off, s[0:3], 0 offset:172
	s_and_saveexec_b64 s[4:5], vcc
	s_cbranch_execz .LBB90_135
; %bb.134:
	buffer_load_dword v57, off, s[0:3], 0 offset:160
	buffer_load_dword v58, off, s[0:3], 0 offset:164
	s_waitcnt vmcnt(0)
	ds_write_b64 v55, v[57:58]
	buffer_store_dword v56, off, s[0:3], 0 offset:160
	buffer_store_dword v56, off, s[0:3], 0 offset:164
.LBB90_135:
	s_or_b64 exec, exec, s[4:5]
	s_waitcnt lgkmcnt(0)
	; wave barrier
	buffer_load_dword v69, off, s[0:3], 0 offset:172
	buffer_load_dword v70, off, s[0:3], 0 offset:180
	;; [unrolled: 1-line block ×14, first 2 shown]
	ds_read2_b64 v[57:60], v56 offset0:49 offset1:50
	ds_read2_b64 v[61:64], v56 offset0:51 offset1:52
	;; [unrolled: 1-line block ×3, first 2 shown]
	v_cmp_lt_u32_e32 vcc, 19, v0
	s_waitcnt vmcnt(13) lgkmcnt(2)
	v_mul_f32_e32 v56, v57, v69
	v_mul_f32_e32 v69, v58, v69
	s_waitcnt vmcnt(12)
	v_mul_f32_e32 v83, v59, v70
	v_mul_f32_e32 v70, v60, v70
	s_waitcnt vmcnt(11) lgkmcnt(1)
	v_mul_f32_e32 v84, v61, v71
	v_mul_f32_e32 v71, v62, v71
	s_waitcnt vmcnt(7)
	v_fma_f32 v57, v57, v75, -v69
	v_fmac_f32_e32 v56, v58, v75
	s_waitcnt vmcnt(6)
	v_fma_f32 v58, v59, v76, -v70
	v_add_f32_e32 v57, 0, v57
	v_mul_f32_e32 v85, v63, v72
	v_mul_f32_e32 v72, v64, v72
	v_fmac_f32_e32 v83, v60, v76
	s_waitcnt vmcnt(5)
	v_fma_f32 v59, v61, v77, -v71
	v_add_f32_e32 v56, 0, v56
	v_add_f32_e32 v57, v57, v58
	s_waitcnt lgkmcnt(0)
	v_mul_f32_e32 v86, v65, v73
	v_mul_f32_e32 v73, v66, v73
	v_fmac_f32_e32 v84, v62, v77
	s_waitcnt vmcnt(4)
	v_fma_f32 v60, v63, v78, -v72
	v_add_f32_e32 v56, v56, v83
	v_add_f32_e32 v57, v57, v59
	v_mul_f32_e32 v87, v67, v74
	v_mul_f32_e32 v74, v68, v74
	v_fmac_f32_e32 v85, v64, v78
	s_waitcnt vmcnt(3)
	v_fma_f32 v61, v65, v79, -v73
	v_add_f32_e32 v56, v56, v84
	v_add_f32_e32 v57, v57, v60
	v_fmac_f32_e32 v86, v66, v79
	s_waitcnt vmcnt(2)
	v_fma_f32 v62, v67, v80, -v74
	v_add_f32_e32 v56, v56, v85
	v_add_f32_e32 v57, v57, v61
	v_fmac_f32_e32 v87, v68, v80
	v_add_f32_e32 v56, v56, v86
	v_add_f32_e32 v57, v57, v62
	;; [unrolled: 1-line block ×3, first 2 shown]
	s_waitcnt vmcnt(1)
	v_sub_f32_e32 v57, v81, v57
	s_waitcnt vmcnt(0)
	v_sub_f32_e32 v56, v82, v56
	buffer_store_dword v57, off, s[0:3], 0 offset:160
	buffer_store_dword v56, off, s[0:3], 0 offset:164
	s_and_saveexec_b64 s[4:5], vcc
	s_cbranch_execz .LBB90_137
; %bb.136:
	buffer_load_dword v56, off, s[0:3], 0 offset:152
	buffer_load_dword v57, off, s[0:3], 0 offset:156
	v_mov_b32_e32 v58, 0
	buffer_store_dword v58, off, s[0:3], 0 offset:152
	buffer_store_dword v58, off, s[0:3], 0 offset:156
	s_waitcnt vmcnt(2)
	ds_write_b64 v55, v[56:57]
.LBB90_137:
	s_or_b64 exec, exec, s[4:5]
	s_waitcnt lgkmcnt(0)
	; wave barrier
	buffer_load_dword v71, off, s[0:3], 0 offset:164
	buffer_load_dword v72, off, s[0:3], 0 offset:172
	;; [unrolled: 1-line block ×16, first 2 shown]
	v_mov_b32_e32 v56, 0
	ds_read_b128 v[57:60], v56 offset:384
	ds_read_b128 v[61:64], v56 offset:400
	;; [unrolled: 1-line block ×3, first 2 shown]
	ds_read_b64 v[69:70], v56 offset:432
	v_cmp_lt_u32_e32 vcc, 18, v0
	s_waitcnt vmcnt(15) lgkmcnt(3)
	v_mul_f32_e32 v87, v57, v71
	v_mul_f32_e32 v71, v58, v71
	s_waitcnt vmcnt(14)
	v_mul_f32_e32 v88, v59, v72
	v_mul_f32_e32 v72, v60, v72
	s_waitcnt vmcnt(13) lgkmcnt(2)
	v_mul_f32_e32 v89, v61, v73
	s_waitcnt vmcnt(12)
	v_mul_f32_e32 v90, v63, v74
	v_mul_f32_e32 v73, v62, v73
	s_waitcnt vmcnt(8)
	v_fma_f32 v57, v57, v78, -v71
	v_fmac_f32_e32 v87, v58, v78
	s_waitcnt vmcnt(7)
	v_fma_f32 v58, v59, v79, -v72
	v_add_f32_e32 v57, 0, v57
	v_mul_f32_e32 v74, v64, v74
	v_fmac_f32_e32 v88, v60, v79
	s_waitcnt vmcnt(5)
	v_fmac_f32_e32 v90, v64, v81
	v_fma_f32 v59, v61, v80, -v73
	v_add_f32_e32 v64, 0, v87
	v_add_f32_e32 v57, v57, v58
	s_waitcnt lgkmcnt(1)
	v_mul_f32_e32 v91, v65, v75
	v_mul_f32_e32 v75, v66, v75
	v_fmac_f32_e32 v89, v62, v80
	v_fma_f32 v60, v63, v81, -v74
	v_add_f32_e32 v64, v64, v88
	v_add_f32_e32 v57, v57, v59
	v_mul_f32_e32 v92, v67, v76
	v_mul_f32_e32 v76, v68, v76
	s_waitcnt vmcnt(4)
	v_fma_f32 v61, v65, v82, -v75
	v_add_f32_e32 v58, v64, v89
	v_add_f32_e32 v57, v57, v60
	s_waitcnt lgkmcnt(0)
	v_mul_f32_e32 v93, v69, v77
	v_mul_f32_e32 v77, v70, v77
	v_fmac_f32_e32 v91, v66, v82
	s_waitcnt vmcnt(3)
	v_fma_f32 v62, v67, v83, -v76
	v_add_f32_e32 v58, v58, v90
	v_add_f32_e32 v57, v57, v61
	v_fmac_f32_e32 v92, v68, v83
	s_waitcnt vmcnt(2)
	v_fma_f32 v63, v69, v84, -v77
	v_add_f32_e32 v58, v58, v91
	v_add_f32_e32 v57, v57, v62
	v_fmac_f32_e32 v93, v70, v84
	v_add_f32_e32 v58, v58, v92
	v_add_f32_e32 v57, v57, v63
	;; [unrolled: 1-line block ×3, first 2 shown]
	s_waitcnt vmcnt(1)
	v_sub_f32_e32 v57, v85, v57
	s_waitcnt vmcnt(0)
	v_sub_f32_e32 v58, v86, v58
	buffer_store_dword v57, off, s[0:3], 0 offset:152
	buffer_store_dword v58, off, s[0:3], 0 offset:156
	s_and_saveexec_b64 s[4:5], vcc
	s_cbranch_execz .LBB90_139
; %bb.138:
	buffer_load_dword v57, off, s[0:3], 0 offset:144
	buffer_load_dword v58, off, s[0:3], 0 offset:148
	s_waitcnt vmcnt(0)
	ds_write_b64 v55, v[57:58]
	buffer_store_dword v56, off, s[0:3], 0 offset:144
	buffer_store_dword v56, off, s[0:3], 0 offset:148
.LBB90_139:
	s_or_b64 exec, exec, s[4:5]
	s_waitcnt lgkmcnt(0)
	; wave barrier
	buffer_load_dword v73, off, s[0:3], 0 offset:156
	buffer_load_dword v74, off, s[0:3], 0 offset:164
	;; [unrolled: 1-line block ×18, first 2 shown]
	ds_read2_b64 v[57:60], v56 offset0:47 offset1:48
	ds_read2_b64 v[61:64], v56 offset0:49 offset1:50
	;; [unrolled: 1-line block ×4, first 2 shown]
	v_cmp_lt_u32_e32 vcc, 17, v0
	s_waitcnt vmcnt(17) lgkmcnt(3)
	v_mul_f32_e32 v56, v57, v73
	v_mul_f32_e32 v73, v58, v73
	s_waitcnt vmcnt(16)
	v_mul_f32_e32 v91, v59, v74
	v_mul_f32_e32 v74, v60, v74
	s_waitcnt vmcnt(15) lgkmcnt(2)
	v_mul_f32_e32 v92, v61, v75
	v_mul_f32_e32 v75, v62, v75
	s_waitcnt vmcnt(14)
	v_mul_f32_e32 v93, v63, v76
	v_mul_f32_e32 v76, v64, v76
	s_waitcnt vmcnt(9)
	v_fma_f32 v57, v57, v81, -v73
	v_fmac_f32_e32 v56, v58, v81
	s_waitcnt vmcnt(8)
	v_fma_f32 v58, v59, v82, -v74
	v_add_f32_e32 v57, 0, v57
	v_fmac_f32_e32 v91, v60, v82
	s_waitcnt vmcnt(7)
	v_fma_f32 v59, v61, v83, -v75
	v_add_f32_e32 v56, 0, v56
	v_add_f32_e32 v57, v57, v58
	s_waitcnt lgkmcnt(1)
	v_mul_f32_e32 v94, v65, v77
	v_mul_f32_e32 v77, v66, v77
	v_fmac_f32_e32 v92, v62, v83
	s_waitcnt vmcnt(6)
	v_fma_f32 v60, v63, v84, -v76
	v_add_f32_e32 v56, v56, v91
	v_add_f32_e32 v57, v57, v59
	v_mul_f32_e32 v95, v67, v78
	v_mul_f32_e32 v78, v68, v78
	v_fmac_f32_e32 v93, v64, v84
	s_waitcnt vmcnt(5)
	v_fma_f32 v61, v65, v85, -v77
	v_add_f32_e32 v56, v56, v92
	v_add_f32_e32 v57, v57, v60
	s_waitcnt lgkmcnt(0)
	v_mul_f32_e32 v96, v69, v79
	v_mul_f32_e32 v79, v70, v79
	v_fmac_f32_e32 v94, v66, v85
	s_waitcnt vmcnt(4)
	v_fma_f32 v62, v67, v86, -v78
	v_add_f32_e32 v56, v56, v93
	v_add_f32_e32 v57, v57, v61
	v_mul_f32_e32 v97, v71, v80
	v_mul_f32_e32 v80, v72, v80
	v_fmac_f32_e32 v95, v68, v86
	s_waitcnt vmcnt(3)
	v_fma_f32 v63, v69, v87, -v79
	v_add_f32_e32 v56, v56, v94
	v_add_f32_e32 v57, v57, v62
	v_fmac_f32_e32 v96, v70, v87
	s_waitcnt vmcnt(2)
	v_fma_f32 v64, v71, v88, -v80
	v_add_f32_e32 v56, v56, v95
	v_add_f32_e32 v57, v57, v63
	v_fmac_f32_e32 v97, v72, v88
	v_add_f32_e32 v56, v56, v96
	v_add_f32_e32 v57, v57, v64
	;; [unrolled: 1-line block ×3, first 2 shown]
	s_waitcnt vmcnt(1)
	v_sub_f32_e32 v57, v89, v57
	s_waitcnt vmcnt(0)
	v_sub_f32_e32 v56, v90, v56
	buffer_store_dword v57, off, s[0:3], 0 offset:144
	buffer_store_dword v56, off, s[0:3], 0 offset:148
	s_and_saveexec_b64 s[4:5], vcc
	s_cbranch_execz .LBB90_141
; %bb.140:
	buffer_load_dword v56, off, s[0:3], 0 offset:136
	buffer_load_dword v57, off, s[0:3], 0 offset:140
	v_mov_b32_e32 v58, 0
	buffer_store_dword v58, off, s[0:3], 0 offset:136
	buffer_store_dword v58, off, s[0:3], 0 offset:140
	s_waitcnt vmcnt(2)
	ds_write_b64 v55, v[56:57]
.LBB90_141:
	s_or_b64 exec, exec, s[4:5]
	s_waitcnt lgkmcnt(0)
	; wave barrier
	buffer_load_dword v75, off, s[0:3], 0 offset:148
	buffer_load_dword v76, off, s[0:3], 0 offset:156
	buffer_load_dword v77, off, s[0:3], 0 offset:164
	buffer_load_dword v78, off, s[0:3], 0 offset:172
	buffer_load_dword v79, off, s[0:3], 0 offset:180
	buffer_load_dword v80, off, s[0:3], 0 offset:188
	buffer_load_dword v81, off, s[0:3], 0 offset:196
	buffer_load_dword v82, off, s[0:3], 0 offset:204
	buffer_load_dword v83, off, s[0:3], 0 offset:212
	buffer_load_dword v84, off, s[0:3], 0 offset:144
	buffer_load_dword v85, off, s[0:3], 0 offset:152
	buffer_load_dword v86, off, s[0:3], 0 offset:160
	buffer_load_dword v87, off, s[0:3], 0 offset:168
	buffer_load_dword v88, off, s[0:3], 0 offset:176
	buffer_load_dword v89, off, s[0:3], 0 offset:184
	buffer_load_dword v90, off, s[0:3], 0 offset:192
	buffer_load_dword v91, off, s[0:3], 0 offset:200
	buffer_load_dword v92, off, s[0:3], 0 offset:208
	buffer_load_dword v93, off, s[0:3], 0 offset:136
	buffer_load_dword v94, off, s[0:3], 0 offset:140
	v_mov_b32_e32 v56, 0
	ds_read_b128 v[57:60], v56 offset:368
	ds_read_b128 v[61:64], v56 offset:384
	;; [unrolled: 1-line block ×4, first 2 shown]
	ds_read_b64 v[73:74], v56 offset:432
	v_cmp_lt_u32_e32 vcc, 16, v0
	s_waitcnt vmcnt(19) lgkmcnt(4)
	v_mul_f32_e32 v95, v57, v75
	v_mul_f32_e32 v75, v58, v75
	s_waitcnt vmcnt(18)
	v_mul_f32_e32 v96, v59, v76
	v_mul_f32_e32 v76, v60, v76
	s_waitcnt vmcnt(17) lgkmcnt(3)
	v_mul_f32_e32 v97, v61, v77
	s_waitcnt vmcnt(15) lgkmcnt(2)
	v_mul_f32_e32 v99, v65, v79
	v_mul_f32_e32 v77, v62, v77
	;; [unrolled: 1-line block ×4, first 2 shown]
	s_waitcnt vmcnt(10)
	v_fma_f32 v57, v57, v84, -v75
	v_fmac_f32_e32 v95, v58, v84
	s_waitcnt vmcnt(9)
	v_fma_f32 v58, v59, v85, -v76
	v_add_f32_e32 v57, 0, v57
	v_mul_f32_e32 v79, v66, v79
	v_fmac_f32_e32 v96, v60, v85
	s_waitcnt vmcnt(6)
	v_fmac_f32_e32 v99, v66, v88
	v_fma_f32 v59, v61, v86, -v77
	v_add_f32_e32 v66, 0, v95
	v_add_f32_e32 v57, v57, v58
	v_fmac_f32_e32 v97, v62, v86
	v_fma_f32 v60, v63, v87, -v78
	v_add_f32_e32 v66, v66, v96
	v_add_f32_e32 v57, v57, v59
	v_mul_f32_e32 v100, v67, v80
	v_mul_f32_e32 v80, v68, v80
	v_fmac_f32_e32 v98, v64, v87
	v_fma_f32 v61, v65, v88, -v79
	v_add_f32_e32 v58, v66, v97
	v_add_f32_e32 v57, v57, v60
	s_waitcnt lgkmcnt(1)
	v_mul_f32_e32 v101, v69, v81
	v_mul_f32_e32 v81, v70, v81
	s_waitcnt vmcnt(5)
	v_fma_f32 v62, v67, v89, -v80
	v_add_f32_e32 v58, v58, v98
	v_add_f32_e32 v57, v57, v61
	v_mul_f32_e32 v102, v71, v82
	v_mul_f32_e32 v82, v72, v82
	v_fmac_f32_e32 v100, v68, v89
	s_waitcnt vmcnt(4)
	v_fma_f32 v63, v69, v90, -v81
	v_add_f32_e32 v58, v58, v99
	v_add_f32_e32 v57, v57, v62
	s_waitcnt lgkmcnt(0)
	v_mul_f32_e32 v103, v73, v83
	v_mul_f32_e32 v83, v74, v83
	v_fmac_f32_e32 v101, v70, v90
	s_waitcnt vmcnt(3)
	v_fma_f32 v64, v71, v91, -v82
	v_add_f32_e32 v58, v58, v100
	v_add_f32_e32 v57, v57, v63
	v_fmac_f32_e32 v102, v72, v91
	s_waitcnt vmcnt(2)
	v_fma_f32 v65, v73, v92, -v83
	v_add_f32_e32 v58, v58, v101
	v_add_f32_e32 v57, v57, v64
	v_fmac_f32_e32 v103, v74, v92
	v_add_f32_e32 v58, v58, v102
	v_add_f32_e32 v57, v57, v65
	;; [unrolled: 1-line block ×3, first 2 shown]
	s_waitcnt vmcnt(1)
	v_sub_f32_e32 v57, v93, v57
	s_waitcnt vmcnt(0)
	v_sub_f32_e32 v58, v94, v58
	buffer_store_dword v57, off, s[0:3], 0 offset:136
	buffer_store_dword v58, off, s[0:3], 0 offset:140
	s_and_saveexec_b64 s[4:5], vcc
	s_cbranch_execz .LBB90_143
; %bb.142:
	buffer_load_dword v57, off, s[0:3], 0 offset:128
	buffer_load_dword v58, off, s[0:3], 0 offset:132
	s_waitcnt vmcnt(0)
	ds_write_b64 v55, v[57:58]
	buffer_store_dword v56, off, s[0:3], 0 offset:128
	buffer_store_dword v56, off, s[0:3], 0 offset:132
.LBB90_143:
	s_or_b64 exec, exec, s[4:5]
	s_waitcnt lgkmcnt(0)
	; wave barrier
	buffer_load_dword v77, off, s[0:3], 0 offset:140
	buffer_load_dword v78, off, s[0:3], 0 offset:148
	;; [unrolled: 1-line block ×22, first 2 shown]
	ds_read2_b64 v[57:60], v56 offset0:45 offset1:46
	ds_read2_b64 v[61:64], v56 offset0:47 offset1:48
	ds_read2_b64 v[65:68], v56 offset0:49 offset1:50
	ds_read2_b64 v[69:72], v56 offset0:51 offset1:52
	ds_read2_b64 v[73:76], v56 offset0:53 offset1:54
	v_cmp_lt_u32_e32 vcc, 15, v0
	s_waitcnt vmcnt(21) lgkmcnt(4)
	v_mul_f32_e32 v56, v57, v77
	v_mul_f32_e32 v77, v58, v77
	s_waitcnt vmcnt(20)
	v_mul_f32_e32 v99, v59, v78
	v_mul_f32_e32 v78, v60, v78
	s_waitcnt vmcnt(19) lgkmcnt(3)
	v_mul_f32_e32 v100, v61, v79
	v_mul_f32_e32 v79, v62, v79
	s_waitcnt vmcnt(18)
	v_mul_f32_e32 v101, v63, v80
	v_mul_f32_e32 v80, v64, v80
	s_waitcnt vmcnt(17) lgkmcnt(2)
	v_mul_f32_e32 v102, v65, v81
	v_mul_f32_e32 v81, v66, v81
	s_waitcnt vmcnt(11)
	v_fma_f32 v57, v57, v87, -v77
	v_fmac_f32_e32 v56, v58, v87
	s_waitcnt vmcnt(10)
	v_fma_f32 v58, v59, v88, -v78
	v_add_f32_e32 v57, 0, v57
	v_fmac_f32_e32 v99, v60, v88
	s_waitcnt vmcnt(9)
	v_fma_f32 v59, v61, v89, -v79
	v_add_f32_e32 v56, 0, v56
	v_add_f32_e32 v57, v57, v58
	v_fmac_f32_e32 v100, v62, v89
	s_waitcnt vmcnt(8)
	v_fma_f32 v60, v63, v90, -v80
	v_add_f32_e32 v56, v56, v99
	v_add_f32_e32 v57, v57, v59
	v_mul_f32_e32 v103, v67, v82
	v_mul_f32_e32 v82, v68, v82
	v_fmac_f32_e32 v101, v64, v90
	s_waitcnt vmcnt(7)
	v_fma_f32 v61, v65, v91, -v81
	v_add_f32_e32 v56, v56, v100
	v_add_f32_e32 v57, v57, v60
	s_waitcnt lgkmcnt(1)
	v_mul_f32_e32 v104, v69, v83
	v_mul_f32_e32 v83, v70, v83
	v_fmac_f32_e32 v102, v66, v91
	s_waitcnt vmcnt(6)
	v_fma_f32 v62, v67, v92, -v82
	v_add_f32_e32 v56, v56, v101
	v_add_f32_e32 v57, v57, v61
	v_mul_f32_e32 v105, v71, v84
	v_mul_f32_e32 v84, v72, v84
	v_fmac_f32_e32 v103, v68, v92
	s_waitcnt vmcnt(5)
	v_fma_f32 v63, v69, v93, -v83
	v_add_f32_e32 v56, v56, v102
	v_add_f32_e32 v57, v57, v62
	s_waitcnt lgkmcnt(0)
	v_mul_f32_e32 v106, v73, v85
	v_mul_f32_e32 v85, v74, v85
	v_fmac_f32_e32 v104, v70, v93
	s_waitcnt vmcnt(4)
	v_fma_f32 v64, v71, v94, -v84
	v_add_f32_e32 v56, v56, v103
	v_add_f32_e32 v57, v57, v63
	v_mul_f32_e32 v107, v75, v86
	v_mul_f32_e32 v86, v76, v86
	v_fmac_f32_e32 v105, v72, v94
	s_waitcnt vmcnt(3)
	v_fma_f32 v65, v73, v95, -v85
	v_add_f32_e32 v56, v56, v104
	v_add_f32_e32 v57, v57, v64
	v_fmac_f32_e32 v106, v74, v95
	s_waitcnt vmcnt(2)
	v_fma_f32 v66, v75, v96, -v86
	v_add_f32_e32 v56, v56, v105
	v_add_f32_e32 v57, v57, v65
	v_fmac_f32_e32 v107, v76, v96
	v_add_f32_e32 v56, v56, v106
	v_add_f32_e32 v57, v57, v66
	;; [unrolled: 1-line block ×3, first 2 shown]
	s_waitcnt vmcnt(1)
	v_sub_f32_e32 v57, v97, v57
	s_waitcnt vmcnt(0)
	v_sub_f32_e32 v56, v98, v56
	buffer_store_dword v57, off, s[0:3], 0 offset:128
	buffer_store_dword v56, off, s[0:3], 0 offset:132
	s_and_saveexec_b64 s[4:5], vcc
	s_cbranch_execz .LBB90_145
; %bb.144:
	buffer_load_dword v56, off, s[0:3], 0 offset:120
	buffer_load_dword v57, off, s[0:3], 0 offset:124
	v_mov_b32_e32 v58, 0
	buffer_store_dword v58, off, s[0:3], 0 offset:120
	buffer_store_dword v58, off, s[0:3], 0 offset:124
	s_waitcnt vmcnt(2)
	ds_write_b64 v55, v[56:57]
.LBB90_145:
	s_or_b64 exec, exec, s[4:5]
	s_waitcnt lgkmcnt(0)
	; wave barrier
	buffer_load_dword v79, off, s[0:3], 0 offset:132
	buffer_load_dword v80, off, s[0:3], 0 offset:140
	;; [unrolled: 1-line block ×24, first 2 shown]
	v_mov_b32_e32 v56, 0
	ds_read_b128 v[57:60], v56 offset:352
	ds_read_b128 v[61:64], v56 offset:368
	;; [unrolled: 1-line block ×5, first 2 shown]
	ds_read_b64 v[77:78], v56 offset:432
	v_cmp_lt_u32_e32 vcc, 14, v0
	s_waitcnt vmcnt(23) lgkmcnt(5)
	v_mul_f32_e32 v103, v57, v79
	v_mul_f32_e32 v79, v58, v79
	s_waitcnt vmcnt(22)
	v_mul_f32_e32 v104, v59, v80
	v_mul_f32_e32 v80, v60, v80
	s_waitcnt vmcnt(21) lgkmcnt(4)
	v_mul_f32_e32 v105, v61, v81
	v_mul_f32_e32 v81, v62, v81
	s_waitcnt vmcnt(20)
	v_mul_f32_e32 v106, v63, v82
	s_waitcnt vmcnt(19) lgkmcnt(3)
	v_mul_f32_e32 v107, v65, v83
	v_mul_f32_e32 v82, v64, v82
	;; [unrolled: 1-line block ×3, first 2 shown]
	s_waitcnt vmcnt(18)
	v_mul_f32_e32 v108, v67, v84
	s_waitcnt vmcnt(12)
	v_fma_f32 v57, v57, v90, -v79
	v_fmac_f32_e32 v103, v58, v90
	s_waitcnt vmcnt(11)
	v_fma_f32 v58, v59, v91, -v80
	v_add_f32_e32 v57, 0, v57
	s_waitcnt vmcnt(10)
	v_fma_f32 v59, v61, v92, -v81
	v_add_f32_e32 v57, v57, v58
	v_fmac_f32_e32 v104, v60, v91
	s_waitcnt vmcnt(8)
	v_fmac_f32_e32 v107, v66, v94
	v_fma_f32 v60, v63, v93, -v82
	v_add_f32_e32 v66, 0, v103
	v_add_f32_e32 v57, v57, v59
	v_mul_f32_e32 v84, v68, v84
	v_fmac_f32_e32 v105, v62, v92
	v_fma_f32 v61, v65, v94, -v83
	v_add_f32_e32 v66, v66, v104
	v_add_f32_e32 v57, v57, v60
	s_waitcnt lgkmcnt(2)
	v_mul_f32_e32 v109, v69, v85
	v_mul_f32_e32 v85, v70, v85
	v_fmac_f32_e32 v106, v64, v93
	s_waitcnt vmcnt(7)
	v_fma_f32 v62, v67, v95, -v84
	v_add_f32_e32 v58, v66, v105
	v_add_f32_e32 v57, v57, v61
	v_mul_f32_e32 v110, v71, v86
	v_mul_f32_e32 v86, v72, v86
	s_waitcnt vmcnt(6)
	v_fma_f32 v63, v69, v96, -v85
	v_add_f32_e32 v58, v58, v106
	v_add_f32_e32 v57, v57, v62
	s_waitcnt lgkmcnt(1)
	v_mul_f32_e32 v111, v73, v87
	v_mul_f32_e32 v87, v74, v87
	v_fmac_f32_e32 v108, v68, v95
	s_waitcnt vmcnt(5)
	v_fma_f32 v64, v71, v97, -v86
	v_add_f32_e32 v58, v58, v107
	v_add_f32_e32 v57, v57, v63
	v_fmac_f32_e32 v109, v70, v96
	s_waitcnt vmcnt(4)
	v_fma_f32 v65, v73, v98, -v87
	v_add_f32_e32 v58, v58, v108
	v_add_f32_e32 v57, v57, v64
	v_mul_f32_e32 v59, v76, v88
	v_fmac_f32_e32 v110, v72, v97
	v_add_f32_e32 v58, v58, v109
	v_add_f32_e32 v57, v57, v65
	s_waitcnt vmcnt(3)
	v_fma_f32 v59, v75, v99, -v59
	v_mul_f32_e32 v112, v75, v88
	v_fmac_f32_e32 v111, v74, v98
	v_add_f32_e32 v58, v58, v110
	v_add_f32_e32 v57, v57, v59
	s_waitcnt lgkmcnt(0)
	v_mul_f32_e32 v59, v78, v89
	v_mul_f32_e32 v113, v77, v89
	v_fmac_f32_e32 v112, v76, v99
	v_add_f32_e32 v58, v58, v111
	s_waitcnt vmcnt(2)
	v_fma_f32 v59, v77, v100, -v59
	v_fmac_f32_e32 v113, v78, v100
	v_add_f32_e32 v58, v58, v112
	v_add_f32_e32 v57, v57, v59
	;; [unrolled: 1-line block ×3, first 2 shown]
	s_waitcnt vmcnt(1)
	v_sub_f32_e32 v57, v101, v57
	s_waitcnt vmcnt(0)
	v_sub_f32_e32 v58, v102, v58
	buffer_store_dword v57, off, s[0:3], 0 offset:120
	buffer_store_dword v58, off, s[0:3], 0 offset:124
	s_and_saveexec_b64 s[4:5], vcc
	s_cbranch_execz .LBB90_147
; %bb.146:
	buffer_load_dword v57, off, s[0:3], 0 offset:112
	buffer_load_dword v58, off, s[0:3], 0 offset:116
	s_waitcnt vmcnt(0)
	ds_write_b64 v55, v[57:58]
	buffer_store_dword v56, off, s[0:3], 0 offset:112
	buffer_store_dword v56, off, s[0:3], 0 offset:116
.LBB90_147:
	s_or_b64 exec, exec, s[4:5]
	s_waitcnt lgkmcnt(0)
	; wave barrier
	buffer_load_dword v81, off, s[0:3], 0 offset:124
	buffer_load_dword v82, off, s[0:3], 0 offset:132
	buffer_load_dword v83, off, s[0:3], 0 offset:140
	buffer_load_dword v84, off, s[0:3], 0 offset:148
	buffer_load_dword v85, off, s[0:3], 0 offset:156
	buffer_load_dword v86, off, s[0:3], 0 offset:164
	buffer_load_dword v87, off, s[0:3], 0 offset:172
	buffer_load_dword v88, off, s[0:3], 0 offset:180
	buffer_load_dword v89, off, s[0:3], 0 offset:188
	buffer_load_dword v90, off, s[0:3], 0 offset:196
	buffer_load_dword v91, off, s[0:3], 0 offset:204
	buffer_load_dword v92, off, s[0:3], 0 offset:212
	buffer_load_dword v93, off, s[0:3], 0 offset:120
	buffer_load_dword v94, off, s[0:3], 0 offset:128
	buffer_load_dword v95, off, s[0:3], 0 offset:136
	buffer_load_dword v96, off, s[0:3], 0 offset:144
	buffer_load_dword v97, off, s[0:3], 0 offset:152
	buffer_load_dword v98, off, s[0:3], 0 offset:160
	buffer_load_dword v99, off, s[0:3], 0 offset:168
	buffer_load_dword v100, off, s[0:3], 0 offset:176
	buffer_load_dword v101, off, s[0:3], 0 offset:184
	buffer_load_dword v102, off, s[0:3], 0 offset:192
	buffer_load_dword v103, off, s[0:3], 0 offset:200
	buffer_load_dword v104, off, s[0:3], 0 offset:208
	buffer_load_dword v105, off, s[0:3], 0 offset:112
	buffer_load_dword v106, off, s[0:3], 0 offset:116
	ds_read2_b64 v[57:60], v56 offset0:43 offset1:44
	ds_read2_b64 v[61:64], v56 offset0:45 offset1:46
	;; [unrolled: 1-line block ×6, first 2 shown]
	v_cmp_lt_u32_e32 vcc, 13, v0
	s_waitcnt vmcnt(25) lgkmcnt(5)
	v_mul_f32_e32 v56, v57, v81
	v_mul_f32_e32 v81, v58, v81
	s_waitcnt vmcnt(24)
	v_mul_f32_e32 v107, v59, v82
	v_mul_f32_e32 v82, v60, v82
	s_waitcnt vmcnt(23) lgkmcnt(4)
	v_mul_f32_e32 v108, v61, v83
	v_mul_f32_e32 v83, v62, v83
	s_waitcnt vmcnt(22)
	v_mul_f32_e32 v109, v63, v84
	v_mul_f32_e32 v84, v64, v84
	;; [unrolled: 6-line block ×3, first 2 shown]
	s_waitcnt vmcnt(13)
	v_fma_f32 v57, v57, v93, -v81
	v_fmac_f32_e32 v56, v58, v93
	s_waitcnt vmcnt(12)
	v_fma_f32 v58, v59, v94, -v82
	v_add_f32_e32 v57, 0, v57
	s_waitcnt vmcnt(11)
	v_fma_f32 v59, v61, v95, -v83
	v_add_f32_e32 v57, v57, v58
	v_fmac_f32_e32 v107, v60, v94
	s_waitcnt vmcnt(10)
	v_fma_f32 v60, v63, v96, -v84
	v_add_f32_e32 v57, v57, v59
	s_waitcnt vmcnt(9)
	v_fma_f32 v61, v65, v97, -v85
	v_add_f32_e32 v57, v57, v60
	s_waitcnt lgkmcnt(2)
	v_mul_f32_e32 v112, v69, v87
	v_mul_f32_e32 v87, v70, v87
	v_fmac_f32_e32 v108, v62, v95
	s_waitcnt vmcnt(8)
	v_fma_f32 v62, v67, v98, -v86
	v_add_f32_e32 v56, 0, v56
	v_add_f32_e32 v57, v57, v61
	v_mul_f32_e32 v113, v71, v88
	v_mul_f32_e32 v88, v72, v88
	s_waitcnt vmcnt(7)
	v_fma_f32 v63, v69, v99, -v87
	v_add_f32_e32 v56, v56, v107
	v_add_f32_e32 v57, v57, v62
	v_fmac_f32_e32 v109, v64, v96
	s_waitcnt vmcnt(6)
	v_fma_f32 v64, v71, v100, -v88
	v_add_f32_e32 v56, v56, v108
	v_add_f32_e32 v57, v57, v63
	s_waitcnt lgkmcnt(1)
	v_mul_f32_e32 v58, v74, v89
	v_fmac_f32_e32 v110, v66, v97
	v_add_f32_e32 v56, v56, v109
	v_add_f32_e32 v57, v57, v64
	s_waitcnt vmcnt(5)
	v_fma_f32 v58, v73, v101, -v58
	v_fmac_f32_e32 v111, v68, v98
	v_add_f32_e32 v56, v56, v110
	v_add_f32_e32 v57, v57, v58
	v_mul_f32_e32 v58, v76, v90
	v_fmac_f32_e32 v112, v70, v99
	v_add_f32_e32 v56, v56, v111
	s_waitcnt vmcnt(4)
	v_fma_f32 v58, v75, v102, -v58
	v_mul_f32_e32 v114, v73, v89
	v_fmac_f32_e32 v113, v72, v100
	v_add_f32_e32 v56, v56, v112
	v_add_f32_e32 v57, v57, v58
	s_waitcnt lgkmcnt(0)
	v_mul_f32_e32 v58, v78, v91
	v_mul_f32_e32 v115, v75, v90
	v_fmac_f32_e32 v114, v74, v101
	v_add_f32_e32 v56, v56, v113
	s_waitcnt vmcnt(3)
	v_fma_f32 v58, v77, v103, -v58
	v_mul_f32_e32 v116, v77, v91
	v_fmac_f32_e32 v115, v76, v102
	v_add_f32_e32 v56, v56, v114
	v_add_f32_e32 v57, v57, v58
	v_mul_f32_e32 v58, v80, v92
	v_mul_f32_e32 v117, v79, v92
	v_fmac_f32_e32 v116, v78, v103
	v_add_f32_e32 v56, v56, v115
	s_waitcnt vmcnt(2)
	v_fma_f32 v58, v79, v104, -v58
	v_fmac_f32_e32 v117, v80, v104
	v_add_f32_e32 v56, v56, v116
	v_add_f32_e32 v57, v57, v58
	;; [unrolled: 1-line block ×3, first 2 shown]
	s_waitcnt vmcnt(1)
	v_sub_f32_e32 v57, v105, v57
	s_waitcnt vmcnt(0)
	v_sub_f32_e32 v56, v106, v56
	buffer_store_dword v57, off, s[0:3], 0 offset:112
	buffer_store_dword v56, off, s[0:3], 0 offset:116
	s_and_saveexec_b64 s[4:5], vcc
	s_cbranch_execz .LBB90_149
; %bb.148:
	buffer_load_dword v56, off, s[0:3], 0 offset:104
	buffer_load_dword v57, off, s[0:3], 0 offset:108
	v_mov_b32_e32 v58, 0
	buffer_store_dword v58, off, s[0:3], 0 offset:104
	buffer_store_dword v58, off, s[0:3], 0 offset:108
	s_waitcnt vmcnt(2)
	ds_write_b64 v55, v[56:57]
.LBB90_149:
	s_or_b64 exec, exec, s[4:5]
	s_waitcnt lgkmcnt(0)
	; wave barrier
	buffer_load_dword v83, off, s[0:3], 0 offset:116
	buffer_load_dword v84, off, s[0:3], 0 offset:124
	;; [unrolled: 1-line block ×28, first 2 shown]
	v_mov_b32_e32 v56, 0
	ds_read_b128 v[57:60], v56 offset:336
	ds_read_b128 v[61:64], v56 offset:352
	;; [unrolled: 1-line block ×6, first 2 shown]
	ds_read_b64 v[81:82], v56 offset:432
	v_cmp_lt_u32_e32 vcc, 12, v0
	s_waitcnt vmcnt(27) lgkmcnt(6)
	v_mul_f32_e32 v111, v57, v83
	v_mul_f32_e32 v83, v58, v83
	s_waitcnt vmcnt(26)
	v_mul_f32_e32 v112, v59, v84
	v_mul_f32_e32 v84, v60, v84
	s_waitcnt vmcnt(25) lgkmcnt(5)
	v_mul_f32_e32 v113, v61, v85
	v_mul_f32_e32 v85, v62, v85
	s_waitcnt vmcnt(24)
	v_mul_f32_e32 v114, v63, v86
	v_mul_f32_e32 v86, v64, v86
	;; [unrolled: 6-line block ×3, first 2 shown]
	s_waitcnt vmcnt(21) lgkmcnt(3)
	v_mul_f32_e32 v117, v69, v89
	s_waitcnt vmcnt(14)
	v_fma_f32 v57, v57, v96, -v83
	v_fmac_f32_e32 v111, v58, v96
	s_waitcnt vmcnt(13)
	v_fma_f32 v58, v59, v97, -v84
	v_add_f32_e32 v57, 0, v57
	s_waitcnt vmcnt(12)
	v_fma_f32 v59, v61, v98, -v85
	v_add_f32_e32 v57, v57, v58
	v_fmac_f32_e32 v112, v60, v97
	s_waitcnt vmcnt(11)
	v_fma_f32 v60, v63, v99, -v86
	v_add_f32_e32 v57, v57, v59
	s_waitcnt vmcnt(10)
	v_fma_f32 v61, v65, v100, -v87
	v_add_f32_e32 v57, v57, v60
	v_fmac_f32_e32 v113, v62, v98
	s_waitcnt vmcnt(9)
	v_fma_f32 v62, v67, v101, -v88
	v_add_f32_e32 v57, v57, v61
	v_mul_f32_e32 v59, v70, v89
	v_add_f32_e32 v57, v57, v62
	s_waitcnt vmcnt(8)
	v_fma_f32 v59, v69, v102, -v59
	v_add_f32_e32 v57, v57, v59
	v_mul_f32_e32 v59, v72, v90
	v_add_f32_e32 v63, 0, v111
	s_waitcnt vmcnt(7)
	v_fma_f32 v59, v71, v103, -v59
	v_add_f32_e32 v63, v63, v112
	v_add_f32_e32 v57, v57, v59
	s_waitcnt lgkmcnt(2)
	v_mul_f32_e32 v59, v74, v91
	v_fmac_f32_e32 v114, v64, v99
	v_add_f32_e32 v58, v63, v113
	s_waitcnt vmcnt(6)
	v_fma_f32 v59, v73, v104, -v59
	v_fmac_f32_e32 v115, v66, v100
	v_add_f32_e32 v58, v58, v114
	v_add_f32_e32 v57, v57, v59
	v_mul_f32_e32 v59, v76, v92
	v_fmac_f32_e32 v116, v68, v101
	v_add_f32_e32 v58, v58, v115
	s_waitcnt vmcnt(5)
	v_fma_f32 v59, v75, v105, -v59
	v_mul_f32_e32 v118, v71, v90
	v_fmac_f32_e32 v117, v70, v102
	v_add_f32_e32 v58, v58, v116
	v_add_f32_e32 v57, v57, v59
	s_waitcnt lgkmcnt(1)
	v_mul_f32_e32 v59, v78, v93
	v_mul_f32_e32 v119, v73, v91
	v_fmac_f32_e32 v118, v72, v103
	v_add_f32_e32 v58, v58, v117
	s_waitcnt vmcnt(4)
	v_fma_f32 v59, v77, v106, -v59
	v_mul_f32_e32 v120, v75, v92
	v_fmac_f32_e32 v119, v74, v104
	v_add_f32_e32 v58, v58, v118
	v_add_f32_e32 v57, v57, v59
	v_mul_f32_e32 v59, v80, v94
	v_mul_f32_e32 v121, v77, v93
	v_fmac_f32_e32 v120, v76, v105
	v_add_f32_e32 v58, v58, v119
	s_waitcnt vmcnt(3)
	v_fma_f32 v59, v79, v107, -v59
	v_mul_f32_e32 v122, v79, v94
	v_fmac_f32_e32 v121, v78, v106
	v_add_f32_e32 v58, v58, v120
	v_add_f32_e32 v57, v57, v59
	s_waitcnt lgkmcnt(0)
	v_mul_f32_e32 v59, v82, v95
	v_mul_f32_e32 v123, v81, v95
	v_fmac_f32_e32 v122, v80, v107
	v_add_f32_e32 v58, v58, v121
	s_waitcnt vmcnt(2)
	v_fma_f32 v59, v81, v108, -v59
	v_fmac_f32_e32 v123, v82, v108
	v_add_f32_e32 v58, v58, v122
	v_add_f32_e32 v57, v57, v59
	;; [unrolled: 1-line block ×3, first 2 shown]
	s_waitcnt vmcnt(1)
	v_sub_f32_e32 v57, v109, v57
	s_waitcnt vmcnt(0)
	v_sub_f32_e32 v58, v110, v58
	buffer_store_dword v57, off, s[0:3], 0 offset:104
	buffer_store_dword v58, off, s[0:3], 0 offset:108
	s_and_saveexec_b64 s[4:5], vcc
	s_cbranch_execz .LBB90_151
; %bb.150:
	buffer_load_dword v57, off, s[0:3], 0 offset:96
	buffer_load_dword v58, off, s[0:3], 0 offset:100
	s_waitcnt vmcnt(0)
	ds_write_b64 v55, v[57:58]
	buffer_store_dword v56, off, s[0:3], 0 offset:96
	buffer_store_dword v56, off, s[0:3], 0 offset:100
.LBB90_151:
	s_or_b64 exec, exec, s[4:5]
	s_waitcnt lgkmcnt(0)
	; wave barrier
	ds_read2_b64 v[57:60], v56 offset0:41 offset1:42
	buffer_load_dword v85, off, s[0:3], 0 offset:96
	buffer_load_dword v86, off, s[0:3], 0 offset:100
	;; [unrolled: 1-line block ×16, first 2 shown]
	v_cmp_lt_u32_e32 vcc, 11, v0
	s_waitcnt vmcnt(12) lgkmcnt(0)
	v_mul_f32_e32 v61, v57, v88
	v_fmac_f32_e32 v61, v58, v87
	s_waitcnt vmcnt(10)
	v_mul_f32_e32 v62, v59, v90
	v_add_f32_e32 v61, 0, v61
	v_fmac_f32_e32 v62, v60, v89
	v_add_f32_e32 v65, v61, v62
	ds_read2_b64 v[61:64], v56 offset0:43 offset1:44
	v_mul_f32_e32 v58, v58, v88
	v_fma_f32 v57, v57, v87, -v58
	v_mul_f32_e32 v58, v60, v90
	v_add_f32_e32 v57, 0, v57
	s_waitcnt vmcnt(8) lgkmcnt(0)
	v_mul_f32_e32 v66, v61, v92
	v_fmac_f32_e32 v66, v62, v91
	v_add_f32_e32 v65, v65, v66
	s_waitcnt vmcnt(6)
	v_mul_f32_e32 v66, v63, v94
	v_fmac_f32_e32 v66, v64, v93
	v_add_f32_e32 v69, v65, v66
	ds_read2_b64 v[65:68], v56 offset0:45 offset1:46
	v_fma_f32 v58, v59, v89, -v58
	v_add_f32_e32 v57, v57, v58
	v_mul_f32_e32 v58, v62, v92
	v_fma_f32 v58, v61, v91, -v58
	s_waitcnt vmcnt(4) lgkmcnt(0)
	v_mul_f32_e32 v70, v65, v96
	v_fmac_f32_e32 v70, v66, v95
	v_add_f32_e32 v69, v69, v70
	s_waitcnt vmcnt(2)
	v_mul_f32_e32 v70, v67, v98
	v_fmac_f32_e32 v70, v68, v97
	v_add_f32_e32 v73, v69, v70
	ds_read2_b64 v[69:72], v56 offset0:47 offset1:48
	buffer_load_dword v101, off, s[0:3], 0 offset:160
	buffer_load_dword v102, off, s[0:3], 0 offset:164
	v_add_f32_e32 v57, v57, v58
	v_mul_f32_e32 v58, v64, v94
	v_fma_f32 v58, v63, v93, -v58
	s_waitcnt vmcnt(2) lgkmcnt(0)
	v_mul_f32_e32 v74, v69, v100
	v_fmac_f32_e32 v74, v70, v99
	v_add_f32_e32 v73, v73, v74
	v_add_f32_e32 v57, v57, v58
	v_mul_f32_e32 v58, v66, v96
	v_fma_f32 v58, v65, v95, -v58
	v_add_f32_e32 v57, v57, v58
	v_mul_f32_e32 v58, v68, v98
	v_fma_f32 v58, v67, v97, -v58
	;; [unrolled: 3-line block ×3, first 2 shown]
	v_add_f32_e32 v57, v57, v58
	s_waitcnt vmcnt(0)
	v_mul_f32_e32 v74, v71, v102
	v_fmac_f32_e32 v74, v72, v101
	v_add_f32_e32 v77, v73, v74
	ds_read2_b64 v[73:76], v56 offset0:49 offset1:50
	buffer_load_dword v103, off, s[0:3], 0 offset:168
	buffer_load_dword v104, off, s[0:3], 0 offset:172
	;; [unrolled: 1-line block ×4, first 2 shown]
	v_mul_f32_e32 v58, v72, v102
	v_fma_f32 v58, v71, v101, -v58
	v_add_f32_e32 v57, v57, v58
	s_waitcnt vmcnt(2) lgkmcnt(0)
	v_mul_f32_e32 v78, v73, v104
	v_fmac_f32_e32 v78, v74, v103
	v_add_f32_e32 v77, v77, v78
	s_waitcnt vmcnt(0)
	v_mul_f32_e32 v78, v75, v106
	v_fmac_f32_e32 v78, v76, v105
	v_add_f32_e32 v81, v77, v78
	ds_read2_b64 v[77:80], v56 offset0:51 offset1:52
	buffer_load_dword v107, off, s[0:3], 0 offset:184
	buffer_load_dword v108, off, s[0:3], 0 offset:188
	;; [unrolled: 1-line block ×4, first 2 shown]
	v_mul_f32_e32 v58, v74, v104
	v_fma_f32 v58, v73, v103, -v58
	v_add_f32_e32 v57, v57, v58
	v_mul_f32_e32 v58, v76, v106
	v_fma_f32 v58, v75, v105, -v58
	v_add_f32_e32 v57, v57, v58
	s_waitcnt vmcnt(2) lgkmcnt(0)
	v_mul_f32_e32 v82, v77, v108
	v_fmac_f32_e32 v82, v78, v107
	v_add_f32_e32 v81, v81, v82
	s_waitcnt vmcnt(0)
	v_mul_f32_e32 v82, v79, v110
	v_fmac_f32_e32 v82, v80, v109
	v_add_f32_e32 v111, v81, v82
	ds_read2_b64 v[81:84], v56 offset0:53 offset1:54
	buffer_load_dword v56, off, s[0:3], 0 offset:200
	buffer_load_dword v112, off, s[0:3], 0 offset:204
	v_mul_f32_e32 v58, v78, v108
	v_fma_f32 v58, v77, v107, -v58
	v_add_f32_e32 v57, v57, v58
	v_mul_f32_e32 v58, v80, v110
	v_fma_f32 v58, v79, v109, -v58
	v_add_f32_e32 v57, v57, v58
	s_waitcnt vmcnt(0) lgkmcnt(0)
	v_mul_f32_e32 v113, v81, v112
	v_fmac_f32_e32 v113, v82, v56
	v_add_f32_e32 v111, v111, v113
	buffer_load_dword v113, off, s[0:3], 0 offset:208
	buffer_load_dword v114, off, s[0:3], 0 offset:212
	v_mul_f32_e32 v58, v82, v112
	v_fma_f32 v56, v81, v56, -v58
	v_add_f32_e32 v56, v57, v56
	s_waitcnt vmcnt(0)
	v_mul_f32_e32 v57, v84, v114
	v_mul_f32_e32 v115, v83, v114
	v_fma_f32 v57, v83, v113, -v57
	v_fmac_f32_e32 v115, v84, v113
	v_add_f32_e32 v56, v56, v57
	v_add_f32_e32 v111, v111, v115
	v_sub_f32_e32 v56, v85, v56
	v_sub_f32_e32 v57, v86, v111
	buffer_store_dword v56, off, s[0:3], 0 offset:96
	buffer_store_dword v57, off, s[0:3], 0 offset:100
	s_and_saveexec_b64 s[4:5], vcc
	s_cbranch_execz .LBB90_153
; %bb.152:
	buffer_load_dword v56, off, s[0:3], 0 offset:88
	buffer_load_dword v57, off, s[0:3], 0 offset:92
	v_mov_b32_e32 v58, 0
	buffer_store_dword v58, off, s[0:3], 0 offset:88
	buffer_store_dword v58, off, s[0:3], 0 offset:92
	s_waitcnt vmcnt(2)
	ds_write_b64 v55, v[56:57]
.LBB90_153:
	s_or_b64 exec, exec, s[4:5]
	v_mov_b32_e32 v56, 0
	s_waitcnt lgkmcnt(0)
	; wave barrier
	ds_read_b128 v[57:60], v56 offset:320
	ds_read_b128 v[61:64], v56 offset:336
	;; [unrolled: 1-line block ×4, first 2 shown]
	buffer_load_dword v87, off, s[0:3], 0 offset:88
	buffer_load_dword v88, off, s[0:3], 0 offset:92
	;; [unrolled: 1-line block ×18, first 2 shown]
	v_cmp_lt_u32_e32 vcc, 10, v0
	s_waitcnt vmcnt(14) lgkmcnt(3)
	v_mul_f32_e32 v73, v57, v90
	v_fmac_f32_e32 v73, v58, v89
	s_waitcnt vmcnt(12)
	v_mul_f32_e32 v74, v59, v92
	v_add_f32_e32 v73, 0, v73
	v_fmac_f32_e32 v74, v60, v91
	v_add_f32_e32 v73, v73, v74
	s_waitcnt vmcnt(10) lgkmcnt(2)
	v_mul_f32_e32 v74, v61, v94
	v_fmac_f32_e32 v74, v62, v93
	v_add_f32_e32 v73, v73, v74
	s_waitcnt vmcnt(8)
	v_mul_f32_e32 v74, v63, v96
	v_fmac_f32_e32 v74, v64, v95
	v_add_f32_e32 v73, v73, v74
	s_waitcnt vmcnt(6) lgkmcnt(1)
	v_mul_f32_e32 v74, v65, v98
	v_fmac_f32_e32 v74, v66, v97
	v_add_f32_e32 v73, v73, v74
	s_waitcnt vmcnt(4)
	v_mul_f32_e32 v74, v67, v100
	;; [unrolled: 8-line block ×3, first 2 shown]
	v_fmac_f32_e32 v74, v72, v103
	v_add_f32_e32 v77, v73, v74
	ds_read_b128 v[73:76], v56 offset:384
	buffer_load_dword v105, off, s[0:3], 0 offset:160
	buffer_load_dword v106, off, s[0:3], 0 offset:164
	;; [unrolled: 1-line block ×4, first 2 shown]
	v_mul_f32_e32 v58, v58, v90
	v_fma_f32 v57, v57, v89, -v58
	v_mul_f32_e32 v58, v60, v92
	v_add_f32_e32 v57, 0, v57
	v_fma_f32 v58, v59, v91, -v58
	v_add_f32_e32 v57, v57, v58
	v_mul_f32_e32 v58, v62, v94
	v_fma_f32 v58, v61, v93, -v58
	v_add_f32_e32 v57, v57, v58
	v_mul_f32_e32 v58, v64, v96
	;; [unrolled: 3-line block ×6, first 2 shown]
	v_fma_f32 v58, v71, v103, -v58
	v_add_f32_e32 v57, v57, v58
	s_waitcnt vmcnt(2) lgkmcnt(0)
	v_mul_f32_e32 v78, v73, v106
	v_fmac_f32_e32 v78, v74, v105
	v_add_f32_e32 v77, v77, v78
	s_waitcnt vmcnt(0)
	v_mul_f32_e32 v78, v75, v108
	v_fmac_f32_e32 v78, v76, v107
	v_add_f32_e32 v81, v77, v78
	ds_read_b128 v[77:80], v56 offset:400
	buffer_load_dword v109, off, s[0:3], 0 offset:176
	buffer_load_dword v110, off, s[0:3], 0 offset:180
	;; [unrolled: 1-line block ×4, first 2 shown]
	v_mul_f32_e32 v58, v74, v106
	v_fma_f32 v58, v73, v105, -v58
	v_add_f32_e32 v57, v57, v58
	v_mul_f32_e32 v58, v76, v108
	v_fma_f32 v58, v75, v107, -v58
	v_add_f32_e32 v57, v57, v58
	s_waitcnt vmcnt(2) lgkmcnt(0)
	v_mul_f32_e32 v82, v77, v110
	v_fmac_f32_e32 v82, v78, v109
	v_add_f32_e32 v81, v81, v82
	s_waitcnt vmcnt(0)
	v_mul_f32_e32 v82, v79, v112
	v_fmac_f32_e32 v82, v80, v111
	v_add_f32_e32 v85, v81, v82
	ds_read_b128 v[81:84], v56 offset:416
	buffer_load_dword v113, off, s[0:3], 0 offset:192
	buffer_load_dword v114, off, s[0:3], 0 offset:196
	;; [unrolled: 1-line block ×4, first 2 shown]
	v_mul_f32_e32 v58, v78, v110
	v_fma_f32 v58, v77, v109, -v58
	v_add_f32_e32 v57, v57, v58
	v_mul_f32_e32 v58, v80, v112
	v_fma_f32 v58, v79, v111, -v58
	v_add_f32_e32 v57, v57, v58
	s_waitcnt vmcnt(2) lgkmcnt(0)
	v_mul_f32_e32 v86, v81, v114
	v_fmac_f32_e32 v86, v82, v113
	v_add_f32_e32 v85, v85, v86
	s_waitcnt vmcnt(0)
	v_mul_f32_e32 v86, v83, v116
	v_fmac_f32_e32 v86, v84, v115
	v_add_f32_e32 v117, v85, v86
	ds_read_b64 v[85:86], v56 offset:432
	buffer_load_dword v118, off, s[0:3], 0 offset:208
	buffer_load_dword v119, off, s[0:3], 0 offset:212
	v_mul_f32_e32 v58, v82, v114
	v_fma_f32 v58, v81, v113, -v58
	v_add_f32_e32 v57, v57, v58
	v_mul_f32_e32 v58, v84, v116
	v_fma_f32 v58, v83, v115, -v58
	v_add_f32_e32 v57, v57, v58
	s_waitcnt vmcnt(0) lgkmcnt(0)
	v_mul_f32_e32 v58, v86, v119
	v_mul_f32_e32 v120, v85, v119
	v_fma_f32 v58, v85, v118, -v58
	v_fmac_f32_e32 v120, v86, v118
	v_add_f32_e32 v57, v57, v58
	v_add_f32_e32 v117, v117, v120
	v_sub_f32_e32 v57, v87, v57
	v_sub_f32_e32 v58, v88, v117
	buffer_store_dword v57, off, s[0:3], 0 offset:88
	buffer_store_dword v58, off, s[0:3], 0 offset:92
	s_and_saveexec_b64 s[4:5], vcc
	s_cbranch_execz .LBB90_155
; %bb.154:
	buffer_load_dword v57, off, s[0:3], 0 offset:80
	buffer_load_dword v58, off, s[0:3], 0 offset:84
	s_waitcnt vmcnt(0)
	ds_write_b64 v55, v[57:58]
	buffer_store_dword v56, off, s[0:3], 0 offset:80
	buffer_store_dword v56, off, s[0:3], 0 offset:84
.LBB90_155:
	s_or_b64 exec, exec, s[4:5]
	s_waitcnt lgkmcnt(0)
	; wave barrier
	ds_read2_b64 v[57:60], v56 offset0:39 offset1:40
	buffer_load_dword v89, off, s[0:3], 0 offset:80
	buffer_load_dword v90, off, s[0:3], 0 offset:84
	;; [unrolled: 1-line block ×16, first 2 shown]
	v_cmp_lt_u32_e32 vcc, 9, v0
	s_waitcnt vmcnt(12) lgkmcnt(0)
	v_mul_f32_e32 v61, v57, v92
	v_fmac_f32_e32 v61, v58, v91
	s_waitcnt vmcnt(10)
	v_mul_f32_e32 v62, v59, v94
	v_add_f32_e32 v61, 0, v61
	v_fmac_f32_e32 v62, v60, v93
	v_add_f32_e32 v65, v61, v62
	ds_read2_b64 v[61:64], v56 offset0:41 offset1:42
	v_mul_f32_e32 v58, v58, v92
	v_fma_f32 v57, v57, v91, -v58
	v_mul_f32_e32 v58, v60, v94
	v_add_f32_e32 v57, 0, v57
	s_waitcnt vmcnt(8) lgkmcnt(0)
	v_mul_f32_e32 v66, v61, v96
	v_fmac_f32_e32 v66, v62, v95
	v_add_f32_e32 v65, v65, v66
	s_waitcnt vmcnt(6)
	v_mul_f32_e32 v66, v63, v98
	v_fmac_f32_e32 v66, v64, v97
	v_add_f32_e32 v69, v65, v66
	ds_read2_b64 v[65:68], v56 offset0:43 offset1:44
	v_fma_f32 v58, v59, v93, -v58
	v_add_f32_e32 v57, v57, v58
	v_mul_f32_e32 v58, v62, v96
	v_fma_f32 v58, v61, v95, -v58
	s_waitcnt vmcnt(4) lgkmcnt(0)
	v_mul_f32_e32 v70, v65, v100
	v_fmac_f32_e32 v70, v66, v99
	v_add_f32_e32 v69, v69, v70
	s_waitcnt vmcnt(2)
	v_mul_f32_e32 v70, v67, v102
	v_fmac_f32_e32 v70, v68, v101
	v_add_f32_e32 v73, v69, v70
	ds_read2_b64 v[69:72], v56 offset0:45 offset1:46
	buffer_load_dword v105, off, s[0:3], 0 offset:144
	buffer_load_dword v106, off, s[0:3], 0 offset:148
	v_add_f32_e32 v57, v57, v58
	v_mul_f32_e32 v58, v64, v98
	v_fma_f32 v58, v63, v97, -v58
	s_waitcnt vmcnt(2) lgkmcnt(0)
	v_mul_f32_e32 v74, v69, v104
	v_fmac_f32_e32 v74, v70, v103
	v_add_f32_e32 v73, v73, v74
	v_add_f32_e32 v57, v57, v58
	v_mul_f32_e32 v58, v66, v100
	v_fma_f32 v58, v65, v99, -v58
	v_add_f32_e32 v57, v57, v58
	v_mul_f32_e32 v58, v68, v102
	v_fma_f32 v58, v67, v101, -v58
	v_add_f32_e32 v57, v57, v58
	v_mul_f32_e32 v58, v70, v104
	v_fma_f32 v58, v69, v103, -v58
	v_add_f32_e32 v57, v57, v58
	s_waitcnt vmcnt(0)
	v_mul_f32_e32 v74, v71, v106
	v_fmac_f32_e32 v74, v72, v105
	v_add_f32_e32 v77, v73, v74
	ds_read2_b64 v[73:76], v56 offset0:47 offset1:48
	buffer_load_dword v107, off, s[0:3], 0 offset:152
	buffer_load_dword v108, off, s[0:3], 0 offset:156
	buffer_load_dword v109, off, s[0:3], 0 offset:160
	buffer_load_dword v110, off, s[0:3], 0 offset:164
	v_mul_f32_e32 v58, v72, v106
	v_fma_f32 v58, v71, v105, -v58
	v_add_f32_e32 v57, v57, v58
	s_waitcnt vmcnt(2) lgkmcnt(0)
	v_mul_f32_e32 v78, v73, v108
	v_fmac_f32_e32 v78, v74, v107
	v_add_f32_e32 v77, v77, v78
	s_waitcnt vmcnt(0)
	v_mul_f32_e32 v78, v75, v110
	v_fmac_f32_e32 v78, v76, v109
	v_add_f32_e32 v81, v77, v78
	ds_read2_b64 v[77:80], v56 offset0:49 offset1:50
	buffer_load_dword v111, off, s[0:3], 0 offset:168
	buffer_load_dword v112, off, s[0:3], 0 offset:172
	;; [unrolled: 1-line block ×4, first 2 shown]
	v_mul_f32_e32 v58, v74, v108
	v_fma_f32 v58, v73, v107, -v58
	v_add_f32_e32 v57, v57, v58
	v_mul_f32_e32 v58, v76, v110
	v_fma_f32 v58, v75, v109, -v58
	v_add_f32_e32 v57, v57, v58
	s_waitcnt vmcnt(2) lgkmcnt(0)
	v_mul_f32_e32 v82, v77, v112
	v_fmac_f32_e32 v82, v78, v111
	v_add_f32_e32 v81, v81, v82
	s_waitcnt vmcnt(0)
	v_mul_f32_e32 v82, v79, v114
	v_fmac_f32_e32 v82, v80, v113
	v_add_f32_e32 v85, v81, v82
	ds_read2_b64 v[81:84], v56 offset0:51 offset1:52
	buffer_load_dword v115, off, s[0:3], 0 offset:184
	buffer_load_dword v116, off, s[0:3], 0 offset:188
	;; [unrolled: 1-line block ×4, first 2 shown]
	v_mul_f32_e32 v58, v78, v112
	v_fma_f32 v58, v77, v111, -v58
	v_add_f32_e32 v57, v57, v58
	v_mul_f32_e32 v58, v80, v114
	v_fma_f32 v58, v79, v113, -v58
	v_add_f32_e32 v57, v57, v58
	s_waitcnt vmcnt(2) lgkmcnt(0)
	v_mul_f32_e32 v86, v81, v116
	v_fmac_f32_e32 v86, v82, v115
	v_add_f32_e32 v85, v85, v86
	s_waitcnt vmcnt(0)
	v_mul_f32_e32 v86, v83, v118
	v_fmac_f32_e32 v86, v84, v117
	v_add_f32_e32 v119, v85, v86
	ds_read2_b64 v[85:88], v56 offset0:53 offset1:54
	buffer_load_dword v56, off, s[0:3], 0 offset:200
	buffer_load_dword v120, off, s[0:3], 0 offset:204
	v_mul_f32_e32 v58, v82, v116
	v_fma_f32 v58, v81, v115, -v58
	v_add_f32_e32 v57, v57, v58
	v_mul_f32_e32 v58, v84, v118
	v_fma_f32 v58, v83, v117, -v58
	v_add_f32_e32 v57, v57, v58
	s_waitcnt vmcnt(0) lgkmcnt(0)
	v_mul_f32_e32 v121, v85, v120
	v_fmac_f32_e32 v121, v86, v56
	v_add_f32_e32 v119, v119, v121
	buffer_load_dword v121, off, s[0:3], 0 offset:208
	buffer_load_dword v122, off, s[0:3], 0 offset:212
	v_mul_f32_e32 v58, v86, v120
	v_fma_f32 v56, v85, v56, -v58
	v_add_f32_e32 v56, v57, v56
	s_waitcnt vmcnt(0)
	v_mul_f32_e32 v57, v88, v122
	v_mul_f32_e32 v123, v87, v122
	v_fma_f32 v57, v87, v121, -v57
	v_fmac_f32_e32 v123, v88, v121
	v_add_f32_e32 v56, v56, v57
	v_add_f32_e32 v119, v119, v123
	v_sub_f32_e32 v56, v89, v56
	v_sub_f32_e32 v57, v90, v119
	buffer_store_dword v56, off, s[0:3], 0 offset:80
	buffer_store_dword v57, off, s[0:3], 0 offset:84
	s_and_saveexec_b64 s[4:5], vcc
	s_cbranch_execz .LBB90_157
; %bb.156:
	buffer_load_dword v56, off, s[0:3], 0 offset:72
	buffer_load_dword v57, off, s[0:3], 0 offset:76
	v_mov_b32_e32 v58, 0
	buffer_store_dword v58, off, s[0:3], 0 offset:72
	buffer_store_dword v58, off, s[0:3], 0 offset:76
	s_waitcnt vmcnt(2)
	ds_write_b64 v55, v[56:57]
.LBB90_157:
	s_or_b64 exec, exec, s[4:5]
	s_waitcnt lgkmcnt(0)
	; wave barrier
	buffer_load_dword v91, off, s[0:3], 0 offset:84
	buffer_load_dword v92, off, s[0:3], 0 offset:92
	;; [unrolled: 1-line block ×36, first 2 shown]
	v_mov_b32_e32 v56, 0
	ds_read_b128 v[57:60], v56 offset:304
	ds_read_b128 v[61:64], v56 offset:320
	;; [unrolled: 1-line block ×8, first 2 shown]
	ds_read_b64 v[89:90], v56 offset:432
	v_cmp_lt_u32_e32 vcc, 8, v0
	s_waitcnt vmcnt(35) lgkmcnt(8)
	v_mul_f32_e32 v127, v57, v91
	s_waitcnt vmcnt(34)
	v_mul_f32_e32 v128, v59, v92
	s_waitcnt vmcnt(33) lgkmcnt(7)
	v_mul_f32_e32 v129, v61, v93
	s_waitcnt vmcnt(32)
	v_mul_f32_e32 v130, v63, v94
	;; [unrolled: 4-line block ×8, first 2 shown]
	s_waitcnt vmcnt(19) lgkmcnt(0)
	v_mul_f32_e32 v143, v89, v107
	s_waitcnt vmcnt(18)
	v_fmac_f32_e32 v127, v58, v108
	v_mul_f32_e32 v58, v58, v91
	v_fma_f32 v57, v57, v108, -v58
	v_mul_f32_e32 v58, v60, v92
	v_add_f32_e32 v57, 0, v57
	s_waitcnt vmcnt(17)
	v_fma_f32 v58, v59, v109, -v58
	v_add_f32_e32 v57, v57, v58
	v_mul_f32_e32 v58, v62, v93
	s_waitcnt vmcnt(16)
	v_fma_f32 v58, v61, v110, -v58
	v_add_f32_e32 v57, v57, v58
	v_mul_f32_e32 v58, v64, v94
	;; [unrolled: 4-line block ×8, first 2 shown]
	v_fmac_f32_e32 v128, v60, v109
	v_add_f32_e32 v127, 0, v127
	s_waitcnt vmcnt(9)
	v_fma_f32 v58, v75, v117, -v58
	v_fmac_f32_e32 v129, v62, v110
	v_add_f32_e32 v127, v127, v128
	v_add_f32_e32 v57, v57, v58
	v_mul_f32_e32 v58, v78, v101
	v_fmac_f32_e32 v130, v64, v111
	v_add_f32_e32 v127, v127, v129
	s_waitcnt vmcnt(8)
	v_fma_f32 v58, v77, v118, -v58
	v_fmac_f32_e32 v131, v66, v112
	v_add_f32_e32 v127, v127, v130
	v_add_f32_e32 v57, v57, v58
	v_mul_f32_e32 v58, v80, v102
	;; [unrolled: 8-line block ×7, first 2 shown]
	v_fmac_f32_e32 v142, v88, v123
	v_add_f32_e32 v127, v127, v141
	s_waitcnt vmcnt(2)
	v_fma_f32 v58, v89, v124, -v58
	v_fmac_f32_e32 v143, v90, v124
	v_add_f32_e32 v127, v127, v142
	v_add_f32_e32 v57, v57, v58
	;; [unrolled: 1-line block ×3, first 2 shown]
	s_waitcnt vmcnt(1)
	v_sub_f32_e32 v57, v125, v57
	s_waitcnt vmcnt(0)
	v_sub_f32_e32 v58, v126, v127
	buffer_store_dword v57, off, s[0:3], 0 offset:72
	buffer_store_dword v58, off, s[0:3], 0 offset:76
	s_and_saveexec_b64 s[4:5], vcc
	s_cbranch_execz .LBB90_159
; %bb.158:
	buffer_load_dword v57, off, s[0:3], 0 offset:64
	buffer_load_dword v58, off, s[0:3], 0 offset:68
	s_waitcnt vmcnt(0)
	ds_write_b64 v55, v[57:58]
	buffer_store_dword v56, off, s[0:3], 0 offset:64
	buffer_store_dword v56, off, s[0:3], 0 offset:68
.LBB90_159:
	s_or_b64 exec, exec, s[4:5]
	s_waitcnt lgkmcnt(0)
	; wave barrier
	buffer_load_dword v93, off, s[0:3], 0 offset:76
	buffer_load_dword v94, off, s[0:3], 0 offset:84
	;; [unrolled: 1-line block ×38, first 2 shown]
	ds_read2_b64 v[57:60], v56 offset0:37 offset1:38
	ds_read2_b64 v[61:64], v56 offset0:39 offset1:40
	;; [unrolled: 1-line block ×9, first 2 shown]
	v_cmp_lt_u32_e32 vcc, 7, v0
	s_waitcnt vmcnt(37) lgkmcnt(8)
	v_mul_f32_e32 v56, v57, v93
	s_waitcnt vmcnt(36)
	v_mul_f32_e32 v131, v59, v94
	s_waitcnt vmcnt(35) lgkmcnt(7)
	v_mul_f32_e32 v132, v61, v95
	s_waitcnt vmcnt(34)
	v_mul_f32_e32 v133, v63, v96
	;; [unrolled: 4-line block ×8, first 2 shown]
	s_waitcnt vmcnt(21) lgkmcnt(0)
	v_mul_f32_e32 v146, v89, v109
	s_waitcnt vmcnt(20)
	v_fmac_f32_e32 v56, v58, v110
	v_mul_f32_e32 v58, v58, v93
	v_fma_f32 v57, v57, v110, -v58
	v_mul_f32_e32 v58, v60, v94
	v_add_f32_e32 v57, 0, v57
	s_waitcnt vmcnt(19)
	v_fma_f32 v58, v59, v111, -v58
	v_add_f32_e32 v57, v57, v58
	v_mul_f32_e32 v58, v62, v95
	s_waitcnt vmcnt(18)
	v_fma_f32 v58, v61, v112, -v58
	v_add_f32_e32 v57, v57, v58
	v_mul_f32_e32 v58, v64, v96
	;; [unrolled: 4-line block ×8, first 2 shown]
	s_waitcnt vmcnt(11)
	v_fma_f32 v58, v75, v119, -v58
	v_fmac_f32_e32 v131, v60, v111
	v_add_f32_e32 v56, 0, v56
	v_add_f32_e32 v57, v57, v58
	v_mul_f32_e32 v58, v78, v103
	v_fmac_f32_e32 v132, v62, v112
	v_add_f32_e32 v56, v56, v131
	s_waitcnt vmcnt(10)
	v_fma_f32 v58, v77, v120, -v58
	v_fmac_f32_e32 v133, v64, v113
	v_add_f32_e32 v56, v56, v132
	v_add_f32_e32 v57, v57, v58
	v_mul_f32_e32 v58, v80, v104
	v_fmac_f32_e32 v134, v66, v114
	v_add_f32_e32 v56, v56, v133
	;; [unrolled: 8-line block ×7, first 2 shown]
	s_waitcnt vmcnt(4)
	v_fma_f32 v58, v89, v126, -v58
	v_fmac_f32_e32 v145, v88, v125
	v_add_f32_e32 v56, v56, v144
	v_add_f32_e32 v57, v57, v58
	s_waitcnt vmcnt(3)
	v_mul_f32_e32 v58, v92, v127
	v_add_f32_e32 v56, v56, v145
	v_fmac_f32_e32 v146, v90, v126
	v_mul_f32_e32 v131, v91, v127
	s_waitcnt vmcnt(2)
	v_fma_f32 v58, v91, v128, -v58
	v_add_f32_e32 v56, v56, v146
	v_fmac_f32_e32 v131, v92, v128
	v_add_f32_e32 v57, v57, v58
	v_add_f32_e32 v56, v56, v131
	s_waitcnt vmcnt(1)
	v_sub_f32_e32 v57, v129, v57
	s_waitcnt vmcnt(0)
	v_sub_f32_e32 v56, v130, v56
	buffer_store_dword v57, off, s[0:3], 0 offset:64
	buffer_store_dword v56, off, s[0:3], 0 offset:68
	s_and_saveexec_b64 s[4:5], vcc
	s_cbranch_execz .LBB90_161
; %bb.160:
	buffer_load_dword v56, off, s[0:3], 0 offset:56
	buffer_load_dword v57, off, s[0:3], 0 offset:60
	v_mov_b32_e32 v58, 0
	buffer_store_dword v58, off, s[0:3], 0 offset:56
	buffer_store_dword v58, off, s[0:3], 0 offset:60
	s_waitcnt vmcnt(2)
	ds_write_b64 v55, v[56:57]
.LBB90_161:
	s_or_b64 exec, exec, s[4:5]
	s_waitcnt lgkmcnt(0)
	; wave barrier
	buffer_load_dword v95, off, s[0:3], 0 offset:68
	buffer_load_dword v96, off, s[0:3], 0 offset:76
	;; [unrolled: 1-line block ×40, first 2 shown]
	v_mov_b32_e32 v56, 0
	ds_read_b128 v[57:60], v56 offset:288
	ds_read_b128 v[61:64], v56 offset:304
	;; [unrolled: 1-line block ×9, first 2 shown]
	v_cmp_lt_u32_e32 vcc, 6, v0
	s_waitcnt vmcnt(39) lgkmcnt(8)
	v_mul_f32_e32 v93, v57, v95
	s_waitcnt vmcnt(38)
	v_mul_f32_e32 v94, v59, v96
	s_waitcnt vmcnt(37) lgkmcnt(7)
	v_mul_f32_e32 v135, v61, v97
	s_waitcnt vmcnt(36)
	v_mul_f32_e32 v136, v63, v98
	;; [unrolled: 4-line block ×7, first 2 shown]
	s_waitcnt vmcnt(25) lgkmcnt(1)
	v_mul_f32_e32 v147, v85, v109
	s_waitcnt vmcnt(24)
	v_fmac_f32_e32 v93, v58, v110
	v_mul_f32_e32 v58, v58, v95
	v_fma_f32 v57, v57, v110, -v58
	v_mul_f32_e32 v58, v60, v96
	v_add_f32_e32 v57, 0, v57
	s_waitcnt vmcnt(23)
	v_fma_f32 v58, v59, v111, -v58
	v_add_f32_e32 v57, v57, v58
	v_mul_f32_e32 v58, v62, v97
	s_waitcnt vmcnt(22)
	v_fma_f32 v58, v61, v112, -v58
	v_add_f32_e32 v57, v57, v58
	v_mul_f32_e32 v58, v64, v98
	;; [unrolled: 4-line block ×6, first 2 shown]
	s_waitcnt vmcnt(17)
	v_fma_f32 v58, v71, v117, -v58
	v_fmac_f32_e32 v94, v60, v111
	v_add_f32_e32 v93, 0, v93
	v_add_f32_e32 v57, v57, v58
	v_mul_f32_e32 v58, v74, v103
	v_fmac_f32_e32 v135, v62, v112
	v_add_f32_e32 v93, v93, v94
	s_waitcnt vmcnt(16)
	v_fma_f32 v58, v73, v118, -v58
	v_fmac_f32_e32 v136, v64, v113
	v_add_f32_e32 v93, v93, v135
	v_add_f32_e32 v57, v57, v58
	v_mul_f32_e32 v58, v76, v104
	v_fmac_f32_e32 v137, v66, v114
	v_add_f32_e32 v93, v93, v136
	;; [unrolled: 8-line block ×6, first 2 shown]
	s_waitcnt vmcnt(11)
	v_fma_f32 v58, v83, v123, -v58
	v_fmac_f32_e32 v146, v84, v123
	v_add_f32_e32 v93, v93, v145
	v_add_f32_e32 v57, v57, v58
	v_mul_f32_e32 v58, v86, v109
	s_waitcnt vmcnt(10)
	v_fmac_f32_e32 v147, v86, v124
	v_add_f32_e32 v93, v93, v146
	s_waitcnt vmcnt(9)
	v_mul_f32_e32 v94, v87, v125
	v_fma_f32 v58, v85, v124, -v58
	v_add_f32_e32 v93, v93, v147
	s_waitcnt vmcnt(8)
	v_fmac_f32_e32 v94, v88, v126
	v_add_f32_e32 v57, v57, v58
	v_mul_f32_e32 v58, v88, v125
	v_add_f32_e32 v135, v93, v94
	ds_read_b64 v[93:94], v56 offset:432
	v_fma_f32 v58, v87, v126, -v58
	v_add_f32_e32 v57, v57, v58
	s_waitcnt vmcnt(7) lgkmcnt(1)
	v_mul_f32_e32 v58, v90, v127
	v_mul_f32_e32 v136, v89, v127
	s_waitcnt vmcnt(6)
	v_fma_f32 v58, v89, v128, -v58
	v_fmac_f32_e32 v136, v90, v128
	v_add_f32_e32 v57, v57, v58
	s_waitcnt vmcnt(5)
	v_mul_f32_e32 v58, v92, v129
	v_add_f32_e32 v135, v135, v136
	v_mul_f32_e32 v136, v91, v129
	s_waitcnt vmcnt(4)
	v_fma_f32 v58, v91, v130, -v58
	v_fmac_f32_e32 v136, v92, v130
	v_add_f32_e32 v57, v57, v58
	s_waitcnt vmcnt(3) lgkmcnt(0)
	v_mul_f32_e32 v58, v94, v131
	v_add_f32_e32 v135, v135, v136
	v_mul_f32_e32 v136, v93, v131
	s_waitcnt vmcnt(2)
	v_fma_f32 v58, v93, v132, -v58
	v_fmac_f32_e32 v136, v94, v132
	v_add_f32_e32 v57, v57, v58
	v_add_f32_e32 v135, v135, v136
	s_waitcnt vmcnt(1)
	v_sub_f32_e32 v57, v133, v57
	s_waitcnt vmcnt(0)
	v_sub_f32_e32 v58, v134, v135
	buffer_store_dword v57, off, s[0:3], 0 offset:56
	buffer_store_dword v58, off, s[0:3], 0 offset:60
	s_and_saveexec_b64 s[4:5], vcc
	s_cbranch_execz .LBB90_163
; %bb.162:
	buffer_load_dword v57, off, s[0:3], 0 offset:48
	buffer_load_dword v58, off, s[0:3], 0 offset:52
	s_waitcnt vmcnt(0)
	ds_write_b64 v55, v[57:58]
	buffer_store_dword v56, off, s[0:3], 0 offset:48
	buffer_store_dword v56, off, s[0:3], 0 offset:52
.LBB90_163:
	s_or_b64 exec, exec, s[4:5]
	s_waitcnt lgkmcnt(0)
	; wave barrier
	buffer_load_dword v97, off, s[0:3], 0 offset:60
	buffer_load_dword v98, off, s[0:3], 0 offset:68
	;; [unrolled: 1-line block ×42, first 2 shown]
	ds_read2_b64 v[57:60], v56 offset0:35 offset1:36
	ds_read2_b64 v[61:64], v56 offset0:37 offset1:38
	;; [unrolled: 1-line block ×8, first 2 shown]
	v_cmp_lt_u32_e32 vcc, 5, v0
	s_waitcnt vmcnt(41) lgkmcnt(7)
	v_mul_f32_e32 v89, v57, v97
	s_waitcnt vmcnt(40)
	v_mul_f32_e32 v90, v59, v98
	s_waitcnt vmcnt(39) lgkmcnt(6)
	v_mul_f32_e32 v91, v61, v99
	s_waitcnt vmcnt(38)
	v_mul_f32_e32 v92, v63, v100
	;; [unrolled: 4-line block ×7, first 2 shown]
	s_waitcnt vmcnt(27) lgkmcnt(0)
	v_mul_f32_e32 v145, v85, v111
	s_waitcnt vmcnt(26)
	v_fmac_f32_e32 v89, v58, v112
	v_mul_f32_e32 v58, v58, v97
	v_fma_f32 v57, v57, v112, -v58
	v_mul_f32_e32 v58, v60, v98
	v_add_f32_e32 v57, 0, v57
	s_waitcnt vmcnt(25)
	v_fma_f32 v58, v59, v113, -v58
	v_add_f32_e32 v57, v57, v58
	v_mul_f32_e32 v58, v62, v99
	s_waitcnt vmcnt(24)
	v_fma_f32 v58, v61, v114, -v58
	v_add_f32_e32 v57, v57, v58
	v_mul_f32_e32 v58, v64, v100
	;; [unrolled: 4-line block ×5, first 2 shown]
	v_fmac_f32_e32 v90, v60, v113
	v_add_f32_e32 v89, 0, v89
	s_waitcnt vmcnt(20)
	v_fma_f32 v58, v69, v118, -v58
	v_fmac_f32_e32 v91, v62, v114
	v_add_f32_e32 v89, v89, v90
	v_add_f32_e32 v57, v57, v58
	v_mul_f32_e32 v58, v72, v104
	v_fmac_f32_e32 v92, v64, v115
	v_add_f32_e32 v89, v89, v91
	s_waitcnt vmcnt(19)
	v_fma_f32 v58, v71, v119, -v58
	v_fmac_f32_e32 v93, v66, v116
	v_add_f32_e32 v89, v89, v92
	v_add_f32_e32 v57, v57, v58
	v_mul_f32_e32 v58, v74, v105
	;; [unrolled: 8-line block ×5, first 2 shown]
	s_waitcnt vmcnt(15)
	v_fmac_f32_e32 v142, v80, v123
	v_add_f32_e32 v89, v89, v141
	v_fma_f32 v58, v79, v123, -v58
	s_waitcnt vmcnt(14)
	v_fmac_f32_e32 v143, v82, v124
	v_add_f32_e32 v89, v89, v142
	v_add_f32_e32 v57, v57, v58
	v_mul_f32_e32 v58, v82, v109
	s_waitcnt vmcnt(13)
	v_fmac_f32_e32 v144, v84, v125
	v_add_f32_e32 v89, v89, v143
	v_fma_f32 v58, v81, v124, -v58
	s_waitcnt vmcnt(12)
	v_fmac_f32_e32 v145, v86, v126
	v_add_f32_e32 v89, v89, v144
	v_add_f32_e32 v57, v57, v58
	v_mul_f32_e32 v58, v84, v110
	v_add_f32_e32 v93, v89, v145
	ds_read2_b64 v[89:92], v56 offset0:51 offset1:52
	v_fma_f32 v58, v83, v125, -v58
	v_add_f32_e32 v57, v57, v58
	v_mul_f32_e32 v58, v86, v111
	s_waitcnt vmcnt(11)
	v_mul_f32_e32 v94, v87, v127
	v_fma_f32 v58, v85, v126, -v58
	s_waitcnt vmcnt(10)
	v_fmac_f32_e32 v94, v88, v128
	v_add_f32_e32 v57, v57, v58
	v_mul_f32_e32 v58, v88, v127
	v_add_f32_e32 v139, v93, v94
	ds_read2_b64 v[93:96], v56 offset0:53 offset1:54
	v_fma_f32 v58, v87, v128, -v58
	v_add_f32_e32 v57, v57, v58
	s_waitcnt vmcnt(9) lgkmcnt(1)
	v_mul_f32_e32 v58, v90, v129
	v_mul_f32_e32 v56, v89, v129
	s_waitcnt vmcnt(8)
	v_fma_f32 v58, v89, v130, -v58
	v_fmac_f32_e32 v56, v90, v130
	v_add_f32_e32 v57, v57, v58
	s_waitcnt vmcnt(7)
	v_mul_f32_e32 v58, v92, v131
	v_add_f32_e32 v56, v139, v56
	v_mul_f32_e32 v139, v91, v131
	s_waitcnt vmcnt(6)
	v_fma_f32 v58, v91, v132, -v58
	v_fmac_f32_e32 v139, v92, v132
	v_add_f32_e32 v57, v57, v58
	s_waitcnt vmcnt(5) lgkmcnt(0)
	v_mul_f32_e32 v58, v94, v133
	v_add_f32_e32 v56, v56, v139
	v_mul_f32_e32 v139, v93, v133
	s_waitcnt vmcnt(4)
	v_fma_f32 v58, v93, v134, -v58
	v_fmac_f32_e32 v139, v94, v134
	v_add_f32_e32 v57, v57, v58
	s_waitcnt vmcnt(3)
	v_mul_f32_e32 v58, v96, v135
	v_add_f32_e32 v56, v56, v139
	v_mul_f32_e32 v139, v95, v135
	s_waitcnt vmcnt(2)
	v_fma_f32 v58, v95, v136, -v58
	v_fmac_f32_e32 v139, v96, v136
	v_add_f32_e32 v57, v57, v58
	v_add_f32_e32 v56, v56, v139
	s_waitcnt vmcnt(1)
	v_sub_f32_e32 v57, v137, v57
	s_waitcnt vmcnt(0)
	v_sub_f32_e32 v56, v138, v56
	buffer_store_dword v57, off, s[0:3], 0 offset:48
	buffer_store_dword v56, off, s[0:3], 0 offset:52
	s_and_saveexec_b64 s[4:5], vcc
	s_cbranch_execz .LBB90_165
; %bb.164:
	buffer_load_dword v56, off, s[0:3], 0 offset:40
	buffer_load_dword v57, off, s[0:3], 0 offset:44
	v_mov_b32_e32 v58, 0
	buffer_store_dword v58, off, s[0:3], 0 offset:40
	buffer_store_dword v58, off, s[0:3], 0 offset:44
	s_waitcnt vmcnt(2)
	ds_write_b64 v55, v[56:57]
.LBB90_165:
	s_or_b64 exec, exec, s[4:5]
	s_waitcnt lgkmcnt(0)
	; wave barrier
	buffer_load_dword v99, off, s[0:3], 0 offset:52
	buffer_load_dword v100, off, s[0:3], 0 offset:60
	;; [unrolled: 1-line block ×44, first 2 shown]
	v_mov_b32_e32 v56, 0
	ds_read_b128 v[57:60], v56 offset:272
	ds_read_b128 v[61:64], v56 offset:288
	;; [unrolled: 1-line block ×8, first 2 shown]
	v_cmp_lt_u32_e32 vcc, 4, v0
	s_waitcnt vmcnt(43) lgkmcnt(7)
	v_mul_f32_e32 v89, v57, v99
	s_waitcnt vmcnt(42)
	v_mul_f32_e32 v90, v59, v100
	s_waitcnt vmcnt(41) lgkmcnt(6)
	v_mul_f32_e32 v91, v61, v101
	s_waitcnt vmcnt(40)
	v_mul_f32_e32 v92, v63, v102
	;; [unrolled: 4-line block ×7, first 2 shown]
	s_waitcnt vmcnt(29)
	v_fmac_f32_e32 v89, v58, v113
	v_mul_f32_e32 v58, v58, v99
	v_fma_f32 v57, v57, v113, -v58
	v_mul_f32_e32 v58, v60, v100
	v_add_f32_e32 v57, 0, v57
	s_waitcnt vmcnt(28)
	v_fma_f32 v58, v59, v114, -v58
	v_add_f32_e32 v57, v57, v58
	v_mul_f32_e32 v58, v62, v101
	s_waitcnt vmcnt(27)
	v_fma_f32 v58, v61, v115, -v58
	v_add_f32_e32 v57, v57, v58
	v_mul_f32_e32 v58, v64, v102
	;; [unrolled: 4-line block ×4, first 2 shown]
	s_waitcnt vmcnt(24)
	v_fma_f32 v58, v67, v118, -v58
	v_fmac_f32_e32 v90, v60, v114
	v_add_f32_e32 v89, 0, v89
	v_add_f32_e32 v57, v57, v58
	v_mul_f32_e32 v58, v70, v105
	v_fmac_f32_e32 v91, v62, v115
	v_add_f32_e32 v89, v89, v90
	s_waitcnt vmcnt(23)
	v_fma_f32 v58, v69, v119, -v58
	v_fmac_f32_e32 v92, v64, v116
	v_add_f32_e32 v89, v89, v91
	v_add_f32_e32 v57, v57, v58
	v_mul_f32_e32 v58, v72, v106
	v_fmac_f32_e32 v93, v66, v117
	v_add_f32_e32 v89, v89, v92
	;; [unrolled: 8-line block ×4, first 2 shown]
	s_waitcnt vmcnt(20)
	v_fma_f32 v58, v75, v122, -v58
	v_fmac_f32_e32 v98, v76, v122
	v_add_f32_e32 v89, v89, v97
	v_add_f32_e32 v57, v57, v58
	v_mul_f32_e32 v58, v78, v109
	s_waitcnt vmcnt(19)
	v_fmac_f32_e32 v143, v78, v123
	v_add_f32_e32 v89, v89, v98
	v_fma_f32 v58, v77, v123, -v58
	s_waitcnt vmcnt(18)
	v_fmac_f32_e32 v144, v80, v124
	v_add_f32_e32 v89, v89, v143
	v_add_f32_e32 v57, v57, v58
	v_mul_f32_e32 v58, v80, v110
	s_waitcnt vmcnt(17)
	v_fmac_f32_e32 v145, v82, v125
	v_add_f32_e32 v89, v89, v144
	v_fma_f32 v58, v79, v124, -v58
	v_add_f32_e32 v89, v89, v145
	s_waitcnt vmcnt(16)
	v_fmac_f32_e32 v146, v84, v126
	s_waitcnt vmcnt(15) lgkmcnt(0)
	v_mul_f32_e32 v90, v85, v127
	v_add_f32_e32 v57, v57, v58
	v_mul_f32_e32 v58, v82, v111
	v_add_f32_e32 v89, v89, v146
	s_waitcnt vmcnt(14)
	v_fmac_f32_e32 v90, v86, v128
	v_fma_f32 v58, v81, v125, -v58
	v_add_f32_e32 v93, v89, v90
	ds_read_b128 v[89:92], v56 offset:400
	v_add_f32_e32 v57, v57, v58
	v_mul_f32_e32 v58, v84, v112
	v_fma_f32 v58, v83, v126, -v58
	v_add_f32_e32 v57, v57, v58
	v_mul_f32_e32 v58, v86, v127
	s_waitcnt vmcnt(13)
	v_mul_f32_e32 v94, v87, v129
	v_fma_f32 v58, v85, v128, -v58
	s_waitcnt vmcnt(12)
	v_fmac_f32_e32 v94, v88, v130
	v_add_f32_e32 v57, v57, v58
	v_mul_f32_e32 v58, v88, v129
	v_add_f32_e32 v97, v93, v94
	ds_read_b128 v[93:96], v56 offset:416
	s_waitcnt vmcnt(11) lgkmcnt(1)
	v_mul_f32_e32 v98, v89, v131
	v_fma_f32 v58, v87, v130, -v58
	s_waitcnt vmcnt(10)
	v_fmac_f32_e32 v98, v90, v132
	v_add_f32_e32 v57, v57, v58
	v_mul_f32_e32 v58, v90, v131
	v_add_f32_e32 v97, v97, v98
	s_waitcnt vmcnt(9)
	v_mul_f32_e32 v98, v91, v133
	v_fma_f32 v58, v89, v132, -v58
	s_waitcnt vmcnt(8)
	v_fmac_f32_e32 v98, v92, v134
	v_add_f32_e32 v57, v57, v58
	v_mul_f32_e32 v58, v92, v133
	v_add_f32_e32 v143, v97, v98
	ds_read_b64 v[97:98], v56 offset:432
	v_fma_f32 v58, v91, v134, -v58
	v_add_f32_e32 v57, v57, v58
	s_waitcnt vmcnt(7) lgkmcnt(1)
	v_mul_f32_e32 v58, v94, v135
	v_mul_f32_e32 v144, v93, v135
	s_waitcnt vmcnt(6)
	v_fma_f32 v58, v93, v136, -v58
	v_fmac_f32_e32 v144, v94, v136
	v_add_f32_e32 v57, v57, v58
	s_waitcnt vmcnt(5)
	v_mul_f32_e32 v58, v96, v137
	v_add_f32_e32 v143, v143, v144
	v_mul_f32_e32 v144, v95, v137
	s_waitcnt vmcnt(4)
	v_fma_f32 v58, v95, v138, -v58
	v_fmac_f32_e32 v144, v96, v138
	v_add_f32_e32 v57, v57, v58
	s_waitcnt vmcnt(3) lgkmcnt(0)
	v_mul_f32_e32 v58, v98, v139
	v_add_f32_e32 v143, v143, v144
	v_mul_f32_e32 v144, v97, v139
	s_waitcnt vmcnt(2)
	v_fma_f32 v58, v97, v140, -v58
	v_fmac_f32_e32 v144, v98, v140
	v_add_f32_e32 v57, v57, v58
	v_add_f32_e32 v143, v143, v144
	s_waitcnt vmcnt(1)
	v_sub_f32_e32 v57, v141, v57
	s_waitcnt vmcnt(0)
	v_sub_f32_e32 v58, v142, v143
	buffer_store_dword v57, off, s[0:3], 0 offset:40
	buffer_store_dword v58, off, s[0:3], 0 offset:44
	s_and_saveexec_b64 s[4:5], vcc
	s_cbranch_execz .LBB90_167
; %bb.166:
	buffer_load_dword v57, off, s[0:3], 0 offset:32
	buffer_load_dword v58, off, s[0:3], 0 offset:36
	s_waitcnt vmcnt(0)
	ds_write_b64 v55, v[57:58]
	buffer_store_dword v56, off, s[0:3], 0 offset:32
	buffer_store_dword v56, off, s[0:3], 0 offset:36
.LBB90_167:
	s_or_b64 exec, exec, s[4:5]
	s_waitcnt lgkmcnt(0)
	; wave barrier
	buffer_load_dword v101, off, s[0:3], 0 offset:44
	buffer_load_dword v102, off, s[0:3], 0 offset:52
	;; [unrolled: 1-line block ×46, first 2 shown]
	ds_read2_b64 v[57:60], v56 offset0:33 offset1:34
	ds_read2_b64 v[61:64], v56 offset0:35 offset1:36
	;; [unrolled: 1-line block ×8, first 2 shown]
	v_cmp_lt_u32_e32 vcc, 3, v0
	s_waitcnt vmcnt(45) lgkmcnt(7)
	v_mul_f32_e32 v89, v57, v101
	s_waitcnt vmcnt(44)
	v_mul_f32_e32 v90, v59, v102
	s_waitcnt vmcnt(43) lgkmcnt(6)
	v_mul_f32_e32 v91, v61, v103
	s_waitcnt vmcnt(42)
	v_mul_f32_e32 v92, v63, v104
	s_waitcnt vmcnt(41) lgkmcnt(5)
	v_mul_f32_e32 v93, v65, v105
	s_waitcnt vmcnt(40)
	v_mul_f32_e32 v94, v67, v106
	s_waitcnt vmcnt(39) lgkmcnt(4)
	v_mul_f32_e32 v95, v69, v107
	s_waitcnt vmcnt(38)
	v_mul_f32_e32 v96, v71, v108
	s_waitcnt vmcnt(37) lgkmcnt(3)
	v_mul_f32_e32 v97, v73, v109
	s_waitcnt vmcnt(36)
	v_mul_f32_e32 v98, v75, v110
	s_waitcnt vmcnt(35) lgkmcnt(2)
	v_mul_f32_e32 v99, v77, v111
	s_waitcnt vmcnt(34)
	v_mul_f32_e32 v100, v79, v112
	s_waitcnt vmcnt(33) lgkmcnt(1)
	v_mul_f32_e32 v147, v81, v113
	s_waitcnt vmcnt(32)
	v_fmac_f32_e32 v89, v58, v114
	v_mul_f32_e32 v58, v58, v101
	v_fma_f32 v57, v57, v114, -v58
	v_mul_f32_e32 v58, v60, v102
	v_add_f32_e32 v57, 0, v57
	s_waitcnt vmcnt(31)
	v_fma_f32 v58, v59, v115, -v58
	v_add_f32_e32 v57, v57, v58
	v_mul_f32_e32 v58, v62, v103
	s_waitcnt vmcnt(30)
	v_fma_f32 v58, v61, v116, -v58
	v_add_f32_e32 v57, v57, v58
	v_mul_f32_e32 v58, v64, v104
	;; [unrolled: 4-line block ×4, first 2 shown]
	v_fmac_f32_e32 v90, v60, v115
	v_add_f32_e32 v89, 0, v89
	s_waitcnt vmcnt(27)
	v_fma_f32 v58, v67, v119, -v58
	v_fmac_f32_e32 v91, v62, v116
	v_add_f32_e32 v89, v89, v90
	v_add_f32_e32 v57, v57, v58
	v_mul_f32_e32 v58, v70, v107
	v_fmac_f32_e32 v92, v64, v117
	v_add_f32_e32 v89, v89, v91
	s_waitcnt vmcnt(26)
	v_fma_f32 v58, v69, v120, -v58
	v_fmac_f32_e32 v93, v66, v118
	v_add_f32_e32 v89, v89, v92
	v_add_f32_e32 v57, v57, v58
	v_mul_f32_e32 v58, v72, v108
	v_fmac_f32_e32 v94, v68, v119
	v_add_f32_e32 v89, v89, v93
	s_waitcnt vmcnt(25)
	v_fma_f32 v58, v71, v121, -v58
	v_fmac_f32_e32 v95, v70, v120
	v_add_f32_e32 v89, v89, v94
	v_add_f32_e32 v57, v57, v58
	v_mul_f32_e32 v58, v74, v109
	v_fmac_f32_e32 v96, v72, v121
	v_add_f32_e32 v89, v89, v95
	s_waitcnt vmcnt(24)
	v_fma_f32 v58, v73, v122, -v58
	v_fmac_f32_e32 v97, v74, v122
	v_add_f32_e32 v89, v89, v96
	v_add_f32_e32 v57, v57, v58
	v_mul_f32_e32 v58, v76, v110
	s_waitcnt vmcnt(23)
	v_fmac_f32_e32 v98, v76, v123
	v_add_f32_e32 v89, v89, v97
	v_fma_f32 v58, v75, v123, -v58
	s_waitcnt vmcnt(22)
	v_fmac_f32_e32 v99, v78, v124
	v_add_f32_e32 v89, v89, v98
	v_add_f32_e32 v57, v57, v58
	v_mul_f32_e32 v58, v78, v111
	s_waitcnt vmcnt(21)
	v_fmac_f32_e32 v100, v80, v125
	v_add_f32_e32 v89, v89, v99
	v_fma_f32 v58, v77, v124, -v58
	s_waitcnt vmcnt(20)
	v_fmac_f32_e32 v147, v82, v126
	v_add_f32_e32 v89, v89, v100
	s_waitcnt vmcnt(19)
	v_mul_f32_e32 v90, v83, v127
	v_add_f32_e32 v57, v57, v58
	v_mul_f32_e32 v58, v80, v112
	v_add_f32_e32 v89, v89, v147
	s_waitcnt vmcnt(18)
	v_fmac_f32_e32 v90, v84, v128
	v_fma_f32 v58, v79, v125, -v58
	v_add_f32_e32 v89, v89, v90
	s_waitcnt vmcnt(17) lgkmcnt(0)
	v_mul_f32_e32 v90, v85, v129
	v_add_f32_e32 v57, v57, v58
	v_mul_f32_e32 v58, v82, v113
	s_waitcnt vmcnt(16)
	v_fmac_f32_e32 v90, v86, v130
	v_fma_f32 v58, v81, v126, -v58
	v_add_f32_e32 v93, v89, v90
	ds_read2_b64 v[89:92], v56 offset0:49 offset1:50
	v_add_f32_e32 v57, v57, v58
	v_mul_f32_e32 v58, v84, v127
	v_fma_f32 v58, v83, v128, -v58
	v_add_f32_e32 v57, v57, v58
	v_mul_f32_e32 v58, v86, v129
	s_waitcnt vmcnt(15)
	v_mul_f32_e32 v94, v87, v131
	v_fma_f32 v58, v85, v130, -v58
	s_waitcnt vmcnt(14)
	v_fmac_f32_e32 v94, v88, v132
	v_add_f32_e32 v57, v57, v58
	v_mul_f32_e32 v58, v88, v131
	v_add_f32_e32 v97, v93, v94
	ds_read2_b64 v[93:96], v56 offset0:51 offset1:52
	s_waitcnt vmcnt(13) lgkmcnt(1)
	v_mul_f32_e32 v98, v89, v133
	v_fma_f32 v58, v87, v132, -v58
	s_waitcnt vmcnt(12)
	v_fmac_f32_e32 v98, v90, v134
	v_add_f32_e32 v57, v57, v58
	v_mul_f32_e32 v58, v90, v133
	v_add_f32_e32 v97, v97, v98
	s_waitcnt vmcnt(11)
	v_mul_f32_e32 v98, v91, v135
	v_fma_f32 v58, v89, v134, -v58
	s_waitcnt vmcnt(10)
	v_fmac_f32_e32 v98, v92, v136
	v_add_f32_e32 v57, v57, v58
	v_mul_f32_e32 v58, v92, v135
	v_add_f32_e32 v147, v97, v98
	ds_read2_b64 v[97:100], v56 offset0:53 offset1:54
	v_fma_f32 v58, v91, v136, -v58
	v_add_f32_e32 v57, v57, v58
	s_waitcnt vmcnt(9) lgkmcnt(1)
	v_mul_f32_e32 v58, v94, v137
	v_mul_f32_e32 v148, v93, v137
	s_waitcnt vmcnt(8)
	v_fma_f32 v58, v93, v138, -v58
	v_fmac_f32_e32 v148, v94, v138
	v_add_f32_e32 v57, v57, v58
	s_waitcnt vmcnt(7)
	v_mul_f32_e32 v58, v96, v139
	v_add_f32_e32 v56, v147, v148
	v_mul_f32_e32 v147, v95, v139
	s_waitcnt vmcnt(6)
	v_fma_f32 v58, v95, v140, -v58
	v_fmac_f32_e32 v147, v96, v140
	v_add_f32_e32 v57, v57, v58
	s_waitcnt vmcnt(5) lgkmcnt(0)
	v_mul_f32_e32 v58, v98, v141
	v_add_f32_e32 v56, v56, v147
	v_mul_f32_e32 v147, v97, v141
	s_waitcnt vmcnt(4)
	v_fma_f32 v58, v97, v142, -v58
	v_fmac_f32_e32 v147, v98, v142
	v_add_f32_e32 v57, v57, v58
	s_waitcnt vmcnt(3)
	v_mul_f32_e32 v58, v100, v143
	v_add_f32_e32 v56, v56, v147
	v_mul_f32_e32 v147, v99, v143
	s_waitcnt vmcnt(2)
	v_fma_f32 v58, v99, v144, -v58
	v_fmac_f32_e32 v147, v100, v144
	v_add_f32_e32 v57, v57, v58
	v_add_f32_e32 v56, v56, v147
	s_waitcnt vmcnt(1)
	v_sub_f32_e32 v57, v145, v57
	s_waitcnt vmcnt(0)
	v_sub_f32_e32 v56, v146, v56
	buffer_store_dword v57, off, s[0:3], 0 offset:32
	buffer_store_dword v56, off, s[0:3], 0 offset:36
	s_and_saveexec_b64 s[4:5], vcc
	s_cbranch_execz .LBB90_169
; %bb.168:
	buffer_load_dword v56, off, s[0:3], 0 offset:24
	buffer_load_dword v57, off, s[0:3], 0 offset:28
	v_mov_b32_e32 v58, 0
	buffer_store_dword v58, off, s[0:3], 0 offset:24
	buffer_store_dword v58, off, s[0:3], 0 offset:28
	s_waitcnt vmcnt(2)
	ds_write_b64 v55, v[56:57]
.LBB90_169:
	s_or_b64 exec, exec, s[4:5]
	s_waitcnt lgkmcnt(0)
	; wave barrier
	buffer_load_dword v103, off, s[0:3], 0 offset:36
	buffer_load_dword v104, off, s[0:3], 0 offset:44
	;; [unrolled: 1-line block ×48, first 2 shown]
	v_mov_b32_e32 v56, 0
	ds_read_b128 v[57:60], v56 offset:256
	ds_read_b128 v[61:64], v56 offset:272
	;; [unrolled: 1-line block ×7, first 2 shown]
	v_cmp_lt_u32_e32 vcc, 2, v0
	s_waitcnt vmcnt(47) lgkmcnt(6)
	v_mul_f32_e32 v85, v57, v103
	s_waitcnt vmcnt(46)
	v_mul_f32_e32 v86, v59, v104
	s_waitcnt vmcnt(45) lgkmcnt(5)
	v_mul_f32_e32 v87, v61, v105
	s_waitcnt vmcnt(44)
	v_mul_f32_e32 v88, v63, v106
	;; [unrolled: 4-line block ×6, first 2 shown]
	s_waitcnt vmcnt(35)
	v_fmac_f32_e32 v85, v58, v115
	v_mul_f32_e32 v58, v58, v103
	v_fma_f32 v57, v57, v115, -v58
	v_mul_f32_e32 v58, v60, v104
	v_add_f32_e32 v57, 0, v57
	s_waitcnt vmcnt(34)
	v_fma_f32 v58, v59, v116, -v58
	v_add_f32_e32 v57, v57, v58
	v_mul_f32_e32 v58, v62, v105
	s_waitcnt vmcnt(33)
	v_fma_f32 v58, v61, v117, -v58
	v_fmac_f32_e32 v86, v60, v116
	v_add_f32_e32 v85, 0, v85
	v_add_f32_e32 v57, v57, v58
	v_mul_f32_e32 v58, v64, v106
	v_fmac_f32_e32 v87, v62, v117
	v_add_f32_e32 v85, v85, v86
	s_waitcnt vmcnt(32)
	v_fma_f32 v58, v63, v118, -v58
	v_fmac_f32_e32 v88, v64, v118
	v_add_f32_e32 v85, v85, v87
	v_add_f32_e32 v57, v57, v58
	v_mul_f32_e32 v58, v66, v107
	s_waitcnt vmcnt(31)
	v_fmac_f32_e32 v89, v66, v119
	v_add_f32_e32 v85, v85, v88
	v_fma_f32 v58, v65, v119, -v58
	s_waitcnt vmcnt(30)
	v_fmac_f32_e32 v90, v68, v120
	v_add_f32_e32 v85, v85, v89
	v_add_f32_e32 v57, v57, v58
	v_mul_f32_e32 v58, v68, v108
	s_waitcnt vmcnt(29)
	v_fmac_f32_e32 v91, v70, v121
	v_add_f32_e32 v85, v85, v90
	v_fma_f32 v58, v67, v120, -v58
	s_waitcnt vmcnt(28)
	;; [unrolled: 9-line block ×4, first 2 shown]
	v_fmac_f32_e32 v96, v80, v126
	v_add_f32_e32 v85, v85, v95
	v_add_f32_e32 v57, v57, v58
	v_mul_f32_e32 v58, v74, v111
	v_add_f32_e32 v89, v85, v96
	ds_read_b128 v[85:88], v56 offset:368
	v_fma_f32 v58, v73, v123, -v58
	s_waitcnt vmcnt(23) lgkmcnt(1)
	v_mul_f32_e32 v90, v81, v127
	v_add_f32_e32 v57, v57, v58
	v_mul_f32_e32 v58, v76, v112
	s_waitcnt vmcnt(22)
	v_fmac_f32_e32 v90, v82, v128
	v_fma_f32 v58, v75, v124, -v58
	v_add_f32_e32 v89, v89, v90
	s_waitcnt vmcnt(21)
	v_mul_f32_e32 v90, v83, v129
	v_add_f32_e32 v57, v57, v58
	v_mul_f32_e32 v58, v78, v113
	s_waitcnt vmcnt(20)
	v_fmac_f32_e32 v90, v84, v130
	v_fma_f32 v58, v77, v125, -v58
	v_add_f32_e32 v89, v89, v90
	s_waitcnt vmcnt(19) lgkmcnt(0)
	v_mul_f32_e32 v90, v85, v131
	v_add_f32_e32 v57, v57, v58
	v_mul_f32_e32 v58, v80, v114
	s_waitcnt vmcnt(18)
	v_fmac_f32_e32 v90, v86, v132
	v_fma_f32 v58, v79, v126, -v58
	v_add_f32_e32 v93, v89, v90
	ds_read_b128 v[89:92], v56 offset:384
	v_add_f32_e32 v57, v57, v58
	v_mul_f32_e32 v58, v82, v127
	v_fma_f32 v58, v81, v128, -v58
	s_waitcnt vmcnt(17)
	v_mul_f32_e32 v94, v87, v133
	v_add_f32_e32 v57, v57, v58
	v_mul_f32_e32 v58, v84, v129
	s_waitcnt vmcnt(16)
	v_fmac_f32_e32 v94, v88, v134
	v_fma_f32 v58, v83, v130, -v58
	v_add_f32_e32 v97, v93, v94
	ds_read_b128 v[93:96], v56 offset:400
	v_add_f32_e32 v57, v57, v58
	v_mul_f32_e32 v58, v86, v131
	s_waitcnt vmcnt(15) lgkmcnt(1)
	v_mul_f32_e32 v98, v89, v135
	v_fma_f32 v58, v85, v132, -v58
	s_waitcnt vmcnt(14)
	v_fmac_f32_e32 v98, v90, v136
	v_add_f32_e32 v57, v57, v58
	v_mul_f32_e32 v58, v88, v133
	v_add_f32_e32 v97, v97, v98
	s_waitcnt vmcnt(13)
	v_mul_f32_e32 v98, v91, v137
	v_fma_f32 v58, v87, v134, -v58
	s_waitcnt vmcnt(12)
	v_fmac_f32_e32 v98, v92, v138
	v_add_f32_e32 v57, v57, v58
	v_mul_f32_e32 v58, v90, v135
	v_add_f32_e32 v97, v97, v98
	s_waitcnt vmcnt(11) lgkmcnt(0)
	v_mul_f32_e32 v98, v93, v139
	v_fma_f32 v58, v89, v136, -v58
	s_waitcnt vmcnt(10)
	v_fmac_f32_e32 v98, v94, v140
	v_add_f32_e32 v57, v57, v58
	v_mul_f32_e32 v58, v92, v137
	v_add_f32_e32 v101, v97, v98
	ds_read_b128 v[97:100], v56 offset:416
	v_fma_f32 v58, v91, v138, -v58
	v_add_f32_e32 v57, v57, v58
	v_mul_f32_e32 v58, v94, v139
	s_waitcnt vmcnt(9)
	v_mul_f32_e32 v102, v95, v141
	v_fma_f32 v58, v93, v140, -v58
	s_waitcnt vmcnt(8)
	v_fmac_f32_e32 v102, v96, v142
	v_add_f32_e32 v57, v57, v58
	v_mul_f32_e32 v58, v96, v141
	v_add_f32_e32 v151, v101, v102
	ds_read_b64 v[101:102], v56 offset:432
	v_fma_f32 v58, v95, v142, -v58
	v_add_f32_e32 v57, v57, v58
	s_waitcnt vmcnt(6) lgkmcnt(1)
	v_mul_f32_e32 v58, v98, v144
	v_mul_f32_e32 v152, v97, v144
	v_fma_f32 v58, v97, v143, -v58
	v_fmac_f32_e32 v152, v98, v143
	v_add_f32_e32 v57, v57, v58
	s_waitcnt vmcnt(3)
	v_mul_f32_e32 v58, v100, v147
	v_add_f32_e32 v151, v151, v152
	v_mul_f32_e32 v152, v99, v147
	s_waitcnt vmcnt(2)
	v_fma_f32 v58, v99, v148, -v58
	v_fmac_f32_e32 v152, v100, v148
	v_add_f32_e32 v57, v57, v58
	s_waitcnt vmcnt(0) lgkmcnt(0)
	v_mul_f32_e32 v58, v102, v150
	v_add_f32_e32 v151, v151, v152
	v_mul_f32_e32 v152, v101, v150
	v_fma_f32 v58, v101, v149, -v58
	v_fmac_f32_e32 v152, v102, v149
	v_add_f32_e32 v57, v57, v58
	v_add_f32_e32 v151, v151, v152
	v_sub_f32_e32 v57, v145, v57
	v_sub_f32_e32 v58, v146, v151
	buffer_store_dword v57, off, s[0:3], 0 offset:24
	buffer_store_dword v58, off, s[0:3], 0 offset:28
	s_and_saveexec_b64 s[4:5], vcc
	s_cbranch_execz .LBB90_171
; %bb.170:
	buffer_load_dword v57, off, s[0:3], 0 offset:16
	buffer_load_dword v58, off, s[0:3], 0 offset:20
	s_waitcnt vmcnt(0)
	ds_write_b64 v55, v[57:58]
	buffer_store_dword v56, off, s[0:3], 0 offset:16
	buffer_store_dword v56, off, s[0:3], 0 offset:20
.LBB90_171:
	s_or_b64 exec, exec, s[4:5]
	s_waitcnt lgkmcnt(0)
	; wave barrier
	buffer_load_dword v105, off, s[0:3], 0 offset:28
	buffer_load_dword v106, off, s[0:3], 0 offset:36
	;; [unrolled: 1-line block ×48, first 2 shown]
	ds_read2_b64 v[57:60], v56 offset0:31 offset1:32
	ds_read2_b64 v[61:64], v56 offset0:33 offset1:34
	buffer_load_dword v153, off, s[0:3], 0 offset:208
	buffer_load_dword v154, off, s[0:3], 0 offset:212
	ds_read2_b64 v[65:68], v56 offset0:35 offset1:36
	ds_read2_b64 v[69:72], v56 offset0:37 offset1:38
	;; [unrolled: 1-line block ×5, first 2 shown]
	v_cmp_lt_u32_e32 vcc, 1, v0
	s_waitcnt vmcnt(49) lgkmcnt(6)
	v_mul_f32_e32 v85, v57, v105
	s_waitcnt vmcnt(48)
	v_mul_f32_e32 v86, v59, v106
	s_waitcnt vmcnt(47) lgkmcnt(5)
	v_mul_f32_e32 v87, v61, v107
	s_waitcnt vmcnt(46)
	v_mul_f32_e32 v88, v63, v108
	;; [unrolled: 4-line block ×6, first 2 shown]
	s_waitcnt vmcnt(37)
	v_fmac_f32_e32 v85, v58, v117
	v_mul_f32_e32 v58, v58, v105
	v_fma_f32 v57, v57, v117, -v58
	v_mul_f32_e32 v58, v60, v106
	v_add_f32_e32 v57, 0, v57
	s_waitcnt vmcnt(36)
	v_fma_f32 v58, v59, v118, -v58
	v_add_f32_e32 v57, v57, v58
	v_mul_f32_e32 v58, v62, v107
	s_waitcnt vmcnt(35)
	v_fma_f32 v58, v61, v119, -v58
	v_fmac_f32_e32 v86, v60, v118
	v_add_f32_e32 v85, 0, v85
	v_add_f32_e32 v57, v57, v58
	v_mul_f32_e32 v58, v64, v108
	v_fmac_f32_e32 v87, v62, v119
	v_add_f32_e32 v85, v85, v86
	s_waitcnt vmcnt(34)
	v_fma_f32 v58, v63, v120, -v58
	v_fmac_f32_e32 v88, v64, v120
	v_add_f32_e32 v85, v85, v87
	v_add_f32_e32 v57, v57, v58
	v_mul_f32_e32 v58, v66, v109
	s_waitcnt vmcnt(33)
	v_fmac_f32_e32 v89, v66, v121
	v_add_f32_e32 v85, v85, v88
	v_fma_f32 v58, v65, v121, -v58
	s_waitcnt vmcnt(32)
	v_fmac_f32_e32 v90, v68, v122
	v_add_f32_e32 v85, v85, v89
	v_add_f32_e32 v57, v57, v58
	v_mul_f32_e32 v58, v68, v110
	s_waitcnt vmcnt(31)
	v_fmac_f32_e32 v91, v70, v123
	v_add_f32_e32 v85, v85, v90
	v_fma_f32 v58, v67, v122, -v58
	s_waitcnt vmcnt(30)
	;; [unrolled: 9-line block ×3, first 2 shown]
	v_fmac_f32_e32 v94, v76, v126
	v_add_f32_e32 v85, v85, v93
	v_add_f32_e32 v57, v57, v58
	v_mul_f32_e32 v58, v72, v112
	s_waitcnt vmcnt(27)
	v_fmac_f32_e32 v95, v78, v127
	v_add_f32_e32 v85, v85, v94
	v_fma_f32 v58, v71, v124, -v58
	v_add_f32_e32 v85, v85, v95
	s_waitcnt vmcnt(26)
	v_fmac_f32_e32 v96, v80, v128
	v_add_f32_e32 v57, v57, v58
	v_mul_f32_e32 v58, v74, v113
	v_add_f32_e32 v89, v85, v96
	ds_read2_b64 v[85:88], v56 offset0:45 offset1:46
	v_fma_f32 v58, v73, v125, -v58
	s_waitcnt vmcnt(25) lgkmcnt(1)
	v_mul_f32_e32 v90, v81, v129
	v_add_f32_e32 v57, v57, v58
	v_mul_f32_e32 v58, v76, v114
	s_waitcnt vmcnt(24)
	v_fmac_f32_e32 v90, v82, v130
	v_fma_f32 v58, v75, v126, -v58
	v_add_f32_e32 v89, v89, v90
	s_waitcnt vmcnt(23)
	v_mul_f32_e32 v90, v83, v131
	v_add_f32_e32 v57, v57, v58
	v_mul_f32_e32 v58, v78, v115
	s_waitcnt vmcnt(22)
	v_fmac_f32_e32 v90, v84, v132
	v_fma_f32 v58, v77, v127, -v58
	v_add_f32_e32 v89, v89, v90
	s_waitcnt vmcnt(21) lgkmcnt(0)
	v_mul_f32_e32 v90, v85, v133
	v_add_f32_e32 v57, v57, v58
	v_mul_f32_e32 v58, v80, v116
	s_waitcnt vmcnt(20)
	v_fmac_f32_e32 v90, v86, v134
	v_fma_f32 v58, v79, v128, -v58
	v_add_f32_e32 v93, v89, v90
	ds_read2_b64 v[89:92], v56 offset0:47 offset1:48
	v_add_f32_e32 v57, v57, v58
	v_mul_f32_e32 v58, v82, v129
	v_fma_f32 v58, v81, v130, -v58
	s_waitcnt vmcnt(19)
	v_mul_f32_e32 v94, v87, v135
	v_add_f32_e32 v57, v57, v58
	v_mul_f32_e32 v58, v84, v131
	s_waitcnt vmcnt(18)
	v_fmac_f32_e32 v94, v88, v136
	v_fma_f32 v58, v83, v132, -v58
	v_add_f32_e32 v97, v93, v94
	ds_read2_b64 v[93:96], v56 offset0:49 offset1:50
	v_add_f32_e32 v57, v57, v58
	v_mul_f32_e32 v58, v86, v133
	s_waitcnt vmcnt(17) lgkmcnt(1)
	v_mul_f32_e32 v98, v89, v137
	v_fma_f32 v58, v85, v134, -v58
	s_waitcnt vmcnt(16)
	v_fmac_f32_e32 v98, v90, v138
	v_add_f32_e32 v57, v57, v58
	v_mul_f32_e32 v58, v88, v135
	v_add_f32_e32 v97, v97, v98
	s_waitcnt vmcnt(15)
	v_mul_f32_e32 v98, v91, v139
	v_fma_f32 v58, v87, v136, -v58
	s_waitcnt vmcnt(14)
	v_fmac_f32_e32 v98, v92, v140
	v_add_f32_e32 v57, v57, v58
	v_mul_f32_e32 v58, v90, v137
	v_add_f32_e32 v97, v97, v98
	s_waitcnt vmcnt(13) lgkmcnt(0)
	v_mul_f32_e32 v98, v93, v141
	v_fma_f32 v58, v89, v138, -v58
	s_waitcnt vmcnt(12)
	v_fmac_f32_e32 v98, v94, v142
	v_add_f32_e32 v57, v57, v58
	v_mul_f32_e32 v58, v92, v139
	v_add_f32_e32 v101, v97, v98
	ds_read2_b64 v[97:100], v56 offset0:51 offset1:52
	v_fma_f32 v58, v91, v140, -v58
	v_add_f32_e32 v57, v57, v58
	v_mul_f32_e32 v58, v94, v141
	s_waitcnt vmcnt(11)
	v_mul_f32_e32 v102, v95, v143
	v_fma_f32 v58, v93, v142, -v58
	s_waitcnt vmcnt(10)
	v_fmac_f32_e32 v102, v96, v144
	v_add_f32_e32 v57, v57, v58
	v_mul_f32_e32 v58, v96, v143
	v_add_f32_e32 v155, v101, v102
	ds_read2_b64 v[101:104], v56 offset0:53 offset1:54
	v_fma_f32 v58, v95, v144, -v58
	v_add_f32_e32 v57, v57, v58
	s_waitcnt vmcnt(7) lgkmcnt(1)
	v_mul_f32_e32 v58, v98, v147
	v_mul_f32_e32 v56, v97, v147
	s_waitcnt vmcnt(6)
	v_fma_f32 v58, v97, v148, -v58
	v_fmac_f32_e32 v56, v98, v148
	v_add_f32_e32 v57, v57, v58
	s_waitcnt vmcnt(4)
	v_mul_f32_e32 v58, v100, v150
	v_add_f32_e32 v56, v155, v56
	v_mul_f32_e32 v155, v99, v150
	v_fma_f32 v58, v99, v149, -v58
	v_fmac_f32_e32 v155, v100, v149
	v_add_f32_e32 v57, v57, v58
	s_waitcnt vmcnt(2) lgkmcnt(0)
	v_mul_f32_e32 v58, v102, v152
	v_add_f32_e32 v56, v56, v155
	v_mul_f32_e32 v155, v101, v152
	v_fma_f32 v58, v101, v151, -v58
	v_fmac_f32_e32 v155, v102, v151
	v_add_f32_e32 v57, v57, v58
	s_waitcnt vmcnt(0)
	v_mul_f32_e32 v58, v104, v154
	v_add_f32_e32 v56, v56, v155
	v_mul_f32_e32 v155, v103, v154
	v_fma_f32 v58, v103, v153, -v58
	v_fmac_f32_e32 v155, v104, v153
	v_add_f32_e32 v57, v57, v58
	v_add_f32_e32 v56, v56, v155
	v_sub_f32_e32 v57, v145, v57
	v_sub_f32_e32 v56, v146, v56
	buffer_store_dword v57, off, s[0:3], 0 offset:16
	buffer_store_dword v56, off, s[0:3], 0 offset:20
	s_and_saveexec_b64 s[4:5], vcc
	s_cbranch_execz .LBB90_173
; %bb.172:
	buffer_load_dword v56, off, s[0:3], 0 offset:8
	buffer_load_dword v57, off, s[0:3], 0 offset:12
	v_mov_b32_e32 v58, 0
	buffer_store_dword v58, off, s[0:3], 0 offset:8
	buffer_store_dword v58, off, s[0:3], 0 offset:12
	s_waitcnt vmcnt(2)
	ds_write_b64 v55, v[56:57]
.LBB90_173:
	s_or_b64 exec, exec, s[4:5]
	s_waitcnt lgkmcnt(0)
	; wave barrier
	buffer_load_dword v107, off, s[0:3], 0 offset:20
	buffer_load_dword v108, off, s[0:3], 0 offset:28
	;; [unrolled: 1-line block ×52, first 2 shown]
	v_mov_b32_e32 v56, 0
	ds_read_b128 v[57:60], v56 offset:240
	ds_read_b128 v[61:64], v56 offset:256
	;; [unrolled: 1-line block ×6, first 2 shown]
	v_cmp_ne_u32_e32 vcc, 0, v0
	s_waitcnt vmcnt(51) lgkmcnt(5)
	v_mul_f32_e32 v81, v57, v107
	s_waitcnt vmcnt(50)
	v_mul_f32_e32 v82, v59, v108
	s_waitcnt vmcnt(49) lgkmcnt(4)
	v_mul_f32_e32 v83, v61, v109
	s_waitcnt vmcnt(48)
	v_mul_f32_e32 v84, v63, v110
	;; [unrolled: 4-line block ×5, first 2 shown]
	s_waitcnt vmcnt(41) lgkmcnt(0)
	v_mul_f32_e32 v91, v77, v117
	s_waitcnt vmcnt(40)
	v_fmac_f32_e32 v81, v58, v118
	v_mul_f32_e32 v58, v58, v107
	s_waitcnt vmcnt(39)
	v_fmac_f32_e32 v82, v60, v119
	v_add_f32_e32 v81, 0, v81
	v_fma_f32 v57, v57, v118, -v58
	v_mul_f32_e32 v58, v60, v108
	s_waitcnt vmcnt(38)
	v_fmac_f32_e32 v83, v62, v120
	v_add_f32_e32 v81, v81, v82
	v_add_f32_e32 v57, 0, v57
	v_fma_f32 v58, v59, v119, -v58
	s_waitcnt vmcnt(37)
	v_fmac_f32_e32 v84, v64, v121
	v_add_f32_e32 v81, v81, v83
	v_add_f32_e32 v57, v57, v58
	v_mul_f32_e32 v58, v62, v109
	s_waitcnt vmcnt(36)
	v_fmac_f32_e32 v85, v66, v122
	v_add_f32_e32 v81, v81, v84
	v_fma_f32 v58, v61, v120, -v58
	s_waitcnt vmcnt(35)
	v_fmac_f32_e32 v86, v68, v123
	v_add_f32_e32 v81, v81, v85
	v_add_f32_e32 v57, v57, v58
	v_mul_f32_e32 v58, v64, v110
	s_waitcnt vmcnt(34)
	v_fmac_f32_e32 v87, v70, v124
	;; [unrolled: 9-line block ×3, first 2 shown]
	v_add_f32_e32 v81, v81, v88
	v_fma_f32 v58, v65, v122, -v58
	s_waitcnt vmcnt(31)
	v_fmac_f32_e32 v90, v76, v127
	v_add_f32_e32 v81, v81, v89
	v_add_f32_e32 v57, v57, v58
	v_mul_f32_e32 v58, v68, v112
	v_add_f32_e32 v81, v81, v90
	s_waitcnt vmcnt(30)
	v_fmac_f32_e32 v91, v78, v128
	v_fma_f32 v58, v67, v123, -v58
	v_add_f32_e32 v85, v81, v91
	ds_read_b128 v[81:84], v56 offset:336
	v_add_f32_e32 v57, v57, v58
	v_mul_f32_e32 v58, v70, v113
	v_fma_f32 v58, v69, v124, -v58
	s_waitcnt vmcnt(29)
	v_mul_f32_e32 v86, v79, v129
	v_add_f32_e32 v57, v57, v58
	v_mul_f32_e32 v58, v72, v114
	s_waitcnt vmcnt(28)
	v_fmac_f32_e32 v86, v80, v130
	v_fma_f32 v58, v71, v125, -v58
	v_add_f32_e32 v89, v85, v86
	ds_read_b128 v[85:88], v56 offset:352
	v_add_f32_e32 v57, v57, v58
	v_mul_f32_e32 v58, v74, v115
	s_waitcnt vmcnt(27) lgkmcnt(1)
	v_mul_f32_e32 v90, v81, v131
	v_fma_f32 v58, v73, v126, -v58
	s_waitcnt vmcnt(26)
	v_fmac_f32_e32 v90, v82, v132
	v_add_f32_e32 v57, v57, v58
	v_mul_f32_e32 v58, v76, v116
	v_add_f32_e32 v89, v89, v90
	s_waitcnt vmcnt(25)
	v_mul_f32_e32 v90, v83, v133
	v_fma_f32 v58, v75, v127, -v58
	s_waitcnt vmcnt(24)
	v_fmac_f32_e32 v90, v84, v134
	v_add_f32_e32 v57, v57, v58
	v_mul_f32_e32 v58, v78, v117
	v_add_f32_e32 v89, v89, v90
	s_waitcnt vmcnt(23) lgkmcnt(0)
	v_mul_f32_e32 v90, v85, v135
	v_fma_f32 v58, v77, v128, -v58
	s_waitcnt vmcnt(22)
	v_fmac_f32_e32 v90, v86, v136
	v_add_f32_e32 v57, v57, v58
	v_mul_f32_e32 v58, v80, v129
	v_add_f32_e32 v93, v89, v90
	ds_read_b128 v[89:92], v56 offset:368
	v_fma_f32 v58, v79, v130, -v58
	v_add_f32_e32 v57, v57, v58
	v_mul_f32_e32 v58, v82, v131
	s_waitcnt vmcnt(21)
	v_mul_f32_e32 v94, v87, v137
	v_fma_f32 v58, v81, v132, -v58
	s_waitcnt vmcnt(20)
	v_fmac_f32_e32 v94, v88, v138
	v_add_f32_e32 v57, v57, v58
	v_mul_f32_e32 v58, v84, v133
	v_add_f32_e32 v97, v93, v94
	ds_read_b128 v[93:96], v56 offset:384
	v_fma_f32 v58, v83, v134, -v58
	s_waitcnt vmcnt(19) lgkmcnt(1)
	v_mul_f32_e32 v98, v89, v139
	v_add_f32_e32 v57, v57, v58
	v_mul_f32_e32 v58, v86, v135
	s_waitcnt vmcnt(18)
	v_fmac_f32_e32 v98, v90, v140
	v_fma_f32 v58, v85, v136, -v58
	v_add_f32_e32 v97, v97, v98
	s_waitcnt vmcnt(17)
	v_mul_f32_e32 v98, v91, v141
	v_add_f32_e32 v57, v57, v58
	v_mul_f32_e32 v58, v88, v137
	s_waitcnt vmcnt(16)
	v_fmac_f32_e32 v98, v92, v142
	v_fma_f32 v58, v87, v138, -v58
	v_add_f32_e32 v97, v97, v98
	s_waitcnt vmcnt(14) lgkmcnt(0)
	v_mul_f32_e32 v98, v93, v144
	v_add_f32_e32 v57, v57, v58
	v_mul_f32_e32 v58, v90, v139
	v_fmac_f32_e32 v98, v94, v143
	v_fma_f32 v58, v89, v140, -v58
	v_add_f32_e32 v101, v97, v98
	ds_read_b128 v[97:100], v56 offset:400
	v_add_f32_e32 v57, v57, v58
	v_mul_f32_e32 v58, v92, v141
	v_fma_f32 v58, v91, v142, -v58
	v_add_f32_e32 v57, v57, v58
	v_mul_f32_e32 v58, v94, v144
	s_waitcnt vmcnt(11)
	v_mul_f32_e32 v102, v95, v147
	v_fma_f32 v58, v93, v143, -v58
	s_waitcnt vmcnt(10)
	v_fmac_f32_e32 v102, v96, v148
	v_add_f32_e32 v57, v57, v58
	v_mul_f32_e32 v58, v96, v147
	v_add_f32_e32 v105, v101, v102
	ds_read_b128 v[101:104], v56 offset:416
	s_waitcnt vmcnt(8) lgkmcnt(1)
	v_mul_f32_e32 v106, v97, v150
	v_fma_f32 v58, v95, v148, -v58
	v_fmac_f32_e32 v106, v98, v149
	v_add_f32_e32 v57, v57, v58
	v_mul_f32_e32 v58, v98, v150
	v_add_f32_e32 v105, v105, v106
	s_waitcnt vmcnt(6)
	v_mul_f32_e32 v106, v99, v152
	v_fma_f32 v58, v97, v149, -v58
	v_fmac_f32_e32 v106, v100, v151
	v_add_f32_e32 v57, v57, v58
	v_mul_f32_e32 v58, v100, v152
	v_add_f32_e32 v159, v105, v106
	ds_read_b64 v[105:106], v56 offset:432
	v_fma_f32 v58, v99, v151, -v58
	v_add_f32_e32 v57, v57, v58
	s_waitcnt vmcnt(4) lgkmcnt(1)
	v_mul_f32_e32 v58, v102, v154
	v_mul_f32_e32 v160, v101, v154
	v_fma_f32 v58, v101, v153, -v58
	v_fmac_f32_e32 v160, v102, v153
	v_add_f32_e32 v57, v57, v58
	s_waitcnt vmcnt(2)
	v_mul_f32_e32 v58, v104, v156
	v_add_f32_e32 v159, v159, v160
	v_mul_f32_e32 v160, v103, v156
	v_fma_f32 v58, v103, v155, -v58
	v_fmac_f32_e32 v160, v104, v155
	v_add_f32_e32 v57, v57, v58
	s_waitcnt vmcnt(0) lgkmcnt(0)
	v_mul_f32_e32 v58, v106, v158
	v_add_f32_e32 v159, v159, v160
	v_mul_f32_e32 v160, v105, v158
	v_fma_f32 v58, v105, v157, -v58
	v_fmac_f32_e32 v160, v106, v157
	v_add_f32_e32 v57, v57, v58
	v_add_f32_e32 v159, v159, v160
	v_sub_f32_e32 v57, v145, v57
	v_sub_f32_e32 v58, v146, v159
	buffer_store_dword v57, off, s[0:3], 0 offset:8
	buffer_store_dword v58, off, s[0:3], 0 offset:12
	s_and_saveexec_b64 s[4:5], vcc
	s_cbranch_execz .LBB90_175
; %bb.174:
	buffer_load_dword v57, off, s[0:3], 0
	buffer_load_dword v58, off, s[0:3], 0 offset:4
	s_waitcnt vmcnt(0)
	ds_write_b64 v55, v[57:58]
	buffer_store_dword v56, off, s[0:3], 0
	buffer_store_dword v56, off, s[0:3], 0 offset:4
.LBB90_175:
	s_or_b64 exec, exec, s[4:5]
	s_waitcnt lgkmcnt(0)
	; wave barrier
	buffer_load_dword v0, off, s[0:3], 0 offset:12
	buffer_load_dword v55, off, s[0:3], 0 offset:20
	;; [unrolled: 1-line block ×36, first 2 shown]
	buffer_load_dword v143, off, s[0:3], 0
	buffer_load_dword v144, off, s[0:3], 0 offset:4
	buffer_load_dword v145, off, s[0:3], 0 offset:156
	;; [unrolled: 1-line block ×5, first 2 shown]
	ds_read2_b64 v[57:60], v56 offset0:29 offset1:30
	ds_read2_b64 v[61:64], v56 offset0:31 offset1:32
	;; [unrolled: 1-line block ×4, first 2 shown]
	buffer_load_dword v149, off, s[0:3], 0 offset:172
	buffer_load_dword v150, off, s[0:3], 0 offset:168
	;; [unrolled: 1-line block ×6, first 2 shown]
	ds_read2_b64 v[73:76], v56 offset0:37 offset1:38
	ds_read2_b64 v[77:80], v56 offset0:39 offset1:40
	buffer_load_dword v155, off, s[0:3], 0 offset:192
	buffer_load_dword v156, off, s[0:3], 0 offset:196
	;; [unrolled: 1-line block ×6, first 2 shown]
	s_and_b64 vcc, exec, s[14:15]
	s_waitcnt vmcnt(53) lgkmcnt(5)
	v_mul_f32_e32 v81, v57, v0
	s_waitcnt vmcnt(52)
	v_mul_f32_e32 v82, v59, v55
	v_mul_f32_e32 v0, v58, v0
	s_waitcnt vmcnt(51) lgkmcnt(4)
	v_mul_f32_e32 v83, v61, v109
	v_mul_f32_e32 v55, v60, v55
	s_waitcnt vmcnt(50)
	v_mul_f32_e32 v84, v63, v110
	s_waitcnt vmcnt(49) lgkmcnt(3)
	v_mul_f32_e32 v85, v65, v111
	s_waitcnt vmcnt(48)
	v_mul_f32_e32 v86, v67, v112
	s_waitcnt vmcnt(47) lgkmcnt(2)
	v_mul_f32_e32 v87, v69, v113
	s_waitcnt vmcnt(46)
	v_mul_f32_e32 v88, v71, v114
	s_waitcnt vmcnt(43)
	v_fmac_f32_e32 v81, v58, v117
	s_waitcnt vmcnt(42)
	v_fmac_f32_e32 v82, v60, v118
	v_add_f32_e32 v81, 0, v81
	v_fma_f32 v0, v57, v117, -v0
	s_waitcnt vmcnt(41)
	v_fmac_f32_e32 v83, v62, v119
	v_add_f32_e32 v81, v81, v82
	v_add_f32_e32 v0, 0, v0
	v_fma_f32 v55, v59, v118, -v55
	s_waitcnt vmcnt(40)
	v_fmac_f32_e32 v84, v64, v120
	v_add_f32_e32 v81, v81, v83
	v_add_f32_e32 v0, v0, v55
	v_mul_f32_e32 v55, v62, v109
	s_waitcnt vmcnt(39)
	v_fmac_f32_e32 v85, v66, v121
	v_add_f32_e32 v81, v81, v84
	v_fma_f32 v55, v61, v119, -v55
	s_waitcnt vmcnt(38)
	v_fmac_f32_e32 v86, v68, v122
	v_add_f32_e32 v81, v81, v85
	v_add_f32_e32 v0, v0, v55
	v_mul_f32_e32 v55, v64, v110
	s_waitcnt vmcnt(37)
	v_fmac_f32_e32 v87, v70, v123
	v_add_f32_e32 v81, v81, v86
	v_fma_f32 v55, v63, v120, -v55
	s_waitcnt lgkmcnt(1)
	v_mul_f32_e32 v89, v73, v115
	s_waitcnt vmcnt(36)
	v_fmac_f32_e32 v88, v72, v124
	v_add_f32_e32 v81, v81, v87
	v_add_f32_e32 v0, v0, v55
	v_mul_f32_e32 v55, v66, v111
	v_mul_f32_e32 v90, v75, v116
	s_waitcnt vmcnt(35)
	v_fmac_f32_e32 v89, v74, v125
	v_add_f32_e32 v81, v81, v88
	v_fma_f32 v55, v65, v121, -v55
	s_waitcnt vmcnt(34)
	v_fmac_f32_e32 v90, v76, v126
	v_add_f32_e32 v81, v81, v89
	s_waitcnt vmcnt(33) lgkmcnt(0)
	v_mul_f32_e32 v82, v77, v127
	v_add_f32_e32 v0, v0, v55
	v_mul_f32_e32 v55, v68, v112
	v_add_f32_e32 v81, v81, v90
	s_waitcnt vmcnt(32)
	v_fmac_f32_e32 v82, v78, v128
	v_fma_f32 v55, v67, v122, -v55
	v_add_f32_e32 v85, v81, v82
	ds_read2_b64 v[81:84], v56 offset0:41 offset1:42
	v_add_f32_e32 v0, v0, v55
	v_mul_f32_e32 v55, v70, v113
	v_fma_f32 v55, v69, v123, -v55
	s_waitcnt vmcnt(31)
	v_mul_f32_e32 v86, v79, v129
	v_add_f32_e32 v0, v0, v55
	v_mul_f32_e32 v55, v72, v114
	s_waitcnt vmcnt(30)
	v_fmac_f32_e32 v86, v80, v130
	v_fma_f32 v55, v71, v124, -v55
	v_add_f32_e32 v89, v85, v86
	ds_read2_b64 v[85:88], v56 offset0:43 offset1:44
	v_add_f32_e32 v0, v0, v55
	v_mul_f32_e32 v55, v74, v115
	s_waitcnt vmcnt(29) lgkmcnt(1)
	v_mul_f32_e32 v90, v81, v131
	v_fma_f32 v55, v73, v125, -v55
	s_waitcnt vmcnt(28)
	v_fmac_f32_e32 v90, v82, v132
	v_add_f32_e32 v0, v0, v55
	v_mul_f32_e32 v55, v76, v116
	v_add_f32_e32 v89, v89, v90
	s_waitcnt vmcnt(27)
	v_mul_f32_e32 v90, v83, v133
	v_fma_f32 v55, v75, v126, -v55
	s_waitcnt vmcnt(26)
	v_fmac_f32_e32 v90, v84, v134
	v_add_f32_e32 v0, v0, v55
	v_mul_f32_e32 v55, v78, v127
	v_add_f32_e32 v89, v89, v90
	s_waitcnt vmcnt(25) lgkmcnt(0)
	v_mul_f32_e32 v90, v85, v135
	v_fma_f32 v55, v77, v128, -v55
	s_waitcnt vmcnt(24)
	v_fmac_f32_e32 v90, v86, v136
	v_add_f32_e32 v0, v0, v55
	v_mul_f32_e32 v55, v80, v129
	v_add_f32_e32 v93, v89, v90
	ds_read2_b64 v[89:92], v56 offset0:45 offset1:46
	v_fma_f32 v55, v79, v130, -v55
	v_add_f32_e32 v0, v0, v55
	v_mul_f32_e32 v55, v82, v131
	s_waitcnt vmcnt(23)
	v_mul_f32_e32 v94, v87, v137
	v_fma_f32 v55, v81, v132, -v55
	s_waitcnt vmcnt(22)
	v_fmac_f32_e32 v94, v88, v138
	v_add_f32_e32 v0, v0, v55
	v_mul_f32_e32 v55, v84, v133
	v_add_f32_e32 v97, v93, v94
	ds_read2_b64 v[93:96], v56 offset0:47 offset1:48
	v_fma_f32 v55, v83, v134, -v55
	s_waitcnt vmcnt(21) lgkmcnt(1)
	v_mul_f32_e32 v98, v89, v139
	v_add_f32_e32 v0, v0, v55
	v_mul_f32_e32 v55, v86, v135
	s_waitcnt vmcnt(20)
	v_fmac_f32_e32 v98, v90, v140
	v_fma_f32 v55, v85, v136, -v55
	v_add_f32_e32 v97, v97, v98
	s_waitcnt vmcnt(18)
	v_mul_f32_e32 v98, v91, v142
	v_add_f32_e32 v0, v0, v55
	v_mul_f32_e32 v55, v88, v137
	v_fmac_f32_e32 v98, v92, v141
	v_fma_f32 v55, v87, v138, -v55
	v_add_f32_e32 v97, v97, v98
	s_waitcnt vmcnt(15) lgkmcnt(0)
	v_mul_f32_e32 v98, v93, v145
	v_add_f32_e32 v0, v0, v55
	v_mul_f32_e32 v55, v90, v139
	s_waitcnt vmcnt(14)
	v_fmac_f32_e32 v98, v94, v146
	v_fma_f32 v55, v89, v140, -v55
	v_add_f32_e32 v101, v97, v98
	ds_read2_b64 v[97:100], v56 offset0:49 offset1:50
	v_add_f32_e32 v0, v0, v55
	v_mul_f32_e32 v55, v92, v142
	v_fma_f32 v55, v91, v141, -v55
	v_add_f32_e32 v0, v0, v55
	v_mul_f32_e32 v55, v94, v145
	s_waitcnt vmcnt(12)
	v_mul_f32_e32 v102, v95, v148
	v_fma_f32 v55, v93, v146, -v55
	v_fmac_f32_e32 v102, v96, v147
	v_add_f32_e32 v0, v0, v55
	v_mul_f32_e32 v55, v96, v148
	v_add_f32_e32 v105, v101, v102
	ds_read2_b64 v[101:104], v56 offset0:51 offset1:52
	s_waitcnt vmcnt(11) lgkmcnt(1)
	v_mul_f32_e32 v106, v97, v149
	v_fma_f32 v55, v95, v147, -v55
	s_waitcnt vmcnt(10)
	v_fmac_f32_e32 v106, v98, v150
	v_add_f32_e32 v0, v0, v55
	v_mul_f32_e32 v55, v98, v149
	v_add_f32_e32 v105, v105, v106
	s_waitcnt vmcnt(8)
	v_mul_f32_e32 v106, v99, v152
	v_fma_f32 v55, v97, v150, -v55
	v_fmac_f32_e32 v106, v100, v151
	v_add_f32_e32 v0, v0, v55
	v_mul_f32_e32 v55, v100, v152
	v_add_f32_e32 v161, v105, v106
	ds_read2_b64 v[105:108], v56 offset0:53 offset1:54
	v_fma_f32 v55, v99, v151, -v55
	v_add_f32_e32 v0, v0, v55
	s_waitcnt vmcnt(6) lgkmcnt(1)
	v_mul_f32_e32 v55, v102, v154
	v_mul_f32_e32 v162, v101, v154
	v_fma_f32 v55, v101, v153, -v55
	v_fmac_f32_e32 v162, v102, v153
	v_add_f32_e32 v0, v0, v55
	s_waitcnt vmcnt(4)
	v_mul_f32_e32 v55, v104, v156
	v_add_f32_e32 v56, v161, v162
	v_mul_f32_e32 v161, v103, v156
	v_fma_f32 v55, v103, v155, -v55
	v_fmac_f32_e32 v161, v104, v155
	v_add_f32_e32 v0, v0, v55
	s_waitcnt vmcnt(2) lgkmcnt(0)
	v_mul_f32_e32 v55, v106, v158
	v_add_f32_e32 v56, v56, v161
	v_mul_f32_e32 v161, v105, v158
	v_fma_f32 v55, v105, v157, -v55
	v_fmac_f32_e32 v161, v106, v157
	v_add_f32_e32 v0, v0, v55
	s_waitcnt vmcnt(0)
	v_mul_f32_e32 v55, v108, v160
	v_add_f32_e32 v56, v56, v161
	v_mul_f32_e32 v161, v107, v160
	v_fma_f32 v55, v107, v159, -v55
	v_fmac_f32_e32 v161, v108, v159
	v_add_f32_e32 v0, v0, v55
	v_add_f32_e32 v56, v56, v161
	v_sub_f32_e32 v0, v143, v0
	v_sub_f32_e32 v55, v144, v56
	buffer_store_dword v0, off, s[0:3], 0
	buffer_store_dword v55, off, s[0:3], 0 offset:4
	s_cbranch_vccz .LBB90_228
; %bb.176:
	v_mov_b32_e32 v0, 0
	global_load_dword v55, v0, s[12:13] offset:100
	s_waitcnt vmcnt(0)
	v_add_u32_e32 v55, -1, v55
	v_cmp_ne_u32_e32 vcc, 25, v55
	s_cbranch_vccz .LBB90_178
; %bb.177:
	v_lshlrev_b32_e32 v55, 3, v55
	buffer_load_dword v56, v55, s[0:3], 0 offen
	buffer_load_dword v57, v55, s[0:3], 0 offen offset:4
	buffer_load_dword v58, off, s[0:3], 0 offset:200
	buffer_load_dword v59, off, s[0:3], 0 offset:204
	s_waitcnt vmcnt(3)
	buffer_store_dword v56, off, s[0:3], 0 offset:200
	s_waitcnt vmcnt(3)
	buffer_store_dword v57, off, s[0:3], 0 offset:204
	s_waitcnt vmcnt(3)
	buffer_store_dword v58, v55, s[0:3], 0 offen
	s_waitcnt vmcnt(3)
	buffer_store_dword v59, v55, s[0:3], 0 offen offset:4
.LBB90_178:
	global_load_dword v0, v0, s[12:13] offset:96
	s_waitcnt vmcnt(0)
	v_add_u32_e32 v0, -1, v0
	v_cmp_eq_u32_e32 vcc, 24, v0
	s_cbranch_vccnz .LBB90_180
; %bb.179:
	v_lshlrev_b32_e32 v0, 3, v0
	buffer_load_dword v55, v0, s[0:3], 0 offen
	buffer_load_dword v56, v0, s[0:3], 0 offen offset:4
	buffer_load_dword v57, off, s[0:3], 0 offset:196
	buffer_load_dword v58, off, s[0:3], 0 offset:192
	s_waitcnt vmcnt(3)
	buffer_store_dword v55, off, s[0:3], 0 offset:192
	s_waitcnt vmcnt(3)
	buffer_store_dword v56, off, s[0:3], 0 offset:196
	s_waitcnt vmcnt(3)
	buffer_store_dword v57, v0, s[0:3], 0 offen offset:4
	s_waitcnt vmcnt(3)
	buffer_store_dword v58, v0, s[0:3], 0 offen
.LBB90_180:
	v_mov_b32_e32 v0, 0
	global_load_dword v55, v0, s[12:13] offset:92
	s_waitcnt vmcnt(0)
	v_add_u32_e32 v55, -1, v55
	v_cmp_eq_u32_e32 vcc, 23, v55
	s_cbranch_vccnz .LBB90_182
; %bb.181:
	v_lshlrev_b32_e32 v55, 3, v55
	buffer_load_dword v56, v55, s[0:3], 0 offen
	buffer_load_dword v57, v55, s[0:3], 0 offen offset:4
	buffer_load_dword v58, off, s[0:3], 0 offset:184
	buffer_load_dword v59, off, s[0:3], 0 offset:188
	s_waitcnt vmcnt(3)
	buffer_store_dword v56, off, s[0:3], 0 offset:184
	s_waitcnt vmcnt(3)
	buffer_store_dword v57, off, s[0:3], 0 offset:188
	s_waitcnt vmcnt(3)
	buffer_store_dword v58, v55, s[0:3], 0 offen
	s_waitcnt vmcnt(3)
	buffer_store_dword v59, v55, s[0:3], 0 offen offset:4
.LBB90_182:
	global_load_dword v0, v0, s[12:13] offset:88
	s_waitcnt vmcnt(0)
	v_add_u32_e32 v0, -1, v0
	v_cmp_eq_u32_e32 vcc, 22, v0
	s_cbranch_vccnz .LBB90_184
; %bb.183:
	v_lshlrev_b32_e32 v0, 3, v0
	buffer_load_dword v55, v0, s[0:3], 0 offen
	buffer_load_dword v56, v0, s[0:3], 0 offen offset:4
	buffer_load_dword v57, off, s[0:3], 0 offset:180
	buffer_load_dword v58, off, s[0:3], 0 offset:176
	s_waitcnt vmcnt(3)
	buffer_store_dword v55, off, s[0:3], 0 offset:176
	s_waitcnt vmcnt(3)
	buffer_store_dword v56, off, s[0:3], 0 offset:180
	s_waitcnt vmcnt(3)
	buffer_store_dword v57, v0, s[0:3], 0 offen offset:4
	s_waitcnt vmcnt(3)
	buffer_store_dword v58, v0, s[0:3], 0 offen
.LBB90_184:
	v_mov_b32_e32 v0, 0
	global_load_dword v55, v0, s[12:13] offset:84
	s_waitcnt vmcnt(0)
	v_add_u32_e32 v55, -1, v55
	v_cmp_eq_u32_e32 vcc, 21, v55
	s_cbranch_vccnz .LBB90_186
; %bb.185:
	v_lshlrev_b32_e32 v55, 3, v55
	buffer_load_dword v56, v55, s[0:3], 0 offen
	buffer_load_dword v57, v55, s[0:3], 0 offen offset:4
	buffer_load_dword v58, off, s[0:3], 0 offset:168
	buffer_load_dword v59, off, s[0:3], 0 offset:172
	s_waitcnt vmcnt(3)
	buffer_store_dword v56, off, s[0:3], 0 offset:168
	s_waitcnt vmcnt(3)
	buffer_store_dword v57, off, s[0:3], 0 offset:172
	s_waitcnt vmcnt(3)
	buffer_store_dword v58, v55, s[0:3], 0 offen
	s_waitcnt vmcnt(3)
	buffer_store_dword v59, v55, s[0:3], 0 offen offset:4
.LBB90_186:
	;; [unrolled: 41-line block ×12, first 2 shown]
	global_load_dword v0, v0, s[12:13]
	s_waitcnt vmcnt(0)
	v_add_u32_e32 v0, -1, v0
	v_cmp_eq_u32_e32 vcc, 0, v0
	s_cbranch_vccnz .LBB90_228
; %bb.227:
	v_lshlrev_b32_e32 v0, 3, v0
	buffer_load_dword v55, v0, s[0:3], 0 offen
	buffer_load_dword v56, v0, s[0:3], 0 offen offset:4
	buffer_load_dword v57, off, s[0:3], 0 offset:4
	buffer_load_dword v58, off, s[0:3], 0
	s_waitcnt vmcnt(3)
	buffer_store_dword v55, off, s[0:3], 0
	s_waitcnt vmcnt(3)
	buffer_store_dword v56, off, s[0:3], 0 offset:4
	s_waitcnt vmcnt(3)
	buffer_store_dword v57, v0, s[0:3], 0 offen offset:4
	s_waitcnt vmcnt(3)
	buffer_store_dword v58, v0, s[0:3], 0 offen
.LBB90_228:
	buffer_load_dword v55, off, s[0:3], 0
	buffer_load_dword v56, off, s[0:3], 0 offset:4
	s_waitcnt vmcnt(0)
	flat_store_dwordx2 v[1:2], v[55:56]
	buffer_load_dword v0, off, s[0:3], 0 offset:8
	s_nop 0
	buffer_load_dword v1, off, s[0:3], 0 offset:12
	s_waitcnt vmcnt(0)
	flat_store_dwordx2 v[3:4], v[0:1]
	buffer_load_dword v0, off, s[0:3], 0 offset:16
	s_nop 0
	;; [unrolled: 5-line block ×26, first 2 shown]
	buffer_load_dword v1, off, s[0:3], 0 offset:212
	s_waitcnt vmcnt(0)
	flat_store_dwordx2 v[53:54], v[0:1]
	s_endpgm
	.section	.rodata,"a",@progbits
	.p2align	6, 0x0
	.amdhsa_kernel _ZN9rocsolver6v33100L18getri_kernel_smallILi27E19rocblas_complex_numIfEPKPS3_EEvT1_iilPiilS8_bb
		.amdhsa_group_segment_fixed_size 440
		.amdhsa_private_segment_fixed_size 224
		.amdhsa_kernarg_size 60
		.amdhsa_user_sgpr_count 6
		.amdhsa_user_sgpr_private_segment_buffer 1
		.amdhsa_user_sgpr_dispatch_ptr 0
		.amdhsa_user_sgpr_queue_ptr 0
		.amdhsa_user_sgpr_kernarg_segment_ptr 1
		.amdhsa_user_sgpr_dispatch_id 0
		.amdhsa_user_sgpr_flat_scratch_init 0
		.amdhsa_user_sgpr_private_segment_size 0
		.amdhsa_uses_dynamic_stack 0
		.amdhsa_system_sgpr_private_segment_wavefront_offset 1
		.amdhsa_system_sgpr_workgroup_id_x 1
		.amdhsa_system_sgpr_workgroup_id_y 0
		.amdhsa_system_sgpr_workgroup_id_z 0
		.amdhsa_system_sgpr_workgroup_info 0
		.amdhsa_system_vgpr_workitem_id 0
		.amdhsa_next_free_vgpr 163
		.amdhsa_next_free_sgpr 21
		.amdhsa_reserve_vcc 1
		.amdhsa_reserve_flat_scratch 0
		.amdhsa_float_round_mode_32 0
		.amdhsa_float_round_mode_16_64 0
		.amdhsa_float_denorm_mode_32 3
		.amdhsa_float_denorm_mode_16_64 3
		.amdhsa_dx10_clamp 1
		.amdhsa_ieee_mode 1
		.amdhsa_fp16_overflow 0
		.amdhsa_exception_fp_ieee_invalid_op 0
		.amdhsa_exception_fp_denorm_src 0
		.amdhsa_exception_fp_ieee_div_zero 0
		.amdhsa_exception_fp_ieee_overflow 0
		.amdhsa_exception_fp_ieee_underflow 0
		.amdhsa_exception_fp_ieee_inexact 0
		.amdhsa_exception_int_div_zero 0
	.end_amdhsa_kernel
	.section	.text._ZN9rocsolver6v33100L18getri_kernel_smallILi27E19rocblas_complex_numIfEPKPS3_EEvT1_iilPiilS8_bb,"axG",@progbits,_ZN9rocsolver6v33100L18getri_kernel_smallILi27E19rocblas_complex_numIfEPKPS3_EEvT1_iilPiilS8_bb,comdat
.Lfunc_end90:
	.size	_ZN9rocsolver6v33100L18getri_kernel_smallILi27E19rocblas_complex_numIfEPKPS3_EEvT1_iilPiilS8_bb, .Lfunc_end90-_ZN9rocsolver6v33100L18getri_kernel_smallILi27E19rocblas_complex_numIfEPKPS3_EEvT1_iilPiilS8_bb
                                        ; -- End function
	.set _ZN9rocsolver6v33100L18getri_kernel_smallILi27E19rocblas_complex_numIfEPKPS3_EEvT1_iilPiilS8_bb.num_vgpr, 163
	.set _ZN9rocsolver6v33100L18getri_kernel_smallILi27E19rocblas_complex_numIfEPKPS3_EEvT1_iilPiilS8_bb.num_agpr, 0
	.set _ZN9rocsolver6v33100L18getri_kernel_smallILi27E19rocblas_complex_numIfEPKPS3_EEvT1_iilPiilS8_bb.numbered_sgpr, 21
	.set _ZN9rocsolver6v33100L18getri_kernel_smallILi27E19rocblas_complex_numIfEPKPS3_EEvT1_iilPiilS8_bb.num_named_barrier, 0
	.set _ZN9rocsolver6v33100L18getri_kernel_smallILi27E19rocblas_complex_numIfEPKPS3_EEvT1_iilPiilS8_bb.private_seg_size, 224
	.set _ZN9rocsolver6v33100L18getri_kernel_smallILi27E19rocblas_complex_numIfEPKPS3_EEvT1_iilPiilS8_bb.uses_vcc, 1
	.set _ZN9rocsolver6v33100L18getri_kernel_smallILi27E19rocblas_complex_numIfEPKPS3_EEvT1_iilPiilS8_bb.uses_flat_scratch, 0
	.set _ZN9rocsolver6v33100L18getri_kernel_smallILi27E19rocblas_complex_numIfEPKPS3_EEvT1_iilPiilS8_bb.has_dyn_sized_stack, 0
	.set _ZN9rocsolver6v33100L18getri_kernel_smallILi27E19rocblas_complex_numIfEPKPS3_EEvT1_iilPiilS8_bb.has_recursion, 0
	.set _ZN9rocsolver6v33100L18getri_kernel_smallILi27E19rocblas_complex_numIfEPKPS3_EEvT1_iilPiilS8_bb.has_indirect_call, 0
	.section	.AMDGPU.csdata,"",@progbits
; Kernel info:
; codeLenInByte = 34144
; TotalNumSgprs: 25
; NumVgprs: 163
; ScratchSize: 224
; MemoryBound: 0
; FloatMode: 240
; IeeeMode: 1
; LDSByteSize: 440 bytes/workgroup (compile time only)
; SGPRBlocks: 3
; VGPRBlocks: 40
; NumSGPRsForWavesPerEU: 25
; NumVGPRsForWavesPerEU: 163
; Occupancy: 1
; WaveLimiterHint : 1
; COMPUTE_PGM_RSRC2:SCRATCH_EN: 1
; COMPUTE_PGM_RSRC2:USER_SGPR: 6
; COMPUTE_PGM_RSRC2:TRAP_HANDLER: 0
; COMPUTE_PGM_RSRC2:TGID_X_EN: 1
; COMPUTE_PGM_RSRC2:TGID_Y_EN: 0
; COMPUTE_PGM_RSRC2:TGID_Z_EN: 0
; COMPUTE_PGM_RSRC2:TIDIG_COMP_CNT: 0
	.section	.text._ZN9rocsolver6v33100L18getri_kernel_smallILi28E19rocblas_complex_numIfEPKPS3_EEvT1_iilPiilS8_bb,"axG",@progbits,_ZN9rocsolver6v33100L18getri_kernel_smallILi28E19rocblas_complex_numIfEPKPS3_EEvT1_iilPiilS8_bb,comdat
	.globl	_ZN9rocsolver6v33100L18getri_kernel_smallILi28E19rocblas_complex_numIfEPKPS3_EEvT1_iilPiilS8_bb ; -- Begin function _ZN9rocsolver6v33100L18getri_kernel_smallILi28E19rocblas_complex_numIfEPKPS3_EEvT1_iilPiilS8_bb
	.p2align	8
	.type	_ZN9rocsolver6v33100L18getri_kernel_smallILi28E19rocblas_complex_numIfEPKPS3_EEvT1_iilPiilS8_bb,@function
_ZN9rocsolver6v33100L18getri_kernel_smallILi28E19rocblas_complex_numIfEPKPS3_EEvT1_iilPiilS8_bb: ; @_ZN9rocsolver6v33100L18getri_kernel_smallILi28E19rocblas_complex_numIfEPKPS3_EEvT1_iilPiilS8_bb
; %bb.0:
	s_add_u32 s0, s0, s7
	s_addc_u32 s1, s1, 0
	v_cmp_gt_u32_e32 vcc, 28, v0
	s_and_saveexec_b64 s[8:9], vcc
	s_cbranch_execz .LBB91_126
; %bb.1:
	s_load_dword s18, s[4:5], 0x38
	s_load_dwordx2 s[12:13], s[4:5], 0x0
	s_load_dwordx4 s[8:11], s[4:5], 0x28
	s_waitcnt lgkmcnt(0)
	s_bitcmp1_b32 s18, 8
	s_cselect_b64 s[14:15], -1, 0
	s_ashr_i32 s7, s6, 31
	s_lshl_b64 s[16:17], s[6:7], 3
	s_add_u32 s12, s12, s16
	s_addc_u32 s13, s13, s17
	s_load_dwordx2 s[16:17], s[12:13], 0x0
	s_bfe_u32 s12, s18, 0x10008
	s_cmp_eq_u32 s12, 0
                                        ; implicit-def: $sgpr12_sgpr13
	s_cbranch_scc1 .LBB91_3
; %bb.2:
	s_load_dword s12, s[4:5], 0x20
	s_load_dwordx2 s[18:19], s[4:5], 0x18
	s_mul_i32 s13, s8, s7
	s_mul_hi_u32 s20, s8, s6
	s_add_i32 s20, s20, s13
	s_mul_i32 s9, s9, s6
	s_add_i32 s9, s20, s9
	s_mul_i32 s8, s8, s6
	s_waitcnt lgkmcnt(0)
	s_ashr_i32 s13, s12, 31
	s_lshl_b64 s[8:9], s[8:9], 2
	s_add_u32 s18, s18, s8
	s_addc_u32 s19, s19, s9
	s_lshl_b64 s[8:9], s[12:13], 2
	s_add_u32 s12, s18, s8
	s_addc_u32 s13, s19, s9
.LBB91_3:
	s_load_dwordx2 s[8:9], s[4:5], 0x8
	s_load_dword s18, s[4:5], 0x38
	v_lshlrev_b32_e32 v59, 3, v0
	s_waitcnt lgkmcnt(0)
	s_ashr_i32 s5, s8, 31
	s_mov_b32 s4, s8
	s_lshl_b64 s[4:5], s[4:5], 3
	s_add_u32 s4, s16, s4
	s_addc_u32 s5, s17, s5
	v_mov_b32_e32 v2, s5
	v_add_co_u32_e32 v1, vcc, s4, v59
	v_addc_co_u32_e32 v2, vcc, 0, v2, vcc
	flat_load_dwordx2 v[5:6], v[1:2]
	s_mov_b32 s16, s9
	s_ashr_i32 s17, s9, 31
	s_lshl_b64 s[16:17], s[16:17], 3
	v_mov_b32_e32 v4, s17
	v_add_co_u32_e32 v3, vcc, s16, v1
	v_addc_co_u32_e32 v4, vcc, v2, v4, vcc
	s_add_i32 s8, s9, s9
	v_add_u32_e32 v9, s8, v0
	v_ashrrev_i32_e32 v10, 31, v9
	v_mov_b32_e32 v11, s5
	v_add_u32_e32 v12, s9, v9
	v_ashrrev_i32_e32 v13, 31, v12
	v_mov_b32_e32 v14, s5
	v_mov_b32_e32 v15, s5
	;; [unrolled: 1-line block ×24, first 2 shown]
	s_bitcmp0_b32 s18, 0
	s_waitcnt vmcnt(0) lgkmcnt(0)
	buffer_store_dword v6, off, s[0:3], 0 offset:4
	buffer_store_dword v5, off, s[0:3], 0
	flat_load_dwordx2 v[7:8], v[3:4]
	v_lshlrev_b64 v[5:6], 3, v[9:10]
	s_waitcnt vmcnt(0) lgkmcnt(0)
	buffer_store_dword v8, off, s[0:3], 0 offset:12
	buffer_store_dword v7, off, s[0:3], 0 offset:8
	v_add_co_u32_e32 v5, vcc, s4, v5
	v_addc_co_u32_e32 v6, vcc, v11, v6, vcc
	flat_load_dwordx2 v[10:11], v[5:6]
	v_lshlrev_b64 v[7:8], 3, v[12:13]
	s_waitcnt vmcnt(0) lgkmcnt(0)
	buffer_store_dword v11, off, s[0:3], 0 offset:20
	buffer_store_dword v10, off, s[0:3], 0 offset:16
	v_add_co_u32_e32 v7, vcc, s4, v7
	v_addc_co_u32_e32 v8, vcc, v14, v8, vcc
	flat_load_dwordx2 v[13:14], v[7:8]
	v_add_u32_e32 v11, s9, v12
	v_ashrrev_i32_e32 v12, 31, v11
	v_lshlrev_b64 v[9:10], 3, v[11:12]
	s_waitcnt vmcnt(0) lgkmcnt(0)
	buffer_store_dword v14, off, s[0:3], 0 offset:28
	buffer_store_dword v13, off, s[0:3], 0 offset:24
	v_add_co_u32_e32 v9, vcc, s4, v9
	v_addc_co_u32_e32 v10, vcc, v15, v10, vcc
	flat_load_dwordx2 v[13:14], v[9:10]
	v_add_u32_e32 v15, s9, v11
	v_ashrrev_i32_e32 v16, 31, v15
	v_lshlrev_b64 v[11:12], 3, v[15:16]
	v_add_u32_e32 v18, s9, v15
	v_add_co_u32_e32 v11, vcc, s4, v11
	v_addc_co_u32_e32 v12, vcc, v17, v12, vcc
	v_ashrrev_i32_e32 v19, 31, v18
	s_waitcnt vmcnt(0) lgkmcnt(0)
	buffer_store_dword v14, off, s[0:3], 0 offset:36
	buffer_store_dword v13, off, s[0:3], 0 offset:32
	flat_load_dwordx2 v[16:17], v[11:12]
	v_lshlrev_b64 v[13:14], 3, v[18:19]
	s_waitcnt vmcnt(0) lgkmcnt(0)
	buffer_store_dword v17, off, s[0:3], 0 offset:44
	buffer_store_dword v16, off, s[0:3], 0 offset:40
	v_add_co_u32_e32 v13, vcc, s4, v13
	v_addc_co_u32_e32 v14, vcc, v20, v14, vcc
	flat_load_dwordx2 v[19:20], v[13:14]
	v_add_u32_e32 v17, s9, v18
	v_ashrrev_i32_e32 v18, 31, v17
	v_lshlrev_b64 v[15:16], 3, v[17:18]
	s_waitcnt vmcnt(0) lgkmcnt(0)
	buffer_store_dword v20, off, s[0:3], 0 offset:52
	buffer_store_dword v19, off, s[0:3], 0 offset:48
	v_add_co_u32_e32 v15, vcc, s4, v15
	v_addc_co_u32_e32 v16, vcc, v21, v16, vcc
	flat_load_dwordx2 v[19:20], v[15:16]
	v_add_u32_e32 v21, s9, v17
	v_ashrrev_i32_e32 v22, 31, v21
	v_lshlrev_b64 v[17:18], 3, v[21:22]
	v_add_u32_e32 v24, s9, v21
	v_add_co_u32_e32 v17, vcc, s4, v17
	v_addc_co_u32_e32 v18, vcc, v23, v18, vcc
	v_ashrrev_i32_e32 v25, 31, v24
	s_waitcnt vmcnt(0) lgkmcnt(0)
	buffer_store_dword v20, off, s[0:3], 0 offset:60
	buffer_store_dword v19, off, s[0:3], 0 offset:56
	;; [unrolled: 27-line block ×7, first 2 shown]
	flat_load_dwordx2 v[52:53], v[47:48]
	v_lshlrev_b64 v[49:50], 3, v[54:55]
	s_waitcnt vmcnt(0) lgkmcnt(0)
	buffer_store_dword v53, off, s[0:3], 0 offset:188
	buffer_store_dword v52, off, s[0:3], 0 offset:184
	v_add_co_u32_e32 v49, vcc, s4, v49
	v_addc_co_u32_e32 v50, vcc, v56, v50, vcc
	flat_load_dwordx2 v[55:56], v[49:50]
	v_add_u32_e32 v53, s9, v54
	v_ashrrev_i32_e32 v54, 31, v53
	v_lshlrev_b64 v[51:52], 3, v[53:54]
	s_waitcnt vmcnt(0) lgkmcnt(0)
	buffer_store_dword v56, off, s[0:3], 0 offset:196
	buffer_store_dword v55, off, s[0:3], 0 offset:192
	v_add_co_u32_e32 v51, vcc, s4, v51
	v_addc_co_u32_e32 v52, vcc, v57, v52, vcc
	flat_load_dwordx2 v[55:56], v[51:52]
	v_add_u32_e32 v57, s9, v53
	v_ashrrev_i32_e32 v58, 31, v57
	v_lshlrev_b64 v[53:54], 3, v[57:58]
	v_mov_b32_e32 v58, s5
	v_add_co_u32_e32 v53, vcc, s4, v53
	v_addc_co_u32_e32 v54, vcc, v60, v54, vcc
	s_waitcnt vmcnt(0) lgkmcnt(0)
	buffer_store_dword v56, off, s[0:3], 0 offset:204
	buffer_store_dword v55, off, s[0:3], 0 offset:200
	flat_load_dwordx2 v[60:61], v[53:54]
	v_add_u32_e32 v55, s9, v57
	v_ashrrev_i32_e32 v56, 31, v55
	v_lshlrev_b64 v[55:56], 3, v[55:56]
	s_mov_b64 s[8:9], -1
	v_add_co_u32_e32 v55, vcc, s4, v55
	v_addc_co_u32_e32 v56, vcc, v58, v56, vcc
	s_waitcnt vmcnt(0) lgkmcnt(0)
	buffer_store_dword v61, off, s[0:3], 0 offset:212
	buffer_store_dword v60, off, s[0:3], 0 offset:208
	flat_load_dwordx2 v[57:58], v[55:56]
	s_waitcnt vmcnt(0) lgkmcnt(0)
	buffer_store_dword v58, off, s[0:3], 0 offset:220
	buffer_store_dword v57, off, s[0:3], 0 offset:216
	s_cbranch_scc1 .LBB91_124
; %bb.4:
	v_cmp_eq_u32_e64 s[4:5], 0, v0
	s_and_saveexec_b64 s[8:9], s[4:5]
; %bb.5:
	v_mov_b32_e32 v57, 0
	ds_write_b32 v57, v57 offset:448
; %bb.6:
	s_or_b64 exec, exec, s[8:9]
	v_mov_b32_e32 v57, 0
	v_lshl_add_u32 v61, v0, 3, v57
	s_waitcnt lgkmcnt(0)
	; wave barrier
	buffer_load_dword v57, v61, s[0:3], 0 offen
	buffer_load_dword v58, v61, s[0:3], 0 offen offset:4
	s_waitcnt vmcnt(1)
	v_cmp_eq_f32_e32 vcc, 0, v57
	s_waitcnt vmcnt(0)
	v_cmp_eq_f32_e64 s[8:9], 0, v58
	s_and_b64 s[8:9], vcc, s[8:9]
	s_and_saveexec_b64 s[16:17], s[8:9]
	s_cbranch_execz .LBB91_10
; %bb.7:
	v_mov_b32_e32 v57, 0
	ds_read_b32 v60, v57 offset:448
	v_add_u32_e32 v58, 1, v0
	s_waitcnt lgkmcnt(0)
	v_readfirstlane_b32 s8, v60
	s_cmp_eq_u32 s8, 0
	s_cselect_b64 s[18:19], -1, 0
	v_cmp_gt_i32_e32 vcc, s8, v58
	s_or_b64 s[18:19], s[18:19], vcc
	s_and_b64 exec, exec, s[18:19]
	s_cbranch_execz .LBB91_10
; %bb.8:
	s_mov_b64 s[18:19], 0
	v_mov_b32_e32 v60, s8
.LBB91_9:                               ; =>This Inner Loop Header: Depth=1
	ds_cmpst_rtn_b32 v60, v57, v60, v58 offset:448
	s_waitcnt lgkmcnt(0)
	v_cmp_ne_u32_e32 vcc, 0, v60
	v_cmp_le_i32_e64 s[8:9], v60, v58
	s_and_b64 s[8:9], vcc, s[8:9]
	s_and_b64 s[8:9], exec, s[8:9]
	s_or_b64 s[18:19], s[8:9], s[18:19]
	s_andn2_b64 exec, exec, s[18:19]
	s_cbranch_execnz .LBB91_9
.LBB91_10:
	s_or_b64 exec, exec, s[16:17]
	v_mov_b32_e32 v58, 0
	; wave barrier
	ds_read_b32 v57, v58 offset:448
	s_and_saveexec_b64 s[8:9], s[4:5]
	s_cbranch_execz .LBB91_12
; %bb.11:
	s_lshl_b64 s[16:17], s[6:7], 2
	s_add_u32 s16, s10, s16
	s_addc_u32 s17, s11, s17
	s_waitcnt lgkmcnt(0)
	global_store_dword v58, v57, s[16:17]
.LBB91_12:
	s_or_b64 exec, exec, s[8:9]
	s_waitcnt lgkmcnt(0)
	v_cmp_ne_u32_e32 vcc, 0, v57
	s_mov_b64 s[8:9], 0
	s_cbranch_vccnz .LBB91_124
; %bb.13:
	buffer_load_dword v58, v61, s[0:3], 0 offen
	buffer_load_dword v60, v61, s[0:3], 0 offen offset:4
                                        ; implicit-def: $vgpr63
                                        ; implicit-def: $vgpr62
                                        ; implicit-def: $vgpr57
	s_waitcnt vmcnt(0)
	v_cmp_ngt_f32_e64 s[8:9], |v58|, |v60|
	s_and_saveexec_b64 s[16:17], s[8:9]
	s_xor_b64 s[8:9], exec, s[16:17]
	s_cbranch_execz .LBB91_15
; %bb.14:
	v_div_scale_f32 v57, s[16:17], v60, v60, v58
	v_div_scale_f32 v62, vcc, v58, v60, v58
	v_rcp_f32_e32 v63, v57
	v_fma_f32 v64, -v57, v63, 1.0
	v_fmac_f32_e32 v63, v64, v63
	v_mul_f32_e32 v64, v62, v63
	v_fma_f32 v65, -v57, v64, v62
	v_fmac_f32_e32 v64, v65, v63
	v_fma_f32 v57, -v57, v64, v62
	v_div_fmas_f32 v57, v57, v63, v64
	v_div_fixup_f32 v57, v57, v60, v58
	v_fmac_f32_e32 v60, v58, v57
	v_div_scale_f32 v58, s[16:17], v60, v60, 1.0
	v_div_scale_f32 v62, vcc, 1.0, v60, 1.0
	v_rcp_f32_e32 v63, v58
	v_fma_f32 v64, -v58, v63, 1.0
	v_fmac_f32_e32 v63, v64, v63
	v_mul_f32_e32 v64, v62, v63
	v_fma_f32 v65, -v58, v64, v62
	v_fmac_f32_e32 v64, v65, v63
	v_fma_f32 v58, -v58, v64, v62
	v_div_fmas_f32 v58, v58, v63, v64
	v_div_fixup_f32 v58, v58, v60, 1.0
	v_mul_f32_e32 v63, v57, v58
	v_xor_b32_e32 v62, 0x80000000, v58
	v_xor_b32_e32 v57, 0x80000000, v63
                                        ; implicit-def: $vgpr58
                                        ; implicit-def: $vgpr60
.LBB91_15:
	s_andn2_saveexec_b64 s[8:9], s[8:9]
	s_cbranch_execz .LBB91_17
; %bb.16:
	v_div_scale_f32 v57, s[16:17], v58, v58, v60
	v_div_scale_f32 v62, vcc, v60, v58, v60
	v_rcp_f32_e32 v63, v57
	v_fma_f32 v64, -v57, v63, 1.0
	v_fmac_f32_e32 v63, v64, v63
	v_mul_f32_e32 v64, v62, v63
	v_fma_f32 v65, -v57, v64, v62
	v_fmac_f32_e32 v64, v65, v63
	v_fma_f32 v57, -v57, v64, v62
	v_div_fmas_f32 v57, v57, v63, v64
	v_div_fixup_f32 v62, v57, v58, v60
	v_fmac_f32_e32 v58, v60, v62
	v_div_scale_f32 v57, s[16:17], v58, v58, 1.0
	v_div_scale_f32 v60, vcc, 1.0, v58, 1.0
	v_rcp_f32_e32 v63, v57
	v_fma_f32 v64, -v57, v63, 1.0
	v_fmac_f32_e32 v63, v64, v63
	v_mul_f32_e32 v64, v60, v63
	v_fma_f32 v65, -v57, v64, v60
	v_fmac_f32_e32 v64, v65, v63
	v_fma_f32 v57, -v57, v64, v60
	v_div_fmas_f32 v57, v57, v63, v64
	v_div_fixup_f32 v63, v57, v58, 1.0
	v_xor_b32_e32 v57, 0x80000000, v63
	v_mul_f32_e64 v62, v62, -v63
.LBB91_17:
	s_or_b64 exec, exec, s[8:9]
	buffer_store_dword v63, v61, s[0:3], 0 offen
	buffer_store_dword v62, v61, s[0:3], 0 offen offset:4
	buffer_load_dword v64, off, s[0:3], 0 offset:12
	s_nop 0
	buffer_load_dword v63, off, s[0:3], 0 offset:8
	v_xor_b32_e32 v58, 0x80000000, v62
	v_add_u32_e32 v60, 0xe0, v59
	s_waitcnt vmcnt(0)
	ds_write2_b64 v59, v[57:58], v[63:64] offset1:28
	s_waitcnt lgkmcnt(0)
	; wave barrier
	s_and_saveexec_b64 s[8:9], s[4:5]
	s_cbranch_execz .LBB91_19
; %bb.18:
	buffer_load_dword v64, v61, s[0:3], 0 offen offset:4
	buffer_load_dword v65, v61, s[0:3], 0 offen
	ds_read_b64 v[57:58], v60
	v_mov_b32_e32 v62, 0
	ds_read_b64 v[62:63], v62 offset:8
	s_waitcnt vmcnt(1) lgkmcnt(1)
	v_mul_f32_e32 v66, v58, v64
	v_mul_f32_e32 v64, v57, v64
	s_waitcnt vmcnt(0)
	v_fmac_f32_e32 v64, v58, v65
	v_fma_f32 v57, v57, v65, -v66
	v_add_f32_e32 v58, 0, v64
	v_add_f32_e32 v57, 0, v57
	s_waitcnt lgkmcnt(0)
	v_mul_f32_e32 v64, v58, v63
	v_mul_f32_e32 v63, v57, v63
	v_fma_f32 v57, v57, v62, -v64
	v_fmac_f32_e32 v63, v58, v62
	buffer_store_dword v57, off, s[0:3], 0 offset:8
	buffer_store_dword v63, off, s[0:3], 0 offset:12
.LBB91_19:
	s_or_b64 exec, exec, s[8:9]
	; wave barrier
	buffer_load_dword v57, off, s[0:3], 0 offset:16
	buffer_load_dword v58, off, s[0:3], 0 offset:20
	v_cmp_gt_u32_e32 vcc, 2, v0
	s_waitcnt vmcnt(0)
	ds_write_b64 v60, v[57:58]
	s_waitcnt lgkmcnt(0)
	; wave barrier
	s_and_saveexec_b64 s[8:9], vcc
	s_cbranch_execz .LBB91_23
; %bb.20:
	buffer_load_dword v62, v61, s[0:3], 0 offen offset:4
	buffer_load_dword v63, v61, s[0:3], 0 offen
	ds_read_b64 v[57:58], v60
	s_waitcnt vmcnt(1) lgkmcnt(0)
	v_mul_f32_e32 v61, v58, v62
	v_mul_f32_e32 v62, v57, v62
	s_waitcnt vmcnt(0)
	v_fma_f32 v57, v57, v63, -v61
	v_fmac_f32_e32 v62, v58, v63
	v_add_f32_e32 v58, 0, v57
	v_add_f32_e32 v57, 0, v62
	s_and_saveexec_b64 s[16:17], s[4:5]
	s_cbranch_execz .LBB91_22
; %bb.21:
	buffer_load_dword v63, off, s[0:3], 0 offset:12
	buffer_load_dword v64, off, s[0:3], 0 offset:8
	v_mov_b32_e32 v61, 0
	ds_read_b64 v[61:62], v61 offset:232
	s_waitcnt vmcnt(1) lgkmcnt(0)
	v_mul_f32_e32 v65, v61, v63
	v_mul_f32_e32 v63, v62, v63
	s_waitcnt vmcnt(0)
	v_fmac_f32_e32 v65, v62, v64
	v_fma_f32 v61, v61, v64, -v63
	v_add_f32_e32 v57, v57, v65
	v_add_f32_e32 v58, v58, v61
.LBB91_22:
	s_or_b64 exec, exec, s[16:17]
	v_mov_b32_e32 v61, 0
	ds_read_b64 v[61:62], v61 offset:16
	s_waitcnt lgkmcnt(0)
	v_mul_f32_e32 v63, v57, v62
	v_mul_f32_e32 v62, v58, v62
	v_fma_f32 v58, v58, v61, -v63
	v_fmac_f32_e32 v62, v57, v61
	buffer_store_dword v58, off, s[0:3], 0 offset:16
	buffer_store_dword v62, off, s[0:3], 0 offset:20
.LBB91_23:
	s_or_b64 exec, exec, s[8:9]
	; wave barrier
	buffer_load_dword v57, off, s[0:3], 0 offset:24
	buffer_load_dword v58, off, s[0:3], 0 offset:28
	v_cmp_gt_u32_e32 vcc, 3, v0
	s_waitcnt vmcnt(0)
	ds_write_b64 v60, v[57:58]
	v_add_u32_e32 v57, -1, v0
	s_waitcnt lgkmcnt(0)
	; wave barrier
	s_and_saveexec_b64 s[4:5], vcc
	s_cbranch_execz .LBB91_27
; %bb.24:
	v_add_u32_e32 v61, -1, v0
	v_add_u32_e32 v62, 0xe0, v59
	v_mov_b32_e32 v63, v59
	v_mov_b32_e32 v58, 0
	s_mov_b64 s[8:9], 0
	v_mov_b32_e32 v64, 0
.LBB91_25:                              ; =>This Inner Loop Header: Depth=1
	buffer_load_dword v67, v63, s[0:3], 0 offen offset:4
	buffer_load_dword v68, v63, s[0:3], 0 offen
	ds_read_b64 v[65:66], v62
	v_add_u32_e32 v61, 1, v61
	v_cmp_lt_u32_e32 vcc, 1, v61
	v_add_u32_e32 v62, 8, v62
	v_add_u32_e32 v63, 8, v63
	s_or_b64 s[8:9], vcc, s[8:9]
	s_waitcnt vmcnt(1) lgkmcnt(0)
	v_mul_f32_e32 v69, v66, v67
	v_mul_f32_e32 v67, v65, v67
	s_waitcnt vmcnt(0)
	v_fma_f32 v65, v65, v68, -v69
	v_fmac_f32_e32 v67, v66, v68
	v_add_f32_e32 v64, v64, v65
	v_add_f32_e32 v58, v58, v67
	s_andn2_b64 exec, exec, s[8:9]
	s_cbranch_execnz .LBB91_25
; %bb.26:
	s_or_b64 exec, exec, s[8:9]
	v_mov_b32_e32 v61, 0
	ds_read_b64 v[61:62], v61 offset:24
	s_waitcnt lgkmcnt(0)
	v_mul_f32_e32 v63, v58, v62
	v_mul_f32_e32 v62, v64, v62
	v_fma_f32 v63, v64, v61, -v63
	v_fmac_f32_e32 v62, v58, v61
	buffer_store_dword v63, off, s[0:3], 0 offset:24
	buffer_store_dword v62, off, s[0:3], 0 offset:28
.LBB91_27:
	s_or_b64 exec, exec, s[4:5]
	; wave barrier
	buffer_load_dword v61, off, s[0:3], 0 offset:32
	buffer_load_dword v62, off, s[0:3], 0 offset:36
	v_cmp_gt_u32_e32 vcc, 4, v0
	s_waitcnt vmcnt(0)
	ds_write_b64 v60, v[61:62]
	s_waitcnt lgkmcnt(0)
	; wave barrier
	s_and_saveexec_b64 s[4:5], vcc
	s_cbranch_execz .LBB91_31
; %bb.28:
	v_add_u32_e32 v61, -1, v0
	v_add_u32_e32 v62, 0xe0, v59
	v_mov_b32_e32 v63, v59
	v_mov_b32_e32 v58, 0
	s_mov_b64 s[8:9], 0
	v_mov_b32_e32 v64, 0
.LBB91_29:                              ; =>This Inner Loop Header: Depth=1
	buffer_load_dword v67, v63, s[0:3], 0 offen offset:4
	buffer_load_dword v68, v63, s[0:3], 0 offen
	ds_read_b64 v[65:66], v62
	v_add_u32_e32 v61, 1, v61
	v_cmp_lt_u32_e32 vcc, 2, v61
	v_add_u32_e32 v62, 8, v62
	v_add_u32_e32 v63, 8, v63
	s_or_b64 s[8:9], vcc, s[8:9]
	s_waitcnt vmcnt(1) lgkmcnt(0)
	v_mul_f32_e32 v69, v66, v67
	v_mul_f32_e32 v67, v65, v67
	s_waitcnt vmcnt(0)
	v_fma_f32 v65, v65, v68, -v69
	v_fmac_f32_e32 v67, v66, v68
	v_add_f32_e32 v64, v64, v65
	v_add_f32_e32 v58, v58, v67
	s_andn2_b64 exec, exec, s[8:9]
	s_cbranch_execnz .LBB91_29
; %bb.30:
	s_or_b64 exec, exec, s[8:9]
	v_mov_b32_e32 v61, 0
	ds_read_b64 v[61:62], v61 offset:32
	s_waitcnt lgkmcnt(0)
	v_mul_f32_e32 v63, v58, v62
	v_mul_f32_e32 v62, v64, v62
	v_fma_f32 v63, v64, v61, -v63
	v_fmac_f32_e32 v62, v58, v61
	buffer_store_dword v63, off, s[0:3], 0 offset:32
	buffer_store_dword v62, off, s[0:3], 0 offset:36
.LBB91_31:
	s_or_b64 exec, exec, s[4:5]
	; wave barrier
	buffer_load_dword v61, off, s[0:3], 0 offset:40
	buffer_load_dword v62, off, s[0:3], 0 offset:44
	v_cmp_gt_u32_e32 vcc, 5, v0
	s_waitcnt vmcnt(0)
	ds_write_b64 v60, v[61:62]
	;; [unrolled: 49-line block ×19, first 2 shown]
	s_waitcnt lgkmcnt(0)
	; wave barrier
	s_and_saveexec_b64 s[4:5], vcc
	s_cbranch_execz .LBB91_103
; %bb.100:
	v_add_u32_e32 v61, -1, v0
	v_add_u32_e32 v62, 0xe0, v59
	v_mov_b32_e32 v63, v59
	v_mov_b32_e32 v58, 0
	s_mov_b64 s[8:9], 0
	v_mov_b32_e32 v64, 0
.LBB91_101:                             ; =>This Inner Loop Header: Depth=1
	buffer_load_dword v67, v63, s[0:3], 0 offen offset:4
	buffer_load_dword v68, v63, s[0:3], 0 offen
	ds_read_b64 v[65:66], v62
	v_add_u32_e32 v61, 1, v61
	v_cmp_lt_u32_e32 vcc, 20, v61
	v_add_u32_e32 v62, 8, v62
	v_add_u32_e32 v63, 8, v63
	s_or_b64 s[8:9], vcc, s[8:9]
	s_waitcnt vmcnt(1) lgkmcnt(0)
	v_mul_f32_e32 v69, v66, v67
	v_mul_f32_e32 v67, v65, v67
	s_waitcnt vmcnt(0)
	v_fma_f32 v65, v65, v68, -v69
	v_fmac_f32_e32 v67, v66, v68
	v_add_f32_e32 v64, v64, v65
	v_add_f32_e32 v58, v58, v67
	s_andn2_b64 exec, exec, s[8:9]
	s_cbranch_execnz .LBB91_101
; %bb.102:
	s_or_b64 exec, exec, s[8:9]
	v_mov_b32_e32 v61, 0
	ds_read_b64 v[61:62], v61 offset:176
	s_waitcnt lgkmcnt(0)
	v_mul_f32_e32 v63, v58, v62
	v_mul_f32_e32 v62, v64, v62
	v_fma_f32 v63, v64, v61, -v63
	v_fmac_f32_e32 v62, v58, v61
	buffer_store_dword v63, off, s[0:3], 0 offset:176
	buffer_store_dword v62, off, s[0:3], 0 offset:180
.LBB91_103:
	s_or_b64 exec, exec, s[4:5]
	; wave barrier
	buffer_load_dword v61, off, s[0:3], 0 offset:184
	buffer_load_dword v62, off, s[0:3], 0 offset:188
	v_cmp_gt_u32_e32 vcc, 23, v0
	s_waitcnt vmcnt(0)
	ds_write_b64 v60, v[61:62]
	s_waitcnt lgkmcnt(0)
	; wave barrier
	s_and_saveexec_b64 s[4:5], vcc
	s_cbranch_execz .LBB91_107
; %bb.104:
	v_add_u32_e32 v61, -1, v0
	v_add_u32_e32 v62, 0xe0, v59
	v_mov_b32_e32 v63, v59
	v_mov_b32_e32 v58, 0
	s_mov_b64 s[8:9], 0
	v_mov_b32_e32 v64, 0
.LBB91_105:                             ; =>This Inner Loop Header: Depth=1
	buffer_load_dword v67, v63, s[0:3], 0 offen offset:4
	buffer_load_dword v68, v63, s[0:3], 0 offen
	ds_read_b64 v[65:66], v62
	v_add_u32_e32 v61, 1, v61
	v_cmp_lt_u32_e32 vcc, 21, v61
	v_add_u32_e32 v62, 8, v62
	v_add_u32_e32 v63, 8, v63
	s_or_b64 s[8:9], vcc, s[8:9]
	s_waitcnt vmcnt(1) lgkmcnt(0)
	v_mul_f32_e32 v69, v66, v67
	v_mul_f32_e32 v67, v65, v67
	s_waitcnt vmcnt(0)
	v_fma_f32 v65, v65, v68, -v69
	v_fmac_f32_e32 v67, v66, v68
	v_add_f32_e32 v64, v64, v65
	v_add_f32_e32 v58, v58, v67
	s_andn2_b64 exec, exec, s[8:9]
	s_cbranch_execnz .LBB91_105
; %bb.106:
	s_or_b64 exec, exec, s[8:9]
	v_mov_b32_e32 v61, 0
	ds_read_b64 v[61:62], v61 offset:184
	s_waitcnt lgkmcnt(0)
	v_mul_f32_e32 v63, v58, v62
	v_mul_f32_e32 v62, v64, v62
	v_fma_f32 v63, v64, v61, -v63
	v_fmac_f32_e32 v62, v58, v61
	buffer_store_dword v63, off, s[0:3], 0 offset:184
	buffer_store_dword v62, off, s[0:3], 0 offset:188
.LBB91_107:
	s_or_b64 exec, exec, s[4:5]
	; wave barrier
	buffer_load_dword v61, off, s[0:3], 0 offset:192
	buffer_load_dword v62, off, s[0:3], 0 offset:196
	v_cmp_gt_u32_e32 vcc, 24, v0
	s_waitcnt vmcnt(0)
	ds_write_b64 v60, v[61:62]
	s_waitcnt lgkmcnt(0)
	; wave barrier
	s_and_saveexec_b64 s[4:5], vcc
	s_cbranch_execz .LBB91_111
; %bb.108:
	v_add_u32_e32 v61, -1, v0
	v_add_u32_e32 v62, 0xe0, v59
	v_mov_b32_e32 v63, v59
	v_mov_b32_e32 v58, 0
	s_mov_b64 s[8:9], 0
	v_mov_b32_e32 v64, 0
.LBB91_109:                             ; =>This Inner Loop Header: Depth=1
	buffer_load_dword v67, v63, s[0:3], 0 offen offset:4
	buffer_load_dword v68, v63, s[0:3], 0 offen
	ds_read_b64 v[65:66], v62
	v_add_u32_e32 v61, 1, v61
	v_cmp_lt_u32_e32 vcc, 22, v61
	v_add_u32_e32 v62, 8, v62
	v_add_u32_e32 v63, 8, v63
	s_or_b64 s[8:9], vcc, s[8:9]
	s_waitcnt vmcnt(1) lgkmcnt(0)
	v_mul_f32_e32 v69, v66, v67
	v_mul_f32_e32 v67, v65, v67
	s_waitcnt vmcnt(0)
	v_fma_f32 v65, v65, v68, -v69
	v_fmac_f32_e32 v67, v66, v68
	v_add_f32_e32 v64, v64, v65
	v_add_f32_e32 v58, v58, v67
	s_andn2_b64 exec, exec, s[8:9]
	s_cbranch_execnz .LBB91_109
; %bb.110:
	s_or_b64 exec, exec, s[8:9]
	v_mov_b32_e32 v61, 0
	ds_read_b64 v[61:62], v61 offset:192
	s_waitcnt lgkmcnt(0)
	v_mul_f32_e32 v63, v58, v62
	v_mul_f32_e32 v62, v64, v62
	v_fma_f32 v63, v64, v61, -v63
	v_fmac_f32_e32 v62, v58, v61
	buffer_store_dword v63, off, s[0:3], 0 offset:192
	buffer_store_dword v62, off, s[0:3], 0 offset:196
.LBB91_111:
	s_or_b64 exec, exec, s[4:5]
	; wave barrier
	buffer_load_dword v61, off, s[0:3], 0 offset:200
	buffer_load_dword v62, off, s[0:3], 0 offset:204
	v_cmp_gt_u32_e32 vcc, 25, v0
	s_waitcnt vmcnt(0)
	ds_write_b64 v60, v[61:62]
	s_waitcnt lgkmcnt(0)
	; wave barrier
	s_and_saveexec_b64 s[4:5], vcc
	s_cbranch_execz .LBB91_115
; %bb.112:
	v_add_u32_e32 v61, -1, v0
	v_add_u32_e32 v62, 0xe0, v59
	v_mov_b32_e32 v63, v59
	v_mov_b32_e32 v58, 0
	s_mov_b64 s[8:9], 0
	v_mov_b32_e32 v64, 0
.LBB91_113:                             ; =>This Inner Loop Header: Depth=1
	buffer_load_dword v67, v63, s[0:3], 0 offen offset:4
	buffer_load_dword v68, v63, s[0:3], 0 offen
	ds_read_b64 v[65:66], v62
	v_add_u32_e32 v61, 1, v61
	v_cmp_lt_u32_e32 vcc, 23, v61
	v_add_u32_e32 v62, 8, v62
	v_add_u32_e32 v63, 8, v63
	s_or_b64 s[8:9], vcc, s[8:9]
	s_waitcnt vmcnt(1) lgkmcnt(0)
	v_mul_f32_e32 v69, v66, v67
	v_mul_f32_e32 v67, v65, v67
	s_waitcnt vmcnt(0)
	v_fma_f32 v65, v65, v68, -v69
	v_fmac_f32_e32 v67, v66, v68
	v_add_f32_e32 v64, v64, v65
	v_add_f32_e32 v58, v58, v67
	s_andn2_b64 exec, exec, s[8:9]
	s_cbranch_execnz .LBB91_113
; %bb.114:
	s_or_b64 exec, exec, s[8:9]
	v_mov_b32_e32 v61, 0
	ds_read_b64 v[61:62], v61 offset:200
	s_waitcnt lgkmcnt(0)
	v_mul_f32_e32 v63, v58, v62
	v_mul_f32_e32 v62, v64, v62
	v_fma_f32 v63, v64, v61, -v63
	v_fmac_f32_e32 v62, v58, v61
	buffer_store_dword v63, off, s[0:3], 0 offset:200
	buffer_store_dword v62, off, s[0:3], 0 offset:204
.LBB91_115:
	s_or_b64 exec, exec, s[4:5]
	; wave barrier
	buffer_load_dword v61, off, s[0:3], 0 offset:208
	buffer_load_dword v62, off, s[0:3], 0 offset:212
	v_cmp_gt_u32_e32 vcc, 26, v0
	s_waitcnt vmcnt(0)
	ds_write_b64 v60, v[61:62]
	s_waitcnt lgkmcnt(0)
	; wave barrier
	s_and_saveexec_b64 s[4:5], vcc
	s_cbranch_execz .LBB91_119
; %bb.116:
	v_add_u32_e32 v61, -1, v0
	v_add_u32_e32 v62, 0xe0, v59
	v_mov_b32_e32 v63, v59
	v_mov_b32_e32 v58, 0
	s_mov_b64 s[8:9], 0
	v_mov_b32_e32 v64, 0
.LBB91_117:                             ; =>This Inner Loop Header: Depth=1
	buffer_load_dword v67, v63, s[0:3], 0 offen offset:4
	buffer_load_dword v68, v63, s[0:3], 0 offen
	ds_read_b64 v[65:66], v62
	v_add_u32_e32 v61, 1, v61
	v_cmp_lt_u32_e32 vcc, 24, v61
	v_add_u32_e32 v62, 8, v62
	v_add_u32_e32 v63, 8, v63
	s_or_b64 s[8:9], vcc, s[8:9]
	s_waitcnt vmcnt(1) lgkmcnt(0)
	v_mul_f32_e32 v69, v66, v67
	v_mul_f32_e32 v67, v65, v67
	s_waitcnt vmcnt(0)
	v_fma_f32 v65, v65, v68, -v69
	v_fmac_f32_e32 v67, v66, v68
	v_add_f32_e32 v64, v64, v65
	v_add_f32_e32 v58, v58, v67
	s_andn2_b64 exec, exec, s[8:9]
	s_cbranch_execnz .LBB91_117
; %bb.118:
	s_or_b64 exec, exec, s[8:9]
	v_mov_b32_e32 v61, 0
	ds_read_b64 v[61:62], v61 offset:208
	s_waitcnt lgkmcnt(0)
	v_mul_f32_e32 v63, v58, v62
	v_mul_f32_e32 v62, v64, v62
	v_fma_f32 v63, v64, v61, -v63
	v_fmac_f32_e32 v62, v58, v61
	buffer_store_dword v63, off, s[0:3], 0 offset:208
	buffer_store_dword v62, off, s[0:3], 0 offset:212
.LBB91_119:
	s_or_b64 exec, exec, s[4:5]
	; wave barrier
	buffer_load_dword v61, off, s[0:3], 0 offset:216
	buffer_load_dword v62, off, s[0:3], 0 offset:220
	v_cmp_ne_u32_e32 vcc, 27, v0
	s_waitcnt vmcnt(0)
	ds_write_b64 v60, v[61:62]
	s_waitcnt lgkmcnt(0)
	; wave barrier
	s_and_saveexec_b64 s[4:5], vcc
	s_cbranch_execz .LBB91_123
; %bb.120:
	v_add_u32_e32 v60, 0xe0, v59
	v_mov_b32_e32 v58, 0
	s_mov_b64 s[8:9], 0
	v_mov_b32_e32 v61, 0
.LBB91_121:                             ; =>This Inner Loop Header: Depth=1
	buffer_load_dword v64, v59, s[0:3], 0 offen offset:4
	buffer_load_dword v65, v59, s[0:3], 0 offen
	ds_read_b64 v[62:63], v60
	v_add_u32_e32 v57, 1, v57
	v_cmp_lt_u32_e32 vcc, 25, v57
	v_add_u32_e32 v60, 8, v60
	v_add_u32_e32 v59, 8, v59
	s_or_b64 s[8:9], vcc, s[8:9]
	s_waitcnt vmcnt(1) lgkmcnt(0)
	v_mul_f32_e32 v66, v63, v64
	v_mul_f32_e32 v64, v62, v64
	s_waitcnt vmcnt(0)
	v_fma_f32 v62, v62, v65, -v66
	v_fmac_f32_e32 v64, v63, v65
	v_add_f32_e32 v61, v61, v62
	v_add_f32_e32 v58, v58, v64
	s_andn2_b64 exec, exec, s[8:9]
	s_cbranch_execnz .LBB91_121
; %bb.122:
	s_or_b64 exec, exec, s[8:9]
	v_mov_b32_e32 v57, 0
	ds_read_b64 v[59:60], v57 offset:216
	s_waitcnt lgkmcnt(0)
	v_mul_f32_e32 v57, v58, v60
	v_mul_f32_e32 v60, v61, v60
	v_fma_f32 v57, v61, v59, -v57
	v_fmac_f32_e32 v60, v58, v59
	buffer_store_dword v57, off, s[0:3], 0 offset:216
	buffer_store_dword v60, off, s[0:3], 0 offset:220
.LBB91_123:
	s_or_b64 exec, exec, s[4:5]
	s_mov_b64 s[8:9], -1
	; wave barrier
.LBB91_124:
	s_and_b64 vcc, exec, s[8:9]
	s_cbranch_vccz .LBB91_126
; %bb.125:
	s_lshl_b64 s[4:5], s[6:7], 2
	s_add_u32 s4, s10, s4
	s_addc_u32 s5, s11, s5
	v_mov_b32_e32 v57, 0
	global_load_dword v57, v57, s[4:5]
	s_waitcnt vmcnt(0)
	v_cmp_ne_u32_e32 vcc, 0, v57
	s_cbranch_vccz .LBB91_127
.LBB91_126:
	s_endpgm
.LBB91_127:
	v_mov_b32_e32 v57, 0xe0
	v_lshl_add_u32 v57, v0, 3, v57
	v_cmp_eq_u32_e32 vcc, 27, v0
	s_and_saveexec_b64 s[4:5], vcc
	s_cbranch_execz .LBB91_129
; %bb.128:
	buffer_load_dword v58, off, s[0:3], 0 offset:208
	buffer_load_dword v59, off, s[0:3], 0 offset:212
	v_mov_b32_e32 v60, 0
	buffer_store_dword v60, off, s[0:3], 0 offset:208
	buffer_store_dword v60, off, s[0:3], 0 offset:212
	s_waitcnt vmcnt(2)
	ds_write_b64 v57, v[58:59]
.LBB91_129:
	s_or_b64 exec, exec, s[4:5]
	s_waitcnt lgkmcnt(0)
	; wave barrier
	buffer_load_dword v61, off, s[0:3], 0 offset:220
	buffer_load_dword v62, off, s[0:3], 0 offset:216
	;; [unrolled: 1-line block ×4, first 2 shown]
	v_mov_b32_e32 v58, 0
	ds_read_b64 v[59:60], v58 offset:440
	v_cmp_lt_u32_e32 vcc, 25, v0
	s_waitcnt vmcnt(3) lgkmcnt(0)
	v_mul_f32_e32 v65, v59, v61
	v_mul_f32_e32 v61, v60, v61
	s_waitcnt vmcnt(2)
	v_fma_f32 v59, v59, v62, -v61
	v_fmac_f32_e32 v65, v60, v62
	v_add_f32_e32 v59, 0, v59
	v_add_f32_e32 v60, 0, v65
	s_waitcnt vmcnt(1)
	v_sub_f32_e32 v59, v63, v59
	s_waitcnt vmcnt(0)
	v_sub_f32_e32 v60, v64, v60
	buffer_store_dword v59, off, s[0:3], 0 offset:208
	buffer_store_dword v60, off, s[0:3], 0 offset:212
	s_and_saveexec_b64 s[4:5], vcc
	s_cbranch_execz .LBB91_131
; %bb.130:
	buffer_load_dword v59, off, s[0:3], 0 offset:200
	buffer_load_dword v60, off, s[0:3], 0 offset:204
	s_waitcnt vmcnt(0)
	ds_write_b64 v57, v[59:60]
	buffer_store_dword v58, off, s[0:3], 0 offset:200
	buffer_store_dword v58, off, s[0:3], 0 offset:204
.LBB91_131:
	s_or_b64 exec, exec, s[4:5]
	s_waitcnt lgkmcnt(0)
	; wave barrier
	buffer_load_dword v62, off, s[0:3], 0 offset:212
	buffer_load_dword v63, off, s[0:3], 0 offset:220
	;; [unrolled: 1-line block ×6, first 2 shown]
	ds_read_b128 v[58:61], v58 offset:432
	v_cmp_lt_u32_e32 vcc, 24, v0
	s_waitcnt vmcnt(5) lgkmcnt(0)
	v_mul_f32_e32 v68, v58, v62
	v_mul_f32_e32 v62, v59, v62
	s_waitcnt vmcnt(4)
	v_mul_f32_e32 v69, v60, v63
	v_mul_f32_e32 v63, v61, v63
	s_waitcnt vmcnt(3)
	v_fma_f32 v58, v58, v64, -v62
	v_fmac_f32_e32 v68, v59, v64
	s_waitcnt vmcnt(2)
	v_fma_f32 v59, v60, v65, -v63
	v_add_f32_e32 v58, 0, v58
	v_fmac_f32_e32 v69, v61, v65
	v_add_f32_e32 v60, 0, v68
	v_add_f32_e32 v58, v58, v59
	;; [unrolled: 1-line block ×3, first 2 shown]
	s_waitcnt vmcnt(1)
	v_sub_f32_e32 v58, v66, v58
	s_waitcnt vmcnt(0)
	v_sub_f32_e32 v59, v67, v60
	buffer_store_dword v58, off, s[0:3], 0 offset:200
	buffer_store_dword v59, off, s[0:3], 0 offset:204
	s_and_saveexec_b64 s[4:5], vcc
	s_cbranch_execz .LBB91_133
; %bb.132:
	buffer_load_dword v58, off, s[0:3], 0 offset:192
	buffer_load_dword v59, off, s[0:3], 0 offset:196
	v_mov_b32_e32 v60, 0
	buffer_store_dword v60, off, s[0:3], 0 offset:192
	buffer_store_dword v60, off, s[0:3], 0 offset:196
	s_waitcnt vmcnt(2)
	ds_write_b64 v57, v[58:59]
.LBB91_133:
	s_or_b64 exec, exec, s[4:5]
	s_waitcnt lgkmcnt(0)
	; wave barrier
	buffer_load_dword v65, off, s[0:3], 0 offset:204
	buffer_load_dword v66, off, s[0:3], 0 offset:212
	;; [unrolled: 1-line block ×8, first 2 shown]
	v_mov_b32_e32 v58, 0
	ds_read2_b64 v[59:62], v58 offset0:53 offset1:54
	ds_read_b64 v[63:64], v58 offset:440
	v_cmp_lt_u32_e32 vcc, 23, v0
	s_waitcnt vmcnt(7) lgkmcnt(1)
	v_mul_f32_e32 v73, v59, v65
	v_mul_f32_e32 v65, v60, v65
	s_waitcnt vmcnt(6)
	v_mul_f32_e32 v74, v61, v66
	v_mul_f32_e32 v66, v62, v66
	s_waitcnt vmcnt(4)
	v_fma_f32 v59, v59, v68, -v65
	s_waitcnt lgkmcnt(0)
	v_mul_f32_e32 v75, v63, v67
	v_mul_f32_e32 v67, v64, v67
	v_fmac_f32_e32 v73, v60, v68
	s_waitcnt vmcnt(3)
	v_fma_f32 v60, v61, v69, -v66
	v_add_f32_e32 v59, 0, v59
	v_fmac_f32_e32 v74, v62, v69
	s_waitcnt vmcnt(2)
	v_fma_f32 v61, v63, v70, -v67
	v_add_f32_e32 v62, 0, v73
	v_add_f32_e32 v59, v59, v60
	v_fmac_f32_e32 v75, v64, v70
	v_add_f32_e32 v62, v62, v74
	v_add_f32_e32 v59, v59, v61
	;; [unrolled: 1-line block ×3, first 2 shown]
	s_waitcnt vmcnt(1)
	v_sub_f32_e32 v59, v71, v59
	s_waitcnt vmcnt(0)
	v_sub_f32_e32 v60, v72, v60
	buffer_store_dword v59, off, s[0:3], 0 offset:192
	buffer_store_dword v60, off, s[0:3], 0 offset:196
	s_and_saveexec_b64 s[4:5], vcc
	s_cbranch_execz .LBB91_135
; %bb.134:
	buffer_load_dword v59, off, s[0:3], 0 offset:184
	buffer_load_dword v60, off, s[0:3], 0 offset:188
	s_waitcnt vmcnt(0)
	ds_write_b64 v57, v[59:60]
	buffer_store_dword v58, off, s[0:3], 0 offset:184
	buffer_store_dword v58, off, s[0:3], 0 offset:188
.LBB91_135:
	s_or_b64 exec, exec, s[4:5]
	s_waitcnt lgkmcnt(0)
	; wave barrier
	buffer_load_dword v67, off, s[0:3], 0 offset:196
	buffer_load_dword v68, off, s[0:3], 0 offset:204
	;; [unrolled: 1-line block ×10, first 2 shown]
	ds_read_b128 v[59:62], v58 offset:416
	ds_read_b128 v[63:66], v58 offset:432
	v_cmp_lt_u32_e32 vcc, 22, v0
	s_waitcnt vmcnt(9) lgkmcnt(1)
	v_mul_f32_e32 v58, v59, v67
	v_mul_f32_e32 v67, v60, v67
	s_waitcnt vmcnt(8)
	v_mul_f32_e32 v77, v61, v68
	v_mul_f32_e32 v68, v62, v68
	s_waitcnt vmcnt(5)
	v_fma_f32 v59, v59, v71, -v67
	s_waitcnt lgkmcnt(0)
	v_mul_f32_e32 v78, v63, v69
	v_mul_f32_e32 v69, v64, v69
	v_fmac_f32_e32 v58, v60, v71
	s_waitcnt vmcnt(4)
	v_fma_f32 v60, v61, v72, -v68
	v_add_f32_e32 v59, 0, v59
	v_mul_f32_e32 v79, v65, v70
	v_mul_f32_e32 v70, v66, v70
	v_fmac_f32_e32 v77, v62, v72
	s_waitcnt vmcnt(3)
	v_fma_f32 v61, v63, v73, -v69
	v_add_f32_e32 v58, 0, v58
	v_add_f32_e32 v59, v59, v60
	v_fmac_f32_e32 v78, v64, v73
	s_waitcnt vmcnt(2)
	v_fma_f32 v62, v65, v74, -v70
	v_add_f32_e32 v58, v58, v77
	v_add_f32_e32 v59, v59, v61
	v_fmac_f32_e32 v79, v66, v74
	v_add_f32_e32 v58, v58, v78
	v_add_f32_e32 v59, v59, v62
	;; [unrolled: 1-line block ×3, first 2 shown]
	s_waitcnt vmcnt(1)
	v_sub_f32_e32 v59, v75, v59
	s_waitcnt vmcnt(0)
	v_sub_f32_e32 v58, v76, v58
	buffer_store_dword v59, off, s[0:3], 0 offset:184
	buffer_store_dword v58, off, s[0:3], 0 offset:188
	s_and_saveexec_b64 s[4:5], vcc
	s_cbranch_execz .LBB91_137
; %bb.136:
	buffer_load_dword v58, off, s[0:3], 0 offset:176
	buffer_load_dword v59, off, s[0:3], 0 offset:180
	v_mov_b32_e32 v60, 0
	buffer_store_dword v60, off, s[0:3], 0 offset:176
	buffer_store_dword v60, off, s[0:3], 0 offset:180
	s_waitcnt vmcnt(2)
	ds_write_b64 v57, v[58:59]
.LBB91_137:
	s_or_b64 exec, exec, s[4:5]
	v_mov_b32_e32 v58, 0
	s_waitcnt lgkmcnt(0)
	; wave barrier
	ds_read2_b64 v[59:62], v58 offset0:51 offset1:52
	buffer_load_dword v69, off, s[0:3], 0 offset:176
	buffer_load_dword v70, off, s[0:3], 0 offset:180
	;; [unrolled: 1-line block ×12, first 2 shown]
	v_cmp_lt_u32_e32 vcc, 21, v0
	s_waitcnt vmcnt(8) lgkmcnt(0)
	v_mul_f32_e32 v63, v59, v72
	v_fmac_f32_e32 v63, v60, v71
	s_waitcnt vmcnt(6)
	v_mul_f32_e32 v64, v61, v74
	v_add_f32_e32 v63, 0, v63
	v_fmac_f32_e32 v64, v62, v73
	v_add_f32_e32 v67, v63, v64
	ds_read2_b64 v[63:66], v58 offset0:53 offset1:54
	v_mul_f32_e32 v60, v60, v72
	v_fma_f32 v59, v59, v71, -v60
	v_mul_f32_e32 v60, v62, v74
	v_add_f32_e32 v59, 0, v59
	s_waitcnt vmcnt(4) lgkmcnt(0)
	v_mul_f32_e32 v68, v63, v76
	v_fmac_f32_e32 v68, v64, v75
	v_add_f32_e32 v67, v67, v68
	s_waitcnt vmcnt(2)
	v_mul_f32_e32 v68, v65, v78
	v_fmac_f32_e32 v68, v66, v77
	v_add_f32_e32 v81, v67, v68
	ds_read_b64 v[67:68], v58 offset:440
	v_fma_f32 v60, v61, v73, -v60
	v_add_f32_e32 v59, v59, v60
	v_mul_f32_e32 v60, v64, v76
	v_fma_f32 v60, v63, v75, -v60
	v_add_f32_e32 v59, v59, v60
	v_mul_f32_e32 v60, v66, v78
	v_fma_f32 v60, v65, v77, -v60
	v_add_f32_e32 v59, v59, v60
	s_waitcnt vmcnt(0) lgkmcnt(0)
	v_mul_f32_e32 v60, v68, v80
	v_mul_f32_e32 v82, v67, v80
	v_fma_f32 v60, v67, v79, -v60
	v_fmac_f32_e32 v82, v68, v79
	v_add_f32_e32 v59, v59, v60
	v_add_f32_e32 v81, v81, v82
	v_sub_f32_e32 v59, v69, v59
	v_sub_f32_e32 v60, v70, v81
	buffer_store_dword v59, off, s[0:3], 0 offset:176
	buffer_store_dword v60, off, s[0:3], 0 offset:180
	s_and_saveexec_b64 s[4:5], vcc
	s_cbranch_execz .LBB91_139
; %bb.138:
	buffer_load_dword v59, off, s[0:3], 0 offset:168
	buffer_load_dword v60, off, s[0:3], 0 offset:172
	s_waitcnt vmcnt(0)
	ds_write_b64 v57, v[59:60]
	buffer_store_dword v58, off, s[0:3], 0 offset:168
	buffer_store_dword v58, off, s[0:3], 0 offset:172
.LBB91_139:
	s_or_b64 exec, exec, s[4:5]
	s_waitcnt lgkmcnt(0)
	; wave barrier
	buffer_load_dword v71, off, s[0:3], 0 offset:180
	buffer_load_dword v72, off, s[0:3], 0 offset:188
	;; [unrolled: 1-line block ×14, first 2 shown]
	ds_read_b128 v[59:62], v58 offset:400
	ds_read_b128 v[63:66], v58 offset:416
	;; [unrolled: 1-line block ×3, first 2 shown]
	v_cmp_lt_u32_e32 vcc, 20, v0
	s_waitcnt vmcnt(13) lgkmcnt(2)
	v_mul_f32_e32 v58, v59, v71
	v_mul_f32_e32 v71, v60, v71
	s_waitcnt vmcnt(12)
	v_mul_f32_e32 v85, v61, v72
	v_mul_f32_e32 v72, v62, v72
	s_waitcnt vmcnt(11) lgkmcnt(1)
	v_mul_f32_e32 v86, v63, v73
	v_mul_f32_e32 v73, v64, v73
	s_waitcnt vmcnt(7)
	v_fma_f32 v59, v59, v77, -v71
	v_fmac_f32_e32 v58, v60, v77
	s_waitcnt vmcnt(6)
	v_fma_f32 v60, v61, v78, -v72
	v_add_f32_e32 v59, 0, v59
	v_mul_f32_e32 v87, v65, v74
	v_mul_f32_e32 v74, v66, v74
	v_fmac_f32_e32 v85, v62, v78
	s_waitcnt vmcnt(5)
	v_fma_f32 v61, v63, v79, -v73
	v_add_f32_e32 v58, 0, v58
	v_add_f32_e32 v59, v59, v60
	s_waitcnt lgkmcnt(0)
	v_mul_f32_e32 v88, v67, v75
	v_mul_f32_e32 v75, v68, v75
	v_fmac_f32_e32 v86, v64, v79
	s_waitcnt vmcnt(4)
	v_fma_f32 v62, v65, v80, -v74
	v_add_f32_e32 v58, v58, v85
	v_add_f32_e32 v59, v59, v61
	v_mul_f32_e32 v89, v69, v76
	v_mul_f32_e32 v76, v70, v76
	v_fmac_f32_e32 v87, v66, v80
	s_waitcnt vmcnt(3)
	v_fma_f32 v63, v67, v81, -v75
	v_add_f32_e32 v58, v58, v86
	v_add_f32_e32 v59, v59, v62
	v_fmac_f32_e32 v88, v68, v81
	s_waitcnt vmcnt(2)
	v_fma_f32 v64, v69, v82, -v76
	v_add_f32_e32 v58, v58, v87
	v_add_f32_e32 v59, v59, v63
	v_fmac_f32_e32 v89, v70, v82
	v_add_f32_e32 v58, v58, v88
	v_add_f32_e32 v59, v59, v64
	v_add_f32_e32 v58, v58, v89
	s_waitcnt vmcnt(1)
	v_sub_f32_e32 v59, v83, v59
	s_waitcnt vmcnt(0)
	v_sub_f32_e32 v58, v84, v58
	buffer_store_dword v59, off, s[0:3], 0 offset:168
	buffer_store_dword v58, off, s[0:3], 0 offset:172
	s_and_saveexec_b64 s[4:5], vcc
	s_cbranch_execz .LBB91_141
; %bb.140:
	buffer_load_dword v58, off, s[0:3], 0 offset:160
	buffer_load_dword v59, off, s[0:3], 0 offset:164
	v_mov_b32_e32 v60, 0
	buffer_store_dword v60, off, s[0:3], 0 offset:160
	buffer_store_dword v60, off, s[0:3], 0 offset:164
	s_waitcnt vmcnt(2)
	ds_write_b64 v57, v[58:59]
.LBB91_141:
	s_or_b64 exec, exec, s[4:5]
	s_waitcnt lgkmcnt(0)
	; wave barrier
	buffer_load_dword v73, off, s[0:3], 0 offset:172
	buffer_load_dword v74, off, s[0:3], 0 offset:180
	;; [unrolled: 1-line block ×16, first 2 shown]
	v_mov_b32_e32 v58, 0
	ds_read2_b64 v[59:62], v58 offset0:49 offset1:50
	ds_read2_b64 v[63:66], v58 offset0:51 offset1:52
	;; [unrolled: 1-line block ×3, first 2 shown]
	ds_read_b64 v[71:72], v58 offset:440
	v_cmp_lt_u32_e32 vcc, 19, v0
	s_waitcnt vmcnt(15) lgkmcnt(3)
	v_mul_f32_e32 v89, v59, v73
	v_mul_f32_e32 v73, v60, v73
	s_waitcnt vmcnt(14)
	v_mul_f32_e32 v90, v61, v74
	v_mul_f32_e32 v74, v62, v74
	s_waitcnt vmcnt(13) lgkmcnt(2)
	v_mul_f32_e32 v91, v63, v75
	s_waitcnt vmcnt(12)
	v_mul_f32_e32 v92, v65, v76
	v_mul_f32_e32 v75, v64, v75
	s_waitcnt vmcnt(8)
	v_fma_f32 v59, v59, v80, -v73
	v_fmac_f32_e32 v89, v60, v80
	s_waitcnt vmcnt(7)
	v_fma_f32 v60, v61, v81, -v74
	v_add_f32_e32 v59, 0, v59
	v_mul_f32_e32 v76, v66, v76
	v_fmac_f32_e32 v90, v62, v81
	s_waitcnt vmcnt(5)
	v_fmac_f32_e32 v92, v66, v83
	v_fma_f32 v61, v63, v82, -v75
	v_add_f32_e32 v66, 0, v89
	v_add_f32_e32 v59, v59, v60
	s_waitcnt lgkmcnt(1)
	v_mul_f32_e32 v93, v67, v77
	v_mul_f32_e32 v77, v68, v77
	v_fmac_f32_e32 v91, v64, v82
	v_fma_f32 v62, v65, v83, -v76
	v_add_f32_e32 v66, v66, v90
	v_add_f32_e32 v59, v59, v61
	v_mul_f32_e32 v94, v69, v78
	v_mul_f32_e32 v78, v70, v78
	s_waitcnt vmcnt(4)
	v_fma_f32 v63, v67, v84, -v77
	v_add_f32_e32 v60, v66, v91
	v_add_f32_e32 v59, v59, v62
	s_waitcnt lgkmcnt(0)
	v_mul_f32_e32 v95, v71, v79
	v_mul_f32_e32 v79, v72, v79
	v_fmac_f32_e32 v93, v68, v84
	s_waitcnt vmcnt(3)
	v_fma_f32 v64, v69, v85, -v78
	v_add_f32_e32 v60, v60, v92
	v_add_f32_e32 v59, v59, v63
	v_fmac_f32_e32 v94, v70, v85
	s_waitcnt vmcnt(2)
	v_fma_f32 v65, v71, v86, -v79
	v_add_f32_e32 v60, v60, v93
	v_add_f32_e32 v59, v59, v64
	v_fmac_f32_e32 v95, v72, v86
	v_add_f32_e32 v60, v60, v94
	v_add_f32_e32 v59, v59, v65
	;; [unrolled: 1-line block ×3, first 2 shown]
	s_waitcnt vmcnt(1)
	v_sub_f32_e32 v59, v87, v59
	s_waitcnt vmcnt(0)
	v_sub_f32_e32 v60, v88, v60
	buffer_store_dword v59, off, s[0:3], 0 offset:160
	buffer_store_dword v60, off, s[0:3], 0 offset:164
	s_and_saveexec_b64 s[4:5], vcc
	s_cbranch_execz .LBB91_143
; %bb.142:
	buffer_load_dword v59, off, s[0:3], 0 offset:152
	buffer_load_dword v60, off, s[0:3], 0 offset:156
	s_waitcnt vmcnt(0)
	ds_write_b64 v57, v[59:60]
	buffer_store_dword v58, off, s[0:3], 0 offset:152
	buffer_store_dword v58, off, s[0:3], 0 offset:156
.LBB91_143:
	s_or_b64 exec, exec, s[4:5]
	s_waitcnt lgkmcnt(0)
	; wave barrier
	buffer_load_dword v75, off, s[0:3], 0 offset:164
	buffer_load_dword v76, off, s[0:3], 0 offset:172
	;; [unrolled: 1-line block ×18, first 2 shown]
	ds_read_b128 v[59:62], v58 offset:384
	ds_read_b128 v[63:66], v58 offset:400
	;; [unrolled: 1-line block ×4, first 2 shown]
	v_cmp_lt_u32_e32 vcc, 18, v0
	s_waitcnt vmcnt(17) lgkmcnt(3)
	v_mul_f32_e32 v58, v59, v75
	v_mul_f32_e32 v75, v60, v75
	s_waitcnt vmcnt(16)
	v_mul_f32_e32 v93, v61, v76
	v_mul_f32_e32 v76, v62, v76
	s_waitcnt vmcnt(15) lgkmcnt(2)
	v_mul_f32_e32 v94, v63, v77
	v_mul_f32_e32 v77, v64, v77
	s_waitcnt vmcnt(14)
	v_mul_f32_e32 v95, v65, v78
	v_mul_f32_e32 v78, v66, v78
	s_waitcnt vmcnt(9)
	v_fma_f32 v59, v59, v83, -v75
	v_fmac_f32_e32 v58, v60, v83
	s_waitcnt vmcnt(8)
	v_fma_f32 v60, v61, v84, -v76
	v_add_f32_e32 v59, 0, v59
	v_fmac_f32_e32 v93, v62, v84
	s_waitcnt vmcnt(7)
	v_fma_f32 v61, v63, v85, -v77
	v_add_f32_e32 v58, 0, v58
	v_add_f32_e32 v59, v59, v60
	s_waitcnt lgkmcnt(1)
	v_mul_f32_e32 v96, v67, v79
	v_mul_f32_e32 v79, v68, v79
	v_fmac_f32_e32 v94, v64, v85
	s_waitcnt vmcnt(6)
	v_fma_f32 v62, v65, v86, -v78
	v_add_f32_e32 v58, v58, v93
	v_add_f32_e32 v59, v59, v61
	v_mul_f32_e32 v97, v69, v80
	v_mul_f32_e32 v80, v70, v80
	v_fmac_f32_e32 v95, v66, v86
	s_waitcnt vmcnt(5)
	v_fma_f32 v63, v67, v87, -v79
	v_add_f32_e32 v58, v58, v94
	v_add_f32_e32 v59, v59, v62
	s_waitcnt lgkmcnt(0)
	v_mul_f32_e32 v98, v71, v81
	v_mul_f32_e32 v81, v72, v81
	v_fmac_f32_e32 v96, v68, v87
	s_waitcnt vmcnt(4)
	v_fma_f32 v64, v69, v88, -v80
	v_add_f32_e32 v58, v58, v95
	v_add_f32_e32 v59, v59, v63
	v_mul_f32_e32 v99, v73, v82
	v_mul_f32_e32 v82, v74, v82
	v_fmac_f32_e32 v97, v70, v88
	s_waitcnt vmcnt(3)
	v_fma_f32 v65, v71, v89, -v81
	v_add_f32_e32 v58, v58, v96
	v_add_f32_e32 v59, v59, v64
	v_fmac_f32_e32 v98, v72, v89
	s_waitcnt vmcnt(2)
	v_fma_f32 v66, v73, v90, -v82
	v_add_f32_e32 v58, v58, v97
	v_add_f32_e32 v59, v59, v65
	v_fmac_f32_e32 v99, v74, v90
	v_add_f32_e32 v58, v58, v98
	v_add_f32_e32 v59, v59, v66
	;; [unrolled: 1-line block ×3, first 2 shown]
	s_waitcnt vmcnt(1)
	v_sub_f32_e32 v59, v91, v59
	s_waitcnt vmcnt(0)
	v_sub_f32_e32 v58, v92, v58
	buffer_store_dword v59, off, s[0:3], 0 offset:152
	buffer_store_dword v58, off, s[0:3], 0 offset:156
	s_and_saveexec_b64 s[4:5], vcc
	s_cbranch_execz .LBB91_145
; %bb.144:
	buffer_load_dword v58, off, s[0:3], 0 offset:144
	buffer_load_dword v59, off, s[0:3], 0 offset:148
	v_mov_b32_e32 v60, 0
	buffer_store_dword v60, off, s[0:3], 0 offset:144
	buffer_store_dword v60, off, s[0:3], 0 offset:148
	s_waitcnt vmcnt(2)
	ds_write_b64 v57, v[58:59]
.LBB91_145:
	s_or_b64 exec, exec, s[4:5]
	s_waitcnt lgkmcnt(0)
	; wave barrier
	buffer_load_dword v77, off, s[0:3], 0 offset:156
	buffer_load_dword v78, off, s[0:3], 0 offset:164
	;; [unrolled: 1-line block ×20, first 2 shown]
	v_mov_b32_e32 v58, 0
	ds_read2_b64 v[59:62], v58 offset0:47 offset1:48
	ds_read2_b64 v[63:66], v58 offset0:49 offset1:50
	;; [unrolled: 1-line block ×4, first 2 shown]
	ds_read_b64 v[75:76], v58 offset:440
	v_cmp_lt_u32_e32 vcc, 17, v0
	s_waitcnt vmcnt(19) lgkmcnt(4)
	v_mul_f32_e32 v97, v59, v77
	v_mul_f32_e32 v77, v60, v77
	s_waitcnt vmcnt(18)
	v_mul_f32_e32 v98, v61, v78
	v_mul_f32_e32 v78, v62, v78
	s_waitcnt vmcnt(17) lgkmcnt(3)
	v_mul_f32_e32 v99, v63, v79
	s_waitcnt vmcnt(15) lgkmcnt(2)
	v_mul_f32_e32 v101, v67, v81
	v_mul_f32_e32 v79, v64, v79
	;; [unrolled: 1-line block ×4, first 2 shown]
	s_waitcnt vmcnt(10)
	v_fma_f32 v59, v59, v86, -v77
	v_fmac_f32_e32 v97, v60, v86
	s_waitcnt vmcnt(9)
	v_fma_f32 v60, v61, v87, -v78
	v_add_f32_e32 v59, 0, v59
	v_mul_f32_e32 v81, v68, v81
	v_fmac_f32_e32 v98, v62, v87
	s_waitcnt vmcnt(6)
	v_fmac_f32_e32 v101, v68, v90
	v_fma_f32 v61, v63, v88, -v79
	v_add_f32_e32 v68, 0, v97
	v_add_f32_e32 v59, v59, v60
	v_fmac_f32_e32 v99, v64, v88
	v_fma_f32 v62, v65, v89, -v80
	v_add_f32_e32 v68, v68, v98
	v_add_f32_e32 v59, v59, v61
	v_mul_f32_e32 v102, v69, v82
	v_mul_f32_e32 v82, v70, v82
	v_fmac_f32_e32 v100, v66, v89
	v_fma_f32 v63, v67, v90, -v81
	v_add_f32_e32 v60, v68, v99
	v_add_f32_e32 v59, v59, v62
	s_waitcnt lgkmcnt(1)
	v_mul_f32_e32 v103, v71, v83
	v_mul_f32_e32 v83, v72, v83
	s_waitcnt vmcnt(5)
	v_fma_f32 v64, v69, v91, -v82
	v_add_f32_e32 v60, v60, v100
	v_add_f32_e32 v59, v59, v63
	v_mul_f32_e32 v104, v73, v84
	v_mul_f32_e32 v84, v74, v84
	v_fmac_f32_e32 v102, v70, v91
	s_waitcnt vmcnt(4)
	v_fma_f32 v65, v71, v92, -v83
	v_add_f32_e32 v60, v60, v101
	v_add_f32_e32 v59, v59, v64
	s_waitcnt lgkmcnt(0)
	v_mul_f32_e32 v105, v75, v85
	v_mul_f32_e32 v85, v76, v85
	v_fmac_f32_e32 v103, v72, v92
	s_waitcnt vmcnt(3)
	v_fma_f32 v66, v73, v93, -v84
	v_add_f32_e32 v60, v60, v102
	v_add_f32_e32 v59, v59, v65
	v_fmac_f32_e32 v104, v74, v93
	s_waitcnt vmcnt(2)
	v_fma_f32 v67, v75, v94, -v85
	v_add_f32_e32 v60, v60, v103
	v_add_f32_e32 v59, v59, v66
	v_fmac_f32_e32 v105, v76, v94
	v_add_f32_e32 v60, v60, v104
	v_add_f32_e32 v59, v59, v67
	;; [unrolled: 1-line block ×3, first 2 shown]
	s_waitcnt vmcnt(1)
	v_sub_f32_e32 v59, v95, v59
	s_waitcnt vmcnt(0)
	v_sub_f32_e32 v60, v96, v60
	buffer_store_dword v59, off, s[0:3], 0 offset:144
	buffer_store_dword v60, off, s[0:3], 0 offset:148
	s_and_saveexec_b64 s[4:5], vcc
	s_cbranch_execz .LBB91_147
; %bb.146:
	buffer_load_dword v59, off, s[0:3], 0 offset:136
	buffer_load_dword v60, off, s[0:3], 0 offset:140
	s_waitcnt vmcnt(0)
	ds_write_b64 v57, v[59:60]
	buffer_store_dword v58, off, s[0:3], 0 offset:136
	buffer_store_dword v58, off, s[0:3], 0 offset:140
.LBB91_147:
	s_or_b64 exec, exec, s[4:5]
	s_waitcnt lgkmcnt(0)
	; wave barrier
	buffer_load_dword v79, off, s[0:3], 0 offset:148
	buffer_load_dword v80, off, s[0:3], 0 offset:156
	;; [unrolled: 1-line block ×22, first 2 shown]
	ds_read_b128 v[59:62], v58 offset:368
	ds_read_b128 v[63:66], v58 offset:384
	;; [unrolled: 1-line block ×5, first 2 shown]
	v_cmp_lt_u32_e32 vcc, 16, v0
	s_waitcnt vmcnt(21) lgkmcnt(4)
	v_mul_f32_e32 v58, v59, v79
	v_mul_f32_e32 v79, v60, v79
	s_waitcnt vmcnt(20)
	v_mul_f32_e32 v101, v61, v80
	v_mul_f32_e32 v80, v62, v80
	s_waitcnt vmcnt(19) lgkmcnt(3)
	v_mul_f32_e32 v102, v63, v81
	v_mul_f32_e32 v81, v64, v81
	s_waitcnt vmcnt(18)
	v_mul_f32_e32 v103, v65, v82
	v_mul_f32_e32 v82, v66, v82
	s_waitcnt vmcnt(17) lgkmcnt(2)
	v_mul_f32_e32 v104, v67, v83
	v_mul_f32_e32 v83, v68, v83
	s_waitcnt vmcnt(11)
	v_fma_f32 v59, v59, v89, -v79
	v_fmac_f32_e32 v58, v60, v89
	s_waitcnt vmcnt(10)
	v_fma_f32 v60, v61, v90, -v80
	v_add_f32_e32 v59, 0, v59
	v_fmac_f32_e32 v101, v62, v90
	s_waitcnt vmcnt(9)
	v_fma_f32 v61, v63, v91, -v81
	v_add_f32_e32 v58, 0, v58
	v_add_f32_e32 v59, v59, v60
	v_fmac_f32_e32 v102, v64, v91
	s_waitcnt vmcnt(8)
	v_fma_f32 v62, v65, v92, -v82
	v_add_f32_e32 v58, v58, v101
	v_add_f32_e32 v59, v59, v61
	v_mul_f32_e32 v105, v69, v84
	v_mul_f32_e32 v84, v70, v84
	v_fmac_f32_e32 v103, v66, v92
	s_waitcnt vmcnt(7)
	v_fma_f32 v63, v67, v93, -v83
	v_add_f32_e32 v58, v58, v102
	v_add_f32_e32 v59, v59, v62
	s_waitcnt lgkmcnt(1)
	v_mul_f32_e32 v106, v71, v85
	v_mul_f32_e32 v85, v72, v85
	v_fmac_f32_e32 v104, v68, v93
	s_waitcnt vmcnt(6)
	v_fma_f32 v64, v69, v94, -v84
	v_add_f32_e32 v58, v58, v103
	v_add_f32_e32 v59, v59, v63
	v_mul_f32_e32 v107, v73, v86
	v_mul_f32_e32 v86, v74, v86
	v_fmac_f32_e32 v105, v70, v94
	s_waitcnt vmcnt(5)
	v_fma_f32 v65, v71, v95, -v85
	v_add_f32_e32 v58, v58, v104
	v_add_f32_e32 v59, v59, v64
	s_waitcnt lgkmcnt(0)
	v_mul_f32_e32 v108, v75, v87
	v_mul_f32_e32 v87, v76, v87
	v_fmac_f32_e32 v106, v72, v95
	s_waitcnt vmcnt(4)
	v_fma_f32 v66, v73, v96, -v86
	v_add_f32_e32 v58, v58, v105
	v_add_f32_e32 v59, v59, v65
	v_mul_f32_e32 v109, v77, v88
	v_mul_f32_e32 v88, v78, v88
	v_fmac_f32_e32 v107, v74, v96
	s_waitcnt vmcnt(3)
	v_fma_f32 v67, v75, v97, -v87
	v_add_f32_e32 v58, v58, v106
	v_add_f32_e32 v59, v59, v66
	v_fmac_f32_e32 v108, v76, v97
	s_waitcnt vmcnt(2)
	v_fma_f32 v68, v77, v98, -v88
	v_add_f32_e32 v58, v58, v107
	v_add_f32_e32 v59, v59, v67
	v_fmac_f32_e32 v109, v78, v98
	v_add_f32_e32 v58, v58, v108
	v_add_f32_e32 v59, v59, v68
	;; [unrolled: 1-line block ×3, first 2 shown]
	s_waitcnt vmcnt(1)
	v_sub_f32_e32 v59, v99, v59
	s_waitcnt vmcnt(0)
	v_sub_f32_e32 v58, v100, v58
	buffer_store_dword v59, off, s[0:3], 0 offset:136
	buffer_store_dword v58, off, s[0:3], 0 offset:140
	s_and_saveexec_b64 s[4:5], vcc
	s_cbranch_execz .LBB91_149
; %bb.148:
	buffer_load_dword v58, off, s[0:3], 0 offset:128
	buffer_load_dword v59, off, s[0:3], 0 offset:132
	v_mov_b32_e32 v60, 0
	buffer_store_dword v60, off, s[0:3], 0 offset:128
	buffer_store_dword v60, off, s[0:3], 0 offset:132
	s_waitcnt vmcnt(2)
	ds_write_b64 v57, v[58:59]
.LBB91_149:
	s_or_b64 exec, exec, s[4:5]
	s_waitcnt lgkmcnt(0)
	; wave barrier
	buffer_load_dword v81, off, s[0:3], 0 offset:140
	buffer_load_dword v82, off, s[0:3], 0 offset:148
	;; [unrolled: 1-line block ×24, first 2 shown]
	v_mov_b32_e32 v58, 0
	ds_read2_b64 v[59:62], v58 offset0:45 offset1:46
	ds_read2_b64 v[63:66], v58 offset0:47 offset1:48
	;; [unrolled: 1-line block ×5, first 2 shown]
	ds_read_b64 v[79:80], v58 offset:440
	v_cmp_lt_u32_e32 vcc, 15, v0
	s_waitcnt vmcnt(23) lgkmcnt(5)
	v_mul_f32_e32 v105, v59, v81
	v_mul_f32_e32 v81, v60, v81
	s_waitcnt vmcnt(22)
	v_mul_f32_e32 v106, v61, v82
	v_mul_f32_e32 v82, v62, v82
	s_waitcnt vmcnt(21) lgkmcnt(4)
	v_mul_f32_e32 v107, v63, v83
	v_mul_f32_e32 v83, v64, v83
	s_waitcnt vmcnt(20)
	v_mul_f32_e32 v108, v65, v84
	s_waitcnt vmcnt(19) lgkmcnt(3)
	v_mul_f32_e32 v109, v67, v85
	v_mul_f32_e32 v84, v66, v84
	;; [unrolled: 1-line block ×3, first 2 shown]
	s_waitcnt vmcnt(18)
	v_mul_f32_e32 v110, v69, v86
	s_waitcnt vmcnt(12)
	v_fma_f32 v59, v59, v92, -v81
	v_fmac_f32_e32 v105, v60, v92
	s_waitcnt vmcnt(11)
	v_fma_f32 v60, v61, v93, -v82
	v_add_f32_e32 v59, 0, v59
	s_waitcnt vmcnt(10)
	v_fma_f32 v61, v63, v94, -v83
	v_add_f32_e32 v59, v59, v60
	v_fmac_f32_e32 v106, v62, v93
	s_waitcnt vmcnt(8)
	v_fmac_f32_e32 v109, v68, v96
	v_fma_f32 v62, v65, v95, -v84
	v_add_f32_e32 v68, 0, v105
	v_add_f32_e32 v59, v59, v61
	v_mul_f32_e32 v86, v70, v86
	v_fmac_f32_e32 v107, v64, v94
	v_fma_f32 v63, v67, v96, -v85
	v_add_f32_e32 v68, v68, v106
	v_add_f32_e32 v59, v59, v62
	s_waitcnt lgkmcnt(2)
	v_mul_f32_e32 v111, v71, v87
	v_mul_f32_e32 v87, v72, v87
	v_fmac_f32_e32 v108, v66, v95
	s_waitcnt vmcnt(7)
	v_fma_f32 v64, v69, v97, -v86
	v_add_f32_e32 v60, v68, v107
	v_add_f32_e32 v59, v59, v63
	v_mul_f32_e32 v112, v73, v88
	v_mul_f32_e32 v88, v74, v88
	s_waitcnt vmcnt(6)
	v_fma_f32 v65, v71, v98, -v87
	v_add_f32_e32 v60, v60, v108
	v_add_f32_e32 v59, v59, v64
	s_waitcnt lgkmcnt(1)
	v_mul_f32_e32 v113, v75, v89
	v_mul_f32_e32 v89, v76, v89
	v_fmac_f32_e32 v110, v70, v97
	s_waitcnt vmcnt(5)
	v_fma_f32 v66, v73, v99, -v88
	v_add_f32_e32 v60, v60, v109
	v_add_f32_e32 v59, v59, v65
	v_fmac_f32_e32 v111, v72, v98
	s_waitcnt vmcnt(4)
	v_fma_f32 v67, v75, v100, -v89
	v_add_f32_e32 v60, v60, v110
	v_add_f32_e32 v59, v59, v66
	v_mul_f32_e32 v61, v78, v90
	v_fmac_f32_e32 v112, v74, v99
	v_add_f32_e32 v60, v60, v111
	v_add_f32_e32 v59, v59, v67
	s_waitcnt vmcnt(3)
	v_fma_f32 v61, v77, v101, -v61
	v_mul_f32_e32 v114, v77, v90
	v_fmac_f32_e32 v113, v76, v100
	v_add_f32_e32 v60, v60, v112
	v_add_f32_e32 v59, v59, v61
	s_waitcnt lgkmcnt(0)
	v_mul_f32_e32 v61, v80, v91
	v_mul_f32_e32 v115, v79, v91
	v_fmac_f32_e32 v114, v78, v101
	v_add_f32_e32 v60, v60, v113
	s_waitcnt vmcnt(2)
	v_fma_f32 v61, v79, v102, -v61
	v_fmac_f32_e32 v115, v80, v102
	v_add_f32_e32 v60, v60, v114
	v_add_f32_e32 v59, v59, v61
	;; [unrolled: 1-line block ×3, first 2 shown]
	s_waitcnt vmcnt(1)
	v_sub_f32_e32 v59, v103, v59
	s_waitcnt vmcnt(0)
	v_sub_f32_e32 v60, v104, v60
	buffer_store_dword v59, off, s[0:3], 0 offset:128
	buffer_store_dword v60, off, s[0:3], 0 offset:132
	s_and_saveexec_b64 s[4:5], vcc
	s_cbranch_execz .LBB91_151
; %bb.150:
	buffer_load_dword v59, off, s[0:3], 0 offset:120
	buffer_load_dword v60, off, s[0:3], 0 offset:124
	s_waitcnt vmcnt(0)
	ds_write_b64 v57, v[59:60]
	buffer_store_dword v58, off, s[0:3], 0 offset:120
	buffer_store_dword v58, off, s[0:3], 0 offset:124
.LBB91_151:
	s_or_b64 exec, exec, s[4:5]
	s_waitcnt lgkmcnt(0)
	; wave barrier
	buffer_load_dword v83, off, s[0:3], 0 offset:132
	buffer_load_dword v84, off, s[0:3], 0 offset:140
	;; [unrolled: 1-line block ×26, first 2 shown]
	ds_read_b128 v[59:62], v58 offset:352
	ds_read_b128 v[63:66], v58 offset:368
	;; [unrolled: 1-line block ×6, first 2 shown]
	v_cmp_lt_u32_e32 vcc, 14, v0
	s_waitcnt vmcnt(25) lgkmcnt(5)
	v_mul_f32_e32 v58, v59, v83
	v_mul_f32_e32 v83, v60, v83
	s_waitcnt vmcnt(24)
	v_mul_f32_e32 v109, v61, v84
	v_mul_f32_e32 v84, v62, v84
	s_waitcnt vmcnt(23) lgkmcnt(4)
	v_mul_f32_e32 v110, v63, v85
	v_mul_f32_e32 v85, v64, v85
	s_waitcnt vmcnt(22)
	v_mul_f32_e32 v111, v65, v86
	v_mul_f32_e32 v86, v66, v86
	;; [unrolled: 6-line block ×3, first 2 shown]
	s_waitcnt vmcnt(13)
	v_fma_f32 v59, v59, v95, -v83
	v_fmac_f32_e32 v58, v60, v95
	s_waitcnt vmcnt(12)
	v_fma_f32 v60, v61, v96, -v84
	v_add_f32_e32 v59, 0, v59
	s_waitcnt vmcnt(11)
	v_fma_f32 v61, v63, v97, -v85
	v_add_f32_e32 v59, v59, v60
	v_fmac_f32_e32 v109, v62, v96
	s_waitcnt vmcnt(10)
	v_fma_f32 v62, v65, v98, -v86
	v_add_f32_e32 v59, v59, v61
	s_waitcnt vmcnt(9)
	v_fma_f32 v63, v67, v99, -v87
	v_add_f32_e32 v59, v59, v62
	s_waitcnt lgkmcnt(2)
	v_mul_f32_e32 v114, v71, v89
	v_mul_f32_e32 v89, v72, v89
	v_fmac_f32_e32 v110, v64, v97
	s_waitcnt vmcnt(8)
	v_fma_f32 v64, v69, v100, -v88
	v_add_f32_e32 v58, 0, v58
	v_add_f32_e32 v59, v59, v63
	v_mul_f32_e32 v115, v73, v90
	v_mul_f32_e32 v90, v74, v90
	s_waitcnt vmcnt(7)
	v_fma_f32 v65, v71, v101, -v89
	v_add_f32_e32 v58, v58, v109
	v_add_f32_e32 v59, v59, v64
	v_fmac_f32_e32 v111, v66, v98
	s_waitcnt vmcnt(6)
	v_fma_f32 v66, v73, v102, -v90
	v_add_f32_e32 v58, v58, v110
	v_add_f32_e32 v59, v59, v65
	s_waitcnt lgkmcnt(1)
	v_mul_f32_e32 v60, v76, v91
	v_fmac_f32_e32 v112, v68, v99
	v_add_f32_e32 v58, v58, v111
	v_add_f32_e32 v59, v59, v66
	s_waitcnt vmcnt(5)
	v_fma_f32 v60, v75, v103, -v60
	v_fmac_f32_e32 v113, v70, v100
	v_add_f32_e32 v58, v58, v112
	v_add_f32_e32 v59, v59, v60
	v_mul_f32_e32 v60, v78, v92
	v_fmac_f32_e32 v114, v72, v101
	v_add_f32_e32 v58, v58, v113
	s_waitcnt vmcnt(4)
	v_fma_f32 v60, v77, v104, -v60
	v_mul_f32_e32 v116, v75, v91
	v_fmac_f32_e32 v115, v74, v102
	v_add_f32_e32 v58, v58, v114
	v_add_f32_e32 v59, v59, v60
	s_waitcnt lgkmcnt(0)
	v_mul_f32_e32 v60, v80, v93
	v_mul_f32_e32 v117, v77, v92
	v_fmac_f32_e32 v116, v76, v103
	v_add_f32_e32 v58, v58, v115
	s_waitcnt vmcnt(3)
	v_fma_f32 v60, v79, v105, -v60
	v_mul_f32_e32 v118, v79, v93
	v_fmac_f32_e32 v117, v78, v104
	v_add_f32_e32 v58, v58, v116
	v_add_f32_e32 v59, v59, v60
	v_mul_f32_e32 v60, v82, v94
	v_mul_f32_e32 v119, v81, v94
	v_fmac_f32_e32 v118, v80, v105
	v_add_f32_e32 v58, v58, v117
	s_waitcnt vmcnt(2)
	v_fma_f32 v60, v81, v106, -v60
	v_fmac_f32_e32 v119, v82, v106
	v_add_f32_e32 v58, v58, v118
	v_add_f32_e32 v59, v59, v60
	;; [unrolled: 1-line block ×3, first 2 shown]
	s_waitcnt vmcnt(1)
	v_sub_f32_e32 v59, v107, v59
	s_waitcnt vmcnt(0)
	v_sub_f32_e32 v58, v108, v58
	buffer_store_dword v59, off, s[0:3], 0 offset:120
	buffer_store_dword v58, off, s[0:3], 0 offset:124
	s_and_saveexec_b64 s[4:5], vcc
	s_cbranch_execz .LBB91_153
; %bb.152:
	buffer_load_dword v58, off, s[0:3], 0 offset:112
	buffer_load_dword v59, off, s[0:3], 0 offset:116
	v_mov_b32_e32 v60, 0
	buffer_store_dword v60, off, s[0:3], 0 offset:112
	buffer_store_dword v60, off, s[0:3], 0 offset:116
	s_waitcnt vmcnt(2)
	ds_write_b64 v57, v[58:59]
.LBB91_153:
	s_or_b64 exec, exec, s[4:5]
	s_waitcnt lgkmcnt(0)
	; wave barrier
	buffer_load_dword v85, off, s[0:3], 0 offset:124
	buffer_load_dword v86, off, s[0:3], 0 offset:132
	;; [unrolled: 1-line block ×28, first 2 shown]
	v_mov_b32_e32 v58, 0
	ds_read2_b64 v[59:62], v58 offset0:43 offset1:44
	ds_read2_b64 v[63:66], v58 offset0:45 offset1:46
	;; [unrolled: 1-line block ×6, first 2 shown]
	ds_read_b64 v[83:84], v58 offset:440
	v_cmp_lt_u32_e32 vcc, 13, v0
	s_waitcnt vmcnt(27) lgkmcnt(6)
	v_mul_f32_e32 v113, v59, v85
	v_mul_f32_e32 v85, v60, v85
	s_waitcnt vmcnt(26)
	v_mul_f32_e32 v114, v61, v86
	v_mul_f32_e32 v86, v62, v86
	s_waitcnt vmcnt(25) lgkmcnt(5)
	v_mul_f32_e32 v115, v63, v87
	v_mul_f32_e32 v87, v64, v87
	s_waitcnt vmcnt(24)
	v_mul_f32_e32 v116, v65, v88
	v_mul_f32_e32 v88, v66, v88
	;; [unrolled: 6-line block ×3, first 2 shown]
	s_waitcnt vmcnt(21) lgkmcnt(3)
	v_mul_f32_e32 v119, v71, v91
	s_waitcnt vmcnt(14)
	v_fma_f32 v59, v59, v98, -v85
	v_fmac_f32_e32 v113, v60, v98
	s_waitcnt vmcnt(13)
	v_fma_f32 v60, v61, v99, -v86
	v_add_f32_e32 v59, 0, v59
	s_waitcnt vmcnt(12)
	v_fma_f32 v61, v63, v100, -v87
	v_add_f32_e32 v59, v59, v60
	v_fmac_f32_e32 v114, v62, v99
	s_waitcnt vmcnt(11)
	v_fma_f32 v62, v65, v101, -v88
	v_add_f32_e32 v59, v59, v61
	s_waitcnt vmcnt(10)
	v_fma_f32 v63, v67, v102, -v89
	v_add_f32_e32 v59, v59, v62
	v_fmac_f32_e32 v115, v64, v100
	s_waitcnt vmcnt(9)
	v_fma_f32 v64, v69, v103, -v90
	v_add_f32_e32 v59, v59, v63
	v_mul_f32_e32 v61, v72, v91
	v_add_f32_e32 v59, v59, v64
	s_waitcnt vmcnt(8)
	v_fma_f32 v61, v71, v104, -v61
	v_add_f32_e32 v59, v59, v61
	v_mul_f32_e32 v61, v74, v92
	v_add_f32_e32 v65, 0, v113
	s_waitcnt vmcnt(7)
	v_fma_f32 v61, v73, v105, -v61
	v_add_f32_e32 v65, v65, v114
	v_add_f32_e32 v59, v59, v61
	s_waitcnt lgkmcnt(2)
	v_mul_f32_e32 v61, v76, v93
	v_fmac_f32_e32 v116, v66, v101
	v_add_f32_e32 v60, v65, v115
	s_waitcnt vmcnt(6)
	v_fma_f32 v61, v75, v106, -v61
	v_fmac_f32_e32 v117, v68, v102
	v_add_f32_e32 v60, v60, v116
	v_add_f32_e32 v59, v59, v61
	v_mul_f32_e32 v61, v78, v94
	v_fmac_f32_e32 v118, v70, v103
	v_add_f32_e32 v60, v60, v117
	s_waitcnt vmcnt(5)
	v_fma_f32 v61, v77, v107, -v61
	v_mul_f32_e32 v120, v73, v92
	v_fmac_f32_e32 v119, v72, v104
	v_add_f32_e32 v60, v60, v118
	v_add_f32_e32 v59, v59, v61
	s_waitcnt lgkmcnt(1)
	v_mul_f32_e32 v61, v80, v95
	v_mul_f32_e32 v121, v75, v93
	v_fmac_f32_e32 v120, v74, v105
	v_add_f32_e32 v60, v60, v119
	s_waitcnt vmcnt(4)
	v_fma_f32 v61, v79, v108, -v61
	v_mul_f32_e32 v122, v77, v94
	v_fmac_f32_e32 v121, v76, v106
	v_add_f32_e32 v60, v60, v120
	v_add_f32_e32 v59, v59, v61
	v_mul_f32_e32 v61, v82, v96
	v_mul_f32_e32 v123, v79, v95
	v_fmac_f32_e32 v122, v78, v107
	v_add_f32_e32 v60, v60, v121
	s_waitcnt vmcnt(3)
	v_fma_f32 v61, v81, v109, -v61
	v_mul_f32_e32 v124, v81, v96
	v_fmac_f32_e32 v123, v80, v108
	v_add_f32_e32 v60, v60, v122
	v_add_f32_e32 v59, v59, v61
	s_waitcnt lgkmcnt(0)
	v_mul_f32_e32 v61, v84, v97
	v_mul_f32_e32 v125, v83, v97
	v_fmac_f32_e32 v124, v82, v109
	v_add_f32_e32 v60, v60, v123
	s_waitcnt vmcnt(2)
	v_fma_f32 v61, v83, v110, -v61
	v_fmac_f32_e32 v125, v84, v110
	v_add_f32_e32 v60, v60, v124
	v_add_f32_e32 v59, v59, v61
	;; [unrolled: 1-line block ×3, first 2 shown]
	s_waitcnt vmcnt(1)
	v_sub_f32_e32 v59, v111, v59
	s_waitcnt vmcnt(0)
	v_sub_f32_e32 v60, v112, v60
	buffer_store_dword v59, off, s[0:3], 0 offset:112
	buffer_store_dword v60, off, s[0:3], 0 offset:116
	s_and_saveexec_b64 s[4:5], vcc
	s_cbranch_execz .LBB91_155
; %bb.154:
	buffer_load_dword v59, off, s[0:3], 0 offset:104
	buffer_load_dword v60, off, s[0:3], 0 offset:108
	s_waitcnt vmcnt(0)
	ds_write_b64 v57, v[59:60]
	buffer_store_dword v58, off, s[0:3], 0 offset:104
	buffer_store_dword v58, off, s[0:3], 0 offset:108
.LBB91_155:
	s_or_b64 exec, exec, s[4:5]
	s_waitcnt lgkmcnt(0)
	; wave barrier
	ds_read_b128 v[59:62], v58 offset:336
	ds_read_b128 v[63:66], v58 offset:352
	;; [unrolled: 1-line block ×4, first 2 shown]
	buffer_load_dword v87, off, s[0:3], 0 offset:104
	buffer_load_dword v88, off, s[0:3], 0 offset:108
	;; [unrolled: 1-line block ×18, first 2 shown]
	v_cmp_lt_u32_e32 vcc, 12, v0
	s_waitcnt vmcnt(14) lgkmcnt(3)
	v_mul_f32_e32 v75, v59, v90
	v_fmac_f32_e32 v75, v60, v89
	s_waitcnt vmcnt(12)
	v_mul_f32_e32 v76, v61, v92
	v_add_f32_e32 v75, 0, v75
	v_fmac_f32_e32 v76, v62, v91
	v_add_f32_e32 v75, v75, v76
	s_waitcnt vmcnt(10) lgkmcnt(2)
	v_mul_f32_e32 v76, v63, v94
	v_fmac_f32_e32 v76, v64, v93
	v_add_f32_e32 v75, v75, v76
	s_waitcnt vmcnt(8)
	v_mul_f32_e32 v76, v65, v96
	v_fmac_f32_e32 v76, v66, v95
	v_add_f32_e32 v75, v75, v76
	s_waitcnt vmcnt(6) lgkmcnt(1)
	v_mul_f32_e32 v76, v67, v98
	v_fmac_f32_e32 v76, v68, v97
	v_add_f32_e32 v75, v75, v76
	s_waitcnt vmcnt(4)
	v_mul_f32_e32 v76, v69, v100
	;; [unrolled: 8-line block ×3, first 2 shown]
	v_fmac_f32_e32 v76, v74, v103
	v_add_f32_e32 v79, v75, v76
	ds_read_b128 v[75:78], v58 offset:400
	buffer_load_dword v105, off, s[0:3], 0 offset:176
	buffer_load_dword v106, off, s[0:3], 0 offset:180
	;; [unrolled: 1-line block ×4, first 2 shown]
	v_mul_f32_e32 v60, v60, v90
	v_fma_f32 v59, v59, v89, -v60
	v_mul_f32_e32 v60, v62, v92
	v_add_f32_e32 v59, 0, v59
	v_fma_f32 v60, v61, v91, -v60
	v_add_f32_e32 v59, v59, v60
	v_mul_f32_e32 v60, v64, v94
	v_fma_f32 v60, v63, v93, -v60
	v_add_f32_e32 v59, v59, v60
	v_mul_f32_e32 v60, v66, v96
	;; [unrolled: 3-line block ×6, first 2 shown]
	v_fma_f32 v60, v73, v103, -v60
	v_add_f32_e32 v59, v59, v60
	s_waitcnt vmcnt(2) lgkmcnt(0)
	v_mul_f32_e32 v80, v75, v106
	v_fmac_f32_e32 v80, v76, v105
	v_add_f32_e32 v79, v79, v80
	s_waitcnt vmcnt(0)
	v_mul_f32_e32 v80, v77, v108
	v_fmac_f32_e32 v80, v78, v107
	v_add_f32_e32 v83, v79, v80
	ds_read_b128 v[79:82], v58 offset:416
	buffer_load_dword v109, off, s[0:3], 0 offset:192
	buffer_load_dword v110, off, s[0:3], 0 offset:196
	buffer_load_dword v111, off, s[0:3], 0 offset:200
	buffer_load_dword v112, off, s[0:3], 0 offset:204
	v_mul_f32_e32 v60, v76, v106
	v_fma_f32 v60, v75, v105, -v60
	v_add_f32_e32 v59, v59, v60
	v_mul_f32_e32 v60, v78, v108
	v_fma_f32 v60, v77, v107, -v60
	v_add_f32_e32 v59, v59, v60
	s_waitcnt vmcnt(2) lgkmcnt(0)
	v_mul_f32_e32 v84, v79, v110
	v_fmac_f32_e32 v84, v80, v109
	v_add_f32_e32 v83, v83, v84
	s_waitcnt vmcnt(0)
	v_mul_f32_e32 v84, v81, v112
	v_fmac_f32_e32 v84, v82, v111
	v_add_f32_e32 v113, v83, v84
	ds_read_b128 v[83:86], v58 offset:432
	buffer_load_dword v58, off, s[0:3], 0 offset:208
	buffer_load_dword v114, off, s[0:3], 0 offset:212
	v_mul_f32_e32 v60, v80, v110
	v_fma_f32 v60, v79, v109, -v60
	v_add_f32_e32 v59, v59, v60
	v_mul_f32_e32 v60, v82, v112
	v_fma_f32 v60, v81, v111, -v60
	v_add_f32_e32 v59, v59, v60
	s_waitcnt vmcnt(0) lgkmcnt(0)
	v_mul_f32_e32 v115, v83, v114
	v_fmac_f32_e32 v115, v84, v58
	v_add_f32_e32 v113, v113, v115
	buffer_load_dword v115, off, s[0:3], 0 offset:216
	buffer_load_dword v116, off, s[0:3], 0 offset:220
	v_mul_f32_e32 v60, v84, v114
	v_fma_f32 v58, v83, v58, -v60
	v_add_f32_e32 v58, v59, v58
	s_waitcnt vmcnt(0)
	v_mul_f32_e32 v59, v86, v116
	v_mul_f32_e32 v117, v85, v116
	v_fma_f32 v59, v85, v115, -v59
	v_fmac_f32_e32 v117, v86, v115
	v_add_f32_e32 v58, v58, v59
	v_add_f32_e32 v113, v113, v117
	v_sub_f32_e32 v58, v87, v58
	v_sub_f32_e32 v59, v88, v113
	buffer_store_dword v58, off, s[0:3], 0 offset:104
	buffer_store_dword v59, off, s[0:3], 0 offset:108
	s_and_saveexec_b64 s[4:5], vcc
	s_cbranch_execz .LBB91_157
; %bb.156:
	buffer_load_dword v58, off, s[0:3], 0 offset:96
	buffer_load_dword v59, off, s[0:3], 0 offset:100
	v_mov_b32_e32 v60, 0
	buffer_store_dword v60, off, s[0:3], 0 offset:96
	buffer_store_dword v60, off, s[0:3], 0 offset:100
	s_waitcnt vmcnt(2)
	ds_write_b64 v57, v[58:59]
.LBB91_157:
	s_or_b64 exec, exec, s[4:5]
	v_mov_b32_e32 v58, 0
	s_waitcnt lgkmcnt(0)
	; wave barrier
	ds_read2_b64 v[59:62], v58 offset0:41 offset1:42
	buffer_load_dword v89, off, s[0:3], 0 offset:96
	buffer_load_dword v90, off, s[0:3], 0 offset:100
	;; [unrolled: 1-line block ×16, first 2 shown]
	v_cmp_lt_u32_e32 vcc, 11, v0
	s_waitcnt vmcnt(12) lgkmcnt(0)
	v_mul_f32_e32 v63, v59, v92
	v_fmac_f32_e32 v63, v60, v91
	s_waitcnt vmcnt(10)
	v_mul_f32_e32 v64, v61, v94
	v_add_f32_e32 v63, 0, v63
	v_fmac_f32_e32 v64, v62, v93
	v_add_f32_e32 v67, v63, v64
	ds_read2_b64 v[63:66], v58 offset0:43 offset1:44
	v_mul_f32_e32 v60, v60, v92
	v_fma_f32 v59, v59, v91, -v60
	v_mul_f32_e32 v60, v62, v94
	v_add_f32_e32 v59, 0, v59
	s_waitcnt vmcnt(8) lgkmcnt(0)
	v_mul_f32_e32 v68, v63, v96
	v_fmac_f32_e32 v68, v64, v95
	v_add_f32_e32 v67, v67, v68
	s_waitcnt vmcnt(6)
	v_mul_f32_e32 v68, v65, v98
	v_fmac_f32_e32 v68, v66, v97
	v_add_f32_e32 v71, v67, v68
	ds_read2_b64 v[67:70], v58 offset0:45 offset1:46
	v_fma_f32 v60, v61, v93, -v60
	v_add_f32_e32 v59, v59, v60
	v_mul_f32_e32 v60, v64, v96
	v_fma_f32 v60, v63, v95, -v60
	s_waitcnt vmcnt(4) lgkmcnt(0)
	v_mul_f32_e32 v72, v67, v100
	v_fmac_f32_e32 v72, v68, v99
	v_add_f32_e32 v71, v71, v72
	s_waitcnt vmcnt(2)
	v_mul_f32_e32 v72, v69, v102
	v_fmac_f32_e32 v72, v70, v101
	v_add_f32_e32 v75, v71, v72
	ds_read2_b64 v[71:74], v58 offset0:47 offset1:48
	buffer_load_dword v105, off, s[0:3], 0 offset:160
	buffer_load_dword v106, off, s[0:3], 0 offset:164
	v_add_f32_e32 v59, v59, v60
	v_mul_f32_e32 v60, v66, v98
	v_fma_f32 v60, v65, v97, -v60
	s_waitcnt vmcnt(2) lgkmcnt(0)
	v_mul_f32_e32 v76, v71, v104
	v_fmac_f32_e32 v76, v72, v103
	v_add_f32_e32 v75, v75, v76
	v_add_f32_e32 v59, v59, v60
	v_mul_f32_e32 v60, v68, v100
	v_fma_f32 v60, v67, v99, -v60
	v_add_f32_e32 v59, v59, v60
	v_mul_f32_e32 v60, v70, v102
	v_fma_f32 v60, v69, v101, -v60
	;; [unrolled: 3-line block ×3, first 2 shown]
	v_add_f32_e32 v59, v59, v60
	s_waitcnt vmcnt(0)
	v_mul_f32_e32 v76, v73, v106
	v_fmac_f32_e32 v76, v74, v105
	v_add_f32_e32 v79, v75, v76
	ds_read2_b64 v[75:78], v58 offset0:49 offset1:50
	buffer_load_dword v107, off, s[0:3], 0 offset:168
	buffer_load_dword v108, off, s[0:3], 0 offset:172
	;; [unrolled: 1-line block ×4, first 2 shown]
	v_mul_f32_e32 v60, v74, v106
	v_fma_f32 v60, v73, v105, -v60
	v_add_f32_e32 v59, v59, v60
	s_waitcnt vmcnt(2) lgkmcnt(0)
	v_mul_f32_e32 v80, v75, v108
	v_fmac_f32_e32 v80, v76, v107
	v_add_f32_e32 v79, v79, v80
	s_waitcnt vmcnt(0)
	v_mul_f32_e32 v80, v77, v110
	v_fmac_f32_e32 v80, v78, v109
	v_add_f32_e32 v83, v79, v80
	ds_read2_b64 v[79:82], v58 offset0:51 offset1:52
	buffer_load_dword v111, off, s[0:3], 0 offset:184
	buffer_load_dword v112, off, s[0:3], 0 offset:188
	buffer_load_dword v113, off, s[0:3], 0 offset:192
	buffer_load_dword v114, off, s[0:3], 0 offset:196
	v_mul_f32_e32 v60, v76, v108
	v_fma_f32 v60, v75, v107, -v60
	v_add_f32_e32 v59, v59, v60
	v_mul_f32_e32 v60, v78, v110
	v_fma_f32 v60, v77, v109, -v60
	v_add_f32_e32 v59, v59, v60
	s_waitcnt vmcnt(2) lgkmcnt(0)
	v_mul_f32_e32 v84, v79, v112
	v_fmac_f32_e32 v84, v80, v111
	v_add_f32_e32 v83, v83, v84
	s_waitcnt vmcnt(0)
	v_mul_f32_e32 v84, v81, v114
	v_fmac_f32_e32 v84, v82, v113
	v_add_f32_e32 v87, v83, v84
	ds_read2_b64 v[83:86], v58 offset0:53 offset1:54
	buffer_load_dword v115, off, s[0:3], 0 offset:200
	buffer_load_dword v116, off, s[0:3], 0 offset:204
	;; [unrolled: 1-line block ×4, first 2 shown]
	v_mul_f32_e32 v60, v80, v112
	v_fma_f32 v60, v79, v111, -v60
	v_add_f32_e32 v59, v59, v60
	v_mul_f32_e32 v60, v82, v114
	v_fma_f32 v60, v81, v113, -v60
	v_add_f32_e32 v59, v59, v60
	s_waitcnt vmcnt(2) lgkmcnt(0)
	v_mul_f32_e32 v88, v83, v116
	v_fmac_f32_e32 v88, v84, v115
	v_add_f32_e32 v87, v87, v88
	s_waitcnt vmcnt(0)
	v_mul_f32_e32 v88, v85, v118
	v_fmac_f32_e32 v88, v86, v117
	v_add_f32_e32 v119, v87, v88
	ds_read_b64 v[87:88], v58 offset:440
	buffer_load_dword v120, off, s[0:3], 0 offset:216
	buffer_load_dword v121, off, s[0:3], 0 offset:220
	v_mul_f32_e32 v60, v84, v116
	v_fma_f32 v60, v83, v115, -v60
	v_add_f32_e32 v59, v59, v60
	v_mul_f32_e32 v60, v86, v118
	v_fma_f32 v60, v85, v117, -v60
	v_add_f32_e32 v59, v59, v60
	s_waitcnt vmcnt(0) lgkmcnt(0)
	v_mul_f32_e32 v60, v88, v121
	v_mul_f32_e32 v122, v87, v121
	v_fma_f32 v60, v87, v120, -v60
	v_fmac_f32_e32 v122, v88, v120
	v_add_f32_e32 v59, v59, v60
	v_add_f32_e32 v119, v119, v122
	v_sub_f32_e32 v59, v89, v59
	v_sub_f32_e32 v60, v90, v119
	buffer_store_dword v59, off, s[0:3], 0 offset:96
	buffer_store_dword v60, off, s[0:3], 0 offset:100
	s_and_saveexec_b64 s[4:5], vcc
	s_cbranch_execz .LBB91_159
; %bb.158:
	buffer_load_dword v59, off, s[0:3], 0 offset:88
	buffer_load_dword v60, off, s[0:3], 0 offset:92
	s_waitcnt vmcnt(0)
	ds_write_b64 v57, v[59:60]
	buffer_store_dword v58, off, s[0:3], 0 offset:88
	buffer_store_dword v58, off, s[0:3], 0 offset:92
.LBB91_159:
	s_or_b64 exec, exec, s[4:5]
	s_waitcnt lgkmcnt(0)
	; wave barrier
	ds_read_b128 v[59:62], v58 offset:320
	ds_read_b128 v[63:66], v58 offset:336
	;; [unrolled: 1-line block ×4, first 2 shown]
	buffer_load_dword v91, off, s[0:3], 0 offset:88
	buffer_load_dword v92, off, s[0:3], 0 offset:92
	;; [unrolled: 1-line block ×18, first 2 shown]
	v_cmp_lt_u32_e32 vcc, 10, v0
	s_waitcnt vmcnt(14) lgkmcnt(3)
	v_mul_f32_e32 v75, v59, v94
	v_fmac_f32_e32 v75, v60, v93
	s_waitcnt vmcnt(12)
	v_mul_f32_e32 v76, v61, v96
	v_add_f32_e32 v75, 0, v75
	v_fmac_f32_e32 v76, v62, v95
	v_add_f32_e32 v75, v75, v76
	s_waitcnt vmcnt(10) lgkmcnt(2)
	v_mul_f32_e32 v76, v63, v98
	v_fmac_f32_e32 v76, v64, v97
	v_add_f32_e32 v75, v75, v76
	s_waitcnt vmcnt(8)
	v_mul_f32_e32 v76, v65, v100
	v_fmac_f32_e32 v76, v66, v99
	v_add_f32_e32 v75, v75, v76
	s_waitcnt vmcnt(6) lgkmcnt(1)
	v_mul_f32_e32 v76, v67, v102
	v_fmac_f32_e32 v76, v68, v101
	v_add_f32_e32 v75, v75, v76
	s_waitcnt vmcnt(4)
	v_mul_f32_e32 v76, v69, v104
	;; [unrolled: 8-line block ×3, first 2 shown]
	v_fmac_f32_e32 v76, v74, v107
	v_add_f32_e32 v79, v75, v76
	ds_read_b128 v[75:78], v58 offset:384
	buffer_load_dword v109, off, s[0:3], 0 offset:160
	buffer_load_dword v110, off, s[0:3], 0 offset:164
	;; [unrolled: 1-line block ×4, first 2 shown]
	v_mul_f32_e32 v60, v60, v94
	v_fma_f32 v59, v59, v93, -v60
	v_mul_f32_e32 v60, v62, v96
	v_add_f32_e32 v59, 0, v59
	v_fma_f32 v60, v61, v95, -v60
	v_add_f32_e32 v59, v59, v60
	v_mul_f32_e32 v60, v64, v98
	v_fma_f32 v60, v63, v97, -v60
	v_add_f32_e32 v59, v59, v60
	v_mul_f32_e32 v60, v66, v100
	;; [unrolled: 3-line block ×6, first 2 shown]
	v_fma_f32 v60, v73, v107, -v60
	v_add_f32_e32 v59, v59, v60
	s_waitcnt vmcnt(2) lgkmcnt(0)
	v_mul_f32_e32 v80, v75, v110
	v_fmac_f32_e32 v80, v76, v109
	v_add_f32_e32 v79, v79, v80
	s_waitcnt vmcnt(0)
	v_mul_f32_e32 v80, v77, v112
	v_fmac_f32_e32 v80, v78, v111
	v_add_f32_e32 v83, v79, v80
	ds_read_b128 v[79:82], v58 offset:400
	buffer_load_dword v113, off, s[0:3], 0 offset:176
	buffer_load_dword v114, off, s[0:3], 0 offset:180
	;; [unrolled: 1-line block ×4, first 2 shown]
	v_mul_f32_e32 v60, v76, v110
	v_fma_f32 v60, v75, v109, -v60
	v_add_f32_e32 v59, v59, v60
	v_mul_f32_e32 v60, v78, v112
	v_fma_f32 v60, v77, v111, -v60
	v_add_f32_e32 v59, v59, v60
	s_waitcnt vmcnt(2) lgkmcnt(0)
	v_mul_f32_e32 v84, v79, v114
	v_fmac_f32_e32 v84, v80, v113
	v_add_f32_e32 v83, v83, v84
	s_waitcnt vmcnt(0)
	v_mul_f32_e32 v84, v81, v116
	v_fmac_f32_e32 v84, v82, v115
	v_add_f32_e32 v87, v83, v84
	ds_read_b128 v[83:86], v58 offset:416
	buffer_load_dword v117, off, s[0:3], 0 offset:192
	buffer_load_dword v118, off, s[0:3], 0 offset:196
	;; [unrolled: 1-line block ×4, first 2 shown]
	v_mul_f32_e32 v60, v80, v114
	v_fma_f32 v60, v79, v113, -v60
	v_add_f32_e32 v59, v59, v60
	v_mul_f32_e32 v60, v82, v116
	v_fma_f32 v60, v81, v115, -v60
	v_add_f32_e32 v59, v59, v60
	s_waitcnt vmcnt(2) lgkmcnt(0)
	v_mul_f32_e32 v88, v83, v118
	v_fmac_f32_e32 v88, v84, v117
	v_add_f32_e32 v87, v87, v88
	s_waitcnt vmcnt(0)
	v_mul_f32_e32 v88, v85, v120
	v_fmac_f32_e32 v88, v86, v119
	v_add_f32_e32 v121, v87, v88
	ds_read_b128 v[87:90], v58 offset:432
	buffer_load_dword v58, off, s[0:3], 0 offset:208
	buffer_load_dword v122, off, s[0:3], 0 offset:212
	v_mul_f32_e32 v60, v84, v118
	v_fma_f32 v60, v83, v117, -v60
	v_add_f32_e32 v59, v59, v60
	v_mul_f32_e32 v60, v86, v120
	v_fma_f32 v60, v85, v119, -v60
	v_add_f32_e32 v59, v59, v60
	s_waitcnt vmcnt(0) lgkmcnt(0)
	v_mul_f32_e32 v123, v87, v122
	v_fmac_f32_e32 v123, v88, v58
	v_add_f32_e32 v121, v121, v123
	buffer_load_dword v123, off, s[0:3], 0 offset:216
	buffer_load_dword v124, off, s[0:3], 0 offset:220
	v_mul_f32_e32 v60, v88, v122
	v_fma_f32 v58, v87, v58, -v60
	v_add_f32_e32 v58, v59, v58
	s_waitcnt vmcnt(0)
	v_mul_f32_e32 v59, v90, v124
	v_mul_f32_e32 v125, v89, v124
	v_fma_f32 v59, v89, v123, -v59
	v_fmac_f32_e32 v125, v90, v123
	v_add_f32_e32 v58, v58, v59
	v_add_f32_e32 v121, v121, v125
	v_sub_f32_e32 v58, v91, v58
	v_sub_f32_e32 v59, v92, v121
	buffer_store_dword v58, off, s[0:3], 0 offset:88
	buffer_store_dword v59, off, s[0:3], 0 offset:92
	s_and_saveexec_b64 s[4:5], vcc
	s_cbranch_execz .LBB91_161
; %bb.160:
	buffer_load_dword v58, off, s[0:3], 0 offset:80
	buffer_load_dword v59, off, s[0:3], 0 offset:84
	v_mov_b32_e32 v60, 0
	buffer_store_dword v60, off, s[0:3], 0 offset:80
	buffer_store_dword v60, off, s[0:3], 0 offset:84
	s_waitcnt vmcnt(2)
	ds_write_b64 v57, v[58:59]
.LBB91_161:
	s_or_b64 exec, exec, s[4:5]
	s_waitcnt lgkmcnt(0)
	; wave barrier
	buffer_load_dword v93, off, s[0:3], 0 offset:92
	buffer_load_dword v94, off, s[0:3], 0 offset:100
	;; [unrolled: 1-line block ×36, first 2 shown]
	v_mov_b32_e32 v58, 0
	ds_read2_b64 v[59:62], v58 offset0:39 offset1:40
	ds_read2_b64 v[63:66], v58 offset0:41 offset1:42
	;; [unrolled: 1-line block ×8, first 2 shown]
	ds_read_b64 v[91:92], v58 offset:440
	v_cmp_lt_u32_e32 vcc, 9, v0
	s_waitcnt vmcnt(35) lgkmcnt(8)
	v_mul_f32_e32 v129, v59, v93
	s_waitcnt vmcnt(34)
	v_mul_f32_e32 v130, v61, v94
	s_waitcnt vmcnt(33) lgkmcnt(7)
	v_mul_f32_e32 v131, v63, v95
	s_waitcnt vmcnt(32)
	v_mul_f32_e32 v132, v65, v96
	;; [unrolled: 4-line block ×8, first 2 shown]
	s_waitcnt vmcnt(19) lgkmcnt(0)
	v_mul_f32_e32 v145, v91, v109
	s_waitcnt vmcnt(18)
	v_fmac_f32_e32 v129, v60, v110
	v_mul_f32_e32 v60, v60, v93
	v_fma_f32 v59, v59, v110, -v60
	v_mul_f32_e32 v60, v62, v94
	v_add_f32_e32 v59, 0, v59
	s_waitcnt vmcnt(17)
	v_fma_f32 v60, v61, v111, -v60
	v_add_f32_e32 v59, v59, v60
	v_mul_f32_e32 v60, v64, v95
	s_waitcnt vmcnt(16)
	v_fma_f32 v60, v63, v112, -v60
	v_add_f32_e32 v59, v59, v60
	v_mul_f32_e32 v60, v66, v96
	;; [unrolled: 4-line block ×8, first 2 shown]
	v_fmac_f32_e32 v130, v62, v111
	v_add_f32_e32 v129, 0, v129
	s_waitcnt vmcnt(9)
	v_fma_f32 v60, v77, v119, -v60
	v_fmac_f32_e32 v131, v64, v112
	v_add_f32_e32 v129, v129, v130
	v_add_f32_e32 v59, v59, v60
	v_mul_f32_e32 v60, v80, v103
	v_fmac_f32_e32 v132, v66, v113
	v_add_f32_e32 v129, v129, v131
	s_waitcnt vmcnt(8)
	v_fma_f32 v60, v79, v120, -v60
	v_fmac_f32_e32 v133, v68, v114
	v_add_f32_e32 v129, v129, v132
	v_add_f32_e32 v59, v59, v60
	v_mul_f32_e32 v60, v82, v104
	;; [unrolled: 8-line block ×7, first 2 shown]
	v_fmac_f32_e32 v144, v90, v125
	v_add_f32_e32 v129, v129, v143
	s_waitcnt vmcnt(2)
	v_fma_f32 v60, v91, v126, -v60
	v_fmac_f32_e32 v145, v92, v126
	v_add_f32_e32 v129, v129, v144
	v_add_f32_e32 v59, v59, v60
	;; [unrolled: 1-line block ×3, first 2 shown]
	s_waitcnt vmcnt(1)
	v_sub_f32_e32 v59, v127, v59
	s_waitcnt vmcnt(0)
	v_sub_f32_e32 v60, v128, v129
	buffer_store_dword v59, off, s[0:3], 0 offset:80
	buffer_store_dword v60, off, s[0:3], 0 offset:84
	s_and_saveexec_b64 s[4:5], vcc
	s_cbranch_execz .LBB91_163
; %bb.162:
	buffer_load_dword v59, off, s[0:3], 0 offset:72
	buffer_load_dword v60, off, s[0:3], 0 offset:76
	s_waitcnt vmcnt(0)
	ds_write_b64 v57, v[59:60]
	buffer_store_dword v58, off, s[0:3], 0 offset:72
	buffer_store_dword v58, off, s[0:3], 0 offset:76
.LBB91_163:
	s_or_b64 exec, exec, s[4:5]
	s_waitcnt lgkmcnt(0)
	; wave barrier
	buffer_load_dword v95, off, s[0:3], 0 offset:84
	buffer_load_dword v96, off, s[0:3], 0 offset:92
	;; [unrolled: 1-line block ×38, first 2 shown]
	ds_read_b128 v[59:62], v58 offset:304
	ds_read_b128 v[63:66], v58 offset:320
	;; [unrolled: 1-line block ×9, first 2 shown]
	v_cmp_lt_u32_e32 vcc, 8, v0
	s_waitcnt vmcnt(37) lgkmcnt(8)
	v_mul_f32_e32 v58, v59, v95
	s_waitcnt vmcnt(36)
	v_mul_f32_e32 v133, v61, v96
	s_waitcnt vmcnt(35) lgkmcnt(7)
	v_mul_f32_e32 v134, v63, v97
	s_waitcnt vmcnt(34)
	v_mul_f32_e32 v135, v65, v98
	;; [unrolled: 4-line block ×8, first 2 shown]
	s_waitcnt vmcnt(21) lgkmcnt(0)
	v_mul_f32_e32 v148, v91, v111
	s_waitcnt vmcnt(20)
	v_fmac_f32_e32 v58, v60, v112
	v_mul_f32_e32 v60, v60, v95
	v_fma_f32 v59, v59, v112, -v60
	v_mul_f32_e32 v60, v62, v96
	v_add_f32_e32 v59, 0, v59
	s_waitcnt vmcnt(19)
	v_fma_f32 v60, v61, v113, -v60
	v_add_f32_e32 v59, v59, v60
	v_mul_f32_e32 v60, v64, v97
	s_waitcnt vmcnt(18)
	v_fma_f32 v60, v63, v114, -v60
	v_add_f32_e32 v59, v59, v60
	v_mul_f32_e32 v60, v66, v98
	;; [unrolled: 4-line block ×8, first 2 shown]
	s_waitcnt vmcnt(11)
	v_fma_f32 v60, v77, v121, -v60
	v_fmac_f32_e32 v133, v62, v113
	v_add_f32_e32 v58, 0, v58
	v_add_f32_e32 v59, v59, v60
	v_mul_f32_e32 v60, v80, v105
	v_fmac_f32_e32 v134, v64, v114
	v_add_f32_e32 v58, v58, v133
	s_waitcnt vmcnt(10)
	v_fma_f32 v60, v79, v122, -v60
	v_fmac_f32_e32 v135, v66, v115
	v_add_f32_e32 v58, v58, v134
	v_add_f32_e32 v59, v59, v60
	v_mul_f32_e32 v60, v82, v106
	v_fmac_f32_e32 v136, v68, v116
	v_add_f32_e32 v58, v58, v135
	;; [unrolled: 8-line block ×7, first 2 shown]
	s_waitcnt vmcnt(4)
	v_fma_f32 v60, v91, v128, -v60
	v_fmac_f32_e32 v147, v90, v127
	v_add_f32_e32 v58, v58, v146
	v_add_f32_e32 v59, v59, v60
	s_waitcnt vmcnt(3)
	v_mul_f32_e32 v60, v94, v129
	v_add_f32_e32 v58, v58, v147
	v_fmac_f32_e32 v148, v92, v128
	v_mul_f32_e32 v133, v93, v129
	s_waitcnt vmcnt(2)
	v_fma_f32 v60, v93, v130, -v60
	v_add_f32_e32 v58, v58, v148
	v_fmac_f32_e32 v133, v94, v130
	v_add_f32_e32 v59, v59, v60
	v_add_f32_e32 v58, v58, v133
	s_waitcnt vmcnt(1)
	v_sub_f32_e32 v59, v131, v59
	s_waitcnt vmcnt(0)
	v_sub_f32_e32 v58, v132, v58
	buffer_store_dword v59, off, s[0:3], 0 offset:72
	buffer_store_dword v58, off, s[0:3], 0 offset:76
	s_and_saveexec_b64 s[4:5], vcc
	s_cbranch_execz .LBB91_165
; %bb.164:
	buffer_load_dword v58, off, s[0:3], 0 offset:64
	buffer_load_dword v59, off, s[0:3], 0 offset:68
	v_mov_b32_e32 v60, 0
	buffer_store_dword v60, off, s[0:3], 0 offset:64
	buffer_store_dword v60, off, s[0:3], 0 offset:68
	s_waitcnt vmcnt(2)
	ds_write_b64 v57, v[58:59]
.LBB91_165:
	s_or_b64 exec, exec, s[4:5]
	s_waitcnt lgkmcnt(0)
	; wave barrier
	buffer_load_dword v97, off, s[0:3], 0 offset:76
	buffer_load_dword v98, off, s[0:3], 0 offset:84
	;; [unrolled: 1-line block ×40, first 2 shown]
	v_mov_b32_e32 v58, 0
	ds_read2_b64 v[59:62], v58 offset0:37 offset1:38
	ds_read2_b64 v[63:66], v58 offset0:39 offset1:40
	;; [unrolled: 1-line block ×9, first 2 shown]
	v_cmp_lt_u32_e32 vcc, 7, v0
	s_waitcnt vmcnt(39) lgkmcnt(8)
	v_mul_f32_e32 v95, v59, v97
	s_waitcnt vmcnt(38)
	v_mul_f32_e32 v96, v61, v98
	s_waitcnt vmcnt(37) lgkmcnt(7)
	v_mul_f32_e32 v137, v63, v99
	s_waitcnt vmcnt(36)
	v_mul_f32_e32 v138, v65, v100
	;; [unrolled: 4-line block ×7, first 2 shown]
	s_waitcnt vmcnt(25) lgkmcnt(1)
	v_mul_f32_e32 v149, v87, v111
	s_waitcnt vmcnt(24)
	v_fmac_f32_e32 v95, v60, v112
	v_mul_f32_e32 v60, v60, v97
	v_fma_f32 v59, v59, v112, -v60
	v_mul_f32_e32 v60, v62, v98
	v_add_f32_e32 v59, 0, v59
	s_waitcnt vmcnt(23)
	v_fma_f32 v60, v61, v113, -v60
	v_add_f32_e32 v59, v59, v60
	v_mul_f32_e32 v60, v64, v99
	s_waitcnt vmcnt(22)
	v_fma_f32 v60, v63, v114, -v60
	v_add_f32_e32 v59, v59, v60
	v_mul_f32_e32 v60, v66, v100
	;; [unrolled: 4-line block ×6, first 2 shown]
	s_waitcnt vmcnt(17)
	v_fma_f32 v60, v73, v119, -v60
	v_fmac_f32_e32 v96, v62, v113
	v_add_f32_e32 v95, 0, v95
	v_add_f32_e32 v59, v59, v60
	v_mul_f32_e32 v60, v76, v105
	v_fmac_f32_e32 v137, v64, v114
	v_add_f32_e32 v95, v95, v96
	s_waitcnt vmcnt(16)
	v_fma_f32 v60, v75, v120, -v60
	v_fmac_f32_e32 v138, v66, v115
	v_add_f32_e32 v95, v95, v137
	v_add_f32_e32 v59, v59, v60
	v_mul_f32_e32 v60, v78, v106
	v_fmac_f32_e32 v139, v68, v116
	v_add_f32_e32 v95, v95, v138
	;; [unrolled: 8-line block ×6, first 2 shown]
	s_waitcnt vmcnt(11)
	v_fma_f32 v60, v85, v125, -v60
	v_fmac_f32_e32 v148, v86, v125
	v_add_f32_e32 v95, v95, v147
	v_add_f32_e32 v59, v59, v60
	v_mul_f32_e32 v60, v88, v111
	s_waitcnt vmcnt(10)
	v_fmac_f32_e32 v149, v88, v126
	v_add_f32_e32 v95, v95, v148
	s_waitcnt vmcnt(9)
	v_mul_f32_e32 v96, v89, v127
	v_fma_f32 v60, v87, v126, -v60
	v_add_f32_e32 v95, v95, v149
	s_waitcnt vmcnt(8)
	v_fmac_f32_e32 v96, v90, v128
	v_add_f32_e32 v59, v59, v60
	v_mul_f32_e32 v60, v90, v127
	v_add_f32_e32 v137, v95, v96
	ds_read_b64 v[95:96], v58 offset:440
	v_fma_f32 v60, v89, v128, -v60
	v_add_f32_e32 v59, v59, v60
	s_waitcnt vmcnt(7) lgkmcnt(1)
	v_mul_f32_e32 v60, v92, v129
	v_mul_f32_e32 v138, v91, v129
	s_waitcnt vmcnt(6)
	v_fma_f32 v60, v91, v130, -v60
	v_fmac_f32_e32 v138, v92, v130
	v_add_f32_e32 v59, v59, v60
	s_waitcnt vmcnt(5)
	v_mul_f32_e32 v60, v94, v131
	v_add_f32_e32 v137, v137, v138
	v_mul_f32_e32 v138, v93, v131
	s_waitcnt vmcnt(4)
	v_fma_f32 v60, v93, v132, -v60
	v_fmac_f32_e32 v138, v94, v132
	v_add_f32_e32 v59, v59, v60
	s_waitcnt vmcnt(3) lgkmcnt(0)
	v_mul_f32_e32 v60, v96, v133
	v_add_f32_e32 v137, v137, v138
	v_mul_f32_e32 v138, v95, v133
	s_waitcnt vmcnt(2)
	v_fma_f32 v60, v95, v134, -v60
	v_fmac_f32_e32 v138, v96, v134
	v_add_f32_e32 v59, v59, v60
	v_add_f32_e32 v137, v137, v138
	s_waitcnt vmcnt(1)
	v_sub_f32_e32 v59, v135, v59
	s_waitcnt vmcnt(0)
	v_sub_f32_e32 v60, v136, v137
	buffer_store_dword v59, off, s[0:3], 0 offset:64
	buffer_store_dword v60, off, s[0:3], 0 offset:68
	s_and_saveexec_b64 s[4:5], vcc
	s_cbranch_execz .LBB91_167
; %bb.166:
	buffer_load_dword v59, off, s[0:3], 0 offset:56
	buffer_load_dword v60, off, s[0:3], 0 offset:60
	s_waitcnt vmcnt(0)
	ds_write_b64 v57, v[59:60]
	buffer_store_dword v58, off, s[0:3], 0 offset:56
	buffer_store_dword v58, off, s[0:3], 0 offset:60
.LBB91_167:
	s_or_b64 exec, exec, s[4:5]
	s_waitcnt lgkmcnt(0)
	; wave barrier
	buffer_load_dword v99, off, s[0:3], 0 offset:68
	buffer_load_dword v100, off, s[0:3], 0 offset:76
	;; [unrolled: 1-line block ×42, first 2 shown]
	ds_read_b128 v[59:62], v58 offset:288
	ds_read_b128 v[63:66], v58 offset:304
	;; [unrolled: 1-line block ×8, first 2 shown]
	v_cmp_lt_u32_e32 vcc, 6, v0
	s_waitcnt vmcnt(41) lgkmcnt(7)
	v_mul_f32_e32 v91, v59, v99
	s_waitcnt vmcnt(40)
	v_mul_f32_e32 v92, v61, v100
	s_waitcnt vmcnt(39) lgkmcnt(6)
	v_mul_f32_e32 v93, v63, v101
	s_waitcnt vmcnt(38)
	v_mul_f32_e32 v94, v65, v102
	;; [unrolled: 4-line block ×7, first 2 shown]
	s_waitcnt vmcnt(27) lgkmcnt(0)
	v_mul_f32_e32 v147, v87, v113
	s_waitcnt vmcnt(26)
	v_fmac_f32_e32 v91, v60, v114
	v_mul_f32_e32 v60, v60, v99
	v_fma_f32 v59, v59, v114, -v60
	v_mul_f32_e32 v60, v62, v100
	v_add_f32_e32 v59, 0, v59
	s_waitcnt vmcnt(25)
	v_fma_f32 v60, v61, v115, -v60
	v_add_f32_e32 v59, v59, v60
	v_mul_f32_e32 v60, v64, v101
	s_waitcnt vmcnt(24)
	v_fma_f32 v60, v63, v116, -v60
	v_add_f32_e32 v59, v59, v60
	v_mul_f32_e32 v60, v66, v102
	;; [unrolled: 4-line block ×5, first 2 shown]
	v_fmac_f32_e32 v92, v62, v115
	v_add_f32_e32 v91, 0, v91
	s_waitcnt vmcnt(20)
	v_fma_f32 v60, v71, v120, -v60
	v_fmac_f32_e32 v93, v64, v116
	v_add_f32_e32 v91, v91, v92
	v_add_f32_e32 v59, v59, v60
	v_mul_f32_e32 v60, v74, v106
	v_fmac_f32_e32 v94, v66, v117
	v_add_f32_e32 v91, v91, v93
	s_waitcnt vmcnt(19)
	v_fma_f32 v60, v73, v121, -v60
	v_fmac_f32_e32 v95, v68, v118
	v_add_f32_e32 v91, v91, v94
	v_add_f32_e32 v59, v59, v60
	v_mul_f32_e32 v60, v76, v107
	;; [unrolled: 8-line block ×5, first 2 shown]
	s_waitcnt vmcnt(15)
	v_fmac_f32_e32 v144, v82, v125
	v_add_f32_e32 v91, v91, v143
	v_fma_f32 v60, v81, v125, -v60
	s_waitcnt vmcnt(14)
	v_fmac_f32_e32 v145, v84, v126
	v_add_f32_e32 v91, v91, v144
	v_add_f32_e32 v59, v59, v60
	v_mul_f32_e32 v60, v84, v111
	s_waitcnt vmcnt(13)
	v_fmac_f32_e32 v146, v86, v127
	v_add_f32_e32 v91, v91, v145
	v_fma_f32 v60, v83, v126, -v60
	s_waitcnt vmcnt(12)
	v_fmac_f32_e32 v147, v88, v128
	v_add_f32_e32 v91, v91, v146
	v_add_f32_e32 v59, v59, v60
	v_mul_f32_e32 v60, v86, v112
	v_add_f32_e32 v95, v91, v147
	ds_read_b128 v[91:94], v58 offset:416
	v_fma_f32 v60, v85, v127, -v60
	v_add_f32_e32 v59, v59, v60
	v_mul_f32_e32 v60, v88, v113
	s_waitcnt vmcnt(11)
	v_mul_f32_e32 v96, v89, v129
	v_fma_f32 v60, v87, v128, -v60
	s_waitcnt vmcnt(10)
	v_fmac_f32_e32 v96, v90, v130
	v_add_f32_e32 v59, v59, v60
	v_mul_f32_e32 v60, v90, v129
	v_add_f32_e32 v141, v95, v96
	ds_read_b128 v[95:98], v58 offset:432
	v_fma_f32 v60, v89, v130, -v60
	v_add_f32_e32 v59, v59, v60
	s_waitcnt vmcnt(9) lgkmcnt(1)
	v_mul_f32_e32 v60, v92, v131
	v_mul_f32_e32 v58, v91, v131
	s_waitcnt vmcnt(8)
	v_fma_f32 v60, v91, v132, -v60
	v_fmac_f32_e32 v58, v92, v132
	v_add_f32_e32 v59, v59, v60
	s_waitcnt vmcnt(7)
	v_mul_f32_e32 v60, v94, v133
	v_add_f32_e32 v58, v141, v58
	v_mul_f32_e32 v141, v93, v133
	s_waitcnt vmcnt(6)
	v_fma_f32 v60, v93, v134, -v60
	v_fmac_f32_e32 v141, v94, v134
	v_add_f32_e32 v59, v59, v60
	s_waitcnt vmcnt(5) lgkmcnt(0)
	v_mul_f32_e32 v60, v96, v135
	v_add_f32_e32 v58, v58, v141
	v_mul_f32_e32 v141, v95, v135
	s_waitcnt vmcnt(4)
	v_fma_f32 v60, v95, v136, -v60
	v_fmac_f32_e32 v141, v96, v136
	v_add_f32_e32 v59, v59, v60
	s_waitcnt vmcnt(3)
	v_mul_f32_e32 v60, v98, v137
	v_add_f32_e32 v58, v58, v141
	v_mul_f32_e32 v141, v97, v137
	s_waitcnt vmcnt(2)
	v_fma_f32 v60, v97, v138, -v60
	v_fmac_f32_e32 v141, v98, v138
	v_add_f32_e32 v59, v59, v60
	v_add_f32_e32 v58, v58, v141
	s_waitcnt vmcnt(1)
	v_sub_f32_e32 v59, v139, v59
	s_waitcnt vmcnt(0)
	v_sub_f32_e32 v58, v140, v58
	buffer_store_dword v59, off, s[0:3], 0 offset:56
	buffer_store_dword v58, off, s[0:3], 0 offset:60
	s_and_saveexec_b64 s[4:5], vcc
	s_cbranch_execz .LBB91_169
; %bb.168:
	buffer_load_dword v58, off, s[0:3], 0 offset:48
	buffer_load_dword v59, off, s[0:3], 0 offset:52
	v_mov_b32_e32 v60, 0
	buffer_store_dword v60, off, s[0:3], 0 offset:48
	buffer_store_dword v60, off, s[0:3], 0 offset:52
	s_waitcnt vmcnt(2)
	ds_write_b64 v57, v[58:59]
.LBB91_169:
	s_or_b64 exec, exec, s[4:5]
	s_waitcnt lgkmcnt(0)
	; wave barrier
	buffer_load_dword v101, off, s[0:3], 0 offset:60
	buffer_load_dword v102, off, s[0:3], 0 offset:68
	;; [unrolled: 1-line block ×44, first 2 shown]
	v_mov_b32_e32 v58, 0
	ds_read2_b64 v[59:62], v58 offset0:35 offset1:36
	ds_read2_b64 v[63:66], v58 offset0:37 offset1:38
	ds_read2_b64 v[67:70], v58 offset0:39 offset1:40
	ds_read2_b64 v[71:74], v58 offset0:41 offset1:42
	ds_read2_b64 v[75:78], v58 offset0:43 offset1:44
	ds_read2_b64 v[79:82], v58 offset0:45 offset1:46
	ds_read2_b64 v[83:86], v58 offset0:47 offset1:48
	ds_read2_b64 v[87:90], v58 offset0:49 offset1:50
	v_cmp_lt_u32_e32 vcc, 5, v0
	s_waitcnt vmcnt(43) lgkmcnt(7)
	v_mul_f32_e32 v91, v59, v101
	s_waitcnt vmcnt(42)
	v_mul_f32_e32 v92, v61, v102
	s_waitcnt vmcnt(41) lgkmcnt(6)
	v_mul_f32_e32 v93, v63, v103
	s_waitcnt vmcnt(40)
	v_mul_f32_e32 v94, v65, v104
	;; [unrolled: 4-line block ×7, first 2 shown]
	s_waitcnt vmcnt(29)
	v_fmac_f32_e32 v91, v60, v115
	v_mul_f32_e32 v60, v60, v101
	v_fma_f32 v59, v59, v115, -v60
	v_mul_f32_e32 v60, v62, v102
	v_add_f32_e32 v59, 0, v59
	s_waitcnt vmcnt(28)
	v_fma_f32 v60, v61, v116, -v60
	v_add_f32_e32 v59, v59, v60
	v_mul_f32_e32 v60, v64, v103
	s_waitcnt vmcnt(27)
	v_fma_f32 v60, v63, v117, -v60
	v_add_f32_e32 v59, v59, v60
	v_mul_f32_e32 v60, v66, v104
	;; [unrolled: 4-line block ×4, first 2 shown]
	s_waitcnt vmcnt(24)
	v_fma_f32 v60, v69, v120, -v60
	v_fmac_f32_e32 v92, v62, v116
	v_add_f32_e32 v91, 0, v91
	v_add_f32_e32 v59, v59, v60
	v_mul_f32_e32 v60, v72, v107
	v_fmac_f32_e32 v93, v64, v117
	v_add_f32_e32 v91, v91, v92
	s_waitcnt vmcnt(23)
	v_fma_f32 v60, v71, v121, -v60
	v_fmac_f32_e32 v94, v66, v118
	v_add_f32_e32 v91, v91, v93
	v_add_f32_e32 v59, v59, v60
	v_mul_f32_e32 v60, v74, v108
	v_fmac_f32_e32 v95, v68, v119
	v_add_f32_e32 v91, v91, v94
	;; [unrolled: 8-line block ×4, first 2 shown]
	s_waitcnt vmcnt(20)
	v_fma_f32 v60, v77, v124, -v60
	v_fmac_f32_e32 v100, v78, v124
	v_add_f32_e32 v91, v91, v99
	v_add_f32_e32 v59, v59, v60
	v_mul_f32_e32 v60, v80, v111
	s_waitcnt vmcnt(19)
	v_fmac_f32_e32 v145, v80, v125
	v_add_f32_e32 v91, v91, v100
	v_fma_f32 v60, v79, v125, -v60
	s_waitcnt vmcnt(18)
	v_fmac_f32_e32 v146, v82, v126
	v_add_f32_e32 v91, v91, v145
	v_add_f32_e32 v59, v59, v60
	v_mul_f32_e32 v60, v82, v112
	s_waitcnt vmcnt(17)
	v_fmac_f32_e32 v147, v84, v127
	v_add_f32_e32 v91, v91, v146
	v_fma_f32 v60, v81, v126, -v60
	v_add_f32_e32 v91, v91, v147
	s_waitcnt vmcnt(16)
	v_fmac_f32_e32 v148, v86, v128
	s_waitcnt vmcnt(15) lgkmcnt(0)
	v_mul_f32_e32 v92, v87, v129
	v_add_f32_e32 v59, v59, v60
	v_mul_f32_e32 v60, v84, v113
	v_add_f32_e32 v91, v91, v148
	s_waitcnt vmcnt(14)
	v_fmac_f32_e32 v92, v88, v130
	v_fma_f32 v60, v83, v127, -v60
	v_add_f32_e32 v95, v91, v92
	ds_read2_b64 v[91:94], v58 offset0:51 offset1:52
	v_add_f32_e32 v59, v59, v60
	v_mul_f32_e32 v60, v86, v114
	v_fma_f32 v60, v85, v128, -v60
	v_add_f32_e32 v59, v59, v60
	v_mul_f32_e32 v60, v88, v129
	s_waitcnt vmcnt(13)
	v_mul_f32_e32 v96, v89, v131
	v_fma_f32 v60, v87, v130, -v60
	s_waitcnt vmcnt(12)
	v_fmac_f32_e32 v96, v90, v132
	v_add_f32_e32 v59, v59, v60
	v_mul_f32_e32 v60, v90, v131
	v_add_f32_e32 v99, v95, v96
	ds_read2_b64 v[95:98], v58 offset0:53 offset1:54
	s_waitcnt vmcnt(11) lgkmcnt(1)
	v_mul_f32_e32 v100, v91, v133
	v_fma_f32 v60, v89, v132, -v60
	s_waitcnt vmcnt(10)
	v_fmac_f32_e32 v100, v92, v134
	v_add_f32_e32 v59, v59, v60
	v_mul_f32_e32 v60, v92, v133
	v_add_f32_e32 v99, v99, v100
	s_waitcnt vmcnt(9)
	v_mul_f32_e32 v100, v93, v135
	v_fma_f32 v60, v91, v134, -v60
	s_waitcnt vmcnt(8)
	v_fmac_f32_e32 v100, v94, v136
	v_add_f32_e32 v59, v59, v60
	v_mul_f32_e32 v60, v94, v135
	v_add_f32_e32 v145, v99, v100
	ds_read_b64 v[99:100], v58 offset:440
	v_fma_f32 v60, v93, v136, -v60
	v_add_f32_e32 v59, v59, v60
	s_waitcnt vmcnt(7) lgkmcnt(1)
	v_mul_f32_e32 v60, v96, v137
	v_mul_f32_e32 v146, v95, v137
	s_waitcnt vmcnt(6)
	v_fma_f32 v60, v95, v138, -v60
	v_fmac_f32_e32 v146, v96, v138
	v_add_f32_e32 v59, v59, v60
	s_waitcnt vmcnt(5)
	v_mul_f32_e32 v60, v98, v139
	v_add_f32_e32 v145, v145, v146
	v_mul_f32_e32 v146, v97, v139
	s_waitcnt vmcnt(4)
	v_fma_f32 v60, v97, v140, -v60
	v_fmac_f32_e32 v146, v98, v140
	v_add_f32_e32 v59, v59, v60
	s_waitcnt vmcnt(3) lgkmcnt(0)
	v_mul_f32_e32 v60, v100, v141
	v_add_f32_e32 v145, v145, v146
	v_mul_f32_e32 v146, v99, v141
	s_waitcnt vmcnt(2)
	v_fma_f32 v60, v99, v142, -v60
	v_fmac_f32_e32 v146, v100, v142
	v_add_f32_e32 v59, v59, v60
	v_add_f32_e32 v145, v145, v146
	s_waitcnt vmcnt(1)
	v_sub_f32_e32 v59, v143, v59
	s_waitcnt vmcnt(0)
	v_sub_f32_e32 v60, v144, v145
	buffer_store_dword v59, off, s[0:3], 0 offset:48
	buffer_store_dword v60, off, s[0:3], 0 offset:52
	s_and_saveexec_b64 s[4:5], vcc
	s_cbranch_execz .LBB91_171
; %bb.170:
	buffer_load_dword v59, off, s[0:3], 0 offset:40
	buffer_load_dword v60, off, s[0:3], 0 offset:44
	s_waitcnt vmcnt(0)
	ds_write_b64 v57, v[59:60]
	buffer_store_dword v58, off, s[0:3], 0 offset:40
	buffer_store_dword v58, off, s[0:3], 0 offset:44
.LBB91_171:
	s_or_b64 exec, exec, s[4:5]
	s_waitcnt lgkmcnt(0)
	; wave barrier
	buffer_load_dword v103, off, s[0:3], 0 offset:52
	buffer_load_dword v104, off, s[0:3], 0 offset:60
	;; [unrolled: 1-line block ×46, first 2 shown]
	ds_read_b128 v[59:62], v58 offset:272
	ds_read_b128 v[63:66], v58 offset:288
	ds_read_b128 v[67:70], v58 offset:304
	ds_read_b128 v[71:74], v58 offset:320
	ds_read_b128 v[75:78], v58 offset:336
	ds_read_b128 v[79:82], v58 offset:352
	ds_read_b128 v[83:86], v58 offset:368
	ds_read_b128 v[87:90], v58 offset:384
	v_cmp_lt_u32_e32 vcc, 4, v0
	s_waitcnt vmcnt(45) lgkmcnt(7)
	v_mul_f32_e32 v91, v59, v103
	s_waitcnt vmcnt(44)
	v_mul_f32_e32 v92, v61, v104
	s_waitcnt vmcnt(43) lgkmcnt(6)
	v_mul_f32_e32 v93, v63, v105
	s_waitcnt vmcnt(42)
	v_mul_f32_e32 v94, v65, v106
	;; [unrolled: 4-line block ×6, first 2 shown]
	s_waitcnt vmcnt(33) lgkmcnt(1)
	v_mul_f32_e32 v149, v83, v115
	s_waitcnt vmcnt(32)
	v_fmac_f32_e32 v91, v60, v116
	v_mul_f32_e32 v60, v60, v103
	v_fma_f32 v59, v59, v116, -v60
	v_mul_f32_e32 v60, v62, v104
	v_add_f32_e32 v59, 0, v59
	s_waitcnt vmcnt(31)
	v_fma_f32 v60, v61, v117, -v60
	v_add_f32_e32 v59, v59, v60
	v_mul_f32_e32 v60, v64, v105
	s_waitcnt vmcnt(30)
	v_fma_f32 v60, v63, v118, -v60
	v_add_f32_e32 v59, v59, v60
	v_mul_f32_e32 v60, v66, v106
	;; [unrolled: 4-line block ×4, first 2 shown]
	v_fmac_f32_e32 v92, v62, v117
	v_add_f32_e32 v91, 0, v91
	s_waitcnt vmcnt(27)
	v_fma_f32 v60, v69, v121, -v60
	v_fmac_f32_e32 v93, v64, v118
	v_add_f32_e32 v91, v91, v92
	v_add_f32_e32 v59, v59, v60
	v_mul_f32_e32 v60, v72, v109
	v_fmac_f32_e32 v94, v66, v119
	v_add_f32_e32 v91, v91, v93
	s_waitcnt vmcnt(26)
	v_fma_f32 v60, v71, v122, -v60
	v_fmac_f32_e32 v95, v68, v120
	v_add_f32_e32 v91, v91, v94
	v_add_f32_e32 v59, v59, v60
	v_mul_f32_e32 v60, v74, v110
	;; [unrolled: 8-line block ×4, first 2 shown]
	s_waitcnt vmcnt(23)
	v_fmac_f32_e32 v100, v78, v125
	v_add_f32_e32 v91, v91, v99
	v_fma_f32 v60, v77, v125, -v60
	s_waitcnt vmcnt(22)
	v_fmac_f32_e32 v101, v80, v126
	v_add_f32_e32 v91, v91, v100
	v_add_f32_e32 v59, v59, v60
	v_mul_f32_e32 v60, v80, v113
	s_waitcnt vmcnt(21)
	v_fmac_f32_e32 v102, v82, v127
	v_add_f32_e32 v91, v91, v101
	v_fma_f32 v60, v79, v126, -v60
	s_waitcnt vmcnt(20)
	v_fmac_f32_e32 v149, v84, v128
	v_add_f32_e32 v91, v91, v102
	s_waitcnt vmcnt(19)
	v_mul_f32_e32 v92, v85, v129
	v_add_f32_e32 v59, v59, v60
	v_mul_f32_e32 v60, v82, v114
	v_add_f32_e32 v91, v91, v149
	s_waitcnt vmcnt(18)
	v_fmac_f32_e32 v92, v86, v130
	v_fma_f32 v60, v81, v127, -v60
	v_add_f32_e32 v91, v91, v92
	s_waitcnt vmcnt(17) lgkmcnt(0)
	v_mul_f32_e32 v92, v87, v131
	v_add_f32_e32 v59, v59, v60
	v_mul_f32_e32 v60, v84, v115
	s_waitcnt vmcnt(16)
	v_fmac_f32_e32 v92, v88, v132
	v_fma_f32 v60, v83, v128, -v60
	v_add_f32_e32 v95, v91, v92
	ds_read_b128 v[91:94], v58 offset:400
	v_add_f32_e32 v59, v59, v60
	v_mul_f32_e32 v60, v86, v129
	v_fma_f32 v60, v85, v130, -v60
	v_add_f32_e32 v59, v59, v60
	v_mul_f32_e32 v60, v88, v131
	s_waitcnt vmcnt(15)
	v_mul_f32_e32 v96, v89, v133
	v_fma_f32 v60, v87, v132, -v60
	s_waitcnt vmcnt(14)
	v_fmac_f32_e32 v96, v90, v134
	v_add_f32_e32 v59, v59, v60
	v_mul_f32_e32 v60, v90, v133
	v_add_f32_e32 v99, v95, v96
	ds_read_b128 v[95:98], v58 offset:416
	s_waitcnt vmcnt(13) lgkmcnt(1)
	v_mul_f32_e32 v100, v91, v135
	v_fma_f32 v60, v89, v134, -v60
	s_waitcnt vmcnt(12)
	v_fmac_f32_e32 v100, v92, v136
	v_add_f32_e32 v59, v59, v60
	v_mul_f32_e32 v60, v92, v135
	v_add_f32_e32 v99, v99, v100
	s_waitcnt vmcnt(11)
	v_mul_f32_e32 v100, v93, v137
	v_fma_f32 v60, v91, v136, -v60
	s_waitcnt vmcnt(10)
	v_fmac_f32_e32 v100, v94, v138
	v_add_f32_e32 v59, v59, v60
	v_mul_f32_e32 v60, v94, v137
	v_add_f32_e32 v149, v99, v100
	ds_read_b128 v[99:102], v58 offset:432
	v_fma_f32 v60, v93, v138, -v60
	v_add_f32_e32 v59, v59, v60
	s_waitcnt vmcnt(9) lgkmcnt(1)
	v_mul_f32_e32 v60, v96, v139
	v_mul_f32_e32 v150, v95, v139
	s_waitcnt vmcnt(8)
	v_fma_f32 v60, v95, v140, -v60
	v_fmac_f32_e32 v150, v96, v140
	v_add_f32_e32 v59, v59, v60
	s_waitcnt vmcnt(7)
	v_mul_f32_e32 v60, v98, v141
	v_add_f32_e32 v58, v149, v150
	v_mul_f32_e32 v149, v97, v141
	s_waitcnt vmcnt(6)
	v_fma_f32 v60, v97, v142, -v60
	v_fmac_f32_e32 v149, v98, v142
	v_add_f32_e32 v59, v59, v60
	s_waitcnt vmcnt(5) lgkmcnt(0)
	v_mul_f32_e32 v60, v100, v143
	v_add_f32_e32 v58, v58, v149
	v_mul_f32_e32 v149, v99, v143
	s_waitcnt vmcnt(4)
	v_fma_f32 v60, v99, v144, -v60
	v_fmac_f32_e32 v149, v100, v144
	v_add_f32_e32 v59, v59, v60
	s_waitcnt vmcnt(3)
	v_mul_f32_e32 v60, v102, v145
	v_add_f32_e32 v58, v58, v149
	v_mul_f32_e32 v149, v101, v145
	s_waitcnt vmcnt(2)
	v_fma_f32 v60, v101, v146, -v60
	v_fmac_f32_e32 v149, v102, v146
	v_add_f32_e32 v59, v59, v60
	v_add_f32_e32 v58, v58, v149
	s_waitcnt vmcnt(1)
	v_sub_f32_e32 v59, v147, v59
	s_waitcnt vmcnt(0)
	v_sub_f32_e32 v58, v148, v58
	buffer_store_dword v59, off, s[0:3], 0 offset:40
	buffer_store_dword v58, off, s[0:3], 0 offset:44
	s_and_saveexec_b64 s[4:5], vcc
	s_cbranch_execz .LBB91_173
; %bb.172:
	buffer_load_dword v58, off, s[0:3], 0 offset:32
	buffer_load_dword v59, off, s[0:3], 0 offset:36
	v_mov_b32_e32 v60, 0
	buffer_store_dword v60, off, s[0:3], 0 offset:32
	buffer_store_dword v60, off, s[0:3], 0 offset:36
	s_waitcnt vmcnt(2)
	ds_write_b64 v57, v[58:59]
.LBB91_173:
	s_or_b64 exec, exec, s[4:5]
	s_waitcnt lgkmcnt(0)
	; wave barrier
	buffer_load_dword v105, off, s[0:3], 0 offset:44
	buffer_load_dword v106, off, s[0:3], 0 offset:52
	;; [unrolled: 1-line block ×48, first 2 shown]
	v_mov_b32_e32 v58, 0
	ds_read2_b64 v[59:62], v58 offset0:33 offset1:34
	ds_read2_b64 v[63:66], v58 offset0:35 offset1:36
	;; [unrolled: 1-line block ×7, first 2 shown]
	v_cmp_lt_u32_e32 vcc, 3, v0
	s_waitcnt vmcnt(47) lgkmcnt(6)
	v_mul_f32_e32 v87, v59, v105
	s_waitcnt vmcnt(46)
	v_mul_f32_e32 v88, v61, v106
	s_waitcnt vmcnt(45) lgkmcnt(5)
	v_mul_f32_e32 v89, v63, v107
	s_waitcnt vmcnt(44)
	v_mul_f32_e32 v90, v65, v108
	;; [unrolled: 4-line block ×6, first 2 shown]
	s_waitcnt vmcnt(35)
	v_fmac_f32_e32 v87, v60, v117
	v_mul_f32_e32 v60, v60, v105
	v_fma_f32 v59, v59, v117, -v60
	v_mul_f32_e32 v60, v62, v106
	v_add_f32_e32 v59, 0, v59
	s_waitcnt vmcnt(34)
	v_fma_f32 v60, v61, v118, -v60
	v_add_f32_e32 v59, v59, v60
	v_mul_f32_e32 v60, v64, v107
	s_waitcnt vmcnt(33)
	v_fma_f32 v60, v63, v119, -v60
	v_fmac_f32_e32 v88, v62, v118
	v_add_f32_e32 v87, 0, v87
	v_add_f32_e32 v59, v59, v60
	v_mul_f32_e32 v60, v66, v108
	v_fmac_f32_e32 v89, v64, v119
	v_add_f32_e32 v87, v87, v88
	s_waitcnt vmcnt(32)
	v_fma_f32 v60, v65, v120, -v60
	v_fmac_f32_e32 v90, v66, v120
	v_add_f32_e32 v87, v87, v89
	v_add_f32_e32 v59, v59, v60
	v_mul_f32_e32 v60, v68, v109
	s_waitcnt vmcnt(31)
	v_fmac_f32_e32 v91, v68, v121
	v_add_f32_e32 v87, v87, v90
	v_fma_f32 v60, v67, v121, -v60
	s_waitcnt vmcnt(30)
	v_fmac_f32_e32 v92, v70, v122
	v_add_f32_e32 v87, v87, v91
	v_add_f32_e32 v59, v59, v60
	v_mul_f32_e32 v60, v70, v110
	s_waitcnt vmcnt(29)
	v_fmac_f32_e32 v93, v72, v123
	v_add_f32_e32 v87, v87, v92
	v_fma_f32 v60, v69, v122, -v60
	s_waitcnt vmcnt(28)
	v_fmac_f32_e32 v94, v74, v124
	v_add_f32_e32 v87, v87, v93
	v_add_f32_e32 v59, v59, v60
	v_mul_f32_e32 v60, v72, v111
	s_waitcnt vmcnt(27)
	v_fmac_f32_e32 v95, v76, v125
	v_add_f32_e32 v87, v87, v94
	v_fma_f32 v60, v71, v123, -v60
	s_waitcnt vmcnt(26)
	v_fmac_f32_e32 v96, v78, v126
	v_add_f32_e32 v87, v87, v95
	v_add_f32_e32 v59, v59, v60
	v_mul_f32_e32 v60, v74, v112
	s_waitcnt vmcnt(25)
	v_fmac_f32_e32 v97, v80, v127
	v_add_f32_e32 v87, v87, v96
	v_fma_f32 v60, v73, v124, -v60
	s_waitcnt vmcnt(24)
	v_fmac_f32_e32 v98, v82, v128
	v_add_f32_e32 v87, v87, v97
	v_add_f32_e32 v59, v59, v60
	v_mul_f32_e32 v60, v76, v113
	v_add_f32_e32 v91, v87, v98
	ds_read2_b64 v[87:90], v58 offset0:47 offset1:48
	v_fma_f32 v60, v75, v125, -v60
	s_waitcnt vmcnt(23) lgkmcnt(1)
	v_mul_f32_e32 v92, v83, v129
	v_add_f32_e32 v59, v59, v60
	v_mul_f32_e32 v60, v78, v114
	s_waitcnt vmcnt(22)
	v_fmac_f32_e32 v92, v84, v130
	v_fma_f32 v60, v77, v126, -v60
	v_add_f32_e32 v91, v91, v92
	s_waitcnt vmcnt(21)
	v_mul_f32_e32 v92, v85, v131
	v_add_f32_e32 v59, v59, v60
	v_mul_f32_e32 v60, v80, v115
	s_waitcnt vmcnt(20)
	v_fmac_f32_e32 v92, v86, v132
	v_fma_f32 v60, v79, v127, -v60
	v_add_f32_e32 v91, v91, v92
	s_waitcnt vmcnt(19) lgkmcnt(0)
	v_mul_f32_e32 v92, v87, v133
	v_add_f32_e32 v59, v59, v60
	v_mul_f32_e32 v60, v82, v116
	s_waitcnt vmcnt(18)
	v_fmac_f32_e32 v92, v88, v134
	v_fma_f32 v60, v81, v128, -v60
	v_add_f32_e32 v95, v91, v92
	ds_read2_b64 v[91:94], v58 offset0:49 offset1:50
	v_add_f32_e32 v59, v59, v60
	v_mul_f32_e32 v60, v84, v129
	v_fma_f32 v60, v83, v130, -v60
	s_waitcnt vmcnt(17)
	v_mul_f32_e32 v96, v89, v135
	v_add_f32_e32 v59, v59, v60
	v_mul_f32_e32 v60, v86, v131
	s_waitcnt vmcnt(16)
	v_fmac_f32_e32 v96, v90, v136
	v_fma_f32 v60, v85, v132, -v60
	v_add_f32_e32 v99, v95, v96
	ds_read2_b64 v[95:98], v58 offset0:51 offset1:52
	v_add_f32_e32 v59, v59, v60
	v_mul_f32_e32 v60, v88, v133
	s_waitcnt vmcnt(15) lgkmcnt(1)
	v_mul_f32_e32 v100, v91, v137
	v_fma_f32 v60, v87, v134, -v60
	s_waitcnt vmcnt(14)
	v_fmac_f32_e32 v100, v92, v138
	v_add_f32_e32 v59, v59, v60
	v_mul_f32_e32 v60, v90, v135
	v_add_f32_e32 v99, v99, v100
	s_waitcnt vmcnt(13)
	v_mul_f32_e32 v100, v93, v139
	v_fma_f32 v60, v89, v136, -v60
	s_waitcnt vmcnt(12)
	v_fmac_f32_e32 v100, v94, v140
	v_add_f32_e32 v59, v59, v60
	v_mul_f32_e32 v60, v92, v137
	v_add_f32_e32 v99, v99, v100
	s_waitcnt vmcnt(11) lgkmcnt(0)
	v_mul_f32_e32 v100, v95, v141
	v_fma_f32 v60, v91, v138, -v60
	s_waitcnt vmcnt(10)
	v_fmac_f32_e32 v100, v96, v142
	v_add_f32_e32 v59, v59, v60
	v_mul_f32_e32 v60, v94, v139
	v_add_f32_e32 v103, v99, v100
	ds_read2_b64 v[99:102], v58 offset0:53 offset1:54
	v_fma_f32 v60, v93, v140, -v60
	v_add_f32_e32 v59, v59, v60
	v_mul_f32_e32 v60, v96, v141
	s_waitcnt vmcnt(9)
	v_mul_f32_e32 v104, v97, v143
	v_fma_f32 v60, v95, v142, -v60
	s_waitcnt vmcnt(8)
	v_fmac_f32_e32 v104, v98, v144
	v_add_f32_e32 v59, v59, v60
	v_mul_f32_e32 v60, v98, v143
	v_add_f32_e32 v153, v103, v104
	ds_read_b64 v[103:104], v58 offset:440
	v_fma_f32 v60, v97, v144, -v60
	v_add_f32_e32 v59, v59, v60
	s_waitcnt vmcnt(6) lgkmcnt(1)
	v_mul_f32_e32 v60, v100, v146
	v_mul_f32_e32 v154, v99, v146
	v_fma_f32 v60, v99, v145, -v60
	v_fmac_f32_e32 v154, v100, v145
	v_add_f32_e32 v59, v59, v60
	s_waitcnt vmcnt(3)
	v_mul_f32_e32 v60, v102, v149
	v_add_f32_e32 v153, v153, v154
	v_mul_f32_e32 v154, v101, v149
	s_waitcnt vmcnt(2)
	v_fma_f32 v60, v101, v150, -v60
	v_fmac_f32_e32 v154, v102, v150
	v_add_f32_e32 v59, v59, v60
	s_waitcnt vmcnt(0) lgkmcnt(0)
	v_mul_f32_e32 v60, v104, v152
	v_add_f32_e32 v153, v153, v154
	v_mul_f32_e32 v154, v103, v152
	v_fma_f32 v60, v103, v151, -v60
	v_fmac_f32_e32 v154, v104, v151
	v_add_f32_e32 v59, v59, v60
	v_add_f32_e32 v153, v153, v154
	v_sub_f32_e32 v59, v147, v59
	v_sub_f32_e32 v60, v148, v153
	buffer_store_dword v59, off, s[0:3], 0 offset:32
	buffer_store_dword v60, off, s[0:3], 0 offset:36
	s_and_saveexec_b64 s[4:5], vcc
	s_cbranch_execz .LBB91_175
; %bb.174:
	buffer_load_dword v59, off, s[0:3], 0 offset:24
	buffer_load_dword v60, off, s[0:3], 0 offset:28
	s_waitcnt vmcnt(0)
	ds_write_b64 v57, v[59:60]
	buffer_store_dword v58, off, s[0:3], 0 offset:24
	buffer_store_dword v58, off, s[0:3], 0 offset:28
.LBB91_175:
	s_or_b64 exec, exec, s[4:5]
	s_waitcnt lgkmcnt(0)
	; wave barrier
	buffer_load_dword v107, off, s[0:3], 0 offset:36
	buffer_load_dword v108, off, s[0:3], 0 offset:44
	buffer_load_dword v109, off, s[0:3], 0 offset:52
	buffer_load_dword v110, off, s[0:3], 0 offset:60
	buffer_load_dword v111, off, s[0:3], 0 offset:68
	buffer_load_dword v112, off, s[0:3], 0 offset:76
	buffer_load_dword v113, off, s[0:3], 0 offset:84
	buffer_load_dword v114, off, s[0:3], 0 offset:92
	buffer_load_dword v115, off, s[0:3], 0 offset:100
	buffer_load_dword v116, off, s[0:3], 0 offset:108
	buffer_load_dword v117, off, s[0:3], 0 offset:116
	buffer_load_dword v118, off, s[0:3], 0 offset:124
	buffer_load_dword v119, off, s[0:3], 0 offset:32
	buffer_load_dword v120, off, s[0:3], 0 offset:40
	buffer_load_dword v121, off, s[0:3], 0 offset:48
	buffer_load_dword v122, off, s[0:3], 0 offset:56
	buffer_load_dword v123, off, s[0:3], 0 offset:64
	buffer_load_dword v124, off, s[0:3], 0 offset:72
	buffer_load_dword v125, off, s[0:3], 0 offset:80
	buffer_load_dword v126, off, s[0:3], 0 offset:88
	buffer_load_dword v127, off, s[0:3], 0 offset:96
	buffer_load_dword v128, off, s[0:3], 0 offset:104
	buffer_load_dword v129, off, s[0:3], 0 offset:112
	buffer_load_dword v130, off, s[0:3], 0 offset:120
	buffer_load_dword v131, off, s[0:3], 0 offset:132
	buffer_load_dword v132, off, s[0:3], 0 offset:128
	buffer_load_dword v133, off, s[0:3], 0 offset:140
	buffer_load_dword v134, off, s[0:3], 0 offset:136
	buffer_load_dword v135, off, s[0:3], 0 offset:148
	buffer_load_dword v136, off, s[0:3], 0 offset:144
	buffer_load_dword v137, off, s[0:3], 0 offset:156
	buffer_load_dword v138, off, s[0:3], 0 offset:152
	buffer_load_dword v139, off, s[0:3], 0 offset:164
	buffer_load_dword v140, off, s[0:3], 0 offset:160
	buffer_load_dword v141, off, s[0:3], 0 offset:172
	buffer_load_dword v142, off, s[0:3], 0 offset:168
	buffer_load_dword v143, off, s[0:3], 0 offset:180
	buffer_load_dword v144, off, s[0:3], 0 offset:176
	buffer_load_dword v145, off, s[0:3], 0 offset:188
	buffer_load_dword v146, off, s[0:3], 0 offset:184
	buffer_load_dword v147, off, s[0:3], 0 offset:24
	buffer_load_dword v148, off, s[0:3], 0 offset:28
	buffer_load_dword v149, off, s[0:3], 0 offset:196
	buffer_load_dword v150, off, s[0:3], 0 offset:192
	buffer_load_dword v151, off, s[0:3], 0 offset:200
	buffer_load_dword v152, off, s[0:3], 0 offset:204
	buffer_load_dword v153, off, s[0:3], 0 offset:208
	buffer_load_dword v154, off, s[0:3], 0 offset:212
	ds_read_b128 v[59:62], v58 offset:256
	ds_read_b128 v[63:66], v58 offset:272
	buffer_load_dword v155, off, s[0:3], 0 offset:216
	buffer_load_dword v156, off, s[0:3], 0 offset:220
	ds_read_b128 v[67:70], v58 offset:288
	ds_read_b128 v[71:74], v58 offset:304
	;; [unrolled: 1-line block ×5, first 2 shown]
	v_cmp_lt_u32_e32 vcc, 2, v0
	s_waitcnt vmcnt(49) lgkmcnt(6)
	v_mul_f32_e32 v87, v59, v107
	s_waitcnt vmcnt(48)
	v_mul_f32_e32 v88, v61, v108
	s_waitcnt vmcnt(47) lgkmcnt(5)
	v_mul_f32_e32 v89, v63, v109
	s_waitcnt vmcnt(46)
	v_mul_f32_e32 v90, v65, v110
	;; [unrolled: 4-line block ×6, first 2 shown]
	s_waitcnt vmcnt(37)
	v_fmac_f32_e32 v87, v60, v119
	v_mul_f32_e32 v60, v60, v107
	v_fma_f32 v59, v59, v119, -v60
	v_mul_f32_e32 v60, v62, v108
	v_add_f32_e32 v59, 0, v59
	s_waitcnt vmcnt(36)
	v_fma_f32 v60, v61, v120, -v60
	v_add_f32_e32 v59, v59, v60
	v_mul_f32_e32 v60, v64, v109
	s_waitcnt vmcnt(35)
	v_fma_f32 v60, v63, v121, -v60
	v_fmac_f32_e32 v88, v62, v120
	v_add_f32_e32 v87, 0, v87
	v_add_f32_e32 v59, v59, v60
	v_mul_f32_e32 v60, v66, v110
	v_fmac_f32_e32 v89, v64, v121
	v_add_f32_e32 v87, v87, v88
	s_waitcnt vmcnt(34)
	v_fma_f32 v60, v65, v122, -v60
	v_fmac_f32_e32 v90, v66, v122
	v_add_f32_e32 v87, v87, v89
	v_add_f32_e32 v59, v59, v60
	v_mul_f32_e32 v60, v68, v111
	s_waitcnt vmcnt(33)
	v_fmac_f32_e32 v91, v68, v123
	v_add_f32_e32 v87, v87, v90
	v_fma_f32 v60, v67, v123, -v60
	s_waitcnt vmcnt(32)
	v_fmac_f32_e32 v92, v70, v124
	v_add_f32_e32 v87, v87, v91
	v_add_f32_e32 v59, v59, v60
	v_mul_f32_e32 v60, v70, v112
	s_waitcnt vmcnt(31)
	v_fmac_f32_e32 v93, v72, v125
	v_add_f32_e32 v87, v87, v92
	v_fma_f32 v60, v69, v124, -v60
	s_waitcnt vmcnt(30)
	;; [unrolled: 9-line block ×3, first 2 shown]
	v_fmac_f32_e32 v96, v78, v128
	v_add_f32_e32 v87, v87, v95
	v_add_f32_e32 v59, v59, v60
	v_mul_f32_e32 v60, v74, v114
	s_waitcnt vmcnt(27)
	v_fmac_f32_e32 v97, v80, v129
	v_add_f32_e32 v87, v87, v96
	v_fma_f32 v60, v73, v126, -v60
	v_add_f32_e32 v87, v87, v97
	s_waitcnt vmcnt(26)
	v_fmac_f32_e32 v98, v82, v130
	v_add_f32_e32 v59, v59, v60
	v_mul_f32_e32 v60, v76, v115
	v_add_f32_e32 v91, v87, v98
	ds_read_b128 v[87:90], v58 offset:368
	v_fma_f32 v60, v75, v127, -v60
	s_waitcnt vmcnt(25) lgkmcnt(1)
	v_mul_f32_e32 v92, v83, v131
	v_add_f32_e32 v59, v59, v60
	v_mul_f32_e32 v60, v78, v116
	s_waitcnt vmcnt(24)
	v_fmac_f32_e32 v92, v84, v132
	v_fma_f32 v60, v77, v128, -v60
	v_add_f32_e32 v91, v91, v92
	s_waitcnt vmcnt(23)
	v_mul_f32_e32 v92, v85, v133
	v_add_f32_e32 v59, v59, v60
	v_mul_f32_e32 v60, v80, v117
	s_waitcnt vmcnt(22)
	v_fmac_f32_e32 v92, v86, v134
	v_fma_f32 v60, v79, v129, -v60
	v_add_f32_e32 v91, v91, v92
	s_waitcnt vmcnt(21) lgkmcnt(0)
	v_mul_f32_e32 v92, v87, v135
	v_add_f32_e32 v59, v59, v60
	v_mul_f32_e32 v60, v82, v118
	s_waitcnt vmcnt(20)
	v_fmac_f32_e32 v92, v88, v136
	v_fma_f32 v60, v81, v130, -v60
	v_add_f32_e32 v95, v91, v92
	ds_read_b128 v[91:94], v58 offset:384
	v_add_f32_e32 v59, v59, v60
	v_mul_f32_e32 v60, v84, v131
	v_fma_f32 v60, v83, v132, -v60
	s_waitcnt vmcnt(19)
	v_mul_f32_e32 v96, v89, v137
	v_add_f32_e32 v59, v59, v60
	v_mul_f32_e32 v60, v86, v133
	s_waitcnt vmcnt(18)
	v_fmac_f32_e32 v96, v90, v138
	v_fma_f32 v60, v85, v134, -v60
	v_add_f32_e32 v99, v95, v96
	ds_read_b128 v[95:98], v58 offset:400
	v_add_f32_e32 v59, v59, v60
	v_mul_f32_e32 v60, v88, v135
	s_waitcnt vmcnt(17) lgkmcnt(1)
	v_mul_f32_e32 v100, v91, v139
	v_fma_f32 v60, v87, v136, -v60
	s_waitcnt vmcnt(16)
	v_fmac_f32_e32 v100, v92, v140
	v_add_f32_e32 v59, v59, v60
	v_mul_f32_e32 v60, v90, v137
	v_add_f32_e32 v99, v99, v100
	s_waitcnt vmcnt(15)
	v_mul_f32_e32 v100, v93, v141
	v_fma_f32 v60, v89, v138, -v60
	s_waitcnt vmcnt(14)
	v_fmac_f32_e32 v100, v94, v142
	v_add_f32_e32 v59, v59, v60
	v_mul_f32_e32 v60, v92, v139
	v_add_f32_e32 v99, v99, v100
	s_waitcnt vmcnt(13) lgkmcnt(0)
	v_mul_f32_e32 v100, v95, v143
	v_fma_f32 v60, v91, v140, -v60
	s_waitcnt vmcnt(12)
	v_fmac_f32_e32 v100, v96, v144
	v_add_f32_e32 v59, v59, v60
	v_mul_f32_e32 v60, v94, v141
	v_add_f32_e32 v103, v99, v100
	ds_read_b128 v[99:102], v58 offset:416
	v_fma_f32 v60, v93, v142, -v60
	v_add_f32_e32 v59, v59, v60
	v_mul_f32_e32 v60, v96, v143
	s_waitcnt vmcnt(11)
	v_mul_f32_e32 v104, v97, v145
	v_fma_f32 v60, v95, v144, -v60
	s_waitcnt vmcnt(10)
	v_fmac_f32_e32 v104, v98, v146
	v_add_f32_e32 v59, v59, v60
	v_mul_f32_e32 v60, v98, v145
	v_add_f32_e32 v157, v103, v104
	ds_read_b128 v[103:106], v58 offset:432
	v_fma_f32 v60, v97, v146, -v60
	v_add_f32_e32 v59, v59, v60
	s_waitcnt vmcnt(7) lgkmcnt(1)
	v_mul_f32_e32 v60, v100, v149
	v_mul_f32_e32 v58, v99, v149
	s_waitcnt vmcnt(6)
	v_fma_f32 v60, v99, v150, -v60
	v_fmac_f32_e32 v58, v100, v150
	v_add_f32_e32 v59, v59, v60
	s_waitcnt vmcnt(4)
	v_mul_f32_e32 v60, v102, v152
	v_add_f32_e32 v58, v157, v58
	v_mul_f32_e32 v157, v101, v152
	v_fma_f32 v60, v101, v151, -v60
	v_fmac_f32_e32 v157, v102, v151
	v_add_f32_e32 v59, v59, v60
	s_waitcnt vmcnt(2) lgkmcnt(0)
	v_mul_f32_e32 v60, v104, v154
	v_add_f32_e32 v58, v58, v157
	v_mul_f32_e32 v157, v103, v154
	v_fma_f32 v60, v103, v153, -v60
	v_fmac_f32_e32 v157, v104, v153
	v_add_f32_e32 v59, v59, v60
	s_waitcnt vmcnt(0)
	v_mul_f32_e32 v60, v106, v156
	v_add_f32_e32 v58, v58, v157
	v_mul_f32_e32 v157, v105, v156
	v_fma_f32 v60, v105, v155, -v60
	v_fmac_f32_e32 v157, v106, v155
	v_add_f32_e32 v59, v59, v60
	v_add_f32_e32 v58, v58, v157
	v_sub_f32_e32 v59, v147, v59
	v_sub_f32_e32 v58, v148, v58
	buffer_store_dword v59, off, s[0:3], 0 offset:24
	buffer_store_dword v58, off, s[0:3], 0 offset:28
	s_and_saveexec_b64 s[4:5], vcc
	s_cbranch_execz .LBB91_177
; %bb.176:
	buffer_load_dword v58, off, s[0:3], 0 offset:16
	buffer_load_dword v59, off, s[0:3], 0 offset:20
	v_mov_b32_e32 v60, 0
	buffer_store_dword v60, off, s[0:3], 0 offset:16
	buffer_store_dword v60, off, s[0:3], 0 offset:20
	s_waitcnt vmcnt(2)
	ds_write_b64 v57, v[58:59]
.LBB91_177:
	s_or_b64 exec, exec, s[4:5]
	s_waitcnt lgkmcnt(0)
	; wave barrier
	buffer_load_dword v109, off, s[0:3], 0 offset:28
	buffer_load_dword v110, off, s[0:3], 0 offset:36
	;; [unrolled: 1-line block ×52, first 2 shown]
	v_mov_b32_e32 v58, 0
	ds_read2_b64 v[59:62], v58 offset0:31 offset1:32
	ds_read2_b64 v[63:66], v58 offset0:33 offset1:34
	;; [unrolled: 1-line block ×6, first 2 shown]
	v_cmp_lt_u32_e32 vcc, 1, v0
	s_waitcnt vmcnt(51) lgkmcnt(5)
	v_mul_f32_e32 v83, v59, v109
	s_waitcnt vmcnt(50)
	v_mul_f32_e32 v84, v61, v110
	s_waitcnt vmcnt(49) lgkmcnt(4)
	v_mul_f32_e32 v85, v63, v111
	s_waitcnt vmcnt(48)
	v_mul_f32_e32 v86, v65, v112
	;; [unrolled: 4-line block ×5, first 2 shown]
	s_waitcnt vmcnt(41) lgkmcnt(0)
	v_mul_f32_e32 v93, v79, v119
	s_waitcnt vmcnt(40)
	v_fmac_f32_e32 v83, v60, v120
	v_mul_f32_e32 v60, v60, v109
	s_waitcnt vmcnt(39)
	v_fmac_f32_e32 v84, v62, v121
	v_add_f32_e32 v83, 0, v83
	v_fma_f32 v59, v59, v120, -v60
	v_mul_f32_e32 v60, v62, v110
	s_waitcnt vmcnt(38)
	v_fmac_f32_e32 v85, v64, v122
	v_add_f32_e32 v83, v83, v84
	v_add_f32_e32 v59, 0, v59
	v_fma_f32 v60, v61, v121, -v60
	s_waitcnt vmcnt(37)
	v_fmac_f32_e32 v86, v66, v123
	v_add_f32_e32 v83, v83, v85
	v_add_f32_e32 v59, v59, v60
	v_mul_f32_e32 v60, v64, v111
	s_waitcnt vmcnt(36)
	v_fmac_f32_e32 v87, v68, v124
	v_add_f32_e32 v83, v83, v86
	v_fma_f32 v60, v63, v122, -v60
	s_waitcnt vmcnt(35)
	v_fmac_f32_e32 v88, v70, v125
	v_add_f32_e32 v83, v83, v87
	v_add_f32_e32 v59, v59, v60
	v_mul_f32_e32 v60, v66, v112
	s_waitcnt vmcnt(34)
	v_fmac_f32_e32 v89, v72, v126
	;; [unrolled: 9-line block ×3, first 2 shown]
	v_add_f32_e32 v83, v83, v90
	v_fma_f32 v60, v67, v124, -v60
	s_waitcnt vmcnt(31)
	v_fmac_f32_e32 v92, v78, v129
	v_add_f32_e32 v83, v83, v91
	v_add_f32_e32 v59, v59, v60
	v_mul_f32_e32 v60, v70, v114
	v_add_f32_e32 v83, v83, v92
	s_waitcnt vmcnt(30)
	v_fmac_f32_e32 v93, v80, v130
	v_fma_f32 v60, v69, v125, -v60
	v_add_f32_e32 v87, v83, v93
	ds_read2_b64 v[83:86], v58 offset0:43 offset1:44
	v_add_f32_e32 v59, v59, v60
	v_mul_f32_e32 v60, v72, v115
	v_fma_f32 v60, v71, v126, -v60
	s_waitcnt vmcnt(29)
	v_mul_f32_e32 v88, v81, v131
	v_add_f32_e32 v59, v59, v60
	v_mul_f32_e32 v60, v74, v116
	s_waitcnt vmcnt(28)
	v_fmac_f32_e32 v88, v82, v132
	v_fma_f32 v60, v73, v127, -v60
	v_add_f32_e32 v91, v87, v88
	ds_read2_b64 v[87:90], v58 offset0:45 offset1:46
	v_add_f32_e32 v59, v59, v60
	v_mul_f32_e32 v60, v76, v117
	s_waitcnt vmcnt(27) lgkmcnt(1)
	v_mul_f32_e32 v92, v83, v133
	v_fma_f32 v60, v75, v128, -v60
	s_waitcnt vmcnt(26)
	v_fmac_f32_e32 v92, v84, v134
	v_add_f32_e32 v59, v59, v60
	v_mul_f32_e32 v60, v78, v118
	v_add_f32_e32 v91, v91, v92
	s_waitcnt vmcnt(25)
	v_mul_f32_e32 v92, v85, v135
	v_fma_f32 v60, v77, v129, -v60
	s_waitcnt vmcnt(24)
	v_fmac_f32_e32 v92, v86, v136
	v_add_f32_e32 v59, v59, v60
	v_mul_f32_e32 v60, v80, v119
	v_add_f32_e32 v91, v91, v92
	s_waitcnt vmcnt(23) lgkmcnt(0)
	v_mul_f32_e32 v92, v87, v137
	v_fma_f32 v60, v79, v130, -v60
	s_waitcnt vmcnt(22)
	v_fmac_f32_e32 v92, v88, v138
	v_add_f32_e32 v59, v59, v60
	v_mul_f32_e32 v60, v82, v131
	v_add_f32_e32 v95, v91, v92
	ds_read2_b64 v[91:94], v58 offset0:47 offset1:48
	v_fma_f32 v60, v81, v132, -v60
	v_add_f32_e32 v59, v59, v60
	v_mul_f32_e32 v60, v84, v133
	s_waitcnt vmcnt(21)
	v_mul_f32_e32 v96, v89, v139
	v_fma_f32 v60, v83, v134, -v60
	s_waitcnt vmcnt(20)
	v_fmac_f32_e32 v96, v90, v140
	v_add_f32_e32 v59, v59, v60
	v_mul_f32_e32 v60, v86, v135
	v_add_f32_e32 v99, v95, v96
	ds_read2_b64 v[95:98], v58 offset0:49 offset1:50
	v_fma_f32 v60, v85, v136, -v60
	s_waitcnt vmcnt(19) lgkmcnt(1)
	v_mul_f32_e32 v100, v91, v141
	v_add_f32_e32 v59, v59, v60
	v_mul_f32_e32 v60, v88, v137
	s_waitcnt vmcnt(18)
	v_fmac_f32_e32 v100, v92, v142
	v_fma_f32 v60, v87, v138, -v60
	v_add_f32_e32 v99, v99, v100
	s_waitcnt vmcnt(17)
	v_mul_f32_e32 v100, v93, v143
	v_add_f32_e32 v59, v59, v60
	v_mul_f32_e32 v60, v90, v139
	s_waitcnt vmcnt(16)
	v_fmac_f32_e32 v100, v94, v144
	v_fma_f32 v60, v89, v140, -v60
	v_add_f32_e32 v99, v99, v100
	s_waitcnt vmcnt(14) lgkmcnt(0)
	v_mul_f32_e32 v100, v95, v146
	v_add_f32_e32 v59, v59, v60
	v_mul_f32_e32 v60, v92, v141
	v_fmac_f32_e32 v100, v96, v145
	v_fma_f32 v60, v91, v142, -v60
	v_add_f32_e32 v103, v99, v100
	ds_read2_b64 v[99:102], v58 offset0:51 offset1:52
	v_add_f32_e32 v59, v59, v60
	v_mul_f32_e32 v60, v94, v143
	v_fma_f32 v60, v93, v144, -v60
	v_add_f32_e32 v59, v59, v60
	v_mul_f32_e32 v60, v96, v146
	s_waitcnt vmcnt(11)
	v_mul_f32_e32 v104, v97, v149
	v_fma_f32 v60, v95, v145, -v60
	s_waitcnt vmcnt(10)
	v_fmac_f32_e32 v104, v98, v150
	v_add_f32_e32 v59, v59, v60
	v_mul_f32_e32 v60, v98, v149
	v_add_f32_e32 v107, v103, v104
	ds_read2_b64 v[103:106], v58 offset0:53 offset1:54
	s_waitcnt vmcnt(8) lgkmcnt(1)
	v_mul_f32_e32 v108, v99, v152
	v_fma_f32 v60, v97, v150, -v60
	v_fmac_f32_e32 v108, v100, v151
	v_add_f32_e32 v59, v59, v60
	v_mul_f32_e32 v60, v100, v152
	v_add_f32_e32 v107, v107, v108
	s_waitcnt vmcnt(6)
	v_mul_f32_e32 v108, v101, v154
	v_fma_f32 v60, v99, v151, -v60
	v_fmac_f32_e32 v108, v102, v153
	v_add_f32_e32 v59, v59, v60
	v_mul_f32_e32 v60, v102, v154
	v_add_f32_e32 v161, v107, v108
	ds_read_b64 v[107:108], v58 offset:440
	v_fma_f32 v60, v101, v153, -v60
	v_add_f32_e32 v59, v59, v60
	s_waitcnt vmcnt(4) lgkmcnt(1)
	v_mul_f32_e32 v60, v104, v156
	v_mul_f32_e32 v162, v103, v156
	v_fma_f32 v60, v103, v155, -v60
	v_fmac_f32_e32 v162, v104, v155
	v_add_f32_e32 v59, v59, v60
	s_waitcnt vmcnt(2)
	v_mul_f32_e32 v60, v106, v158
	v_add_f32_e32 v161, v161, v162
	v_mul_f32_e32 v162, v105, v158
	v_fma_f32 v60, v105, v157, -v60
	v_fmac_f32_e32 v162, v106, v157
	v_add_f32_e32 v59, v59, v60
	s_waitcnt vmcnt(0) lgkmcnt(0)
	v_mul_f32_e32 v60, v108, v160
	v_add_f32_e32 v161, v161, v162
	v_mul_f32_e32 v162, v107, v160
	v_fma_f32 v60, v107, v159, -v60
	v_fmac_f32_e32 v162, v108, v159
	v_add_f32_e32 v59, v59, v60
	v_add_f32_e32 v161, v161, v162
	v_sub_f32_e32 v59, v147, v59
	v_sub_f32_e32 v60, v148, v161
	buffer_store_dword v59, off, s[0:3], 0 offset:16
	buffer_store_dword v60, off, s[0:3], 0 offset:20
	s_and_saveexec_b64 s[4:5], vcc
	s_cbranch_execz .LBB91_179
; %bb.178:
	buffer_load_dword v59, off, s[0:3], 0 offset:8
	buffer_load_dword v60, off, s[0:3], 0 offset:12
	s_waitcnt vmcnt(0)
	ds_write_b64 v57, v[59:60]
	buffer_store_dword v58, off, s[0:3], 0 offset:8
	buffer_store_dword v58, off, s[0:3], 0 offset:12
.LBB91_179:
	s_or_b64 exec, exec, s[4:5]
	s_waitcnt lgkmcnt(0)
	; wave barrier
	buffer_load_dword v111, off, s[0:3], 0 offset:20
	buffer_load_dword v112, off, s[0:3], 0 offset:28
	;; [unrolled: 1-line block ×42, first 2 shown]
	ds_read_b128 v[59:62], v58 offset:240
	ds_read_b128 v[63:66], v58 offset:256
	;; [unrolled: 1-line block ×4, first 2 shown]
	buffer_load_dword v153, off, s[0:3], 0 offset:180
	buffer_load_dword v154, off, s[0:3], 0 offset:176
	buffer_load_dword v155, off, s[0:3], 0 offset:184
	buffer_load_dword v156, off, s[0:3], 0 offset:188
	buffer_load_dword v157, off, s[0:3], 0 offset:192
	buffer_load_dword v158, off, s[0:3], 0 offset:196
	ds_read_b128 v[75:78], v58 offset:304
	ds_read_b128 v[79:82], v58 offset:320
	buffer_load_dword v159, off, s[0:3], 0 offset:200
	buffer_load_dword v160, off, s[0:3], 0 offset:204
	;; [unrolled: 1-line block ×6, first 2 shown]
	v_cmp_ne_u32_e32 vcc, 0, v0
	s_waitcnt vmcnt(53) lgkmcnt(5)
	v_mul_f32_e32 v83, v59, v111
	s_waitcnt vmcnt(52)
	v_mul_f32_e32 v84, v61, v112
	s_waitcnt vmcnt(51) lgkmcnt(4)
	v_mul_f32_e32 v85, v63, v113
	s_waitcnt vmcnt(50)
	v_mul_f32_e32 v86, v65, v114
	;; [unrolled: 4-line block ×5, first 2 shown]
	s_waitcnt vmcnt(43)
	v_fmac_f32_e32 v83, v60, v121
	v_mul_f32_e32 v60, v60, v111
	s_waitcnt vmcnt(42)
	v_fmac_f32_e32 v84, v62, v122
	v_add_f32_e32 v83, 0, v83
	v_fma_f32 v59, v59, v121, -v60
	v_mul_f32_e32 v60, v62, v112
	s_waitcnt vmcnt(41)
	v_fmac_f32_e32 v85, v64, v123
	v_add_f32_e32 v83, v83, v84
	v_add_f32_e32 v59, 0, v59
	v_fma_f32 v60, v61, v122, -v60
	s_waitcnt vmcnt(40)
	v_fmac_f32_e32 v86, v66, v124
	v_add_f32_e32 v83, v83, v85
	v_add_f32_e32 v59, v59, v60
	v_mul_f32_e32 v60, v64, v113
	s_waitcnt vmcnt(39)
	v_fmac_f32_e32 v87, v68, v125
	v_add_f32_e32 v83, v83, v86
	v_fma_f32 v60, v63, v123, -v60
	s_waitcnt vmcnt(38)
	v_fmac_f32_e32 v88, v70, v126
	v_add_f32_e32 v83, v83, v87
	v_add_f32_e32 v59, v59, v60
	v_mul_f32_e32 v60, v66, v114
	s_waitcnt vmcnt(37)
	v_fmac_f32_e32 v89, v72, v127
	;; [unrolled: 9-line block ×3, first 2 shown]
	v_add_f32_e32 v83, v83, v90
	v_fma_f32 v60, v67, v125, -v60
	s_waitcnt vmcnt(34)
	v_fmac_f32_e32 v92, v78, v130
	v_add_f32_e32 v83, v83, v91
	s_waitcnt vmcnt(33) lgkmcnt(0)
	v_mul_f32_e32 v84, v79, v131
	v_add_f32_e32 v59, v59, v60
	v_mul_f32_e32 v60, v70, v116
	v_add_f32_e32 v83, v83, v92
	s_waitcnt vmcnt(32)
	v_fmac_f32_e32 v84, v80, v132
	v_fma_f32 v60, v69, v126, -v60
	v_add_f32_e32 v87, v83, v84
	ds_read_b128 v[83:86], v58 offset:336
	v_add_f32_e32 v59, v59, v60
	v_mul_f32_e32 v60, v72, v117
	v_fma_f32 v60, v71, v127, -v60
	s_waitcnt vmcnt(31)
	v_mul_f32_e32 v88, v81, v133
	v_add_f32_e32 v59, v59, v60
	v_mul_f32_e32 v60, v74, v118
	s_waitcnt vmcnt(30)
	v_fmac_f32_e32 v88, v82, v134
	v_fma_f32 v60, v73, v128, -v60
	v_add_f32_e32 v91, v87, v88
	ds_read_b128 v[87:90], v58 offset:352
	v_add_f32_e32 v59, v59, v60
	v_mul_f32_e32 v60, v76, v119
	s_waitcnt vmcnt(29) lgkmcnt(1)
	v_mul_f32_e32 v92, v83, v135
	v_fma_f32 v60, v75, v129, -v60
	s_waitcnt vmcnt(28)
	v_fmac_f32_e32 v92, v84, v136
	v_add_f32_e32 v59, v59, v60
	v_mul_f32_e32 v60, v78, v120
	v_add_f32_e32 v91, v91, v92
	s_waitcnt vmcnt(27)
	v_mul_f32_e32 v92, v85, v137
	v_fma_f32 v60, v77, v130, -v60
	s_waitcnt vmcnt(26)
	v_fmac_f32_e32 v92, v86, v138
	v_add_f32_e32 v59, v59, v60
	v_mul_f32_e32 v60, v80, v131
	v_add_f32_e32 v91, v91, v92
	s_waitcnt vmcnt(25) lgkmcnt(0)
	v_mul_f32_e32 v92, v87, v139
	v_fma_f32 v60, v79, v132, -v60
	s_waitcnt vmcnt(24)
	v_fmac_f32_e32 v92, v88, v140
	v_add_f32_e32 v59, v59, v60
	v_mul_f32_e32 v60, v82, v133
	v_add_f32_e32 v95, v91, v92
	ds_read_b128 v[91:94], v58 offset:368
	v_fma_f32 v60, v81, v134, -v60
	v_add_f32_e32 v59, v59, v60
	v_mul_f32_e32 v60, v84, v135
	s_waitcnt vmcnt(23)
	v_mul_f32_e32 v96, v89, v141
	v_fma_f32 v60, v83, v136, -v60
	s_waitcnt vmcnt(22)
	v_fmac_f32_e32 v96, v90, v142
	v_add_f32_e32 v59, v59, v60
	v_mul_f32_e32 v60, v86, v137
	v_add_f32_e32 v99, v95, v96
	ds_read_b128 v[95:98], v58 offset:384
	v_fma_f32 v60, v85, v138, -v60
	s_waitcnt vmcnt(21) lgkmcnt(1)
	v_mul_f32_e32 v100, v91, v143
	v_add_f32_e32 v59, v59, v60
	v_mul_f32_e32 v60, v88, v139
	s_waitcnt vmcnt(20)
	v_fmac_f32_e32 v100, v92, v144
	v_fma_f32 v60, v87, v140, -v60
	v_add_f32_e32 v99, v99, v100
	s_waitcnt vmcnt(18)
	v_mul_f32_e32 v100, v93, v146
	v_add_f32_e32 v59, v59, v60
	v_mul_f32_e32 v60, v90, v141
	v_fmac_f32_e32 v100, v94, v145
	v_fma_f32 v60, v89, v142, -v60
	v_add_f32_e32 v99, v99, v100
	s_waitcnt vmcnt(15) lgkmcnt(0)
	v_mul_f32_e32 v100, v95, v149
	v_add_f32_e32 v59, v59, v60
	v_mul_f32_e32 v60, v92, v143
	s_waitcnt vmcnt(14)
	v_fmac_f32_e32 v100, v96, v150
	v_fma_f32 v60, v91, v144, -v60
	v_add_f32_e32 v103, v99, v100
	ds_read_b128 v[99:102], v58 offset:400
	v_add_f32_e32 v59, v59, v60
	v_mul_f32_e32 v60, v94, v146
	v_fma_f32 v60, v93, v145, -v60
	v_add_f32_e32 v59, v59, v60
	v_mul_f32_e32 v60, v96, v149
	s_waitcnt vmcnt(12)
	v_mul_f32_e32 v104, v97, v152
	v_fma_f32 v60, v95, v150, -v60
	v_fmac_f32_e32 v104, v98, v151
	v_add_f32_e32 v59, v59, v60
	v_mul_f32_e32 v60, v98, v152
	v_add_f32_e32 v107, v103, v104
	ds_read_b128 v[103:106], v58 offset:416
	s_waitcnt vmcnt(11) lgkmcnt(1)
	v_mul_f32_e32 v108, v99, v153
	v_fma_f32 v60, v97, v151, -v60
	s_waitcnt vmcnt(10)
	v_fmac_f32_e32 v108, v100, v154
	v_add_f32_e32 v59, v59, v60
	v_mul_f32_e32 v60, v100, v153
	v_add_f32_e32 v107, v107, v108
	s_waitcnt vmcnt(8)
	v_mul_f32_e32 v108, v101, v156
	v_fma_f32 v60, v99, v154, -v60
	v_fmac_f32_e32 v108, v102, v155
	v_add_f32_e32 v59, v59, v60
	v_mul_f32_e32 v60, v102, v156
	v_add_f32_e32 v165, v107, v108
	ds_read_b128 v[107:110], v58 offset:432
	v_fma_f32 v60, v101, v155, -v60
	v_add_f32_e32 v59, v59, v60
	s_waitcnt vmcnt(6) lgkmcnt(1)
	v_mul_f32_e32 v60, v104, v158
	v_mul_f32_e32 v166, v103, v158
	v_fma_f32 v60, v103, v157, -v60
	v_fmac_f32_e32 v166, v104, v157
	v_add_f32_e32 v59, v59, v60
	s_waitcnt vmcnt(4)
	v_mul_f32_e32 v60, v106, v160
	v_add_f32_e32 v58, v165, v166
	v_mul_f32_e32 v165, v105, v160
	v_fma_f32 v60, v105, v159, -v60
	v_fmac_f32_e32 v165, v106, v159
	v_add_f32_e32 v59, v59, v60
	s_waitcnt vmcnt(2) lgkmcnt(0)
	v_mul_f32_e32 v60, v108, v162
	v_add_f32_e32 v58, v58, v165
	v_mul_f32_e32 v165, v107, v162
	v_fma_f32 v60, v107, v161, -v60
	v_fmac_f32_e32 v165, v108, v161
	v_add_f32_e32 v59, v59, v60
	s_waitcnt vmcnt(0)
	v_mul_f32_e32 v60, v110, v164
	v_add_f32_e32 v58, v58, v165
	v_mul_f32_e32 v165, v109, v164
	v_fma_f32 v60, v109, v163, -v60
	v_fmac_f32_e32 v165, v110, v163
	v_add_f32_e32 v59, v59, v60
	v_add_f32_e32 v58, v58, v165
	v_sub_f32_e32 v59, v147, v59
	v_sub_f32_e32 v58, v148, v58
	buffer_store_dword v59, off, s[0:3], 0 offset:8
	buffer_store_dword v58, off, s[0:3], 0 offset:12
	s_and_saveexec_b64 s[4:5], vcc
	s_cbranch_execz .LBB91_181
; %bb.180:
	buffer_load_dword v58, off, s[0:3], 0
	buffer_load_dword v59, off, s[0:3], 0 offset:4
	v_mov_b32_e32 v0, 0
	buffer_store_dword v0, off, s[0:3], 0
	buffer_store_dword v0, off, s[0:3], 0 offset:4
	s_waitcnt vmcnt(2)
	ds_write_b64 v57, v[58:59]
.LBB91_181:
	s_or_b64 exec, exec, s[4:5]
	s_waitcnt lgkmcnt(0)
	; wave barrier
	buffer_load_dword v111, off, s[0:3], 0 offset:12
	buffer_load_dword v112, off, s[0:3], 0 offset:20
	;; [unrolled: 1-line block ×32, first 2 shown]
	buffer_load_dword v143, off, s[0:3], 0
	buffer_load_dword v144, off, s[0:3], 0 offset:4
	buffer_load_dword v145, off, s[0:3], 0 offset:140
	;; [unrolled: 1-line block ×23, first 2 shown]
	v_mov_b32_e32 v0, 0
	ds_read2_b64 v[57:60], v0 offset0:29 offset1:30
	ds_read2_b64 v[61:64], v0 offset0:31 offset1:32
	ds_read2_b64 v[65:68], v0 offset0:33 offset1:34
	ds_read2_b64 v[69:72], v0 offset0:35 offset1:36
	ds_read2_b64 v[73:76], v0 offset0:37 offset1:38
	ds_read2_b64 v[77:80], v0 offset0:39 offset1:40
	s_and_b64 vcc, exec, s[14:15]
	s_waitcnt vmcnt(55) lgkmcnt(5)
	v_mul_f32_e32 v81, v57, v111
	s_waitcnt vmcnt(54)
	v_mul_f32_e32 v82, v59, v112
	s_waitcnt vmcnt(53) lgkmcnt(4)
	v_mul_f32_e32 v83, v61, v113
	s_waitcnt vmcnt(52)
	v_mul_f32_e32 v84, v63, v114
	;; [unrolled: 4-line block ×4, first 2 shown]
	s_waitcnt vmcnt(47) lgkmcnt(1)
	v_mul_f32_e32 v89, v73, v119
	s_waitcnt vmcnt(46)
	v_fmac_f32_e32 v81, v58, v120
	s_waitcnt vmcnt(45)
	v_fmac_f32_e32 v82, v60, v121
	v_add_f32_e32 v81, 0, v81
	s_waitcnt vmcnt(44)
	v_fmac_f32_e32 v83, v62, v122
	v_add_f32_e32 v81, v81, v82
	;; [unrolled: 3-line block ×3, first 2 shown]
	v_mul_f32_e32 v58, v58, v111
	s_waitcnt vmcnt(42)
	v_fmac_f32_e32 v85, v66, v124
	v_add_f32_e32 v81, v81, v84
	v_fma_f32 v57, v57, v120, -v58
	v_mul_f32_e32 v58, v60, v112
	s_waitcnt vmcnt(41)
	v_fmac_f32_e32 v86, v68, v125
	v_add_f32_e32 v81, v81, v85
	v_add_f32_e32 v57, 0, v57
	v_fma_f32 v58, v59, v121, -v58
	s_waitcnt vmcnt(40)
	v_fmac_f32_e32 v87, v70, v126
	v_add_f32_e32 v81, v81, v86
	v_add_f32_e32 v57, v57, v58
	v_mul_f32_e32 v58, v62, v113
	s_waitcnt vmcnt(39)
	v_fmac_f32_e32 v88, v72, v127
	v_add_f32_e32 v81, v81, v87
	v_fma_f32 v58, v61, v122, -v58
	v_add_f32_e32 v81, v81, v88
	s_waitcnt vmcnt(38)
	v_fmac_f32_e32 v89, v74, v128
	s_waitcnt vmcnt(37)
	v_mul_f32_e32 v82, v75, v129
	v_add_f32_e32 v57, v57, v58
	v_mul_f32_e32 v58, v64, v114
	v_add_f32_e32 v81, v81, v89
	s_waitcnt vmcnt(36)
	v_fmac_f32_e32 v82, v76, v130
	v_fma_f32 v58, v63, v123, -v58
	v_add_f32_e32 v81, v81, v82
	s_waitcnt vmcnt(35) lgkmcnt(0)
	v_mul_f32_e32 v82, v77, v131
	v_add_f32_e32 v57, v57, v58
	v_mul_f32_e32 v58, v66, v115
	s_waitcnt vmcnt(34)
	v_fmac_f32_e32 v82, v78, v132
	v_fma_f32 v58, v65, v124, -v58
	v_add_f32_e32 v85, v81, v82
	ds_read2_b64 v[81:84], v0 offset0:41 offset1:42
	v_add_f32_e32 v57, v57, v58
	v_mul_f32_e32 v58, v68, v116
	v_fma_f32 v58, v67, v125, -v58
	s_waitcnt vmcnt(33)
	v_mul_f32_e32 v86, v79, v133
	v_add_f32_e32 v57, v57, v58
	v_mul_f32_e32 v58, v70, v117
	s_waitcnt vmcnt(32)
	v_fmac_f32_e32 v86, v80, v134
	v_fma_f32 v58, v69, v126, -v58
	v_add_f32_e32 v89, v85, v86
	ds_read2_b64 v[85:88], v0 offset0:43 offset1:44
	v_add_f32_e32 v57, v57, v58
	v_mul_f32_e32 v58, v72, v118
	s_waitcnt vmcnt(31) lgkmcnt(1)
	v_mul_f32_e32 v90, v81, v135
	v_fma_f32 v58, v71, v127, -v58
	s_waitcnt vmcnt(30)
	v_fmac_f32_e32 v90, v82, v136
	v_add_f32_e32 v57, v57, v58
	v_mul_f32_e32 v58, v74, v119
	v_add_f32_e32 v89, v89, v90
	s_waitcnt vmcnt(29)
	v_mul_f32_e32 v90, v83, v137
	v_fma_f32 v58, v73, v128, -v58
	s_waitcnt vmcnt(28)
	v_fmac_f32_e32 v90, v84, v138
	v_add_f32_e32 v57, v57, v58
	v_mul_f32_e32 v58, v76, v129
	v_add_f32_e32 v89, v89, v90
	s_waitcnt vmcnt(27) lgkmcnt(0)
	v_mul_f32_e32 v90, v85, v139
	v_fma_f32 v58, v75, v130, -v58
	s_waitcnt vmcnt(26)
	v_fmac_f32_e32 v90, v86, v140
	v_add_f32_e32 v57, v57, v58
	v_mul_f32_e32 v58, v78, v131
	v_add_f32_e32 v93, v89, v90
	ds_read2_b64 v[89:92], v0 offset0:45 offset1:46
	v_fma_f32 v58, v77, v132, -v58
	v_add_f32_e32 v57, v57, v58
	v_mul_f32_e32 v58, v80, v133
	s_waitcnt vmcnt(24)
	v_mul_f32_e32 v94, v87, v142
	v_fma_f32 v58, v79, v134, -v58
	v_fmac_f32_e32 v94, v88, v141
	v_add_f32_e32 v57, v57, v58
	v_mul_f32_e32 v58, v82, v135
	v_add_f32_e32 v97, v93, v94
	ds_read2_b64 v[93:96], v0 offset0:47 offset1:48
	v_fma_f32 v58, v81, v136, -v58
	s_waitcnt vmcnt(21) lgkmcnt(1)
	v_mul_f32_e32 v98, v89, v145
	v_add_f32_e32 v57, v57, v58
	v_mul_f32_e32 v58, v84, v137
	s_waitcnt vmcnt(20)
	v_fmac_f32_e32 v98, v90, v146
	v_fma_f32 v58, v83, v138, -v58
	v_add_f32_e32 v97, v97, v98
	s_waitcnt vmcnt(18)
	v_mul_f32_e32 v98, v91, v148
	v_add_f32_e32 v57, v57, v58
	v_mul_f32_e32 v58, v86, v139
	v_fmac_f32_e32 v98, v92, v147
	v_fma_f32 v58, v85, v140, -v58
	v_add_f32_e32 v97, v97, v98
	s_waitcnt vmcnt(16) lgkmcnt(0)
	v_mul_f32_e32 v98, v93, v150
	v_add_f32_e32 v57, v57, v58
	v_mul_f32_e32 v58, v88, v142
	v_fmac_f32_e32 v98, v94, v149
	v_fma_f32 v58, v87, v141, -v58
	v_add_f32_e32 v101, v97, v98
	ds_read2_b64 v[97:100], v0 offset0:49 offset1:50
	v_add_f32_e32 v57, v57, v58
	v_mul_f32_e32 v58, v90, v145
	v_fma_f32 v58, v89, v146, -v58
	s_waitcnt vmcnt(14)
	v_mul_f32_e32 v102, v95, v152
	v_add_f32_e32 v57, v57, v58
	v_mul_f32_e32 v58, v92, v148
	v_fmac_f32_e32 v102, v96, v151
	v_fma_f32 v58, v91, v147, -v58
	v_add_f32_e32 v105, v101, v102
	ds_read2_b64 v[101:104], v0 offset0:51 offset1:52
	v_add_f32_e32 v57, v57, v58
	v_mul_f32_e32 v58, v94, v150
	s_waitcnt vmcnt(12) lgkmcnt(1)
	v_mul_f32_e32 v106, v97, v154
	v_fma_f32 v58, v93, v149, -v58
	v_fmac_f32_e32 v106, v98, v153
	v_add_f32_e32 v57, v57, v58
	v_mul_f32_e32 v58, v96, v152
	v_add_f32_e32 v105, v105, v106
	s_waitcnt vmcnt(10)
	v_mul_f32_e32 v106, v99, v156
	v_fma_f32 v58, v95, v151, -v58
	v_fmac_f32_e32 v106, v100, v155
	v_add_f32_e32 v57, v57, v58
	v_mul_f32_e32 v58, v98, v154
	v_add_f32_e32 v105, v105, v106
	s_waitcnt vmcnt(8) lgkmcnt(0)
	v_mul_f32_e32 v106, v101, v158
	v_fma_f32 v58, v97, v153, -v58
	v_fmac_f32_e32 v106, v102, v157
	v_add_f32_e32 v57, v57, v58
	v_mul_f32_e32 v58, v100, v156
	v_add_f32_e32 v109, v105, v106
	ds_read2_b64 v[105:108], v0 offset0:53 offset1:54
	v_fma_f32 v58, v99, v155, -v58
	v_add_f32_e32 v57, v57, v58
	v_mul_f32_e32 v58, v102, v158
	s_waitcnt vmcnt(6)
	v_mul_f32_e32 v110, v103, v160
	v_fma_f32 v58, v101, v157, -v58
	v_fmac_f32_e32 v110, v104, v159
	v_add_f32_e32 v57, v57, v58
	v_mul_f32_e32 v58, v104, v160
	v_add_f32_e32 v167, v109, v110
	ds_read_b64 v[109:110], v0 offset:440
	v_fma_f32 v58, v103, v159, -v58
	v_add_f32_e32 v57, v57, v58
	s_waitcnt vmcnt(4) lgkmcnt(1)
	v_mul_f32_e32 v58, v106, v162
	v_mul_f32_e32 v168, v105, v162
	v_fma_f32 v58, v105, v161, -v58
	v_fmac_f32_e32 v168, v106, v161
	v_add_f32_e32 v57, v57, v58
	s_waitcnt vmcnt(2)
	v_mul_f32_e32 v58, v108, v164
	v_add_f32_e32 v167, v167, v168
	v_mul_f32_e32 v168, v107, v164
	v_fma_f32 v58, v107, v163, -v58
	v_fmac_f32_e32 v168, v108, v163
	v_add_f32_e32 v57, v57, v58
	s_waitcnt vmcnt(0) lgkmcnt(0)
	v_mul_f32_e32 v58, v110, v166
	v_add_f32_e32 v167, v167, v168
	v_mul_f32_e32 v168, v109, v166
	v_fma_f32 v58, v109, v165, -v58
	v_fmac_f32_e32 v168, v110, v165
	v_add_f32_e32 v57, v57, v58
	v_add_f32_e32 v167, v167, v168
	v_sub_f32_e32 v57, v143, v57
	v_sub_f32_e32 v58, v144, v167
	buffer_store_dword v57, off, s[0:3], 0
	buffer_store_dword v58, off, s[0:3], 0 offset:4
	s_cbranch_vccz .LBB91_236
; %bb.182:
	global_load_dword v0, v0, s[12:13] offset:104
	s_waitcnt vmcnt(0)
	v_add_u32_e32 v0, -1, v0
	v_cmp_ne_u32_e32 vcc, 26, v0
	s_cbranch_vccz .LBB91_184
; %bb.183:
	v_lshlrev_b32_e32 v0, 3, v0
	buffer_load_dword v57, v0, s[0:3], 0 offen
	buffer_load_dword v58, v0, s[0:3], 0 offen offset:4
	buffer_load_dword v59, off, s[0:3], 0 offset:212
	buffer_load_dword v60, off, s[0:3], 0 offset:208
	s_waitcnt vmcnt(3)
	buffer_store_dword v57, off, s[0:3], 0 offset:208
	s_waitcnt vmcnt(3)
	buffer_store_dword v58, off, s[0:3], 0 offset:212
	s_waitcnt vmcnt(3)
	buffer_store_dword v59, v0, s[0:3], 0 offen offset:4
	s_waitcnt vmcnt(3)
	buffer_store_dword v60, v0, s[0:3], 0 offen
.LBB91_184:
	v_mov_b32_e32 v0, 0
	global_load_dword v57, v0, s[12:13] offset:100
	s_waitcnt vmcnt(0)
	v_add_u32_e32 v57, -1, v57
	v_cmp_eq_u32_e32 vcc, 25, v57
	s_cbranch_vccnz .LBB91_186
; %bb.185:
	v_lshlrev_b32_e32 v57, 3, v57
	buffer_load_dword v58, v57, s[0:3], 0 offen
	buffer_load_dword v59, v57, s[0:3], 0 offen offset:4
	buffer_load_dword v60, off, s[0:3], 0 offset:200
	buffer_load_dword v61, off, s[0:3], 0 offset:204
	s_waitcnt vmcnt(3)
	buffer_store_dword v58, off, s[0:3], 0 offset:200
	s_waitcnt vmcnt(3)
	buffer_store_dword v59, off, s[0:3], 0 offset:204
	s_waitcnt vmcnt(3)
	buffer_store_dword v60, v57, s[0:3], 0 offen
	s_waitcnt vmcnt(3)
	buffer_store_dword v61, v57, s[0:3], 0 offen offset:4
.LBB91_186:
	global_load_dword v0, v0, s[12:13] offset:96
	s_waitcnt vmcnt(0)
	v_add_u32_e32 v0, -1, v0
	v_cmp_eq_u32_e32 vcc, 24, v0
	s_cbranch_vccnz .LBB91_188
; %bb.187:
	v_lshlrev_b32_e32 v0, 3, v0
	buffer_load_dword v57, v0, s[0:3], 0 offen
	buffer_load_dword v58, v0, s[0:3], 0 offen offset:4
	buffer_load_dword v59, off, s[0:3], 0 offset:196
	buffer_load_dword v60, off, s[0:3], 0 offset:192
	s_waitcnt vmcnt(3)
	buffer_store_dword v57, off, s[0:3], 0 offset:192
	s_waitcnt vmcnt(3)
	buffer_store_dword v58, off, s[0:3], 0 offset:196
	s_waitcnt vmcnt(3)
	buffer_store_dword v59, v0, s[0:3], 0 offen offset:4
	s_waitcnt vmcnt(3)
	buffer_store_dword v60, v0, s[0:3], 0 offen
.LBB91_188:
	v_mov_b32_e32 v0, 0
	global_load_dword v57, v0, s[12:13] offset:92
	s_waitcnt vmcnt(0)
	v_add_u32_e32 v57, -1, v57
	v_cmp_eq_u32_e32 vcc, 23, v57
	s_cbranch_vccnz .LBB91_190
; %bb.189:
	v_lshlrev_b32_e32 v57, 3, v57
	buffer_load_dword v58, v57, s[0:3], 0 offen
	buffer_load_dword v59, v57, s[0:3], 0 offen offset:4
	buffer_load_dword v60, off, s[0:3], 0 offset:184
	buffer_load_dword v61, off, s[0:3], 0 offset:188
	s_waitcnt vmcnt(3)
	buffer_store_dword v58, off, s[0:3], 0 offset:184
	s_waitcnt vmcnt(3)
	buffer_store_dword v59, off, s[0:3], 0 offset:188
	s_waitcnt vmcnt(3)
	buffer_store_dword v60, v57, s[0:3], 0 offen
	s_waitcnt vmcnt(3)
	buffer_store_dword v61, v57, s[0:3], 0 offen offset:4
.LBB91_190:
	global_load_dword v0, v0, s[12:13] offset:88
	s_waitcnt vmcnt(0)
	v_add_u32_e32 v0, -1, v0
	v_cmp_eq_u32_e32 vcc, 22, v0
	s_cbranch_vccnz .LBB91_192
; %bb.191:
	v_lshlrev_b32_e32 v0, 3, v0
	buffer_load_dword v57, v0, s[0:3], 0 offen
	buffer_load_dword v58, v0, s[0:3], 0 offen offset:4
	buffer_load_dword v59, off, s[0:3], 0 offset:180
	buffer_load_dword v60, off, s[0:3], 0 offset:176
	s_waitcnt vmcnt(3)
	buffer_store_dword v57, off, s[0:3], 0 offset:176
	s_waitcnt vmcnt(3)
	buffer_store_dword v58, off, s[0:3], 0 offset:180
	s_waitcnt vmcnt(3)
	buffer_store_dword v59, v0, s[0:3], 0 offen offset:4
	s_waitcnt vmcnt(3)
	buffer_store_dword v60, v0, s[0:3], 0 offen
.LBB91_192:
	;; [unrolled: 41-line block ×12, first 2 shown]
	v_mov_b32_e32 v0, 0
	global_load_dword v57, v0, s[12:13] offset:4
	s_waitcnt vmcnt(0)
	v_add_u32_e32 v57, -1, v57
	v_cmp_eq_u32_e32 vcc, 1, v57
	s_cbranch_vccnz .LBB91_234
; %bb.233:
	v_lshlrev_b32_e32 v57, 3, v57
	buffer_load_dword v58, v57, s[0:3], 0 offen
	buffer_load_dword v59, v57, s[0:3], 0 offen offset:4
	buffer_load_dword v60, off, s[0:3], 0 offset:8
	buffer_load_dword v61, off, s[0:3], 0 offset:12
	s_waitcnt vmcnt(3)
	buffer_store_dword v58, off, s[0:3], 0 offset:8
	s_waitcnt vmcnt(3)
	buffer_store_dword v59, off, s[0:3], 0 offset:12
	s_waitcnt vmcnt(3)
	buffer_store_dword v60, v57, s[0:3], 0 offen
	s_waitcnt vmcnt(3)
	buffer_store_dword v61, v57, s[0:3], 0 offen offset:4
.LBB91_234:
	global_load_dword v0, v0, s[12:13]
	s_waitcnt vmcnt(0)
	v_add_u32_e32 v0, -1, v0
	v_cmp_eq_u32_e32 vcc, 0, v0
	s_cbranch_vccnz .LBB91_236
; %bb.235:
	v_lshlrev_b32_e32 v0, 3, v0
	buffer_load_dword v57, v0, s[0:3], 0 offen
	buffer_load_dword v58, v0, s[0:3], 0 offen offset:4
	buffer_load_dword v59, off, s[0:3], 0 offset:4
	buffer_load_dword v60, off, s[0:3], 0
	s_waitcnt vmcnt(3)
	buffer_store_dword v57, off, s[0:3], 0
	s_waitcnt vmcnt(3)
	buffer_store_dword v58, off, s[0:3], 0 offset:4
	s_waitcnt vmcnt(3)
	buffer_store_dword v59, v0, s[0:3], 0 offen offset:4
	s_waitcnt vmcnt(3)
	buffer_store_dword v60, v0, s[0:3], 0 offen
.LBB91_236:
	buffer_load_dword v57, off, s[0:3], 0
	buffer_load_dword v58, off, s[0:3], 0 offset:4
	s_waitcnt vmcnt(0)
	flat_store_dwordx2 v[1:2], v[57:58]
	buffer_load_dword v0, off, s[0:3], 0 offset:8
	s_nop 0
	buffer_load_dword v1, off, s[0:3], 0 offset:12
	s_waitcnt vmcnt(0)
	flat_store_dwordx2 v[3:4], v[0:1]
	buffer_load_dword v0, off, s[0:3], 0 offset:16
	s_nop 0
	;; [unrolled: 5-line block ×27, first 2 shown]
	buffer_load_dword v1, off, s[0:3], 0 offset:220
	s_waitcnt vmcnt(0)
	flat_store_dwordx2 v[55:56], v[0:1]
	s_endpgm
	.section	.rodata,"a",@progbits
	.p2align	6, 0x0
	.amdhsa_kernel _ZN9rocsolver6v33100L18getri_kernel_smallILi28E19rocblas_complex_numIfEPKPS3_EEvT1_iilPiilS8_bb
		.amdhsa_group_segment_fixed_size 452
		.amdhsa_private_segment_fixed_size 240
		.amdhsa_kernarg_size 60
		.amdhsa_user_sgpr_count 6
		.amdhsa_user_sgpr_private_segment_buffer 1
		.amdhsa_user_sgpr_dispatch_ptr 0
		.amdhsa_user_sgpr_queue_ptr 0
		.amdhsa_user_sgpr_kernarg_segment_ptr 1
		.amdhsa_user_sgpr_dispatch_id 0
		.amdhsa_user_sgpr_flat_scratch_init 0
		.amdhsa_user_sgpr_private_segment_size 0
		.amdhsa_uses_dynamic_stack 0
		.amdhsa_system_sgpr_private_segment_wavefront_offset 1
		.amdhsa_system_sgpr_workgroup_id_x 1
		.amdhsa_system_sgpr_workgroup_id_y 0
		.amdhsa_system_sgpr_workgroup_id_z 0
		.amdhsa_system_sgpr_workgroup_info 0
		.amdhsa_system_vgpr_workitem_id 0
		.amdhsa_next_free_vgpr 169
		.amdhsa_next_free_sgpr 21
		.amdhsa_reserve_vcc 1
		.amdhsa_reserve_flat_scratch 0
		.amdhsa_float_round_mode_32 0
		.amdhsa_float_round_mode_16_64 0
		.amdhsa_float_denorm_mode_32 3
		.amdhsa_float_denorm_mode_16_64 3
		.amdhsa_dx10_clamp 1
		.amdhsa_ieee_mode 1
		.amdhsa_fp16_overflow 0
		.amdhsa_exception_fp_ieee_invalid_op 0
		.amdhsa_exception_fp_denorm_src 0
		.amdhsa_exception_fp_ieee_div_zero 0
		.amdhsa_exception_fp_ieee_overflow 0
		.amdhsa_exception_fp_ieee_underflow 0
		.amdhsa_exception_fp_ieee_inexact 0
		.amdhsa_exception_int_div_zero 0
	.end_amdhsa_kernel
	.section	.text._ZN9rocsolver6v33100L18getri_kernel_smallILi28E19rocblas_complex_numIfEPKPS3_EEvT1_iilPiilS8_bb,"axG",@progbits,_ZN9rocsolver6v33100L18getri_kernel_smallILi28E19rocblas_complex_numIfEPKPS3_EEvT1_iilPiilS8_bb,comdat
.Lfunc_end91:
	.size	_ZN9rocsolver6v33100L18getri_kernel_smallILi28E19rocblas_complex_numIfEPKPS3_EEvT1_iilPiilS8_bb, .Lfunc_end91-_ZN9rocsolver6v33100L18getri_kernel_smallILi28E19rocblas_complex_numIfEPKPS3_EEvT1_iilPiilS8_bb
                                        ; -- End function
	.set _ZN9rocsolver6v33100L18getri_kernel_smallILi28E19rocblas_complex_numIfEPKPS3_EEvT1_iilPiilS8_bb.num_vgpr, 169
	.set _ZN9rocsolver6v33100L18getri_kernel_smallILi28E19rocblas_complex_numIfEPKPS3_EEvT1_iilPiilS8_bb.num_agpr, 0
	.set _ZN9rocsolver6v33100L18getri_kernel_smallILi28E19rocblas_complex_numIfEPKPS3_EEvT1_iilPiilS8_bb.numbered_sgpr, 21
	.set _ZN9rocsolver6v33100L18getri_kernel_smallILi28E19rocblas_complex_numIfEPKPS3_EEvT1_iilPiilS8_bb.num_named_barrier, 0
	.set _ZN9rocsolver6v33100L18getri_kernel_smallILi28E19rocblas_complex_numIfEPKPS3_EEvT1_iilPiilS8_bb.private_seg_size, 240
	.set _ZN9rocsolver6v33100L18getri_kernel_smallILi28E19rocblas_complex_numIfEPKPS3_EEvT1_iilPiilS8_bb.uses_vcc, 1
	.set _ZN9rocsolver6v33100L18getri_kernel_smallILi28E19rocblas_complex_numIfEPKPS3_EEvT1_iilPiilS8_bb.uses_flat_scratch, 0
	.set _ZN9rocsolver6v33100L18getri_kernel_smallILi28E19rocblas_complex_numIfEPKPS3_EEvT1_iilPiilS8_bb.has_dyn_sized_stack, 0
	.set _ZN9rocsolver6v33100L18getri_kernel_smallILi28E19rocblas_complex_numIfEPKPS3_EEvT1_iilPiilS8_bb.has_recursion, 0
	.set _ZN9rocsolver6v33100L18getri_kernel_smallILi28E19rocblas_complex_numIfEPKPS3_EEvT1_iilPiilS8_bb.has_indirect_call, 0
	.section	.AMDGPU.csdata,"",@progbits
; Kernel info:
; codeLenInByte = 36160
; TotalNumSgprs: 25
; NumVgprs: 169
; ScratchSize: 240
; MemoryBound: 0
; FloatMode: 240
; IeeeMode: 1
; LDSByteSize: 452 bytes/workgroup (compile time only)
; SGPRBlocks: 3
; VGPRBlocks: 42
; NumSGPRsForWavesPerEU: 25
; NumVGPRsForWavesPerEU: 169
; Occupancy: 1
; WaveLimiterHint : 1
; COMPUTE_PGM_RSRC2:SCRATCH_EN: 1
; COMPUTE_PGM_RSRC2:USER_SGPR: 6
; COMPUTE_PGM_RSRC2:TRAP_HANDLER: 0
; COMPUTE_PGM_RSRC2:TGID_X_EN: 1
; COMPUTE_PGM_RSRC2:TGID_Y_EN: 0
; COMPUTE_PGM_RSRC2:TGID_Z_EN: 0
; COMPUTE_PGM_RSRC2:TIDIG_COMP_CNT: 0
	.section	.text._ZN9rocsolver6v33100L18getri_kernel_smallILi29E19rocblas_complex_numIfEPKPS3_EEvT1_iilPiilS8_bb,"axG",@progbits,_ZN9rocsolver6v33100L18getri_kernel_smallILi29E19rocblas_complex_numIfEPKPS3_EEvT1_iilPiilS8_bb,comdat
	.globl	_ZN9rocsolver6v33100L18getri_kernel_smallILi29E19rocblas_complex_numIfEPKPS3_EEvT1_iilPiilS8_bb ; -- Begin function _ZN9rocsolver6v33100L18getri_kernel_smallILi29E19rocblas_complex_numIfEPKPS3_EEvT1_iilPiilS8_bb
	.p2align	8
	.type	_ZN9rocsolver6v33100L18getri_kernel_smallILi29E19rocblas_complex_numIfEPKPS3_EEvT1_iilPiilS8_bb,@function
_ZN9rocsolver6v33100L18getri_kernel_smallILi29E19rocblas_complex_numIfEPKPS3_EEvT1_iilPiilS8_bb: ; @_ZN9rocsolver6v33100L18getri_kernel_smallILi29E19rocblas_complex_numIfEPKPS3_EEvT1_iilPiilS8_bb
; %bb.0:
	s_add_u32 s0, s0, s7
	s_addc_u32 s1, s1, 0
	v_cmp_gt_u32_e32 vcc, 29, v0
	s_and_saveexec_b64 s[8:9], vcc
	s_cbranch_execz .LBB92_130
; %bb.1:
	s_load_dword s18, s[4:5], 0x38
	s_load_dwordx2 s[12:13], s[4:5], 0x0
	s_load_dwordx4 s[8:11], s[4:5], 0x28
	s_waitcnt lgkmcnt(0)
	s_bitcmp1_b32 s18, 8
	s_cselect_b64 s[14:15], -1, 0
	s_ashr_i32 s7, s6, 31
	s_lshl_b64 s[16:17], s[6:7], 3
	s_add_u32 s12, s12, s16
	s_addc_u32 s13, s13, s17
	s_load_dwordx2 s[16:17], s[12:13], 0x0
	s_bfe_u32 s12, s18, 0x10008
	s_cmp_eq_u32 s12, 0
                                        ; implicit-def: $sgpr12_sgpr13
	s_cbranch_scc1 .LBB92_3
; %bb.2:
	s_load_dword s12, s[4:5], 0x20
	s_load_dwordx2 s[18:19], s[4:5], 0x18
	s_mul_i32 s13, s8, s7
	s_mul_hi_u32 s20, s8, s6
	s_add_i32 s20, s20, s13
	s_mul_i32 s9, s9, s6
	s_add_i32 s9, s20, s9
	s_mul_i32 s8, s8, s6
	s_waitcnt lgkmcnt(0)
	s_ashr_i32 s13, s12, 31
	s_lshl_b64 s[8:9], s[8:9], 2
	s_add_u32 s18, s18, s8
	s_addc_u32 s19, s19, s9
	s_lshl_b64 s[8:9], s[12:13], 2
	s_add_u32 s12, s18, s8
	s_addc_u32 s13, s19, s9
.LBB92_3:
	s_load_dwordx2 s[8:9], s[4:5], 0x8
	s_load_dword s18, s[4:5], 0x38
	v_lshlrev_b32_e32 v61, 3, v0
	s_waitcnt lgkmcnt(0)
	s_ashr_i32 s5, s8, 31
	s_mov_b32 s4, s8
	s_lshl_b64 s[4:5], s[4:5], 3
	s_add_u32 s4, s16, s4
	s_addc_u32 s5, s17, s5
	v_mov_b32_e32 v2, s5
	v_add_co_u32_e32 v1, vcc, s4, v61
	v_addc_co_u32_e32 v2, vcc, 0, v2, vcc
	flat_load_dwordx2 v[5:6], v[1:2]
	s_mov_b32 s16, s9
	s_ashr_i32 s17, s9, 31
	s_lshl_b64 s[16:17], s[16:17], 3
	v_mov_b32_e32 v4, s17
	v_add_co_u32_e32 v3, vcc, s16, v1
	v_addc_co_u32_e32 v4, vcc, v2, v4, vcc
	s_add_i32 s8, s9, s9
	v_add_u32_e32 v9, s8, v0
	v_ashrrev_i32_e32 v10, 31, v9
	v_mov_b32_e32 v11, s5
	v_add_u32_e32 v12, s9, v9
	v_ashrrev_i32_e32 v13, 31, v12
	v_mov_b32_e32 v14, s5
	v_mov_b32_e32 v15, s5
	;; [unrolled: 1-line block ×25, first 2 shown]
	s_bitcmp0_b32 s18, 0
	s_waitcnt vmcnt(0) lgkmcnt(0)
	buffer_store_dword v6, off, s[0:3], 0 offset:4
	buffer_store_dword v5, off, s[0:3], 0
	flat_load_dwordx2 v[7:8], v[3:4]
	v_lshlrev_b64 v[5:6], 3, v[9:10]
	s_waitcnt vmcnt(0) lgkmcnt(0)
	buffer_store_dword v8, off, s[0:3], 0 offset:12
	buffer_store_dword v7, off, s[0:3], 0 offset:8
	v_add_co_u32_e32 v5, vcc, s4, v5
	v_addc_co_u32_e32 v6, vcc, v11, v6, vcc
	flat_load_dwordx2 v[10:11], v[5:6]
	v_lshlrev_b64 v[7:8], 3, v[12:13]
	s_waitcnt vmcnt(0) lgkmcnt(0)
	buffer_store_dword v11, off, s[0:3], 0 offset:20
	buffer_store_dword v10, off, s[0:3], 0 offset:16
	v_add_co_u32_e32 v7, vcc, s4, v7
	v_addc_co_u32_e32 v8, vcc, v14, v8, vcc
	flat_load_dwordx2 v[13:14], v[7:8]
	v_add_u32_e32 v11, s9, v12
	v_ashrrev_i32_e32 v12, 31, v11
	v_lshlrev_b64 v[9:10], 3, v[11:12]
	s_waitcnt vmcnt(0) lgkmcnt(0)
	buffer_store_dword v14, off, s[0:3], 0 offset:28
	buffer_store_dword v13, off, s[0:3], 0 offset:24
	v_add_co_u32_e32 v9, vcc, s4, v9
	v_addc_co_u32_e32 v10, vcc, v15, v10, vcc
	flat_load_dwordx2 v[13:14], v[9:10]
	v_add_u32_e32 v15, s9, v11
	v_ashrrev_i32_e32 v16, 31, v15
	v_lshlrev_b64 v[11:12], 3, v[15:16]
	v_add_u32_e32 v18, s9, v15
	v_add_co_u32_e32 v11, vcc, s4, v11
	v_addc_co_u32_e32 v12, vcc, v17, v12, vcc
	v_ashrrev_i32_e32 v19, 31, v18
	s_waitcnt vmcnt(0) lgkmcnt(0)
	buffer_store_dword v14, off, s[0:3], 0 offset:36
	buffer_store_dword v13, off, s[0:3], 0 offset:32
	flat_load_dwordx2 v[16:17], v[11:12]
	v_lshlrev_b64 v[13:14], 3, v[18:19]
	s_waitcnt vmcnt(0) lgkmcnt(0)
	buffer_store_dword v17, off, s[0:3], 0 offset:44
	buffer_store_dword v16, off, s[0:3], 0 offset:40
	v_add_co_u32_e32 v13, vcc, s4, v13
	v_addc_co_u32_e32 v14, vcc, v20, v14, vcc
	flat_load_dwordx2 v[19:20], v[13:14]
	v_add_u32_e32 v17, s9, v18
	v_ashrrev_i32_e32 v18, 31, v17
	v_lshlrev_b64 v[15:16], 3, v[17:18]
	s_waitcnt vmcnt(0) lgkmcnt(0)
	buffer_store_dword v20, off, s[0:3], 0 offset:52
	buffer_store_dword v19, off, s[0:3], 0 offset:48
	v_add_co_u32_e32 v15, vcc, s4, v15
	v_addc_co_u32_e32 v16, vcc, v21, v16, vcc
	flat_load_dwordx2 v[19:20], v[15:16]
	v_add_u32_e32 v21, s9, v17
	v_ashrrev_i32_e32 v22, 31, v21
	v_lshlrev_b64 v[17:18], 3, v[21:22]
	v_add_u32_e32 v24, s9, v21
	v_add_co_u32_e32 v17, vcc, s4, v17
	v_addc_co_u32_e32 v18, vcc, v23, v18, vcc
	v_ashrrev_i32_e32 v25, 31, v24
	s_waitcnt vmcnt(0) lgkmcnt(0)
	buffer_store_dword v20, off, s[0:3], 0 offset:60
	buffer_store_dword v19, off, s[0:3], 0 offset:56
	;; [unrolled: 27-line block ×7, first 2 shown]
	flat_load_dwordx2 v[52:53], v[47:48]
	v_lshlrev_b64 v[49:50], 3, v[54:55]
	s_waitcnt vmcnt(0) lgkmcnt(0)
	buffer_store_dword v53, off, s[0:3], 0 offset:188
	buffer_store_dword v52, off, s[0:3], 0 offset:184
	v_add_co_u32_e32 v49, vcc, s4, v49
	v_addc_co_u32_e32 v50, vcc, v56, v50, vcc
	flat_load_dwordx2 v[55:56], v[49:50]
	v_add_u32_e32 v53, s9, v54
	v_ashrrev_i32_e32 v54, 31, v53
	v_lshlrev_b64 v[51:52], 3, v[53:54]
	s_waitcnt vmcnt(0) lgkmcnt(0)
	buffer_store_dword v56, off, s[0:3], 0 offset:196
	buffer_store_dword v55, off, s[0:3], 0 offset:192
	v_add_co_u32_e32 v51, vcc, s4, v51
	v_addc_co_u32_e32 v52, vcc, v57, v52, vcc
	flat_load_dwordx2 v[55:56], v[51:52]
	v_add_u32_e32 v57, s9, v53
	v_ashrrev_i32_e32 v58, 31, v57
	v_lshlrev_b64 v[53:54], 3, v[57:58]
	v_add_u32_e32 v62, s9, v57
	v_add_co_u32_e32 v53, vcc, s4, v53
	v_addc_co_u32_e32 v54, vcc, v59, v54, vcc
	s_waitcnt vmcnt(0) lgkmcnt(0)
	buffer_store_dword v56, off, s[0:3], 0 offset:204
	buffer_store_dword v55, off, s[0:3], 0 offset:200
	flat_load_dwordx2 v[58:59], v[53:54]
	v_ashrrev_i32_e32 v63, 31, v62
	v_lshlrev_b64 v[55:56], 3, v[62:63]
	v_add_u32_e32 v57, s9, v62
	v_add_co_u32_e32 v55, vcc, s4, v55
	v_addc_co_u32_e32 v56, vcc, v60, v56, vcc
	s_waitcnt vmcnt(0) lgkmcnt(0)
	buffer_store_dword v59, off, s[0:3], 0 offset:212
	buffer_store_dword v58, off, s[0:3], 0 offset:208
	flat_load_dwordx2 v[59:60], v[55:56]
	v_ashrrev_i32_e32 v58, 31, v57
	v_lshlrev_b64 v[57:58], 3, v[57:58]
	v_mov_b32_e32 v63, s5
	v_add_co_u32_e32 v57, vcc, s4, v57
	v_addc_co_u32_e32 v58, vcc, v63, v58, vcc
	s_waitcnt vmcnt(0) lgkmcnt(0)
	buffer_store_dword v60, off, s[0:3], 0 offset:220
	buffer_store_dword v59, off, s[0:3], 0 offset:216
	flat_load_dwordx2 v[59:60], v[57:58]
	s_mov_b64 s[8:9], -1
	s_waitcnt vmcnt(0) lgkmcnt(0)
	buffer_store_dword v60, off, s[0:3], 0 offset:228
	buffer_store_dword v59, off, s[0:3], 0 offset:224
	s_cbranch_scc1 .LBB92_128
; %bb.4:
	v_cmp_eq_u32_e64 s[4:5], 0, v0
	s_and_saveexec_b64 s[8:9], s[4:5]
; %bb.5:
	v_mov_b32_e32 v59, 0
	ds_write_b32 v59, v59 offset:232
; %bb.6:
	s_or_b64 exec, exec, s[8:9]
	v_mov_b32_e32 v59, 0
	v_lshl_add_u32 v63, v0, 3, v59
	s_waitcnt lgkmcnt(0)
	; wave barrier
	buffer_load_dword v59, v63, s[0:3], 0 offen
	buffer_load_dword v60, v63, s[0:3], 0 offen offset:4
	s_waitcnt vmcnt(1)
	v_cmp_eq_f32_e32 vcc, 0, v59
	s_waitcnt vmcnt(0)
	v_cmp_eq_f32_e64 s[8:9], 0, v60
	s_and_b64 s[8:9], vcc, s[8:9]
	s_and_saveexec_b64 s[16:17], s[8:9]
	s_cbranch_execz .LBB92_10
; %bb.7:
	v_mov_b32_e32 v59, 0
	ds_read_b32 v62, v59 offset:232
	v_add_u32_e32 v60, 1, v0
	s_waitcnt lgkmcnt(0)
	v_readfirstlane_b32 s8, v62
	s_cmp_eq_u32 s8, 0
	s_cselect_b64 s[18:19], -1, 0
	v_cmp_gt_i32_e32 vcc, s8, v60
	s_or_b64 s[18:19], s[18:19], vcc
	s_and_b64 exec, exec, s[18:19]
	s_cbranch_execz .LBB92_10
; %bb.8:
	s_mov_b64 s[18:19], 0
	v_mov_b32_e32 v62, s8
.LBB92_9:                               ; =>This Inner Loop Header: Depth=1
	ds_cmpst_rtn_b32 v62, v59, v62, v60 offset:232
	s_waitcnt lgkmcnt(0)
	v_cmp_ne_u32_e32 vcc, 0, v62
	v_cmp_le_i32_e64 s[8:9], v62, v60
	s_and_b64 s[8:9], vcc, s[8:9]
	s_and_b64 s[8:9], exec, s[8:9]
	s_or_b64 s[18:19], s[8:9], s[18:19]
	s_andn2_b64 exec, exec, s[18:19]
	s_cbranch_execnz .LBB92_9
.LBB92_10:
	s_or_b64 exec, exec, s[16:17]
	v_mov_b32_e32 v60, 0
	; wave barrier
	ds_read_b32 v59, v60 offset:232
	s_and_saveexec_b64 s[8:9], s[4:5]
	s_cbranch_execz .LBB92_12
; %bb.11:
	s_lshl_b64 s[16:17], s[6:7], 2
	s_add_u32 s16, s10, s16
	s_addc_u32 s17, s11, s17
	s_waitcnt lgkmcnt(0)
	global_store_dword v60, v59, s[16:17]
.LBB92_12:
	s_or_b64 exec, exec, s[8:9]
	s_waitcnt lgkmcnt(0)
	v_cmp_ne_u32_e32 vcc, 0, v59
	s_mov_b64 s[8:9], 0
	s_cbranch_vccnz .LBB92_128
; %bb.13:
	buffer_load_dword v60, v63, s[0:3], 0 offen
	buffer_load_dword v62, v63, s[0:3], 0 offen offset:4
                                        ; implicit-def: $vgpr65
                                        ; implicit-def: $vgpr64
                                        ; implicit-def: $vgpr59
	s_waitcnt vmcnt(0)
	v_cmp_ngt_f32_e64 s[8:9], |v60|, |v62|
	s_and_saveexec_b64 s[16:17], s[8:9]
	s_xor_b64 s[8:9], exec, s[16:17]
	s_cbranch_execz .LBB92_15
; %bb.14:
	v_div_scale_f32 v59, s[16:17], v62, v62, v60
	v_div_scale_f32 v64, vcc, v60, v62, v60
	v_rcp_f32_e32 v65, v59
	v_fma_f32 v66, -v59, v65, 1.0
	v_fmac_f32_e32 v65, v66, v65
	v_mul_f32_e32 v66, v64, v65
	v_fma_f32 v67, -v59, v66, v64
	v_fmac_f32_e32 v66, v67, v65
	v_fma_f32 v59, -v59, v66, v64
	v_div_fmas_f32 v59, v59, v65, v66
	v_div_fixup_f32 v59, v59, v62, v60
	v_fmac_f32_e32 v62, v60, v59
	v_div_scale_f32 v60, s[16:17], v62, v62, 1.0
	v_div_scale_f32 v64, vcc, 1.0, v62, 1.0
	v_rcp_f32_e32 v65, v60
	v_fma_f32 v66, -v60, v65, 1.0
	v_fmac_f32_e32 v65, v66, v65
	v_mul_f32_e32 v66, v64, v65
	v_fma_f32 v67, -v60, v66, v64
	v_fmac_f32_e32 v66, v67, v65
	v_fma_f32 v60, -v60, v66, v64
	v_div_fmas_f32 v60, v60, v65, v66
	v_div_fixup_f32 v60, v60, v62, 1.0
	v_mul_f32_e32 v65, v59, v60
	v_xor_b32_e32 v64, 0x80000000, v60
	v_xor_b32_e32 v59, 0x80000000, v65
                                        ; implicit-def: $vgpr60
                                        ; implicit-def: $vgpr62
.LBB92_15:
	s_andn2_saveexec_b64 s[8:9], s[8:9]
	s_cbranch_execz .LBB92_17
; %bb.16:
	v_div_scale_f32 v59, s[16:17], v60, v60, v62
	v_div_scale_f32 v64, vcc, v62, v60, v62
	v_rcp_f32_e32 v65, v59
	v_fma_f32 v66, -v59, v65, 1.0
	v_fmac_f32_e32 v65, v66, v65
	v_mul_f32_e32 v66, v64, v65
	v_fma_f32 v67, -v59, v66, v64
	v_fmac_f32_e32 v66, v67, v65
	v_fma_f32 v59, -v59, v66, v64
	v_div_fmas_f32 v59, v59, v65, v66
	v_div_fixup_f32 v64, v59, v60, v62
	v_fmac_f32_e32 v60, v62, v64
	v_div_scale_f32 v59, s[16:17], v60, v60, 1.0
	v_div_scale_f32 v62, vcc, 1.0, v60, 1.0
	v_rcp_f32_e32 v65, v59
	v_fma_f32 v66, -v59, v65, 1.0
	v_fmac_f32_e32 v65, v66, v65
	v_mul_f32_e32 v66, v62, v65
	v_fma_f32 v67, -v59, v66, v62
	v_fmac_f32_e32 v66, v67, v65
	v_fma_f32 v59, -v59, v66, v62
	v_div_fmas_f32 v59, v59, v65, v66
	v_div_fixup_f32 v65, v59, v60, 1.0
	v_xor_b32_e32 v59, 0x80000000, v65
	v_mul_f32_e64 v64, v64, -v65
.LBB92_17:
	s_or_b64 exec, exec, s[8:9]
	buffer_store_dword v65, v63, s[0:3], 0 offen
	buffer_store_dword v64, v63, s[0:3], 0 offen offset:4
	buffer_load_dword v66, off, s[0:3], 0 offset:12
	s_nop 0
	buffer_load_dword v65, off, s[0:3], 0 offset:8
	v_xor_b32_e32 v60, 0x80000000, v64
	v_add_u32_e32 v62, 0xf0, v61
	s_waitcnt vmcnt(0)
	ds_write2_b64 v61, v[59:60], v[65:66] offset1:30
	s_waitcnt lgkmcnt(0)
	; wave barrier
	s_and_saveexec_b64 s[8:9], s[4:5]
	s_cbranch_execz .LBB92_19
; %bb.18:
	buffer_load_dword v66, v63, s[0:3], 0 offen offset:4
	buffer_load_dword v67, v63, s[0:3], 0 offen
	ds_read_b64 v[59:60], v62
	v_mov_b32_e32 v64, 0
	ds_read_b64 v[64:65], v64 offset:8
	s_waitcnt vmcnt(1) lgkmcnt(1)
	v_mul_f32_e32 v68, v60, v66
	v_mul_f32_e32 v66, v59, v66
	s_waitcnt vmcnt(0)
	v_fmac_f32_e32 v66, v60, v67
	v_fma_f32 v59, v59, v67, -v68
	v_add_f32_e32 v60, 0, v66
	v_add_f32_e32 v59, 0, v59
	s_waitcnt lgkmcnt(0)
	v_mul_f32_e32 v66, v60, v65
	v_mul_f32_e32 v65, v59, v65
	v_fma_f32 v59, v59, v64, -v66
	v_fmac_f32_e32 v65, v60, v64
	buffer_store_dword v59, off, s[0:3], 0 offset:8
	buffer_store_dword v65, off, s[0:3], 0 offset:12
.LBB92_19:
	s_or_b64 exec, exec, s[8:9]
	; wave barrier
	buffer_load_dword v59, off, s[0:3], 0 offset:16
	buffer_load_dword v60, off, s[0:3], 0 offset:20
	v_cmp_gt_u32_e32 vcc, 2, v0
	s_waitcnt vmcnt(0)
	ds_write_b64 v62, v[59:60]
	s_waitcnt lgkmcnt(0)
	; wave barrier
	s_and_saveexec_b64 s[8:9], vcc
	s_cbranch_execz .LBB92_23
; %bb.20:
	buffer_load_dword v64, v63, s[0:3], 0 offen offset:4
	buffer_load_dword v65, v63, s[0:3], 0 offen
	ds_read_b64 v[59:60], v62
	s_waitcnt vmcnt(1) lgkmcnt(0)
	v_mul_f32_e32 v63, v60, v64
	v_mul_f32_e32 v64, v59, v64
	s_waitcnt vmcnt(0)
	v_fma_f32 v59, v59, v65, -v63
	v_fmac_f32_e32 v64, v60, v65
	v_add_f32_e32 v60, 0, v59
	v_add_f32_e32 v59, 0, v64
	s_and_saveexec_b64 s[16:17], s[4:5]
	s_cbranch_execz .LBB92_22
; %bb.21:
	buffer_load_dword v65, off, s[0:3], 0 offset:12
	buffer_load_dword v66, off, s[0:3], 0 offset:8
	v_mov_b32_e32 v63, 0
	ds_read_b64 v[63:64], v63 offset:248
	s_waitcnt vmcnt(1) lgkmcnt(0)
	v_mul_f32_e32 v67, v63, v65
	v_mul_f32_e32 v65, v64, v65
	s_waitcnt vmcnt(0)
	v_fmac_f32_e32 v67, v64, v66
	v_fma_f32 v63, v63, v66, -v65
	v_add_f32_e32 v59, v59, v67
	v_add_f32_e32 v60, v60, v63
.LBB92_22:
	s_or_b64 exec, exec, s[16:17]
	v_mov_b32_e32 v63, 0
	ds_read_b64 v[63:64], v63 offset:16
	s_waitcnt lgkmcnt(0)
	v_mul_f32_e32 v65, v59, v64
	v_mul_f32_e32 v64, v60, v64
	v_fma_f32 v60, v60, v63, -v65
	v_fmac_f32_e32 v64, v59, v63
	buffer_store_dword v60, off, s[0:3], 0 offset:16
	buffer_store_dword v64, off, s[0:3], 0 offset:20
.LBB92_23:
	s_or_b64 exec, exec, s[8:9]
	; wave barrier
	buffer_load_dword v59, off, s[0:3], 0 offset:24
	buffer_load_dword v60, off, s[0:3], 0 offset:28
	v_cmp_gt_u32_e32 vcc, 3, v0
	s_waitcnt vmcnt(0)
	ds_write_b64 v62, v[59:60]
	v_add_u32_e32 v59, -1, v0
	s_waitcnt lgkmcnt(0)
	; wave barrier
	s_and_saveexec_b64 s[4:5], vcc
	s_cbranch_execz .LBB92_27
; %bb.24:
	v_add_u32_e32 v63, -1, v0
	v_add_u32_e32 v64, 0xf0, v61
	v_mov_b32_e32 v65, v61
	v_mov_b32_e32 v60, 0
	s_mov_b64 s[8:9], 0
	v_mov_b32_e32 v66, 0
.LBB92_25:                              ; =>This Inner Loop Header: Depth=1
	buffer_load_dword v69, v65, s[0:3], 0 offen offset:4
	buffer_load_dword v70, v65, s[0:3], 0 offen
	ds_read_b64 v[67:68], v64
	v_add_u32_e32 v63, 1, v63
	v_cmp_lt_u32_e32 vcc, 1, v63
	v_add_u32_e32 v64, 8, v64
	v_add_u32_e32 v65, 8, v65
	s_or_b64 s[8:9], vcc, s[8:9]
	s_waitcnt vmcnt(1) lgkmcnt(0)
	v_mul_f32_e32 v71, v68, v69
	v_mul_f32_e32 v69, v67, v69
	s_waitcnt vmcnt(0)
	v_fma_f32 v67, v67, v70, -v71
	v_fmac_f32_e32 v69, v68, v70
	v_add_f32_e32 v66, v66, v67
	v_add_f32_e32 v60, v60, v69
	s_andn2_b64 exec, exec, s[8:9]
	s_cbranch_execnz .LBB92_25
; %bb.26:
	s_or_b64 exec, exec, s[8:9]
	v_mov_b32_e32 v63, 0
	ds_read_b64 v[63:64], v63 offset:24
	s_waitcnt lgkmcnt(0)
	v_mul_f32_e32 v65, v60, v64
	v_mul_f32_e32 v64, v66, v64
	v_fma_f32 v65, v66, v63, -v65
	v_fmac_f32_e32 v64, v60, v63
	buffer_store_dword v65, off, s[0:3], 0 offset:24
	buffer_store_dword v64, off, s[0:3], 0 offset:28
.LBB92_27:
	s_or_b64 exec, exec, s[4:5]
	; wave barrier
	buffer_load_dword v63, off, s[0:3], 0 offset:32
	buffer_load_dword v64, off, s[0:3], 0 offset:36
	v_cmp_gt_u32_e32 vcc, 4, v0
	s_waitcnt vmcnt(0)
	ds_write_b64 v62, v[63:64]
	s_waitcnt lgkmcnt(0)
	; wave barrier
	s_and_saveexec_b64 s[4:5], vcc
	s_cbranch_execz .LBB92_31
; %bb.28:
	v_add_u32_e32 v63, -1, v0
	v_add_u32_e32 v64, 0xf0, v61
	v_mov_b32_e32 v65, v61
	v_mov_b32_e32 v60, 0
	s_mov_b64 s[8:9], 0
	v_mov_b32_e32 v66, 0
.LBB92_29:                              ; =>This Inner Loop Header: Depth=1
	buffer_load_dword v69, v65, s[0:3], 0 offen offset:4
	buffer_load_dword v70, v65, s[0:3], 0 offen
	ds_read_b64 v[67:68], v64
	v_add_u32_e32 v63, 1, v63
	v_cmp_lt_u32_e32 vcc, 2, v63
	v_add_u32_e32 v64, 8, v64
	v_add_u32_e32 v65, 8, v65
	s_or_b64 s[8:9], vcc, s[8:9]
	s_waitcnt vmcnt(1) lgkmcnt(0)
	v_mul_f32_e32 v71, v68, v69
	v_mul_f32_e32 v69, v67, v69
	s_waitcnt vmcnt(0)
	v_fma_f32 v67, v67, v70, -v71
	v_fmac_f32_e32 v69, v68, v70
	v_add_f32_e32 v66, v66, v67
	v_add_f32_e32 v60, v60, v69
	s_andn2_b64 exec, exec, s[8:9]
	s_cbranch_execnz .LBB92_29
; %bb.30:
	s_or_b64 exec, exec, s[8:9]
	v_mov_b32_e32 v63, 0
	ds_read_b64 v[63:64], v63 offset:32
	s_waitcnt lgkmcnt(0)
	v_mul_f32_e32 v65, v60, v64
	v_mul_f32_e32 v64, v66, v64
	v_fma_f32 v65, v66, v63, -v65
	v_fmac_f32_e32 v64, v60, v63
	buffer_store_dword v65, off, s[0:3], 0 offset:32
	buffer_store_dword v64, off, s[0:3], 0 offset:36
.LBB92_31:
	s_or_b64 exec, exec, s[4:5]
	; wave barrier
	buffer_load_dword v63, off, s[0:3], 0 offset:40
	buffer_load_dword v64, off, s[0:3], 0 offset:44
	v_cmp_gt_u32_e32 vcc, 5, v0
	s_waitcnt vmcnt(0)
	ds_write_b64 v62, v[63:64]
	;; [unrolled: 49-line block ×19, first 2 shown]
	s_waitcnt lgkmcnt(0)
	; wave barrier
	s_and_saveexec_b64 s[4:5], vcc
	s_cbranch_execz .LBB92_103
; %bb.100:
	v_add_u32_e32 v63, -1, v0
	v_add_u32_e32 v64, 0xf0, v61
	v_mov_b32_e32 v65, v61
	v_mov_b32_e32 v60, 0
	s_mov_b64 s[8:9], 0
	v_mov_b32_e32 v66, 0
.LBB92_101:                             ; =>This Inner Loop Header: Depth=1
	buffer_load_dword v69, v65, s[0:3], 0 offen offset:4
	buffer_load_dword v70, v65, s[0:3], 0 offen
	ds_read_b64 v[67:68], v64
	v_add_u32_e32 v63, 1, v63
	v_cmp_lt_u32_e32 vcc, 20, v63
	v_add_u32_e32 v64, 8, v64
	v_add_u32_e32 v65, 8, v65
	s_or_b64 s[8:9], vcc, s[8:9]
	s_waitcnt vmcnt(1) lgkmcnt(0)
	v_mul_f32_e32 v71, v68, v69
	v_mul_f32_e32 v69, v67, v69
	s_waitcnt vmcnt(0)
	v_fma_f32 v67, v67, v70, -v71
	v_fmac_f32_e32 v69, v68, v70
	v_add_f32_e32 v66, v66, v67
	v_add_f32_e32 v60, v60, v69
	s_andn2_b64 exec, exec, s[8:9]
	s_cbranch_execnz .LBB92_101
; %bb.102:
	s_or_b64 exec, exec, s[8:9]
	v_mov_b32_e32 v63, 0
	ds_read_b64 v[63:64], v63 offset:176
	s_waitcnt lgkmcnt(0)
	v_mul_f32_e32 v65, v60, v64
	v_mul_f32_e32 v64, v66, v64
	v_fma_f32 v65, v66, v63, -v65
	v_fmac_f32_e32 v64, v60, v63
	buffer_store_dword v65, off, s[0:3], 0 offset:176
	buffer_store_dword v64, off, s[0:3], 0 offset:180
.LBB92_103:
	s_or_b64 exec, exec, s[4:5]
	; wave barrier
	buffer_load_dword v63, off, s[0:3], 0 offset:184
	buffer_load_dword v64, off, s[0:3], 0 offset:188
	v_cmp_gt_u32_e32 vcc, 23, v0
	s_waitcnt vmcnt(0)
	ds_write_b64 v62, v[63:64]
	s_waitcnt lgkmcnt(0)
	; wave barrier
	s_and_saveexec_b64 s[4:5], vcc
	s_cbranch_execz .LBB92_107
; %bb.104:
	v_add_u32_e32 v63, -1, v0
	v_add_u32_e32 v64, 0xf0, v61
	v_mov_b32_e32 v65, v61
	v_mov_b32_e32 v60, 0
	s_mov_b64 s[8:9], 0
	v_mov_b32_e32 v66, 0
.LBB92_105:                             ; =>This Inner Loop Header: Depth=1
	buffer_load_dword v69, v65, s[0:3], 0 offen offset:4
	buffer_load_dword v70, v65, s[0:3], 0 offen
	ds_read_b64 v[67:68], v64
	v_add_u32_e32 v63, 1, v63
	v_cmp_lt_u32_e32 vcc, 21, v63
	v_add_u32_e32 v64, 8, v64
	v_add_u32_e32 v65, 8, v65
	s_or_b64 s[8:9], vcc, s[8:9]
	s_waitcnt vmcnt(1) lgkmcnt(0)
	v_mul_f32_e32 v71, v68, v69
	v_mul_f32_e32 v69, v67, v69
	s_waitcnt vmcnt(0)
	v_fma_f32 v67, v67, v70, -v71
	v_fmac_f32_e32 v69, v68, v70
	v_add_f32_e32 v66, v66, v67
	v_add_f32_e32 v60, v60, v69
	s_andn2_b64 exec, exec, s[8:9]
	s_cbranch_execnz .LBB92_105
; %bb.106:
	s_or_b64 exec, exec, s[8:9]
	v_mov_b32_e32 v63, 0
	ds_read_b64 v[63:64], v63 offset:184
	s_waitcnt lgkmcnt(0)
	v_mul_f32_e32 v65, v60, v64
	v_mul_f32_e32 v64, v66, v64
	v_fma_f32 v65, v66, v63, -v65
	v_fmac_f32_e32 v64, v60, v63
	buffer_store_dword v65, off, s[0:3], 0 offset:184
	buffer_store_dword v64, off, s[0:3], 0 offset:188
.LBB92_107:
	s_or_b64 exec, exec, s[4:5]
	; wave barrier
	buffer_load_dword v63, off, s[0:3], 0 offset:192
	buffer_load_dword v64, off, s[0:3], 0 offset:196
	v_cmp_gt_u32_e32 vcc, 24, v0
	s_waitcnt vmcnt(0)
	ds_write_b64 v62, v[63:64]
	;; [unrolled: 49-line block ×5, first 2 shown]
	s_waitcnt lgkmcnt(0)
	; wave barrier
	s_and_saveexec_b64 s[4:5], vcc
	s_cbranch_execz .LBB92_123
; %bb.120:
	v_add_u32_e32 v63, -1, v0
	v_add_u32_e32 v64, 0xf0, v61
	v_mov_b32_e32 v65, v61
	v_mov_b32_e32 v60, 0
	s_mov_b64 s[8:9], 0
	v_mov_b32_e32 v66, 0
.LBB92_121:                             ; =>This Inner Loop Header: Depth=1
	buffer_load_dword v69, v65, s[0:3], 0 offen offset:4
	buffer_load_dword v70, v65, s[0:3], 0 offen
	ds_read_b64 v[67:68], v64
	v_add_u32_e32 v63, 1, v63
	v_cmp_lt_u32_e32 vcc, 25, v63
	v_add_u32_e32 v64, 8, v64
	v_add_u32_e32 v65, 8, v65
	s_or_b64 s[8:9], vcc, s[8:9]
	s_waitcnt vmcnt(1) lgkmcnt(0)
	v_mul_f32_e32 v71, v68, v69
	v_mul_f32_e32 v69, v67, v69
	s_waitcnt vmcnt(0)
	v_fma_f32 v67, v67, v70, -v71
	v_fmac_f32_e32 v69, v68, v70
	v_add_f32_e32 v66, v66, v67
	v_add_f32_e32 v60, v60, v69
	s_andn2_b64 exec, exec, s[8:9]
	s_cbranch_execnz .LBB92_121
; %bb.122:
	s_or_b64 exec, exec, s[8:9]
	v_mov_b32_e32 v63, 0
	ds_read_b64 v[63:64], v63 offset:216
	s_waitcnt lgkmcnt(0)
	v_mul_f32_e32 v65, v60, v64
	v_mul_f32_e32 v64, v66, v64
	v_fma_f32 v65, v66, v63, -v65
	v_fmac_f32_e32 v64, v60, v63
	buffer_store_dword v65, off, s[0:3], 0 offset:216
	buffer_store_dword v64, off, s[0:3], 0 offset:220
.LBB92_123:
	s_or_b64 exec, exec, s[4:5]
	; wave barrier
	buffer_load_dword v63, off, s[0:3], 0 offset:224
	buffer_load_dword v64, off, s[0:3], 0 offset:228
	v_cmp_ne_u32_e32 vcc, 28, v0
	s_waitcnt vmcnt(0)
	ds_write_b64 v62, v[63:64]
	s_waitcnt lgkmcnt(0)
	; wave barrier
	s_and_saveexec_b64 s[4:5], vcc
	s_cbranch_execz .LBB92_127
; %bb.124:
	v_add_u32_e32 v62, 0xf0, v61
	v_mov_b32_e32 v60, 0
	s_mov_b64 s[8:9], 0
	v_mov_b32_e32 v63, 0
.LBB92_125:                             ; =>This Inner Loop Header: Depth=1
	buffer_load_dword v66, v61, s[0:3], 0 offen offset:4
	buffer_load_dword v67, v61, s[0:3], 0 offen
	ds_read_b64 v[64:65], v62
	v_add_u32_e32 v59, 1, v59
	v_cmp_lt_u32_e32 vcc, 26, v59
	v_add_u32_e32 v62, 8, v62
	v_add_u32_e32 v61, 8, v61
	s_or_b64 s[8:9], vcc, s[8:9]
	s_waitcnt vmcnt(1) lgkmcnt(0)
	v_mul_f32_e32 v68, v65, v66
	v_mul_f32_e32 v66, v64, v66
	s_waitcnt vmcnt(0)
	v_fma_f32 v64, v64, v67, -v68
	v_fmac_f32_e32 v66, v65, v67
	v_add_f32_e32 v63, v63, v64
	v_add_f32_e32 v60, v60, v66
	s_andn2_b64 exec, exec, s[8:9]
	s_cbranch_execnz .LBB92_125
; %bb.126:
	s_or_b64 exec, exec, s[8:9]
	v_mov_b32_e32 v59, 0
	ds_read_b64 v[61:62], v59 offset:224
	s_waitcnt lgkmcnt(0)
	v_mul_f32_e32 v59, v60, v62
	v_mul_f32_e32 v62, v63, v62
	v_fma_f32 v59, v63, v61, -v59
	v_fmac_f32_e32 v62, v60, v61
	buffer_store_dword v59, off, s[0:3], 0 offset:224
	buffer_store_dword v62, off, s[0:3], 0 offset:228
.LBB92_127:
	s_or_b64 exec, exec, s[4:5]
	s_mov_b64 s[8:9], -1
	; wave barrier
.LBB92_128:
	s_and_b64 vcc, exec, s[8:9]
	s_cbranch_vccz .LBB92_130
; %bb.129:
	s_lshl_b64 s[4:5], s[6:7], 2
	s_add_u32 s4, s10, s4
	s_addc_u32 s5, s11, s5
	v_mov_b32_e32 v59, 0
	global_load_dword v59, v59, s[4:5]
	s_waitcnt vmcnt(0)
	v_cmp_ne_u32_e32 vcc, 0, v59
	s_cbranch_vccz .LBB92_131
.LBB92_130:
	s_endpgm
.LBB92_131:
	v_mov_b32_e32 v59, 0xf0
	v_lshl_add_u32 v59, v0, 3, v59
	v_cmp_eq_u32_e32 vcc, 28, v0
	s_and_saveexec_b64 s[4:5], vcc
	s_cbranch_execz .LBB92_133
; %bb.132:
	buffer_load_dword v60, off, s[0:3], 0 offset:216
	buffer_load_dword v61, off, s[0:3], 0 offset:220
	v_mov_b32_e32 v62, 0
	buffer_store_dword v62, off, s[0:3], 0 offset:216
	buffer_store_dword v62, off, s[0:3], 0 offset:220
	s_waitcnt vmcnt(2)
	ds_write_b64 v59, v[60:61]
.LBB92_133:
	s_or_b64 exec, exec, s[4:5]
	s_waitcnt lgkmcnt(0)
	; wave barrier
	buffer_load_dword v63, off, s[0:3], 0 offset:228
	buffer_load_dword v64, off, s[0:3], 0 offset:224
	;; [unrolled: 1-line block ×4, first 2 shown]
	v_mov_b32_e32 v60, 0
	ds_read_b64 v[61:62], v60 offset:464
	v_cmp_lt_u32_e32 vcc, 26, v0
	s_waitcnt vmcnt(3) lgkmcnt(0)
	v_mul_f32_e32 v67, v61, v63
	v_mul_f32_e32 v63, v62, v63
	s_waitcnt vmcnt(2)
	v_fma_f32 v61, v61, v64, -v63
	v_fmac_f32_e32 v67, v62, v64
	v_add_f32_e32 v61, 0, v61
	v_add_f32_e32 v62, 0, v67
	s_waitcnt vmcnt(1)
	v_sub_f32_e32 v61, v65, v61
	s_waitcnt vmcnt(0)
	v_sub_f32_e32 v62, v66, v62
	buffer_store_dword v61, off, s[0:3], 0 offset:216
	buffer_store_dword v62, off, s[0:3], 0 offset:220
	s_and_saveexec_b64 s[4:5], vcc
	s_cbranch_execz .LBB92_135
; %bb.134:
	buffer_load_dword v61, off, s[0:3], 0 offset:208
	buffer_load_dword v62, off, s[0:3], 0 offset:212
	s_waitcnt vmcnt(0)
	ds_write_b64 v59, v[61:62]
	buffer_store_dword v60, off, s[0:3], 0 offset:208
	buffer_store_dword v60, off, s[0:3], 0 offset:212
.LBB92_135:
	s_or_b64 exec, exec, s[4:5]
	s_waitcnt lgkmcnt(0)
	; wave barrier
	buffer_load_dword v64, off, s[0:3], 0 offset:220
	buffer_load_dword v65, off, s[0:3], 0 offset:228
	;; [unrolled: 1-line block ×6, first 2 shown]
	ds_read2_b64 v[60:63], v60 offset0:57 offset1:58
	v_cmp_lt_u32_e32 vcc, 25, v0
	s_waitcnt vmcnt(5) lgkmcnt(0)
	v_mul_f32_e32 v70, v60, v64
	v_mul_f32_e32 v64, v61, v64
	s_waitcnt vmcnt(4)
	v_mul_f32_e32 v71, v62, v65
	v_mul_f32_e32 v65, v63, v65
	s_waitcnt vmcnt(3)
	v_fma_f32 v60, v60, v66, -v64
	v_fmac_f32_e32 v70, v61, v66
	s_waitcnt vmcnt(2)
	v_fma_f32 v61, v62, v67, -v65
	v_add_f32_e32 v60, 0, v60
	v_fmac_f32_e32 v71, v63, v67
	v_add_f32_e32 v62, 0, v70
	v_add_f32_e32 v60, v60, v61
	;; [unrolled: 1-line block ×3, first 2 shown]
	s_waitcnt vmcnt(1)
	v_sub_f32_e32 v60, v68, v60
	s_waitcnt vmcnt(0)
	v_sub_f32_e32 v61, v69, v62
	buffer_store_dword v60, off, s[0:3], 0 offset:208
	buffer_store_dword v61, off, s[0:3], 0 offset:212
	s_and_saveexec_b64 s[4:5], vcc
	s_cbranch_execz .LBB92_137
; %bb.136:
	buffer_load_dword v60, off, s[0:3], 0 offset:200
	buffer_load_dword v61, off, s[0:3], 0 offset:204
	v_mov_b32_e32 v62, 0
	buffer_store_dword v62, off, s[0:3], 0 offset:200
	buffer_store_dword v62, off, s[0:3], 0 offset:204
	s_waitcnt vmcnt(2)
	ds_write_b64 v59, v[60:61]
.LBB92_137:
	s_or_b64 exec, exec, s[4:5]
	s_waitcnt lgkmcnt(0)
	; wave barrier
	buffer_load_dword v67, off, s[0:3], 0 offset:212
	buffer_load_dword v68, off, s[0:3], 0 offset:220
	;; [unrolled: 1-line block ×8, first 2 shown]
	v_mov_b32_e32 v60, 0
	ds_read_b128 v[61:64], v60 offset:448
	ds_read_b64 v[65:66], v60 offset:464
	v_cmp_lt_u32_e32 vcc, 24, v0
	s_waitcnt vmcnt(7) lgkmcnt(1)
	v_mul_f32_e32 v75, v61, v67
	v_mul_f32_e32 v67, v62, v67
	s_waitcnt vmcnt(6)
	v_mul_f32_e32 v76, v63, v68
	v_mul_f32_e32 v68, v64, v68
	s_waitcnt vmcnt(4)
	v_fma_f32 v61, v61, v70, -v67
	s_waitcnt lgkmcnt(0)
	v_mul_f32_e32 v77, v65, v69
	v_mul_f32_e32 v69, v66, v69
	v_fmac_f32_e32 v75, v62, v70
	s_waitcnt vmcnt(3)
	v_fma_f32 v62, v63, v71, -v68
	v_add_f32_e32 v61, 0, v61
	v_fmac_f32_e32 v76, v64, v71
	s_waitcnt vmcnt(2)
	v_fma_f32 v63, v65, v72, -v69
	v_add_f32_e32 v64, 0, v75
	v_add_f32_e32 v61, v61, v62
	v_fmac_f32_e32 v77, v66, v72
	v_add_f32_e32 v64, v64, v76
	v_add_f32_e32 v61, v61, v63
	;; [unrolled: 1-line block ×3, first 2 shown]
	s_waitcnt vmcnt(1)
	v_sub_f32_e32 v61, v73, v61
	s_waitcnt vmcnt(0)
	v_sub_f32_e32 v62, v74, v62
	buffer_store_dword v61, off, s[0:3], 0 offset:200
	buffer_store_dword v62, off, s[0:3], 0 offset:204
	s_and_saveexec_b64 s[4:5], vcc
	s_cbranch_execz .LBB92_139
; %bb.138:
	buffer_load_dword v61, off, s[0:3], 0 offset:192
	buffer_load_dword v62, off, s[0:3], 0 offset:196
	s_waitcnt vmcnt(0)
	ds_write_b64 v59, v[61:62]
	buffer_store_dword v60, off, s[0:3], 0 offset:192
	buffer_store_dword v60, off, s[0:3], 0 offset:196
.LBB92_139:
	s_or_b64 exec, exec, s[4:5]
	s_waitcnt lgkmcnt(0)
	; wave barrier
	buffer_load_dword v69, off, s[0:3], 0 offset:204
	buffer_load_dword v70, off, s[0:3], 0 offset:212
	;; [unrolled: 1-line block ×10, first 2 shown]
	ds_read2_b64 v[61:64], v60 offset0:55 offset1:56
	ds_read2_b64 v[65:68], v60 offset0:57 offset1:58
	v_cmp_lt_u32_e32 vcc, 23, v0
	s_waitcnt vmcnt(9) lgkmcnt(1)
	v_mul_f32_e32 v60, v61, v69
	v_mul_f32_e32 v69, v62, v69
	s_waitcnt vmcnt(8)
	v_mul_f32_e32 v79, v63, v70
	v_mul_f32_e32 v70, v64, v70
	s_waitcnt vmcnt(5)
	v_fma_f32 v61, v61, v73, -v69
	s_waitcnt lgkmcnt(0)
	v_mul_f32_e32 v80, v65, v71
	v_mul_f32_e32 v71, v66, v71
	v_fmac_f32_e32 v60, v62, v73
	s_waitcnt vmcnt(4)
	v_fma_f32 v62, v63, v74, -v70
	v_add_f32_e32 v61, 0, v61
	v_mul_f32_e32 v81, v67, v72
	v_mul_f32_e32 v72, v68, v72
	v_fmac_f32_e32 v79, v64, v74
	s_waitcnt vmcnt(3)
	v_fma_f32 v63, v65, v75, -v71
	v_add_f32_e32 v60, 0, v60
	v_add_f32_e32 v61, v61, v62
	v_fmac_f32_e32 v80, v66, v75
	s_waitcnt vmcnt(2)
	v_fma_f32 v64, v67, v76, -v72
	v_add_f32_e32 v60, v60, v79
	v_add_f32_e32 v61, v61, v63
	v_fmac_f32_e32 v81, v68, v76
	v_add_f32_e32 v60, v60, v80
	v_add_f32_e32 v61, v61, v64
	;; [unrolled: 1-line block ×3, first 2 shown]
	s_waitcnt vmcnt(1)
	v_sub_f32_e32 v61, v77, v61
	s_waitcnt vmcnt(0)
	v_sub_f32_e32 v60, v78, v60
	buffer_store_dword v61, off, s[0:3], 0 offset:192
	buffer_store_dword v60, off, s[0:3], 0 offset:196
	s_and_saveexec_b64 s[4:5], vcc
	s_cbranch_execz .LBB92_141
; %bb.140:
	buffer_load_dword v60, off, s[0:3], 0 offset:184
	buffer_load_dword v61, off, s[0:3], 0 offset:188
	v_mov_b32_e32 v62, 0
	buffer_store_dword v62, off, s[0:3], 0 offset:184
	buffer_store_dword v62, off, s[0:3], 0 offset:188
	s_waitcnt vmcnt(2)
	ds_write_b64 v59, v[60:61]
.LBB92_141:
	s_or_b64 exec, exec, s[4:5]
	s_waitcnt lgkmcnt(0)
	; wave barrier
	buffer_load_dword v71, off, s[0:3], 0 offset:196
	buffer_load_dword v72, off, s[0:3], 0 offset:204
	;; [unrolled: 1-line block ×12, first 2 shown]
	v_mov_b32_e32 v60, 0
	ds_read_b128 v[61:64], v60 offset:432
	ds_read_b128 v[65:68], v60 offset:448
	ds_read_b64 v[69:70], v60 offset:464
	v_cmp_lt_u32_e32 vcc, 22, v0
	s_waitcnt vmcnt(11) lgkmcnt(2)
	v_mul_f32_e32 v83, v61, v71
	v_mul_f32_e32 v71, v62, v71
	s_waitcnt vmcnt(10)
	v_mul_f32_e32 v84, v63, v72
	v_mul_f32_e32 v72, v64, v72
	s_waitcnt vmcnt(9) lgkmcnt(1)
	v_mul_f32_e32 v85, v65, v73
	s_waitcnt vmcnt(6)
	v_fma_f32 v61, v61, v76, -v71
	v_mul_f32_e32 v73, v66, v73
	v_fmac_f32_e32 v83, v62, v76
	s_waitcnt vmcnt(5)
	v_fma_f32 v62, v63, v77, -v72
	v_add_f32_e32 v61, 0, v61
	v_mul_f32_e32 v86, v67, v74
	v_mul_f32_e32 v74, v68, v74
	v_fmac_f32_e32 v84, v64, v77
	s_waitcnt vmcnt(4)
	v_fmac_f32_e32 v85, v66, v78
	v_fma_f32 v63, v65, v78, -v73
	v_add_f32_e32 v66, 0, v83
	v_add_f32_e32 v61, v61, v62
	s_waitcnt lgkmcnt(0)
	v_mul_f32_e32 v87, v69, v75
	v_mul_f32_e32 v75, v70, v75
	s_waitcnt vmcnt(3)
	v_fma_f32 v64, v67, v79, -v74
	v_add_f32_e32 v66, v66, v84
	v_add_f32_e32 v61, v61, v63
	v_fmac_f32_e32 v86, v68, v79
	s_waitcnt vmcnt(2)
	v_fma_f32 v65, v69, v80, -v75
	v_add_f32_e32 v62, v66, v85
	v_add_f32_e32 v61, v61, v64
	v_fmac_f32_e32 v87, v70, v80
	v_add_f32_e32 v62, v62, v86
	v_add_f32_e32 v61, v61, v65
	;; [unrolled: 1-line block ×3, first 2 shown]
	s_waitcnt vmcnt(1)
	v_sub_f32_e32 v61, v81, v61
	s_waitcnt vmcnt(0)
	v_sub_f32_e32 v62, v82, v62
	buffer_store_dword v61, off, s[0:3], 0 offset:184
	buffer_store_dword v62, off, s[0:3], 0 offset:188
	s_and_saveexec_b64 s[4:5], vcc
	s_cbranch_execz .LBB92_143
; %bb.142:
	buffer_load_dword v61, off, s[0:3], 0 offset:176
	buffer_load_dword v62, off, s[0:3], 0 offset:180
	s_waitcnt vmcnt(0)
	ds_write_b64 v59, v[61:62]
	buffer_store_dword v60, off, s[0:3], 0 offset:176
	buffer_store_dword v60, off, s[0:3], 0 offset:180
.LBB92_143:
	s_or_b64 exec, exec, s[4:5]
	s_waitcnt lgkmcnt(0)
	; wave barrier
	buffer_load_dword v73, off, s[0:3], 0 offset:188
	buffer_load_dword v74, off, s[0:3], 0 offset:196
	;; [unrolled: 1-line block ×14, first 2 shown]
	ds_read2_b64 v[61:64], v60 offset0:53 offset1:54
	ds_read2_b64 v[65:68], v60 offset0:55 offset1:56
	;; [unrolled: 1-line block ×3, first 2 shown]
	v_cmp_lt_u32_e32 vcc, 21, v0
	s_waitcnt vmcnt(13) lgkmcnt(2)
	v_mul_f32_e32 v60, v61, v73
	v_mul_f32_e32 v73, v62, v73
	s_waitcnt vmcnt(12)
	v_mul_f32_e32 v87, v63, v74
	v_mul_f32_e32 v74, v64, v74
	s_waitcnt vmcnt(11) lgkmcnt(1)
	v_mul_f32_e32 v88, v65, v75
	v_mul_f32_e32 v75, v66, v75
	s_waitcnt vmcnt(7)
	v_fma_f32 v61, v61, v79, -v73
	v_fmac_f32_e32 v60, v62, v79
	s_waitcnt vmcnt(6)
	v_fma_f32 v62, v63, v80, -v74
	v_add_f32_e32 v61, 0, v61
	v_mul_f32_e32 v89, v67, v76
	v_mul_f32_e32 v76, v68, v76
	v_fmac_f32_e32 v87, v64, v80
	s_waitcnt vmcnt(5)
	v_fma_f32 v63, v65, v81, -v75
	v_add_f32_e32 v60, 0, v60
	v_add_f32_e32 v61, v61, v62
	s_waitcnt lgkmcnt(0)
	v_mul_f32_e32 v90, v69, v77
	v_mul_f32_e32 v77, v70, v77
	v_fmac_f32_e32 v88, v66, v81
	s_waitcnt vmcnt(4)
	v_fma_f32 v64, v67, v82, -v76
	v_add_f32_e32 v60, v60, v87
	v_add_f32_e32 v61, v61, v63
	v_mul_f32_e32 v91, v71, v78
	v_mul_f32_e32 v78, v72, v78
	v_fmac_f32_e32 v89, v68, v82
	s_waitcnt vmcnt(3)
	v_fma_f32 v65, v69, v83, -v77
	v_add_f32_e32 v60, v60, v88
	v_add_f32_e32 v61, v61, v64
	v_fmac_f32_e32 v90, v70, v83
	s_waitcnt vmcnt(2)
	v_fma_f32 v66, v71, v84, -v78
	v_add_f32_e32 v60, v60, v89
	v_add_f32_e32 v61, v61, v65
	v_fmac_f32_e32 v91, v72, v84
	v_add_f32_e32 v60, v60, v90
	v_add_f32_e32 v61, v61, v66
	;; [unrolled: 1-line block ×3, first 2 shown]
	s_waitcnt vmcnt(1)
	v_sub_f32_e32 v61, v85, v61
	s_waitcnt vmcnt(0)
	v_sub_f32_e32 v60, v86, v60
	buffer_store_dword v61, off, s[0:3], 0 offset:176
	buffer_store_dword v60, off, s[0:3], 0 offset:180
	s_and_saveexec_b64 s[4:5], vcc
	s_cbranch_execz .LBB92_145
; %bb.144:
	buffer_load_dword v60, off, s[0:3], 0 offset:168
	buffer_load_dword v61, off, s[0:3], 0 offset:172
	v_mov_b32_e32 v62, 0
	buffer_store_dword v62, off, s[0:3], 0 offset:168
	buffer_store_dword v62, off, s[0:3], 0 offset:172
	s_waitcnt vmcnt(2)
	ds_write_b64 v59, v[60:61]
.LBB92_145:
	s_or_b64 exec, exec, s[4:5]
	s_waitcnt lgkmcnt(0)
	; wave barrier
	buffer_load_dword v75, off, s[0:3], 0 offset:180
	buffer_load_dword v76, off, s[0:3], 0 offset:188
	;; [unrolled: 1-line block ×16, first 2 shown]
	v_mov_b32_e32 v60, 0
	ds_read_b128 v[61:64], v60 offset:416
	ds_read_b128 v[65:68], v60 offset:432
	;; [unrolled: 1-line block ×3, first 2 shown]
	ds_read_b64 v[73:74], v60 offset:464
	v_cmp_lt_u32_e32 vcc, 20, v0
	s_waitcnt vmcnt(15) lgkmcnt(3)
	v_mul_f32_e32 v91, v61, v75
	v_mul_f32_e32 v75, v62, v75
	s_waitcnt vmcnt(14)
	v_mul_f32_e32 v92, v63, v76
	v_mul_f32_e32 v76, v64, v76
	s_waitcnt vmcnt(13) lgkmcnt(2)
	v_mul_f32_e32 v93, v65, v77
	s_waitcnt vmcnt(12)
	v_mul_f32_e32 v94, v67, v78
	v_mul_f32_e32 v77, v66, v77
	s_waitcnt vmcnt(8)
	v_fma_f32 v61, v61, v82, -v75
	v_fmac_f32_e32 v91, v62, v82
	s_waitcnt vmcnt(7)
	v_fma_f32 v62, v63, v83, -v76
	v_add_f32_e32 v61, 0, v61
	v_mul_f32_e32 v78, v68, v78
	v_fmac_f32_e32 v92, v64, v83
	s_waitcnt vmcnt(5)
	v_fmac_f32_e32 v94, v68, v85
	v_fma_f32 v63, v65, v84, -v77
	v_add_f32_e32 v68, 0, v91
	v_add_f32_e32 v61, v61, v62
	s_waitcnt lgkmcnt(1)
	v_mul_f32_e32 v95, v69, v79
	v_mul_f32_e32 v79, v70, v79
	v_fmac_f32_e32 v93, v66, v84
	v_fma_f32 v64, v67, v85, -v78
	v_add_f32_e32 v68, v68, v92
	v_add_f32_e32 v61, v61, v63
	v_mul_f32_e32 v96, v71, v80
	v_mul_f32_e32 v80, v72, v80
	s_waitcnt vmcnt(4)
	v_fma_f32 v65, v69, v86, -v79
	v_add_f32_e32 v62, v68, v93
	v_add_f32_e32 v61, v61, v64
	s_waitcnt lgkmcnt(0)
	v_mul_f32_e32 v97, v73, v81
	v_mul_f32_e32 v81, v74, v81
	v_fmac_f32_e32 v95, v70, v86
	s_waitcnt vmcnt(3)
	v_fma_f32 v66, v71, v87, -v80
	v_add_f32_e32 v62, v62, v94
	v_add_f32_e32 v61, v61, v65
	v_fmac_f32_e32 v96, v72, v87
	s_waitcnt vmcnt(2)
	v_fma_f32 v67, v73, v88, -v81
	v_add_f32_e32 v62, v62, v95
	v_add_f32_e32 v61, v61, v66
	v_fmac_f32_e32 v97, v74, v88
	v_add_f32_e32 v62, v62, v96
	v_add_f32_e32 v61, v61, v67
	;; [unrolled: 1-line block ×3, first 2 shown]
	s_waitcnt vmcnt(1)
	v_sub_f32_e32 v61, v89, v61
	s_waitcnt vmcnt(0)
	v_sub_f32_e32 v62, v90, v62
	buffer_store_dword v61, off, s[0:3], 0 offset:168
	buffer_store_dword v62, off, s[0:3], 0 offset:172
	s_and_saveexec_b64 s[4:5], vcc
	s_cbranch_execz .LBB92_147
; %bb.146:
	buffer_load_dword v61, off, s[0:3], 0 offset:160
	buffer_load_dword v62, off, s[0:3], 0 offset:164
	s_waitcnt vmcnt(0)
	ds_write_b64 v59, v[61:62]
	buffer_store_dword v60, off, s[0:3], 0 offset:160
	buffer_store_dword v60, off, s[0:3], 0 offset:164
.LBB92_147:
	s_or_b64 exec, exec, s[4:5]
	s_waitcnt lgkmcnt(0)
	; wave barrier
	buffer_load_dword v77, off, s[0:3], 0 offset:172
	buffer_load_dword v78, off, s[0:3], 0 offset:180
	;; [unrolled: 1-line block ×18, first 2 shown]
	ds_read2_b64 v[61:64], v60 offset0:51 offset1:52
	ds_read2_b64 v[65:68], v60 offset0:53 offset1:54
	;; [unrolled: 1-line block ×4, first 2 shown]
	v_cmp_lt_u32_e32 vcc, 19, v0
	s_waitcnt vmcnt(17) lgkmcnt(3)
	v_mul_f32_e32 v60, v61, v77
	v_mul_f32_e32 v77, v62, v77
	s_waitcnt vmcnt(16)
	v_mul_f32_e32 v95, v63, v78
	v_mul_f32_e32 v78, v64, v78
	s_waitcnt vmcnt(15) lgkmcnt(2)
	v_mul_f32_e32 v96, v65, v79
	v_mul_f32_e32 v79, v66, v79
	s_waitcnt vmcnt(14)
	v_mul_f32_e32 v97, v67, v80
	v_mul_f32_e32 v80, v68, v80
	s_waitcnt vmcnt(9)
	v_fma_f32 v61, v61, v85, -v77
	v_fmac_f32_e32 v60, v62, v85
	s_waitcnt vmcnt(8)
	v_fma_f32 v62, v63, v86, -v78
	v_add_f32_e32 v61, 0, v61
	v_fmac_f32_e32 v95, v64, v86
	s_waitcnt vmcnt(7)
	v_fma_f32 v63, v65, v87, -v79
	v_add_f32_e32 v60, 0, v60
	v_add_f32_e32 v61, v61, v62
	s_waitcnt lgkmcnt(1)
	v_mul_f32_e32 v98, v69, v81
	v_mul_f32_e32 v81, v70, v81
	v_fmac_f32_e32 v96, v66, v87
	s_waitcnt vmcnt(6)
	v_fma_f32 v64, v67, v88, -v80
	v_add_f32_e32 v60, v60, v95
	v_add_f32_e32 v61, v61, v63
	v_mul_f32_e32 v99, v71, v82
	v_mul_f32_e32 v82, v72, v82
	v_fmac_f32_e32 v97, v68, v88
	s_waitcnt vmcnt(5)
	v_fma_f32 v65, v69, v89, -v81
	v_add_f32_e32 v60, v60, v96
	v_add_f32_e32 v61, v61, v64
	s_waitcnt lgkmcnt(0)
	v_mul_f32_e32 v100, v73, v83
	v_mul_f32_e32 v83, v74, v83
	v_fmac_f32_e32 v98, v70, v89
	s_waitcnt vmcnt(4)
	v_fma_f32 v66, v71, v90, -v82
	v_add_f32_e32 v60, v60, v97
	v_add_f32_e32 v61, v61, v65
	v_mul_f32_e32 v101, v75, v84
	v_mul_f32_e32 v84, v76, v84
	v_fmac_f32_e32 v99, v72, v90
	s_waitcnt vmcnt(3)
	v_fma_f32 v67, v73, v91, -v83
	v_add_f32_e32 v60, v60, v98
	v_add_f32_e32 v61, v61, v66
	v_fmac_f32_e32 v100, v74, v91
	s_waitcnt vmcnt(2)
	v_fma_f32 v68, v75, v92, -v84
	v_add_f32_e32 v60, v60, v99
	v_add_f32_e32 v61, v61, v67
	v_fmac_f32_e32 v101, v76, v92
	v_add_f32_e32 v60, v60, v100
	v_add_f32_e32 v61, v61, v68
	;; [unrolled: 1-line block ×3, first 2 shown]
	s_waitcnt vmcnt(1)
	v_sub_f32_e32 v61, v93, v61
	s_waitcnt vmcnt(0)
	v_sub_f32_e32 v60, v94, v60
	buffer_store_dword v61, off, s[0:3], 0 offset:160
	buffer_store_dword v60, off, s[0:3], 0 offset:164
	s_and_saveexec_b64 s[4:5], vcc
	s_cbranch_execz .LBB92_149
; %bb.148:
	buffer_load_dword v60, off, s[0:3], 0 offset:152
	buffer_load_dword v61, off, s[0:3], 0 offset:156
	v_mov_b32_e32 v62, 0
	buffer_store_dword v62, off, s[0:3], 0 offset:152
	buffer_store_dword v62, off, s[0:3], 0 offset:156
	s_waitcnt vmcnt(2)
	ds_write_b64 v59, v[60:61]
.LBB92_149:
	s_or_b64 exec, exec, s[4:5]
	s_waitcnt lgkmcnt(0)
	; wave barrier
	buffer_load_dword v79, off, s[0:3], 0 offset:164
	buffer_load_dword v80, off, s[0:3], 0 offset:172
	;; [unrolled: 1-line block ×20, first 2 shown]
	v_mov_b32_e32 v60, 0
	ds_read_b128 v[61:64], v60 offset:400
	ds_read_b128 v[65:68], v60 offset:416
	;; [unrolled: 1-line block ×4, first 2 shown]
	ds_read_b64 v[77:78], v60 offset:464
	v_cmp_lt_u32_e32 vcc, 18, v0
	s_waitcnt vmcnt(19) lgkmcnt(4)
	v_mul_f32_e32 v99, v61, v79
	v_mul_f32_e32 v79, v62, v79
	s_waitcnt vmcnt(18)
	v_mul_f32_e32 v100, v63, v80
	v_mul_f32_e32 v80, v64, v80
	s_waitcnt vmcnt(17) lgkmcnt(3)
	v_mul_f32_e32 v101, v65, v81
	s_waitcnt vmcnt(15) lgkmcnt(2)
	v_mul_f32_e32 v103, v69, v83
	v_mul_f32_e32 v81, v66, v81
	;; [unrolled: 1-line block ×4, first 2 shown]
	s_waitcnt vmcnt(10)
	v_fma_f32 v61, v61, v88, -v79
	v_fmac_f32_e32 v99, v62, v88
	s_waitcnt vmcnt(9)
	v_fma_f32 v62, v63, v89, -v80
	v_add_f32_e32 v61, 0, v61
	v_mul_f32_e32 v83, v70, v83
	v_fmac_f32_e32 v100, v64, v89
	s_waitcnt vmcnt(6)
	v_fmac_f32_e32 v103, v70, v92
	v_fma_f32 v63, v65, v90, -v81
	v_add_f32_e32 v70, 0, v99
	v_add_f32_e32 v61, v61, v62
	v_fmac_f32_e32 v101, v66, v90
	v_fma_f32 v64, v67, v91, -v82
	v_add_f32_e32 v70, v70, v100
	v_add_f32_e32 v61, v61, v63
	v_mul_f32_e32 v104, v71, v84
	v_mul_f32_e32 v84, v72, v84
	v_fmac_f32_e32 v102, v68, v91
	v_fma_f32 v65, v69, v92, -v83
	v_add_f32_e32 v62, v70, v101
	v_add_f32_e32 v61, v61, v64
	s_waitcnt lgkmcnt(1)
	v_mul_f32_e32 v105, v73, v85
	v_mul_f32_e32 v85, v74, v85
	s_waitcnt vmcnt(5)
	v_fma_f32 v66, v71, v93, -v84
	v_add_f32_e32 v62, v62, v102
	v_add_f32_e32 v61, v61, v65
	v_mul_f32_e32 v106, v75, v86
	v_mul_f32_e32 v86, v76, v86
	v_fmac_f32_e32 v104, v72, v93
	s_waitcnt vmcnt(4)
	v_fma_f32 v67, v73, v94, -v85
	v_add_f32_e32 v62, v62, v103
	v_add_f32_e32 v61, v61, v66
	s_waitcnt lgkmcnt(0)
	v_mul_f32_e32 v107, v77, v87
	v_mul_f32_e32 v87, v78, v87
	v_fmac_f32_e32 v105, v74, v94
	s_waitcnt vmcnt(3)
	v_fma_f32 v68, v75, v95, -v86
	v_add_f32_e32 v62, v62, v104
	v_add_f32_e32 v61, v61, v67
	v_fmac_f32_e32 v106, v76, v95
	s_waitcnt vmcnt(2)
	v_fma_f32 v69, v77, v96, -v87
	v_add_f32_e32 v62, v62, v105
	v_add_f32_e32 v61, v61, v68
	v_fmac_f32_e32 v107, v78, v96
	v_add_f32_e32 v62, v62, v106
	v_add_f32_e32 v61, v61, v69
	;; [unrolled: 1-line block ×3, first 2 shown]
	s_waitcnt vmcnt(1)
	v_sub_f32_e32 v61, v97, v61
	s_waitcnt vmcnt(0)
	v_sub_f32_e32 v62, v98, v62
	buffer_store_dword v61, off, s[0:3], 0 offset:152
	buffer_store_dword v62, off, s[0:3], 0 offset:156
	s_and_saveexec_b64 s[4:5], vcc
	s_cbranch_execz .LBB92_151
; %bb.150:
	buffer_load_dword v61, off, s[0:3], 0 offset:144
	buffer_load_dword v62, off, s[0:3], 0 offset:148
	s_waitcnt vmcnt(0)
	ds_write_b64 v59, v[61:62]
	buffer_store_dword v60, off, s[0:3], 0 offset:144
	buffer_store_dword v60, off, s[0:3], 0 offset:148
.LBB92_151:
	s_or_b64 exec, exec, s[4:5]
	s_waitcnt lgkmcnt(0)
	; wave barrier
	buffer_load_dword v81, off, s[0:3], 0 offset:156
	buffer_load_dword v82, off, s[0:3], 0 offset:164
	;; [unrolled: 1-line block ×22, first 2 shown]
	ds_read2_b64 v[61:64], v60 offset0:49 offset1:50
	ds_read2_b64 v[65:68], v60 offset0:51 offset1:52
	;; [unrolled: 1-line block ×5, first 2 shown]
	v_cmp_lt_u32_e32 vcc, 17, v0
	s_waitcnt vmcnt(21) lgkmcnt(4)
	v_mul_f32_e32 v60, v61, v81
	v_mul_f32_e32 v81, v62, v81
	s_waitcnt vmcnt(20)
	v_mul_f32_e32 v103, v63, v82
	v_mul_f32_e32 v82, v64, v82
	s_waitcnt vmcnt(19) lgkmcnt(3)
	v_mul_f32_e32 v104, v65, v83
	v_mul_f32_e32 v83, v66, v83
	s_waitcnt vmcnt(18)
	v_mul_f32_e32 v105, v67, v84
	v_mul_f32_e32 v84, v68, v84
	s_waitcnt vmcnt(17) lgkmcnt(2)
	v_mul_f32_e32 v106, v69, v85
	v_mul_f32_e32 v85, v70, v85
	s_waitcnt vmcnt(11)
	v_fma_f32 v61, v61, v91, -v81
	v_fmac_f32_e32 v60, v62, v91
	s_waitcnt vmcnt(10)
	v_fma_f32 v62, v63, v92, -v82
	v_add_f32_e32 v61, 0, v61
	v_fmac_f32_e32 v103, v64, v92
	s_waitcnt vmcnt(9)
	v_fma_f32 v63, v65, v93, -v83
	v_add_f32_e32 v60, 0, v60
	v_add_f32_e32 v61, v61, v62
	v_fmac_f32_e32 v104, v66, v93
	s_waitcnt vmcnt(8)
	v_fma_f32 v64, v67, v94, -v84
	v_add_f32_e32 v60, v60, v103
	v_add_f32_e32 v61, v61, v63
	v_mul_f32_e32 v107, v71, v86
	v_mul_f32_e32 v86, v72, v86
	v_fmac_f32_e32 v105, v68, v94
	s_waitcnt vmcnt(7)
	v_fma_f32 v65, v69, v95, -v85
	v_add_f32_e32 v60, v60, v104
	v_add_f32_e32 v61, v61, v64
	s_waitcnt lgkmcnt(1)
	v_mul_f32_e32 v108, v73, v87
	v_mul_f32_e32 v87, v74, v87
	v_fmac_f32_e32 v106, v70, v95
	s_waitcnt vmcnt(6)
	v_fma_f32 v66, v71, v96, -v86
	v_add_f32_e32 v60, v60, v105
	v_add_f32_e32 v61, v61, v65
	v_mul_f32_e32 v109, v75, v88
	v_mul_f32_e32 v88, v76, v88
	v_fmac_f32_e32 v107, v72, v96
	s_waitcnt vmcnt(5)
	v_fma_f32 v67, v73, v97, -v87
	v_add_f32_e32 v60, v60, v106
	v_add_f32_e32 v61, v61, v66
	s_waitcnt lgkmcnt(0)
	v_mul_f32_e32 v110, v77, v89
	v_mul_f32_e32 v89, v78, v89
	v_fmac_f32_e32 v108, v74, v97
	s_waitcnt vmcnt(4)
	v_fma_f32 v68, v75, v98, -v88
	v_add_f32_e32 v60, v60, v107
	v_add_f32_e32 v61, v61, v67
	v_mul_f32_e32 v111, v79, v90
	v_mul_f32_e32 v90, v80, v90
	v_fmac_f32_e32 v109, v76, v98
	s_waitcnt vmcnt(3)
	v_fma_f32 v69, v77, v99, -v89
	v_add_f32_e32 v60, v60, v108
	v_add_f32_e32 v61, v61, v68
	v_fmac_f32_e32 v110, v78, v99
	s_waitcnt vmcnt(2)
	v_fma_f32 v70, v79, v100, -v90
	v_add_f32_e32 v60, v60, v109
	v_add_f32_e32 v61, v61, v69
	v_fmac_f32_e32 v111, v80, v100
	v_add_f32_e32 v60, v60, v110
	v_add_f32_e32 v61, v61, v70
	;; [unrolled: 1-line block ×3, first 2 shown]
	s_waitcnt vmcnt(1)
	v_sub_f32_e32 v61, v101, v61
	s_waitcnt vmcnt(0)
	v_sub_f32_e32 v60, v102, v60
	buffer_store_dword v61, off, s[0:3], 0 offset:144
	buffer_store_dword v60, off, s[0:3], 0 offset:148
	s_and_saveexec_b64 s[4:5], vcc
	s_cbranch_execz .LBB92_153
; %bb.152:
	buffer_load_dword v60, off, s[0:3], 0 offset:136
	buffer_load_dword v61, off, s[0:3], 0 offset:140
	v_mov_b32_e32 v62, 0
	buffer_store_dword v62, off, s[0:3], 0 offset:136
	buffer_store_dword v62, off, s[0:3], 0 offset:140
	s_waitcnt vmcnt(2)
	ds_write_b64 v59, v[60:61]
.LBB92_153:
	s_or_b64 exec, exec, s[4:5]
	s_waitcnt lgkmcnt(0)
	; wave barrier
	buffer_load_dword v83, off, s[0:3], 0 offset:148
	buffer_load_dword v84, off, s[0:3], 0 offset:156
	;; [unrolled: 1-line block ×24, first 2 shown]
	v_mov_b32_e32 v60, 0
	ds_read_b128 v[61:64], v60 offset:384
	ds_read_b128 v[65:68], v60 offset:400
	;; [unrolled: 1-line block ×5, first 2 shown]
	ds_read_b64 v[81:82], v60 offset:464
	v_cmp_lt_u32_e32 vcc, 16, v0
	s_waitcnt vmcnt(23) lgkmcnt(5)
	v_mul_f32_e32 v107, v61, v83
	v_mul_f32_e32 v83, v62, v83
	s_waitcnt vmcnt(22)
	v_mul_f32_e32 v108, v63, v84
	v_mul_f32_e32 v84, v64, v84
	s_waitcnt vmcnt(21) lgkmcnt(4)
	v_mul_f32_e32 v109, v65, v85
	v_mul_f32_e32 v85, v66, v85
	s_waitcnt vmcnt(20)
	v_mul_f32_e32 v110, v67, v86
	s_waitcnt vmcnt(19) lgkmcnt(3)
	v_mul_f32_e32 v111, v69, v87
	v_mul_f32_e32 v86, v68, v86
	;; [unrolled: 1-line block ×3, first 2 shown]
	s_waitcnt vmcnt(18)
	v_mul_f32_e32 v112, v71, v88
	s_waitcnt vmcnt(12)
	v_fma_f32 v61, v61, v94, -v83
	v_fmac_f32_e32 v107, v62, v94
	s_waitcnt vmcnt(11)
	v_fma_f32 v62, v63, v95, -v84
	v_add_f32_e32 v61, 0, v61
	s_waitcnt vmcnt(10)
	v_fma_f32 v63, v65, v96, -v85
	v_add_f32_e32 v61, v61, v62
	v_fmac_f32_e32 v108, v64, v95
	s_waitcnt vmcnt(8)
	v_fmac_f32_e32 v111, v70, v98
	v_fma_f32 v64, v67, v97, -v86
	v_add_f32_e32 v70, 0, v107
	v_add_f32_e32 v61, v61, v63
	v_mul_f32_e32 v88, v72, v88
	v_fmac_f32_e32 v109, v66, v96
	v_fma_f32 v65, v69, v98, -v87
	v_add_f32_e32 v70, v70, v108
	v_add_f32_e32 v61, v61, v64
	s_waitcnt lgkmcnt(2)
	v_mul_f32_e32 v113, v73, v89
	v_mul_f32_e32 v89, v74, v89
	v_fmac_f32_e32 v110, v68, v97
	s_waitcnt vmcnt(7)
	v_fma_f32 v66, v71, v99, -v88
	v_add_f32_e32 v62, v70, v109
	v_add_f32_e32 v61, v61, v65
	v_mul_f32_e32 v114, v75, v90
	v_mul_f32_e32 v90, v76, v90
	s_waitcnt vmcnt(6)
	v_fma_f32 v67, v73, v100, -v89
	v_add_f32_e32 v62, v62, v110
	v_add_f32_e32 v61, v61, v66
	s_waitcnt lgkmcnt(1)
	v_mul_f32_e32 v115, v77, v91
	v_mul_f32_e32 v91, v78, v91
	v_fmac_f32_e32 v112, v72, v99
	s_waitcnt vmcnt(5)
	v_fma_f32 v68, v75, v101, -v90
	v_add_f32_e32 v62, v62, v111
	v_add_f32_e32 v61, v61, v67
	v_fmac_f32_e32 v113, v74, v100
	s_waitcnt vmcnt(4)
	v_fma_f32 v69, v77, v102, -v91
	v_add_f32_e32 v62, v62, v112
	v_add_f32_e32 v61, v61, v68
	v_mul_f32_e32 v63, v80, v92
	v_fmac_f32_e32 v114, v76, v101
	v_add_f32_e32 v62, v62, v113
	v_add_f32_e32 v61, v61, v69
	s_waitcnt vmcnt(3)
	v_fma_f32 v63, v79, v103, -v63
	v_mul_f32_e32 v116, v79, v92
	v_fmac_f32_e32 v115, v78, v102
	v_add_f32_e32 v62, v62, v114
	v_add_f32_e32 v61, v61, v63
	s_waitcnt lgkmcnt(0)
	v_mul_f32_e32 v63, v82, v93
	v_mul_f32_e32 v117, v81, v93
	v_fmac_f32_e32 v116, v80, v103
	v_add_f32_e32 v62, v62, v115
	s_waitcnt vmcnt(2)
	v_fma_f32 v63, v81, v104, -v63
	v_fmac_f32_e32 v117, v82, v104
	v_add_f32_e32 v62, v62, v116
	v_add_f32_e32 v61, v61, v63
	;; [unrolled: 1-line block ×3, first 2 shown]
	s_waitcnt vmcnt(1)
	v_sub_f32_e32 v61, v105, v61
	s_waitcnt vmcnt(0)
	v_sub_f32_e32 v62, v106, v62
	buffer_store_dword v61, off, s[0:3], 0 offset:136
	buffer_store_dword v62, off, s[0:3], 0 offset:140
	s_and_saveexec_b64 s[4:5], vcc
	s_cbranch_execz .LBB92_155
; %bb.154:
	buffer_load_dword v61, off, s[0:3], 0 offset:128
	buffer_load_dword v62, off, s[0:3], 0 offset:132
	s_waitcnt vmcnt(0)
	ds_write_b64 v59, v[61:62]
	buffer_store_dword v60, off, s[0:3], 0 offset:128
	buffer_store_dword v60, off, s[0:3], 0 offset:132
.LBB92_155:
	s_or_b64 exec, exec, s[4:5]
	s_waitcnt lgkmcnt(0)
	; wave barrier
	buffer_load_dword v85, off, s[0:3], 0 offset:140
	buffer_load_dword v86, off, s[0:3], 0 offset:148
	;; [unrolled: 1-line block ×26, first 2 shown]
	ds_read2_b64 v[61:64], v60 offset0:47 offset1:48
	ds_read2_b64 v[65:68], v60 offset0:49 offset1:50
	;; [unrolled: 1-line block ×6, first 2 shown]
	v_cmp_lt_u32_e32 vcc, 15, v0
	s_waitcnt vmcnt(25) lgkmcnt(5)
	v_mul_f32_e32 v60, v61, v85
	v_mul_f32_e32 v85, v62, v85
	s_waitcnt vmcnt(24)
	v_mul_f32_e32 v111, v63, v86
	v_mul_f32_e32 v86, v64, v86
	s_waitcnt vmcnt(23) lgkmcnt(4)
	v_mul_f32_e32 v112, v65, v87
	v_mul_f32_e32 v87, v66, v87
	s_waitcnt vmcnt(22)
	v_mul_f32_e32 v113, v67, v88
	v_mul_f32_e32 v88, v68, v88
	;; [unrolled: 6-line block ×3, first 2 shown]
	s_waitcnt vmcnt(13)
	v_fma_f32 v61, v61, v97, -v85
	v_fmac_f32_e32 v60, v62, v97
	s_waitcnt vmcnt(12)
	v_fma_f32 v62, v63, v98, -v86
	v_add_f32_e32 v61, 0, v61
	s_waitcnt vmcnt(11)
	v_fma_f32 v63, v65, v99, -v87
	v_add_f32_e32 v61, v61, v62
	v_fmac_f32_e32 v111, v64, v98
	s_waitcnt vmcnt(10)
	v_fma_f32 v64, v67, v100, -v88
	v_add_f32_e32 v61, v61, v63
	s_waitcnt vmcnt(9)
	v_fma_f32 v65, v69, v101, -v89
	v_add_f32_e32 v61, v61, v64
	s_waitcnt lgkmcnt(2)
	v_mul_f32_e32 v116, v73, v91
	v_mul_f32_e32 v91, v74, v91
	v_fmac_f32_e32 v112, v66, v99
	s_waitcnt vmcnt(8)
	v_fma_f32 v66, v71, v102, -v90
	v_add_f32_e32 v60, 0, v60
	v_add_f32_e32 v61, v61, v65
	v_mul_f32_e32 v117, v75, v92
	v_mul_f32_e32 v92, v76, v92
	s_waitcnt vmcnt(7)
	v_fma_f32 v67, v73, v103, -v91
	v_add_f32_e32 v60, v60, v111
	v_add_f32_e32 v61, v61, v66
	v_fmac_f32_e32 v113, v68, v100
	s_waitcnt vmcnt(6)
	v_fma_f32 v68, v75, v104, -v92
	v_add_f32_e32 v60, v60, v112
	v_add_f32_e32 v61, v61, v67
	s_waitcnt lgkmcnt(1)
	v_mul_f32_e32 v62, v78, v93
	v_fmac_f32_e32 v114, v70, v101
	v_add_f32_e32 v60, v60, v113
	v_add_f32_e32 v61, v61, v68
	s_waitcnt vmcnt(5)
	v_fma_f32 v62, v77, v105, -v62
	v_fmac_f32_e32 v115, v72, v102
	v_add_f32_e32 v60, v60, v114
	v_add_f32_e32 v61, v61, v62
	v_mul_f32_e32 v62, v80, v94
	v_fmac_f32_e32 v116, v74, v103
	v_add_f32_e32 v60, v60, v115
	s_waitcnt vmcnt(4)
	v_fma_f32 v62, v79, v106, -v62
	v_mul_f32_e32 v118, v77, v93
	v_fmac_f32_e32 v117, v76, v104
	v_add_f32_e32 v60, v60, v116
	v_add_f32_e32 v61, v61, v62
	s_waitcnt lgkmcnt(0)
	v_mul_f32_e32 v62, v82, v95
	v_mul_f32_e32 v119, v79, v94
	v_fmac_f32_e32 v118, v78, v105
	v_add_f32_e32 v60, v60, v117
	s_waitcnt vmcnt(3)
	v_fma_f32 v62, v81, v107, -v62
	v_mul_f32_e32 v120, v81, v95
	v_fmac_f32_e32 v119, v80, v106
	v_add_f32_e32 v60, v60, v118
	v_add_f32_e32 v61, v61, v62
	v_mul_f32_e32 v62, v84, v96
	v_mul_f32_e32 v121, v83, v96
	v_fmac_f32_e32 v120, v82, v107
	v_add_f32_e32 v60, v60, v119
	s_waitcnt vmcnt(2)
	v_fma_f32 v62, v83, v108, -v62
	v_fmac_f32_e32 v121, v84, v108
	v_add_f32_e32 v60, v60, v120
	v_add_f32_e32 v61, v61, v62
	;; [unrolled: 1-line block ×3, first 2 shown]
	s_waitcnt vmcnt(1)
	v_sub_f32_e32 v61, v109, v61
	s_waitcnt vmcnt(0)
	v_sub_f32_e32 v60, v110, v60
	buffer_store_dword v61, off, s[0:3], 0 offset:128
	buffer_store_dword v60, off, s[0:3], 0 offset:132
	s_and_saveexec_b64 s[4:5], vcc
	s_cbranch_execz .LBB92_157
; %bb.156:
	buffer_load_dword v60, off, s[0:3], 0 offset:120
	buffer_load_dword v61, off, s[0:3], 0 offset:124
	v_mov_b32_e32 v62, 0
	buffer_store_dword v62, off, s[0:3], 0 offset:120
	buffer_store_dword v62, off, s[0:3], 0 offset:124
	s_waitcnt vmcnt(2)
	ds_write_b64 v59, v[60:61]
.LBB92_157:
	s_or_b64 exec, exec, s[4:5]
	v_mov_b32_e32 v60, 0
	s_waitcnt lgkmcnt(0)
	; wave barrier
	ds_read_b128 v[61:64], v60 offset:368
	ds_read_b128 v[65:68], v60 offset:384
	;; [unrolled: 1-line block ×4, first 2 shown]
	buffer_load_dword v87, off, s[0:3], 0 offset:120
	buffer_load_dword v88, off, s[0:3], 0 offset:124
	;; [unrolled: 1-line block ×18, first 2 shown]
	v_cmp_lt_u32_e32 vcc, 14, v0
	s_waitcnt vmcnt(14) lgkmcnt(3)
	v_mul_f32_e32 v77, v61, v90
	v_fmac_f32_e32 v77, v62, v89
	s_waitcnt vmcnt(12)
	v_mul_f32_e32 v78, v63, v92
	v_add_f32_e32 v77, 0, v77
	v_fmac_f32_e32 v78, v64, v91
	v_add_f32_e32 v77, v77, v78
	s_waitcnt vmcnt(10) lgkmcnt(2)
	v_mul_f32_e32 v78, v65, v94
	v_fmac_f32_e32 v78, v66, v93
	v_add_f32_e32 v77, v77, v78
	s_waitcnt vmcnt(8)
	v_mul_f32_e32 v78, v67, v96
	v_fmac_f32_e32 v78, v68, v95
	v_add_f32_e32 v77, v77, v78
	s_waitcnt vmcnt(6) lgkmcnt(1)
	v_mul_f32_e32 v78, v69, v98
	v_fmac_f32_e32 v78, v70, v97
	v_add_f32_e32 v77, v77, v78
	s_waitcnt vmcnt(4)
	v_mul_f32_e32 v78, v71, v100
	;; [unrolled: 8-line block ×3, first 2 shown]
	v_fmac_f32_e32 v78, v76, v103
	v_add_f32_e32 v81, v77, v78
	ds_read_b128 v[77:80], v60 offset:432
	buffer_load_dword v105, off, s[0:3], 0 offset:192
	buffer_load_dword v106, off, s[0:3], 0 offset:196
	;; [unrolled: 1-line block ×4, first 2 shown]
	v_mul_f32_e32 v62, v62, v90
	v_fma_f32 v61, v61, v89, -v62
	v_mul_f32_e32 v62, v64, v92
	v_add_f32_e32 v61, 0, v61
	v_fma_f32 v62, v63, v91, -v62
	v_add_f32_e32 v61, v61, v62
	v_mul_f32_e32 v62, v66, v94
	v_fma_f32 v62, v65, v93, -v62
	v_add_f32_e32 v61, v61, v62
	v_mul_f32_e32 v62, v68, v96
	;; [unrolled: 3-line block ×6, first 2 shown]
	v_fma_f32 v62, v75, v103, -v62
	v_add_f32_e32 v61, v61, v62
	s_waitcnt vmcnt(2) lgkmcnt(0)
	v_mul_f32_e32 v82, v77, v106
	v_fmac_f32_e32 v82, v78, v105
	v_add_f32_e32 v81, v81, v82
	s_waitcnt vmcnt(0)
	v_mul_f32_e32 v82, v79, v108
	v_fmac_f32_e32 v82, v80, v107
	v_add_f32_e32 v85, v81, v82
	ds_read_b128 v[81:84], v60 offset:448
	buffer_load_dword v109, off, s[0:3], 0 offset:208
	buffer_load_dword v110, off, s[0:3], 0 offset:212
	buffer_load_dword v111, off, s[0:3], 0 offset:216
	buffer_load_dword v112, off, s[0:3], 0 offset:220
	v_mul_f32_e32 v62, v78, v106
	v_fma_f32 v62, v77, v105, -v62
	v_add_f32_e32 v61, v61, v62
	v_mul_f32_e32 v62, v80, v108
	v_fma_f32 v62, v79, v107, -v62
	v_add_f32_e32 v61, v61, v62
	s_waitcnt vmcnt(2) lgkmcnt(0)
	v_mul_f32_e32 v86, v81, v110
	v_fmac_f32_e32 v86, v82, v109
	v_add_f32_e32 v85, v85, v86
	s_waitcnt vmcnt(0)
	v_mul_f32_e32 v86, v83, v112
	v_fmac_f32_e32 v86, v84, v111
	v_add_f32_e32 v113, v85, v86
	ds_read_b64 v[85:86], v60 offset:464
	buffer_load_dword v114, off, s[0:3], 0 offset:224
	buffer_load_dword v115, off, s[0:3], 0 offset:228
	v_mul_f32_e32 v62, v82, v110
	v_fma_f32 v62, v81, v109, -v62
	v_add_f32_e32 v61, v61, v62
	v_mul_f32_e32 v62, v84, v112
	v_fma_f32 v62, v83, v111, -v62
	v_add_f32_e32 v61, v61, v62
	s_waitcnt vmcnt(0) lgkmcnt(0)
	v_mul_f32_e32 v62, v86, v115
	v_mul_f32_e32 v116, v85, v115
	v_fma_f32 v62, v85, v114, -v62
	v_fmac_f32_e32 v116, v86, v114
	v_add_f32_e32 v61, v61, v62
	v_add_f32_e32 v113, v113, v116
	v_sub_f32_e32 v61, v87, v61
	v_sub_f32_e32 v62, v88, v113
	buffer_store_dword v61, off, s[0:3], 0 offset:120
	buffer_store_dword v62, off, s[0:3], 0 offset:124
	s_and_saveexec_b64 s[4:5], vcc
	s_cbranch_execz .LBB92_159
; %bb.158:
	buffer_load_dword v61, off, s[0:3], 0 offset:112
	buffer_load_dword v62, off, s[0:3], 0 offset:116
	s_waitcnt vmcnt(0)
	ds_write_b64 v59, v[61:62]
	buffer_store_dword v60, off, s[0:3], 0 offset:112
	buffer_store_dword v60, off, s[0:3], 0 offset:116
.LBB92_159:
	s_or_b64 exec, exec, s[4:5]
	s_waitcnt lgkmcnt(0)
	; wave barrier
	ds_read2_b64 v[61:64], v60 offset0:45 offset1:46
	buffer_load_dword v89, off, s[0:3], 0 offset:112
	buffer_load_dword v90, off, s[0:3], 0 offset:116
	;; [unrolled: 1-line block ×16, first 2 shown]
	v_cmp_lt_u32_e32 vcc, 13, v0
	s_waitcnt vmcnt(12) lgkmcnt(0)
	v_mul_f32_e32 v65, v61, v92
	v_fmac_f32_e32 v65, v62, v91
	s_waitcnt vmcnt(10)
	v_mul_f32_e32 v66, v63, v94
	v_add_f32_e32 v65, 0, v65
	v_fmac_f32_e32 v66, v64, v93
	v_add_f32_e32 v69, v65, v66
	ds_read2_b64 v[65:68], v60 offset0:47 offset1:48
	v_mul_f32_e32 v62, v62, v92
	v_fma_f32 v61, v61, v91, -v62
	v_mul_f32_e32 v62, v64, v94
	v_add_f32_e32 v61, 0, v61
	s_waitcnt vmcnt(8) lgkmcnt(0)
	v_mul_f32_e32 v70, v65, v96
	v_fmac_f32_e32 v70, v66, v95
	v_add_f32_e32 v69, v69, v70
	s_waitcnt vmcnt(6)
	v_mul_f32_e32 v70, v67, v98
	v_fmac_f32_e32 v70, v68, v97
	v_add_f32_e32 v73, v69, v70
	ds_read2_b64 v[69:72], v60 offset0:49 offset1:50
	v_fma_f32 v62, v63, v93, -v62
	v_add_f32_e32 v61, v61, v62
	v_mul_f32_e32 v62, v66, v96
	v_fma_f32 v62, v65, v95, -v62
	s_waitcnt vmcnt(4) lgkmcnt(0)
	v_mul_f32_e32 v74, v69, v100
	v_fmac_f32_e32 v74, v70, v99
	v_add_f32_e32 v73, v73, v74
	s_waitcnt vmcnt(2)
	v_mul_f32_e32 v74, v71, v102
	v_fmac_f32_e32 v74, v72, v101
	v_add_f32_e32 v77, v73, v74
	ds_read2_b64 v[73:76], v60 offset0:51 offset1:52
	buffer_load_dword v105, off, s[0:3], 0 offset:176
	buffer_load_dword v106, off, s[0:3], 0 offset:180
	v_add_f32_e32 v61, v61, v62
	v_mul_f32_e32 v62, v68, v98
	v_fma_f32 v62, v67, v97, -v62
	s_waitcnt vmcnt(2) lgkmcnt(0)
	v_mul_f32_e32 v78, v73, v104
	v_fmac_f32_e32 v78, v74, v103
	v_add_f32_e32 v77, v77, v78
	v_add_f32_e32 v61, v61, v62
	v_mul_f32_e32 v62, v70, v100
	v_fma_f32 v62, v69, v99, -v62
	v_add_f32_e32 v61, v61, v62
	v_mul_f32_e32 v62, v72, v102
	v_fma_f32 v62, v71, v101, -v62
	;; [unrolled: 3-line block ×3, first 2 shown]
	v_add_f32_e32 v61, v61, v62
	s_waitcnt vmcnt(0)
	v_mul_f32_e32 v78, v75, v106
	v_fmac_f32_e32 v78, v76, v105
	v_add_f32_e32 v81, v77, v78
	ds_read2_b64 v[77:80], v60 offset0:53 offset1:54
	buffer_load_dword v107, off, s[0:3], 0 offset:184
	buffer_load_dword v108, off, s[0:3], 0 offset:188
	;; [unrolled: 1-line block ×4, first 2 shown]
	v_mul_f32_e32 v62, v76, v106
	v_fma_f32 v62, v75, v105, -v62
	v_add_f32_e32 v61, v61, v62
	s_waitcnt vmcnt(2) lgkmcnt(0)
	v_mul_f32_e32 v82, v77, v108
	v_fmac_f32_e32 v82, v78, v107
	v_add_f32_e32 v81, v81, v82
	s_waitcnt vmcnt(0)
	v_mul_f32_e32 v82, v79, v110
	v_fmac_f32_e32 v82, v80, v109
	v_add_f32_e32 v85, v81, v82
	ds_read2_b64 v[81:84], v60 offset0:55 offset1:56
	buffer_load_dword v111, off, s[0:3], 0 offset:200
	buffer_load_dword v112, off, s[0:3], 0 offset:204
	;; [unrolled: 1-line block ×4, first 2 shown]
	v_mul_f32_e32 v62, v78, v108
	v_fma_f32 v62, v77, v107, -v62
	v_add_f32_e32 v61, v61, v62
	v_mul_f32_e32 v62, v80, v110
	v_fma_f32 v62, v79, v109, -v62
	v_add_f32_e32 v61, v61, v62
	s_waitcnt vmcnt(2) lgkmcnt(0)
	v_mul_f32_e32 v86, v81, v112
	v_fmac_f32_e32 v86, v82, v111
	v_add_f32_e32 v85, v85, v86
	s_waitcnt vmcnt(0)
	v_mul_f32_e32 v86, v83, v114
	v_fmac_f32_e32 v86, v84, v113
	v_add_f32_e32 v115, v85, v86
	ds_read2_b64 v[85:88], v60 offset0:57 offset1:58
	buffer_load_dword v60, off, s[0:3], 0 offset:216
	buffer_load_dword v116, off, s[0:3], 0 offset:220
	v_mul_f32_e32 v62, v82, v112
	v_fma_f32 v62, v81, v111, -v62
	v_add_f32_e32 v61, v61, v62
	v_mul_f32_e32 v62, v84, v114
	v_fma_f32 v62, v83, v113, -v62
	v_add_f32_e32 v61, v61, v62
	s_waitcnt vmcnt(0) lgkmcnt(0)
	v_mul_f32_e32 v117, v85, v116
	v_fmac_f32_e32 v117, v86, v60
	v_add_f32_e32 v115, v115, v117
	buffer_load_dword v117, off, s[0:3], 0 offset:224
	buffer_load_dword v118, off, s[0:3], 0 offset:228
	v_mul_f32_e32 v62, v86, v116
	v_fma_f32 v60, v85, v60, -v62
	v_add_f32_e32 v60, v61, v60
	s_waitcnt vmcnt(0)
	v_mul_f32_e32 v61, v88, v118
	v_mul_f32_e32 v119, v87, v118
	v_fma_f32 v61, v87, v117, -v61
	v_fmac_f32_e32 v119, v88, v117
	v_add_f32_e32 v60, v60, v61
	v_add_f32_e32 v115, v115, v119
	v_sub_f32_e32 v60, v89, v60
	v_sub_f32_e32 v61, v90, v115
	buffer_store_dword v60, off, s[0:3], 0 offset:112
	buffer_store_dword v61, off, s[0:3], 0 offset:116
	s_and_saveexec_b64 s[4:5], vcc
	s_cbranch_execz .LBB92_161
; %bb.160:
	buffer_load_dword v60, off, s[0:3], 0 offset:104
	buffer_load_dword v61, off, s[0:3], 0 offset:108
	v_mov_b32_e32 v62, 0
	buffer_store_dword v62, off, s[0:3], 0 offset:104
	buffer_store_dword v62, off, s[0:3], 0 offset:108
	s_waitcnt vmcnt(2)
	ds_write_b64 v59, v[60:61]
.LBB92_161:
	s_or_b64 exec, exec, s[4:5]
	v_mov_b32_e32 v60, 0
	s_waitcnt lgkmcnt(0)
	; wave barrier
	ds_read_b128 v[61:64], v60 offset:352
	ds_read_b128 v[65:68], v60 offset:368
	ds_read_b128 v[69:72], v60 offset:384
	ds_read_b128 v[73:76], v60 offset:400
	buffer_load_dword v91, off, s[0:3], 0 offset:104
	buffer_load_dword v92, off, s[0:3], 0 offset:108
	;; [unrolled: 1-line block ×18, first 2 shown]
	v_cmp_lt_u32_e32 vcc, 12, v0
	s_waitcnt vmcnt(14) lgkmcnt(3)
	v_mul_f32_e32 v77, v61, v94
	v_fmac_f32_e32 v77, v62, v93
	s_waitcnt vmcnt(12)
	v_mul_f32_e32 v78, v63, v96
	v_add_f32_e32 v77, 0, v77
	v_fmac_f32_e32 v78, v64, v95
	v_add_f32_e32 v77, v77, v78
	s_waitcnt vmcnt(10) lgkmcnt(2)
	v_mul_f32_e32 v78, v65, v98
	v_fmac_f32_e32 v78, v66, v97
	v_add_f32_e32 v77, v77, v78
	s_waitcnt vmcnt(8)
	v_mul_f32_e32 v78, v67, v100
	v_fmac_f32_e32 v78, v68, v99
	v_add_f32_e32 v77, v77, v78
	s_waitcnt vmcnt(6) lgkmcnt(1)
	v_mul_f32_e32 v78, v69, v102
	v_fmac_f32_e32 v78, v70, v101
	v_add_f32_e32 v77, v77, v78
	s_waitcnt vmcnt(4)
	v_mul_f32_e32 v78, v71, v104
	;; [unrolled: 8-line block ×3, first 2 shown]
	v_fmac_f32_e32 v78, v76, v107
	v_add_f32_e32 v81, v77, v78
	ds_read_b128 v[77:80], v60 offset:416
	buffer_load_dword v109, off, s[0:3], 0 offset:176
	buffer_load_dword v110, off, s[0:3], 0 offset:180
	;; [unrolled: 1-line block ×4, first 2 shown]
	v_mul_f32_e32 v62, v62, v94
	v_fma_f32 v61, v61, v93, -v62
	v_mul_f32_e32 v62, v64, v96
	v_add_f32_e32 v61, 0, v61
	v_fma_f32 v62, v63, v95, -v62
	v_add_f32_e32 v61, v61, v62
	v_mul_f32_e32 v62, v66, v98
	v_fma_f32 v62, v65, v97, -v62
	v_add_f32_e32 v61, v61, v62
	v_mul_f32_e32 v62, v68, v100
	v_fma_f32 v62, v67, v99, -v62
	v_add_f32_e32 v61, v61, v62
	v_mul_f32_e32 v62, v70, v102
	v_fma_f32 v62, v69, v101, -v62
	v_add_f32_e32 v61, v61, v62
	v_mul_f32_e32 v62, v72, v104
	v_fma_f32 v62, v71, v103, -v62
	v_add_f32_e32 v61, v61, v62
	v_mul_f32_e32 v62, v74, v106
	v_fma_f32 v62, v73, v105, -v62
	v_add_f32_e32 v61, v61, v62
	v_mul_f32_e32 v62, v76, v108
	v_fma_f32 v62, v75, v107, -v62
	v_add_f32_e32 v61, v61, v62
	s_waitcnt vmcnt(2) lgkmcnt(0)
	v_mul_f32_e32 v82, v77, v110
	v_fmac_f32_e32 v82, v78, v109
	v_add_f32_e32 v81, v81, v82
	s_waitcnt vmcnt(0)
	v_mul_f32_e32 v82, v79, v112
	v_fmac_f32_e32 v82, v80, v111
	v_add_f32_e32 v85, v81, v82
	ds_read_b128 v[81:84], v60 offset:432
	buffer_load_dword v113, off, s[0:3], 0 offset:192
	buffer_load_dword v114, off, s[0:3], 0 offset:196
	;; [unrolled: 1-line block ×4, first 2 shown]
	v_mul_f32_e32 v62, v78, v110
	v_fma_f32 v62, v77, v109, -v62
	v_add_f32_e32 v61, v61, v62
	v_mul_f32_e32 v62, v80, v112
	v_fma_f32 v62, v79, v111, -v62
	v_add_f32_e32 v61, v61, v62
	s_waitcnt vmcnt(2) lgkmcnt(0)
	v_mul_f32_e32 v86, v81, v114
	v_fmac_f32_e32 v86, v82, v113
	v_add_f32_e32 v85, v85, v86
	s_waitcnt vmcnt(0)
	v_mul_f32_e32 v86, v83, v116
	v_fmac_f32_e32 v86, v84, v115
	v_add_f32_e32 v89, v85, v86
	ds_read_b128 v[85:88], v60 offset:448
	buffer_load_dword v117, off, s[0:3], 0 offset:208
	buffer_load_dword v118, off, s[0:3], 0 offset:212
	;; [unrolled: 1-line block ×4, first 2 shown]
	v_mul_f32_e32 v62, v82, v114
	v_fma_f32 v62, v81, v113, -v62
	v_add_f32_e32 v61, v61, v62
	v_mul_f32_e32 v62, v84, v116
	v_fma_f32 v62, v83, v115, -v62
	v_add_f32_e32 v61, v61, v62
	s_waitcnt vmcnt(2) lgkmcnt(0)
	v_mul_f32_e32 v90, v85, v118
	v_fmac_f32_e32 v90, v86, v117
	v_add_f32_e32 v89, v89, v90
	s_waitcnt vmcnt(0)
	v_mul_f32_e32 v90, v87, v120
	v_fmac_f32_e32 v90, v88, v119
	v_add_f32_e32 v121, v89, v90
	ds_read_b64 v[89:90], v60 offset:464
	buffer_load_dword v122, off, s[0:3], 0 offset:224
	buffer_load_dword v123, off, s[0:3], 0 offset:228
	v_mul_f32_e32 v62, v86, v118
	v_fma_f32 v62, v85, v117, -v62
	v_add_f32_e32 v61, v61, v62
	v_mul_f32_e32 v62, v88, v120
	v_fma_f32 v62, v87, v119, -v62
	v_add_f32_e32 v61, v61, v62
	s_waitcnt vmcnt(0) lgkmcnt(0)
	v_mul_f32_e32 v62, v90, v123
	v_mul_f32_e32 v124, v89, v123
	v_fma_f32 v62, v89, v122, -v62
	v_fmac_f32_e32 v124, v90, v122
	v_add_f32_e32 v61, v61, v62
	v_add_f32_e32 v121, v121, v124
	v_sub_f32_e32 v61, v91, v61
	v_sub_f32_e32 v62, v92, v121
	buffer_store_dword v61, off, s[0:3], 0 offset:104
	buffer_store_dword v62, off, s[0:3], 0 offset:108
	s_and_saveexec_b64 s[4:5], vcc
	s_cbranch_execz .LBB92_163
; %bb.162:
	buffer_load_dword v61, off, s[0:3], 0 offset:96
	buffer_load_dword v62, off, s[0:3], 0 offset:100
	s_waitcnt vmcnt(0)
	ds_write_b64 v59, v[61:62]
	buffer_store_dword v60, off, s[0:3], 0 offset:96
	buffer_store_dword v60, off, s[0:3], 0 offset:100
.LBB92_163:
	s_or_b64 exec, exec, s[4:5]
	s_waitcnt lgkmcnt(0)
	; wave barrier
	buffer_load_dword v93, off, s[0:3], 0 offset:108
	buffer_load_dword v94, off, s[0:3], 0 offset:116
	;; [unrolled: 1-line block ×34, first 2 shown]
	ds_read2_b64 v[61:64], v60 offset0:43 offset1:44
	ds_read2_b64 v[65:68], v60 offset0:45 offset1:46
	;; [unrolled: 1-line block ×8, first 2 shown]
	v_cmp_lt_u32_e32 vcc, 11, v0
	s_waitcnt vmcnt(33) lgkmcnt(7)
	v_mul_f32_e32 v60, v61, v93
	v_mul_f32_e32 v93, v62, v93
	s_waitcnt vmcnt(32)
	v_mul_f32_e32 v127, v63, v94
	v_mul_f32_e32 v94, v64, v94
	s_waitcnt vmcnt(31) lgkmcnt(6)
	v_mul_f32_e32 v128, v65, v95
	s_waitcnt vmcnt(30)
	v_mul_f32_e32 v129, v67, v96
	s_waitcnt vmcnt(29) lgkmcnt(5)
	v_mul_f32_e32 v130, v69, v97
	s_waitcnt vmcnt(28)
	;; [unrolled: 4-line block ×6, first 2 shown]
	v_mul_f32_e32 v139, v87, v106
	s_waitcnt vmcnt(17)
	v_fma_f32 v61, v61, v109, -v93
	v_fmac_f32_e32 v60, v62, v109
	s_waitcnt vmcnt(16)
	v_fma_f32 v62, v63, v110, -v94
	v_add_f32_e32 v61, 0, v61
	v_add_f32_e32 v61, v61, v62
	v_mul_f32_e32 v62, v66, v95
	s_waitcnt vmcnt(15)
	v_fma_f32 v62, v65, v111, -v62
	v_add_f32_e32 v61, v61, v62
	v_mul_f32_e32 v62, v68, v96
	s_waitcnt vmcnt(14)
	v_fma_f32 v62, v67, v112, -v62
	;; [unrolled: 4-line block ×7, first 2 shown]
	v_fmac_f32_e32 v127, v64, v110
	v_add_f32_e32 v60, 0, v60
	v_add_f32_e32 v61, v61, v62
	v_mul_f32_e32 v62, v80, v102
	v_fmac_f32_e32 v128, v66, v111
	v_add_f32_e32 v60, v60, v127
	s_waitcnt vmcnt(8)
	v_fma_f32 v62, v79, v118, -v62
	v_fmac_f32_e32 v129, v68, v112
	v_add_f32_e32 v60, v60, v128
	v_add_f32_e32 v61, v61, v62
	v_mul_f32_e32 v62, v82, v103
	v_fmac_f32_e32 v130, v70, v113
	v_add_f32_e32 v60, v60, v129
	s_waitcnt vmcnt(7)
	v_fma_f32 v62, v81, v119, -v62
	;; [unrolled: 8-line block ×5, first 2 shown]
	v_fmac_f32_e32 v137, v84, v120
	v_add_f32_e32 v60, v60, v136
	v_add_f32_e32 v61, v61, v62
	s_waitcnt lgkmcnt(0)
	v_mul_f32_e32 v62, v90, v107
	v_fmac_f32_e32 v138, v86, v121
	v_add_f32_e32 v60, v60, v137
	s_waitcnt vmcnt(3)
	v_fma_f32 v62, v89, v123, -v62
	v_mul_f32_e32 v140, v89, v107
	v_fmac_f32_e32 v139, v88, v122
	v_add_f32_e32 v60, v60, v138
	v_add_f32_e32 v61, v61, v62
	v_mul_f32_e32 v62, v92, v108
	v_mul_f32_e32 v141, v91, v108
	v_fmac_f32_e32 v140, v90, v123
	v_add_f32_e32 v60, v60, v139
	s_waitcnt vmcnt(2)
	v_fma_f32 v62, v91, v124, -v62
	v_fmac_f32_e32 v141, v92, v124
	v_add_f32_e32 v60, v60, v140
	v_add_f32_e32 v61, v61, v62
	;; [unrolled: 1-line block ×3, first 2 shown]
	s_waitcnt vmcnt(1)
	v_sub_f32_e32 v61, v125, v61
	s_waitcnt vmcnt(0)
	v_sub_f32_e32 v60, v126, v60
	buffer_store_dword v61, off, s[0:3], 0 offset:96
	buffer_store_dword v60, off, s[0:3], 0 offset:100
	s_and_saveexec_b64 s[4:5], vcc
	s_cbranch_execz .LBB92_165
; %bb.164:
	buffer_load_dword v60, off, s[0:3], 0 offset:88
	buffer_load_dword v61, off, s[0:3], 0 offset:92
	v_mov_b32_e32 v62, 0
	buffer_store_dword v62, off, s[0:3], 0 offset:88
	buffer_store_dword v62, off, s[0:3], 0 offset:92
	s_waitcnt vmcnt(2)
	ds_write_b64 v59, v[60:61]
.LBB92_165:
	s_or_b64 exec, exec, s[4:5]
	s_waitcnt lgkmcnt(0)
	; wave barrier
	buffer_load_dword v95, off, s[0:3], 0 offset:100
	buffer_load_dword v96, off, s[0:3], 0 offset:108
	;; [unrolled: 1-line block ×36, first 2 shown]
	v_mov_b32_e32 v60, 0
	ds_read_b128 v[61:64], v60 offset:336
	ds_read_b128 v[65:68], v60 offset:352
	;; [unrolled: 1-line block ×8, first 2 shown]
	ds_read_b64 v[93:94], v60 offset:464
	v_cmp_lt_u32_e32 vcc, 10, v0
	s_waitcnt vmcnt(35) lgkmcnt(8)
	v_mul_f32_e32 v131, v61, v95
	s_waitcnt vmcnt(34)
	v_mul_f32_e32 v132, v63, v96
	s_waitcnt vmcnt(33) lgkmcnt(7)
	v_mul_f32_e32 v133, v65, v97
	s_waitcnt vmcnt(32)
	v_mul_f32_e32 v134, v67, v98
	;; [unrolled: 4-line block ×8, first 2 shown]
	s_waitcnt vmcnt(19) lgkmcnt(0)
	v_mul_f32_e32 v147, v93, v111
	s_waitcnt vmcnt(18)
	v_fmac_f32_e32 v131, v62, v112
	v_mul_f32_e32 v62, v62, v95
	v_fma_f32 v61, v61, v112, -v62
	v_mul_f32_e32 v62, v64, v96
	v_add_f32_e32 v61, 0, v61
	s_waitcnt vmcnt(17)
	v_fma_f32 v62, v63, v113, -v62
	v_add_f32_e32 v61, v61, v62
	v_mul_f32_e32 v62, v66, v97
	s_waitcnt vmcnt(16)
	v_fma_f32 v62, v65, v114, -v62
	v_add_f32_e32 v61, v61, v62
	v_mul_f32_e32 v62, v68, v98
	;; [unrolled: 4-line block ×8, first 2 shown]
	v_fmac_f32_e32 v132, v64, v113
	v_add_f32_e32 v131, 0, v131
	s_waitcnt vmcnt(9)
	v_fma_f32 v62, v79, v121, -v62
	v_fmac_f32_e32 v133, v66, v114
	v_add_f32_e32 v131, v131, v132
	v_add_f32_e32 v61, v61, v62
	v_mul_f32_e32 v62, v82, v105
	v_fmac_f32_e32 v134, v68, v115
	v_add_f32_e32 v131, v131, v133
	s_waitcnt vmcnt(8)
	v_fma_f32 v62, v81, v122, -v62
	v_fmac_f32_e32 v135, v70, v116
	v_add_f32_e32 v131, v131, v134
	v_add_f32_e32 v61, v61, v62
	v_mul_f32_e32 v62, v84, v106
	;; [unrolled: 8-line block ×7, first 2 shown]
	v_fmac_f32_e32 v146, v92, v127
	v_add_f32_e32 v131, v131, v145
	s_waitcnt vmcnt(2)
	v_fma_f32 v62, v93, v128, -v62
	v_fmac_f32_e32 v147, v94, v128
	v_add_f32_e32 v131, v131, v146
	v_add_f32_e32 v61, v61, v62
	;; [unrolled: 1-line block ×3, first 2 shown]
	s_waitcnt vmcnt(1)
	v_sub_f32_e32 v61, v129, v61
	s_waitcnt vmcnt(0)
	v_sub_f32_e32 v62, v130, v131
	buffer_store_dword v61, off, s[0:3], 0 offset:88
	buffer_store_dword v62, off, s[0:3], 0 offset:92
	s_and_saveexec_b64 s[4:5], vcc
	s_cbranch_execz .LBB92_167
; %bb.166:
	buffer_load_dword v61, off, s[0:3], 0 offset:80
	buffer_load_dword v62, off, s[0:3], 0 offset:84
	s_waitcnt vmcnt(0)
	ds_write_b64 v59, v[61:62]
	buffer_store_dword v60, off, s[0:3], 0 offset:80
	buffer_store_dword v60, off, s[0:3], 0 offset:84
.LBB92_167:
	s_or_b64 exec, exec, s[4:5]
	s_waitcnt lgkmcnt(0)
	; wave barrier
	buffer_load_dword v97, off, s[0:3], 0 offset:92
	buffer_load_dword v98, off, s[0:3], 0 offset:100
	;; [unrolled: 1-line block ×38, first 2 shown]
	ds_read2_b64 v[61:64], v60 offset0:41 offset1:42
	ds_read2_b64 v[65:68], v60 offset0:43 offset1:44
	ds_read2_b64 v[69:72], v60 offset0:45 offset1:46
	ds_read2_b64 v[73:76], v60 offset0:47 offset1:48
	ds_read2_b64 v[77:80], v60 offset0:49 offset1:50
	ds_read2_b64 v[81:84], v60 offset0:51 offset1:52
	ds_read2_b64 v[85:88], v60 offset0:53 offset1:54
	ds_read2_b64 v[89:92], v60 offset0:55 offset1:56
	ds_read2_b64 v[93:96], v60 offset0:57 offset1:58
	v_cmp_lt_u32_e32 vcc, 9, v0
	s_waitcnt vmcnt(37) lgkmcnt(8)
	v_mul_f32_e32 v60, v61, v97
	s_waitcnt vmcnt(36)
	v_mul_f32_e32 v135, v63, v98
	s_waitcnt vmcnt(35) lgkmcnt(7)
	v_mul_f32_e32 v136, v65, v99
	s_waitcnt vmcnt(34)
	v_mul_f32_e32 v137, v67, v100
	;; [unrolled: 4-line block ×8, first 2 shown]
	s_waitcnt vmcnt(21) lgkmcnt(0)
	v_mul_f32_e32 v150, v93, v113
	s_waitcnt vmcnt(20)
	v_fmac_f32_e32 v60, v62, v114
	v_mul_f32_e32 v62, v62, v97
	v_fma_f32 v61, v61, v114, -v62
	v_mul_f32_e32 v62, v64, v98
	v_add_f32_e32 v61, 0, v61
	s_waitcnt vmcnt(19)
	v_fma_f32 v62, v63, v115, -v62
	v_add_f32_e32 v61, v61, v62
	v_mul_f32_e32 v62, v66, v99
	s_waitcnt vmcnt(18)
	v_fma_f32 v62, v65, v116, -v62
	v_add_f32_e32 v61, v61, v62
	v_mul_f32_e32 v62, v68, v100
	;; [unrolled: 4-line block ×8, first 2 shown]
	s_waitcnt vmcnt(11)
	v_fma_f32 v62, v79, v123, -v62
	v_fmac_f32_e32 v135, v64, v115
	v_add_f32_e32 v60, 0, v60
	v_add_f32_e32 v61, v61, v62
	v_mul_f32_e32 v62, v82, v107
	v_fmac_f32_e32 v136, v66, v116
	v_add_f32_e32 v60, v60, v135
	s_waitcnt vmcnt(10)
	v_fma_f32 v62, v81, v124, -v62
	v_fmac_f32_e32 v137, v68, v117
	v_add_f32_e32 v60, v60, v136
	v_add_f32_e32 v61, v61, v62
	v_mul_f32_e32 v62, v84, v108
	v_fmac_f32_e32 v138, v70, v118
	v_add_f32_e32 v60, v60, v137
	;; [unrolled: 8-line block ×7, first 2 shown]
	s_waitcnt vmcnt(4)
	v_fma_f32 v62, v93, v130, -v62
	v_fmac_f32_e32 v149, v92, v129
	v_add_f32_e32 v60, v60, v148
	v_add_f32_e32 v61, v61, v62
	s_waitcnt vmcnt(3)
	v_mul_f32_e32 v62, v96, v131
	v_add_f32_e32 v60, v60, v149
	v_fmac_f32_e32 v150, v94, v130
	v_mul_f32_e32 v135, v95, v131
	s_waitcnt vmcnt(2)
	v_fma_f32 v62, v95, v132, -v62
	v_add_f32_e32 v60, v60, v150
	v_fmac_f32_e32 v135, v96, v132
	v_add_f32_e32 v61, v61, v62
	v_add_f32_e32 v60, v60, v135
	s_waitcnt vmcnt(1)
	v_sub_f32_e32 v61, v133, v61
	s_waitcnt vmcnt(0)
	v_sub_f32_e32 v60, v134, v60
	buffer_store_dword v61, off, s[0:3], 0 offset:80
	buffer_store_dword v60, off, s[0:3], 0 offset:84
	s_and_saveexec_b64 s[4:5], vcc
	s_cbranch_execz .LBB92_169
; %bb.168:
	buffer_load_dword v60, off, s[0:3], 0 offset:72
	buffer_load_dword v61, off, s[0:3], 0 offset:76
	v_mov_b32_e32 v62, 0
	buffer_store_dword v62, off, s[0:3], 0 offset:72
	buffer_store_dword v62, off, s[0:3], 0 offset:76
	s_waitcnt vmcnt(2)
	ds_write_b64 v59, v[60:61]
.LBB92_169:
	s_or_b64 exec, exec, s[4:5]
	s_waitcnt lgkmcnt(0)
	; wave barrier
	buffer_load_dword v99, off, s[0:3], 0 offset:84
	buffer_load_dword v100, off, s[0:3], 0 offset:92
	;; [unrolled: 1-line block ×40, first 2 shown]
	v_mov_b32_e32 v60, 0
	ds_read_b128 v[61:64], v60 offset:320
	ds_read_b128 v[65:68], v60 offset:336
	;; [unrolled: 1-line block ×9, first 2 shown]
	v_cmp_lt_u32_e32 vcc, 8, v0
	s_waitcnt vmcnt(39) lgkmcnt(8)
	v_mul_f32_e32 v97, v61, v99
	s_waitcnt vmcnt(38)
	v_mul_f32_e32 v98, v63, v100
	s_waitcnt vmcnt(37) lgkmcnt(7)
	v_mul_f32_e32 v139, v65, v101
	s_waitcnt vmcnt(36)
	v_mul_f32_e32 v140, v67, v102
	;; [unrolled: 4-line block ×7, first 2 shown]
	s_waitcnt vmcnt(25) lgkmcnt(1)
	v_mul_f32_e32 v151, v89, v113
	s_waitcnt vmcnt(24)
	v_fmac_f32_e32 v97, v62, v114
	v_mul_f32_e32 v62, v62, v99
	v_fma_f32 v61, v61, v114, -v62
	v_mul_f32_e32 v62, v64, v100
	v_add_f32_e32 v61, 0, v61
	s_waitcnt vmcnt(23)
	v_fma_f32 v62, v63, v115, -v62
	v_add_f32_e32 v61, v61, v62
	v_mul_f32_e32 v62, v66, v101
	s_waitcnt vmcnt(22)
	v_fma_f32 v62, v65, v116, -v62
	v_add_f32_e32 v61, v61, v62
	v_mul_f32_e32 v62, v68, v102
	;; [unrolled: 4-line block ×6, first 2 shown]
	s_waitcnt vmcnt(17)
	v_fma_f32 v62, v75, v121, -v62
	v_fmac_f32_e32 v98, v64, v115
	v_add_f32_e32 v97, 0, v97
	v_add_f32_e32 v61, v61, v62
	v_mul_f32_e32 v62, v78, v107
	v_fmac_f32_e32 v139, v66, v116
	v_add_f32_e32 v97, v97, v98
	s_waitcnt vmcnt(16)
	v_fma_f32 v62, v77, v122, -v62
	v_fmac_f32_e32 v140, v68, v117
	v_add_f32_e32 v97, v97, v139
	v_add_f32_e32 v61, v61, v62
	v_mul_f32_e32 v62, v80, v108
	v_fmac_f32_e32 v141, v70, v118
	v_add_f32_e32 v97, v97, v140
	;; [unrolled: 8-line block ×6, first 2 shown]
	s_waitcnt vmcnt(11)
	v_fma_f32 v62, v87, v127, -v62
	v_fmac_f32_e32 v150, v88, v127
	v_add_f32_e32 v97, v97, v149
	v_add_f32_e32 v61, v61, v62
	v_mul_f32_e32 v62, v90, v113
	s_waitcnt vmcnt(10)
	v_fmac_f32_e32 v151, v90, v128
	v_add_f32_e32 v97, v97, v150
	s_waitcnt vmcnt(9)
	v_mul_f32_e32 v98, v91, v129
	v_fma_f32 v62, v89, v128, -v62
	v_add_f32_e32 v97, v97, v151
	s_waitcnt vmcnt(8)
	v_fmac_f32_e32 v98, v92, v130
	v_add_f32_e32 v61, v61, v62
	v_mul_f32_e32 v62, v92, v129
	v_add_f32_e32 v139, v97, v98
	ds_read_b64 v[97:98], v60 offset:464
	v_fma_f32 v62, v91, v130, -v62
	v_add_f32_e32 v61, v61, v62
	s_waitcnt vmcnt(7) lgkmcnt(1)
	v_mul_f32_e32 v62, v94, v131
	v_mul_f32_e32 v140, v93, v131
	s_waitcnt vmcnt(6)
	v_fma_f32 v62, v93, v132, -v62
	v_fmac_f32_e32 v140, v94, v132
	v_add_f32_e32 v61, v61, v62
	s_waitcnt vmcnt(5)
	v_mul_f32_e32 v62, v96, v133
	v_add_f32_e32 v139, v139, v140
	v_mul_f32_e32 v140, v95, v133
	s_waitcnt vmcnt(4)
	v_fma_f32 v62, v95, v134, -v62
	v_fmac_f32_e32 v140, v96, v134
	v_add_f32_e32 v61, v61, v62
	s_waitcnt vmcnt(3) lgkmcnt(0)
	v_mul_f32_e32 v62, v98, v135
	v_add_f32_e32 v139, v139, v140
	v_mul_f32_e32 v140, v97, v135
	s_waitcnt vmcnt(2)
	v_fma_f32 v62, v97, v136, -v62
	v_fmac_f32_e32 v140, v98, v136
	v_add_f32_e32 v61, v61, v62
	v_add_f32_e32 v139, v139, v140
	s_waitcnt vmcnt(1)
	v_sub_f32_e32 v61, v137, v61
	s_waitcnt vmcnt(0)
	v_sub_f32_e32 v62, v138, v139
	buffer_store_dword v61, off, s[0:3], 0 offset:72
	buffer_store_dword v62, off, s[0:3], 0 offset:76
	s_and_saveexec_b64 s[4:5], vcc
	s_cbranch_execz .LBB92_171
; %bb.170:
	buffer_load_dword v61, off, s[0:3], 0 offset:64
	buffer_load_dword v62, off, s[0:3], 0 offset:68
	s_waitcnt vmcnt(0)
	ds_write_b64 v59, v[61:62]
	buffer_store_dword v60, off, s[0:3], 0 offset:64
	buffer_store_dword v60, off, s[0:3], 0 offset:68
.LBB92_171:
	s_or_b64 exec, exec, s[4:5]
	s_waitcnt lgkmcnt(0)
	; wave barrier
	buffer_load_dword v101, off, s[0:3], 0 offset:76
	buffer_load_dword v102, off, s[0:3], 0 offset:84
	;; [unrolled: 1-line block ×42, first 2 shown]
	ds_read2_b64 v[61:64], v60 offset0:39 offset1:40
	ds_read2_b64 v[65:68], v60 offset0:41 offset1:42
	;; [unrolled: 1-line block ×8, first 2 shown]
	v_cmp_lt_u32_e32 vcc, 7, v0
	s_waitcnt vmcnt(41) lgkmcnt(7)
	v_mul_f32_e32 v93, v61, v101
	s_waitcnt vmcnt(40)
	v_mul_f32_e32 v94, v63, v102
	s_waitcnt vmcnt(39) lgkmcnt(6)
	v_mul_f32_e32 v95, v65, v103
	s_waitcnt vmcnt(38)
	v_mul_f32_e32 v96, v67, v104
	;; [unrolled: 4-line block ×7, first 2 shown]
	s_waitcnt vmcnt(27) lgkmcnt(0)
	v_mul_f32_e32 v149, v89, v115
	s_waitcnt vmcnt(26)
	v_fmac_f32_e32 v93, v62, v116
	v_mul_f32_e32 v62, v62, v101
	v_fma_f32 v61, v61, v116, -v62
	v_mul_f32_e32 v62, v64, v102
	v_add_f32_e32 v61, 0, v61
	s_waitcnt vmcnt(25)
	v_fma_f32 v62, v63, v117, -v62
	v_add_f32_e32 v61, v61, v62
	v_mul_f32_e32 v62, v66, v103
	s_waitcnt vmcnt(24)
	v_fma_f32 v62, v65, v118, -v62
	v_add_f32_e32 v61, v61, v62
	v_mul_f32_e32 v62, v68, v104
	;; [unrolled: 4-line block ×5, first 2 shown]
	v_fmac_f32_e32 v94, v64, v117
	v_add_f32_e32 v93, 0, v93
	s_waitcnt vmcnt(20)
	v_fma_f32 v62, v73, v122, -v62
	v_fmac_f32_e32 v95, v66, v118
	v_add_f32_e32 v93, v93, v94
	v_add_f32_e32 v61, v61, v62
	v_mul_f32_e32 v62, v76, v108
	v_fmac_f32_e32 v96, v68, v119
	v_add_f32_e32 v93, v93, v95
	s_waitcnt vmcnt(19)
	v_fma_f32 v62, v75, v123, -v62
	v_fmac_f32_e32 v97, v70, v120
	v_add_f32_e32 v93, v93, v96
	v_add_f32_e32 v61, v61, v62
	v_mul_f32_e32 v62, v78, v109
	;; [unrolled: 8-line block ×5, first 2 shown]
	s_waitcnt vmcnt(15)
	v_fmac_f32_e32 v146, v84, v127
	v_add_f32_e32 v93, v93, v145
	v_fma_f32 v62, v83, v127, -v62
	s_waitcnt vmcnt(14)
	v_fmac_f32_e32 v147, v86, v128
	v_add_f32_e32 v93, v93, v146
	v_add_f32_e32 v61, v61, v62
	v_mul_f32_e32 v62, v86, v113
	s_waitcnt vmcnt(13)
	v_fmac_f32_e32 v148, v88, v129
	v_add_f32_e32 v93, v93, v147
	v_fma_f32 v62, v85, v128, -v62
	s_waitcnt vmcnt(12)
	v_fmac_f32_e32 v149, v90, v130
	v_add_f32_e32 v93, v93, v148
	v_add_f32_e32 v61, v61, v62
	v_mul_f32_e32 v62, v88, v114
	v_add_f32_e32 v97, v93, v149
	ds_read2_b64 v[93:96], v60 offset0:55 offset1:56
	v_fma_f32 v62, v87, v129, -v62
	v_add_f32_e32 v61, v61, v62
	v_mul_f32_e32 v62, v90, v115
	s_waitcnt vmcnt(11)
	v_mul_f32_e32 v98, v91, v131
	v_fma_f32 v62, v89, v130, -v62
	s_waitcnt vmcnt(10)
	v_fmac_f32_e32 v98, v92, v132
	v_add_f32_e32 v61, v61, v62
	v_mul_f32_e32 v62, v92, v131
	v_add_f32_e32 v143, v97, v98
	ds_read2_b64 v[97:100], v60 offset0:57 offset1:58
	v_fma_f32 v62, v91, v132, -v62
	v_add_f32_e32 v61, v61, v62
	s_waitcnt vmcnt(9) lgkmcnt(1)
	v_mul_f32_e32 v62, v94, v133
	v_mul_f32_e32 v60, v93, v133
	s_waitcnt vmcnt(8)
	v_fma_f32 v62, v93, v134, -v62
	v_fmac_f32_e32 v60, v94, v134
	v_add_f32_e32 v61, v61, v62
	s_waitcnt vmcnt(7)
	v_mul_f32_e32 v62, v96, v135
	v_add_f32_e32 v60, v143, v60
	v_mul_f32_e32 v143, v95, v135
	s_waitcnt vmcnt(6)
	v_fma_f32 v62, v95, v136, -v62
	v_fmac_f32_e32 v143, v96, v136
	v_add_f32_e32 v61, v61, v62
	s_waitcnt vmcnt(5) lgkmcnt(0)
	v_mul_f32_e32 v62, v98, v137
	v_add_f32_e32 v60, v60, v143
	v_mul_f32_e32 v143, v97, v137
	s_waitcnt vmcnt(4)
	v_fma_f32 v62, v97, v138, -v62
	v_fmac_f32_e32 v143, v98, v138
	v_add_f32_e32 v61, v61, v62
	s_waitcnt vmcnt(3)
	v_mul_f32_e32 v62, v100, v139
	v_add_f32_e32 v60, v60, v143
	v_mul_f32_e32 v143, v99, v139
	s_waitcnt vmcnt(2)
	v_fma_f32 v62, v99, v140, -v62
	v_fmac_f32_e32 v143, v100, v140
	v_add_f32_e32 v61, v61, v62
	v_add_f32_e32 v60, v60, v143
	s_waitcnt vmcnt(1)
	v_sub_f32_e32 v61, v141, v61
	s_waitcnt vmcnt(0)
	v_sub_f32_e32 v60, v142, v60
	buffer_store_dword v61, off, s[0:3], 0 offset:64
	buffer_store_dword v60, off, s[0:3], 0 offset:68
	s_and_saveexec_b64 s[4:5], vcc
	s_cbranch_execz .LBB92_173
; %bb.172:
	buffer_load_dword v60, off, s[0:3], 0 offset:56
	buffer_load_dword v61, off, s[0:3], 0 offset:60
	v_mov_b32_e32 v62, 0
	buffer_store_dword v62, off, s[0:3], 0 offset:56
	buffer_store_dword v62, off, s[0:3], 0 offset:60
	s_waitcnt vmcnt(2)
	ds_write_b64 v59, v[60:61]
.LBB92_173:
	s_or_b64 exec, exec, s[4:5]
	s_waitcnt lgkmcnt(0)
	; wave barrier
	buffer_load_dword v103, off, s[0:3], 0 offset:68
	buffer_load_dword v104, off, s[0:3], 0 offset:76
	;; [unrolled: 1-line block ×44, first 2 shown]
	v_mov_b32_e32 v60, 0
	ds_read_b128 v[61:64], v60 offset:304
	ds_read_b128 v[65:68], v60 offset:320
	;; [unrolled: 1-line block ×8, first 2 shown]
	v_cmp_lt_u32_e32 vcc, 6, v0
	s_waitcnt vmcnt(43) lgkmcnt(7)
	v_mul_f32_e32 v93, v61, v103
	s_waitcnt vmcnt(42)
	v_mul_f32_e32 v94, v63, v104
	s_waitcnt vmcnt(41) lgkmcnt(6)
	v_mul_f32_e32 v95, v65, v105
	s_waitcnt vmcnt(40)
	v_mul_f32_e32 v96, v67, v106
	;; [unrolled: 4-line block ×7, first 2 shown]
	s_waitcnt vmcnt(29)
	v_fmac_f32_e32 v93, v62, v117
	v_mul_f32_e32 v62, v62, v103
	v_fma_f32 v61, v61, v117, -v62
	v_mul_f32_e32 v62, v64, v104
	v_add_f32_e32 v61, 0, v61
	s_waitcnt vmcnt(28)
	v_fma_f32 v62, v63, v118, -v62
	v_add_f32_e32 v61, v61, v62
	v_mul_f32_e32 v62, v66, v105
	s_waitcnt vmcnt(27)
	v_fma_f32 v62, v65, v119, -v62
	v_add_f32_e32 v61, v61, v62
	v_mul_f32_e32 v62, v68, v106
	;; [unrolled: 4-line block ×4, first 2 shown]
	s_waitcnt vmcnt(24)
	v_fma_f32 v62, v71, v122, -v62
	v_fmac_f32_e32 v94, v64, v118
	v_add_f32_e32 v93, 0, v93
	v_add_f32_e32 v61, v61, v62
	v_mul_f32_e32 v62, v74, v109
	v_fmac_f32_e32 v95, v66, v119
	v_add_f32_e32 v93, v93, v94
	s_waitcnt vmcnt(23)
	v_fma_f32 v62, v73, v123, -v62
	v_fmac_f32_e32 v96, v68, v120
	v_add_f32_e32 v93, v93, v95
	v_add_f32_e32 v61, v61, v62
	v_mul_f32_e32 v62, v76, v110
	v_fmac_f32_e32 v97, v70, v121
	v_add_f32_e32 v93, v93, v96
	;; [unrolled: 8-line block ×4, first 2 shown]
	s_waitcnt vmcnt(20)
	v_fma_f32 v62, v79, v126, -v62
	v_fmac_f32_e32 v102, v80, v126
	v_add_f32_e32 v93, v93, v101
	v_add_f32_e32 v61, v61, v62
	v_mul_f32_e32 v62, v82, v113
	s_waitcnt vmcnt(19)
	v_fmac_f32_e32 v147, v82, v127
	v_add_f32_e32 v93, v93, v102
	v_fma_f32 v62, v81, v127, -v62
	s_waitcnt vmcnt(18)
	v_fmac_f32_e32 v148, v84, v128
	v_add_f32_e32 v93, v93, v147
	v_add_f32_e32 v61, v61, v62
	v_mul_f32_e32 v62, v84, v114
	s_waitcnt vmcnt(17)
	v_fmac_f32_e32 v149, v86, v129
	v_add_f32_e32 v93, v93, v148
	v_fma_f32 v62, v83, v128, -v62
	v_add_f32_e32 v93, v93, v149
	s_waitcnt vmcnt(16)
	v_fmac_f32_e32 v150, v88, v130
	s_waitcnt vmcnt(15) lgkmcnt(0)
	v_mul_f32_e32 v94, v89, v131
	v_add_f32_e32 v61, v61, v62
	v_mul_f32_e32 v62, v86, v115
	v_add_f32_e32 v93, v93, v150
	s_waitcnt vmcnt(14)
	v_fmac_f32_e32 v94, v90, v132
	v_fma_f32 v62, v85, v129, -v62
	v_add_f32_e32 v97, v93, v94
	ds_read_b128 v[93:96], v60 offset:432
	v_add_f32_e32 v61, v61, v62
	v_mul_f32_e32 v62, v88, v116
	v_fma_f32 v62, v87, v130, -v62
	v_add_f32_e32 v61, v61, v62
	v_mul_f32_e32 v62, v90, v131
	s_waitcnt vmcnt(13)
	v_mul_f32_e32 v98, v91, v133
	v_fma_f32 v62, v89, v132, -v62
	s_waitcnt vmcnt(12)
	v_fmac_f32_e32 v98, v92, v134
	v_add_f32_e32 v61, v61, v62
	v_mul_f32_e32 v62, v92, v133
	v_add_f32_e32 v101, v97, v98
	ds_read_b128 v[97:100], v60 offset:448
	s_waitcnt vmcnt(11) lgkmcnt(1)
	v_mul_f32_e32 v102, v93, v135
	v_fma_f32 v62, v91, v134, -v62
	s_waitcnt vmcnt(10)
	v_fmac_f32_e32 v102, v94, v136
	v_add_f32_e32 v61, v61, v62
	v_mul_f32_e32 v62, v94, v135
	v_add_f32_e32 v101, v101, v102
	s_waitcnt vmcnt(9)
	v_mul_f32_e32 v102, v95, v137
	v_fma_f32 v62, v93, v136, -v62
	s_waitcnt vmcnt(8)
	v_fmac_f32_e32 v102, v96, v138
	v_add_f32_e32 v61, v61, v62
	v_mul_f32_e32 v62, v96, v137
	v_add_f32_e32 v147, v101, v102
	ds_read_b64 v[101:102], v60 offset:464
	v_fma_f32 v62, v95, v138, -v62
	v_add_f32_e32 v61, v61, v62
	s_waitcnt vmcnt(7) lgkmcnt(1)
	v_mul_f32_e32 v62, v98, v139
	v_mul_f32_e32 v148, v97, v139
	s_waitcnt vmcnt(6)
	v_fma_f32 v62, v97, v140, -v62
	v_fmac_f32_e32 v148, v98, v140
	v_add_f32_e32 v61, v61, v62
	s_waitcnt vmcnt(5)
	v_mul_f32_e32 v62, v100, v141
	v_add_f32_e32 v147, v147, v148
	v_mul_f32_e32 v148, v99, v141
	s_waitcnt vmcnt(4)
	v_fma_f32 v62, v99, v142, -v62
	v_fmac_f32_e32 v148, v100, v142
	v_add_f32_e32 v61, v61, v62
	s_waitcnt vmcnt(3) lgkmcnt(0)
	v_mul_f32_e32 v62, v102, v143
	v_add_f32_e32 v147, v147, v148
	v_mul_f32_e32 v148, v101, v143
	s_waitcnt vmcnt(2)
	v_fma_f32 v62, v101, v144, -v62
	v_fmac_f32_e32 v148, v102, v144
	v_add_f32_e32 v61, v61, v62
	v_add_f32_e32 v147, v147, v148
	s_waitcnt vmcnt(1)
	v_sub_f32_e32 v61, v145, v61
	s_waitcnt vmcnt(0)
	v_sub_f32_e32 v62, v146, v147
	buffer_store_dword v61, off, s[0:3], 0 offset:56
	buffer_store_dword v62, off, s[0:3], 0 offset:60
	s_and_saveexec_b64 s[4:5], vcc
	s_cbranch_execz .LBB92_175
; %bb.174:
	buffer_load_dword v61, off, s[0:3], 0 offset:48
	buffer_load_dword v62, off, s[0:3], 0 offset:52
	s_waitcnt vmcnt(0)
	ds_write_b64 v59, v[61:62]
	buffer_store_dword v60, off, s[0:3], 0 offset:48
	buffer_store_dword v60, off, s[0:3], 0 offset:52
.LBB92_175:
	s_or_b64 exec, exec, s[4:5]
	s_waitcnt lgkmcnt(0)
	; wave barrier
	buffer_load_dword v105, off, s[0:3], 0 offset:60
	buffer_load_dword v106, off, s[0:3], 0 offset:68
	;; [unrolled: 1-line block ×46, first 2 shown]
	ds_read2_b64 v[61:64], v60 offset0:37 offset1:38
	ds_read2_b64 v[65:68], v60 offset0:39 offset1:40
	;; [unrolled: 1-line block ×8, first 2 shown]
	v_cmp_lt_u32_e32 vcc, 5, v0
	s_waitcnt vmcnt(45) lgkmcnt(7)
	v_mul_f32_e32 v93, v61, v105
	s_waitcnt vmcnt(44)
	v_mul_f32_e32 v94, v63, v106
	s_waitcnt vmcnt(43) lgkmcnt(6)
	v_mul_f32_e32 v95, v65, v107
	s_waitcnt vmcnt(42)
	v_mul_f32_e32 v96, v67, v108
	;; [unrolled: 4-line block ×6, first 2 shown]
	s_waitcnt vmcnt(33) lgkmcnt(1)
	v_mul_f32_e32 v151, v85, v117
	s_waitcnt vmcnt(32)
	v_fmac_f32_e32 v93, v62, v118
	v_mul_f32_e32 v62, v62, v105
	v_fma_f32 v61, v61, v118, -v62
	v_mul_f32_e32 v62, v64, v106
	v_add_f32_e32 v61, 0, v61
	s_waitcnt vmcnt(31)
	v_fma_f32 v62, v63, v119, -v62
	v_add_f32_e32 v61, v61, v62
	v_mul_f32_e32 v62, v66, v107
	s_waitcnt vmcnt(30)
	v_fma_f32 v62, v65, v120, -v62
	v_add_f32_e32 v61, v61, v62
	v_mul_f32_e32 v62, v68, v108
	;; [unrolled: 4-line block ×4, first 2 shown]
	v_fmac_f32_e32 v94, v64, v119
	v_add_f32_e32 v93, 0, v93
	s_waitcnt vmcnt(27)
	v_fma_f32 v62, v71, v123, -v62
	v_fmac_f32_e32 v95, v66, v120
	v_add_f32_e32 v93, v93, v94
	v_add_f32_e32 v61, v61, v62
	v_mul_f32_e32 v62, v74, v111
	v_fmac_f32_e32 v96, v68, v121
	v_add_f32_e32 v93, v93, v95
	s_waitcnt vmcnt(26)
	v_fma_f32 v62, v73, v124, -v62
	v_fmac_f32_e32 v97, v70, v122
	v_add_f32_e32 v93, v93, v96
	v_add_f32_e32 v61, v61, v62
	v_mul_f32_e32 v62, v76, v112
	;; [unrolled: 8-line block ×4, first 2 shown]
	s_waitcnt vmcnt(23)
	v_fmac_f32_e32 v102, v80, v127
	v_add_f32_e32 v93, v93, v101
	v_fma_f32 v62, v79, v127, -v62
	s_waitcnt vmcnt(22)
	v_fmac_f32_e32 v103, v82, v128
	v_add_f32_e32 v93, v93, v102
	v_add_f32_e32 v61, v61, v62
	v_mul_f32_e32 v62, v82, v115
	s_waitcnt vmcnt(21)
	v_fmac_f32_e32 v104, v84, v129
	v_add_f32_e32 v93, v93, v103
	v_fma_f32 v62, v81, v128, -v62
	s_waitcnt vmcnt(20)
	v_fmac_f32_e32 v151, v86, v130
	v_add_f32_e32 v93, v93, v104
	s_waitcnt vmcnt(19)
	v_mul_f32_e32 v94, v87, v131
	v_add_f32_e32 v61, v61, v62
	v_mul_f32_e32 v62, v84, v116
	v_add_f32_e32 v93, v93, v151
	s_waitcnt vmcnt(18)
	v_fmac_f32_e32 v94, v88, v132
	v_fma_f32 v62, v83, v129, -v62
	v_add_f32_e32 v93, v93, v94
	s_waitcnt vmcnt(17) lgkmcnt(0)
	v_mul_f32_e32 v94, v89, v133
	v_add_f32_e32 v61, v61, v62
	v_mul_f32_e32 v62, v86, v117
	s_waitcnt vmcnt(16)
	v_fmac_f32_e32 v94, v90, v134
	v_fma_f32 v62, v85, v130, -v62
	v_add_f32_e32 v97, v93, v94
	ds_read2_b64 v[93:96], v60 offset0:53 offset1:54
	v_add_f32_e32 v61, v61, v62
	v_mul_f32_e32 v62, v88, v131
	v_fma_f32 v62, v87, v132, -v62
	v_add_f32_e32 v61, v61, v62
	v_mul_f32_e32 v62, v90, v133
	s_waitcnt vmcnt(15)
	v_mul_f32_e32 v98, v91, v135
	v_fma_f32 v62, v89, v134, -v62
	s_waitcnt vmcnt(14)
	v_fmac_f32_e32 v98, v92, v136
	v_add_f32_e32 v61, v61, v62
	v_mul_f32_e32 v62, v92, v135
	v_add_f32_e32 v101, v97, v98
	ds_read2_b64 v[97:100], v60 offset0:55 offset1:56
	s_waitcnt vmcnt(13) lgkmcnt(1)
	v_mul_f32_e32 v102, v93, v137
	v_fma_f32 v62, v91, v136, -v62
	s_waitcnt vmcnt(12)
	v_fmac_f32_e32 v102, v94, v138
	v_add_f32_e32 v61, v61, v62
	v_mul_f32_e32 v62, v94, v137
	v_add_f32_e32 v101, v101, v102
	s_waitcnt vmcnt(11)
	v_mul_f32_e32 v102, v95, v139
	v_fma_f32 v62, v93, v138, -v62
	s_waitcnt vmcnt(10)
	v_fmac_f32_e32 v102, v96, v140
	v_add_f32_e32 v61, v61, v62
	v_mul_f32_e32 v62, v96, v139
	v_add_f32_e32 v151, v101, v102
	ds_read2_b64 v[101:104], v60 offset0:57 offset1:58
	v_fma_f32 v62, v95, v140, -v62
	v_add_f32_e32 v61, v61, v62
	s_waitcnt vmcnt(9) lgkmcnt(1)
	v_mul_f32_e32 v62, v98, v141
	v_mul_f32_e32 v152, v97, v141
	s_waitcnt vmcnt(8)
	v_fma_f32 v62, v97, v142, -v62
	v_fmac_f32_e32 v152, v98, v142
	v_add_f32_e32 v61, v61, v62
	s_waitcnt vmcnt(7)
	v_mul_f32_e32 v62, v100, v143
	v_add_f32_e32 v60, v151, v152
	v_mul_f32_e32 v151, v99, v143
	s_waitcnt vmcnt(6)
	v_fma_f32 v62, v99, v144, -v62
	v_fmac_f32_e32 v151, v100, v144
	v_add_f32_e32 v61, v61, v62
	s_waitcnt vmcnt(5) lgkmcnt(0)
	v_mul_f32_e32 v62, v102, v145
	v_add_f32_e32 v60, v60, v151
	v_mul_f32_e32 v151, v101, v145
	s_waitcnt vmcnt(4)
	v_fma_f32 v62, v101, v146, -v62
	v_fmac_f32_e32 v151, v102, v146
	v_add_f32_e32 v61, v61, v62
	s_waitcnt vmcnt(3)
	v_mul_f32_e32 v62, v104, v147
	v_add_f32_e32 v60, v60, v151
	v_mul_f32_e32 v151, v103, v147
	s_waitcnt vmcnt(2)
	v_fma_f32 v62, v103, v148, -v62
	v_fmac_f32_e32 v151, v104, v148
	v_add_f32_e32 v61, v61, v62
	v_add_f32_e32 v60, v60, v151
	s_waitcnt vmcnt(1)
	v_sub_f32_e32 v61, v149, v61
	s_waitcnt vmcnt(0)
	v_sub_f32_e32 v60, v150, v60
	buffer_store_dword v61, off, s[0:3], 0 offset:48
	buffer_store_dword v60, off, s[0:3], 0 offset:52
	s_and_saveexec_b64 s[4:5], vcc
	s_cbranch_execz .LBB92_177
; %bb.176:
	buffer_load_dword v60, off, s[0:3], 0 offset:40
	buffer_load_dword v61, off, s[0:3], 0 offset:44
	v_mov_b32_e32 v62, 0
	buffer_store_dword v62, off, s[0:3], 0 offset:40
	buffer_store_dword v62, off, s[0:3], 0 offset:44
	s_waitcnt vmcnt(2)
	ds_write_b64 v59, v[60:61]
.LBB92_177:
	s_or_b64 exec, exec, s[4:5]
	s_waitcnt lgkmcnt(0)
	; wave barrier
	buffer_load_dword v107, off, s[0:3], 0 offset:52
	buffer_load_dword v108, off, s[0:3], 0 offset:60
	;; [unrolled: 1-line block ×48, first 2 shown]
	v_mov_b32_e32 v60, 0
	ds_read_b128 v[61:64], v60 offset:288
	ds_read_b128 v[65:68], v60 offset:304
	;; [unrolled: 1-line block ×7, first 2 shown]
	v_cmp_lt_u32_e32 vcc, 4, v0
	s_waitcnt vmcnt(47) lgkmcnt(6)
	v_mul_f32_e32 v89, v61, v107
	s_waitcnt vmcnt(46)
	v_mul_f32_e32 v90, v63, v108
	s_waitcnt vmcnt(45) lgkmcnt(5)
	v_mul_f32_e32 v91, v65, v109
	s_waitcnt vmcnt(44)
	v_mul_f32_e32 v92, v67, v110
	;; [unrolled: 4-line block ×6, first 2 shown]
	s_waitcnt vmcnt(35)
	v_fmac_f32_e32 v89, v62, v119
	v_mul_f32_e32 v62, v62, v107
	v_fma_f32 v61, v61, v119, -v62
	v_mul_f32_e32 v62, v64, v108
	v_add_f32_e32 v61, 0, v61
	s_waitcnt vmcnt(34)
	v_fma_f32 v62, v63, v120, -v62
	v_add_f32_e32 v61, v61, v62
	v_mul_f32_e32 v62, v66, v109
	s_waitcnt vmcnt(33)
	v_fma_f32 v62, v65, v121, -v62
	v_fmac_f32_e32 v90, v64, v120
	v_add_f32_e32 v89, 0, v89
	v_add_f32_e32 v61, v61, v62
	v_mul_f32_e32 v62, v68, v110
	v_fmac_f32_e32 v91, v66, v121
	v_add_f32_e32 v89, v89, v90
	s_waitcnt vmcnt(32)
	v_fma_f32 v62, v67, v122, -v62
	v_fmac_f32_e32 v92, v68, v122
	v_add_f32_e32 v89, v89, v91
	v_add_f32_e32 v61, v61, v62
	v_mul_f32_e32 v62, v70, v111
	s_waitcnt vmcnt(31)
	v_fmac_f32_e32 v93, v70, v123
	v_add_f32_e32 v89, v89, v92
	v_fma_f32 v62, v69, v123, -v62
	s_waitcnt vmcnt(30)
	v_fmac_f32_e32 v94, v72, v124
	v_add_f32_e32 v89, v89, v93
	v_add_f32_e32 v61, v61, v62
	v_mul_f32_e32 v62, v72, v112
	s_waitcnt vmcnt(29)
	v_fmac_f32_e32 v95, v74, v125
	v_add_f32_e32 v89, v89, v94
	v_fma_f32 v62, v71, v124, -v62
	s_waitcnt vmcnt(28)
	;; [unrolled: 9-line block ×4, first 2 shown]
	v_fmac_f32_e32 v100, v84, v130
	v_add_f32_e32 v89, v89, v99
	v_add_f32_e32 v61, v61, v62
	v_mul_f32_e32 v62, v78, v115
	v_add_f32_e32 v93, v89, v100
	ds_read_b128 v[89:92], v60 offset:400
	v_fma_f32 v62, v77, v127, -v62
	s_waitcnt vmcnt(23) lgkmcnt(1)
	v_mul_f32_e32 v94, v85, v131
	v_add_f32_e32 v61, v61, v62
	v_mul_f32_e32 v62, v80, v116
	s_waitcnt vmcnt(22)
	v_fmac_f32_e32 v94, v86, v132
	v_fma_f32 v62, v79, v128, -v62
	v_add_f32_e32 v93, v93, v94
	s_waitcnt vmcnt(21)
	v_mul_f32_e32 v94, v87, v133
	v_add_f32_e32 v61, v61, v62
	v_mul_f32_e32 v62, v82, v117
	s_waitcnt vmcnt(20)
	v_fmac_f32_e32 v94, v88, v134
	v_fma_f32 v62, v81, v129, -v62
	v_add_f32_e32 v93, v93, v94
	s_waitcnt vmcnt(19) lgkmcnt(0)
	v_mul_f32_e32 v94, v89, v135
	v_add_f32_e32 v61, v61, v62
	v_mul_f32_e32 v62, v84, v118
	s_waitcnt vmcnt(18)
	v_fmac_f32_e32 v94, v90, v136
	v_fma_f32 v62, v83, v130, -v62
	v_add_f32_e32 v97, v93, v94
	ds_read_b128 v[93:96], v60 offset:416
	v_add_f32_e32 v61, v61, v62
	v_mul_f32_e32 v62, v86, v131
	v_fma_f32 v62, v85, v132, -v62
	s_waitcnt vmcnt(17)
	v_mul_f32_e32 v98, v91, v137
	v_add_f32_e32 v61, v61, v62
	v_mul_f32_e32 v62, v88, v133
	s_waitcnt vmcnt(16)
	v_fmac_f32_e32 v98, v92, v138
	v_fma_f32 v62, v87, v134, -v62
	v_add_f32_e32 v101, v97, v98
	ds_read_b128 v[97:100], v60 offset:432
	v_add_f32_e32 v61, v61, v62
	v_mul_f32_e32 v62, v90, v135
	s_waitcnt vmcnt(15) lgkmcnt(1)
	v_mul_f32_e32 v102, v93, v139
	v_fma_f32 v62, v89, v136, -v62
	s_waitcnt vmcnt(14)
	v_fmac_f32_e32 v102, v94, v140
	v_add_f32_e32 v61, v61, v62
	v_mul_f32_e32 v62, v92, v137
	v_add_f32_e32 v101, v101, v102
	s_waitcnt vmcnt(13)
	v_mul_f32_e32 v102, v95, v141
	v_fma_f32 v62, v91, v138, -v62
	s_waitcnt vmcnt(12)
	v_fmac_f32_e32 v102, v96, v142
	v_add_f32_e32 v61, v61, v62
	v_mul_f32_e32 v62, v94, v139
	v_add_f32_e32 v101, v101, v102
	s_waitcnt vmcnt(11) lgkmcnt(0)
	v_mul_f32_e32 v102, v97, v143
	v_fma_f32 v62, v93, v140, -v62
	s_waitcnt vmcnt(10)
	v_fmac_f32_e32 v102, v98, v144
	v_add_f32_e32 v61, v61, v62
	v_mul_f32_e32 v62, v96, v141
	v_add_f32_e32 v105, v101, v102
	ds_read_b128 v[101:104], v60 offset:448
	v_fma_f32 v62, v95, v142, -v62
	v_add_f32_e32 v61, v61, v62
	v_mul_f32_e32 v62, v98, v143
	s_waitcnt vmcnt(9)
	v_mul_f32_e32 v106, v99, v145
	v_fma_f32 v62, v97, v144, -v62
	s_waitcnt vmcnt(8)
	v_fmac_f32_e32 v106, v100, v146
	v_add_f32_e32 v61, v61, v62
	v_mul_f32_e32 v62, v100, v145
	v_add_f32_e32 v155, v105, v106
	ds_read_b64 v[105:106], v60 offset:464
	v_fma_f32 v62, v99, v146, -v62
	v_add_f32_e32 v61, v61, v62
	s_waitcnt vmcnt(6) lgkmcnt(1)
	v_mul_f32_e32 v62, v102, v148
	v_mul_f32_e32 v156, v101, v148
	v_fma_f32 v62, v101, v147, -v62
	v_fmac_f32_e32 v156, v102, v147
	v_add_f32_e32 v61, v61, v62
	s_waitcnt vmcnt(3)
	v_mul_f32_e32 v62, v104, v151
	v_add_f32_e32 v155, v155, v156
	v_mul_f32_e32 v156, v103, v151
	s_waitcnt vmcnt(2)
	v_fma_f32 v62, v103, v152, -v62
	v_fmac_f32_e32 v156, v104, v152
	v_add_f32_e32 v61, v61, v62
	s_waitcnt vmcnt(0) lgkmcnt(0)
	v_mul_f32_e32 v62, v106, v154
	v_add_f32_e32 v155, v155, v156
	v_mul_f32_e32 v156, v105, v154
	v_fma_f32 v62, v105, v153, -v62
	v_fmac_f32_e32 v156, v106, v153
	v_add_f32_e32 v61, v61, v62
	v_add_f32_e32 v155, v155, v156
	v_sub_f32_e32 v61, v149, v61
	v_sub_f32_e32 v62, v150, v155
	buffer_store_dword v61, off, s[0:3], 0 offset:40
	buffer_store_dword v62, off, s[0:3], 0 offset:44
	s_and_saveexec_b64 s[4:5], vcc
	s_cbranch_execz .LBB92_179
; %bb.178:
	buffer_load_dword v61, off, s[0:3], 0 offset:32
	buffer_load_dword v62, off, s[0:3], 0 offset:36
	s_waitcnt vmcnt(0)
	ds_write_b64 v59, v[61:62]
	buffer_store_dword v60, off, s[0:3], 0 offset:32
	buffer_store_dword v60, off, s[0:3], 0 offset:36
.LBB92_179:
	s_or_b64 exec, exec, s[4:5]
	s_waitcnt lgkmcnt(0)
	; wave barrier
	buffer_load_dword v109, off, s[0:3], 0 offset:44
	buffer_load_dword v110, off, s[0:3], 0 offset:52
	;; [unrolled: 1-line block ×48, first 2 shown]
	ds_read2_b64 v[61:64], v60 offset0:35 offset1:36
	ds_read2_b64 v[65:68], v60 offset0:37 offset1:38
	buffer_load_dword v157, off, s[0:3], 0 offset:224
	buffer_load_dword v158, off, s[0:3], 0 offset:228
	ds_read2_b64 v[69:72], v60 offset0:39 offset1:40
	ds_read2_b64 v[73:76], v60 offset0:41 offset1:42
	;; [unrolled: 1-line block ×5, first 2 shown]
	v_cmp_lt_u32_e32 vcc, 3, v0
	s_waitcnt vmcnt(49) lgkmcnt(6)
	v_mul_f32_e32 v89, v61, v109
	s_waitcnt vmcnt(48)
	v_mul_f32_e32 v90, v63, v110
	s_waitcnt vmcnt(47) lgkmcnt(5)
	v_mul_f32_e32 v91, v65, v111
	s_waitcnt vmcnt(46)
	v_mul_f32_e32 v92, v67, v112
	;; [unrolled: 4-line block ×6, first 2 shown]
	s_waitcnt vmcnt(37)
	v_fmac_f32_e32 v89, v62, v121
	v_mul_f32_e32 v62, v62, v109
	v_fma_f32 v61, v61, v121, -v62
	v_mul_f32_e32 v62, v64, v110
	v_add_f32_e32 v61, 0, v61
	s_waitcnt vmcnt(36)
	v_fma_f32 v62, v63, v122, -v62
	v_add_f32_e32 v61, v61, v62
	v_mul_f32_e32 v62, v66, v111
	s_waitcnt vmcnt(35)
	v_fma_f32 v62, v65, v123, -v62
	v_fmac_f32_e32 v90, v64, v122
	v_add_f32_e32 v89, 0, v89
	v_add_f32_e32 v61, v61, v62
	v_mul_f32_e32 v62, v68, v112
	v_fmac_f32_e32 v91, v66, v123
	v_add_f32_e32 v89, v89, v90
	s_waitcnt vmcnt(34)
	v_fma_f32 v62, v67, v124, -v62
	v_fmac_f32_e32 v92, v68, v124
	v_add_f32_e32 v89, v89, v91
	v_add_f32_e32 v61, v61, v62
	v_mul_f32_e32 v62, v70, v113
	s_waitcnt vmcnt(33)
	v_fmac_f32_e32 v93, v70, v125
	v_add_f32_e32 v89, v89, v92
	v_fma_f32 v62, v69, v125, -v62
	s_waitcnt vmcnt(32)
	v_fmac_f32_e32 v94, v72, v126
	v_add_f32_e32 v89, v89, v93
	v_add_f32_e32 v61, v61, v62
	v_mul_f32_e32 v62, v72, v114
	s_waitcnt vmcnt(31)
	v_fmac_f32_e32 v95, v74, v127
	v_add_f32_e32 v89, v89, v94
	v_fma_f32 v62, v71, v126, -v62
	s_waitcnt vmcnt(30)
	;; [unrolled: 9-line block ×3, first 2 shown]
	v_fmac_f32_e32 v98, v80, v130
	v_add_f32_e32 v89, v89, v97
	v_add_f32_e32 v61, v61, v62
	v_mul_f32_e32 v62, v76, v116
	s_waitcnt vmcnt(27)
	v_fmac_f32_e32 v99, v82, v131
	v_add_f32_e32 v89, v89, v98
	v_fma_f32 v62, v75, v128, -v62
	v_add_f32_e32 v89, v89, v99
	s_waitcnt vmcnt(26)
	v_fmac_f32_e32 v100, v84, v132
	v_add_f32_e32 v61, v61, v62
	v_mul_f32_e32 v62, v78, v117
	v_add_f32_e32 v93, v89, v100
	ds_read2_b64 v[89:92], v60 offset0:49 offset1:50
	v_fma_f32 v62, v77, v129, -v62
	s_waitcnt vmcnt(25) lgkmcnt(1)
	v_mul_f32_e32 v94, v85, v133
	v_add_f32_e32 v61, v61, v62
	v_mul_f32_e32 v62, v80, v118
	s_waitcnt vmcnt(24)
	v_fmac_f32_e32 v94, v86, v134
	v_fma_f32 v62, v79, v130, -v62
	v_add_f32_e32 v93, v93, v94
	s_waitcnt vmcnt(23)
	v_mul_f32_e32 v94, v87, v135
	v_add_f32_e32 v61, v61, v62
	v_mul_f32_e32 v62, v82, v119
	s_waitcnt vmcnt(22)
	v_fmac_f32_e32 v94, v88, v136
	v_fma_f32 v62, v81, v131, -v62
	v_add_f32_e32 v93, v93, v94
	s_waitcnt vmcnt(21) lgkmcnt(0)
	v_mul_f32_e32 v94, v89, v137
	v_add_f32_e32 v61, v61, v62
	v_mul_f32_e32 v62, v84, v120
	s_waitcnt vmcnt(20)
	v_fmac_f32_e32 v94, v90, v138
	v_fma_f32 v62, v83, v132, -v62
	v_add_f32_e32 v97, v93, v94
	ds_read2_b64 v[93:96], v60 offset0:51 offset1:52
	v_add_f32_e32 v61, v61, v62
	v_mul_f32_e32 v62, v86, v133
	v_fma_f32 v62, v85, v134, -v62
	s_waitcnt vmcnt(19)
	v_mul_f32_e32 v98, v91, v139
	v_add_f32_e32 v61, v61, v62
	v_mul_f32_e32 v62, v88, v135
	s_waitcnt vmcnt(18)
	v_fmac_f32_e32 v98, v92, v140
	v_fma_f32 v62, v87, v136, -v62
	v_add_f32_e32 v101, v97, v98
	ds_read2_b64 v[97:100], v60 offset0:53 offset1:54
	v_add_f32_e32 v61, v61, v62
	v_mul_f32_e32 v62, v90, v137
	s_waitcnt vmcnt(17) lgkmcnt(1)
	v_mul_f32_e32 v102, v93, v141
	v_fma_f32 v62, v89, v138, -v62
	s_waitcnt vmcnt(16)
	v_fmac_f32_e32 v102, v94, v142
	v_add_f32_e32 v61, v61, v62
	v_mul_f32_e32 v62, v92, v139
	v_add_f32_e32 v101, v101, v102
	s_waitcnt vmcnt(15)
	v_mul_f32_e32 v102, v95, v143
	v_fma_f32 v62, v91, v140, -v62
	s_waitcnt vmcnt(14)
	v_fmac_f32_e32 v102, v96, v144
	v_add_f32_e32 v61, v61, v62
	v_mul_f32_e32 v62, v94, v141
	v_add_f32_e32 v101, v101, v102
	s_waitcnt vmcnt(13) lgkmcnt(0)
	v_mul_f32_e32 v102, v97, v145
	v_fma_f32 v62, v93, v142, -v62
	s_waitcnt vmcnt(12)
	v_fmac_f32_e32 v102, v98, v146
	v_add_f32_e32 v61, v61, v62
	v_mul_f32_e32 v62, v96, v143
	v_add_f32_e32 v105, v101, v102
	ds_read2_b64 v[101:104], v60 offset0:55 offset1:56
	v_fma_f32 v62, v95, v144, -v62
	v_add_f32_e32 v61, v61, v62
	v_mul_f32_e32 v62, v98, v145
	s_waitcnt vmcnt(11)
	v_mul_f32_e32 v106, v99, v147
	v_fma_f32 v62, v97, v146, -v62
	s_waitcnt vmcnt(10)
	v_fmac_f32_e32 v106, v100, v148
	v_add_f32_e32 v61, v61, v62
	v_mul_f32_e32 v62, v100, v147
	v_add_f32_e32 v159, v105, v106
	ds_read2_b64 v[105:108], v60 offset0:57 offset1:58
	v_fma_f32 v62, v99, v148, -v62
	v_add_f32_e32 v61, v61, v62
	s_waitcnt vmcnt(7) lgkmcnt(1)
	v_mul_f32_e32 v62, v102, v151
	v_mul_f32_e32 v60, v101, v151
	s_waitcnt vmcnt(6)
	v_fma_f32 v62, v101, v152, -v62
	v_fmac_f32_e32 v60, v102, v152
	v_add_f32_e32 v61, v61, v62
	s_waitcnt vmcnt(4)
	v_mul_f32_e32 v62, v104, v154
	v_add_f32_e32 v60, v159, v60
	v_mul_f32_e32 v159, v103, v154
	v_fma_f32 v62, v103, v153, -v62
	v_fmac_f32_e32 v159, v104, v153
	v_add_f32_e32 v61, v61, v62
	s_waitcnt vmcnt(2) lgkmcnt(0)
	v_mul_f32_e32 v62, v106, v156
	v_add_f32_e32 v60, v60, v159
	v_mul_f32_e32 v159, v105, v156
	v_fma_f32 v62, v105, v155, -v62
	v_fmac_f32_e32 v159, v106, v155
	v_add_f32_e32 v61, v61, v62
	s_waitcnt vmcnt(0)
	v_mul_f32_e32 v62, v108, v158
	v_add_f32_e32 v60, v60, v159
	v_mul_f32_e32 v159, v107, v158
	v_fma_f32 v62, v107, v157, -v62
	v_fmac_f32_e32 v159, v108, v157
	v_add_f32_e32 v61, v61, v62
	v_add_f32_e32 v60, v60, v159
	v_sub_f32_e32 v61, v149, v61
	v_sub_f32_e32 v60, v150, v60
	buffer_store_dword v61, off, s[0:3], 0 offset:32
	buffer_store_dword v60, off, s[0:3], 0 offset:36
	s_and_saveexec_b64 s[4:5], vcc
	s_cbranch_execz .LBB92_181
; %bb.180:
	buffer_load_dword v60, off, s[0:3], 0 offset:24
	buffer_load_dword v61, off, s[0:3], 0 offset:28
	v_mov_b32_e32 v62, 0
	buffer_store_dword v62, off, s[0:3], 0 offset:24
	buffer_store_dword v62, off, s[0:3], 0 offset:28
	s_waitcnt vmcnt(2)
	ds_write_b64 v59, v[60:61]
.LBB92_181:
	s_or_b64 exec, exec, s[4:5]
	s_waitcnt lgkmcnt(0)
	; wave barrier
	buffer_load_dword v111, off, s[0:3], 0 offset:36
	buffer_load_dword v112, off, s[0:3], 0 offset:44
	;; [unrolled: 1-line block ×52, first 2 shown]
	v_mov_b32_e32 v60, 0
	ds_read_b128 v[61:64], v60 offset:272
	ds_read_b128 v[65:68], v60 offset:288
	;; [unrolled: 1-line block ×6, first 2 shown]
	v_cmp_lt_u32_e32 vcc, 2, v0
	s_waitcnt vmcnt(51) lgkmcnt(5)
	v_mul_f32_e32 v85, v61, v111
	s_waitcnt vmcnt(50)
	v_mul_f32_e32 v86, v63, v112
	s_waitcnt vmcnt(49) lgkmcnt(4)
	v_mul_f32_e32 v87, v65, v113
	s_waitcnt vmcnt(48)
	v_mul_f32_e32 v88, v67, v114
	;; [unrolled: 4-line block ×5, first 2 shown]
	s_waitcnt vmcnt(41) lgkmcnt(0)
	v_mul_f32_e32 v95, v81, v121
	s_waitcnt vmcnt(40)
	v_fmac_f32_e32 v85, v62, v122
	v_mul_f32_e32 v62, v62, v111
	s_waitcnt vmcnt(39)
	v_fmac_f32_e32 v86, v64, v123
	v_add_f32_e32 v85, 0, v85
	v_fma_f32 v61, v61, v122, -v62
	v_mul_f32_e32 v62, v64, v112
	s_waitcnt vmcnt(38)
	v_fmac_f32_e32 v87, v66, v124
	v_add_f32_e32 v85, v85, v86
	v_add_f32_e32 v61, 0, v61
	v_fma_f32 v62, v63, v123, -v62
	s_waitcnt vmcnt(37)
	v_fmac_f32_e32 v88, v68, v125
	v_add_f32_e32 v85, v85, v87
	v_add_f32_e32 v61, v61, v62
	v_mul_f32_e32 v62, v66, v113
	s_waitcnt vmcnt(36)
	v_fmac_f32_e32 v89, v70, v126
	v_add_f32_e32 v85, v85, v88
	v_fma_f32 v62, v65, v124, -v62
	s_waitcnt vmcnt(35)
	v_fmac_f32_e32 v90, v72, v127
	v_add_f32_e32 v85, v85, v89
	v_add_f32_e32 v61, v61, v62
	v_mul_f32_e32 v62, v68, v114
	s_waitcnt vmcnt(34)
	v_fmac_f32_e32 v91, v74, v128
	;; [unrolled: 9-line block ×3, first 2 shown]
	v_add_f32_e32 v85, v85, v92
	v_fma_f32 v62, v69, v126, -v62
	s_waitcnt vmcnt(31)
	v_fmac_f32_e32 v94, v80, v131
	v_add_f32_e32 v85, v85, v93
	v_add_f32_e32 v61, v61, v62
	v_mul_f32_e32 v62, v72, v116
	v_add_f32_e32 v85, v85, v94
	s_waitcnt vmcnt(30)
	v_fmac_f32_e32 v95, v82, v132
	v_fma_f32 v62, v71, v127, -v62
	v_add_f32_e32 v89, v85, v95
	ds_read_b128 v[85:88], v60 offset:368
	v_add_f32_e32 v61, v61, v62
	v_mul_f32_e32 v62, v74, v117
	v_fma_f32 v62, v73, v128, -v62
	s_waitcnt vmcnt(29)
	v_mul_f32_e32 v90, v83, v133
	v_add_f32_e32 v61, v61, v62
	v_mul_f32_e32 v62, v76, v118
	s_waitcnt vmcnt(28)
	v_fmac_f32_e32 v90, v84, v134
	v_fma_f32 v62, v75, v129, -v62
	v_add_f32_e32 v93, v89, v90
	ds_read_b128 v[89:92], v60 offset:384
	v_add_f32_e32 v61, v61, v62
	v_mul_f32_e32 v62, v78, v119
	s_waitcnt vmcnt(27) lgkmcnt(1)
	v_mul_f32_e32 v94, v85, v135
	v_fma_f32 v62, v77, v130, -v62
	s_waitcnt vmcnt(26)
	v_fmac_f32_e32 v94, v86, v136
	v_add_f32_e32 v61, v61, v62
	v_mul_f32_e32 v62, v80, v120
	v_add_f32_e32 v93, v93, v94
	s_waitcnt vmcnt(25)
	v_mul_f32_e32 v94, v87, v137
	v_fma_f32 v62, v79, v131, -v62
	s_waitcnt vmcnt(24)
	v_fmac_f32_e32 v94, v88, v138
	v_add_f32_e32 v61, v61, v62
	v_mul_f32_e32 v62, v82, v121
	v_add_f32_e32 v93, v93, v94
	s_waitcnt vmcnt(23) lgkmcnt(0)
	v_mul_f32_e32 v94, v89, v139
	v_fma_f32 v62, v81, v132, -v62
	s_waitcnt vmcnt(22)
	v_fmac_f32_e32 v94, v90, v140
	v_add_f32_e32 v61, v61, v62
	v_mul_f32_e32 v62, v84, v133
	v_add_f32_e32 v97, v93, v94
	ds_read_b128 v[93:96], v60 offset:400
	v_fma_f32 v62, v83, v134, -v62
	v_add_f32_e32 v61, v61, v62
	v_mul_f32_e32 v62, v86, v135
	s_waitcnt vmcnt(21)
	v_mul_f32_e32 v98, v91, v141
	v_fma_f32 v62, v85, v136, -v62
	s_waitcnt vmcnt(20)
	v_fmac_f32_e32 v98, v92, v142
	v_add_f32_e32 v61, v61, v62
	v_mul_f32_e32 v62, v88, v137
	v_add_f32_e32 v101, v97, v98
	ds_read_b128 v[97:100], v60 offset:416
	v_fma_f32 v62, v87, v138, -v62
	s_waitcnt vmcnt(19) lgkmcnt(1)
	v_mul_f32_e32 v102, v93, v143
	v_add_f32_e32 v61, v61, v62
	v_mul_f32_e32 v62, v90, v139
	s_waitcnt vmcnt(18)
	v_fmac_f32_e32 v102, v94, v144
	v_fma_f32 v62, v89, v140, -v62
	v_add_f32_e32 v101, v101, v102
	s_waitcnt vmcnt(17)
	v_mul_f32_e32 v102, v95, v145
	v_add_f32_e32 v61, v61, v62
	v_mul_f32_e32 v62, v92, v141
	s_waitcnt vmcnt(16)
	v_fmac_f32_e32 v102, v96, v146
	v_fma_f32 v62, v91, v142, -v62
	v_add_f32_e32 v101, v101, v102
	s_waitcnt vmcnt(14) lgkmcnt(0)
	v_mul_f32_e32 v102, v97, v148
	v_add_f32_e32 v61, v61, v62
	v_mul_f32_e32 v62, v94, v143
	v_fmac_f32_e32 v102, v98, v147
	v_fma_f32 v62, v93, v144, -v62
	v_add_f32_e32 v105, v101, v102
	ds_read_b128 v[101:104], v60 offset:432
	v_add_f32_e32 v61, v61, v62
	v_mul_f32_e32 v62, v96, v145
	v_fma_f32 v62, v95, v146, -v62
	v_add_f32_e32 v61, v61, v62
	v_mul_f32_e32 v62, v98, v148
	s_waitcnt vmcnt(11)
	v_mul_f32_e32 v106, v99, v151
	v_fma_f32 v62, v97, v147, -v62
	s_waitcnt vmcnt(10)
	v_fmac_f32_e32 v106, v100, v152
	v_add_f32_e32 v61, v61, v62
	v_mul_f32_e32 v62, v100, v151
	v_add_f32_e32 v109, v105, v106
	ds_read_b128 v[105:108], v60 offset:448
	s_waitcnt vmcnt(8) lgkmcnt(1)
	v_mul_f32_e32 v110, v101, v154
	v_fma_f32 v62, v99, v152, -v62
	v_fmac_f32_e32 v110, v102, v153
	v_add_f32_e32 v61, v61, v62
	v_mul_f32_e32 v62, v102, v154
	v_add_f32_e32 v109, v109, v110
	s_waitcnt vmcnt(6)
	v_mul_f32_e32 v110, v103, v156
	v_fma_f32 v62, v101, v153, -v62
	v_fmac_f32_e32 v110, v104, v155
	v_add_f32_e32 v61, v61, v62
	v_mul_f32_e32 v62, v104, v156
	v_add_f32_e32 v163, v109, v110
	ds_read_b64 v[109:110], v60 offset:464
	v_fma_f32 v62, v103, v155, -v62
	v_add_f32_e32 v61, v61, v62
	s_waitcnt vmcnt(4) lgkmcnt(1)
	v_mul_f32_e32 v62, v106, v158
	v_mul_f32_e32 v164, v105, v158
	v_fma_f32 v62, v105, v157, -v62
	v_fmac_f32_e32 v164, v106, v157
	v_add_f32_e32 v61, v61, v62
	s_waitcnt vmcnt(2)
	v_mul_f32_e32 v62, v108, v160
	v_add_f32_e32 v163, v163, v164
	v_mul_f32_e32 v164, v107, v160
	v_fma_f32 v62, v107, v159, -v62
	v_fmac_f32_e32 v164, v108, v159
	v_add_f32_e32 v61, v61, v62
	s_waitcnt vmcnt(0) lgkmcnt(0)
	v_mul_f32_e32 v62, v110, v162
	v_add_f32_e32 v163, v163, v164
	v_mul_f32_e32 v164, v109, v162
	v_fma_f32 v62, v109, v161, -v62
	v_fmac_f32_e32 v164, v110, v161
	v_add_f32_e32 v61, v61, v62
	v_add_f32_e32 v163, v163, v164
	v_sub_f32_e32 v61, v149, v61
	v_sub_f32_e32 v62, v150, v163
	buffer_store_dword v61, off, s[0:3], 0 offset:24
	buffer_store_dword v62, off, s[0:3], 0 offset:28
	s_and_saveexec_b64 s[4:5], vcc
	s_cbranch_execz .LBB92_183
; %bb.182:
	buffer_load_dword v61, off, s[0:3], 0 offset:16
	buffer_load_dword v62, off, s[0:3], 0 offset:20
	s_waitcnt vmcnt(0)
	ds_write_b64 v59, v[61:62]
	buffer_store_dword v60, off, s[0:3], 0 offset:16
	buffer_store_dword v60, off, s[0:3], 0 offset:20
.LBB92_183:
	s_or_b64 exec, exec, s[4:5]
	s_waitcnt lgkmcnt(0)
	; wave barrier
	buffer_load_dword v113, off, s[0:3], 0 offset:28
	buffer_load_dword v114, off, s[0:3], 0 offset:36
	;; [unrolled: 1-line block ×42, first 2 shown]
	ds_read2_b64 v[61:64], v60 offset0:33 offset1:34
	ds_read2_b64 v[65:68], v60 offset0:35 offset1:36
	;; [unrolled: 1-line block ×4, first 2 shown]
	buffer_load_dword v155, off, s[0:3], 0 offset:188
	buffer_load_dword v156, off, s[0:3], 0 offset:184
	;; [unrolled: 1-line block ×6, first 2 shown]
	ds_read2_b64 v[77:80], v60 offset0:41 offset1:42
	ds_read2_b64 v[81:84], v60 offset0:43 offset1:44
	buffer_load_dword v161, off, s[0:3], 0 offset:208
	buffer_load_dword v162, off, s[0:3], 0 offset:212
	;; [unrolled: 1-line block ×6, first 2 shown]
	v_cmp_lt_u32_e32 vcc, 1, v0
	s_waitcnt vmcnt(53) lgkmcnt(5)
	v_mul_f32_e32 v85, v61, v113
	s_waitcnt vmcnt(52)
	v_mul_f32_e32 v86, v63, v114
	s_waitcnt vmcnt(51) lgkmcnt(4)
	v_mul_f32_e32 v87, v65, v115
	s_waitcnt vmcnt(50)
	v_mul_f32_e32 v88, v67, v116
	;; [unrolled: 4-line block ×5, first 2 shown]
	s_waitcnt vmcnt(43)
	v_fmac_f32_e32 v85, v62, v123
	v_mul_f32_e32 v62, v62, v113
	s_waitcnt vmcnt(42)
	v_fmac_f32_e32 v86, v64, v124
	v_add_f32_e32 v85, 0, v85
	v_fma_f32 v61, v61, v123, -v62
	v_mul_f32_e32 v62, v64, v114
	s_waitcnt vmcnt(41)
	v_fmac_f32_e32 v87, v66, v125
	v_add_f32_e32 v85, v85, v86
	v_add_f32_e32 v61, 0, v61
	v_fma_f32 v62, v63, v124, -v62
	s_waitcnt vmcnt(40)
	v_fmac_f32_e32 v88, v68, v126
	v_add_f32_e32 v85, v85, v87
	v_add_f32_e32 v61, v61, v62
	v_mul_f32_e32 v62, v66, v115
	s_waitcnt vmcnt(39)
	v_fmac_f32_e32 v89, v70, v127
	v_add_f32_e32 v85, v85, v88
	v_fma_f32 v62, v65, v125, -v62
	s_waitcnt vmcnt(38)
	v_fmac_f32_e32 v90, v72, v128
	v_add_f32_e32 v85, v85, v89
	v_add_f32_e32 v61, v61, v62
	v_mul_f32_e32 v62, v68, v116
	s_waitcnt vmcnt(37)
	v_fmac_f32_e32 v91, v74, v129
	;; [unrolled: 9-line block ×3, first 2 shown]
	v_add_f32_e32 v85, v85, v92
	v_fma_f32 v62, v69, v127, -v62
	s_waitcnt vmcnt(34)
	v_fmac_f32_e32 v94, v80, v132
	v_add_f32_e32 v85, v85, v93
	s_waitcnt vmcnt(33) lgkmcnt(0)
	v_mul_f32_e32 v86, v81, v133
	v_add_f32_e32 v61, v61, v62
	v_mul_f32_e32 v62, v72, v118
	v_add_f32_e32 v85, v85, v94
	s_waitcnt vmcnt(32)
	v_fmac_f32_e32 v86, v82, v134
	v_fma_f32 v62, v71, v128, -v62
	v_add_f32_e32 v89, v85, v86
	ds_read2_b64 v[85:88], v60 offset0:45 offset1:46
	v_add_f32_e32 v61, v61, v62
	v_mul_f32_e32 v62, v74, v119
	v_fma_f32 v62, v73, v129, -v62
	s_waitcnt vmcnt(31)
	v_mul_f32_e32 v90, v83, v135
	v_add_f32_e32 v61, v61, v62
	v_mul_f32_e32 v62, v76, v120
	s_waitcnt vmcnt(30)
	v_fmac_f32_e32 v90, v84, v136
	v_fma_f32 v62, v75, v130, -v62
	v_add_f32_e32 v93, v89, v90
	ds_read2_b64 v[89:92], v60 offset0:47 offset1:48
	v_add_f32_e32 v61, v61, v62
	v_mul_f32_e32 v62, v78, v121
	s_waitcnt vmcnt(29) lgkmcnt(1)
	v_mul_f32_e32 v94, v85, v137
	v_fma_f32 v62, v77, v131, -v62
	s_waitcnt vmcnt(28)
	v_fmac_f32_e32 v94, v86, v138
	v_add_f32_e32 v61, v61, v62
	v_mul_f32_e32 v62, v80, v122
	v_add_f32_e32 v93, v93, v94
	s_waitcnt vmcnt(27)
	v_mul_f32_e32 v94, v87, v139
	v_fma_f32 v62, v79, v132, -v62
	s_waitcnt vmcnt(26)
	v_fmac_f32_e32 v94, v88, v140
	v_add_f32_e32 v61, v61, v62
	v_mul_f32_e32 v62, v82, v133
	v_add_f32_e32 v93, v93, v94
	s_waitcnt vmcnt(25) lgkmcnt(0)
	v_mul_f32_e32 v94, v89, v141
	v_fma_f32 v62, v81, v134, -v62
	s_waitcnt vmcnt(24)
	v_fmac_f32_e32 v94, v90, v142
	v_add_f32_e32 v61, v61, v62
	v_mul_f32_e32 v62, v84, v135
	v_add_f32_e32 v97, v93, v94
	ds_read2_b64 v[93:96], v60 offset0:49 offset1:50
	v_fma_f32 v62, v83, v136, -v62
	v_add_f32_e32 v61, v61, v62
	v_mul_f32_e32 v62, v86, v137
	s_waitcnt vmcnt(23)
	v_mul_f32_e32 v98, v91, v143
	v_fma_f32 v62, v85, v138, -v62
	s_waitcnt vmcnt(22)
	v_fmac_f32_e32 v98, v92, v144
	v_add_f32_e32 v61, v61, v62
	v_mul_f32_e32 v62, v88, v139
	v_add_f32_e32 v101, v97, v98
	ds_read2_b64 v[97:100], v60 offset0:51 offset1:52
	v_fma_f32 v62, v87, v140, -v62
	s_waitcnt vmcnt(21) lgkmcnt(1)
	v_mul_f32_e32 v102, v93, v145
	v_add_f32_e32 v61, v61, v62
	v_mul_f32_e32 v62, v90, v141
	s_waitcnt vmcnt(20)
	v_fmac_f32_e32 v102, v94, v146
	v_fma_f32 v62, v89, v142, -v62
	v_add_f32_e32 v101, v101, v102
	s_waitcnt vmcnt(18)
	v_mul_f32_e32 v102, v95, v148
	v_add_f32_e32 v61, v61, v62
	v_mul_f32_e32 v62, v92, v143
	v_fmac_f32_e32 v102, v96, v147
	v_fma_f32 v62, v91, v144, -v62
	v_add_f32_e32 v101, v101, v102
	s_waitcnt vmcnt(15) lgkmcnt(0)
	v_mul_f32_e32 v102, v97, v151
	v_add_f32_e32 v61, v61, v62
	v_mul_f32_e32 v62, v94, v145
	s_waitcnt vmcnt(14)
	v_fmac_f32_e32 v102, v98, v152
	v_fma_f32 v62, v93, v146, -v62
	v_add_f32_e32 v105, v101, v102
	ds_read2_b64 v[101:104], v60 offset0:53 offset1:54
	v_add_f32_e32 v61, v61, v62
	v_mul_f32_e32 v62, v96, v148
	v_fma_f32 v62, v95, v147, -v62
	v_add_f32_e32 v61, v61, v62
	v_mul_f32_e32 v62, v98, v151
	s_waitcnt vmcnt(12)
	v_mul_f32_e32 v106, v99, v154
	v_fma_f32 v62, v97, v152, -v62
	v_fmac_f32_e32 v106, v100, v153
	v_add_f32_e32 v61, v61, v62
	v_mul_f32_e32 v62, v100, v154
	v_add_f32_e32 v109, v105, v106
	ds_read2_b64 v[105:108], v60 offset0:55 offset1:56
	s_waitcnt vmcnt(11) lgkmcnt(1)
	v_mul_f32_e32 v110, v101, v155
	v_fma_f32 v62, v99, v153, -v62
	s_waitcnt vmcnt(10)
	v_fmac_f32_e32 v110, v102, v156
	v_add_f32_e32 v61, v61, v62
	v_mul_f32_e32 v62, v102, v155
	v_add_f32_e32 v109, v109, v110
	s_waitcnt vmcnt(8)
	v_mul_f32_e32 v110, v103, v158
	v_fma_f32 v62, v101, v156, -v62
	v_fmac_f32_e32 v110, v104, v157
	v_add_f32_e32 v61, v61, v62
	v_mul_f32_e32 v62, v104, v158
	v_add_f32_e32 v167, v109, v110
	ds_read2_b64 v[109:112], v60 offset0:57 offset1:58
	v_fma_f32 v62, v103, v157, -v62
	v_add_f32_e32 v61, v61, v62
	s_waitcnt vmcnt(6) lgkmcnt(1)
	v_mul_f32_e32 v62, v106, v160
	v_mul_f32_e32 v168, v105, v160
	v_fma_f32 v62, v105, v159, -v62
	v_fmac_f32_e32 v168, v106, v159
	v_add_f32_e32 v61, v61, v62
	s_waitcnt vmcnt(4)
	v_mul_f32_e32 v62, v108, v162
	v_add_f32_e32 v60, v167, v168
	v_mul_f32_e32 v167, v107, v162
	v_fma_f32 v62, v107, v161, -v62
	v_fmac_f32_e32 v167, v108, v161
	v_add_f32_e32 v61, v61, v62
	s_waitcnt vmcnt(2) lgkmcnt(0)
	v_mul_f32_e32 v62, v110, v164
	v_add_f32_e32 v60, v60, v167
	v_mul_f32_e32 v167, v109, v164
	v_fma_f32 v62, v109, v163, -v62
	v_fmac_f32_e32 v167, v110, v163
	v_add_f32_e32 v61, v61, v62
	s_waitcnt vmcnt(0)
	v_mul_f32_e32 v62, v112, v166
	v_add_f32_e32 v60, v60, v167
	v_mul_f32_e32 v167, v111, v166
	v_fma_f32 v62, v111, v165, -v62
	v_fmac_f32_e32 v167, v112, v165
	v_add_f32_e32 v61, v61, v62
	v_add_f32_e32 v60, v60, v167
	v_sub_f32_e32 v61, v149, v61
	v_sub_f32_e32 v60, v150, v60
	buffer_store_dword v61, off, s[0:3], 0 offset:16
	buffer_store_dword v60, off, s[0:3], 0 offset:20
	s_and_saveexec_b64 s[4:5], vcc
	s_cbranch_execz .LBB92_185
; %bb.184:
	buffer_load_dword v60, off, s[0:3], 0 offset:8
	buffer_load_dword v61, off, s[0:3], 0 offset:12
	v_mov_b32_e32 v62, 0
	buffer_store_dword v62, off, s[0:3], 0 offset:8
	buffer_store_dword v62, off, s[0:3], 0 offset:12
	s_waitcnt vmcnt(2)
	ds_write_b64 v59, v[60:61]
.LBB92_185:
	s_or_b64 exec, exec, s[4:5]
	s_waitcnt lgkmcnt(0)
	; wave barrier
	buffer_load_dword v115, off, s[0:3], 0 offset:20
	buffer_load_dword v116, off, s[0:3], 0 offset:28
	buffer_load_dword v117, off, s[0:3], 0 offset:36
	buffer_load_dword v118, off, s[0:3], 0 offset:44
	buffer_load_dword v119, off, s[0:3], 0 offset:52
	buffer_load_dword v120, off, s[0:3], 0 offset:60
	buffer_load_dword v121, off, s[0:3], 0 offset:68
	buffer_load_dword v122, off, s[0:3], 0 offset:76
	buffer_load_dword v123, off, s[0:3], 0 offset:84
	buffer_load_dword v124, off, s[0:3], 0 offset:16
	buffer_load_dword v125, off, s[0:3], 0 offset:24
	buffer_load_dword v126, off, s[0:3], 0 offset:32
	buffer_load_dword v127, off, s[0:3], 0 offset:40
	buffer_load_dword v128, off, s[0:3], 0 offset:48
	buffer_load_dword v129, off, s[0:3], 0 offset:56
	buffer_load_dword v130, off, s[0:3], 0 offset:64
	buffer_load_dword v131, off, s[0:3], 0 offset:72
	buffer_load_dword v132, off, s[0:3], 0 offset:80
	buffer_load_dword v133, off, s[0:3], 0 offset:92
	buffer_load_dword v134, off, s[0:3], 0 offset:88
	buffer_load_dword v135, off, s[0:3], 0 offset:100
	buffer_load_dword v136, off, s[0:3], 0 offset:96
	buffer_load_dword v137, off, s[0:3], 0 offset:108
	buffer_load_dword v138, off, s[0:3], 0 offset:104
	buffer_load_dword v139, off, s[0:3], 0 offset:116
	buffer_load_dword v140, off, s[0:3], 0 offset:112
	buffer_load_dword v141, off, s[0:3], 0 offset:124
	buffer_load_dword v142, off, s[0:3], 0 offset:120
	buffer_load_dword v143, off, s[0:3], 0 offset:132
	buffer_load_dword v144, off, s[0:3], 0 offset:128
	buffer_load_dword v145, off, s[0:3], 0 offset:136
	buffer_load_dword v146, off, s[0:3], 0 offset:140
	buffer_load_dword v147, off, s[0:3], 0 offset:8
	buffer_load_dword v148, off, s[0:3], 0 offset:12
	buffer_load_dword v149, off, s[0:3], 0 offset:148
	buffer_load_dword v150, off, s[0:3], 0 offset:144
	buffer_load_dword v151, off, s[0:3], 0 offset:152
	buffer_load_dword v152, off, s[0:3], 0 offset:156
	buffer_load_dword v153, off, s[0:3], 0 offset:160
	buffer_load_dword v154, off, s[0:3], 0 offset:164
	buffer_load_dword v155, off, s[0:3], 0 offset:168
	buffer_load_dword v156, off, s[0:3], 0 offset:172
	buffer_load_dword v157, off, s[0:3], 0 offset:176
	buffer_load_dword v158, off, s[0:3], 0 offset:180
	buffer_load_dword v159, off, s[0:3], 0 offset:184
	buffer_load_dword v160, off, s[0:3], 0 offset:188
	buffer_load_dword v161, off, s[0:3], 0 offset:192
	buffer_load_dword v162, off, s[0:3], 0 offset:196
	buffer_load_dword v163, off, s[0:3], 0 offset:200
	buffer_load_dword v164, off, s[0:3], 0 offset:204
	buffer_load_dword v165, off, s[0:3], 0 offset:208
	buffer_load_dword v166, off, s[0:3], 0 offset:212
	buffer_load_dword v167, off, s[0:3], 0 offset:216
	buffer_load_dword v168, off, s[0:3], 0 offset:220
	buffer_load_dword v169, off, s[0:3], 0 offset:224
	buffer_load_dword v170, off, s[0:3], 0 offset:228
	v_mov_b32_e32 v60, 0
	ds_read_b128 v[61:64], v60 offset:256
	ds_read_b128 v[65:68], v60 offset:272
	;; [unrolled: 1-line block ×6, first 2 shown]
	v_cmp_ne_u32_e32 vcc, 0, v0
	s_waitcnt vmcnt(55) lgkmcnt(5)
	v_mul_f32_e32 v85, v61, v115
	s_waitcnt vmcnt(54)
	v_mul_f32_e32 v86, v63, v116
	s_waitcnt vmcnt(53) lgkmcnt(4)
	v_mul_f32_e32 v87, v65, v117
	s_waitcnt vmcnt(52)
	v_mul_f32_e32 v88, v67, v118
	;; [unrolled: 4-line block ×4, first 2 shown]
	s_waitcnt vmcnt(47) lgkmcnt(1)
	v_mul_f32_e32 v93, v77, v123
	s_waitcnt vmcnt(46)
	v_fmac_f32_e32 v85, v62, v124
	s_waitcnt vmcnt(45)
	v_fmac_f32_e32 v86, v64, v125
	v_add_f32_e32 v85, 0, v85
	s_waitcnt vmcnt(44)
	v_fmac_f32_e32 v87, v66, v126
	v_add_f32_e32 v85, v85, v86
	;; [unrolled: 3-line block ×3, first 2 shown]
	v_mul_f32_e32 v62, v62, v115
	s_waitcnt vmcnt(42)
	v_fmac_f32_e32 v89, v70, v128
	v_add_f32_e32 v85, v85, v88
	v_fma_f32 v61, v61, v124, -v62
	v_mul_f32_e32 v62, v64, v116
	s_waitcnt vmcnt(41)
	v_fmac_f32_e32 v90, v72, v129
	v_add_f32_e32 v85, v85, v89
	v_add_f32_e32 v61, 0, v61
	v_fma_f32 v62, v63, v125, -v62
	s_waitcnt vmcnt(40)
	v_fmac_f32_e32 v91, v74, v130
	v_add_f32_e32 v85, v85, v90
	v_add_f32_e32 v61, v61, v62
	v_mul_f32_e32 v62, v66, v117
	s_waitcnt vmcnt(39)
	v_fmac_f32_e32 v92, v76, v131
	v_add_f32_e32 v85, v85, v91
	v_fma_f32 v62, v65, v126, -v62
	v_add_f32_e32 v85, v85, v92
	s_waitcnt vmcnt(38)
	v_fmac_f32_e32 v93, v78, v132
	s_waitcnt vmcnt(37)
	v_mul_f32_e32 v86, v79, v133
	v_add_f32_e32 v61, v61, v62
	v_mul_f32_e32 v62, v68, v118
	v_add_f32_e32 v85, v85, v93
	s_waitcnt vmcnt(36)
	v_fmac_f32_e32 v86, v80, v134
	v_fma_f32 v62, v67, v127, -v62
	v_add_f32_e32 v85, v85, v86
	s_waitcnt vmcnt(35) lgkmcnt(0)
	v_mul_f32_e32 v86, v81, v135
	v_add_f32_e32 v61, v61, v62
	v_mul_f32_e32 v62, v70, v119
	s_waitcnt vmcnt(34)
	v_fmac_f32_e32 v86, v82, v136
	v_fma_f32 v62, v69, v128, -v62
	v_add_f32_e32 v89, v85, v86
	ds_read_b128 v[85:88], v60 offset:352
	v_add_f32_e32 v61, v61, v62
	v_mul_f32_e32 v62, v72, v120
	v_fma_f32 v62, v71, v129, -v62
	s_waitcnt vmcnt(33)
	v_mul_f32_e32 v90, v83, v137
	v_add_f32_e32 v61, v61, v62
	v_mul_f32_e32 v62, v74, v121
	s_waitcnt vmcnt(32)
	v_fmac_f32_e32 v90, v84, v138
	v_fma_f32 v62, v73, v130, -v62
	v_add_f32_e32 v93, v89, v90
	ds_read_b128 v[89:92], v60 offset:368
	v_add_f32_e32 v61, v61, v62
	v_mul_f32_e32 v62, v76, v122
	s_waitcnt vmcnt(31) lgkmcnt(1)
	v_mul_f32_e32 v94, v85, v139
	v_fma_f32 v62, v75, v131, -v62
	s_waitcnt vmcnt(30)
	v_fmac_f32_e32 v94, v86, v140
	v_add_f32_e32 v61, v61, v62
	v_mul_f32_e32 v62, v78, v123
	v_add_f32_e32 v93, v93, v94
	s_waitcnt vmcnt(29)
	v_mul_f32_e32 v94, v87, v141
	v_fma_f32 v62, v77, v132, -v62
	s_waitcnt vmcnt(28)
	v_fmac_f32_e32 v94, v88, v142
	v_add_f32_e32 v61, v61, v62
	v_mul_f32_e32 v62, v80, v133
	v_add_f32_e32 v93, v93, v94
	s_waitcnt vmcnt(27) lgkmcnt(0)
	v_mul_f32_e32 v94, v89, v143
	v_fma_f32 v62, v79, v134, -v62
	s_waitcnt vmcnt(26)
	v_fmac_f32_e32 v94, v90, v144
	v_add_f32_e32 v61, v61, v62
	v_mul_f32_e32 v62, v82, v135
	v_add_f32_e32 v97, v93, v94
	ds_read_b128 v[93:96], v60 offset:384
	v_fma_f32 v62, v81, v136, -v62
	v_add_f32_e32 v61, v61, v62
	v_mul_f32_e32 v62, v84, v137
	s_waitcnt vmcnt(24)
	v_mul_f32_e32 v98, v91, v146
	v_fma_f32 v62, v83, v138, -v62
	v_fmac_f32_e32 v98, v92, v145
	v_add_f32_e32 v61, v61, v62
	v_mul_f32_e32 v62, v86, v139
	v_add_f32_e32 v101, v97, v98
	ds_read_b128 v[97:100], v60 offset:400
	v_fma_f32 v62, v85, v140, -v62
	s_waitcnt vmcnt(21) lgkmcnt(1)
	v_mul_f32_e32 v102, v93, v149
	v_add_f32_e32 v61, v61, v62
	v_mul_f32_e32 v62, v88, v141
	s_waitcnt vmcnt(20)
	v_fmac_f32_e32 v102, v94, v150
	v_fma_f32 v62, v87, v142, -v62
	v_add_f32_e32 v101, v101, v102
	s_waitcnt vmcnt(18)
	v_mul_f32_e32 v102, v95, v152
	v_add_f32_e32 v61, v61, v62
	v_mul_f32_e32 v62, v90, v143
	v_fmac_f32_e32 v102, v96, v151
	v_fma_f32 v62, v89, v144, -v62
	v_add_f32_e32 v101, v101, v102
	s_waitcnt vmcnt(16) lgkmcnt(0)
	v_mul_f32_e32 v102, v97, v154
	v_add_f32_e32 v61, v61, v62
	v_mul_f32_e32 v62, v92, v146
	v_fmac_f32_e32 v102, v98, v153
	v_fma_f32 v62, v91, v145, -v62
	v_add_f32_e32 v105, v101, v102
	ds_read_b128 v[101:104], v60 offset:416
	v_add_f32_e32 v61, v61, v62
	v_mul_f32_e32 v62, v94, v149
	v_fma_f32 v62, v93, v150, -v62
	s_waitcnt vmcnt(14)
	v_mul_f32_e32 v106, v99, v156
	v_add_f32_e32 v61, v61, v62
	v_mul_f32_e32 v62, v96, v152
	v_fmac_f32_e32 v106, v100, v155
	v_fma_f32 v62, v95, v151, -v62
	v_add_f32_e32 v109, v105, v106
	ds_read_b128 v[105:108], v60 offset:432
	v_add_f32_e32 v61, v61, v62
	v_mul_f32_e32 v62, v98, v154
	s_waitcnt vmcnt(12) lgkmcnt(1)
	v_mul_f32_e32 v110, v101, v158
	v_fma_f32 v62, v97, v153, -v62
	v_fmac_f32_e32 v110, v102, v157
	v_add_f32_e32 v61, v61, v62
	v_mul_f32_e32 v62, v100, v156
	v_add_f32_e32 v109, v109, v110
	s_waitcnt vmcnt(10)
	v_mul_f32_e32 v110, v103, v160
	v_fma_f32 v62, v99, v155, -v62
	v_fmac_f32_e32 v110, v104, v159
	v_add_f32_e32 v61, v61, v62
	v_mul_f32_e32 v62, v102, v158
	v_add_f32_e32 v109, v109, v110
	s_waitcnt vmcnt(8) lgkmcnt(0)
	v_mul_f32_e32 v110, v105, v162
	v_fma_f32 v62, v101, v157, -v62
	v_fmac_f32_e32 v110, v106, v161
	v_add_f32_e32 v61, v61, v62
	v_mul_f32_e32 v62, v104, v160
	v_add_f32_e32 v113, v109, v110
	ds_read_b128 v[109:112], v60 offset:448
	v_fma_f32 v62, v103, v159, -v62
	v_add_f32_e32 v61, v61, v62
	v_mul_f32_e32 v62, v106, v162
	s_waitcnt vmcnt(6)
	v_mul_f32_e32 v114, v107, v164
	v_fma_f32 v62, v105, v161, -v62
	v_fmac_f32_e32 v114, v108, v163
	v_add_f32_e32 v61, v61, v62
	v_mul_f32_e32 v62, v108, v164
	v_add_f32_e32 v171, v113, v114
	ds_read_b64 v[113:114], v60 offset:464
	v_fma_f32 v62, v107, v163, -v62
	v_add_f32_e32 v61, v61, v62
	s_waitcnt vmcnt(4) lgkmcnt(1)
	v_mul_f32_e32 v62, v110, v166
	v_mul_f32_e32 v172, v109, v166
	v_fma_f32 v62, v109, v165, -v62
	v_fmac_f32_e32 v172, v110, v165
	v_add_f32_e32 v61, v61, v62
	s_waitcnt vmcnt(2)
	v_mul_f32_e32 v62, v112, v168
	v_add_f32_e32 v171, v171, v172
	v_mul_f32_e32 v172, v111, v168
	v_fma_f32 v62, v111, v167, -v62
	v_fmac_f32_e32 v172, v112, v167
	v_add_f32_e32 v61, v61, v62
	s_waitcnt vmcnt(0) lgkmcnt(0)
	v_mul_f32_e32 v62, v114, v170
	v_add_f32_e32 v171, v171, v172
	v_mul_f32_e32 v172, v113, v170
	v_fma_f32 v62, v113, v169, -v62
	v_fmac_f32_e32 v172, v114, v169
	v_add_f32_e32 v61, v61, v62
	v_add_f32_e32 v171, v171, v172
	v_sub_f32_e32 v61, v147, v61
	v_sub_f32_e32 v62, v148, v171
	buffer_store_dword v61, off, s[0:3], 0 offset:8
	buffer_store_dword v62, off, s[0:3], 0 offset:12
	s_and_saveexec_b64 s[4:5], vcc
	s_cbranch_execz .LBB92_187
; %bb.186:
	buffer_load_dword v61, off, s[0:3], 0
	buffer_load_dword v62, off, s[0:3], 0 offset:4
	s_waitcnt vmcnt(0)
	ds_write_b64 v59, v[61:62]
	buffer_store_dword v60, off, s[0:3], 0
	buffer_store_dword v60, off, s[0:3], 0 offset:4
.LBB92_187:
	s_or_b64 exec, exec, s[4:5]
	s_waitcnt lgkmcnt(0)
	; wave barrier
	buffer_load_dword v0, off, s[0:3], 0 offset:12
	buffer_load_dword v59, off, s[0:3], 0 offset:20
	;; [unrolled: 1-line block ×30, first 2 shown]
	buffer_load_dword v145, off, s[0:3], 0
	buffer_load_dword v146, off, s[0:3], 0 offset:4
	buffer_load_dword v147, off, s[0:3], 0 offset:132
	;; [unrolled: 1-line block ×3, first 2 shown]
	ds_read2_b64 v[61:64], v60 offset0:31 offset1:32
	ds_read2_b64 v[65:68], v60 offset0:33 offset1:34
	buffer_load_dword v149, off, s[0:3], 0 offset:140
	buffer_load_dword v150, off, s[0:3], 0 offset:136
	;; [unrolled: 1-line block ×6, first 2 shown]
	ds_read2_b64 v[69:72], v60 offset0:35 offset1:36
	ds_read2_b64 v[73:76], v60 offset0:37 offset1:38
	;; [unrolled: 1-line block ×4, first 2 shown]
	buffer_load_dword v155, off, s[0:3], 0 offset:164
	buffer_load_dword v156, off, s[0:3], 0 offset:160
	;; [unrolled: 1-line block ×18, first 2 shown]
	s_and_b64 vcc, exec, s[14:15]
	s_waitcnt vmcnt(57) lgkmcnt(5)
	v_mul_f32_e32 v85, v61, v0
	s_waitcnt vmcnt(56)
	v_mul_f32_e32 v86, v63, v59
	s_waitcnt vmcnt(55) lgkmcnt(4)
	v_mul_f32_e32 v87, v65, v117
	s_waitcnt vmcnt(54)
	v_mul_f32_e32 v88, v67, v118
	s_waitcnt vmcnt(53) lgkmcnt(3)
	v_mul_f32_e32 v89, v69, v119
	s_waitcnt vmcnt(52)
	v_mul_f32_e32 v90, v71, v120
	v_mul_f32_e32 v0, v62, v0
	s_waitcnt vmcnt(51) lgkmcnt(2)
	v_mul_f32_e32 v91, v73, v121
	s_waitcnt vmcnt(49)
	v_fmac_f32_e32 v85, v62, v123
	s_waitcnt vmcnt(48)
	v_fmac_f32_e32 v86, v64, v124
	v_add_f32_e32 v85, 0, v85
	s_waitcnt vmcnt(47)
	v_fmac_f32_e32 v87, v66, v125
	v_add_f32_e32 v85, v85, v86
	;; [unrolled: 3-line block ×5, first 2 shown]
	v_fma_f32 v0, v61, v123, -v0
	v_mul_f32_e32 v59, v64, v59
	v_mul_f32_e32 v92, v75, v122
	s_waitcnt vmcnt(43)
	v_fmac_f32_e32 v91, v74, v129
	v_add_f32_e32 v85, v85, v90
	v_add_f32_e32 v0, 0, v0
	v_fma_f32 v59, v63, v124, -v59
	s_waitcnt vmcnt(42)
	v_fmac_f32_e32 v92, v76, v130
	v_add_f32_e32 v85, v85, v91
	s_waitcnt vmcnt(41) lgkmcnt(1)
	v_mul_f32_e32 v86, v77, v131
	v_add_f32_e32 v0, v0, v59
	v_mul_f32_e32 v59, v66, v117
	v_add_f32_e32 v85, v85, v92
	s_waitcnt vmcnt(40)
	v_fmac_f32_e32 v86, v78, v132
	v_fma_f32 v59, v65, v125, -v59
	v_add_f32_e32 v85, v85, v86
	s_waitcnt vmcnt(39)
	v_mul_f32_e32 v86, v79, v133
	v_add_f32_e32 v0, v0, v59
	v_mul_f32_e32 v59, v68, v118
	s_waitcnt vmcnt(38)
	v_fmac_f32_e32 v86, v80, v134
	v_fma_f32 v59, v67, v126, -v59
	v_add_f32_e32 v85, v85, v86
	s_waitcnt vmcnt(37) lgkmcnt(0)
	v_mul_f32_e32 v86, v81, v135
	v_add_f32_e32 v0, v0, v59
	v_mul_f32_e32 v59, v70, v119
	s_waitcnt vmcnt(36)
	v_fmac_f32_e32 v86, v82, v136
	v_fma_f32 v59, v69, v127, -v59
	v_add_f32_e32 v89, v85, v86
	ds_read2_b64 v[85:88], v60 offset0:43 offset1:44
	v_add_f32_e32 v0, v0, v59
	v_mul_f32_e32 v59, v72, v120
	v_fma_f32 v59, v71, v128, -v59
	s_waitcnt vmcnt(35)
	v_mul_f32_e32 v90, v83, v137
	v_add_f32_e32 v0, v0, v59
	v_mul_f32_e32 v59, v74, v121
	s_waitcnt vmcnt(34)
	v_fmac_f32_e32 v90, v84, v138
	v_fma_f32 v59, v73, v129, -v59
	v_add_f32_e32 v93, v89, v90
	ds_read2_b64 v[89:92], v60 offset0:45 offset1:46
	v_add_f32_e32 v0, v0, v59
	v_mul_f32_e32 v59, v76, v122
	s_waitcnt vmcnt(33) lgkmcnt(1)
	v_mul_f32_e32 v94, v85, v139
	v_fma_f32 v59, v75, v130, -v59
	s_waitcnt vmcnt(32)
	v_fmac_f32_e32 v94, v86, v140
	v_add_f32_e32 v0, v0, v59
	v_mul_f32_e32 v59, v78, v131
	v_add_f32_e32 v93, v93, v94
	s_waitcnt vmcnt(31)
	v_mul_f32_e32 v94, v87, v141
	v_fma_f32 v59, v77, v132, -v59
	s_waitcnt vmcnt(30)
	v_fmac_f32_e32 v94, v88, v142
	v_add_f32_e32 v0, v0, v59
	v_mul_f32_e32 v59, v80, v133
	v_add_f32_e32 v93, v93, v94
	s_waitcnt vmcnt(29) lgkmcnt(0)
	v_mul_f32_e32 v94, v89, v143
	v_fma_f32 v59, v79, v134, -v59
	s_waitcnt vmcnt(28)
	v_fmac_f32_e32 v94, v90, v144
	v_add_f32_e32 v0, v0, v59
	v_mul_f32_e32 v59, v82, v135
	v_add_f32_e32 v97, v93, v94
	ds_read2_b64 v[93:96], v60 offset0:47 offset1:48
	v_fma_f32 v59, v81, v136, -v59
	v_add_f32_e32 v0, v0, v59
	v_mul_f32_e32 v59, v84, v137
	s_waitcnt vmcnt(25)
	v_mul_f32_e32 v98, v91, v147
	v_fma_f32 v59, v83, v138, -v59
	s_waitcnt vmcnt(24)
	v_fmac_f32_e32 v98, v92, v148
	v_add_f32_e32 v0, v0, v59
	v_mul_f32_e32 v59, v86, v139
	v_add_f32_e32 v101, v97, v98
	ds_read2_b64 v[97:100], v60 offset0:49 offset1:50
	v_fma_f32 v59, v85, v140, -v59
	s_waitcnt vmcnt(23) lgkmcnt(1)
	v_mul_f32_e32 v102, v93, v149
	v_add_f32_e32 v0, v0, v59
	v_mul_f32_e32 v59, v88, v141
	s_waitcnt vmcnt(22)
	v_fmac_f32_e32 v102, v94, v150
	v_fma_f32 v59, v87, v142, -v59
	v_add_f32_e32 v101, v101, v102
	s_waitcnt vmcnt(20)
	v_mul_f32_e32 v102, v95, v152
	v_add_f32_e32 v0, v0, v59
	v_mul_f32_e32 v59, v90, v143
	v_fmac_f32_e32 v102, v96, v151
	v_fma_f32 v59, v89, v144, -v59
	v_add_f32_e32 v101, v101, v102
	s_waitcnt vmcnt(18) lgkmcnt(0)
	v_mul_f32_e32 v102, v97, v154
	v_add_f32_e32 v0, v0, v59
	v_mul_f32_e32 v59, v92, v147
	v_fmac_f32_e32 v102, v98, v153
	v_fma_f32 v59, v91, v148, -v59
	v_add_f32_e32 v105, v101, v102
	ds_read2_b64 v[101:104], v60 offset0:51 offset1:52
	v_add_f32_e32 v0, v0, v59
	v_mul_f32_e32 v59, v94, v149
	v_fma_f32 v59, v93, v150, -v59
	s_waitcnt vmcnt(17)
	v_mul_f32_e32 v106, v99, v155
	v_add_f32_e32 v0, v0, v59
	v_mul_f32_e32 v59, v96, v152
	s_waitcnt vmcnt(16)
	v_fmac_f32_e32 v106, v100, v156
	v_fma_f32 v59, v95, v151, -v59
	v_add_f32_e32 v109, v105, v106
	ds_read2_b64 v[105:108], v60 offset0:53 offset1:54
	v_add_f32_e32 v0, v0, v59
	v_mul_f32_e32 v59, v98, v154
	s_waitcnt vmcnt(14) lgkmcnt(1)
	v_mul_f32_e32 v110, v101, v158
	v_fma_f32 v59, v97, v153, -v59
	v_fmac_f32_e32 v110, v102, v157
	v_add_f32_e32 v0, v0, v59
	v_mul_f32_e32 v59, v100, v155
	v_add_f32_e32 v109, v109, v110
	s_waitcnt vmcnt(12)
	v_mul_f32_e32 v110, v103, v160
	v_fma_f32 v59, v99, v156, -v59
	v_fmac_f32_e32 v110, v104, v159
	v_add_f32_e32 v0, v0, v59
	v_mul_f32_e32 v59, v102, v158
	v_add_f32_e32 v109, v109, v110
	s_waitcnt vmcnt(10) lgkmcnt(0)
	v_mul_f32_e32 v110, v105, v162
	v_fma_f32 v59, v101, v157, -v59
	v_fmac_f32_e32 v110, v106, v161
	v_add_f32_e32 v0, v0, v59
	v_mul_f32_e32 v59, v104, v160
	v_add_f32_e32 v113, v109, v110
	ds_read2_b64 v[109:112], v60 offset0:55 offset1:56
	v_fma_f32 v59, v103, v159, -v59
	v_add_f32_e32 v0, v0, v59
	v_mul_f32_e32 v59, v106, v162
	s_waitcnt vmcnt(8)
	v_mul_f32_e32 v114, v107, v164
	v_fma_f32 v59, v105, v161, -v59
	v_fmac_f32_e32 v114, v108, v163
	v_add_f32_e32 v0, v0, v59
	v_mul_f32_e32 v59, v108, v164
	v_add_f32_e32 v173, v113, v114
	ds_read2_b64 v[113:116], v60 offset0:57 offset1:58
	v_fma_f32 v59, v107, v163, -v59
	v_add_f32_e32 v0, v0, v59
	s_waitcnt vmcnt(6) lgkmcnt(1)
	v_mul_f32_e32 v59, v110, v166
	v_mul_f32_e32 v60, v109, v166
	v_fma_f32 v59, v109, v165, -v59
	v_fmac_f32_e32 v60, v110, v165
	v_add_f32_e32 v0, v0, v59
	s_waitcnt vmcnt(4)
	v_mul_f32_e32 v59, v112, v168
	v_add_f32_e32 v60, v173, v60
	v_mul_f32_e32 v173, v111, v168
	v_fma_f32 v59, v111, v167, -v59
	v_fmac_f32_e32 v173, v112, v167
	v_add_f32_e32 v0, v0, v59
	s_waitcnt vmcnt(2) lgkmcnt(0)
	v_mul_f32_e32 v59, v114, v170
	v_add_f32_e32 v60, v60, v173
	v_mul_f32_e32 v173, v113, v170
	v_fma_f32 v59, v113, v169, -v59
	v_fmac_f32_e32 v173, v114, v169
	v_add_f32_e32 v0, v0, v59
	s_waitcnt vmcnt(0)
	v_mul_f32_e32 v59, v116, v172
	v_add_f32_e32 v60, v60, v173
	v_mul_f32_e32 v173, v115, v172
	v_fma_f32 v59, v115, v171, -v59
	v_fmac_f32_e32 v173, v116, v171
	v_add_f32_e32 v0, v0, v59
	v_add_f32_e32 v60, v60, v173
	v_sub_f32_e32 v0, v145, v0
	v_sub_f32_e32 v59, v146, v60
	buffer_store_dword v0, off, s[0:3], 0
	buffer_store_dword v59, off, s[0:3], 0 offset:4
	s_cbranch_vccz .LBB92_244
; %bb.188:
	v_mov_b32_e32 v0, 0
	global_load_dword v59, v0, s[12:13] offset:108
	s_waitcnt vmcnt(0)
	v_add_u32_e32 v59, -1, v59
	v_cmp_ne_u32_e32 vcc, 27, v59
	s_cbranch_vccz .LBB92_190
; %bb.189:
	v_lshlrev_b32_e32 v59, 3, v59
	buffer_load_dword v60, v59, s[0:3], 0 offen
	buffer_load_dword v61, v59, s[0:3], 0 offen offset:4
	buffer_load_dword v62, off, s[0:3], 0 offset:216
	buffer_load_dword v63, off, s[0:3], 0 offset:220
	s_waitcnt vmcnt(3)
	buffer_store_dword v60, off, s[0:3], 0 offset:216
	s_waitcnt vmcnt(3)
	buffer_store_dword v61, off, s[0:3], 0 offset:220
	s_waitcnt vmcnt(3)
	buffer_store_dword v62, v59, s[0:3], 0 offen
	s_waitcnt vmcnt(3)
	buffer_store_dword v63, v59, s[0:3], 0 offen offset:4
.LBB92_190:
	global_load_dword v0, v0, s[12:13] offset:104
	s_waitcnt vmcnt(0)
	v_add_u32_e32 v0, -1, v0
	v_cmp_eq_u32_e32 vcc, 26, v0
	s_cbranch_vccnz .LBB92_192
; %bb.191:
	v_lshlrev_b32_e32 v0, 3, v0
	buffer_load_dword v59, v0, s[0:3], 0 offen
	buffer_load_dword v60, v0, s[0:3], 0 offen offset:4
	buffer_load_dword v61, off, s[0:3], 0 offset:212
	buffer_load_dword v62, off, s[0:3], 0 offset:208
	s_waitcnt vmcnt(3)
	buffer_store_dword v59, off, s[0:3], 0 offset:208
	s_waitcnt vmcnt(3)
	buffer_store_dword v60, off, s[0:3], 0 offset:212
	s_waitcnt vmcnt(3)
	buffer_store_dword v61, v0, s[0:3], 0 offen offset:4
	s_waitcnt vmcnt(3)
	buffer_store_dword v62, v0, s[0:3], 0 offen
.LBB92_192:
	v_mov_b32_e32 v0, 0
	global_load_dword v59, v0, s[12:13] offset:100
	s_waitcnt vmcnt(0)
	v_add_u32_e32 v59, -1, v59
	v_cmp_eq_u32_e32 vcc, 25, v59
	s_cbranch_vccnz .LBB92_194
; %bb.193:
	v_lshlrev_b32_e32 v59, 3, v59
	buffer_load_dword v60, v59, s[0:3], 0 offen
	buffer_load_dword v61, v59, s[0:3], 0 offen offset:4
	buffer_load_dword v62, off, s[0:3], 0 offset:200
	buffer_load_dword v63, off, s[0:3], 0 offset:204
	s_waitcnt vmcnt(3)
	buffer_store_dword v60, off, s[0:3], 0 offset:200
	s_waitcnt vmcnt(3)
	buffer_store_dword v61, off, s[0:3], 0 offset:204
	s_waitcnt vmcnt(3)
	buffer_store_dword v62, v59, s[0:3], 0 offen
	s_waitcnt vmcnt(3)
	buffer_store_dword v63, v59, s[0:3], 0 offen offset:4
.LBB92_194:
	global_load_dword v0, v0, s[12:13] offset:96
	s_waitcnt vmcnt(0)
	v_add_u32_e32 v0, -1, v0
	v_cmp_eq_u32_e32 vcc, 24, v0
	s_cbranch_vccnz .LBB92_196
; %bb.195:
	v_lshlrev_b32_e32 v0, 3, v0
	buffer_load_dword v59, v0, s[0:3], 0 offen
	buffer_load_dword v60, v0, s[0:3], 0 offen offset:4
	buffer_load_dword v61, off, s[0:3], 0 offset:196
	buffer_load_dword v62, off, s[0:3], 0 offset:192
	s_waitcnt vmcnt(3)
	buffer_store_dword v59, off, s[0:3], 0 offset:192
	s_waitcnt vmcnt(3)
	buffer_store_dword v60, off, s[0:3], 0 offset:196
	s_waitcnt vmcnt(3)
	buffer_store_dword v61, v0, s[0:3], 0 offen offset:4
	s_waitcnt vmcnt(3)
	buffer_store_dword v62, v0, s[0:3], 0 offen
.LBB92_196:
	v_mov_b32_e32 v0, 0
	global_load_dword v59, v0, s[12:13] offset:92
	s_waitcnt vmcnt(0)
	v_add_u32_e32 v59, -1, v59
	v_cmp_eq_u32_e32 vcc, 23, v59
	s_cbranch_vccnz .LBB92_198
; %bb.197:
	v_lshlrev_b32_e32 v59, 3, v59
	buffer_load_dword v60, v59, s[0:3], 0 offen
	buffer_load_dword v61, v59, s[0:3], 0 offen offset:4
	buffer_load_dword v62, off, s[0:3], 0 offset:184
	buffer_load_dword v63, off, s[0:3], 0 offset:188
	s_waitcnt vmcnt(3)
	buffer_store_dword v60, off, s[0:3], 0 offset:184
	s_waitcnt vmcnt(3)
	buffer_store_dword v61, off, s[0:3], 0 offset:188
	s_waitcnt vmcnt(3)
	buffer_store_dword v62, v59, s[0:3], 0 offen
	s_waitcnt vmcnt(3)
	buffer_store_dword v63, v59, s[0:3], 0 offen offset:4
.LBB92_198:
	;; [unrolled: 41-line block ×13, first 2 shown]
	global_load_dword v0, v0, s[12:13]
	s_waitcnt vmcnt(0)
	v_add_u32_e32 v0, -1, v0
	v_cmp_eq_u32_e32 vcc, 0, v0
	s_cbranch_vccnz .LBB92_244
; %bb.243:
	v_lshlrev_b32_e32 v0, 3, v0
	buffer_load_dword v59, v0, s[0:3], 0 offen
	buffer_load_dword v60, v0, s[0:3], 0 offen offset:4
	buffer_load_dword v61, off, s[0:3], 0 offset:4
	buffer_load_dword v62, off, s[0:3], 0
	s_waitcnt vmcnt(3)
	buffer_store_dword v59, off, s[0:3], 0
	s_waitcnt vmcnt(3)
	buffer_store_dword v60, off, s[0:3], 0 offset:4
	s_waitcnt vmcnt(3)
	buffer_store_dword v61, v0, s[0:3], 0 offen offset:4
	s_waitcnt vmcnt(3)
	buffer_store_dword v62, v0, s[0:3], 0 offen
.LBB92_244:
	buffer_load_dword v59, off, s[0:3], 0
	buffer_load_dword v60, off, s[0:3], 0 offset:4
	s_waitcnt vmcnt(0)
	flat_store_dwordx2 v[1:2], v[59:60]
	buffer_load_dword v0, off, s[0:3], 0 offset:8
	s_nop 0
	buffer_load_dword v1, off, s[0:3], 0 offset:12
	s_waitcnt vmcnt(0)
	flat_store_dwordx2 v[3:4], v[0:1]
	buffer_load_dword v0, off, s[0:3], 0 offset:16
	s_nop 0
	;; [unrolled: 5-line block ×28, first 2 shown]
	buffer_load_dword v1, off, s[0:3], 0 offset:228
	s_waitcnt vmcnt(0)
	flat_store_dwordx2 v[57:58], v[0:1]
	s_endpgm
	.section	.rodata,"a",@progbits
	.p2align	6, 0x0
	.amdhsa_kernel _ZN9rocsolver6v33100L18getri_kernel_smallILi29E19rocblas_complex_numIfEPKPS3_EEvT1_iilPiilS8_bb
		.amdhsa_group_segment_fixed_size 472
		.amdhsa_private_segment_fixed_size 240
		.amdhsa_kernarg_size 60
		.amdhsa_user_sgpr_count 6
		.amdhsa_user_sgpr_private_segment_buffer 1
		.amdhsa_user_sgpr_dispatch_ptr 0
		.amdhsa_user_sgpr_queue_ptr 0
		.amdhsa_user_sgpr_kernarg_segment_ptr 1
		.amdhsa_user_sgpr_dispatch_id 0
		.amdhsa_user_sgpr_flat_scratch_init 0
		.amdhsa_user_sgpr_private_segment_size 0
		.amdhsa_uses_dynamic_stack 0
		.amdhsa_system_sgpr_private_segment_wavefront_offset 1
		.amdhsa_system_sgpr_workgroup_id_x 1
		.amdhsa_system_sgpr_workgroup_id_y 0
		.amdhsa_system_sgpr_workgroup_id_z 0
		.amdhsa_system_sgpr_workgroup_info 0
		.amdhsa_system_vgpr_workitem_id 0
		.amdhsa_next_free_vgpr 174
		.amdhsa_next_free_sgpr 21
		.amdhsa_reserve_vcc 1
		.amdhsa_reserve_flat_scratch 0
		.amdhsa_float_round_mode_32 0
		.amdhsa_float_round_mode_16_64 0
		.amdhsa_float_denorm_mode_32 3
		.amdhsa_float_denorm_mode_16_64 3
		.amdhsa_dx10_clamp 1
		.amdhsa_ieee_mode 1
		.amdhsa_fp16_overflow 0
		.amdhsa_exception_fp_ieee_invalid_op 0
		.amdhsa_exception_fp_denorm_src 0
		.amdhsa_exception_fp_ieee_div_zero 0
		.amdhsa_exception_fp_ieee_overflow 0
		.amdhsa_exception_fp_ieee_underflow 0
		.amdhsa_exception_fp_ieee_inexact 0
		.amdhsa_exception_int_div_zero 0
	.end_amdhsa_kernel
	.section	.text._ZN9rocsolver6v33100L18getri_kernel_smallILi29E19rocblas_complex_numIfEPKPS3_EEvT1_iilPiilS8_bb,"axG",@progbits,_ZN9rocsolver6v33100L18getri_kernel_smallILi29E19rocblas_complex_numIfEPKPS3_EEvT1_iilPiilS8_bb,comdat
.Lfunc_end92:
	.size	_ZN9rocsolver6v33100L18getri_kernel_smallILi29E19rocblas_complex_numIfEPKPS3_EEvT1_iilPiilS8_bb, .Lfunc_end92-_ZN9rocsolver6v33100L18getri_kernel_smallILi29E19rocblas_complex_numIfEPKPS3_EEvT1_iilPiilS8_bb
                                        ; -- End function
	.set _ZN9rocsolver6v33100L18getri_kernel_smallILi29E19rocblas_complex_numIfEPKPS3_EEvT1_iilPiilS8_bb.num_vgpr, 174
	.set _ZN9rocsolver6v33100L18getri_kernel_smallILi29E19rocblas_complex_numIfEPKPS3_EEvT1_iilPiilS8_bb.num_agpr, 0
	.set _ZN9rocsolver6v33100L18getri_kernel_smallILi29E19rocblas_complex_numIfEPKPS3_EEvT1_iilPiilS8_bb.numbered_sgpr, 21
	.set _ZN9rocsolver6v33100L18getri_kernel_smallILi29E19rocblas_complex_numIfEPKPS3_EEvT1_iilPiilS8_bb.num_named_barrier, 0
	.set _ZN9rocsolver6v33100L18getri_kernel_smallILi29E19rocblas_complex_numIfEPKPS3_EEvT1_iilPiilS8_bb.private_seg_size, 240
	.set _ZN9rocsolver6v33100L18getri_kernel_smallILi29E19rocblas_complex_numIfEPKPS3_EEvT1_iilPiilS8_bb.uses_vcc, 1
	.set _ZN9rocsolver6v33100L18getri_kernel_smallILi29E19rocblas_complex_numIfEPKPS3_EEvT1_iilPiilS8_bb.uses_flat_scratch, 0
	.set _ZN9rocsolver6v33100L18getri_kernel_smallILi29E19rocblas_complex_numIfEPKPS3_EEvT1_iilPiilS8_bb.has_dyn_sized_stack, 0
	.set _ZN9rocsolver6v33100L18getri_kernel_smallILi29E19rocblas_complex_numIfEPKPS3_EEvT1_iilPiilS8_bb.has_recursion, 0
	.set _ZN9rocsolver6v33100L18getri_kernel_smallILi29E19rocblas_complex_numIfEPKPS3_EEvT1_iilPiilS8_bb.has_indirect_call, 0
	.section	.AMDGPU.csdata,"",@progbits
; Kernel info:
; codeLenInByte = 38252
; TotalNumSgprs: 25
; NumVgprs: 174
; ScratchSize: 240
; MemoryBound: 0
; FloatMode: 240
; IeeeMode: 1
; LDSByteSize: 472 bytes/workgroup (compile time only)
; SGPRBlocks: 3
; VGPRBlocks: 43
; NumSGPRsForWavesPerEU: 25
; NumVGPRsForWavesPerEU: 174
; Occupancy: 1
; WaveLimiterHint : 1
; COMPUTE_PGM_RSRC2:SCRATCH_EN: 1
; COMPUTE_PGM_RSRC2:USER_SGPR: 6
; COMPUTE_PGM_RSRC2:TRAP_HANDLER: 0
; COMPUTE_PGM_RSRC2:TGID_X_EN: 1
; COMPUTE_PGM_RSRC2:TGID_Y_EN: 0
; COMPUTE_PGM_RSRC2:TGID_Z_EN: 0
; COMPUTE_PGM_RSRC2:TIDIG_COMP_CNT: 0
	.section	.text._ZN9rocsolver6v33100L18getri_kernel_smallILi30E19rocblas_complex_numIfEPKPS3_EEvT1_iilPiilS8_bb,"axG",@progbits,_ZN9rocsolver6v33100L18getri_kernel_smallILi30E19rocblas_complex_numIfEPKPS3_EEvT1_iilPiilS8_bb,comdat
	.globl	_ZN9rocsolver6v33100L18getri_kernel_smallILi30E19rocblas_complex_numIfEPKPS3_EEvT1_iilPiilS8_bb ; -- Begin function _ZN9rocsolver6v33100L18getri_kernel_smallILi30E19rocblas_complex_numIfEPKPS3_EEvT1_iilPiilS8_bb
	.p2align	8
	.type	_ZN9rocsolver6v33100L18getri_kernel_smallILi30E19rocblas_complex_numIfEPKPS3_EEvT1_iilPiilS8_bb,@function
_ZN9rocsolver6v33100L18getri_kernel_smallILi30E19rocblas_complex_numIfEPKPS3_EEvT1_iilPiilS8_bb: ; @_ZN9rocsolver6v33100L18getri_kernel_smallILi30E19rocblas_complex_numIfEPKPS3_EEvT1_iilPiilS8_bb
; %bb.0:
	s_add_u32 s0, s0, s7
	s_addc_u32 s1, s1, 0
	v_cmp_gt_u32_e32 vcc, 30, v0
	s_and_saveexec_b64 s[8:9], vcc
	s_cbranch_execz .LBB93_134
; %bb.1:
	s_load_dword s18, s[4:5], 0x38
	s_load_dwordx2 s[12:13], s[4:5], 0x0
	s_load_dwordx4 s[8:11], s[4:5], 0x28
	s_waitcnt lgkmcnt(0)
	s_bitcmp1_b32 s18, 8
	s_cselect_b64 s[14:15], -1, 0
	s_ashr_i32 s7, s6, 31
	s_lshl_b64 s[16:17], s[6:7], 3
	s_add_u32 s12, s12, s16
	s_addc_u32 s13, s13, s17
	s_load_dwordx2 s[16:17], s[12:13], 0x0
	s_bfe_u32 s12, s18, 0x10008
	s_cmp_eq_u32 s12, 0
                                        ; implicit-def: $sgpr12_sgpr13
	s_cbranch_scc1 .LBB93_3
; %bb.2:
	s_load_dword s12, s[4:5], 0x20
	s_load_dwordx2 s[18:19], s[4:5], 0x18
	s_mul_i32 s13, s8, s7
	s_mul_hi_u32 s20, s8, s6
	s_add_i32 s20, s20, s13
	s_mul_i32 s9, s9, s6
	s_add_i32 s9, s20, s9
	s_mul_i32 s8, s8, s6
	s_waitcnt lgkmcnt(0)
	s_ashr_i32 s13, s12, 31
	s_lshl_b64 s[8:9], s[8:9], 2
	s_add_u32 s18, s18, s8
	s_addc_u32 s19, s19, s9
	s_lshl_b64 s[8:9], s[12:13], 2
	s_add_u32 s12, s18, s8
	s_addc_u32 s13, s19, s9
.LBB93_3:
	s_load_dwordx2 s[8:9], s[4:5], 0x8
	s_load_dword s18, s[4:5], 0x38
	v_lshlrev_b32_e32 v63, 3, v0
	s_waitcnt lgkmcnt(0)
	s_ashr_i32 s5, s8, 31
	s_mov_b32 s4, s8
	s_lshl_b64 s[4:5], s[4:5], 3
	s_add_u32 s4, s16, s4
	s_addc_u32 s5, s17, s5
	v_mov_b32_e32 v2, s5
	v_add_co_u32_e32 v1, vcc, s4, v63
	v_addc_co_u32_e32 v2, vcc, 0, v2, vcc
	flat_load_dwordx2 v[5:6], v[1:2]
	s_mov_b32 s16, s9
	s_ashr_i32 s17, s9, 31
	s_lshl_b64 s[16:17], s[16:17], 3
	v_mov_b32_e32 v4, s17
	v_add_co_u32_e32 v3, vcc, s16, v1
	v_addc_co_u32_e32 v4, vcc, v2, v4, vcc
	s_add_i32 s8, s9, s9
	v_add_u32_e32 v9, s8, v0
	v_ashrrev_i32_e32 v10, 31, v9
	v_mov_b32_e32 v11, s5
	v_add_u32_e32 v12, s9, v9
	v_ashrrev_i32_e32 v13, 31, v12
	v_mov_b32_e32 v14, s5
	v_mov_b32_e32 v15, s5
	;; [unrolled: 1-line block ×26, first 2 shown]
	s_bitcmp0_b32 s18, 0
	s_waitcnt vmcnt(0) lgkmcnt(0)
	buffer_store_dword v6, off, s[0:3], 0 offset:4
	buffer_store_dword v5, off, s[0:3], 0
	flat_load_dwordx2 v[7:8], v[3:4]
	v_lshlrev_b64 v[5:6], 3, v[9:10]
	s_waitcnt vmcnt(0) lgkmcnt(0)
	buffer_store_dword v8, off, s[0:3], 0 offset:12
	buffer_store_dword v7, off, s[0:3], 0 offset:8
	v_add_co_u32_e32 v5, vcc, s4, v5
	v_addc_co_u32_e32 v6, vcc, v11, v6, vcc
	flat_load_dwordx2 v[10:11], v[5:6]
	v_lshlrev_b64 v[7:8], 3, v[12:13]
	s_waitcnt vmcnt(0) lgkmcnt(0)
	buffer_store_dword v11, off, s[0:3], 0 offset:20
	buffer_store_dword v10, off, s[0:3], 0 offset:16
	v_add_co_u32_e32 v7, vcc, s4, v7
	v_addc_co_u32_e32 v8, vcc, v14, v8, vcc
	flat_load_dwordx2 v[13:14], v[7:8]
	v_add_u32_e32 v11, s9, v12
	v_ashrrev_i32_e32 v12, 31, v11
	v_lshlrev_b64 v[9:10], 3, v[11:12]
	s_waitcnt vmcnt(0) lgkmcnt(0)
	buffer_store_dword v14, off, s[0:3], 0 offset:28
	buffer_store_dword v13, off, s[0:3], 0 offset:24
	v_add_co_u32_e32 v9, vcc, s4, v9
	v_addc_co_u32_e32 v10, vcc, v15, v10, vcc
	flat_load_dwordx2 v[13:14], v[9:10]
	v_add_u32_e32 v15, s9, v11
	v_ashrrev_i32_e32 v16, 31, v15
	v_lshlrev_b64 v[11:12], 3, v[15:16]
	v_add_u32_e32 v18, s9, v15
	v_add_co_u32_e32 v11, vcc, s4, v11
	v_addc_co_u32_e32 v12, vcc, v17, v12, vcc
	v_ashrrev_i32_e32 v19, 31, v18
	s_waitcnt vmcnt(0) lgkmcnt(0)
	buffer_store_dword v14, off, s[0:3], 0 offset:36
	buffer_store_dword v13, off, s[0:3], 0 offset:32
	flat_load_dwordx2 v[16:17], v[11:12]
	v_lshlrev_b64 v[13:14], 3, v[18:19]
	s_waitcnt vmcnt(0) lgkmcnt(0)
	buffer_store_dword v17, off, s[0:3], 0 offset:44
	buffer_store_dword v16, off, s[0:3], 0 offset:40
	v_add_co_u32_e32 v13, vcc, s4, v13
	v_addc_co_u32_e32 v14, vcc, v20, v14, vcc
	flat_load_dwordx2 v[19:20], v[13:14]
	v_add_u32_e32 v17, s9, v18
	v_ashrrev_i32_e32 v18, 31, v17
	v_lshlrev_b64 v[15:16], 3, v[17:18]
	s_waitcnt vmcnt(0) lgkmcnt(0)
	buffer_store_dword v20, off, s[0:3], 0 offset:52
	buffer_store_dword v19, off, s[0:3], 0 offset:48
	v_add_co_u32_e32 v15, vcc, s4, v15
	v_addc_co_u32_e32 v16, vcc, v21, v16, vcc
	flat_load_dwordx2 v[19:20], v[15:16]
	v_add_u32_e32 v21, s9, v17
	v_ashrrev_i32_e32 v22, 31, v21
	v_lshlrev_b64 v[17:18], 3, v[21:22]
	v_add_u32_e32 v24, s9, v21
	v_add_co_u32_e32 v17, vcc, s4, v17
	v_addc_co_u32_e32 v18, vcc, v23, v18, vcc
	v_ashrrev_i32_e32 v25, 31, v24
	s_waitcnt vmcnt(0) lgkmcnt(0)
	buffer_store_dword v20, off, s[0:3], 0 offset:60
	buffer_store_dword v19, off, s[0:3], 0 offset:56
	;; [unrolled: 27-line block ×7, first 2 shown]
	flat_load_dwordx2 v[52:53], v[47:48]
	v_lshlrev_b64 v[49:50], 3, v[54:55]
	s_waitcnt vmcnt(0) lgkmcnt(0)
	buffer_store_dword v53, off, s[0:3], 0 offset:188
	buffer_store_dword v52, off, s[0:3], 0 offset:184
	v_add_co_u32_e32 v49, vcc, s4, v49
	v_addc_co_u32_e32 v50, vcc, v56, v50, vcc
	flat_load_dwordx2 v[55:56], v[49:50]
	v_add_u32_e32 v53, s9, v54
	v_ashrrev_i32_e32 v54, 31, v53
	v_lshlrev_b64 v[51:52], 3, v[53:54]
	s_waitcnt vmcnt(0) lgkmcnt(0)
	buffer_store_dword v56, off, s[0:3], 0 offset:196
	buffer_store_dword v55, off, s[0:3], 0 offset:192
	v_add_co_u32_e32 v51, vcc, s4, v51
	v_addc_co_u32_e32 v52, vcc, v57, v52, vcc
	flat_load_dwordx2 v[55:56], v[51:52]
	v_add_u32_e32 v57, s9, v53
	v_ashrrev_i32_e32 v58, 31, v57
	v_lshlrev_b64 v[53:54], 3, v[57:58]
	v_add_u32_e32 v60, s9, v57
	v_add_co_u32_e32 v53, vcc, s4, v53
	v_addc_co_u32_e32 v54, vcc, v59, v54, vcc
	s_waitcnt vmcnt(0) lgkmcnt(0)
	buffer_store_dword v56, off, s[0:3], 0 offset:204
	buffer_store_dword v55, off, s[0:3], 0 offset:200
	flat_load_dwordx2 v[58:59], v[53:54]
	v_ashrrev_i32_e32 v61, 31, v60
	v_lshlrev_b64 v[55:56], 3, v[60:61]
	s_waitcnt vmcnt(0) lgkmcnt(0)
	buffer_store_dword v59, off, s[0:3], 0 offset:212
	buffer_store_dword v58, off, s[0:3], 0 offset:208
	v_add_co_u32_e32 v55, vcc, s4, v55
	v_addc_co_u32_e32 v56, vcc, v62, v56, vcc
	flat_load_dwordx2 v[61:62], v[55:56]
	v_add_u32_e32 v59, s9, v60
	v_ashrrev_i32_e32 v60, 31, v59
	v_lshlrev_b64 v[57:58], 3, v[59:60]
	s_waitcnt vmcnt(0) lgkmcnt(0)
	buffer_store_dword v62, off, s[0:3], 0 offset:220
	buffer_store_dword v61, off, s[0:3], 0 offset:216
	v_add_co_u32_e32 v57, vcc, s4, v57
	v_addc_co_u32_e32 v58, vcc, v64, v58, vcc
	flat_load_dwordx2 v[61:62], v[57:58]
	v_add_u32_e32 v59, s9, v59
	v_ashrrev_i32_e32 v60, 31, v59
	v_lshlrev_b64 v[59:60], 3, v[59:60]
	s_waitcnt vmcnt(0) lgkmcnt(0)
	buffer_store_dword v62, off, s[0:3], 0 offset:228
	buffer_store_dword v61, off, s[0:3], 0 offset:224
	v_add_co_u32_e32 v59, vcc, s4, v59
	v_addc_co_u32_e32 v60, vcc, v64, v60, vcc
	flat_load_dwordx2 v[61:62], v[59:60]
	s_mov_b64 s[8:9], -1
	s_waitcnt vmcnt(0) lgkmcnt(0)
	buffer_store_dword v62, off, s[0:3], 0 offset:236
	buffer_store_dword v61, off, s[0:3], 0 offset:232
	s_cbranch_scc1 .LBB93_132
; %bb.4:
	v_cmp_eq_u32_e64 s[4:5], 0, v0
	s_and_saveexec_b64 s[8:9], s[4:5]
; %bb.5:
	v_mov_b32_e32 v61, 0
	ds_write_b32 v61, v61 offset:480
; %bb.6:
	s_or_b64 exec, exec, s[8:9]
	v_mov_b32_e32 v61, 0
	v_lshl_add_u32 v65, v0, 3, v61
	s_waitcnt lgkmcnt(0)
	; wave barrier
	buffer_load_dword v61, v65, s[0:3], 0 offen
	buffer_load_dword v62, v65, s[0:3], 0 offen offset:4
	s_waitcnt vmcnt(1)
	v_cmp_eq_f32_e32 vcc, 0, v61
	s_waitcnt vmcnt(0)
	v_cmp_eq_f32_e64 s[8:9], 0, v62
	s_and_b64 s[8:9], vcc, s[8:9]
	s_and_saveexec_b64 s[16:17], s[8:9]
	s_cbranch_execz .LBB93_10
; %bb.7:
	v_mov_b32_e32 v61, 0
	ds_read_b32 v64, v61 offset:480
	v_add_u32_e32 v62, 1, v0
	s_waitcnt lgkmcnt(0)
	v_readfirstlane_b32 s8, v64
	s_cmp_eq_u32 s8, 0
	s_cselect_b64 s[18:19], -1, 0
	v_cmp_gt_i32_e32 vcc, s8, v62
	s_or_b64 s[18:19], s[18:19], vcc
	s_and_b64 exec, exec, s[18:19]
	s_cbranch_execz .LBB93_10
; %bb.8:
	s_mov_b64 s[18:19], 0
	v_mov_b32_e32 v64, s8
.LBB93_9:                               ; =>This Inner Loop Header: Depth=1
	ds_cmpst_rtn_b32 v64, v61, v64, v62 offset:480
	s_waitcnt lgkmcnt(0)
	v_cmp_ne_u32_e32 vcc, 0, v64
	v_cmp_le_i32_e64 s[8:9], v64, v62
	s_and_b64 s[8:9], vcc, s[8:9]
	s_and_b64 s[8:9], exec, s[8:9]
	s_or_b64 s[18:19], s[8:9], s[18:19]
	s_andn2_b64 exec, exec, s[18:19]
	s_cbranch_execnz .LBB93_9
.LBB93_10:
	s_or_b64 exec, exec, s[16:17]
	v_mov_b32_e32 v62, 0
	; wave barrier
	ds_read_b32 v61, v62 offset:480
	s_and_saveexec_b64 s[8:9], s[4:5]
	s_cbranch_execz .LBB93_12
; %bb.11:
	s_lshl_b64 s[16:17], s[6:7], 2
	s_add_u32 s16, s10, s16
	s_addc_u32 s17, s11, s17
	s_waitcnt lgkmcnt(0)
	global_store_dword v62, v61, s[16:17]
.LBB93_12:
	s_or_b64 exec, exec, s[8:9]
	s_waitcnt lgkmcnt(0)
	v_cmp_ne_u32_e32 vcc, 0, v61
	s_mov_b64 s[8:9], 0
	s_cbranch_vccnz .LBB93_132
; %bb.13:
	buffer_load_dword v62, v65, s[0:3], 0 offen
	buffer_load_dword v64, v65, s[0:3], 0 offen offset:4
                                        ; implicit-def: $vgpr67
                                        ; implicit-def: $vgpr66
                                        ; implicit-def: $vgpr61
	s_waitcnt vmcnt(0)
	v_cmp_ngt_f32_e64 s[8:9], |v62|, |v64|
	s_and_saveexec_b64 s[16:17], s[8:9]
	s_xor_b64 s[8:9], exec, s[16:17]
	s_cbranch_execz .LBB93_15
; %bb.14:
	v_div_scale_f32 v61, s[16:17], v64, v64, v62
	v_div_scale_f32 v66, vcc, v62, v64, v62
	v_rcp_f32_e32 v67, v61
	v_fma_f32 v68, -v61, v67, 1.0
	v_fmac_f32_e32 v67, v68, v67
	v_mul_f32_e32 v68, v66, v67
	v_fma_f32 v69, -v61, v68, v66
	v_fmac_f32_e32 v68, v69, v67
	v_fma_f32 v61, -v61, v68, v66
	v_div_fmas_f32 v61, v61, v67, v68
	v_div_fixup_f32 v61, v61, v64, v62
	v_fmac_f32_e32 v64, v62, v61
	v_div_scale_f32 v62, s[16:17], v64, v64, 1.0
	v_div_scale_f32 v66, vcc, 1.0, v64, 1.0
	v_rcp_f32_e32 v67, v62
	v_fma_f32 v68, -v62, v67, 1.0
	v_fmac_f32_e32 v67, v68, v67
	v_mul_f32_e32 v68, v66, v67
	v_fma_f32 v69, -v62, v68, v66
	v_fmac_f32_e32 v68, v69, v67
	v_fma_f32 v62, -v62, v68, v66
	v_div_fmas_f32 v62, v62, v67, v68
	v_div_fixup_f32 v62, v62, v64, 1.0
	v_mul_f32_e32 v67, v61, v62
	v_xor_b32_e32 v66, 0x80000000, v62
	v_xor_b32_e32 v61, 0x80000000, v67
                                        ; implicit-def: $vgpr62
                                        ; implicit-def: $vgpr64
.LBB93_15:
	s_andn2_saveexec_b64 s[8:9], s[8:9]
	s_cbranch_execz .LBB93_17
; %bb.16:
	v_div_scale_f32 v61, s[16:17], v62, v62, v64
	v_div_scale_f32 v66, vcc, v64, v62, v64
	v_rcp_f32_e32 v67, v61
	v_fma_f32 v68, -v61, v67, 1.0
	v_fmac_f32_e32 v67, v68, v67
	v_mul_f32_e32 v68, v66, v67
	v_fma_f32 v69, -v61, v68, v66
	v_fmac_f32_e32 v68, v69, v67
	v_fma_f32 v61, -v61, v68, v66
	v_div_fmas_f32 v61, v61, v67, v68
	v_div_fixup_f32 v66, v61, v62, v64
	v_fmac_f32_e32 v62, v64, v66
	v_div_scale_f32 v61, s[16:17], v62, v62, 1.0
	v_div_scale_f32 v64, vcc, 1.0, v62, 1.0
	v_rcp_f32_e32 v67, v61
	v_fma_f32 v68, -v61, v67, 1.0
	v_fmac_f32_e32 v67, v68, v67
	v_mul_f32_e32 v68, v64, v67
	v_fma_f32 v69, -v61, v68, v64
	v_fmac_f32_e32 v68, v69, v67
	v_fma_f32 v61, -v61, v68, v64
	v_div_fmas_f32 v61, v61, v67, v68
	v_div_fixup_f32 v67, v61, v62, 1.0
	v_xor_b32_e32 v61, 0x80000000, v67
	v_mul_f32_e64 v66, v66, -v67
.LBB93_17:
	s_or_b64 exec, exec, s[8:9]
	buffer_store_dword v67, v65, s[0:3], 0 offen
	buffer_store_dword v66, v65, s[0:3], 0 offen offset:4
	buffer_load_dword v68, off, s[0:3], 0 offset:12
	s_nop 0
	buffer_load_dword v67, off, s[0:3], 0 offset:8
	v_xor_b32_e32 v62, 0x80000000, v66
	v_add_u32_e32 v64, 0xf0, v63
	s_waitcnt vmcnt(0)
	ds_write2_b64 v63, v[61:62], v[67:68] offset1:30
	s_waitcnt lgkmcnt(0)
	; wave barrier
	s_and_saveexec_b64 s[8:9], s[4:5]
	s_cbranch_execz .LBB93_19
; %bb.18:
	buffer_load_dword v68, v65, s[0:3], 0 offen offset:4
	buffer_load_dword v69, v65, s[0:3], 0 offen
	ds_read_b64 v[61:62], v64
	v_mov_b32_e32 v66, 0
	ds_read_b64 v[66:67], v66 offset:8
	s_waitcnt vmcnt(1) lgkmcnt(1)
	v_mul_f32_e32 v70, v62, v68
	v_mul_f32_e32 v68, v61, v68
	s_waitcnt vmcnt(0)
	v_fmac_f32_e32 v68, v62, v69
	v_fma_f32 v61, v61, v69, -v70
	v_add_f32_e32 v62, 0, v68
	v_add_f32_e32 v61, 0, v61
	s_waitcnt lgkmcnt(0)
	v_mul_f32_e32 v68, v62, v67
	v_mul_f32_e32 v67, v61, v67
	v_fma_f32 v61, v61, v66, -v68
	v_fmac_f32_e32 v67, v62, v66
	buffer_store_dword v61, off, s[0:3], 0 offset:8
	buffer_store_dword v67, off, s[0:3], 0 offset:12
.LBB93_19:
	s_or_b64 exec, exec, s[8:9]
	; wave barrier
	buffer_load_dword v61, off, s[0:3], 0 offset:16
	buffer_load_dword v62, off, s[0:3], 0 offset:20
	v_cmp_gt_u32_e32 vcc, 2, v0
	s_waitcnt vmcnt(0)
	ds_write_b64 v64, v[61:62]
	s_waitcnt lgkmcnt(0)
	; wave barrier
	s_and_saveexec_b64 s[8:9], vcc
	s_cbranch_execz .LBB93_23
; %bb.20:
	buffer_load_dword v66, v65, s[0:3], 0 offen offset:4
	buffer_load_dword v67, v65, s[0:3], 0 offen
	ds_read_b64 v[61:62], v64
	s_waitcnt vmcnt(1) lgkmcnt(0)
	v_mul_f32_e32 v65, v62, v66
	v_mul_f32_e32 v66, v61, v66
	s_waitcnt vmcnt(0)
	v_fma_f32 v61, v61, v67, -v65
	v_fmac_f32_e32 v66, v62, v67
	v_add_f32_e32 v62, 0, v61
	v_add_f32_e32 v61, 0, v66
	s_and_saveexec_b64 s[16:17], s[4:5]
	s_cbranch_execz .LBB93_22
; %bb.21:
	buffer_load_dword v67, off, s[0:3], 0 offset:12
	buffer_load_dword v68, off, s[0:3], 0 offset:8
	v_mov_b32_e32 v65, 0
	ds_read_b64 v[65:66], v65 offset:248
	s_waitcnt vmcnt(1) lgkmcnt(0)
	v_mul_f32_e32 v69, v65, v67
	v_mul_f32_e32 v67, v66, v67
	s_waitcnt vmcnt(0)
	v_fmac_f32_e32 v69, v66, v68
	v_fma_f32 v65, v65, v68, -v67
	v_add_f32_e32 v61, v61, v69
	v_add_f32_e32 v62, v62, v65
.LBB93_22:
	s_or_b64 exec, exec, s[16:17]
	v_mov_b32_e32 v65, 0
	ds_read_b64 v[65:66], v65 offset:16
	s_waitcnt lgkmcnt(0)
	v_mul_f32_e32 v67, v61, v66
	v_mul_f32_e32 v66, v62, v66
	v_fma_f32 v62, v62, v65, -v67
	v_fmac_f32_e32 v66, v61, v65
	buffer_store_dword v62, off, s[0:3], 0 offset:16
	buffer_store_dword v66, off, s[0:3], 0 offset:20
.LBB93_23:
	s_or_b64 exec, exec, s[8:9]
	; wave barrier
	buffer_load_dword v61, off, s[0:3], 0 offset:24
	buffer_load_dword v62, off, s[0:3], 0 offset:28
	v_cmp_gt_u32_e32 vcc, 3, v0
	s_waitcnt vmcnt(0)
	ds_write_b64 v64, v[61:62]
	v_add_u32_e32 v61, -1, v0
	s_waitcnt lgkmcnt(0)
	; wave barrier
	s_and_saveexec_b64 s[4:5], vcc
	s_cbranch_execz .LBB93_27
; %bb.24:
	v_add_u32_e32 v65, -1, v0
	v_add_u32_e32 v66, 0xf0, v63
	v_mov_b32_e32 v67, v63
	v_mov_b32_e32 v62, 0
	s_mov_b64 s[8:9], 0
	v_mov_b32_e32 v68, 0
.LBB93_25:                              ; =>This Inner Loop Header: Depth=1
	buffer_load_dword v71, v67, s[0:3], 0 offen offset:4
	buffer_load_dword v72, v67, s[0:3], 0 offen
	ds_read_b64 v[69:70], v66
	v_add_u32_e32 v65, 1, v65
	v_cmp_lt_u32_e32 vcc, 1, v65
	v_add_u32_e32 v66, 8, v66
	v_add_u32_e32 v67, 8, v67
	s_or_b64 s[8:9], vcc, s[8:9]
	s_waitcnt vmcnt(1) lgkmcnt(0)
	v_mul_f32_e32 v73, v70, v71
	v_mul_f32_e32 v71, v69, v71
	s_waitcnt vmcnt(0)
	v_fma_f32 v69, v69, v72, -v73
	v_fmac_f32_e32 v71, v70, v72
	v_add_f32_e32 v68, v68, v69
	v_add_f32_e32 v62, v62, v71
	s_andn2_b64 exec, exec, s[8:9]
	s_cbranch_execnz .LBB93_25
; %bb.26:
	s_or_b64 exec, exec, s[8:9]
	v_mov_b32_e32 v65, 0
	ds_read_b64 v[65:66], v65 offset:24
	s_waitcnt lgkmcnt(0)
	v_mul_f32_e32 v67, v62, v66
	v_mul_f32_e32 v66, v68, v66
	v_fma_f32 v67, v68, v65, -v67
	v_fmac_f32_e32 v66, v62, v65
	buffer_store_dword v67, off, s[0:3], 0 offset:24
	buffer_store_dword v66, off, s[0:3], 0 offset:28
.LBB93_27:
	s_or_b64 exec, exec, s[4:5]
	; wave barrier
	buffer_load_dword v65, off, s[0:3], 0 offset:32
	buffer_load_dword v66, off, s[0:3], 0 offset:36
	v_cmp_gt_u32_e32 vcc, 4, v0
	s_waitcnt vmcnt(0)
	ds_write_b64 v64, v[65:66]
	s_waitcnt lgkmcnt(0)
	; wave barrier
	s_and_saveexec_b64 s[4:5], vcc
	s_cbranch_execz .LBB93_31
; %bb.28:
	v_add_u32_e32 v65, -1, v0
	v_add_u32_e32 v66, 0xf0, v63
	v_mov_b32_e32 v67, v63
	v_mov_b32_e32 v62, 0
	s_mov_b64 s[8:9], 0
	v_mov_b32_e32 v68, 0
.LBB93_29:                              ; =>This Inner Loop Header: Depth=1
	buffer_load_dword v71, v67, s[0:3], 0 offen offset:4
	buffer_load_dword v72, v67, s[0:3], 0 offen
	ds_read_b64 v[69:70], v66
	v_add_u32_e32 v65, 1, v65
	v_cmp_lt_u32_e32 vcc, 2, v65
	v_add_u32_e32 v66, 8, v66
	v_add_u32_e32 v67, 8, v67
	s_or_b64 s[8:9], vcc, s[8:9]
	s_waitcnt vmcnt(1) lgkmcnt(0)
	v_mul_f32_e32 v73, v70, v71
	v_mul_f32_e32 v71, v69, v71
	s_waitcnt vmcnt(0)
	v_fma_f32 v69, v69, v72, -v73
	v_fmac_f32_e32 v71, v70, v72
	v_add_f32_e32 v68, v68, v69
	v_add_f32_e32 v62, v62, v71
	s_andn2_b64 exec, exec, s[8:9]
	s_cbranch_execnz .LBB93_29
; %bb.30:
	s_or_b64 exec, exec, s[8:9]
	v_mov_b32_e32 v65, 0
	ds_read_b64 v[65:66], v65 offset:32
	s_waitcnt lgkmcnt(0)
	v_mul_f32_e32 v67, v62, v66
	v_mul_f32_e32 v66, v68, v66
	v_fma_f32 v67, v68, v65, -v67
	v_fmac_f32_e32 v66, v62, v65
	buffer_store_dword v67, off, s[0:3], 0 offset:32
	buffer_store_dword v66, off, s[0:3], 0 offset:36
.LBB93_31:
	s_or_b64 exec, exec, s[4:5]
	; wave barrier
	buffer_load_dword v65, off, s[0:3], 0 offset:40
	buffer_load_dword v66, off, s[0:3], 0 offset:44
	v_cmp_gt_u32_e32 vcc, 5, v0
	s_waitcnt vmcnt(0)
	ds_write_b64 v64, v[65:66]
	;; [unrolled: 49-line block ×19, first 2 shown]
	s_waitcnt lgkmcnt(0)
	; wave barrier
	s_and_saveexec_b64 s[4:5], vcc
	s_cbranch_execz .LBB93_103
; %bb.100:
	v_add_u32_e32 v65, -1, v0
	v_add_u32_e32 v66, 0xf0, v63
	v_mov_b32_e32 v67, v63
	v_mov_b32_e32 v62, 0
	s_mov_b64 s[8:9], 0
	v_mov_b32_e32 v68, 0
.LBB93_101:                             ; =>This Inner Loop Header: Depth=1
	buffer_load_dword v71, v67, s[0:3], 0 offen offset:4
	buffer_load_dword v72, v67, s[0:3], 0 offen
	ds_read_b64 v[69:70], v66
	v_add_u32_e32 v65, 1, v65
	v_cmp_lt_u32_e32 vcc, 20, v65
	v_add_u32_e32 v66, 8, v66
	v_add_u32_e32 v67, 8, v67
	s_or_b64 s[8:9], vcc, s[8:9]
	s_waitcnt vmcnt(1) lgkmcnt(0)
	v_mul_f32_e32 v73, v70, v71
	v_mul_f32_e32 v71, v69, v71
	s_waitcnt vmcnt(0)
	v_fma_f32 v69, v69, v72, -v73
	v_fmac_f32_e32 v71, v70, v72
	v_add_f32_e32 v68, v68, v69
	v_add_f32_e32 v62, v62, v71
	s_andn2_b64 exec, exec, s[8:9]
	s_cbranch_execnz .LBB93_101
; %bb.102:
	s_or_b64 exec, exec, s[8:9]
	v_mov_b32_e32 v65, 0
	ds_read_b64 v[65:66], v65 offset:176
	s_waitcnt lgkmcnt(0)
	v_mul_f32_e32 v67, v62, v66
	v_mul_f32_e32 v66, v68, v66
	v_fma_f32 v67, v68, v65, -v67
	v_fmac_f32_e32 v66, v62, v65
	buffer_store_dword v67, off, s[0:3], 0 offset:176
	buffer_store_dword v66, off, s[0:3], 0 offset:180
.LBB93_103:
	s_or_b64 exec, exec, s[4:5]
	; wave barrier
	buffer_load_dword v65, off, s[0:3], 0 offset:184
	buffer_load_dword v66, off, s[0:3], 0 offset:188
	v_cmp_gt_u32_e32 vcc, 23, v0
	s_waitcnt vmcnt(0)
	ds_write_b64 v64, v[65:66]
	s_waitcnt lgkmcnt(0)
	; wave barrier
	s_and_saveexec_b64 s[4:5], vcc
	s_cbranch_execz .LBB93_107
; %bb.104:
	v_add_u32_e32 v65, -1, v0
	v_add_u32_e32 v66, 0xf0, v63
	v_mov_b32_e32 v67, v63
	v_mov_b32_e32 v62, 0
	s_mov_b64 s[8:9], 0
	v_mov_b32_e32 v68, 0
.LBB93_105:                             ; =>This Inner Loop Header: Depth=1
	buffer_load_dword v71, v67, s[0:3], 0 offen offset:4
	buffer_load_dword v72, v67, s[0:3], 0 offen
	ds_read_b64 v[69:70], v66
	v_add_u32_e32 v65, 1, v65
	v_cmp_lt_u32_e32 vcc, 21, v65
	v_add_u32_e32 v66, 8, v66
	v_add_u32_e32 v67, 8, v67
	s_or_b64 s[8:9], vcc, s[8:9]
	s_waitcnt vmcnt(1) lgkmcnt(0)
	v_mul_f32_e32 v73, v70, v71
	v_mul_f32_e32 v71, v69, v71
	s_waitcnt vmcnt(0)
	v_fma_f32 v69, v69, v72, -v73
	v_fmac_f32_e32 v71, v70, v72
	v_add_f32_e32 v68, v68, v69
	v_add_f32_e32 v62, v62, v71
	s_andn2_b64 exec, exec, s[8:9]
	s_cbranch_execnz .LBB93_105
; %bb.106:
	s_or_b64 exec, exec, s[8:9]
	v_mov_b32_e32 v65, 0
	ds_read_b64 v[65:66], v65 offset:184
	s_waitcnt lgkmcnt(0)
	v_mul_f32_e32 v67, v62, v66
	v_mul_f32_e32 v66, v68, v66
	v_fma_f32 v67, v68, v65, -v67
	v_fmac_f32_e32 v66, v62, v65
	buffer_store_dword v67, off, s[0:3], 0 offset:184
	buffer_store_dword v66, off, s[0:3], 0 offset:188
.LBB93_107:
	s_or_b64 exec, exec, s[4:5]
	; wave barrier
	buffer_load_dword v65, off, s[0:3], 0 offset:192
	buffer_load_dword v66, off, s[0:3], 0 offset:196
	v_cmp_gt_u32_e32 vcc, 24, v0
	s_waitcnt vmcnt(0)
	ds_write_b64 v64, v[65:66]
	;; [unrolled: 49-line block ×6, first 2 shown]
	s_waitcnt lgkmcnt(0)
	; wave barrier
	s_and_saveexec_b64 s[4:5], vcc
	s_cbranch_execz .LBB93_127
; %bb.124:
	v_add_u32_e32 v65, -1, v0
	v_add_u32_e32 v66, 0xf0, v63
	v_mov_b32_e32 v67, v63
	v_mov_b32_e32 v62, 0
	s_mov_b64 s[8:9], 0
	v_mov_b32_e32 v68, 0
.LBB93_125:                             ; =>This Inner Loop Header: Depth=1
	buffer_load_dword v71, v67, s[0:3], 0 offen offset:4
	buffer_load_dword v72, v67, s[0:3], 0 offen
	ds_read_b64 v[69:70], v66
	v_add_u32_e32 v65, 1, v65
	v_cmp_lt_u32_e32 vcc, 26, v65
	v_add_u32_e32 v66, 8, v66
	v_add_u32_e32 v67, 8, v67
	s_or_b64 s[8:9], vcc, s[8:9]
	s_waitcnt vmcnt(1) lgkmcnt(0)
	v_mul_f32_e32 v73, v70, v71
	v_mul_f32_e32 v71, v69, v71
	s_waitcnt vmcnt(0)
	v_fma_f32 v69, v69, v72, -v73
	v_fmac_f32_e32 v71, v70, v72
	v_add_f32_e32 v68, v68, v69
	v_add_f32_e32 v62, v62, v71
	s_andn2_b64 exec, exec, s[8:9]
	s_cbranch_execnz .LBB93_125
; %bb.126:
	s_or_b64 exec, exec, s[8:9]
	v_mov_b32_e32 v65, 0
	ds_read_b64 v[65:66], v65 offset:224
	s_waitcnt lgkmcnt(0)
	v_mul_f32_e32 v67, v62, v66
	v_mul_f32_e32 v66, v68, v66
	v_fma_f32 v67, v68, v65, -v67
	v_fmac_f32_e32 v66, v62, v65
	buffer_store_dword v67, off, s[0:3], 0 offset:224
	buffer_store_dword v66, off, s[0:3], 0 offset:228
.LBB93_127:
	s_or_b64 exec, exec, s[4:5]
	; wave barrier
	buffer_load_dword v65, off, s[0:3], 0 offset:232
	buffer_load_dword v66, off, s[0:3], 0 offset:236
	v_cmp_ne_u32_e32 vcc, 29, v0
	s_waitcnt vmcnt(0)
	ds_write_b64 v64, v[65:66]
	s_waitcnt lgkmcnt(0)
	; wave barrier
	s_and_saveexec_b64 s[4:5], vcc
	s_cbranch_execz .LBB93_131
; %bb.128:
	v_add_u32_e32 v64, 0xf0, v63
	v_mov_b32_e32 v62, 0
	s_mov_b64 s[8:9], 0
	v_mov_b32_e32 v65, 0
.LBB93_129:                             ; =>This Inner Loop Header: Depth=1
	buffer_load_dword v68, v63, s[0:3], 0 offen offset:4
	buffer_load_dword v69, v63, s[0:3], 0 offen
	ds_read_b64 v[66:67], v64
	v_add_u32_e32 v61, 1, v61
	v_cmp_lt_u32_e32 vcc, 27, v61
	v_add_u32_e32 v64, 8, v64
	v_add_u32_e32 v63, 8, v63
	s_or_b64 s[8:9], vcc, s[8:9]
	s_waitcnt vmcnt(1) lgkmcnt(0)
	v_mul_f32_e32 v70, v67, v68
	v_mul_f32_e32 v68, v66, v68
	s_waitcnt vmcnt(0)
	v_fma_f32 v66, v66, v69, -v70
	v_fmac_f32_e32 v68, v67, v69
	v_add_f32_e32 v65, v65, v66
	v_add_f32_e32 v62, v62, v68
	s_andn2_b64 exec, exec, s[8:9]
	s_cbranch_execnz .LBB93_129
; %bb.130:
	s_or_b64 exec, exec, s[8:9]
	v_mov_b32_e32 v61, 0
	ds_read_b64 v[63:64], v61 offset:232
	s_waitcnt lgkmcnt(0)
	v_mul_f32_e32 v61, v62, v64
	v_mul_f32_e32 v64, v65, v64
	v_fma_f32 v61, v65, v63, -v61
	v_fmac_f32_e32 v64, v62, v63
	buffer_store_dword v61, off, s[0:3], 0 offset:232
	buffer_store_dword v64, off, s[0:3], 0 offset:236
.LBB93_131:
	s_or_b64 exec, exec, s[4:5]
	s_mov_b64 s[8:9], -1
	; wave barrier
.LBB93_132:
	s_and_b64 vcc, exec, s[8:9]
	s_cbranch_vccz .LBB93_134
; %bb.133:
	s_lshl_b64 s[4:5], s[6:7], 2
	s_add_u32 s4, s10, s4
	s_addc_u32 s5, s11, s5
	v_mov_b32_e32 v61, 0
	global_load_dword v61, v61, s[4:5]
	s_waitcnt vmcnt(0)
	v_cmp_ne_u32_e32 vcc, 0, v61
	s_cbranch_vccz .LBB93_135
.LBB93_134:
	s_endpgm
.LBB93_135:
	v_mov_b32_e32 v61, 0xf0
	v_lshl_add_u32 v61, v0, 3, v61
	v_cmp_eq_u32_e32 vcc, 29, v0
	s_and_saveexec_b64 s[4:5], vcc
	s_cbranch_execz .LBB93_137
; %bb.136:
	buffer_load_dword v62, off, s[0:3], 0 offset:224
	buffer_load_dword v63, off, s[0:3], 0 offset:228
	v_mov_b32_e32 v64, 0
	buffer_store_dword v64, off, s[0:3], 0 offset:224
	buffer_store_dword v64, off, s[0:3], 0 offset:228
	s_waitcnt vmcnt(2)
	ds_write_b64 v61, v[62:63]
.LBB93_137:
	s_or_b64 exec, exec, s[4:5]
	s_waitcnt lgkmcnt(0)
	; wave barrier
	buffer_load_dword v65, off, s[0:3], 0 offset:236
	buffer_load_dword v66, off, s[0:3], 0 offset:232
	buffer_load_dword v67, off, s[0:3], 0 offset:224
	buffer_load_dword v68, off, s[0:3], 0 offset:228
	v_mov_b32_e32 v62, 0
	ds_read_b64 v[63:64], v62 offset:472
	v_cmp_lt_u32_e32 vcc, 27, v0
	s_waitcnt vmcnt(3) lgkmcnt(0)
	v_mul_f32_e32 v69, v63, v65
	v_mul_f32_e32 v65, v64, v65
	s_waitcnt vmcnt(2)
	v_fma_f32 v63, v63, v66, -v65
	v_fmac_f32_e32 v69, v64, v66
	v_add_f32_e32 v63, 0, v63
	v_add_f32_e32 v64, 0, v69
	s_waitcnt vmcnt(1)
	v_sub_f32_e32 v63, v67, v63
	s_waitcnt vmcnt(0)
	v_sub_f32_e32 v64, v68, v64
	buffer_store_dword v63, off, s[0:3], 0 offset:224
	buffer_store_dword v64, off, s[0:3], 0 offset:228
	s_and_saveexec_b64 s[4:5], vcc
	s_cbranch_execz .LBB93_139
; %bb.138:
	buffer_load_dword v63, off, s[0:3], 0 offset:216
	buffer_load_dword v64, off, s[0:3], 0 offset:220
	s_waitcnt vmcnt(0)
	ds_write_b64 v61, v[63:64]
	buffer_store_dword v62, off, s[0:3], 0 offset:216
	buffer_store_dword v62, off, s[0:3], 0 offset:220
.LBB93_139:
	s_or_b64 exec, exec, s[4:5]
	s_waitcnt lgkmcnt(0)
	; wave barrier
	buffer_load_dword v66, off, s[0:3], 0 offset:228
	buffer_load_dword v67, off, s[0:3], 0 offset:236
	;; [unrolled: 1-line block ×6, first 2 shown]
	ds_read_b128 v[62:65], v62 offset:464
	v_cmp_lt_u32_e32 vcc, 26, v0
	s_waitcnt vmcnt(5) lgkmcnt(0)
	v_mul_f32_e32 v72, v62, v66
	v_mul_f32_e32 v66, v63, v66
	s_waitcnt vmcnt(4)
	v_mul_f32_e32 v73, v64, v67
	v_mul_f32_e32 v67, v65, v67
	s_waitcnt vmcnt(3)
	v_fma_f32 v62, v62, v68, -v66
	v_fmac_f32_e32 v72, v63, v68
	s_waitcnt vmcnt(2)
	v_fma_f32 v63, v64, v69, -v67
	v_add_f32_e32 v62, 0, v62
	v_fmac_f32_e32 v73, v65, v69
	v_add_f32_e32 v64, 0, v72
	v_add_f32_e32 v62, v62, v63
	;; [unrolled: 1-line block ×3, first 2 shown]
	s_waitcnt vmcnt(1)
	v_sub_f32_e32 v62, v70, v62
	s_waitcnt vmcnt(0)
	v_sub_f32_e32 v63, v71, v64
	buffer_store_dword v62, off, s[0:3], 0 offset:216
	buffer_store_dword v63, off, s[0:3], 0 offset:220
	s_and_saveexec_b64 s[4:5], vcc
	s_cbranch_execz .LBB93_141
; %bb.140:
	buffer_load_dword v62, off, s[0:3], 0 offset:208
	buffer_load_dword v63, off, s[0:3], 0 offset:212
	v_mov_b32_e32 v64, 0
	buffer_store_dword v64, off, s[0:3], 0 offset:208
	buffer_store_dword v64, off, s[0:3], 0 offset:212
	s_waitcnt vmcnt(2)
	ds_write_b64 v61, v[62:63]
.LBB93_141:
	s_or_b64 exec, exec, s[4:5]
	s_waitcnt lgkmcnt(0)
	; wave barrier
	buffer_load_dword v69, off, s[0:3], 0 offset:220
	buffer_load_dword v70, off, s[0:3], 0 offset:228
	;; [unrolled: 1-line block ×8, first 2 shown]
	v_mov_b32_e32 v62, 0
	ds_read2_b64 v[63:66], v62 offset0:57 offset1:58
	ds_read_b64 v[67:68], v62 offset:472
	v_cmp_lt_u32_e32 vcc, 25, v0
	s_waitcnt vmcnt(7) lgkmcnt(1)
	v_mul_f32_e32 v77, v63, v69
	v_mul_f32_e32 v69, v64, v69
	s_waitcnt vmcnt(6)
	v_mul_f32_e32 v78, v65, v70
	v_mul_f32_e32 v70, v66, v70
	s_waitcnt vmcnt(4)
	v_fma_f32 v63, v63, v72, -v69
	s_waitcnt lgkmcnt(0)
	v_mul_f32_e32 v79, v67, v71
	v_mul_f32_e32 v71, v68, v71
	v_fmac_f32_e32 v77, v64, v72
	s_waitcnt vmcnt(3)
	v_fma_f32 v64, v65, v73, -v70
	v_add_f32_e32 v63, 0, v63
	v_fmac_f32_e32 v78, v66, v73
	s_waitcnt vmcnt(2)
	v_fma_f32 v65, v67, v74, -v71
	v_add_f32_e32 v66, 0, v77
	v_add_f32_e32 v63, v63, v64
	v_fmac_f32_e32 v79, v68, v74
	v_add_f32_e32 v66, v66, v78
	v_add_f32_e32 v63, v63, v65
	;; [unrolled: 1-line block ×3, first 2 shown]
	s_waitcnt vmcnt(1)
	v_sub_f32_e32 v63, v75, v63
	s_waitcnt vmcnt(0)
	v_sub_f32_e32 v64, v76, v64
	buffer_store_dword v63, off, s[0:3], 0 offset:208
	buffer_store_dword v64, off, s[0:3], 0 offset:212
	s_and_saveexec_b64 s[4:5], vcc
	s_cbranch_execz .LBB93_143
; %bb.142:
	buffer_load_dword v63, off, s[0:3], 0 offset:200
	buffer_load_dword v64, off, s[0:3], 0 offset:204
	s_waitcnt vmcnt(0)
	ds_write_b64 v61, v[63:64]
	buffer_store_dword v62, off, s[0:3], 0 offset:200
	buffer_store_dword v62, off, s[0:3], 0 offset:204
.LBB93_143:
	s_or_b64 exec, exec, s[4:5]
	s_waitcnt lgkmcnt(0)
	; wave barrier
	ds_read_b128 v[63:66], v62 offset:448
	ds_read_b128 v[67:70], v62 offset:464
	buffer_load_dword v62, off, s[0:3], 0 offset:200
	buffer_load_dword v71, off, s[0:3], 0 offset:204
	;; [unrolled: 1-line block ×10, first 2 shown]
	v_cmp_lt_u32_e32 vcc, 24, v0
	s_waitcnt vmcnt(6) lgkmcnt(1)
	v_mul_f32_e32 v80, v63, v73
	v_fmac_f32_e32 v80, v64, v72
	v_mul_f32_e32 v64, v64, v73
	v_fma_f32 v63, v63, v72, -v64
	s_waitcnt vmcnt(4)
	v_mul_f32_e32 v64, v66, v75
	v_mul_f32_e32 v81, v65, v75
	v_add_f32_e32 v63, 0, v63
	v_fma_f32 v64, v65, v74, -v64
	v_add_f32_e32 v80, 0, v80
	v_fmac_f32_e32 v81, v66, v74
	v_add_f32_e32 v63, v63, v64
	s_waitcnt vmcnt(2) lgkmcnt(0)
	v_mul_f32_e32 v64, v68, v77
	v_add_f32_e32 v80, v80, v81
	v_mul_f32_e32 v81, v67, v77
	v_fma_f32 v64, v67, v76, -v64
	v_fmac_f32_e32 v81, v68, v76
	v_add_f32_e32 v63, v63, v64
	s_waitcnt vmcnt(0)
	v_mul_f32_e32 v64, v70, v79
	v_add_f32_e32 v80, v80, v81
	v_mul_f32_e32 v81, v69, v79
	v_fma_f32 v64, v69, v78, -v64
	v_fmac_f32_e32 v81, v70, v78
	v_add_f32_e32 v63, v63, v64
	v_add_f32_e32 v80, v80, v81
	v_sub_f32_e32 v62, v62, v63
	v_sub_f32_e32 v63, v71, v80
	buffer_store_dword v62, off, s[0:3], 0 offset:200
	buffer_store_dword v63, off, s[0:3], 0 offset:204
	s_and_saveexec_b64 s[4:5], vcc
	s_cbranch_execz .LBB93_145
; %bb.144:
	buffer_load_dword v62, off, s[0:3], 0 offset:192
	buffer_load_dword v63, off, s[0:3], 0 offset:196
	v_mov_b32_e32 v64, 0
	buffer_store_dword v64, off, s[0:3], 0 offset:192
	buffer_store_dword v64, off, s[0:3], 0 offset:196
	s_waitcnt vmcnt(2)
	ds_write_b64 v61, v[62:63]
.LBB93_145:
	s_or_b64 exec, exec, s[4:5]
	s_waitcnt lgkmcnt(0)
	; wave barrier
	buffer_load_dword v73, off, s[0:3], 0 offset:204
	buffer_load_dword v74, off, s[0:3], 0 offset:212
	;; [unrolled: 1-line block ×12, first 2 shown]
	v_mov_b32_e32 v62, 0
	ds_read2_b64 v[63:66], v62 offset0:55 offset1:56
	ds_read2_b64 v[67:70], v62 offset0:57 offset1:58
	ds_read_b64 v[71:72], v62 offset:472
	v_cmp_lt_u32_e32 vcc, 23, v0
	s_waitcnt vmcnt(11) lgkmcnt(2)
	v_mul_f32_e32 v85, v63, v73
	v_mul_f32_e32 v73, v64, v73
	s_waitcnt vmcnt(10)
	v_mul_f32_e32 v86, v65, v74
	v_mul_f32_e32 v74, v66, v74
	s_waitcnt vmcnt(9) lgkmcnt(1)
	v_mul_f32_e32 v87, v67, v75
	s_waitcnt vmcnt(6)
	v_fma_f32 v63, v63, v78, -v73
	v_mul_f32_e32 v75, v68, v75
	v_fmac_f32_e32 v85, v64, v78
	s_waitcnt vmcnt(5)
	v_fma_f32 v64, v65, v79, -v74
	v_add_f32_e32 v63, 0, v63
	v_mul_f32_e32 v88, v69, v76
	v_mul_f32_e32 v76, v70, v76
	v_fmac_f32_e32 v86, v66, v79
	s_waitcnt vmcnt(4)
	v_fmac_f32_e32 v87, v68, v80
	v_fma_f32 v65, v67, v80, -v75
	v_add_f32_e32 v68, 0, v85
	v_add_f32_e32 v63, v63, v64
	s_waitcnt lgkmcnt(0)
	v_mul_f32_e32 v89, v71, v77
	v_mul_f32_e32 v77, v72, v77
	s_waitcnt vmcnt(3)
	v_fma_f32 v66, v69, v81, -v76
	v_add_f32_e32 v68, v68, v86
	v_add_f32_e32 v63, v63, v65
	v_fmac_f32_e32 v88, v70, v81
	s_waitcnt vmcnt(2)
	v_fma_f32 v67, v71, v82, -v77
	v_add_f32_e32 v64, v68, v87
	v_add_f32_e32 v63, v63, v66
	v_fmac_f32_e32 v89, v72, v82
	v_add_f32_e32 v64, v64, v88
	v_add_f32_e32 v63, v63, v67
	;; [unrolled: 1-line block ×3, first 2 shown]
	s_waitcnt vmcnt(1)
	v_sub_f32_e32 v63, v83, v63
	s_waitcnt vmcnt(0)
	v_sub_f32_e32 v64, v84, v64
	buffer_store_dword v63, off, s[0:3], 0 offset:192
	buffer_store_dword v64, off, s[0:3], 0 offset:196
	s_and_saveexec_b64 s[4:5], vcc
	s_cbranch_execz .LBB93_147
; %bb.146:
	buffer_load_dword v63, off, s[0:3], 0 offset:184
	buffer_load_dword v64, off, s[0:3], 0 offset:188
	s_waitcnt vmcnt(0)
	ds_write_b64 v61, v[63:64]
	buffer_store_dword v62, off, s[0:3], 0 offset:184
	buffer_store_dword v62, off, s[0:3], 0 offset:188
.LBB93_147:
	s_or_b64 exec, exec, s[4:5]
	s_waitcnt lgkmcnt(0)
	; wave barrier
	buffer_load_dword v75, off, s[0:3], 0 offset:196
	buffer_load_dword v76, off, s[0:3], 0 offset:204
	;; [unrolled: 1-line block ×14, first 2 shown]
	ds_read_b128 v[63:66], v62 offset:432
	ds_read_b128 v[67:70], v62 offset:448
	;; [unrolled: 1-line block ×3, first 2 shown]
	v_cmp_lt_u32_e32 vcc, 22, v0
	s_waitcnt vmcnt(13) lgkmcnt(2)
	v_mul_f32_e32 v62, v63, v75
	v_mul_f32_e32 v75, v64, v75
	s_waitcnt vmcnt(12)
	v_mul_f32_e32 v89, v65, v76
	v_mul_f32_e32 v76, v66, v76
	s_waitcnt vmcnt(11) lgkmcnt(1)
	v_mul_f32_e32 v90, v67, v77
	v_mul_f32_e32 v77, v68, v77
	s_waitcnt vmcnt(7)
	v_fma_f32 v63, v63, v81, -v75
	v_fmac_f32_e32 v62, v64, v81
	s_waitcnt vmcnt(6)
	v_fma_f32 v64, v65, v82, -v76
	v_add_f32_e32 v63, 0, v63
	v_mul_f32_e32 v91, v69, v78
	v_mul_f32_e32 v78, v70, v78
	v_fmac_f32_e32 v89, v66, v82
	s_waitcnt vmcnt(5)
	v_fma_f32 v65, v67, v83, -v77
	v_add_f32_e32 v62, 0, v62
	v_add_f32_e32 v63, v63, v64
	s_waitcnt lgkmcnt(0)
	v_mul_f32_e32 v92, v71, v79
	v_mul_f32_e32 v79, v72, v79
	v_fmac_f32_e32 v90, v68, v83
	s_waitcnt vmcnt(4)
	v_fma_f32 v66, v69, v84, -v78
	v_add_f32_e32 v62, v62, v89
	v_add_f32_e32 v63, v63, v65
	v_mul_f32_e32 v93, v73, v80
	v_mul_f32_e32 v80, v74, v80
	v_fmac_f32_e32 v91, v70, v84
	s_waitcnt vmcnt(3)
	v_fma_f32 v67, v71, v85, -v79
	v_add_f32_e32 v62, v62, v90
	v_add_f32_e32 v63, v63, v66
	v_fmac_f32_e32 v92, v72, v85
	s_waitcnt vmcnt(2)
	v_fma_f32 v68, v73, v86, -v80
	v_add_f32_e32 v62, v62, v91
	v_add_f32_e32 v63, v63, v67
	v_fmac_f32_e32 v93, v74, v86
	v_add_f32_e32 v62, v62, v92
	v_add_f32_e32 v63, v63, v68
	v_add_f32_e32 v62, v62, v93
	s_waitcnt vmcnt(1)
	v_sub_f32_e32 v63, v87, v63
	s_waitcnt vmcnt(0)
	v_sub_f32_e32 v62, v88, v62
	buffer_store_dword v63, off, s[0:3], 0 offset:184
	buffer_store_dword v62, off, s[0:3], 0 offset:188
	s_and_saveexec_b64 s[4:5], vcc
	s_cbranch_execz .LBB93_149
; %bb.148:
	buffer_load_dword v62, off, s[0:3], 0 offset:176
	buffer_load_dword v63, off, s[0:3], 0 offset:180
	v_mov_b32_e32 v64, 0
	buffer_store_dword v64, off, s[0:3], 0 offset:176
	buffer_store_dword v64, off, s[0:3], 0 offset:180
	s_waitcnt vmcnt(2)
	ds_write_b64 v61, v[62:63]
.LBB93_149:
	s_or_b64 exec, exec, s[4:5]
	s_waitcnt lgkmcnt(0)
	; wave barrier
	buffer_load_dword v77, off, s[0:3], 0 offset:188
	buffer_load_dword v78, off, s[0:3], 0 offset:196
	;; [unrolled: 1-line block ×16, first 2 shown]
	v_mov_b32_e32 v62, 0
	ds_read2_b64 v[63:66], v62 offset0:53 offset1:54
	ds_read2_b64 v[67:70], v62 offset0:55 offset1:56
	;; [unrolled: 1-line block ×3, first 2 shown]
	ds_read_b64 v[75:76], v62 offset:472
	v_cmp_lt_u32_e32 vcc, 21, v0
	s_waitcnt vmcnt(15) lgkmcnt(3)
	v_mul_f32_e32 v93, v63, v77
	v_mul_f32_e32 v77, v64, v77
	s_waitcnt vmcnt(14)
	v_mul_f32_e32 v94, v65, v78
	v_mul_f32_e32 v78, v66, v78
	s_waitcnt vmcnt(13) lgkmcnt(2)
	v_mul_f32_e32 v95, v67, v79
	s_waitcnt vmcnt(12)
	v_mul_f32_e32 v96, v69, v80
	v_mul_f32_e32 v79, v68, v79
	s_waitcnt vmcnt(8)
	v_fma_f32 v63, v63, v84, -v77
	v_fmac_f32_e32 v93, v64, v84
	s_waitcnt vmcnt(7)
	v_fma_f32 v64, v65, v85, -v78
	v_add_f32_e32 v63, 0, v63
	v_mul_f32_e32 v80, v70, v80
	v_fmac_f32_e32 v94, v66, v85
	s_waitcnt vmcnt(5)
	v_fmac_f32_e32 v96, v70, v87
	v_fma_f32 v65, v67, v86, -v79
	v_add_f32_e32 v70, 0, v93
	v_add_f32_e32 v63, v63, v64
	s_waitcnt lgkmcnt(1)
	v_mul_f32_e32 v97, v71, v81
	v_mul_f32_e32 v81, v72, v81
	v_fmac_f32_e32 v95, v68, v86
	v_fma_f32 v66, v69, v87, -v80
	v_add_f32_e32 v70, v70, v94
	v_add_f32_e32 v63, v63, v65
	v_mul_f32_e32 v98, v73, v82
	v_mul_f32_e32 v82, v74, v82
	s_waitcnt vmcnt(4)
	v_fma_f32 v67, v71, v88, -v81
	v_add_f32_e32 v64, v70, v95
	v_add_f32_e32 v63, v63, v66
	s_waitcnt lgkmcnt(0)
	v_mul_f32_e32 v99, v75, v83
	v_mul_f32_e32 v83, v76, v83
	v_fmac_f32_e32 v97, v72, v88
	s_waitcnt vmcnt(3)
	v_fma_f32 v68, v73, v89, -v82
	v_add_f32_e32 v64, v64, v96
	v_add_f32_e32 v63, v63, v67
	v_fmac_f32_e32 v98, v74, v89
	s_waitcnt vmcnt(2)
	v_fma_f32 v69, v75, v90, -v83
	v_add_f32_e32 v64, v64, v97
	v_add_f32_e32 v63, v63, v68
	v_fmac_f32_e32 v99, v76, v90
	v_add_f32_e32 v64, v64, v98
	v_add_f32_e32 v63, v63, v69
	;; [unrolled: 1-line block ×3, first 2 shown]
	s_waitcnt vmcnt(1)
	v_sub_f32_e32 v63, v91, v63
	s_waitcnt vmcnt(0)
	v_sub_f32_e32 v64, v92, v64
	buffer_store_dword v63, off, s[0:3], 0 offset:176
	buffer_store_dword v64, off, s[0:3], 0 offset:180
	s_and_saveexec_b64 s[4:5], vcc
	s_cbranch_execz .LBB93_151
; %bb.150:
	buffer_load_dword v63, off, s[0:3], 0 offset:168
	buffer_load_dword v64, off, s[0:3], 0 offset:172
	s_waitcnt vmcnt(0)
	ds_write_b64 v61, v[63:64]
	buffer_store_dword v62, off, s[0:3], 0 offset:168
	buffer_store_dword v62, off, s[0:3], 0 offset:172
.LBB93_151:
	s_or_b64 exec, exec, s[4:5]
	s_waitcnt lgkmcnt(0)
	; wave barrier
	buffer_load_dword v79, off, s[0:3], 0 offset:180
	buffer_load_dword v80, off, s[0:3], 0 offset:188
	;; [unrolled: 1-line block ×18, first 2 shown]
	ds_read_b128 v[63:66], v62 offset:416
	ds_read_b128 v[67:70], v62 offset:432
	;; [unrolled: 1-line block ×4, first 2 shown]
	v_cmp_lt_u32_e32 vcc, 20, v0
	s_waitcnt vmcnt(17) lgkmcnt(3)
	v_mul_f32_e32 v62, v63, v79
	v_mul_f32_e32 v79, v64, v79
	s_waitcnt vmcnt(16)
	v_mul_f32_e32 v97, v65, v80
	v_mul_f32_e32 v80, v66, v80
	s_waitcnt vmcnt(15) lgkmcnt(2)
	v_mul_f32_e32 v98, v67, v81
	v_mul_f32_e32 v81, v68, v81
	s_waitcnt vmcnt(14)
	v_mul_f32_e32 v99, v69, v82
	v_mul_f32_e32 v82, v70, v82
	s_waitcnt vmcnt(9)
	v_fma_f32 v63, v63, v87, -v79
	v_fmac_f32_e32 v62, v64, v87
	s_waitcnt vmcnt(8)
	v_fma_f32 v64, v65, v88, -v80
	v_add_f32_e32 v63, 0, v63
	v_fmac_f32_e32 v97, v66, v88
	s_waitcnt vmcnt(7)
	v_fma_f32 v65, v67, v89, -v81
	v_add_f32_e32 v62, 0, v62
	v_add_f32_e32 v63, v63, v64
	s_waitcnt lgkmcnt(1)
	v_mul_f32_e32 v100, v71, v83
	v_mul_f32_e32 v83, v72, v83
	v_fmac_f32_e32 v98, v68, v89
	s_waitcnt vmcnt(6)
	v_fma_f32 v66, v69, v90, -v82
	v_add_f32_e32 v62, v62, v97
	v_add_f32_e32 v63, v63, v65
	v_mul_f32_e32 v101, v73, v84
	v_mul_f32_e32 v84, v74, v84
	v_fmac_f32_e32 v99, v70, v90
	s_waitcnt vmcnt(5)
	v_fma_f32 v67, v71, v91, -v83
	v_add_f32_e32 v62, v62, v98
	v_add_f32_e32 v63, v63, v66
	s_waitcnt lgkmcnt(0)
	v_mul_f32_e32 v102, v75, v85
	v_mul_f32_e32 v85, v76, v85
	v_fmac_f32_e32 v100, v72, v91
	s_waitcnt vmcnt(4)
	v_fma_f32 v68, v73, v92, -v84
	v_add_f32_e32 v62, v62, v99
	v_add_f32_e32 v63, v63, v67
	v_mul_f32_e32 v103, v77, v86
	v_mul_f32_e32 v86, v78, v86
	v_fmac_f32_e32 v101, v74, v92
	s_waitcnt vmcnt(3)
	v_fma_f32 v69, v75, v93, -v85
	v_add_f32_e32 v62, v62, v100
	v_add_f32_e32 v63, v63, v68
	v_fmac_f32_e32 v102, v76, v93
	s_waitcnt vmcnt(2)
	v_fma_f32 v70, v77, v94, -v86
	v_add_f32_e32 v62, v62, v101
	v_add_f32_e32 v63, v63, v69
	v_fmac_f32_e32 v103, v78, v94
	v_add_f32_e32 v62, v62, v102
	v_add_f32_e32 v63, v63, v70
	;; [unrolled: 1-line block ×3, first 2 shown]
	s_waitcnt vmcnt(1)
	v_sub_f32_e32 v63, v95, v63
	s_waitcnt vmcnt(0)
	v_sub_f32_e32 v62, v96, v62
	buffer_store_dword v63, off, s[0:3], 0 offset:168
	buffer_store_dword v62, off, s[0:3], 0 offset:172
	s_and_saveexec_b64 s[4:5], vcc
	s_cbranch_execz .LBB93_153
; %bb.152:
	buffer_load_dword v62, off, s[0:3], 0 offset:160
	buffer_load_dword v63, off, s[0:3], 0 offset:164
	v_mov_b32_e32 v64, 0
	buffer_store_dword v64, off, s[0:3], 0 offset:160
	buffer_store_dword v64, off, s[0:3], 0 offset:164
	s_waitcnt vmcnt(2)
	ds_write_b64 v61, v[62:63]
.LBB93_153:
	s_or_b64 exec, exec, s[4:5]
	s_waitcnt lgkmcnt(0)
	; wave barrier
	buffer_load_dword v81, off, s[0:3], 0 offset:172
	buffer_load_dword v82, off, s[0:3], 0 offset:180
	;; [unrolled: 1-line block ×20, first 2 shown]
	v_mov_b32_e32 v62, 0
	ds_read2_b64 v[63:66], v62 offset0:51 offset1:52
	ds_read2_b64 v[67:70], v62 offset0:53 offset1:54
	ds_read2_b64 v[71:74], v62 offset0:55 offset1:56
	ds_read2_b64 v[75:78], v62 offset0:57 offset1:58
	ds_read_b64 v[79:80], v62 offset:472
	v_cmp_lt_u32_e32 vcc, 19, v0
	s_waitcnt vmcnt(19) lgkmcnt(4)
	v_mul_f32_e32 v101, v63, v81
	v_mul_f32_e32 v81, v64, v81
	s_waitcnt vmcnt(18)
	v_mul_f32_e32 v102, v65, v82
	v_mul_f32_e32 v82, v66, v82
	s_waitcnt vmcnt(17) lgkmcnt(3)
	v_mul_f32_e32 v103, v67, v83
	s_waitcnt vmcnt(15) lgkmcnt(2)
	v_mul_f32_e32 v105, v71, v85
	v_mul_f32_e32 v83, v68, v83
	;; [unrolled: 1-line block ×4, first 2 shown]
	s_waitcnt vmcnt(10)
	v_fma_f32 v63, v63, v90, -v81
	v_fmac_f32_e32 v101, v64, v90
	s_waitcnt vmcnt(9)
	v_fma_f32 v64, v65, v91, -v82
	v_add_f32_e32 v63, 0, v63
	v_mul_f32_e32 v85, v72, v85
	v_fmac_f32_e32 v102, v66, v91
	s_waitcnt vmcnt(6)
	v_fmac_f32_e32 v105, v72, v94
	v_fma_f32 v65, v67, v92, -v83
	v_add_f32_e32 v72, 0, v101
	v_add_f32_e32 v63, v63, v64
	v_fmac_f32_e32 v103, v68, v92
	v_fma_f32 v66, v69, v93, -v84
	v_add_f32_e32 v72, v72, v102
	v_add_f32_e32 v63, v63, v65
	v_mul_f32_e32 v106, v73, v86
	v_mul_f32_e32 v86, v74, v86
	v_fmac_f32_e32 v104, v70, v93
	v_fma_f32 v67, v71, v94, -v85
	v_add_f32_e32 v64, v72, v103
	v_add_f32_e32 v63, v63, v66
	s_waitcnt lgkmcnt(1)
	v_mul_f32_e32 v107, v75, v87
	v_mul_f32_e32 v87, v76, v87
	s_waitcnt vmcnt(5)
	v_fma_f32 v68, v73, v95, -v86
	v_add_f32_e32 v64, v64, v104
	v_add_f32_e32 v63, v63, v67
	v_mul_f32_e32 v108, v77, v88
	v_mul_f32_e32 v88, v78, v88
	v_fmac_f32_e32 v106, v74, v95
	s_waitcnt vmcnt(4)
	v_fma_f32 v69, v75, v96, -v87
	v_add_f32_e32 v64, v64, v105
	v_add_f32_e32 v63, v63, v68
	s_waitcnt lgkmcnt(0)
	v_mul_f32_e32 v109, v79, v89
	v_mul_f32_e32 v89, v80, v89
	v_fmac_f32_e32 v107, v76, v96
	s_waitcnt vmcnt(3)
	v_fma_f32 v70, v77, v97, -v88
	v_add_f32_e32 v64, v64, v106
	v_add_f32_e32 v63, v63, v69
	v_fmac_f32_e32 v108, v78, v97
	s_waitcnt vmcnt(2)
	v_fma_f32 v71, v79, v98, -v89
	v_add_f32_e32 v64, v64, v107
	v_add_f32_e32 v63, v63, v70
	v_fmac_f32_e32 v109, v80, v98
	v_add_f32_e32 v64, v64, v108
	v_add_f32_e32 v63, v63, v71
	;; [unrolled: 1-line block ×3, first 2 shown]
	s_waitcnt vmcnt(1)
	v_sub_f32_e32 v63, v99, v63
	s_waitcnt vmcnt(0)
	v_sub_f32_e32 v64, v100, v64
	buffer_store_dword v63, off, s[0:3], 0 offset:160
	buffer_store_dword v64, off, s[0:3], 0 offset:164
	s_and_saveexec_b64 s[4:5], vcc
	s_cbranch_execz .LBB93_155
; %bb.154:
	buffer_load_dword v63, off, s[0:3], 0 offset:152
	buffer_load_dword v64, off, s[0:3], 0 offset:156
	s_waitcnt vmcnt(0)
	ds_write_b64 v61, v[63:64]
	buffer_store_dword v62, off, s[0:3], 0 offset:152
	buffer_store_dword v62, off, s[0:3], 0 offset:156
.LBB93_155:
	s_or_b64 exec, exec, s[4:5]
	s_waitcnt lgkmcnt(0)
	; wave barrier
	buffer_load_dword v83, off, s[0:3], 0 offset:164
	buffer_load_dword v84, off, s[0:3], 0 offset:172
	;; [unrolled: 1-line block ×22, first 2 shown]
	ds_read_b128 v[63:66], v62 offset:400
	ds_read_b128 v[67:70], v62 offset:416
	;; [unrolled: 1-line block ×5, first 2 shown]
	v_cmp_lt_u32_e32 vcc, 18, v0
	s_waitcnt vmcnt(21) lgkmcnt(4)
	v_mul_f32_e32 v62, v63, v83
	v_mul_f32_e32 v83, v64, v83
	s_waitcnt vmcnt(20)
	v_mul_f32_e32 v105, v65, v84
	v_mul_f32_e32 v84, v66, v84
	s_waitcnt vmcnt(19) lgkmcnt(3)
	v_mul_f32_e32 v106, v67, v85
	v_mul_f32_e32 v85, v68, v85
	s_waitcnt vmcnt(18)
	v_mul_f32_e32 v107, v69, v86
	v_mul_f32_e32 v86, v70, v86
	s_waitcnt vmcnt(17) lgkmcnt(2)
	v_mul_f32_e32 v108, v71, v87
	v_mul_f32_e32 v87, v72, v87
	s_waitcnt vmcnt(11)
	v_fma_f32 v63, v63, v93, -v83
	v_fmac_f32_e32 v62, v64, v93
	s_waitcnt vmcnt(10)
	v_fma_f32 v64, v65, v94, -v84
	v_add_f32_e32 v63, 0, v63
	v_fmac_f32_e32 v105, v66, v94
	s_waitcnt vmcnt(9)
	v_fma_f32 v65, v67, v95, -v85
	v_add_f32_e32 v62, 0, v62
	v_add_f32_e32 v63, v63, v64
	v_fmac_f32_e32 v106, v68, v95
	s_waitcnt vmcnt(8)
	v_fma_f32 v66, v69, v96, -v86
	v_add_f32_e32 v62, v62, v105
	v_add_f32_e32 v63, v63, v65
	v_mul_f32_e32 v109, v73, v88
	v_mul_f32_e32 v88, v74, v88
	v_fmac_f32_e32 v107, v70, v96
	s_waitcnt vmcnt(7)
	v_fma_f32 v67, v71, v97, -v87
	v_add_f32_e32 v62, v62, v106
	v_add_f32_e32 v63, v63, v66
	s_waitcnt lgkmcnt(1)
	v_mul_f32_e32 v110, v75, v89
	v_mul_f32_e32 v89, v76, v89
	v_fmac_f32_e32 v108, v72, v97
	s_waitcnt vmcnt(6)
	v_fma_f32 v68, v73, v98, -v88
	v_add_f32_e32 v62, v62, v107
	v_add_f32_e32 v63, v63, v67
	v_mul_f32_e32 v111, v77, v90
	v_mul_f32_e32 v90, v78, v90
	v_fmac_f32_e32 v109, v74, v98
	s_waitcnt vmcnt(5)
	v_fma_f32 v69, v75, v99, -v89
	v_add_f32_e32 v62, v62, v108
	v_add_f32_e32 v63, v63, v68
	s_waitcnt lgkmcnt(0)
	v_mul_f32_e32 v112, v79, v91
	v_mul_f32_e32 v91, v80, v91
	v_fmac_f32_e32 v110, v76, v99
	s_waitcnt vmcnt(4)
	v_fma_f32 v70, v77, v100, -v90
	v_add_f32_e32 v62, v62, v109
	v_add_f32_e32 v63, v63, v69
	v_mul_f32_e32 v113, v81, v92
	v_mul_f32_e32 v92, v82, v92
	v_fmac_f32_e32 v111, v78, v100
	s_waitcnt vmcnt(3)
	v_fma_f32 v71, v79, v101, -v91
	v_add_f32_e32 v62, v62, v110
	v_add_f32_e32 v63, v63, v70
	v_fmac_f32_e32 v112, v80, v101
	s_waitcnt vmcnt(2)
	v_fma_f32 v72, v81, v102, -v92
	v_add_f32_e32 v62, v62, v111
	v_add_f32_e32 v63, v63, v71
	v_fmac_f32_e32 v113, v82, v102
	v_add_f32_e32 v62, v62, v112
	v_add_f32_e32 v63, v63, v72
	;; [unrolled: 1-line block ×3, first 2 shown]
	s_waitcnt vmcnt(1)
	v_sub_f32_e32 v63, v103, v63
	s_waitcnt vmcnt(0)
	v_sub_f32_e32 v62, v104, v62
	buffer_store_dword v63, off, s[0:3], 0 offset:152
	buffer_store_dword v62, off, s[0:3], 0 offset:156
	s_and_saveexec_b64 s[4:5], vcc
	s_cbranch_execz .LBB93_157
; %bb.156:
	buffer_load_dword v62, off, s[0:3], 0 offset:144
	buffer_load_dword v63, off, s[0:3], 0 offset:148
	v_mov_b32_e32 v64, 0
	buffer_store_dword v64, off, s[0:3], 0 offset:144
	buffer_store_dword v64, off, s[0:3], 0 offset:148
	s_waitcnt vmcnt(2)
	ds_write_b64 v61, v[62:63]
.LBB93_157:
	s_or_b64 exec, exec, s[4:5]
	s_waitcnt lgkmcnt(0)
	; wave barrier
	buffer_load_dword v85, off, s[0:3], 0 offset:156
	buffer_load_dword v86, off, s[0:3], 0 offset:164
	;; [unrolled: 1-line block ×24, first 2 shown]
	v_mov_b32_e32 v62, 0
	ds_read2_b64 v[63:66], v62 offset0:49 offset1:50
	ds_read2_b64 v[67:70], v62 offset0:51 offset1:52
	;; [unrolled: 1-line block ×5, first 2 shown]
	ds_read_b64 v[83:84], v62 offset:472
	v_cmp_lt_u32_e32 vcc, 17, v0
	s_waitcnt vmcnt(23) lgkmcnt(5)
	v_mul_f32_e32 v109, v63, v85
	v_mul_f32_e32 v85, v64, v85
	s_waitcnt vmcnt(22)
	v_mul_f32_e32 v110, v65, v86
	v_mul_f32_e32 v86, v66, v86
	s_waitcnt vmcnt(21) lgkmcnt(4)
	v_mul_f32_e32 v111, v67, v87
	v_mul_f32_e32 v87, v68, v87
	s_waitcnt vmcnt(20)
	v_mul_f32_e32 v112, v69, v88
	s_waitcnt vmcnt(19) lgkmcnt(3)
	v_mul_f32_e32 v113, v71, v89
	v_mul_f32_e32 v88, v70, v88
	;; [unrolled: 1-line block ×3, first 2 shown]
	s_waitcnt vmcnt(18)
	v_mul_f32_e32 v114, v73, v90
	s_waitcnt vmcnt(12)
	v_fma_f32 v63, v63, v96, -v85
	v_fmac_f32_e32 v109, v64, v96
	s_waitcnt vmcnt(11)
	v_fma_f32 v64, v65, v97, -v86
	v_add_f32_e32 v63, 0, v63
	s_waitcnt vmcnt(10)
	v_fma_f32 v65, v67, v98, -v87
	v_add_f32_e32 v63, v63, v64
	v_fmac_f32_e32 v110, v66, v97
	s_waitcnt vmcnt(8)
	v_fmac_f32_e32 v113, v72, v100
	v_fma_f32 v66, v69, v99, -v88
	v_add_f32_e32 v72, 0, v109
	v_add_f32_e32 v63, v63, v65
	v_mul_f32_e32 v90, v74, v90
	v_fmac_f32_e32 v111, v68, v98
	v_fma_f32 v67, v71, v100, -v89
	v_add_f32_e32 v72, v72, v110
	v_add_f32_e32 v63, v63, v66
	s_waitcnt lgkmcnt(2)
	v_mul_f32_e32 v115, v75, v91
	v_mul_f32_e32 v91, v76, v91
	v_fmac_f32_e32 v112, v70, v99
	s_waitcnt vmcnt(7)
	v_fma_f32 v68, v73, v101, -v90
	v_add_f32_e32 v64, v72, v111
	v_add_f32_e32 v63, v63, v67
	v_mul_f32_e32 v116, v77, v92
	v_mul_f32_e32 v92, v78, v92
	s_waitcnt vmcnt(6)
	v_fma_f32 v69, v75, v102, -v91
	v_add_f32_e32 v64, v64, v112
	v_add_f32_e32 v63, v63, v68
	s_waitcnt lgkmcnt(1)
	v_mul_f32_e32 v117, v79, v93
	v_mul_f32_e32 v93, v80, v93
	v_fmac_f32_e32 v114, v74, v101
	s_waitcnt vmcnt(5)
	v_fma_f32 v70, v77, v103, -v92
	v_add_f32_e32 v64, v64, v113
	v_add_f32_e32 v63, v63, v69
	v_fmac_f32_e32 v115, v76, v102
	s_waitcnt vmcnt(4)
	v_fma_f32 v71, v79, v104, -v93
	v_add_f32_e32 v64, v64, v114
	v_add_f32_e32 v63, v63, v70
	v_mul_f32_e32 v65, v82, v94
	v_fmac_f32_e32 v116, v78, v103
	v_add_f32_e32 v64, v64, v115
	v_add_f32_e32 v63, v63, v71
	s_waitcnt vmcnt(3)
	v_fma_f32 v65, v81, v105, -v65
	v_mul_f32_e32 v118, v81, v94
	v_fmac_f32_e32 v117, v80, v104
	v_add_f32_e32 v64, v64, v116
	v_add_f32_e32 v63, v63, v65
	s_waitcnt lgkmcnt(0)
	v_mul_f32_e32 v65, v84, v95
	v_mul_f32_e32 v119, v83, v95
	v_fmac_f32_e32 v118, v82, v105
	v_add_f32_e32 v64, v64, v117
	s_waitcnt vmcnt(2)
	v_fma_f32 v65, v83, v106, -v65
	v_fmac_f32_e32 v119, v84, v106
	v_add_f32_e32 v64, v64, v118
	v_add_f32_e32 v63, v63, v65
	;; [unrolled: 1-line block ×3, first 2 shown]
	s_waitcnt vmcnt(1)
	v_sub_f32_e32 v63, v107, v63
	s_waitcnt vmcnt(0)
	v_sub_f32_e32 v64, v108, v64
	buffer_store_dword v63, off, s[0:3], 0 offset:144
	buffer_store_dword v64, off, s[0:3], 0 offset:148
	s_and_saveexec_b64 s[4:5], vcc
	s_cbranch_execz .LBB93_159
; %bb.158:
	buffer_load_dword v63, off, s[0:3], 0 offset:136
	buffer_load_dword v64, off, s[0:3], 0 offset:140
	s_waitcnt vmcnt(0)
	ds_write_b64 v61, v[63:64]
	buffer_store_dword v62, off, s[0:3], 0 offset:136
	buffer_store_dword v62, off, s[0:3], 0 offset:140
.LBB93_159:
	s_or_b64 exec, exec, s[4:5]
	s_waitcnt lgkmcnt(0)
	; wave barrier
	buffer_load_dword v87, off, s[0:3], 0 offset:148
	buffer_load_dword v88, off, s[0:3], 0 offset:156
	;; [unrolled: 1-line block ×26, first 2 shown]
	ds_read_b128 v[63:66], v62 offset:384
	ds_read_b128 v[67:70], v62 offset:400
	;; [unrolled: 1-line block ×6, first 2 shown]
	v_cmp_lt_u32_e32 vcc, 16, v0
	s_waitcnt vmcnt(25) lgkmcnt(5)
	v_mul_f32_e32 v62, v63, v87
	v_mul_f32_e32 v87, v64, v87
	s_waitcnt vmcnt(24)
	v_mul_f32_e32 v113, v65, v88
	v_mul_f32_e32 v88, v66, v88
	s_waitcnt vmcnt(23) lgkmcnt(4)
	v_mul_f32_e32 v114, v67, v89
	v_mul_f32_e32 v89, v68, v89
	s_waitcnt vmcnt(22)
	v_mul_f32_e32 v115, v69, v90
	v_mul_f32_e32 v90, v70, v90
	;; [unrolled: 6-line block ×3, first 2 shown]
	s_waitcnt vmcnt(13)
	v_fma_f32 v63, v63, v99, -v87
	v_fmac_f32_e32 v62, v64, v99
	s_waitcnt vmcnt(12)
	v_fma_f32 v64, v65, v100, -v88
	v_add_f32_e32 v63, 0, v63
	s_waitcnt vmcnt(11)
	v_fma_f32 v65, v67, v101, -v89
	v_add_f32_e32 v63, v63, v64
	v_fmac_f32_e32 v113, v66, v100
	s_waitcnt vmcnt(10)
	v_fma_f32 v66, v69, v102, -v90
	v_add_f32_e32 v63, v63, v65
	s_waitcnt vmcnt(9)
	v_fma_f32 v67, v71, v103, -v91
	v_add_f32_e32 v63, v63, v66
	s_waitcnt lgkmcnt(2)
	v_mul_f32_e32 v118, v75, v93
	v_mul_f32_e32 v93, v76, v93
	v_fmac_f32_e32 v114, v68, v101
	s_waitcnt vmcnt(8)
	v_fma_f32 v68, v73, v104, -v92
	v_add_f32_e32 v62, 0, v62
	v_add_f32_e32 v63, v63, v67
	v_mul_f32_e32 v119, v77, v94
	v_mul_f32_e32 v94, v78, v94
	s_waitcnt vmcnt(7)
	v_fma_f32 v69, v75, v105, -v93
	v_add_f32_e32 v62, v62, v113
	v_add_f32_e32 v63, v63, v68
	v_fmac_f32_e32 v115, v70, v102
	s_waitcnt vmcnt(6)
	v_fma_f32 v70, v77, v106, -v94
	v_add_f32_e32 v62, v62, v114
	v_add_f32_e32 v63, v63, v69
	s_waitcnt lgkmcnt(1)
	v_mul_f32_e32 v64, v80, v95
	v_fmac_f32_e32 v116, v72, v103
	v_add_f32_e32 v62, v62, v115
	v_add_f32_e32 v63, v63, v70
	s_waitcnt vmcnt(5)
	v_fma_f32 v64, v79, v107, -v64
	v_fmac_f32_e32 v117, v74, v104
	v_add_f32_e32 v62, v62, v116
	v_add_f32_e32 v63, v63, v64
	v_mul_f32_e32 v64, v82, v96
	v_fmac_f32_e32 v118, v76, v105
	v_add_f32_e32 v62, v62, v117
	s_waitcnt vmcnt(4)
	v_fma_f32 v64, v81, v108, -v64
	v_mul_f32_e32 v120, v79, v95
	v_fmac_f32_e32 v119, v78, v106
	v_add_f32_e32 v62, v62, v118
	v_add_f32_e32 v63, v63, v64
	s_waitcnt lgkmcnt(0)
	v_mul_f32_e32 v64, v84, v97
	v_mul_f32_e32 v121, v81, v96
	v_fmac_f32_e32 v120, v80, v107
	v_add_f32_e32 v62, v62, v119
	s_waitcnt vmcnt(3)
	v_fma_f32 v64, v83, v109, -v64
	v_mul_f32_e32 v122, v83, v97
	v_fmac_f32_e32 v121, v82, v108
	v_add_f32_e32 v62, v62, v120
	v_add_f32_e32 v63, v63, v64
	v_mul_f32_e32 v64, v86, v98
	v_mul_f32_e32 v123, v85, v98
	v_fmac_f32_e32 v122, v84, v109
	v_add_f32_e32 v62, v62, v121
	s_waitcnt vmcnt(2)
	v_fma_f32 v64, v85, v110, -v64
	v_fmac_f32_e32 v123, v86, v110
	v_add_f32_e32 v62, v62, v122
	v_add_f32_e32 v63, v63, v64
	;; [unrolled: 1-line block ×3, first 2 shown]
	s_waitcnt vmcnt(1)
	v_sub_f32_e32 v63, v111, v63
	s_waitcnt vmcnt(0)
	v_sub_f32_e32 v62, v112, v62
	buffer_store_dword v63, off, s[0:3], 0 offset:136
	buffer_store_dword v62, off, s[0:3], 0 offset:140
	s_and_saveexec_b64 s[4:5], vcc
	s_cbranch_execz .LBB93_161
; %bb.160:
	buffer_load_dword v62, off, s[0:3], 0 offset:128
	buffer_load_dword v63, off, s[0:3], 0 offset:132
	v_mov_b32_e32 v64, 0
	buffer_store_dword v64, off, s[0:3], 0 offset:128
	buffer_store_dword v64, off, s[0:3], 0 offset:132
	s_waitcnt vmcnt(2)
	ds_write_b64 v61, v[62:63]
.LBB93_161:
	s_or_b64 exec, exec, s[4:5]
	v_mov_b32_e32 v62, 0
	s_waitcnt lgkmcnt(0)
	; wave barrier
	ds_read2_b64 v[63:66], v62 offset0:47 offset1:48
	buffer_load_dword v89, off, s[0:3], 0 offset:128
	buffer_load_dword v90, off, s[0:3], 0 offset:132
	;; [unrolled: 1-line block ×16, first 2 shown]
	v_cmp_lt_u32_e32 vcc, 15, v0
	s_waitcnt vmcnt(12) lgkmcnt(0)
	v_mul_f32_e32 v67, v63, v92
	v_fmac_f32_e32 v67, v64, v91
	s_waitcnt vmcnt(10)
	v_mul_f32_e32 v68, v65, v94
	v_add_f32_e32 v67, 0, v67
	v_fmac_f32_e32 v68, v66, v93
	v_add_f32_e32 v71, v67, v68
	ds_read2_b64 v[67:70], v62 offset0:49 offset1:50
	v_mul_f32_e32 v64, v64, v92
	v_fma_f32 v63, v63, v91, -v64
	v_mul_f32_e32 v64, v66, v94
	v_add_f32_e32 v63, 0, v63
	s_waitcnt vmcnt(8) lgkmcnt(0)
	v_mul_f32_e32 v72, v67, v96
	v_fmac_f32_e32 v72, v68, v95
	v_add_f32_e32 v71, v71, v72
	s_waitcnt vmcnt(6)
	v_mul_f32_e32 v72, v69, v98
	v_fmac_f32_e32 v72, v70, v97
	v_add_f32_e32 v75, v71, v72
	ds_read2_b64 v[71:74], v62 offset0:51 offset1:52
	v_fma_f32 v64, v65, v93, -v64
	v_add_f32_e32 v63, v63, v64
	v_mul_f32_e32 v64, v68, v96
	v_fma_f32 v64, v67, v95, -v64
	s_waitcnt vmcnt(4) lgkmcnt(0)
	v_mul_f32_e32 v76, v71, v100
	v_fmac_f32_e32 v76, v72, v99
	v_add_f32_e32 v75, v75, v76
	s_waitcnt vmcnt(2)
	v_mul_f32_e32 v76, v73, v102
	v_fmac_f32_e32 v76, v74, v101
	v_add_f32_e32 v79, v75, v76
	ds_read2_b64 v[75:78], v62 offset0:53 offset1:54
	buffer_load_dword v105, off, s[0:3], 0 offset:192
	buffer_load_dword v106, off, s[0:3], 0 offset:196
	v_add_f32_e32 v63, v63, v64
	v_mul_f32_e32 v64, v70, v98
	v_fma_f32 v64, v69, v97, -v64
	s_waitcnt vmcnt(2) lgkmcnt(0)
	v_mul_f32_e32 v80, v75, v104
	v_fmac_f32_e32 v80, v76, v103
	v_add_f32_e32 v79, v79, v80
	v_add_f32_e32 v63, v63, v64
	v_mul_f32_e32 v64, v72, v100
	v_fma_f32 v64, v71, v99, -v64
	v_add_f32_e32 v63, v63, v64
	v_mul_f32_e32 v64, v74, v102
	v_fma_f32 v64, v73, v101, -v64
	;; [unrolled: 3-line block ×3, first 2 shown]
	v_add_f32_e32 v63, v63, v64
	s_waitcnt vmcnt(0)
	v_mul_f32_e32 v80, v77, v106
	v_fmac_f32_e32 v80, v78, v105
	v_add_f32_e32 v83, v79, v80
	ds_read2_b64 v[79:82], v62 offset0:55 offset1:56
	buffer_load_dword v107, off, s[0:3], 0 offset:200
	buffer_load_dword v108, off, s[0:3], 0 offset:204
	;; [unrolled: 1-line block ×4, first 2 shown]
	v_mul_f32_e32 v64, v78, v106
	v_fma_f32 v64, v77, v105, -v64
	v_add_f32_e32 v63, v63, v64
	s_waitcnt vmcnt(2) lgkmcnt(0)
	v_mul_f32_e32 v84, v79, v108
	v_fmac_f32_e32 v84, v80, v107
	v_add_f32_e32 v83, v83, v84
	s_waitcnt vmcnt(0)
	v_mul_f32_e32 v84, v81, v110
	v_fmac_f32_e32 v84, v82, v109
	v_add_f32_e32 v87, v83, v84
	ds_read2_b64 v[83:86], v62 offset0:57 offset1:58
	buffer_load_dword v111, off, s[0:3], 0 offset:216
	buffer_load_dword v112, off, s[0:3], 0 offset:220
	;; [unrolled: 1-line block ×4, first 2 shown]
	v_mul_f32_e32 v64, v80, v108
	v_fma_f32 v64, v79, v107, -v64
	v_add_f32_e32 v63, v63, v64
	v_mul_f32_e32 v64, v82, v110
	v_fma_f32 v64, v81, v109, -v64
	v_add_f32_e32 v63, v63, v64
	s_waitcnt vmcnt(2) lgkmcnt(0)
	v_mul_f32_e32 v88, v83, v112
	v_fmac_f32_e32 v88, v84, v111
	v_add_f32_e32 v87, v87, v88
	s_waitcnt vmcnt(0)
	v_mul_f32_e32 v88, v85, v114
	v_fmac_f32_e32 v88, v86, v113
	v_add_f32_e32 v115, v87, v88
	ds_read_b64 v[87:88], v62 offset:472
	buffer_load_dword v116, off, s[0:3], 0 offset:232
	buffer_load_dword v117, off, s[0:3], 0 offset:236
	v_mul_f32_e32 v64, v84, v112
	v_fma_f32 v64, v83, v111, -v64
	v_add_f32_e32 v63, v63, v64
	v_mul_f32_e32 v64, v86, v114
	v_fma_f32 v64, v85, v113, -v64
	v_add_f32_e32 v63, v63, v64
	s_waitcnt vmcnt(0) lgkmcnt(0)
	v_mul_f32_e32 v64, v88, v117
	v_mul_f32_e32 v118, v87, v117
	v_fma_f32 v64, v87, v116, -v64
	v_fmac_f32_e32 v118, v88, v116
	v_add_f32_e32 v63, v63, v64
	v_add_f32_e32 v115, v115, v118
	v_sub_f32_e32 v63, v89, v63
	v_sub_f32_e32 v64, v90, v115
	buffer_store_dword v63, off, s[0:3], 0 offset:128
	buffer_store_dword v64, off, s[0:3], 0 offset:132
	s_and_saveexec_b64 s[4:5], vcc
	s_cbranch_execz .LBB93_163
; %bb.162:
	buffer_load_dword v63, off, s[0:3], 0 offset:120
	buffer_load_dword v64, off, s[0:3], 0 offset:124
	s_waitcnt vmcnt(0)
	ds_write_b64 v61, v[63:64]
	buffer_store_dword v62, off, s[0:3], 0 offset:120
	buffer_store_dword v62, off, s[0:3], 0 offset:124
.LBB93_163:
	s_or_b64 exec, exec, s[4:5]
	s_waitcnt lgkmcnt(0)
	; wave barrier
	ds_read_b128 v[63:66], v62 offset:368
	ds_read_b128 v[67:70], v62 offset:384
	;; [unrolled: 1-line block ×4, first 2 shown]
	buffer_load_dword v91, off, s[0:3], 0 offset:120
	buffer_load_dword v92, off, s[0:3], 0 offset:124
	;; [unrolled: 1-line block ×18, first 2 shown]
	v_cmp_lt_u32_e32 vcc, 14, v0
	s_waitcnt vmcnt(14) lgkmcnt(3)
	v_mul_f32_e32 v79, v63, v94
	v_fmac_f32_e32 v79, v64, v93
	s_waitcnt vmcnt(12)
	v_mul_f32_e32 v80, v65, v96
	v_add_f32_e32 v79, 0, v79
	v_fmac_f32_e32 v80, v66, v95
	v_add_f32_e32 v79, v79, v80
	s_waitcnt vmcnt(10) lgkmcnt(2)
	v_mul_f32_e32 v80, v67, v98
	v_fmac_f32_e32 v80, v68, v97
	v_add_f32_e32 v79, v79, v80
	s_waitcnt vmcnt(8)
	v_mul_f32_e32 v80, v69, v100
	v_fmac_f32_e32 v80, v70, v99
	v_add_f32_e32 v79, v79, v80
	s_waitcnt vmcnt(6) lgkmcnt(1)
	v_mul_f32_e32 v80, v71, v102
	v_fmac_f32_e32 v80, v72, v101
	v_add_f32_e32 v79, v79, v80
	s_waitcnt vmcnt(4)
	v_mul_f32_e32 v80, v73, v104
	;; [unrolled: 8-line block ×3, first 2 shown]
	v_fmac_f32_e32 v80, v78, v107
	v_add_f32_e32 v83, v79, v80
	ds_read_b128 v[79:82], v62 offset:432
	buffer_load_dword v109, off, s[0:3], 0 offset:192
	buffer_load_dword v110, off, s[0:3], 0 offset:196
	;; [unrolled: 1-line block ×4, first 2 shown]
	v_mul_f32_e32 v64, v64, v94
	v_fma_f32 v63, v63, v93, -v64
	v_mul_f32_e32 v64, v66, v96
	v_add_f32_e32 v63, 0, v63
	v_fma_f32 v64, v65, v95, -v64
	v_add_f32_e32 v63, v63, v64
	v_mul_f32_e32 v64, v68, v98
	v_fma_f32 v64, v67, v97, -v64
	v_add_f32_e32 v63, v63, v64
	v_mul_f32_e32 v64, v70, v100
	;; [unrolled: 3-line block ×6, first 2 shown]
	v_fma_f32 v64, v77, v107, -v64
	v_add_f32_e32 v63, v63, v64
	s_waitcnt vmcnt(2) lgkmcnt(0)
	v_mul_f32_e32 v84, v79, v110
	v_fmac_f32_e32 v84, v80, v109
	v_add_f32_e32 v83, v83, v84
	s_waitcnt vmcnt(0)
	v_mul_f32_e32 v84, v81, v112
	v_fmac_f32_e32 v84, v82, v111
	v_add_f32_e32 v87, v83, v84
	ds_read_b128 v[83:86], v62 offset:448
	buffer_load_dword v113, off, s[0:3], 0 offset:208
	buffer_load_dword v114, off, s[0:3], 0 offset:212
	;; [unrolled: 1-line block ×4, first 2 shown]
	v_mul_f32_e32 v64, v80, v110
	v_fma_f32 v64, v79, v109, -v64
	v_add_f32_e32 v63, v63, v64
	v_mul_f32_e32 v64, v82, v112
	v_fma_f32 v64, v81, v111, -v64
	v_add_f32_e32 v63, v63, v64
	s_waitcnt vmcnt(2) lgkmcnt(0)
	v_mul_f32_e32 v88, v83, v114
	v_fmac_f32_e32 v88, v84, v113
	v_add_f32_e32 v87, v87, v88
	s_waitcnt vmcnt(0)
	v_mul_f32_e32 v88, v85, v116
	v_fmac_f32_e32 v88, v86, v115
	v_add_f32_e32 v117, v87, v88
	ds_read_b128 v[87:90], v62 offset:464
	buffer_load_dword v62, off, s[0:3], 0 offset:224
	buffer_load_dword v118, off, s[0:3], 0 offset:228
	v_mul_f32_e32 v64, v84, v114
	v_fma_f32 v64, v83, v113, -v64
	v_add_f32_e32 v63, v63, v64
	v_mul_f32_e32 v64, v86, v116
	v_fma_f32 v64, v85, v115, -v64
	v_add_f32_e32 v63, v63, v64
	s_waitcnt vmcnt(0) lgkmcnt(0)
	v_mul_f32_e32 v119, v87, v118
	v_fmac_f32_e32 v119, v88, v62
	v_add_f32_e32 v117, v117, v119
	buffer_load_dword v119, off, s[0:3], 0 offset:232
	buffer_load_dword v120, off, s[0:3], 0 offset:236
	v_mul_f32_e32 v64, v88, v118
	v_fma_f32 v62, v87, v62, -v64
	v_add_f32_e32 v62, v63, v62
	s_waitcnt vmcnt(0)
	v_mul_f32_e32 v63, v90, v120
	v_mul_f32_e32 v121, v89, v120
	v_fma_f32 v63, v89, v119, -v63
	v_fmac_f32_e32 v121, v90, v119
	v_add_f32_e32 v62, v62, v63
	v_add_f32_e32 v117, v117, v121
	v_sub_f32_e32 v62, v91, v62
	v_sub_f32_e32 v63, v92, v117
	buffer_store_dword v62, off, s[0:3], 0 offset:120
	buffer_store_dword v63, off, s[0:3], 0 offset:124
	s_and_saveexec_b64 s[4:5], vcc
	s_cbranch_execz .LBB93_165
; %bb.164:
	buffer_load_dword v62, off, s[0:3], 0 offset:112
	buffer_load_dword v63, off, s[0:3], 0 offset:116
	v_mov_b32_e32 v64, 0
	buffer_store_dword v64, off, s[0:3], 0 offset:112
	buffer_store_dword v64, off, s[0:3], 0 offset:116
	s_waitcnt vmcnt(2)
	ds_write_b64 v61, v[62:63]
.LBB93_165:
	s_or_b64 exec, exec, s[4:5]
	v_mov_b32_e32 v62, 0
	s_waitcnt lgkmcnt(0)
	; wave barrier
	ds_read2_b64 v[63:66], v62 offset0:45 offset1:46
	buffer_load_dword v93, off, s[0:3], 0 offset:112
	buffer_load_dword v94, off, s[0:3], 0 offset:116
	;; [unrolled: 1-line block ×16, first 2 shown]
	v_cmp_lt_u32_e32 vcc, 13, v0
	s_waitcnt vmcnt(12) lgkmcnt(0)
	v_mul_f32_e32 v67, v63, v96
	v_fmac_f32_e32 v67, v64, v95
	s_waitcnt vmcnt(10)
	v_mul_f32_e32 v68, v65, v98
	v_add_f32_e32 v67, 0, v67
	v_fmac_f32_e32 v68, v66, v97
	v_add_f32_e32 v71, v67, v68
	ds_read2_b64 v[67:70], v62 offset0:47 offset1:48
	v_mul_f32_e32 v64, v64, v96
	v_fma_f32 v63, v63, v95, -v64
	v_mul_f32_e32 v64, v66, v98
	v_add_f32_e32 v63, 0, v63
	s_waitcnt vmcnt(8) lgkmcnt(0)
	v_mul_f32_e32 v72, v67, v100
	v_fmac_f32_e32 v72, v68, v99
	v_add_f32_e32 v71, v71, v72
	s_waitcnt vmcnt(6)
	v_mul_f32_e32 v72, v69, v102
	v_fmac_f32_e32 v72, v70, v101
	v_add_f32_e32 v75, v71, v72
	ds_read2_b64 v[71:74], v62 offset0:49 offset1:50
	v_fma_f32 v64, v65, v97, -v64
	v_add_f32_e32 v63, v63, v64
	v_mul_f32_e32 v64, v68, v100
	v_fma_f32 v64, v67, v99, -v64
	s_waitcnt vmcnt(4) lgkmcnt(0)
	v_mul_f32_e32 v76, v71, v104
	v_fmac_f32_e32 v76, v72, v103
	v_add_f32_e32 v75, v75, v76
	s_waitcnt vmcnt(2)
	v_mul_f32_e32 v76, v73, v106
	v_fmac_f32_e32 v76, v74, v105
	v_add_f32_e32 v79, v75, v76
	ds_read2_b64 v[75:78], v62 offset0:51 offset1:52
	buffer_load_dword v109, off, s[0:3], 0 offset:176
	buffer_load_dword v110, off, s[0:3], 0 offset:180
	v_add_f32_e32 v63, v63, v64
	v_mul_f32_e32 v64, v70, v102
	v_fma_f32 v64, v69, v101, -v64
	s_waitcnt vmcnt(2) lgkmcnt(0)
	v_mul_f32_e32 v80, v75, v108
	v_fmac_f32_e32 v80, v76, v107
	v_add_f32_e32 v79, v79, v80
	v_add_f32_e32 v63, v63, v64
	v_mul_f32_e32 v64, v72, v104
	v_fma_f32 v64, v71, v103, -v64
	v_add_f32_e32 v63, v63, v64
	v_mul_f32_e32 v64, v74, v106
	v_fma_f32 v64, v73, v105, -v64
	;; [unrolled: 3-line block ×3, first 2 shown]
	v_add_f32_e32 v63, v63, v64
	s_waitcnt vmcnt(0)
	v_mul_f32_e32 v80, v77, v110
	v_fmac_f32_e32 v80, v78, v109
	v_add_f32_e32 v83, v79, v80
	ds_read2_b64 v[79:82], v62 offset0:53 offset1:54
	buffer_load_dword v111, off, s[0:3], 0 offset:184
	buffer_load_dword v112, off, s[0:3], 0 offset:188
	;; [unrolled: 1-line block ×4, first 2 shown]
	v_mul_f32_e32 v64, v78, v110
	v_fma_f32 v64, v77, v109, -v64
	v_add_f32_e32 v63, v63, v64
	s_waitcnt vmcnt(2) lgkmcnt(0)
	v_mul_f32_e32 v84, v79, v112
	v_fmac_f32_e32 v84, v80, v111
	v_add_f32_e32 v83, v83, v84
	s_waitcnt vmcnt(0)
	v_mul_f32_e32 v84, v81, v114
	v_fmac_f32_e32 v84, v82, v113
	v_add_f32_e32 v87, v83, v84
	ds_read2_b64 v[83:86], v62 offset0:55 offset1:56
	buffer_load_dword v115, off, s[0:3], 0 offset:200
	buffer_load_dword v116, off, s[0:3], 0 offset:204
	;; [unrolled: 1-line block ×4, first 2 shown]
	v_mul_f32_e32 v64, v80, v112
	v_fma_f32 v64, v79, v111, -v64
	v_add_f32_e32 v63, v63, v64
	v_mul_f32_e32 v64, v82, v114
	v_fma_f32 v64, v81, v113, -v64
	v_add_f32_e32 v63, v63, v64
	s_waitcnt vmcnt(2) lgkmcnt(0)
	v_mul_f32_e32 v88, v83, v116
	v_fmac_f32_e32 v88, v84, v115
	v_add_f32_e32 v87, v87, v88
	s_waitcnt vmcnt(0)
	v_mul_f32_e32 v88, v85, v118
	v_fmac_f32_e32 v88, v86, v117
	v_add_f32_e32 v91, v87, v88
	ds_read2_b64 v[87:90], v62 offset0:57 offset1:58
	buffer_load_dword v119, off, s[0:3], 0 offset:216
	buffer_load_dword v120, off, s[0:3], 0 offset:220
	;; [unrolled: 1-line block ×4, first 2 shown]
	v_mul_f32_e32 v64, v84, v116
	v_fma_f32 v64, v83, v115, -v64
	v_add_f32_e32 v63, v63, v64
	v_mul_f32_e32 v64, v86, v118
	v_fma_f32 v64, v85, v117, -v64
	v_add_f32_e32 v63, v63, v64
	s_waitcnt vmcnt(2) lgkmcnt(0)
	v_mul_f32_e32 v92, v87, v120
	v_fmac_f32_e32 v92, v88, v119
	v_add_f32_e32 v91, v91, v92
	s_waitcnt vmcnt(0)
	v_mul_f32_e32 v92, v89, v122
	v_fmac_f32_e32 v92, v90, v121
	v_add_f32_e32 v123, v91, v92
	ds_read_b64 v[91:92], v62 offset:472
	buffer_load_dword v124, off, s[0:3], 0 offset:232
	buffer_load_dword v125, off, s[0:3], 0 offset:236
	v_mul_f32_e32 v64, v88, v120
	v_fma_f32 v64, v87, v119, -v64
	v_add_f32_e32 v63, v63, v64
	v_mul_f32_e32 v64, v90, v122
	v_fma_f32 v64, v89, v121, -v64
	v_add_f32_e32 v63, v63, v64
	s_waitcnt vmcnt(0) lgkmcnt(0)
	v_mul_f32_e32 v64, v92, v125
	v_mul_f32_e32 v126, v91, v125
	v_fma_f32 v64, v91, v124, -v64
	v_fmac_f32_e32 v126, v92, v124
	v_add_f32_e32 v63, v63, v64
	v_add_f32_e32 v123, v123, v126
	v_sub_f32_e32 v63, v93, v63
	v_sub_f32_e32 v64, v94, v123
	buffer_store_dword v63, off, s[0:3], 0 offset:112
	buffer_store_dword v64, off, s[0:3], 0 offset:116
	s_and_saveexec_b64 s[4:5], vcc
	s_cbranch_execz .LBB93_167
; %bb.166:
	buffer_load_dword v63, off, s[0:3], 0 offset:104
	buffer_load_dword v64, off, s[0:3], 0 offset:108
	s_waitcnt vmcnt(0)
	ds_write_b64 v61, v[63:64]
	buffer_store_dword v62, off, s[0:3], 0 offset:104
	buffer_store_dword v62, off, s[0:3], 0 offset:108
.LBB93_167:
	s_or_b64 exec, exec, s[4:5]
	s_waitcnt lgkmcnt(0)
	; wave barrier
	buffer_load_dword v95, off, s[0:3], 0 offset:116
	buffer_load_dword v96, off, s[0:3], 0 offset:124
	;; [unrolled: 1-line block ×34, first 2 shown]
	ds_read_b128 v[63:66], v62 offset:352
	ds_read_b128 v[67:70], v62 offset:368
	;; [unrolled: 1-line block ×8, first 2 shown]
	v_cmp_lt_u32_e32 vcc, 12, v0
	s_waitcnt vmcnt(33) lgkmcnt(7)
	v_mul_f32_e32 v62, v63, v95
	v_mul_f32_e32 v95, v64, v95
	s_waitcnt vmcnt(32)
	v_mul_f32_e32 v129, v65, v96
	v_mul_f32_e32 v96, v66, v96
	s_waitcnt vmcnt(31) lgkmcnt(6)
	v_mul_f32_e32 v130, v67, v97
	s_waitcnt vmcnt(30)
	v_mul_f32_e32 v131, v69, v98
	s_waitcnt vmcnt(29) lgkmcnt(5)
	v_mul_f32_e32 v132, v71, v99
	s_waitcnt vmcnt(28)
	;; [unrolled: 4-line block ×6, first 2 shown]
	v_mul_f32_e32 v141, v89, v108
	s_waitcnt vmcnt(17)
	v_fma_f32 v63, v63, v111, -v95
	v_fmac_f32_e32 v62, v64, v111
	s_waitcnt vmcnt(16)
	v_fma_f32 v64, v65, v112, -v96
	v_add_f32_e32 v63, 0, v63
	v_add_f32_e32 v63, v63, v64
	v_mul_f32_e32 v64, v68, v97
	s_waitcnt vmcnt(15)
	v_fma_f32 v64, v67, v113, -v64
	v_add_f32_e32 v63, v63, v64
	v_mul_f32_e32 v64, v70, v98
	s_waitcnt vmcnt(14)
	v_fma_f32 v64, v69, v114, -v64
	v_add_f32_e32 v63, v63, v64
	v_mul_f32_e32 v64, v72, v99
	s_waitcnt vmcnt(13)
	v_fma_f32 v64, v71, v115, -v64
	v_add_f32_e32 v63, v63, v64
	v_mul_f32_e32 v64, v74, v100
	s_waitcnt vmcnt(12)
	v_fma_f32 v64, v73, v116, -v64
	v_add_f32_e32 v63, v63, v64
	v_mul_f32_e32 v64, v76, v101
	s_waitcnt vmcnt(11)
	v_fma_f32 v64, v75, v117, -v64
	v_add_f32_e32 v63, v63, v64
	v_mul_f32_e32 v64, v78, v102
	s_waitcnt vmcnt(10)
	v_fma_f32 v64, v77, v118, -v64
	v_add_f32_e32 v63, v63, v64
	v_mul_f32_e32 v64, v80, v103
	s_waitcnt vmcnt(9)
	v_fma_f32 v64, v79, v119, -v64
	v_fmac_f32_e32 v129, v66, v112
	v_add_f32_e32 v62, 0, v62
	v_add_f32_e32 v63, v63, v64
	v_mul_f32_e32 v64, v82, v104
	v_fmac_f32_e32 v130, v68, v113
	v_add_f32_e32 v62, v62, v129
	s_waitcnt vmcnt(8)
	v_fma_f32 v64, v81, v120, -v64
	v_fmac_f32_e32 v131, v70, v114
	v_add_f32_e32 v62, v62, v130
	v_add_f32_e32 v63, v63, v64
	v_mul_f32_e32 v64, v84, v105
	v_fmac_f32_e32 v132, v72, v115
	v_add_f32_e32 v62, v62, v131
	s_waitcnt vmcnt(7)
	v_fma_f32 v64, v83, v121, -v64
	;; [unrolled: 8-line block ×5, first 2 shown]
	v_fmac_f32_e32 v139, v86, v122
	v_add_f32_e32 v62, v62, v138
	v_add_f32_e32 v63, v63, v64
	s_waitcnt lgkmcnt(0)
	v_mul_f32_e32 v64, v92, v109
	v_fmac_f32_e32 v140, v88, v123
	v_add_f32_e32 v62, v62, v139
	s_waitcnt vmcnt(3)
	v_fma_f32 v64, v91, v125, -v64
	v_mul_f32_e32 v142, v91, v109
	v_fmac_f32_e32 v141, v90, v124
	v_add_f32_e32 v62, v62, v140
	v_add_f32_e32 v63, v63, v64
	v_mul_f32_e32 v64, v94, v110
	v_mul_f32_e32 v143, v93, v110
	v_fmac_f32_e32 v142, v92, v125
	v_add_f32_e32 v62, v62, v141
	s_waitcnt vmcnt(2)
	v_fma_f32 v64, v93, v126, -v64
	v_fmac_f32_e32 v143, v94, v126
	v_add_f32_e32 v62, v62, v142
	v_add_f32_e32 v63, v63, v64
	;; [unrolled: 1-line block ×3, first 2 shown]
	s_waitcnt vmcnt(1)
	v_sub_f32_e32 v63, v127, v63
	s_waitcnt vmcnt(0)
	v_sub_f32_e32 v62, v128, v62
	buffer_store_dword v63, off, s[0:3], 0 offset:104
	buffer_store_dword v62, off, s[0:3], 0 offset:108
	s_and_saveexec_b64 s[4:5], vcc
	s_cbranch_execz .LBB93_169
; %bb.168:
	buffer_load_dword v62, off, s[0:3], 0 offset:96
	buffer_load_dword v63, off, s[0:3], 0 offset:100
	v_mov_b32_e32 v64, 0
	buffer_store_dword v64, off, s[0:3], 0 offset:96
	buffer_store_dword v64, off, s[0:3], 0 offset:100
	s_waitcnt vmcnt(2)
	ds_write_b64 v61, v[62:63]
.LBB93_169:
	s_or_b64 exec, exec, s[4:5]
	s_waitcnt lgkmcnt(0)
	; wave barrier
	buffer_load_dword v97, off, s[0:3], 0 offset:108
	buffer_load_dword v98, off, s[0:3], 0 offset:116
	;; [unrolled: 1-line block ×36, first 2 shown]
	v_mov_b32_e32 v62, 0
	ds_read2_b64 v[63:66], v62 offset0:43 offset1:44
	ds_read2_b64 v[67:70], v62 offset0:45 offset1:46
	;; [unrolled: 1-line block ×8, first 2 shown]
	ds_read_b64 v[95:96], v62 offset:472
	v_cmp_lt_u32_e32 vcc, 11, v0
	s_waitcnt vmcnt(35) lgkmcnt(8)
	v_mul_f32_e32 v133, v63, v97
	s_waitcnt vmcnt(34)
	v_mul_f32_e32 v134, v65, v98
	s_waitcnt vmcnt(33) lgkmcnt(7)
	v_mul_f32_e32 v135, v67, v99
	s_waitcnt vmcnt(32)
	v_mul_f32_e32 v136, v69, v100
	;; [unrolled: 4-line block ×8, first 2 shown]
	s_waitcnt vmcnt(19) lgkmcnt(0)
	v_mul_f32_e32 v149, v95, v113
	s_waitcnt vmcnt(18)
	v_fmac_f32_e32 v133, v64, v114
	v_mul_f32_e32 v64, v64, v97
	v_fma_f32 v63, v63, v114, -v64
	v_mul_f32_e32 v64, v66, v98
	v_add_f32_e32 v63, 0, v63
	s_waitcnt vmcnt(17)
	v_fma_f32 v64, v65, v115, -v64
	v_add_f32_e32 v63, v63, v64
	v_mul_f32_e32 v64, v68, v99
	s_waitcnt vmcnt(16)
	v_fma_f32 v64, v67, v116, -v64
	v_add_f32_e32 v63, v63, v64
	v_mul_f32_e32 v64, v70, v100
	;; [unrolled: 4-line block ×8, first 2 shown]
	v_fmac_f32_e32 v134, v66, v115
	v_add_f32_e32 v133, 0, v133
	s_waitcnt vmcnt(9)
	v_fma_f32 v64, v81, v123, -v64
	v_fmac_f32_e32 v135, v68, v116
	v_add_f32_e32 v133, v133, v134
	v_add_f32_e32 v63, v63, v64
	v_mul_f32_e32 v64, v84, v107
	v_fmac_f32_e32 v136, v70, v117
	v_add_f32_e32 v133, v133, v135
	s_waitcnt vmcnt(8)
	v_fma_f32 v64, v83, v124, -v64
	v_fmac_f32_e32 v137, v72, v118
	v_add_f32_e32 v133, v133, v136
	v_add_f32_e32 v63, v63, v64
	v_mul_f32_e32 v64, v86, v108
	;; [unrolled: 8-line block ×7, first 2 shown]
	v_fmac_f32_e32 v148, v94, v129
	v_add_f32_e32 v133, v133, v147
	s_waitcnt vmcnt(2)
	v_fma_f32 v64, v95, v130, -v64
	v_fmac_f32_e32 v149, v96, v130
	v_add_f32_e32 v133, v133, v148
	v_add_f32_e32 v63, v63, v64
	;; [unrolled: 1-line block ×3, first 2 shown]
	s_waitcnt vmcnt(1)
	v_sub_f32_e32 v63, v131, v63
	s_waitcnt vmcnt(0)
	v_sub_f32_e32 v64, v132, v133
	buffer_store_dword v63, off, s[0:3], 0 offset:96
	buffer_store_dword v64, off, s[0:3], 0 offset:100
	s_and_saveexec_b64 s[4:5], vcc
	s_cbranch_execz .LBB93_171
; %bb.170:
	buffer_load_dword v63, off, s[0:3], 0 offset:88
	buffer_load_dword v64, off, s[0:3], 0 offset:92
	s_waitcnt vmcnt(0)
	ds_write_b64 v61, v[63:64]
	buffer_store_dword v62, off, s[0:3], 0 offset:88
	buffer_store_dword v62, off, s[0:3], 0 offset:92
.LBB93_171:
	s_or_b64 exec, exec, s[4:5]
	s_waitcnt lgkmcnt(0)
	; wave barrier
	buffer_load_dword v99, off, s[0:3], 0 offset:100
	buffer_load_dword v100, off, s[0:3], 0 offset:108
	;; [unrolled: 1-line block ×38, first 2 shown]
	ds_read_b128 v[63:66], v62 offset:336
	ds_read_b128 v[67:70], v62 offset:352
	;; [unrolled: 1-line block ×9, first 2 shown]
	v_cmp_lt_u32_e32 vcc, 10, v0
	s_waitcnt vmcnt(37) lgkmcnt(8)
	v_mul_f32_e32 v62, v63, v99
	s_waitcnt vmcnt(36)
	v_mul_f32_e32 v137, v65, v100
	s_waitcnt vmcnt(35) lgkmcnt(7)
	v_mul_f32_e32 v138, v67, v101
	s_waitcnt vmcnt(34)
	v_mul_f32_e32 v139, v69, v102
	;; [unrolled: 4-line block ×8, first 2 shown]
	s_waitcnt vmcnt(21) lgkmcnt(0)
	v_mul_f32_e32 v152, v95, v115
	s_waitcnt vmcnt(20)
	v_fmac_f32_e32 v62, v64, v116
	v_mul_f32_e32 v64, v64, v99
	v_fma_f32 v63, v63, v116, -v64
	v_mul_f32_e32 v64, v66, v100
	v_add_f32_e32 v63, 0, v63
	s_waitcnt vmcnt(19)
	v_fma_f32 v64, v65, v117, -v64
	v_add_f32_e32 v63, v63, v64
	v_mul_f32_e32 v64, v68, v101
	s_waitcnt vmcnt(18)
	v_fma_f32 v64, v67, v118, -v64
	v_add_f32_e32 v63, v63, v64
	v_mul_f32_e32 v64, v70, v102
	;; [unrolled: 4-line block ×8, first 2 shown]
	s_waitcnt vmcnt(11)
	v_fma_f32 v64, v81, v125, -v64
	v_fmac_f32_e32 v137, v66, v117
	v_add_f32_e32 v62, 0, v62
	v_add_f32_e32 v63, v63, v64
	v_mul_f32_e32 v64, v84, v109
	v_fmac_f32_e32 v138, v68, v118
	v_add_f32_e32 v62, v62, v137
	s_waitcnt vmcnt(10)
	v_fma_f32 v64, v83, v126, -v64
	v_fmac_f32_e32 v139, v70, v119
	v_add_f32_e32 v62, v62, v138
	v_add_f32_e32 v63, v63, v64
	v_mul_f32_e32 v64, v86, v110
	v_fmac_f32_e32 v140, v72, v120
	v_add_f32_e32 v62, v62, v139
	;; [unrolled: 8-line block ×7, first 2 shown]
	s_waitcnt vmcnt(4)
	v_fma_f32 v64, v95, v132, -v64
	v_fmac_f32_e32 v151, v94, v131
	v_add_f32_e32 v62, v62, v150
	v_add_f32_e32 v63, v63, v64
	s_waitcnt vmcnt(3)
	v_mul_f32_e32 v64, v98, v133
	v_add_f32_e32 v62, v62, v151
	v_fmac_f32_e32 v152, v96, v132
	v_mul_f32_e32 v137, v97, v133
	s_waitcnt vmcnt(2)
	v_fma_f32 v64, v97, v134, -v64
	v_add_f32_e32 v62, v62, v152
	v_fmac_f32_e32 v137, v98, v134
	v_add_f32_e32 v63, v63, v64
	v_add_f32_e32 v62, v62, v137
	s_waitcnt vmcnt(1)
	v_sub_f32_e32 v63, v135, v63
	s_waitcnt vmcnt(0)
	v_sub_f32_e32 v62, v136, v62
	buffer_store_dword v63, off, s[0:3], 0 offset:88
	buffer_store_dword v62, off, s[0:3], 0 offset:92
	s_and_saveexec_b64 s[4:5], vcc
	s_cbranch_execz .LBB93_173
; %bb.172:
	buffer_load_dword v62, off, s[0:3], 0 offset:80
	buffer_load_dword v63, off, s[0:3], 0 offset:84
	v_mov_b32_e32 v64, 0
	buffer_store_dword v64, off, s[0:3], 0 offset:80
	buffer_store_dword v64, off, s[0:3], 0 offset:84
	s_waitcnt vmcnt(2)
	ds_write_b64 v61, v[62:63]
.LBB93_173:
	s_or_b64 exec, exec, s[4:5]
	s_waitcnt lgkmcnt(0)
	; wave barrier
	buffer_load_dword v101, off, s[0:3], 0 offset:92
	buffer_load_dword v102, off, s[0:3], 0 offset:100
	;; [unrolled: 1-line block ×40, first 2 shown]
	v_mov_b32_e32 v62, 0
	ds_read2_b64 v[63:66], v62 offset0:41 offset1:42
	ds_read2_b64 v[67:70], v62 offset0:43 offset1:44
	;; [unrolled: 1-line block ×9, first 2 shown]
	v_cmp_lt_u32_e32 vcc, 9, v0
	s_waitcnt vmcnt(39) lgkmcnt(8)
	v_mul_f32_e32 v99, v63, v101
	s_waitcnt vmcnt(38)
	v_mul_f32_e32 v100, v65, v102
	s_waitcnt vmcnt(37) lgkmcnt(7)
	v_mul_f32_e32 v141, v67, v103
	s_waitcnt vmcnt(36)
	v_mul_f32_e32 v142, v69, v104
	;; [unrolled: 4-line block ×7, first 2 shown]
	s_waitcnt vmcnt(25) lgkmcnt(1)
	v_mul_f32_e32 v153, v91, v115
	s_waitcnt vmcnt(24)
	v_fmac_f32_e32 v99, v64, v116
	v_mul_f32_e32 v64, v64, v101
	v_fma_f32 v63, v63, v116, -v64
	v_mul_f32_e32 v64, v66, v102
	v_add_f32_e32 v63, 0, v63
	s_waitcnt vmcnt(23)
	v_fma_f32 v64, v65, v117, -v64
	v_add_f32_e32 v63, v63, v64
	v_mul_f32_e32 v64, v68, v103
	s_waitcnt vmcnt(22)
	v_fma_f32 v64, v67, v118, -v64
	v_add_f32_e32 v63, v63, v64
	v_mul_f32_e32 v64, v70, v104
	s_waitcnt vmcnt(21)
	v_fma_f32 v64, v69, v119, -v64
	v_add_f32_e32 v63, v63, v64
	v_mul_f32_e32 v64, v72, v105
	s_waitcnt vmcnt(20)
	v_fma_f32 v64, v71, v120, -v64
	v_add_f32_e32 v63, v63, v64
	v_mul_f32_e32 v64, v74, v106
	s_waitcnt vmcnt(19)
	v_fma_f32 v64, v73, v121, -v64
	v_add_f32_e32 v63, v63, v64
	v_mul_f32_e32 v64, v76, v107
	s_waitcnt vmcnt(18)
	v_fma_f32 v64, v75, v122, -v64
	v_add_f32_e32 v63, v63, v64
	v_mul_f32_e32 v64, v78, v108
	s_waitcnt vmcnt(17)
	v_fma_f32 v64, v77, v123, -v64
	v_fmac_f32_e32 v100, v66, v117
	v_add_f32_e32 v99, 0, v99
	v_add_f32_e32 v63, v63, v64
	v_mul_f32_e32 v64, v80, v109
	v_fmac_f32_e32 v141, v68, v118
	v_add_f32_e32 v99, v99, v100
	s_waitcnt vmcnt(16)
	v_fma_f32 v64, v79, v124, -v64
	v_fmac_f32_e32 v142, v70, v119
	v_add_f32_e32 v99, v99, v141
	v_add_f32_e32 v63, v63, v64
	v_mul_f32_e32 v64, v82, v110
	v_fmac_f32_e32 v143, v72, v120
	v_add_f32_e32 v99, v99, v142
	;; [unrolled: 8-line block ×6, first 2 shown]
	s_waitcnt vmcnt(11)
	v_fma_f32 v64, v89, v129, -v64
	v_fmac_f32_e32 v152, v90, v129
	v_add_f32_e32 v99, v99, v151
	v_add_f32_e32 v63, v63, v64
	v_mul_f32_e32 v64, v92, v115
	s_waitcnt vmcnt(10)
	v_fmac_f32_e32 v153, v92, v130
	v_add_f32_e32 v99, v99, v152
	s_waitcnt vmcnt(9)
	v_mul_f32_e32 v100, v93, v131
	v_fma_f32 v64, v91, v130, -v64
	v_add_f32_e32 v99, v99, v153
	s_waitcnt vmcnt(8)
	v_fmac_f32_e32 v100, v94, v132
	v_add_f32_e32 v63, v63, v64
	v_mul_f32_e32 v64, v94, v131
	v_add_f32_e32 v141, v99, v100
	ds_read_b64 v[99:100], v62 offset:472
	v_fma_f32 v64, v93, v132, -v64
	v_add_f32_e32 v63, v63, v64
	s_waitcnt vmcnt(7) lgkmcnt(1)
	v_mul_f32_e32 v64, v96, v133
	v_mul_f32_e32 v142, v95, v133
	s_waitcnt vmcnt(6)
	v_fma_f32 v64, v95, v134, -v64
	v_fmac_f32_e32 v142, v96, v134
	v_add_f32_e32 v63, v63, v64
	s_waitcnt vmcnt(5)
	v_mul_f32_e32 v64, v98, v135
	v_add_f32_e32 v141, v141, v142
	v_mul_f32_e32 v142, v97, v135
	s_waitcnt vmcnt(4)
	v_fma_f32 v64, v97, v136, -v64
	v_fmac_f32_e32 v142, v98, v136
	v_add_f32_e32 v63, v63, v64
	s_waitcnt vmcnt(3) lgkmcnt(0)
	v_mul_f32_e32 v64, v100, v137
	v_add_f32_e32 v141, v141, v142
	v_mul_f32_e32 v142, v99, v137
	s_waitcnt vmcnt(2)
	v_fma_f32 v64, v99, v138, -v64
	v_fmac_f32_e32 v142, v100, v138
	v_add_f32_e32 v63, v63, v64
	v_add_f32_e32 v141, v141, v142
	s_waitcnt vmcnt(1)
	v_sub_f32_e32 v63, v139, v63
	s_waitcnt vmcnt(0)
	v_sub_f32_e32 v64, v140, v141
	buffer_store_dword v63, off, s[0:3], 0 offset:80
	buffer_store_dword v64, off, s[0:3], 0 offset:84
	s_and_saveexec_b64 s[4:5], vcc
	s_cbranch_execz .LBB93_175
; %bb.174:
	buffer_load_dword v63, off, s[0:3], 0 offset:72
	buffer_load_dword v64, off, s[0:3], 0 offset:76
	s_waitcnt vmcnt(0)
	ds_write_b64 v61, v[63:64]
	buffer_store_dword v62, off, s[0:3], 0 offset:72
	buffer_store_dword v62, off, s[0:3], 0 offset:76
.LBB93_175:
	s_or_b64 exec, exec, s[4:5]
	s_waitcnt lgkmcnt(0)
	; wave barrier
	buffer_load_dword v103, off, s[0:3], 0 offset:84
	buffer_load_dword v104, off, s[0:3], 0 offset:92
	;; [unrolled: 1-line block ×42, first 2 shown]
	ds_read_b128 v[63:66], v62 offset:320
	ds_read_b128 v[67:70], v62 offset:336
	;; [unrolled: 1-line block ×8, first 2 shown]
	v_cmp_lt_u32_e32 vcc, 8, v0
	s_waitcnt vmcnt(41) lgkmcnt(7)
	v_mul_f32_e32 v95, v63, v103
	s_waitcnt vmcnt(40)
	v_mul_f32_e32 v96, v65, v104
	s_waitcnt vmcnt(39) lgkmcnt(6)
	v_mul_f32_e32 v97, v67, v105
	s_waitcnt vmcnt(38)
	v_mul_f32_e32 v98, v69, v106
	;; [unrolled: 4-line block ×7, first 2 shown]
	s_waitcnt vmcnt(27) lgkmcnt(0)
	v_mul_f32_e32 v151, v91, v117
	s_waitcnt vmcnt(26)
	v_fmac_f32_e32 v95, v64, v118
	v_mul_f32_e32 v64, v64, v103
	v_fma_f32 v63, v63, v118, -v64
	v_mul_f32_e32 v64, v66, v104
	v_add_f32_e32 v63, 0, v63
	s_waitcnt vmcnt(25)
	v_fma_f32 v64, v65, v119, -v64
	v_add_f32_e32 v63, v63, v64
	v_mul_f32_e32 v64, v68, v105
	s_waitcnt vmcnt(24)
	v_fma_f32 v64, v67, v120, -v64
	v_add_f32_e32 v63, v63, v64
	v_mul_f32_e32 v64, v70, v106
	;; [unrolled: 4-line block ×5, first 2 shown]
	v_fmac_f32_e32 v96, v66, v119
	v_add_f32_e32 v95, 0, v95
	s_waitcnt vmcnt(20)
	v_fma_f32 v64, v75, v124, -v64
	v_fmac_f32_e32 v97, v68, v120
	v_add_f32_e32 v95, v95, v96
	v_add_f32_e32 v63, v63, v64
	v_mul_f32_e32 v64, v78, v110
	v_fmac_f32_e32 v98, v70, v121
	v_add_f32_e32 v95, v95, v97
	s_waitcnt vmcnt(19)
	v_fma_f32 v64, v77, v125, -v64
	v_fmac_f32_e32 v99, v72, v122
	v_add_f32_e32 v95, v95, v98
	v_add_f32_e32 v63, v63, v64
	v_mul_f32_e32 v64, v80, v111
	;; [unrolled: 8-line block ×5, first 2 shown]
	s_waitcnt vmcnt(15)
	v_fmac_f32_e32 v148, v86, v129
	v_add_f32_e32 v95, v95, v147
	v_fma_f32 v64, v85, v129, -v64
	s_waitcnt vmcnt(14)
	v_fmac_f32_e32 v149, v88, v130
	v_add_f32_e32 v95, v95, v148
	v_add_f32_e32 v63, v63, v64
	v_mul_f32_e32 v64, v88, v115
	s_waitcnt vmcnt(13)
	v_fmac_f32_e32 v150, v90, v131
	v_add_f32_e32 v95, v95, v149
	v_fma_f32 v64, v87, v130, -v64
	s_waitcnt vmcnt(12)
	v_fmac_f32_e32 v151, v92, v132
	v_add_f32_e32 v95, v95, v150
	v_add_f32_e32 v63, v63, v64
	v_mul_f32_e32 v64, v90, v116
	v_add_f32_e32 v99, v95, v151
	ds_read_b128 v[95:98], v62 offset:448
	v_fma_f32 v64, v89, v131, -v64
	v_add_f32_e32 v63, v63, v64
	v_mul_f32_e32 v64, v92, v117
	s_waitcnt vmcnt(11)
	v_mul_f32_e32 v100, v93, v133
	v_fma_f32 v64, v91, v132, -v64
	s_waitcnt vmcnt(10)
	v_fmac_f32_e32 v100, v94, v134
	v_add_f32_e32 v63, v63, v64
	v_mul_f32_e32 v64, v94, v133
	v_add_f32_e32 v145, v99, v100
	ds_read_b128 v[99:102], v62 offset:464
	v_fma_f32 v64, v93, v134, -v64
	v_add_f32_e32 v63, v63, v64
	s_waitcnt vmcnt(9) lgkmcnt(1)
	v_mul_f32_e32 v64, v96, v135
	v_mul_f32_e32 v62, v95, v135
	s_waitcnt vmcnt(8)
	v_fma_f32 v64, v95, v136, -v64
	v_fmac_f32_e32 v62, v96, v136
	v_add_f32_e32 v63, v63, v64
	s_waitcnt vmcnt(7)
	v_mul_f32_e32 v64, v98, v137
	v_add_f32_e32 v62, v145, v62
	v_mul_f32_e32 v145, v97, v137
	s_waitcnt vmcnt(6)
	v_fma_f32 v64, v97, v138, -v64
	v_fmac_f32_e32 v145, v98, v138
	v_add_f32_e32 v63, v63, v64
	s_waitcnt vmcnt(5) lgkmcnt(0)
	v_mul_f32_e32 v64, v100, v139
	v_add_f32_e32 v62, v62, v145
	v_mul_f32_e32 v145, v99, v139
	s_waitcnt vmcnt(4)
	v_fma_f32 v64, v99, v140, -v64
	v_fmac_f32_e32 v145, v100, v140
	v_add_f32_e32 v63, v63, v64
	s_waitcnt vmcnt(3)
	v_mul_f32_e32 v64, v102, v141
	v_add_f32_e32 v62, v62, v145
	v_mul_f32_e32 v145, v101, v141
	s_waitcnt vmcnt(2)
	v_fma_f32 v64, v101, v142, -v64
	v_fmac_f32_e32 v145, v102, v142
	v_add_f32_e32 v63, v63, v64
	v_add_f32_e32 v62, v62, v145
	s_waitcnt vmcnt(1)
	v_sub_f32_e32 v63, v143, v63
	s_waitcnt vmcnt(0)
	v_sub_f32_e32 v62, v144, v62
	buffer_store_dword v63, off, s[0:3], 0 offset:72
	buffer_store_dword v62, off, s[0:3], 0 offset:76
	s_and_saveexec_b64 s[4:5], vcc
	s_cbranch_execz .LBB93_177
; %bb.176:
	buffer_load_dword v62, off, s[0:3], 0 offset:64
	buffer_load_dword v63, off, s[0:3], 0 offset:68
	v_mov_b32_e32 v64, 0
	buffer_store_dword v64, off, s[0:3], 0 offset:64
	buffer_store_dword v64, off, s[0:3], 0 offset:68
	s_waitcnt vmcnt(2)
	ds_write_b64 v61, v[62:63]
.LBB93_177:
	s_or_b64 exec, exec, s[4:5]
	s_waitcnt lgkmcnt(0)
	; wave barrier
	buffer_load_dword v105, off, s[0:3], 0 offset:76
	buffer_load_dword v106, off, s[0:3], 0 offset:84
	;; [unrolled: 1-line block ×44, first 2 shown]
	v_mov_b32_e32 v62, 0
	ds_read2_b64 v[63:66], v62 offset0:39 offset1:40
	ds_read2_b64 v[67:70], v62 offset0:41 offset1:42
	;; [unrolled: 1-line block ×8, first 2 shown]
	v_cmp_lt_u32_e32 vcc, 7, v0
	s_waitcnt vmcnt(43) lgkmcnt(7)
	v_mul_f32_e32 v95, v63, v105
	s_waitcnt vmcnt(42)
	v_mul_f32_e32 v96, v65, v106
	s_waitcnt vmcnt(41) lgkmcnt(6)
	v_mul_f32_e32 v97, v67, v107
	s_waitcnt vmcnt(40)
	v_mul_f32_e32 v98, v69, v108
	;; [unrolled: 4-line block ×7, first 2 shown]
	s_waitcnt vmcnt(29)
	v_fmac_f32_e32 v95, v64, v119
	v_mul_f32_e32 v64, v64, v105
	v_fma_f32 v63, v63, v119, -v64
	v_mul_f32_e32 v64, v66, v106
	v_add_f32_e32 v63, 0, v63
	s_waitcnt vmcnt(28)
	v_fma_f32 v64, v65, v120, -v64
	v_add_f32_e32 v63, v63, v64
	v_mul_f32_e32 v64, v68, v107
	s_waitcnt vmcnt(27)
	v_fma_f32 v64, v67, v121, -v64
	v_add_f32_e32 v63, v63, v64
	v_mul_f32_e32 v64, v70, v108
	s_waitcnt vmcnt(26)
	v_fma_f32 v64, v69, v122, -v64
	v_add_f32_e32 v63, v63, v64
	v_mul_f32_e32 v64, v72, v109
	s_waitcnt vmcnt(25)
	v_fma_f32 v64, v71, v123, -v64
	v_add_f32_e32 v63, v63, v64
	v_mul_f32_e32 v64, v74, v110
	s_waitcnt vmcnt(24)
	v_fma_f32 v64, v73, v124, -v64
	v_fmac_f32_e32 v96, v66, v120
	v_add_f32_e32 v95, 0, v95
	v_add_f32_e32 v63, v63, v64
	v_mul_f32_e32 v64, v76, v111
	v_fmac_f32_e32 v97, v68, v121
	v_add_f32_e32 v95, v95, v96
	s_waitcnt vmcnt(23)
	v_fma_f32 v64, v75, v125, -v64
	v_fmac_f32_e32 v98, v70, v122
	v_add_f32_e32 v95, v95, v97
	v_add_f32_e32 v63, v63, v64
	v_mul_f32_e32 v64, v78, v112
	v_fmac_f32_e32 v99, v72, v123
	v_add_f32_e32 v95, v95, v98
	;; [unrolled: 8-line block ×4, first 2 shown]
	s_waitcnt vmcnt(20)
	v_fma_f32 v64, v81, v128, -v64
	v_fmac_f32_e32 v104, v82, v128
	v_add_f32_e32 v95, v95, v103
	v_add_f32_e32 v63, v63, v64
	v_mul_f32_e32 v64, v84, v115
	s_waitcnt vmcnt(19)
	v_fmac_f32_e32 v149, v84, v129
	v_add_f32_e32 v95, v95, v104
	v_fma_f32 v64, v83, v129, -v64
	s_waitcnt vmcnt(18)
	v_fmac_f32_e32 v150, v86, v130
	v_add_f32_e32 v95, v95, v149
	v_add_f32_e32 v63, v63, v64
	v_mul_f32_e32 v64, v86, v116
	s_waitcnt vmcnt(17)
	v_fmac_f32_e32 v151, v88, v131
	v_add_f32_e32 v95, v95, v150
	v_fma_f32 v64, v85, v130, -v64
	v_add_f32_e32 v95, v95, v151
	s_waitcnt vmcnt(16)
	v_fmac_f32_e32 v152, v90, v132
	s_waitcnt vmcnt(15) lgkmcnt(0)
	v_mul_f32_e32 v96, v91, v133
	v_add_f32_e32 v63, v63, v64
	v_mul_f32_e32 v64, v88, v117
	v_add_f32_e32 v95, v95, v152
	s_waitcnt vmcnt(14)
	v_fmac_f32_e32 v96, v92, v134
	v_fma_f32 v64, v87, v131, -v64
	v_add_f32_e32 v99, v95, v96
	ds_read2_b64 v[95:98], v62 offset0:55 offset1:56
	v_add_f32_e32 v63, v63, v64
	v_mul_f32_e32 v64, v90, v118
	v_fma_f32 v64, v89, v132, -v64
	v_add_f32_e32 v63, v63, v64
	v_mul_f32_e32 v64, v92, v133
	s_waitcnt vmcnt(13)
	v_mul_f32_e32 v100, v93, v135
	v_fma_f32 v64, v91, v134, -v64
	s_waitcnt vmcnt(12)
	v_fmac_f32_e32 v100, v94, v136
	v_add_f32_e32 v63, v63, v64
	v_mul_f32_e32 v64, v94, v135
	v_add_f32_e32 v103, v99, v100
	ds_read2_b64 v[99:102], v62 offset0:57 offset1:58
	s_waitcnt vmcnt(11) lgkmcnt(1)
	v_mul_f32_e32 v104, v95, v137
	v_fma_f32 v64, v93, v136, -v64
	s_waitcnt vmcnt(10)
	v_fmac_f32_e32 v104, v96, v138
	v_add_f32_e32 v63, v63, v64
	v_mul_f32_e32 v64, v96, v137
	v_add_f32_e32 v103, v103, v104
	s_waitcnt vmcnt(9)
	v_mul_f32_e32 v104, v97, v139
	v_fma_f32 v64, v95, v138, -v64
	s_waitcnt vmcnt(8)
	v_fmac_f32_e32 v104, v98, v140
	v_add_f32_e32 v63, v63, v64
	v_mul_f32_e32 v64, v98, v139
	v_add_f32_e32 v149, v103, v104
	ds_read_b64 v[103:104], v62 offset:472
	v_fma_f32 v64, v97, v140, -v64
	v_add_f32_e32 v63, v63, v64
	s_waitcnt vmcnt(7) lgkmcnt(1)
	v_mul_f32_e32 v64, v100, v141
	v_mul_f32_e32 v150, v99, v141
	s_waitcnt vmcnt(6)
	v_fma_f32 v64, v99, v142, -v64
	v_fmac_f32_e32 v150, v100, v142
	v_add_f32_e32 v63, v63, v64
	s_waitcnt vmcnt(5)
	v_mul_f32_e32 v64, v102, v143
	v_add_f32_e32 v149, v149, v150
	v_mul_f32_e32 v150, v101, v143
	s_waitcnt vmcnt(4)
	v_fma_f32 v64, v101, v144, -v64
	v_fmac_f32_e32 v150, v102, v144
	v_add_f32_e32 v63, v63, v64
	s_waitcnt vmcnt(3) lgkmcnt(0)
	v_mul_f32_e32 v64, v104, v145
	v_add_f32_e32 v149, v149, v150
	v_mul_f32_e32 v150, v103, v145
	s_waitcnt vmcnt(2)
	v_fma_f32 v64, v103, v146, -v64
	v_fmac_f32_e32 v150, v104, v146
	v_add_f32_e32 v63, v63, v64
	v_add_f32_e32 v149, v149, v150
	s_waitcnt vmcnt(1)
	v_sub_f32_e32 v63, v147, v63
	s_waitcnt vmcnt(0)
	v_sub_f32_e32 v64, v148, v149
	buffer_store_dword v63, off, s[0:3], 0 offset:64
	buffer_store_dword v64, off, s[0:3], 0 offset:68
	s_and_saveexec_b64 s[4:5], vcc
	s_cbranch_execz .LBB93_179
; %bb.178:
	buffer_load_dword v63, off, s[0:3], 0 offset:56
	buffer_load_dword v64, off, s[0:3], 0 offset:60
	s_waitcnt vmcnt(0)
	ds_write_b64 v61, v[63:64]
	buffer_store_dword v62, off, s[0:3], 0 offset:56
	buffer_store_dword v62, off, s[0:3], 0 offset:60
.LBB93_179:
	s_or_b64 exec, exec, s[4:5]
	s_waitcnt lgkmcnt(0)
	; wave barrier
	buffer_load_dword v107, off, s[0:3], 0 offset:68
	buffer_load_dword v108, off, s[0:3], 0 offset:76
	;; [unrolled: 1-line block ×46, first 2 shown]
	ds_read_b128 v[63:66], v62 offset:304
	ds_read_b128 v[67:70], v62 offset:320
	;; [unrolled: 1-line block ×8, first 2 shown]
	v_cmp_lt_u32_e32 vcc, 6, v0
	s_waitcnt vmcnt(45) lgkmcnt(7)
	v_mul_f32_e32 v95, v63, v107
	s_waitcnt vmcnt(44)
	v_mul_f32_e32 v96, v65, v108
	s_waitcnt vmcnt(43) lgkmcnt(6)
	v_mul_f32_e32 v97, v67, v109
	s_waitcnt vmcnt(42)
	v_mul_f32_e32 v98, v69, v110
	;; [unrolled: 4-line block ×6, first 2 shown]
	s_waitcnt vmcnt(33) lgkmcnt(1)
	v_mul_f32_e32 v153, v87, v119
	s_waitcnt vmcnt(32)
	v_fmac_f32_e32 v95, v64, v120
	v_mul_f32_e32 v64, v64, v107
	v_fma_f32 v63, v63, v120, -v64
	v_mul_f32_e32 v64, v66, v108
	v_add_f32_e32 v63, 0, v63
	s_waitcnt vmcnt(31)
	v_fma_f32 v64, v65, v121, -v64
	v_add_f32_e32 v63, v63, v64
	v_mul_f32_e32 v64, v68, v109
	s_waitcnt vmcnt(30)
	v_fma_f32 v64, v67, v122, -v64
	v_add_f32_e32 v63, v63, v64
	v_mul_f32_e32 v64, v70, v110
	;; [unrolled: 4-line block ×4, first 2 shown]
	v_fmac_f32_e32 v96, v66, v121
	v_add_f32_e32 v95, 0, v95
	s_waitcnt vmcnt(27)
	v_fma_f32 v64, v73, v125, -v64
	v_fmac_f32_e32 v97, v68, v122
	v_add_f32_e32 v95, v95, v96
	v_add_f32_e32 v63, v63, v64
	v_mul_f32_e32 v64, v76, v113
	v_fmac_f32_e32 v98, v70, v123
	v_add_f32_e32 v95, v95, v97
	s_waitcnt vmcnt(26)
	v_fma_f32 v64, v75, v126, -v64
	v_fmac_f32_e32 v99, v72, v124
	v_add_f32_e32 v95, v95, v98
	v_add_f32_e32 v63, v63, v64
	v_mul_f32_e32 v64, v78, v114
	;; [unrolled: 8-line block ×4, first 2 shown]
	s_waitcnt vmcnt(23)
	v_fmac_f32_e32 v104, v82, v129
	v_add_f32_e32 v95, v95, v103
	v_fma_f32 v64, v81, v129, -v64
	s_waitcnt vmcnt(22)
	v_fmac_f32_e32 v105, v84, v130
	v_add_f32_e32 v95, v95, v104
	v_add_f32_e32 v63, v63, v64
	v_mul_f32_e32 v64, v84, v117
	s_waitcnt vmcnt(21)
	v_fmac_f32_e32 v106, v86, v131
	v_add_f32_e32 v95, v95, v105
	v_fma_f32 v64, v83, v130, -v64
	s_waitcnt vmcnt(20)
	v_fmac_f32_e32 v153, v88, v132
	v_add_f32_e32 v95, v95, v106
	s_waitcnt vmcnt(19)
	v_mul_f32_e32 v96, v89, v133
	v_add_f32_e32 v63, v63, v64
	v_mul_f32_e32 v64, v86, v118
	v_add_f32_e32 v95, v95, v153
	s_waitcnt vmcnt(18)
	v_fmac_f32_e32 v96, v90, v134
	v_fma_f32 v64, v85, v131, -v64
	v_add_f32_e32 v95, v95, v96
	s_waitcnt vmcnt(17) lgkmcnt(0)
	v_mul_f32_e32 v96, v91, v135
	v_add_f32_e32 v63, v63, v64
	v_mul_f32_e32 v64, v88, v119
	s_waitcnt vmcnt(16)
	v_fmac_f32_e32 v96, v92, v136
	v_fma_f32 v64, v87, v132, -v64
	v_add_f32_e32 v99, v95, v96
	ds_read_b128 v[95:98], v62 offset:432
	v_add_f32_e32 v63, v63, v64
	v_mul_f32_e32 v64, v90, v133
	v_fma_f32 v64, v89, v134, -v64
	v_add_f32_e32 v63, v63, v64
	v_mul_f32_e32 v64, v92, v135
	s_waitcnt vmcnt(15)
	v_mul_f32_e32 v100, v93, v137
	v_fma_f32 v64, v91, v136, -v64
	s_waitcnt vmcnt(14)
	v_fmac_f32_e32 v100, v94, v138
	v_add_f32_e32 v63, v63, v64
	v_mul_f32_e32 v64, v94, v137
	v_add_f32_e32 v103, v99, v100
	ds_read_b128 v[99:102], v62 offset:448
	s_waitcnt vmcnt(13) lgkmcnt(1)
	v_mul_f32_e32 v104, v95, v139
	v_fma_f32 v64, v93, v138, -v64
	s_waitcnt vmcnt(12)
	v_fmac_f32_e32 v104, v96, v140
	v_add_f32_e32 v63, v63, v64
	v_mul_f32_e32 v64, v96, v139
	v_add_f32_e32 v103, v103, v104
	s_waitcnt vmcnt(11)
	v_mul_f32_e32 v104, v97, v141
	v_fma_f32 v64, v95, v140, -v64
	s_waitcnt vmcnt(10)
	v_fmac_f32_e32 v104, v98, v142
	v_add_f32_e32 v63, v63, v64
	v_mul_f32_e32 v64, v98, v141
	v_add_f32_e32 v153, v103, v104
	ds_read_b128 v[103:106], v62 offset:464
	v_fma_f32 v64, v97, v142, -v64
	v_add_f32_e32 v63, v63, v64
	s_waitcnt vmcnt(9) lgkmcnt(1)
	v_mul_f32_e32 v64, v100, v143
	v_mul_f32_e32 v154, v99, v143
	s_waitcnt vmcnt(8)
	v_fma_f32 v64, v99, v144, -v64
	v_fmac_f32_e32 v154, v100, v144
	v_add_f32_e32 v63, v63, v64
	s_waitcnt vmcnt(7)
	v_mul_f32_e32 v64, v102, v145
	v_add_f32_e32 v62, v153, v154
	v_mul_f32_e32 v153, v101, v145
	s_waitcnt vmcnt(6)
	v_fma_f32 v64, v101, v146, -v64
	v_fmac_f32_e32 v153, v102, v146
	v_add_f32_e32 v63, v63, v64
	s_waitcnt vmcnt(5) lgkmcnt(0)
	v_mul_f32_e32 v64, v104, v147
	v_add_f32_e32 v62, v62, v153
	v_mul_f32_e32 v153, v103, v147
	s_waitcnt vmcnt(4)
	v_fma_f32 v64, v103, v148, -v64
	v_fmac_f32_e32 v153, v104, v148
	v_add_f32_e32 v63, v63, v64
	s_waitcnt vmcnt(3)
	v_mul_f32_e32 v64, v106, v149
	v_add_f32_e32 v62, v62, v153
	v_mul_f32_e32 v153, v105, v149
	s_waitcnt vmcnt(2)
	v_fma_f32 v64, v105, v150, -v64
	v_fmac_f32_e32 v153, v106, v150
	v_add_f32_e32 v63, v63, v64
	v_add_f32_e32 v62, v62, v153
	s_waitcnt vmcnt(1)
	v_sub_f32_e32 v63, v151, v63
	s_waitcnt vmcnt(0)
	v_sub_f32_e32 v62, v152, v62
	buffer_store_dword v63, off, s[0:3], 0 offset:56
	buffer_store_dword v62, off, s[0:3], 0 offset:60
	s_and_saveexec_b64 s[4:5], vcc
	s_cbranch_execz .LBB93_181
; %bb.180:
	buffer_load_dword v62, off, s[0:3], 0 offset:48
	buffer_load_dword v63, off, s[0:3], 0 offset:52
	v_mov_b32_e32 v64, 0
	buffer_store_dword v64, off, s[0:3], 0 offset:48
	buffer_store_dword v64, off, s[0:3], 0 offset:52
	s_waitcnt vmcnt(2)
	ds_write_b64 v61, v[62:63]
.LBB93_181:
	s_or_b64 exec, exec, s[4:5]
	s_waitcnt lgkmcnt(0)
	; wave barrier
	buffer_load_dword v109, off, s[0:3], 0 offset:60
	buffer_load_dword v110, off, s[0:3], 0 offset:68
	buffer_load_dword v111, off, s[0:3], 0 offset:76
	buffer_load_dword v112, off, s[0:3], 0 offset:84
	buffer_load_dword v113, off, s[0:3], 0 offset:92
	buffer_load_dword v114, off, s[0:3], 0 offset:100
	buffer_load_dword v115, off, s[0:3], 0 offset:108
	buffer_load_dword v116, off, s[0:3], 0 offset:116
	buffer_load_dword v117, off, s[0:3], 0 offset:124
	buffer_load_dword v118, off, s[0:3], 0 offset:132
	buffer_load_dword v119, off, s[0:3], 0 offset:140
	buffer_load_dword v120, off, s[0:3], 0 offset:148
	buffer_load_dword v121, off, s[0:3], 0 offset:56
	buffer_load_dword v122, off, s[0:3], 0 offset:64
	buffer_load_dword v123, off, s[0:3], 0 offset:72
	buffer_load_dword v124, off, s[0:3], 0 offset:80
	buffer_load_dword v125, off, s[0:3], 0 offset:88
	buffer_load_dword v126, off, s[0:3], 0 offset:96
	buffer_load_dword v127, off, s[0:3], 0 offset:104
	buffer_load_dword v128, off, s[0:3], 0 offset:112
	buffer_load_dword v129, off, s[0:3], 0 offset:120
	buffer_load_dword v130, off, s[0:3], 0 offset:128
	buffer_load_dword v131, off, s[0:3], 0 offset:136
	buffer_load_dword v132, off, s[0:3], 0 offset:144
	buffer_load_dword v133, off, s[0:3], 0 offset:156
	buffer_load_dword v134, off, s[0:3], 0 offset:152
	buffer_load_dword v135, off, s[0:3], 0 offset:164
	buffer_load_dword v136, off, s[0:3], 0 offset:160
	buffer_load_dword v137, off, s[0:3], 0 offset:172
	buffer_load_dword v138, off, s[0:3], 0 offset:168
	buffer_load_dword v139, off, s[0:3], 0 offset:180
	buffer_load_dword v140, off, s[0:3], 0 offset:176
	buffer_load_dword v141, off, s[0:3], 0 offset:188
	buffer_load_dword v142, off, s[0:3], 0 offset:184
	buffer_load_dword v143, off, s[0:3], 0 offset:196
	buffer_load_dword v144, off, s[0:3], 0 offset:192
	buffer_load_dword v145, off, s[0:3], 0 offset:204
	buffer_load_dword v146, off, s[0:3], 0 offset:200
	buffer_load_dword v147, off, s[0:3], 0 offset:212
	buffer_load_dword v148, off, s[0:3], 0 offset:208
	buffer_load_dword v149, off, s[0:3], 0 offset:216
	buffer_load_dword v150, off, s[0:3], 0 offset:220
	buffer_load_dword v151, off, s[0:3], 0 offset:48
	buffer_load_dword v152, off, s[0:3], 0 offset:52
	buffer_load_dword v153, off, s[0:3], 0 offset:228
	buffer_load_dword v154, off, s[0:3], 0 offset:224
	buffer_load_dword v155, off, s[0:3], 0 offset:232
	buffer_load_dword v156, off, s[0:3], 0 offset:236
	v_mov_b32_e32 v62, 0
	ds_read2_b64 v[63:66], v62 offset0:37 offset1:38
	ds_read2_b64 v[67:70], v62 offset0:39 offset1:40
	ds_read2_b64 v[71:74], v62 offset0:41 offset1:42
	ds_read2_b64 v[75:78], v62 offset0:43 offset1:44
	ds_read2_b64 v[79:82], v62 offset0:45 offset1:46
	ds_read2_b64 v[83:86], v62 offset0:47 offset1:48
	ds_read2_b64 v[87:90], v62 offset0:49 offset1:50
	v_cmp_lt_u32_e32 vcc, 5, v0
	s_waitcnt vmcnt(47) lgkmcnt(6)
	v_mul_f32_e32 v91, v63, v109
	s_waitcnt vmcnt(46)
	v_mul_f32_e32 v92, v65, v110
	s_waitcnt vmcnt(45) lgkmcnt(5)
	v_mul_f32_e32 v93, v67, v111
	s_waitcnt vmcnt(44)
	v_mul_f32_e32 v94, v69, v112
	;; [unrolled: 4-line block ×6, first 2 shown]
	s_waitcnt vmcnt(35)
	v_fmac_f32_e32 v91, v64, v121
	v_mul_f32_e32 v64, v64, v109
	v_fma_f32 v63, v63, v121, -v64
	v_mul_f32_e32 v64, v66, v110
	v_add_f32_e32 v63, 0, v63
	s_waitcnt vmcnt(34)
	v_fma_f32 v64, v65, v122, -v64
	v_add_f32_e32 v63, v63, v64
	v_mul_f32_e32 v64, v68, v111
	s_waitcnt vmcnt(33)
	v_fma_f32 v64, v67, v123, -v64
	v_fmac_f32_e32 v92, v66, v122
	v_add_f32_e32 v91, 0, v91
	v_add_f32_e32 v63, v63, v64
	v_mul_f32_e32 v64, v70, v112
	v_fmac_f32_e32 v93, v68, v123
	v_add_f32_e32 v91, v91, v92
	s_waitcnt vmcnt(32)
	v_fma_f32 v64, v69, v124, -v64
	v_fmac_f32_e32 v94, v70, v124
	v_add_f32_e32 v91, v91, v93
	v_add_f32_e32 v63, v63, v64
	v_mul_f32_e32 v64, v72, v113
	s_waitcnt vmcnt(31)
	v_fmac_f32_e32 v95, v72, v125
	v_add_f32_e32 v91, v91, v94
	v_fma_f32 v64, v71, v125, -v64
	s_waitcnt vmcnt(30)
	v_fmac_f32_e32 v96, v74, v126
	v_add_f32_e32 v91, v91, v95
	v_add_f32_e32 v63, v63, v64
	v_mul_f32_e32 v64, v74, v114
	s_waitcnt vmcnt(29)
	v_fmac_f32_e32 v97, v76, v127
	v_add_f32_e32 v91, v91, v96
	v_fma_f32 v64, v73, v126, -v64
	s_waitcnt vmcnt(28)
	;; [unrolled: 9-line block ×4, first 2 shown]
	v_fmac_f32_e32 v102, v86, v132
	v_add_f32_e32 v91, v91, v101
	v_add_f32_e32 v63, v63, v64
	v_mul_f32_e32 v64, v80, v117
	v_add_f32_e32 v95, v91, v102
	ds_read2_b64 v[91:94], v62 offset0:51 offset1:52
	v_fma_f32 v64, v79, v129, -v64
	s_waitcnt vmcnt(23) lgkmcnt(1)
	v_mul_f32_e32 v96, v87, v133
	v_add_f32_e32 v63, v63, v64
	v_mul_f32_e32 v64, v82, v118
	s_waitcnt vmcnt(22)
	v_fmac_f32_e32 v96, v88, v134
	v_fma_f32 v64, v81, v130, -v64
	v_add_f32_e32 v95, v95, v96
	s_waitcnt vmcnt(21)
	v_mul_f32_e32 v96, v89, v135
	v_add_f32_e32 v63, v63, v64
	v_mul_f32_e32 v64, v84, v119
	s_waitcnt vmcnt(20)
	v_fmac_f32_e32 v96, v90, v136
	v_fma_f32 v64, v83, v131, -v64
	v_add_f32_e32 v95, v95, v96
	s_waitcnt vmcnt(19) lgkmcnt(0)
	v_mul_f32_e32 v96, v91, v137
	v_add_f32_e32 v63, v63, v64
	v_mul_f32_e32 v64, v86, v120
	s_waitcnt vmcnt(18)
	v_fmac_f32_e32 v96, v92, v138
	v_fma_f32 v64, v85, v132, -v64
	v_add_f32_e32 v99, v95, v96
	ds_read2_b64 v[95:98], v62 offset0:53 offset1:54
	v_add_f32_e32 v63, v63, v64
	v_mul_f32_e32 v64, v88, v133
	v_fma_f32 v64, v87, v134, -v64
	s_waitcnt vmcnt(17)
	v_mul_f32_e32 v100, v93, v139
	v_add_f32_e32 v63, v63, v64
	v_mul_f32_e32 v64, v90, v135
	s_waitcnt vmcnt(16)
	v_fmac_f32_e32 v100, v94, v140
	v_fma_f32 v64, v89, v136, -v64
	v_add_f32_e32 v103, v99, v100
	ds_read2_b64 v[99:102], v62 offset0:55 offset1:56
	v_add_f32_e32 v63, v63, v64
	v_mul_f32_e32 v64, v92, v137
	s_waitcnt vmcnt(15) lgkmcnt(1)
	v_mul_f32_e32 v104, v95, v141
	v_fma_f32 v64, v91, v138, -v64
	s_waitcnt vmcnt(14)
	v_fmac_f32_e32 v104, v96, v142
	v_add_f32_e32 v63, v63, v64
	v_mul_f32_e32 v64, v94, v139
	v_add_f32_e32 v103, v103, v104
	s_waitcnt vmcnt(13)
	v_mul_f32_e32 v104, v97, v143
	v_fma_f32 v64, v93, v140, -v64
	s_waitcnt vmcnt(12)
	v_fmac_f32_e32 v104, v98, v144
	v_add_f32_e32 v63, v63, v64
	v_mul_f32_e32 v64, v96, v141
	v_add_f32_e32 v103, v103, v104
	s_waitcnt vmcnt(11) lgkmcnt(0)
	v_mul_f32_e32 v104, v99, v145
	v_fma_f32 v64, v95, v142, -v64
	s_waitcnt vmcnt(10)
	v_fmac_f32_e32 v104, v100, v146
	v_add_f32_e32 v63, v63, v64
	v_mul_f32_e32 v64, v98, v143
	v_add_f32_e32 v107, v103, v104
	ds_read2_b64 v[103:106], v62 offset0:57 offset1:58
	v_fma_f32 v64, v97, v144, -v64
	v_add_f32_e32 v63, v63, v64
	v_mul_f32_e32 v64, v100, v145
	s_waitcnt vmcnt(9)
	v_mul_f32_e32 v108, v101, v147
	v_fma_f32 v64, v99, v146, -v64
	s_waitcnt vmcnt(8)
	v_fmac_f32_e32 v108, v102, v148
	v_add_f32_e32 v63, v63, v64
	v_mul_f32_e32 v64, v102, v147
	v_add_f32_e32 v157, v107, v108
	ds_read_b64 v[107:108], v62 offset:472
	v_fma_f32 v64, v101, v148, -v64
	v_add_f32_e32 v63, v63, v64
	s_waitcnt vmcnt(6) lgkmcnt(1)
	v_mul_f32_e32 v64, v104, v150
	v_mul_f32_e32 v158, v103, v150
	v_fma_f32 v64, v103, v149, -v64
	v_fmac_f32_e32 v158, v104, v149
	v_add_f32_e32 v63, v63, v64
	s_waitcnt vmcnt(3)
	v_mul_f32_e32 v64, v106, v153
	v_add_f32_e32 v157, v157, v158
	v_mul_f32_e32 v158, v105, v153
	s_waitcnt vmcnt(2)
	v_fma_f32 v64, v105, v154, -v64
	v_fmac_f32_e32 v158, v106, v154
	v_add_f32_e32 v63, v63, v64
	s_waitcnt vmcnt(0) lgkmcnt(0)
	v_mul_f32_e32 v64, v108, v156
	v_add_f32_e32 v157, v157, v158
	v_mul_f32_e32 v158, v107, v156
	v_fma_f32 v64, v107, v155, -v64
	v_fmac_f32_e32 v158, v108, v155
	v_add_f32_e32 v63, v63, v64
	v_add_f32_e32 v157, v157, v158
	v_sub_f32_e32 v63, v151, v63
	v_sub_f32_e32 v64, v152, v157
	buffer_store_dword v63, off, s[0:3], 0 offset:48
	buffer_store_dword v64, off, s[0:3], 0 offset:52
	s_and_saveexec_b64 s[4:5], vcc
	s_cbranch_execz .LBB93_183
; %bb.182:
	buffer_load_dword v63, off, s[0:3], 0 offset:40
	buffer_load_dword v64, off, s[0:3], 0 offset:44
	s_waitcnt vmcnt(0)
	ds_write_b64 v61, v[63:64]
	buffer_store_dword v62, off, s[0:3], 0 offset:40
	buffer_store_dword v62, off, s[0:3], 0 offset:44
.LBB93_183:
	s_or_b64 exec, exec, s[4:5]
	s_waitcnt lgkmcnt(0)
	; wave barrier
	buffer_load_dword v111, off, s[0:3], 0 offset:52
	buffer_load_dword v112, off, s[0:3], 0 offset:60
	;; [unrolled: 1-line block ×48, first 2 shown]
	ds_read_b128 v[63:66], v62 offset:288
	ds_read_b128 v[67:70], v62 offset:304
	buffer_load_dword v159, off, s[0:3], 0 offset:232
	buffer_load_dword v160, off, s[0:3], 0 offset:236
	ds_read_b128 v[71:74], v62 offset:320
	ds_read_b128 v[75:78], v62 offset:336
	;; [unrolled: 1-line block ×5, first 2 shown]
	v_cmp_lt_u32_e32 vcc, 4, v0
	s_waitcnt vmcnt(49) lgkmcnt(6)
	v_mul_f32_e32 v91, v63, v111
	s_waitcnt vmcnt(48)
	v_mul_f32_e32 v92, v65, v112
	s_waitcnt vmcnt(47) lgkmcnt(5)
	v_mul_f32_e32 v93, v67, v113
	s_waitcnt vmcnt(46)
	v_mul_f32_e32 v94, v69, v114
	;; [unrolled: 4-line block ×6, first 2 shown]
	s_waitcnt vmcnt(37)
	v_fmac_f32_e32 v91, v64, v123
	v_mul_f32_e32 v64, v64, v111
	v_fma_f32 v63, v63, v123, -v64
	v_mul_f32_e32 v64, v66, v112
	v_add_f32_e32 v63, 0, v63
	s_waitcnt vmcnt(36)
	v_fma_f32 v64, v65, v124, -v64
	v_add_f32_e32 v63, v63, v64
	v_mul_f32_e32 v64, v68, v113
	s_waitcnt vmcnt(35)
	v_fma_f32 v64, v67, v125, -v64
	v_fmac_f32_e32 v92, v66, v124
	v_add_f32_e32 v91, 0, v91
	v_add_f32_e32 v63, v63, v64
	v_mul_f32_e32 v64, v70, v114
	v_fmac_f32_e32 v93, v68, v125
	v_add_f32_e32 v91, v91, v92
	s_waitcnt vmcnt(34)
	v_fma_f32 v64, v69, v126, -v64
	v_fmac_f32_e32 v94, v70, v126
	v_add_f32_e32 v91, v91, v93
	v_add_f32_e32 v63, v63, v64
	v_mul_f32_e32 v64, v72, v115
	s_waitcnt vmcnt(33)
	v_fmac_f32_e32 v95, v72, v127
	v_add_f32_e32 v91, v91, v94
	v_fma_f32 v64, v71, v127, -v64
	s_waitcnt vmcnt(32)
	v_fmac_f32_e32 v96, v74, v128
	v_add_f32_e32 v91, v91, v95
	v_add_f32_e32 v63, v63, v64
	v_mul_f32_e32 v64, v74, v116
	s_waitcnt vmcnt(31)
	v_fmac_f32_e32 v97, v76, v129
	v_add_f32_e32 v91, v91, v96
	v_fma_f32 v64, v73, v128, -v64
	s_waitcnt vmcnt(30)
	;; [unrolled: 9-line block ×3, first 2 shown]
	v_fmac_f32_e32 v100, v82, v132
	v_add_f32_e32 v91, v91, v99
	v_add_f32_e32 v63, v63, v64
	v_mul_f32_e32 v64, v78, v118
	s_waitcnt vmcnt(27)
	v_fmac_f32_e32 v101, v84, v133
	v_add_f32_e32 v91, v91, v100
	v_fma_f32 v64, v77, v130, -v64
	v_add_f32_e32 v91, v91, v101
	s_waitcnt vmcnt(26)
	v_fmac_f32_e32 v102, v86, v134
	v_add_f32_e32 v63, v63, v64
	v_mul_f32_e32 v64, v80, v119
	v_add_f32_e32 v95, v91, v102
	ds_read_b128 v[91:94], v62 offset:400
	v_fma_f32 v64, v79, v131, -v64
	s_waitcnt vmcnt(25) lgkmcnt(1)
	v_mul_f32_e32 v96, v87, v135
	v_add_f32_e32 v63, v63, v64
	v_mul_f32_e32 v64, v82, v120
	s_waitcnt vmcnt(24)
	v_fmac_f32_e32 v96, v88, v136
	v_fma_f32 v64, v81, v132, -v64
	v_add_f32_e32 v95, v95, v96
	s_waitcnt vmcnt(23)
	v_mul_f32_e32 v96, v89, v137
	v_add_f32_e32 v63, v63, v64
	v_mul_f32_e32 v64, v84, v121
	s_waitcnt vmcnt(22)
	v_fmac_f32_e32 v96, v90, v138
	v_fma_f32 v64, v83, v133, -v64
	v_add_f32_e32 v95, v95, v96
	s_waitcnt vmcnt(21) lgkmcnt(0)
	v_mul_f32_e32 v96, v91, v139
	v_add_f32_e32 v63, v63, v64
	v_mul_f32_e32 v64, v86, v122
	s_waitcnt vmcnt(20)
	v_fmac_f32_e32 v96, v92, v140
	v_fma_f32 v64, v85, v134, -v64
	v_add_f32_e32 v99, v95, v96
	ds_read_b128 v[95:98], v62 offset:416
	v_add_f32_e32 v63, v63, v64
	v_mul_f32_e32 v64, v88, v135
	v_fma_f32 v64, v87, v136, -v64
	s_waitcnt vmcnt(19)
	v_mul_f32_e32 v100, v93, v141
	v_add_f32_e32 v63, v63, v64
	v_mul_f32_e32 v64, v90, v137
	s_waitcnt vmcnt(18)
	v_fmac_f32_e32 v100, v94, v142
	v_fma_f32 v64, v89, v138, -v64
	v_add_f32_e32 v103, v99, v100
	ds_read_b128 v[99:102], v62 offset:432
	v_add_f32_e32 v63, v63, v64
	v_mul_f32_e32 v64, v92, v139
	s_waitcnt vmcnt(17) lgkmcnt(1)
	v_mul_f32_e32 v104, v95, v143
	v_fma_f32 v64, v91, v140, -v64
	s_waitcnt vmcnt(16)
	v_fmac_f32_e32 v104, v96, v144
	v_add_f32_e32 v63, v63, v64
	v_mul_f32_e32 v64, v94, v141
	v_add_f32_e32 v103, v103, v104
	s_waitcnt vmcnt(15)
	v_mul_f32_e32 v104, v97, v145
	v_fma_f32 v64, v93, v142, -v64
	s_waitcnt vmcnt(14)
	v_fmac_f32_e32 v104, v98, v146
	v_add_f32_e32 v63, v63, v64
	v_mul_f32_e32 v64, v96, v143
	v_add_f32_e32 v103, v103, v104
	s_waitcnt vmcnt(13) lgkmcnt(0)
	v_mul_f32_e32 v104, v99, v147
	v_fma_f32 v64, v95, v144, -v64
	s_waitcnt vmcnt(12)
	v_fmac_f32_e32 v104, v100, v148
	v_add_f32_e32 v63, v63, v64
	v_mul_f32_e32 v64, v98, v145
	v_add_f32_e32 v107, v103, v104
	ds_read_b128 v[103:106], v62 offset:448
	v_fma_f32 v64, v97, v146, -v64
	v_add_f32_e32 v63, v63, v64
	v_mul_f32_e32 v64, v100, v147
	s_waitcnt vmcnt(11)
	v_mul_f32_e32 v108, v101, v149
	v_fma_f32 v64, v99, v148, -v64
	s_waitcnt vmcnt(10)
	v_fmac_f32_e32 v108, v102, v150
	v_add_f32_e32 v63, v63, v64
	v_mul_f32_e32 v64, v102, v149
	v_add_f32_e32 v161, v107, v108
	ds_read_b128 v[107:110], v62 offset:464
	v_fma_f32 v64, v101, v150, -v64
	v_add_f32_e32 v63, v63, v64
	s_waitcnt vmcnt(7) lgkmcnt(1)
	v_mul_f32_e32 v64, v104, v153
	v_mul_f32_e32 v62, v103, v153
	s_waitcnt vmcnt(6)
	v_fma_f32 v64, v103, v154, -v64
	v_fmac_f32_e32 v62, v104, v154
	v_add_f32_e32 v63, v63, v64
	s_waitcnt vmcnt(4)
	v_mul_f32_e32 v64, v106, v156
	v_add_f32_e32 v62, v161, v62
	v_mul_f32_e32 v161, v105, v156
	v_fma_f32 v64, v105, v155, -v64
	v_fmac_f32_e32 v161, v106, v155
	v_add_f32_e32 v63, v63, v64
	s_waitcnt vmcnt(2) lgkmcnt(0)
	v_mul_f32_e32 v64, v108, v158
	v_add_f32_e32 v62, v62, v161
	v_mul_f32_e32 v161, v107, v158
	v_fma_f32 v64, v107, v157, -v64
	v_fmac_f32_e32 v161, v108, v157
	v_add_f32_e32 v63, v63, v64
	s_waitcnt vmcnt(0)
	v_mul_f32_e32 v64, v110, v160
	v_add_f32_e32 v62, v62, v161
	v_mul_f32_e32 v161, v109, v160
	v_fma_f32 v64, v109, v159, -v64
	v_fmac_f32_e32 v161, v110, v159
	v_add_f32_e32 v63, v63, v64
	v_add_f32_e32 v62, v62, v161
	v_sub_f32_e32 v63, v151, v63
	v_sub_f32_e32 v62, v152, v62
	buffer_store_dword v63, off, s[0:3], 0 offset:40
	buffer_store_dword v62, off, s[0:3], 0 offset:44
	s_and_saveexec_b64 s[4:5], vcc
	s_cbranch_execz .LBB93_185
; %bb.184:
	buffer_load_dword v62, off, s[0:3], 0 offset:32
	buffer_load_dword v63, off, s[0:3], 0 offset:36
	v_mov_b32_e32 v64, 0
	buffer_store_dword v64, off, s[0:3], 0 offset:32
	buffer_store_dword v64, off, s[0:3], 0 offset:36
	s_waitcnt vmcnt(2)
	ds_write_b64 v61, v[62:63]
.LBB93_185:
	s_or_b64 exec, exec, s[4:5]
	s_waitcnt lgkmcnt(0)
	; wave barrier
	buffer_load_dword v113, off, s[0:3], 0 offset:44
	buffer_load_dword v114, off, s[0:3], 0 offset:52
	;; [unrolled: 1-line block ×52, first 2 shown]
	v_mov_b32_e32 v62, 0
	ds_read2_b64 v[63:66], v62 offset0:35 offset1:36
	ds_read2_b64 v[67:70], v62 offset0:37 offset1:38
	;; [unrolled: 1-line block ×6, first 2 shown]
	v_cmp_lt_u32_e32 vcc, 3, v0
	s_waitcnt vmcnt(51) lgkmcnt(5)
	v_mul_f32_e32 v87, v63, v113
	s_waitcnt vmcnt(50)
	v_mul_f32_e32 v88, v65, v114
	s_waitcnt vmcnt(49) lgkmcnt(4)
	v_mul_f32_e32 v89, v67, v115
	s_waitcnt vmcnt(48)
	v_mul_f32_e32 v90, v69, v116
	;; [unrolled: 4-line block ×5, first 2 shown]
	s_waitcnt vmcnt(41) lgkmcnt(0)
	v_mul_f32_e32 v97, v83, v123
	s_waitcnt vmcnt(40)
	v_fmac_f32_e32 v87, v64, v124
	v_mul_f32_e32 v64, v64, v113
	s_waitcnt vmcnt(39)
	v_fmac_f32_e32 v88, v66, v125
	v_add_f32_e32 v87, 0, v87
	v_fma_f32 v63, v63, v124, -v64
	v_mul_f32_e32 v64, v66, v114
	s_waitcnt vmcnt(38)
	v_fmac_f32_e32 v89, v68, v126
	v_add_f32_e32 v87, v87, v88
	v_add_f32_e32 v63, 0, v63
	v_fma_f32 v64, v65, v125, -v64
	s_waitcnt vmcnt(37)
	v_fmac_f32_e32 v90, v70, v127
	v_add_f32_e32 v87, v87, v89
	v_add_f32_e32 v63, v63, v64
	v_mul_f32_e32 v64, v68, v115
	s_waitcnt vmcnt(36)
	v_fmac_f32_e32 v91, v72, v128
	v_add_f32_e32 v87, v87, v90
	v_fma_f32 v64, v67, v126, -v64
	s_waitcnt vmcnt(35)
	v_fmac_f32_e32 v92, v74, v129
	v_add_f32_e32 v87, v87, v91
	v_add_f32_e32 v63, v63, v64
	v_mul_f32_e32 v64, v70, v116
	s_waitcnt vmcnt(34)
	v_fmac_f32_e32 v93, v76, v130
	;; [unrolled: 9-line block ×3, first 2 shown]
	v_add_f32_e32 v87, v87, v94
	v_fma_f32 v64, v71, v128, -v64
	s_waitcnt vmcnt(31)
	v_fmac_f32_e32 v96, v82, v133
	v_add_f32_e32 v87, v87, v95
	v_add_f32_e32 v63, v63, v64
	v_mul_f32_e32 v64, v74, v118
	v_add_f32_e32 v87, v87, v96
	s_waitcnt vmcnt(30)
	v_fmac_f32_e32 v97, v84, v134
	v_fma_f32 v64, v73, v129, -v64
	v_add_f32_e32 v91, v87, v97
	ds_read2_b64 v[87:90], v62 offset0:47 offset1:48
	v_add_f32_e32 v63, v63, v64
	v_mul_f32_e32 v64, v76, v119
	v_fma_f32 v64, v75, v130, -v64
	s_waitcnt vmcnt(29)
	v_mul_f32_e32 v92, v85, v135
	v_add_f32_e32 v63, v63, v64
	v_mul_f32_e32 v64, v78, v120
	s_waitcnt vmcnt(28)
	v_fmac_f32_e32 v92, v86, v136
	v_fma_f32 v64, v77, v131, -v64
	v_add_f32_e32 v95, v91, v92
	ds_read2_b64 v[91:94], v62 offset0:49 offset1:50
	v_add_f32_e32 v63, v63, v64
	v_mul_f32_e32 v64, v80, v121
	s_waitcnt vmcnt(27) lgkmcnt(1)
	v_mul_f32_e32 v96, v87, v137
	v_fma_f32 v64, v79, v132, -v64
	s_waitcnt vmcnt(26)
	v_fmac_f32_e32 v96, v88, v138
	v_add_f32_e32 v63, v63, v64
	v_mul_f32_e32 v64, v82, v122
	v_add_f32_e32 v95, v95, v96
	s_waitcnt vmcnt(25)
	v_mul_f32_e32 v96, v89, v139
	v_fma_f32 v64, v81, v133, -v64
	s_waitcnt vmcnt(24)
	v_fmac_f32_e32 v96, v90, v140
	v_add_f32_e32 v63, v63, v64
	v_mul_f32_e32 v64, v84, v123
	v_add_f32_e32 v95, v95, v96
	s_waitcnt vmcnt(23) lgkmcnt(0)
	v_mul_f32_e32 v96, v91, v141
	v_fma_f32 v64, v83, v134, -v64
	s_waitcnt vmcnt(22)
	v_fmac_f32_e32 v96, v92, v142
	v_add_f32_e32 v63, v63, v64
	v_mul_f32_e32 v64, v86, v135
	v_add_f32_e32 v99, v95, v96
	ds_read2_b64 v[95:98], v62 offset0:51 offset1:52
	v_fma_f32 v64, v85, v136, -v64
	v_add_f32_e32 v63, v63, v64
	v_mul_f32_e32 v64, v88, v137
	s_waitcnt vmcnt(21)
	v_mul_f32_e32 v100, v93, v143
	v_fma_f32 v64, v87, v138, -v64
	s_waitcnt vmcnt(20)
	v_fmac_f32_e32 v100, v94, v144
	v_add_f32_e32 v63, v63, v64
	v_mul_f32_e32 v64, v90, v139
	v_add_f32_e32 v103, v99, v100
	ds_read2_b64 v[99:102], v62 offset0:53 offset1:54
	v_fma_f32 v64, v89, v140, -v64
	s_waitcnt vmcnt(19) lgkmcnt(1)
	v_mul_f32_e32 v104, v95, v145
	v_add_f32_e32 v63, v63, v64
	v_mul_f32_e32 v64, v92, v141
	s_waitcnt vmcnt(18)
	v_fmac_f32_e32 v104, v96, v146
	v_fma_f32 v64, v91, v142, -v64
	v_add_f32_e32 v103, v103, v104
	s_waitcnt vmcnt(17)
	v_mul_f32_e32 v104, v97, v147
	v_add_f32_e32 v63, v63, v64
	v_mul_f32_e32 v64, v94, v143
	s_waitcnt vmcnt(16)
	v_fmac_f32_e32 v104, v98, v148
	v_fma_f32 v64, v93, v144, -v64
	v_add_f32_e32 v103, v103, v104
	s_waitcnt vmcnt(14) lgkmcnt(0)
	v_mul_f32_e32 v104, v99, v150
	v_add_f32_e32 v63, v63, v64
	v_mul_f32_e32 v64, v96, v145
	v_fmac_f32_e32 v104, v100, v149
	v_fma_f32 v64, v95, v146, -v64
	v_add_f32_e32 v107, v103, v104
	ds_read2_b64 v[103:106], v62 offset0:55 offset1:56
	v_add_f32_e32 v63, v63, v64
	v_mul_f32_e32 v64, v98, v147
	v_fma_f32 v64, v97, v148, -v64
	v_add_f32_e32 v63, v63, v64
	v_mul_f32_e32 v64, v100, v150
	s_waitcnt vmcnt(11)
	v_mul_f32_e32 v108, v101, v153
	v_fma_f32 v64, v99, v149, -v64
	s_waitcnt vmcnt(10)
	v_fmac_f32_e32 v108, v102, v154
	v_add_f32_e32 v63, v63, v64
	v_mul_f32_e32 v64, v102, v153
	v_add_f32_e32 v111, v107, v108
	ds_read2_b64 v[107:110], v62 offset0:57 offset1:58
	s_waitcnt vmcnt(8) lgkmcnt(1)
	v_mul_f32_e32 v112, v103, v156
	v_fma_f32 v64, v101, v154, -v64
	v_fmac_f32_e32 v112, v104, v155
	v_add_f32_e32 v63, v63, v64
	v_mul_f32_e32 v64, v104, v156
	v_add_f32_e32 v111, v111, v112
	s_waitcnt vmcnt(6)
	v_mul_f32_e32 v112, v105, v158
	v_fma_f32 v64, v103, v155, -v64
	v_fmac_f32_e32 v112, v106, v157
	v_add_f32_e32 v63, v63, v64
	v_mul_f32_e32 v64, v106, v158
	v_add_f32_e32 v165, v111, v112
	ds_read_b64 v[111:112], v62 offset:472
	v_fma_f32 v64, v105, v157, -v64
	v_add_f32_e32 v63, v63, v64
	s_waitcnt vmcnt(4) lgkmcnt(1)
	v_mul_f32_e32 v64, v108, v160
	v_mul_f32_e32 v166, v107, v160
	v_fma_f32 v64, v107, v159, -v64
	v_fmac_f32_e32 v166, v108, v159
	v_add_f32_e32 v63, v63, v64
	s_waitcnt vmcnt(2)
	v_mul_f32_e32 v64, v110, v162
	v_add_f32_e32 v165, v165, v166
	v_mul_f32_e32 v166, v109, v162
	v_fma_f32 v64, v109, v161, -v64
	v_fmac_f32_e32 v166, v110, v161
	v_add_f32_e32 v63, v63, v64
	s_waitcnt vmcnt(0) lgkmcnt(0)
	v_mul_f32_e32 v64, v112, v164
	v_add_f32_e32 v165, v165, v166
	v_mul_f32_e32 v166, v111, v164
	v_fma_f32 v64, v111, v163, -v64
	v_fmac_f32_e32 v166, v112, v163
	v_add_f32_e32 v63, v63, v64
	v_add_f32_e32 v165, v165, v166
	v_sub_f32_e32 v63, v151, v63
	v_sub_f32_e32 v64, v152, v165
	buffer_store_dword v63, off, s[0:3], 0 offset:32
	buffer_store_dword v64, off, s[0:3], 0 offset:36
	s_and_saveexec_b64 s[4:5], vcc
	s_cbranch_execz .LBB93_187
; %bb.186:
	buffer_load_dword v63, off, s[0:3], 0 offset:24
	buffer_load_dword v64, off, s[0:3], 0 offset:28
	s_waitcnt vmcnt(0)
	ds_write_b64 v61, v[63:64]
	buffer_store_dword v62, off, s[0:3], 0 offset:24
	buffer_store_dword v62, off, s[0:3], 0 offset:28
.LBB93_187:
	s_or_b64 exec, exec, s[4:5]
	s_waitcnt lgkmcnt(0)
	; wave barrier
	buffer_load_dword v115, off, s[0:3], 0 offset:36
	buffer_load_dword v116, off, s[0:3], 0 offset:44
	buffer_load_dword v117, off, s[0:3], 0 offset:52
	buffer_load_dword v118, off, s[0:3], 0 offset:60
	buffer_load_dword v119, off, s[0:3], 0 offset:68
	buffer_load_dword v120, off, s[0:3], 0 offset:76
	buffer_load_dword v121, off, s[0:3], 0 offset:84
	buffer_load_dword v122, off, s[0:3], 0 offset:92
	buffer_load_dword v123, off, s[0:3], 0 offset:100
	buffer_load_dword v124, off, s[0:3], 0 offset:108
	buffer_load_dword v125, off, s[0:3], 0 offset:32
	buffer_load_dword v126, off, s[0:3], 0 offset:40
	buffer_load_dword v127, off, s[0:3], 0 offset:48
	buffer_load_dword v128, off, s[0:3], 0 offset:56
	buffer_load_dword v129, off, s[0:3], 0 offset:64
	buffer_load_dword v130, off, s[0:3], 0 offset:72
	buffer_load_dword v131, off, s[0:3], 0 offset:80
	buffer_load_dword v132, off, s[0:3], 0 offset:88
	buffer_load_dword v133, off, s[0:3], 0 offset:96
	buffer_load_dword v134, off, s[0:3], 0 offset:104
	buffer_load_dword v135, off, s[0:3], 0 offset:116
	buffer_load_dword v136, off, s[0:3], 0 offset:112
	buffer_load_dword v137, off, s[0:3], 0 offset:124
	buffer_load_dword v138, off, s[0:3], 0 offset:120
	buffer_load_dword v139, off, s[0:3], 0 offset:132
	buffer_load_dword v140, off, s[0:3], 0 offset:128
	buffer_load_dword v141, off, s[0:3], 0 offset:140
	buffer_load_dword v142, off, s[0:3], 0 offset:136
	buffer_load_dword v143, off, s[0:3], 0 offset:148
	buffer_load_dword v144, off, s[0:3], 0 offset:144
	buffer_load_dword v145, off, s[0:3], 0 offset:156
	buffer_load_dword v146, off, s[0:3], 0 offset:152
	buffer_load_dword v147, off, s[0:3], 0 offset:164
	buffer_load_dword v148, off, s[0:3], 0 offset:160
	buffer_load_dword v149, off, s[0:3], 0 offset:168
	buffer_load_dword v150, off, s[0:3], 0 offset:172
	buffer_load_dword v151, off, s[0:3], 0 offset:24
	buffer_load_dword v152, off, s[0:3], 0 offset:28
	buffer_load_dword v153, off, s[0:3], 0 offset:180
	buffer_load_dword v154, off, s[0:3], 0 offset:176
	buffer_load_dword v155, off, s[0:3], 0 offset:184
	buffer_load_dword v156, off, s[0:3], 0 offset:188
	ds_read_b128 v[63:66], v62 offset:272
	ds_read_b128 v[67:70], v62 offset:288
	ds_read_b128 v[71:74], v62 offset:304
	ds_read_b128 v[75:78], v62 offset:320
	buffer_load_dword v157, off, s[0:3], 0 offset:196
	buffer_load_dword v158, off, s[0:3], 0 offset:192
	;; [unrolled: 1-line block ×6, first 2 shown]
	ds_read_b128 v[79:82], v62 offset:336
	ds_read_b128 v[83:86], v62 offset:352
	buffer_load_dword v163, off, s[0:3], 0 offset:216
	buffer_load_dword v164, off, s[0:3], 0 offset:220
	;; [unrolled: 1-line block ×6, first 2 shown]
	v_cmp_lt_u32_e32 vcc, 2, v0
	s_waitcnt vmcnt(53) lgkmcnt(5)
	v_mul_f32_e32 v87, v63, v115
	s_waitcnt vmcnt(52)
	v_mul_f32_e32 v88, v65, v116
	s_waitcnt vmcnt(51) lgkmcnt(4)
	v_mul_f32_e32 v89, v67, v117
	s_waitcnt vmcnt(50)
	v_mul_f32_e32 v90, v69, v118
	;; [unrolled: 4-line block ×5, first 2 shown]
	s_waitcnt vmcnt(43)
	v_fmac_f32_e32 v87, v64, v125
	v_mul_f32_e32 v64, v64, v115
	s_waitcnt vmcnt(42)
	v_fmac_f32_e32 v88, v66, v126
	v_add_f32_e32 v87, 0, v87
	v_fma_f32 v63, v63, v125, -v64
	v_mul_f32_e32 v64, v66, v116
	s_waitcnt vmcnt(41)
	v_fmac_f32_e32 v89, v68, v127
	v_add_f32_e32 v87, v87, v88
	v_add_f32_e32 v63, 0, v63
	v_fma_f32 v64, v65, v126, -v64
	s_waitcnt vmcnt(40)
	v_fmac_f32_e32 v90, v70, v128
	v_add_f32_e32 v87, v87, v89
	v_add_f32_e32 v63, v63, v64
	v_mul_f32_e32 v64, v68, v117
	s_waitcnt vmcnt(39)
	v_fmac_f32_e32 v91, v72, v129
	v_add_f32_e32 v87, v87, v90
	v_fma_f32 v64, v67, v127, -v64
	s_waitcnt vmcnt(38)
	v_fmac_f32_e32 v92, v74, v130
	v_add_f32_e32 v87, v87, v91
	v_add_f32_e32 v63, v63, v64
	v_mul_f32_e32 v64, v70, v118
	s_waitcnt vmcnt(37)
	v_fmac_f32_e32 v93, v76, v131
	;; [unrolled: 9-line block ×3, first 2 shown]
	v_add_f32_e32 v87, v87, v94
	v_fma_f32 v64, v71, v129, -v64
	s_waitcnt vmcnt(34)
	v_fmac_f32_e32 v96, v82, v134
	v_add_f32_e32 v87, v87, v95
	s_waitcnt vmcnt(33) lgkmcnt(0)
	v_mul_f32_e32 v88, v83, v135
	v_add_f32_e32 v63, v63, v64
	v_mul_f32_e32 v64, v74, v120
	v_add_f32_e32 v87, v87, v96
	s_waitcnt vmcnt(32)
	v_fmac_f32_e32 v88, v84, v136
	v_fma_f32 v64, v73, v130, -v64
	v_add_f32_e32 v91, v87, v88
	ds_read_b128 v[87:90], v62 offset:368
	v_add_f32_e32 v63, v63, v64
	v_mul_f32_e32 v64, v76, v121
	v_fma_f32 v64, v75, v131, -v64
	s_waitcnt vmcnt(31)
	v_mul_f32_e32 v92, v85, v137
	v_add_f32_e32 v63, v63, v64
	v_mul_f32_e32 v64, v78, v122
	s_waitcnt vmcnt(30)
	v_fmac_f32_e32 v92, v86, v138
	v_fma_f32 v64, v77, v132, -v64
	v_add_f32_e32 v95, v91, v92
	ds_read_b128 v[91:94], v62 offset:384
	v_add_f32_e32 v63, v63, v64
	v_mul_f32_e32 v64, v80, v123
	s_waitcnt vmcnt(29) lgkmcnt(1)
	v_mul_f32_e32 v96, v87, v139
	v_fma_f32 v64, v79, v133, -v64
	s_waitcnt vmcnt(28)
	v_fmac_f32_e32 v96, v88, v140
	v_add_f32_e32 v63, v63, v64
	v_mul_f32_e32 v64, v82, v124
	v_add_f32_e32 v95, v95, v96
	s_waitcnt vmcnt(27)
	v_mul_f32_e32 v96, v89, v141
	v_fma_f32 v64, v81, v134, -v64
	s_waitcnt vmcnt(26)
	v_fmac_f32_e32 v96, v90, v142
	v_add_f32_e32 v63, v63, v64
	v_mul_f32_e32 v64, v84, v135
	v_add_f32_e32 v95, v95, v96
	s_waitcnt vmcnt(25) lgkmcnt(0)
	v_mul_f32_e32 v96, v91, v143
	v_fma_f32 v64, v83, v136, -v64
	s_waitcnt vmcnt(24)
	v_fmac_f32_e32 v96, v92, v144
	v_add_f32_e32 v63, v63, v64
	v_mul_f32_e32 v64, v86, v137
	v_add_f32_e32 v99, v95, v96
	ds_read_b128 v[95:98], v62 offset:400
	v_fma_f32 v64, v85, v138, -v64
	v_add_f32_e32 v63, v63, v64
	v_mul_f32_e32 v64, v88, v139
	s_waitcnt vmcnt(23)
	v_mul_f32_e32 v100, v93, v145
	v_fma_f32 v64, v87, v140, -v64
	s_waitcnt vmcnt(22)
	v_fmac_f32_e32 v100, v94, v146
	v_add_f32_e32 v63, v63, v64
	v_mul_f32_e32 v64, v90, v141
	v_add_f32_e32 v103, v99, v100
	ds_read_b128 v[99:102], v62 offset:416
	v_fma_f32 v64, v89, v142, -v64
	s_waitcnt vmcnt(21) lgkmcnt(1)
	v_mul_f32_e32 v104, v95, v147
	v_add_f32_e32 v63, v63, v64
	v_mul_f32_e32 v64, v92, v143
	s_waitcnt vmcnt(20)
	v_fmac_f32_e32 v104, v96, v148
	v_fma_f32 v64, v91, v144, -v64
	v_add_f32_e32 v103, v103, v104
	s_waitcnt vmcnt(18)
	v_mul_f32_e32 v104, v97, v150
	v_add_f32_e32 v63, v63, v64
	v_mul_f32_e32 v64, v94, v145
	v_fmac_f32_e32 v104, v98, v149
	v_fma_f32 v64, v93, v146, -v64
	v_add_f32_e32 v103, v103, v104
	s_waitcnt vmcnt(15) lgkmcnt(0)
	v_mul_f32_e32 v104, v99, v153
	v_add_f32_e32 v63, v63, v64
	v_mul_f32_e32 v64, v96, v147
	s_waitcnt vmcnt(14)
	v_fmac_f32_e32 v104, v100, v154
	v_fma_f32 v64, v95, v148, -v64
	v_add_f32_e32 v107, v103, v104
	ds_read_b128 v[103:106], v62 offset:432
	v_add_f32_e32 v63, v63, v64
	v_mul_f32_e32 v64, v98, v150
	v_fma_f32 v64, v97, v149, -v64
	v_add_f32_e32 v63, v63, v64
	v_mul_f32_e32 v64, v100, v153
	s_waitcnt vmcnt(12)
	v_mul_f32_e32 v108, v101, v156
	v_fma_f32 v64, v99, v154, -v64
	v_fmac_f32_e32 v108, v102, v155
	v_add_f32_e32 v63, v63, v64
	v_mul_f32_e32 v64, v102, v156
	v_add_f32_e32 v111, v107, v108
	ds_read_b128 v[107:110], v62 offset:448
	s_waitcnt vmcnt(11) lgkmcnt(1)
	v_mul_f32_e32 v112, v103, v157
	v_fma_f32 v64, v101, v155, -v64
	s_waitcnt vmcnt(10)
	v_fmac_f32_e32 v112, v104, v158
	v_add_f32_e32 v63, v63, v64
	v_mul_f32_e32 v64, v104, v157
	v_add_f32_e32 v111, v111, v112
	s_waitcnt vmcnt(8)
	v_mul_f32_e32 v112, v105, v160
	v_fma_f32 v64, v103, v158, -v64
	v_fmac_f32_e32 v112, v106, v159
	v_add_f32_e32 v63, v63, v64
	v_mul_f32_e32 v64, v106, v160
	v_add_f32_e32 v169, v111, v112
	ds_read_b128 v[111:114], v62 offset:464
	v_fma_f32 v64, v105, v159, -v64
	v_add_f32_e32 v63, v63, v64
	s_waitcnt vmcnt(6) lgkmcnt(1)
	v_mul_f32_e32 v64, v108, v162
	v_mul_f32_e32 v170, v107, v162
	v_fma_f32 v64, v107, v161, -v64
	v_fmac_f32_e32 v170, v108, v161
	v_add_f32_e32 v63, v63, v64
	s_waitcnt vmcnt(4)
	v_mul_f32_e32 v64, v110, v164
	v_add_f32_e32 v62, v169, v170
	v_mul_f32_e32 v169, v109, v164
	v_fma_f32 v64, v109, v163, -v64
	v_fmac_f32_e32 v169, v110, v163
	v_add_f32_e32 v63, v63, v64
	s_waitcnt vmcnt(2) lgkmcnt(0)
	v_mul_f32_e32 v64, v112, v166
	v_add_f32_e32 v62, v62, v169
	v_mul_f32_e32 v169, v111, v166
	v_fma_f32 v64, v111, v165, -v64
	v_fmac_f32_e32 v169, v112, v165
	v_add_f32_e32 v63, v63, v64
	s_waitcnt vmcnt(0)
	v_mul_f32_e32 v64, v114, v168
	v_add_f32_e32 v62, v62, v169
	v_mul_f32_e32 v169, v113, v168
	v_fma_f32 v64, v113, v167, -v64
	v_fmac_f32_e32 v169, v114, v167
	v_add_f32_e32 v63, v63, v64
	v_add_f32_e32 v62, v62, v169
	v_sub_f32_e32 v63, v151, v63
	v_sub_f32_e32 v62, v152, v62
	buffer_store_dword v63, off, s[0:3], 0 offset:24
	buffer_store_dword v62, off, s[0:3], 0 offset:28
	s_and_saveexec_b64 s[4:5], vcc
	s_cbranch_execz .LBB93_189
; %bb.188:
	buffer_load_dword v62, off, s[0:3], 0 offset:16
	buffer_load_dword v63, off, s[0:3], 0 offset:20
	v_mov_b32_e32 v64, 0
	buffer_store_dword v64, off, s[0:3], 0 offset:16
	buffer_store_dword v64, off, s[0:3], 0 offset:20
	s_waitcnt vmcnt(2)
	ds_write_b64 v61, v[62:63]
.LBB93_189:
	s_or_b64 exec, exec, s[4:5]
	s_waitcnt lgkmcnt(0)
	; wave barrier
	buffer_load_dword v117, off, s[0:3], 0 offset:28
	buffer_load_dword v118, off, s[0:3], 0 offset:36
	;; [unrolled: 1-line block ×56, first 2 shown]
	v_mov_b32_e32 v62, 0
	ds_read2_b64 v[63:66], v62 offset0:33 offset1:34
	ds_read2_b64 v[67:70], v62 offset0:35 offset1:36
	;; [unrolled: 1-line block ×6, first 2 shown]
	v_cmp_lt_u32_e32 vcc, 1, v0
	s_waitcnt vmcnt(55) lgkmcnt(5)
	v_mul_f32_e32 v87, v63, v117
	s_waitcnt vmcnt(54)
	v_mul_f32_e32 v88, v65, v118
	s_waitcnt vmcnt(53) lgkmcnt(4)
	v_mul_f32_e32 v89, v67, v119
	s_waitcnt vmcnt(52)
	v_mul_f32_e32 v90, v69, v120
	;; [unrolled: 4-line block ×4, first 2 shown]
	s_waitcnt vmcnt(47) lgkmcnt(1)
	v_mul_f32_e32 v95, v79, v125
	s_waitcnt vmcnt(46)
	v_fmac_f32_e32 v87, v64, v126
	s_waitcnt vmcnt(45)
	v_fmac_f32_e32 v88, v66, v127
	v_add_f32_e32 v87, 0, v87
	s_waitcnt vmcnt(44)
	v_fmac_f32_e32 v89, v68, v128
	v_add_f32_e32 v87, v87, v88
	;; [unrolled: 3-line block ×3, first 2 shown]
	v_mul_f32_e32 v64, v64, v117
	s_waitcnt vmcnt(42)
	v_fmac_f32_e32 v91, v72, v130
	v_add_f32_e32 v87, v87, v90
	v_fma_f32 v63, v63, v126, -v64
	v_mul_f32_e32 v64, v66, v118
	s_waitcnt vmcnt(41)
	v_fmac_f32_e32 v92, v74, v131
	v_add_f32_e32 v87, v87, v91
	v_add_f32_e32 v63, 0, v63
	v_fma_f32 v64, v65, v127, -v64
	s_waitcnt vmcnt(40)
	v_fmac_f32_e32 v93, v76, v132
	v_add_f32_e32 v87, v87, v92
	v_add_f32_e32 v63, v63, v64
	v_mul_f32_e32 v64, v68, v119
	s_waitcnt vmcnt(39)
	v_fmac_f32_e32 v94, v78, v133
	v_add_f32_e32 v87, v87, v93
	v_fma_f32 v64, v67, v128, -v64
	v_add_f32_e32 v87, v87, v94
	s_waitcnt vmcnt(38)
	v_fmac_f32_e32 v95, v80, v134
	s_waitcnt vmcnt(37)
	v_mul_f32_e32 v88, v81, v135
	v_add_f32_e32 v63, v63, v64
	v_mul_f32_e32 v64, v70, v120
	v_add_f32_e32 v87, v87, v95
	s_waitcnt vmcnt(36)
	v_fmac_f32_e32 v88, v82, v136
	v_fma_f32 v64, v69, v129, -v64
	v_add_f32_e32 v87, v87, v88
	s_waitcnt vmcnt(35) lgkmcnt(0)
	v_mul_f32_e32 v88, v83, v137
	v_add_f32_e32 v63, v63, v64
	v_mul_f32_e32 v64, v72, v121
	s_waitcnt vmcnt(34)
	v_fmac_f32_e32 v88, v84, v138
	v_fma_f32 v64, v71, v130, -v64
	v_add_f32_e32 v91, v87, v88
	ds_read2_b64 v[87:90], v62 offset0:45 offset1:46
	v_add_f32_e32 v63, v63, v64
	v_mul_f32_e32 v64, v74, v122
	v_fma_f32 v64, v73, v131, -v64
	s_waitcnt vmcnt(33)
	v_mul_f32_e32 v92, v85, v139
	v_add_f32_e32 v63, v63, v64
	v_mul_f32_e32 v64, v76, v123
	s_waitcnt vmcnt(32)
	v_fmac_f32_e32 v92, v86, v140
	v_fma_f32 v64, v75, v132, -v64
	v_add_f32_e32 v95, v91, v92
	ds_read2_b64 v[91:94], v62 offset0:47 offset1:48
	v_add_f32_e32 v63, v63, v64
	v_mul_f32_e32 v64, v78, v124
	s_waitcnt vmcnt(31) lgkmcnt(1)
	v_mul_f32_e32 v96, v87, v141
	v_fma_f32 v64, v77, v133, -v64
	s_waitcnt vmcnt(30)
	v_fmac_f32_e32 v96, v88, v142
	v_add_f32_e32 v63, v63, v64
	v_mul_f32_e32 v64, v80, v125
	v_add_f32_e32 v95, v95, v96
	s_waitcnt vmcnt(29)
	v_mul_f32_e32 v96, v89, v143
	v_fma_f32 v64, v79, v134, -v64
	s_waitcnt vmcnt(28)
	v_fmac_f32_e32 v96, v90, v144
	v_add_f32_e32 v63, v63, v64
	v_mul_f32_e32 v64, v82, v135
	v_add_f32_e32 v95, v95, v96
	s_waitcnt vmcnt(27) lgkmcnt(0)
	v_mul_f32_e32 v96, v91, v145
	v_fma_f32 v64, v81, v136, -v64
	s_waitcnt vmcnt(26)
	v_fmac_f32_e32 v96, v92, v146
	v_add_f32_e32 v63, v63, v64
	v_mul_f32_e32 v64, v84, v137
	v_add_f32_e32 v99, v95, v96
	ds_read2_b64 v[95:98], v62 offset0:49 offset1:50
	v_fma_f32 v64, v83, v138, -v64
	v_add_f32_e32 v63, v63, v64
	v_mul_f32_e32 v64, v86, v139
	s_waitcnt vmcnt(24)
	v_mul_f32_e32 v100, v93, v148
	v_fma_f32 v64, v85, v140, -v64
	v_fmac_f32_e32 v100, v94, v147
	v_add_f32_e32 v63, v63, v64
	v_mul_f32_e32 v64, v88, v141
	v_add_f32_e32 v103, v99, v100
	ds_read2_b64 v[99:102], v62 offset0:51 offset1:52
	v_fma_f32 v64, v87, v142, -v64
	s_waitcnt vmcnt(21) lgkmcnt(1)
	v_mul_f32_e32 v104, v95, v151
	v_add_f32_e32 v63, v63, v64
	v_mul_f32_e32 v64, v90, v143
	s_waitcnt vmcnt(20)
	v_fmac_f32_e32 v104, v96, v152
	v_fma_f32 v64, v89, v144, -v64
	v_add_f32_e32 v103, v103, v104
	s_waitcnt vmcnt(18)
	v_mul_f32_e32 v104, v97, v154
	v_add_f32_e32 v63, v63, v64
	v_mul_f32_e32 v64, v92, v145
	v_fmac_f32_e32 v104, v98, v153
	v_fma_f32 v64, v91, v146, -v64
	v_add_f32_e32 v103, v103, v104
	s_waitcnt vmcnt(16) lgkmcnt(0)
	v_mul_f32_e32 v104, v99, v156
	v_add_f32_e32 v63, v63, v64
	v_mul_f32_e32 v64, v94, v148
	v_fmac_f32_e32 v104, v100, v155
	v_fma_f32 v64, v93, v147, -v64
	v_add_f32_e32 v107, v103, v104
	ds_read2_b64 v[103:106], v62 offset0:53 offset1:54
	v_add_f32_e32 v63, v63, v64
	v_mul_f32_e32 v64, v96, v151
	v_fma_f32 v64, v95, v152, -v64
	s_waitcnt vmcnt(14)
	v_mul_f32_e32 v108, v101, v158
	v_add_f32_e32 v63, v63, v64
	v_mul_f32_e32 v64, v98, v154
	v_fmac_f32_e32 v108, v102, v157
	v_fma_f32 v64, v97, v153, -v64
	v_add_f32_e32 v111, v107, v108
	ds_read2_b64 v[107:110], v62 offset0:55 offset1:56
	v_add_f32_e32 v63, v63, v64
	v_mul_f32_e32 v64, v100, v156
	s_waitcnt vmcnt(12) lgkmcnt(1)
	v_mul_f32_e32 v112, v103, v160
	v_fma_f32 v64, v99, v155, -v64
	v_fmac_f32_e32 v112, v104, v159
	v_add_f32_e32 v63, v63, v64
	v_mul_f32_e32 v64, v102, v158
	v_add_f32_e32 v111, v111, v112
	s_waitcnt vmcnt(10)
	v_mul_f32_e32 v112, v105, v162
	v_fma_f32 v64, v101, v157, -v64
	v_fmac_f32_e32 v112, v106, v161
	v_add_f32_e32 v63, v63, v64
	v_mul_f32_e32 v64, v104, v160
	v_add_f32_e32 v111, v111, v112
	s_waitcnt vmcnt(8) lgkmcnt(0)
	v_mul_f32_e32 v112, v107, v164
	v_fma_f32 v64, v103, v159, -v64
	v_fmac_f32_e32 v112, v108, v163
	v_add_f32_e32 v63, v63, v64
	v_mul_f32_e32 v64, v106, v162
	v_add_f32_e32 v115, v111, v112
	ds_read2_b64 v[111:114], v62 offset0:57 offset1:58
	v_fma_f32 v64, v105, v161, -v64
	v_add_f32_e32 v63, v63, v64
	v_mul_f32_e32 v64, v108, v164
	s_waitcnt vmcnt(6)
	v_mul_f32_e32 v116, v109, v166
	v_fma_f32 v64, v107, v163, -v64
	v_fmac_f32_e32 v116, v110, v165
	v_add_f32_e32 v63, v63, v64
	v_mul_f32_e32 v64, v110, v166
	v_add_f32_e32 v173, v115, v116
	ds_read_b64 v[115:116], v62 offset:472
	v_fma_f32 v64, v109, v165, -v64
	v_add_f32_e32 v63, v63, v64
	s_waitcnt vmcnt(4) lgkmcnt(1)
	v_mul_f32_e32 v64, v112, v168
	v_mul_f32_e32 v174, v111, v168
	v_fma_f32 v64, v111, v167, -v64
	v_fmac_f32_e32 v174, v112, v167
	v_add_f32_e32 v63, v63, v64
	s_waitcnt vmcnt(2)
	v_mul_f32_e32 v64, v114, v170
	v_add_f32_e32 v173, v173, v174
	v_mul_f32_e32 v174, v113, v170
	v_fma_f32 v64, v113, v169, -v64
	v_fmac_f32_e32 v174, v114, v169
	v_add_f32_e32 v63, v63, v64
	s_waitcnt vmcnt(0) lgkmcnt(0)
	v_mul_f32_e32 v64, v116, v172
	v_add_f32_e32 v173, v173, v174
	v_mul_f32_e32 v174, v115, v172
	v_fma_f32 v64, v115, v171, -v64
	v_fmac_f32_e32 v174, v116, v171
	v_add_f32_e32 v63, v63, v64
	v_add_f32_e32 v173, v173, v174
	v_sub_f32_e32 v63, v149, v63
	v_sub_f32_e32 v64, v150, v173
	buffer_store_dword v63, off, s[0:3], 0 offset:16
	buffer_store_dword v64, off, s[0:3], 0 offset:20
	s_and_saveexec_b64 s[4:5], vcc
	s_cbranch_execz .LBB93_191
; %bb.190:
	buffer_load_dword v63, off, s[0:3], 0 offset:8
	buffer_load_dword v64, off, s[0:3], 0 offset:12
	s_waitcnt vmcnt(0)
	ds_write_b64 v61, v[63:64]
	buffer_store_dword v62, off, s[0:3], 0 offset:8
	buffer_store_dword v62, off, s[0:3], 0 offset:12
.LBB93_191:
	s_or_b64 exec, exec, s[4:5]
	s_waitcnt lgkmcnt(0)
	; wave barrier
	buffer_load_dword v119, off, s[0:3], 0 offset:20
	buffer_load_dword v120, off, s[0:3], 0 offset:28
	;; [unrolled: 1-line block ×34, first 2 shown]
	ds_read_b128 v[63:66], v62 offset:256
	ds_read_b128 v[67:70], v62 offset:272
	buffer_load_dword v153, off, s[0:3], 0 offset:148
	buffer_load_dword v154, off, s[0:3], 0 offset:144
	buffer_load_dword v155, off, s[0:3], 0 offset:152
	buffer_load_dword v156, off, s[0:3], 0 offset:156
	buffer_load_dword v157, off, s[0:3], 0 offset:160
	buffer_load_dword v158, off, s[0:3], 0 offset:164
	ds_read_b128 v[71:74], v62 offset:288
	ds_read_b128 v[75:78], v62 offset:304
	;; [unrolled: 1-line block ×4, first 2 shown]
	buffer_load_dword v159, off, s[0:3], 0 offset:172
	buffer_load_dword v160, off, s[0:3], 0 offset:168
	;; [unrolled: 1-line block ×18, first 2 shown]
	v_cmp_ne_u32_e32 vcc, 0, v0
	s_waitcnt vmcnt(57) lgkmcnt(5)
	v_mul_f32_e32 v87, v63, v119
	s_waitcnt vmcnt(56)
	v_mul_f32_e32 v88, v65, v120
	s_waitcnt vmcnt(55) lgkmcnt(4)
	v_mul_f32_e32 v89, v67, v121
	s_waitcnt vmcnt(54)
	v_mul_f32_e32 v90, v69, v122
	;; [unrolled: 4-line block ×4, first 2 shown]
	s_waitcnt vmcnt(49)
	v_fmac_f32_e32 v87, v64, v127
	s_waitcnt vmcnt(48)
	v_fmac_f32_e32 v88, v66, v128
	v_add_f32_e32 v87, 0, v87
	s_waitcnt vmcnt(47)
	v_fmac_f32_e32 v89, v68, v129
	v_add_f32_e32 v87, v87, v88
	s_waitcnt vmcnt(46)
	v_fmac_f32_e32 v90, v70, v130
	v_add_f32_e32 v87, v87, v89
	s_waitcnt vmcnt(45)
	v_fmac_f32_e32 v91, v72, v131
	v_add_f32_e32 v87, v87, v90
	v_mul_f32_e32 v64, v64, v119
	s_waitcnt vmcnt(44)
	v_fmac_f32_e32 v92, v74, v132
	v_add_f32_e32 v87, v87, v91
	v_fma_f32 v63, v63, v127, -v64
	v_mul_f32_e32 v64, v66, v120
	s_waitcnt vmcnt(43)
	v_fmac_f32_e32 v93, v76, v133
	v_add_f32_e32 v87, v87, v92
	v_add_f32_e32 v63, 0, v63
	v_fma_f32 v64, v65, v128, -v64
	s_waitcnt vmcnt(42)
	v_fmac_f32_e32 v94, v78, v134
	v_add_f32_e32 v87, v87, v93
	s_waitcnt vmcnt(41) lgkmcnt(1)
	v_mul_f32_e32 v88, v79, v135
	v_add_f32_e32 v63, v63, v64
	v_mul_f32_e32 v64, v68, v121
	v_add_f32_e32 v87, v87, v94
	s_waitcnt vmcnt(40)
	v_fmac_f32_e32 v88, v80, v136
	v_fma_f32 v64, v67, v129, -v64
	v_add_f32_e32 v87, v87, v88
	s_waitcnt vmcnt(39)
	v_mul_f32_e32 v88, v81, v137
	v_add_f32_e32 v63, v63, v64
	v_mul_f32_e32 v64, v70, v122
	s_waitcnt vmcnt(38)
	v_fmac_f32_e32 v88, v82, v138
	v_fma_f32 v64, v69, v130, -v64
	v_add_f32_e32 v87, v87, v88
	s_waitcnt vmcnt(37) lgkmcnt(0)
	v_mul_f32_e32 v88, v83, v139
	v_add_f32_e32 v63, v63, v64
	v_mul_f32_e32 v64, v72, v123
	s_waitcnt vmcnt(36)
	v_fmac_f32_e32 v88, v84, v140
	v_fma_f32 v64, v71, v131, -v64
	v_add_f32_e32 v91, v87, v88
	ds_read_b128 v[87:90], v62 offset:352
	v_add_f32_e32 v63, v63, v64
	v_mul_f32_e32 v64, v74, v124
	v_fma_f32 v64, v73, v132, -v64
	s_waitcnt vmcnt(35)
	v_mul_f32_e32 v92, v85, v141
	v_add_f32_e32 v63, v63, v64
	v_mul_f32_e32 v64, v76, v125
	s_waitcnt vmcnt(34)
	v_fmac_f32_e32 v92, v86, v142
	v_fma_f32 v64, v75, v133, -v64
	v_add_f32_e32 v95, v91, v92
	ds_read_b128 v[91:94], v62 offset:368
	v_add_f32_e32 v63, v63, v64
	v_mul_f32_e32 v64, v78, v126
	s_waitcnt vmcnt(33) lgkmcnt(1)
	v_mul_f32_e32 v96, v87, v143
	v_fma_f32 v64, v77, v134, -v64
	s_waitcnt vmcnt(32)
	v_fmac_f32_e32 v96, v88, v144
	v_add_f32_e32 v63, v63, v64
	v_mul_f32_e32 v64, v80, v135
	v_add_f32_e32 v95, v95, v96
	s_waitcnt vmcnt(31)
	v_mul_f32_e32 v96, v89, v145
	v_fma_f32 v64, v79, v136, -v64
	s_waitcnt vmcnt(30)
	v_fmac_f32_e32 v96, v90, v146
	v_add_f32_e32 v63, v63, v64
	v_mul_f32_e32 v64, v82, v137
	v_add_f32_e32 v95, v95, v96
	s_waitcnt vmcnt(29) lgkmcnt(0)
	v_mul_f32_e32 v96, v91, v147
	v_fma_f32 v64, v81, v138, -v64
	s_waitcnt vmcnt(28)
	v_fmac_f32_e32 v96, v92, v148
	v_add_f32_e32 v63, v63, v64
	v_mul_f32_e32 v64, v84, v139
	v_add_f32_e32 v99, v95, v96
	ds_read_b128 v[95:98], v62 offset:384
	v_fma_f32 v64, v83, v140, -v64
	v_add_f32_e32 v63, v63, v64
	v_mul_f32_e32 v64, v86, v141
	s_waitcnt vmcnt(25)
	v_mul_f32_e32 v100, v93, v151
	v_fma_f32 v64, v85, v142, -v64
	s_waitcnt vmcnt(24)
	v_fmac_f32_e32 v100, v94, v152
	v_add_f32_e32 v63, v63, v64
	v_mul_f32_e32 v64, v88, v143
	v_add_f32_e32 v103, v99, v100
	ds_read_b128 v[99:102], v62 offset:400
	v_fma_f32 v64, v87, v144, -v64
	s_waitcnt vmcnt(23) lgkmcnt(1)
	v_mul_f32_e32 v104, v95, v153
	v_add_f32_e32 v63, v63, v64
	v_mul_f32_e32 v64, v90, v145
	s_waitcnt vmcnt(22)
	v_fmac_f32_e32 v104, v96, v154
	v_fma_f32 v64, v89, v146, -v64
	v_add_f32_e32 v103, v103, v104
	s_waitcnt vmcnt(20)
	v_mul_f32_e32 v104, v97, v156
	v_add_f32_e32 v63, v63, v64
	v_mul_f32_e32 v64, v92, v147
	v_fmac_f32_e32 v104, v98, v155
	v_fma_f32 v64, v91, v148, -v64
	v_add_f32_e32 v103, v103, v104
	s_waitcnt vmcnt(18) lgkmcnt(0)
	v_mul_f32_e32 v104, v99, v158
	v_add_f32_e32 v63, v63, v64
	v_mul_f32_e32 v64, v94, v151
	v_fmac_f32_e32 v104, v100, v157
	v_fma_f32 v64, v93, v152, -v64
	v_add_f32_e32 v107, v103, v104
	ds_read_b128 v[103:106], v62 offset:416
	v_add_f32_e32 v63, v63, v64
	v_mul_f32_e32 v64, v96, v153
	v_fma_f32 v64, v95, v154, -v64
	s_waitcnt vmcnt(17)
	v_mul_f32_e32 v108, v101, v159
	v_add_f32_e32 v63, v63, v64
	v_mul_f32_e32 v64, v98, v156
	s_waitcnt vmcnt(16)
	v_fmac_f32_e32 v108, v102, v160
	v_fma_f32 v64, v97, v155, -v64
	v_add_f32_e32 v111, v107, v108
	ds_read_b128 v[107:110], v62 offset:432
	v_add_f32_e32 v63, v63, v64
	v_mul_f32_e32 v64, v100, v158
	s_waitcnt vmcnt(14) lgkmcnt(1)
	v_mul_f32_e32 v112, v103, v162
	v_fma_f32 v64, v99, v157, -v64
	v_fmac_f32_e32 v112, v104, v161
	v_add_f32_e32 v63, v63, v64
	v_mul_f32_e32 v64, v102, v159
	v_add_f32_e32 v111, v111, v112
	s_waitcnt vmcnt(12)
	v_mul_f32_e32 v112, v105, v164
	v_fma_f32 v64, v101, v160, -v64
	v_fmac_f32_e32 v112, v106, v163
	v_add_f32_e32 v63, v63, v64
	v_mul_f32_e32 v64, v104, v162
	v_add_f32_e32 v111, v111, v112
	s_waitcnt vmcnt(10) lgkmcnt(0)
	v_mul_f32_e32 v112, v107, v166
	v_fma_f32 v64, v103, v161, -v64
	v_fmac_f32_e32 v112, v108, v165
	v_add_f32_e32 v63, v63, v64
	v_mul_f32_e32 v64, v106, v164
	v_add_f32_e32 v115, v111, v112
	ds_read_b128 v[111:114], v62 offset:448
	v_fma_f32 v64, v105, v163, -v64
	v_add_f32_e32 v63, v63, v64
	v_mul_f32_e32 v64, v108, v166
	s_waitcnt vmcnt(8)
	v_mul_f32_e32 v116, v109, v168
	v_fma_f32 v64, v107, v165, -v64
	v_fmac_f32_e32 v116, v110, v167
	v_add_f32_e32 v63, v63, v64
	v_mul_f32_e32 v64, v110, v168
	v_add_f32_e32 v177, v115, v116
	ds_read_b128 v[115:118], v62 offset:464
	v_fma_f32 v64, v109, v167, -v64
	v_add_f32_e32 v63, v63, v64
	s_waitcnt vmcnt(6) lgkmcnt(1)
	v_mul_f32_e32 v64, v112, v170
	v_mul_f32_e32 v62, v111, v170
	v_fma_f32 v64, v111, v169, -v64
	v_fmac_f32_e32 v62, v112, v169
	v_add_f32_e32 v63, v63, v64
	s_waitcnt vmcnt(4)
	v_mul_f32_e32 v64, v114, v172
	v_add_f32_e32 v62, v177, v62
	v_mul_f32_e32 v177, v113, v172
	v_fma_f32 v64, v113, v171, -v64
	v_fmac_f32_e32 v177, v114, v171
	v_add_f32_e32 v63, v63, v64
	s_waitcnt vmcnt(2) lgkmcnt(0)
	v_mul_f32_e32 v64, v116, v174
	v_add_f32_e32 v62, v62, v177
	v_mul_f32_e32 v177, v115, v174
	v_fma_f32 v64, v115, v173, -v64
	v_fmac_f32_e32 v177, v116, v173
	v_add_f32_e32 v63, v63, v64
	s_waitcnt vmcnt(0)
	v_mul_f32_e32 v64, v118, v176
	v_add_f32_e32 v62, v62, v177
	v_mul_f32_e32 v177, v117, v176
	v_fma_f32 v64, v117, v175, -v64
	v_fmac_f32_e32 v177, v118, v175
	v_add_f32_e32 v63, v63, v64
	v_add_f32_e32 v62, v62, v177
	v_sub_f32_e32 v63, v149, v63
	v_sub_f32_e32 v62, v150, v62
	buffer_store_dword v63, off, s[0:3], 0 offset:8
	buffer_store_dword v62, off, s[0:3], 0 offset:12
	s_and_saveexec_b64 s[4:5], vcc
	s_cbranch_execz .LBB93_193
; %bb.192:
	buffer_load_dword v62, off, s[0:3], 0
	buffer_load_dword v63, off, s[0:3], 0 offset:4
	v_mov_b32_e32 v0, 0
	buffer_store_dword v0, off, s[0:3], 0
	buffer_store_dword v0, off, s[0:3], 0 offset:4
	s_waitcnt vmcnt(2)
	ds_write_b64 v61, v[62:63]
.LBB93_193:
	s_or_b64 exec, exec, s[4:5]
	s_waitcnt lgkmcnt(0)
	; wave barrier
	buffer_load_dword v119, off, s[0:3], 0 offset:12
	buffer_load_dword v120, off, s[0:3], 0 offset:20
	;; [unrolled: 1-line block ×26, first 2 shown]
	buffer_load_dword v145, off, s[0:3], 0
	buffer_load_dword v146, off, s[0:3], 0 offset:4
	buffer_load_dword v147, off, s[0:3], 0 offset:116
	;; [unrolled: 1-line block ×33, first 2 shown]
	v_mov_b32_e32 v0, 0
	ds_read2_b64 v[61:64], v0 offset0:31 offset1:32
	ds_read2_b64 v[65:68], v0 offset0:33 offset1:34
	;; [unrolled: 1-line block ×5, first 2 shown]
	s_and_b64 vcc, exec, s[14:15]
	s_waitcnt vmcnt(59) lgkmcnt(4)
	v_mul_f32_e32 v81, v61, v119
	s_waitcnt vmcnt(58)
	v_mul_f32_e32 v82, v63, v120
	s_waitcnt vmcnt(57) lgkmcnt(3)
	v_mul_f32_e32 v83, v65, v121
	s_waitcnt vmcnt(56)
	v_mul_f32_e32 v84, v67, v122
	;; [unrolled: 4-line block ×3, first 2 shown]
	s_waitcnt vmcnt(53) lgkmcnt(1)
	v_mul_f32_e32 v87, v73, v125
	s_waitcnt vmcnt(52)
	v_fmac_f32_e32 v81, v62, v126
	s_waitcnt vmcnt(51)
	v_fmac_f32_e32 v82, v64, v127
	v_add_f32_e32 v81, 0, v81
	s_waitcnt vmcnt(50)
	v_fmac_f32_e32 v83, v66, v128
	v_add_f32_e32 v81, v81, v82
	;; [unrolled: 3-line block ×6, first 2 shown]
	s_waitcnt vmcnt(45)
	v_mul_f32_e32 v82, v75, v133
	v_add_f32_e32 v81, v81, v87
	s_waitcnt vmcnt(44)
	v_fmac_f32_e32 v82, v76, v134
	v_mul_f32_e32 v62, v62, v119
	v_add_f32_e32 v85, v81, v82
	ds_read2_b64 v[81:84], v0 offset0:41 offset1:42
	v_fma_f32 v61, v61, v126, -v62
	v_mul_f32_e32 v62, v64, v120
	s_waitcnt vmcnt(43) lgkmcnt(1)
	v_mul_f32_e32 v86, v77, v135
	v_add_f32_e32 v61, 0, v61
	v_fma_f32 v62, v63, v127, -v62
	s_waitcnt vmcnt(42)
	v_fmac_f32_e32 v86, v78, v136
	v_add_f32_e32 v61, v61, v62
	v_mul_f32_e32 v62, v66, v121
	v_add_f32_e32 v85, v85, v86
	s_waitcnt vmcnt(41)
	v_mul_f32_e32 v86, v79, v137
	v_fma_f32 v62, v65, v128, -v62
	s_waitcnt vmcnt(40)
	v_fmac_f32_e32 v86, v80, v138
	v_add_f32_e32 v61, v61, v62
	v_mul_f32_e32 v62, v68, v122
	v_add_f32_e32 v85, v85, v86
	s_waitcnt vmcnt(39) lgkmcnt(0)
	v_mul_f32_e32 v86, v81, v139
	v_fma_f32 v62, v67, v129, -v62
	s_waitcnt vmcnt(38)
	v_fmac_f32_e32 v86, v82, v140
	v_add_f32_e32 v61, v61, v62
	v_mul_f32_e32 v62, v70, v123
	v_add_f32_e32 v89, v85, v86
	ds_read2_b64 v[85:88], v0 offset0:43 offset1:44
	v_fma_f32 v62, v69, v130, -v62
	v_add_f32_e32 v61, v61, v62
	v_mul_f32_e32 v62, v72, v124
	s_waitcnt vmcnt(37)
	v_mul_f32_e32 v90, v83, v141
	v_fma_f32 v62, v71, v131, -v62
	s_waitcnt vmcnt(36)
	v_fmac_f32_e32 v90, v84, v142
	v_add_f32_e32 v61, v61, v62
	v_mul_f32_e32 v62, v74, v125
	v_add_f32_e32 v93, v89, v90
	ds_read2_b64 v[89:92], v0 offset0:45 offset1:46
	v_fma_f32 v62, v73, v132, -v62
	s_waitcnt vmcnt(34) lgkmcnt(1)
	v_mul_f32_e32 v94, v85, v144
	v_add_f32_e32 v61, v61, v62
	v_mul_f32_e32 v62, v76, v133
	v_fmac_f32_e32 v94, v86, v143
	v_fma_f32 v62, v75, v134, -v62
	v_add_f32_e32 v93, v93, v94
	s_waitcnt vmcnt(31)
	v_mul_f32_e32 v94, v87, v147
	v_add_f32_e32 v61, v61, v62
	v_mul_f32_e32 v62, v78, v135
	s_waitcnt vmcnt(30)
	v_fmac_f32_e32 v94, v88, v148
	v_fma_f32 v62, v77, v136, -v62
	v_add_f32_e32 v93, v93, v94
	s_waitcnt vmcnt(28) lgkmcnt(0)
	v_mul_f32_e32 v94, v89, v150
	v_add_f32_e32 v61, v61, v62
	v_mul_f32_e32 v62, v80, v137
	v_fmac_f32_e32 v94, v90, v149
	v_fma_f32 v62, v79, v138, -v62
	v_add_f32_e32 v97, v93, v94
	ds_read2_b64 v[93:96], v0 offset0:47 offset1:48
	v_add_f32_e32 v61, v61, v62
	v_mul_f32_e32 v62, v82, v139
	v_fma_f32 v62, v81, v140, -v62
	s_waitcnt vmcnt(26)
	v_mul_f32_e32 v98, v91, v152
	v_add_f32_e32 v61, v61, v62
	v_mul_f32_e32 v62, v84, v141
	v_fmac_f32_e32 v98, v92, v151
	v_fma_f32 v62, v83, v142, -v62
	v_add_f32_e32 v101, v97, v98
	ds_read2_b64 v[97:100], v0 offset0:49 offset1:50
	v_add_f32_e32 v61, v61, v62
	v_mul_f32_e32 v62, v86, v144
	s_waitcnt vmcnt(24) lgkmcnt(1)
	v_mul_f32_e32 v102, v93, v154
	v_fma_f32 v62, v85, v143, -v62
	v_fmac_f32_e32 v102, v94, v153
	v_add_f32_e32 v61, v61, v62
	v_mul_f32_e32 v62, v88, v147
	v_add_f32_e32 v101, v101, v102
	s_waitcnt vmcnt(22)
	v_mul_f32_e32 v102, v95, v156
	v_fma_f32 v62, v87, v148, -v62
	v_fmac_f32_e32 v102, v96, v155
	v_add_f32_e32 v61, v61, v62
	v_mul_f32_e32 v62, v90, v150
	v_add_f32_e32 v101, v101, v102
	s_waitcnt vmcnt(20) lgkmcnt(0)
	v_mul_f32_e32 v102, v97, v158
	v_fma_f32 v62, v89, v149, -v62
	v_fmac_f32_e32 v102, v98, v157
	v_add_f32_e32 v61, v61, v62
	v_mul_f32_e32 v62, v92, v152
	v_add_f32_e32 v105, v101, v102
	ds_read2_b64 v[101:104], v0 offset0:51 offset1:52
	v_fma_f32 v62, v91, v151, -v62
	v_add_f32_e32 v61, v61, v62
	v_mul_f32_e32 v62, v94, v154
	s_waitcnt vmcnt(18)
	v_mul_f32_e32 v106, v99, v160
	v_fma_f32 v62, v93, v153, -v62
	v_fmac_f32_e32 v106, v100, v159
	v_add_f32_e32 v61, v61, v62
	v_mul_f32_e32 v62, v96, v156
	v_add_f32_e32 v109, v105, v106
	ds_read2_b64 v[105:108], v0 offset0:53 offset1:54
	v_fma_f32 v62, v95, v155, -v62
	s_waitcnt vmcnt(16) lgkmcnt(1)
	v_mul_f32_e32 v110, v101, v162
	v_add_f32_e32 v61, v61, v62
	v_mul_f32_e32 v62, v98, v158
	v_fmac_f32_e32 v110, v102, v161
	v_fma_f32 v62, v97, v157, -v62
	v_add_f32_e32 v109, v109, v110
	s_waitcnt vmcnt(14)
	v_mul_f32_e32 v110, v103, v164
	v_add_f32_e32 v61, v61, v62
	v_mul_f32_e32 v62, v100, v160
	v_fmac_f32_e32 v110, v104, v163
	v_fma_f32 v62, v99, v159, -v62
	v_add_f32_e32 v109, v109, v110
	s_waitcnt vmcnt(12) lgkmcnt(0)
	v_mul_f32_e32 v110, v105, v166
	v_add_f32_e32 v61, v61, v62
	v_mul_f32_e32 v62, v102, v162
	v_fmac_f32_e32 v110, v106, v165
	v_fma_f32 v62, v101, v161, -v62
	v_add_f32_e32 v113, v109, v110
	ds_read2_b64 v[109:112], v0 offset0:55 offset1:56
	v_add_f32_e32 v61, v61, v62
	v_mul_f32_e32 v62, v104, v164
	v_fma_f32 v62, v103, v163, -v62
	v_add_f32_e32 v61, v61, v62
	v_mul_f32_e32 v62, v106, v166
	s_waitcnt vmcnt(10)
	v_mul_f32_e32 v114, v107, v168
	v_fma_f32 v62, v105, v165, -v62
	v_fmac_f32_e32 v114, v108, v167
	v_add_f32_e32 v61, v61, v62
	v_mul_f32_e32 v62, v108, v168
	v_add_f32_e32 v117, v113, v114
	ds_read2_b64 v[113:116], v0 offset0:57 offset1:58
	s_waitcnt vmcnt(8) lgkmcnt(1)
	v_mul_f32_e32 v118, v109, v170
	v_fma_f32 v62, v107, v167, -v62
	v_fmac_f32_e32 v118, v110, v169
	v_add_f32_e32 v61, v61, v62
	v_mul_f32_e32 v62, v110, v170
	v_add_f32_e32 v117, v117, v118
	s_waitcnt vmcnt(6)
	v_mul_f32_e32 v118, v111, v172
	v_fma_f32 v62, v109, v169, -v62
	v_fmac_f32_e32 v118, v112, v171
	v_add_f32_e32 v61, v61, v62
	v_mul_f32_e32 v62, v112, v172
	v_add_f32_e32 v179, v117, v118
	ds_read_b64 v[117:118], v0 offset:472
	v_fma_f32 v62, v111, v171, -v62
	v_add_f32_e32 v61, v61, v62
	s_waitcnt vmcnt(4) lgkmcnt(1)
	v_mul_f32_e32 v62, v114, v174
	v_mul_f32_e32 v180, v113, v174
	v_fma_f32 v62, v113, v173, -v62
	v_fmac_f32_e32 v180, v114, v173
	v_add_f32_e32 v61, v61, v62
	s_waitcnt vmcnt(2)
	v_mul_f32_e32 v62, v116, v176
	v_add_f32_e32 v179, v179, v180
	v_mul_f32_e32 v180, v115, v176
	v_fma_f32 v62, v115, v175, -v62
	v_fmac_f32_e32 v180, v116, v175
	v_add_f32_e32 v61, v61, v62
	s_waitcnt vmcnt(0) lgkmcnt(0)
	v_mul_f32_e32 v62, v118, v178
	v_add_f32_e32 v179, v179, v180
	v_mul_f32_e32 v180, v117, v178
	v_fma_f32 v62, v117, v177, -v62
	v_fmac_f32_e32 v180, v118, v177
	v_add_f32_e32 v61, v61, v62
	v_add_f32_e32 v179, v179, v180
	v_sub_f32_e32 v61, v145, v61
	v_sub_f32_e32 v62, v146, v179
	buffer_store_dword v61, off, s[0:3], 0
	buffer_store_dword v62, off, s[0:3], 0 offset:4
	s_cbranch_vccz .LBB93_252
; %bb.194:
	global_load_dword v0, v0, s[12:13] offset:112
	s_waitcnt vmcnt(0)
	v_add_u32_e32 v0, -1, v0
	v_cmp_ne_u32_e32 vcc, 28, v0
	s_cbranch_vccz .LBB93_196
; %bb.195:
	v_lshlrev_b32_e32 v0, 3, v0
	buffer_load_dword v61, v0, s[0:3], 0 offen
	buffer_load_dword v62, v0, s[0:3], 0 offen offset:4
	buffer_load_dword v63, off, s[0:3], 0 offset:228
	buffer_load_dword v64, off, s[0:3], 0 offset:224
	s_waitcnt vmcnt(3)
	buffer_store_dword v61, off, s[0:3], 0 offset:224
	s_waitcnt vmcnt(3)
	buffer_store_dword v62, off, s[0:3], 0 offset:228
	s_waitcnt vmcnt(3)
	buffer_store_dword v63, v0, s[0:3], 0 offen offset:4
	s_waitcnt vmcnt(3)
	buffer_store_dword v64, v0, s[0:3], 0 offen
.LBB93_196:
	v_mov_b32_e32 v0, 0
	global_load_dword v61, v0, s[12:13] offset:108
	s_waitcnt vmcnt(0)
	v_add_u32_e32 v61, -1, v61
	v_cmp_eq_u32_e32 vcc, 27, v61
	s_cbranch_vccnz .LBB93_198
; %bb.197:
	v_lshlrev_b32_e32 v61, 3, v61
	buffer_load_dword v62, v61, s[0:3], 0 offen
	buffer_load_dword v63, v61, s[0:3], 0 offen offset:4
	buffer_load_dword v64, off, s[0:3], 0 offset:216
	buffer_load_dword v65, off, s[0:3], 0 offset:220
	s_waitcnt vmcnt(3)
	buffer_store_dword v62, off, s[0:3], 0 offset:216
	s_waitcnt vmcnt(3)
	buffer_store_dword v63, off, s[0:3], 0 offset:220
	s_waitcnt vmcnt(3)
	buffer_store_dword v64, v61, s[0:3], 0 offen
	s_waitcnt vmcnt(3)
	buffer_store_dword v65, v61, s[0:3], 0 offen offset:4
.LBB93_198:
	global_load_dword v0, v0, s[12:13] offset:104
	s_waitcnt vmcnt(0)
	v_add_u32_e32 v0, -1, v0
	v_cmp_eq_u32_e32 vcc, 26, v0
	s_cbranch_vccnz .LBB93_200
; %bb.199:
	v_lshlrev_b32_e32 v0, 3, v0
	buffer_load_dword v61, v0, s[0:3], 0 offen
	buffer_load_dword v62, v0, s[0:3], 0 offen offset:4
	buffer_load_dword v63, off, s[0:3], 0 offset:212
	buffer_load_dword v64, off, s[0:3], 0 offset:208
	s_waitcnt vmcnt(3)
	buffer_store_dword v61, off, s[0:3], 0 offset:208
	s_waitcnt vmcnt(3)
	buffer_store_dword v62, off, s[0:3], 0 offset:212
	s_waitcnt vmcnt(3)
	buffer_store_dword v63, v0, s[0:3], 0 offen offset:4
	s_waitcnt vmcnt(3)
	buffer_store_dword v64, v0, s[0:3], 0 offen
.LBB93_200:
	v_mov_b32_e32 v0, 0
	global_load_dword v61, v0, s[12:13] offset:100
	s_waitcnt vmcnt(0)
	v_add_u32_e32 v61, -1, v61
	v_cmp_eq_u32_e32 vcc, 25, v61
	s_cbranch_vccnz .LBB93_202
; %bb.201:
	v_lshlrev_b32_e32 v61, 3, v61
	buffer_load_dword v62, v61, s[0:3], 0 offen
	buffer_load_dword v63, v61, s[0:3], 0 offen offset:4
	buffer_load_dword v64, off, s[0:3], 0 offset:200
	buffer_load_dword v65, off, s[0:3], 0 offset:204
	s_waitcnt vmcnt(3)
	buffer_store_dword v62, off, s[0:3], 0 offset:200
	s_waitcnt vmcnt(3)
	buffer_store_dword v63, off, s[0:3], 0 offset:204
	s_waitcnt vmcnt(3)
	buffer_store_dword v64, v61, s[0:3], 0 offen
	s_waitcnt vmcnt(3)
	buffer_store_dword v65, v61, s[0:3], 0 offen offset:4
.LBB93_202:
	global_load_dword v0, v0, s[12:13] offset:96
	s_waitcnt vmcnt(0)
	v_add_u32_e32 v0, -1, v0
	v_cmp_eq_u32_e32 vcc, 24, v0
	s_cbranch_vccnz .LBB93_204
; %bb.203:
	v_lshlrev_b32_e32 v0, 3, v0
	buffer_load_dword v61, v0, s[0:3], 0 offen
	buffer_load_dword v62, v0, s[0:3], 0 offen offset:4
	buffer_load_dword v63, off, s[0:3], 0 offset:196
	buffer_load_dword v64, off, s[0:3], 0 offset:192
	s_waitcnt vmcnt(3)
	buffer_store_dword v61, off, s[0:3], 0 offset:192
	s_waitcnt vmcnt(3)
	buffer_store_dword v62, off, s[0:3], 0 offset:196
	s_waitcnt vmcnt(3)
	buffer_store_dword v63, v0, s[0:3], 0 offen offset:4
	s_waitcnt vmcnt(3)
	buffer_store_dword v64, v0, s[0:3], 0 offen
.LBB93_204:
	;; [unrolled: 41-line block ×13, first 2 shown]
	v_mov_b32_e32 v0, 0
	global_load_dword v61, v0, s[12:13] offset:4
	s_waitcnt vmcnt(0)
	v_add_u32_e32 v61, -1, v61
	v_cmp_eq_u32_e32 vcc, 1, v61
	s_cbranch_vccnz .LBB93_250
; %bb.249:
	v_lshlrev_b32_e32 v61, 3, v61
	buffer_load_dword v62, v61, s[0:3], 0 offen
	buffer_load_dword v63, v61, s[0:3], 0 offen offset:4
	buffer_load_dword v64, off, s[0:3], 0 offset:8
	buffer_load_dword v65, off, s[0:3], 0 offset:12
	s_waitcnt vmcnt(3)
	buffer_store_dword v62, off, s[0:3], 0 offset:8
	s_waitcnt vmcnt(3)
	buffer_store_dword v63, off, s[0:3], 0 offset:12
	s_waitcnt vmcnt(3)
	buffer_store_dword v64, v61, s[0:3], 0 offen
	s_waitcnt vmcnt(3)
	buffer_store_dword v65, v61, s[0:3], 0 offen offset:4
.LBB93_250:
	global_load_dword v0, v0, s[12:13]
	s_waitcnt vmcnt(0)
	v_add_u32_e32 v0, -1, v0
	v_cmp_eq_u32_e32 vcc, 0, v0
	s_cbranch_vccnz .LBB93_252
; %bb.251:
	v_lshlrev_b32_e32 v0, 3, v0
	buffer_load_dword v61, v0, s[0:3], 0 offen
	buffer_load_dword v62, v0, s[0:3], 0 offen offset:4
	buffer_load_dword v63, off, s[0:3], 0 offset:4
	buffer_load_dword v64, off, s[0:3], 0
	s_waitcnt vmcnt(3)
	buffer_store_dword v61, off, s[0:3], 0
	s_waitcnt vmcnt(3)
	buffer_store_dword v62, off, s[0:3], 0 offset:4
	s_waitcnt vmcnt(3)
	buffer_store_dword v63, v0, s[0:3], 0 offen offset:4
	s_waitcnt vmcnt(3)
	buffer_store_dword v64, v0, s[0:3], 0 offen
.LBB93_252:
	buffer_load_dword v61, off, s[0:3], 0
	buffer_load_dword v62, off, s[0:3], 0 offset:4
	s_waitcnt vmcnt(0)
	flat_store_dwordx2 v[1:2], v[61:62]
	buffer_load_dword v0, off, s[0:3], 0 offset:8
	s_nop 0
	buffer_load_dword v1, off, s[0:3], 0 offset:12
	s_waitcnt vmcnt(0)
	flat_store_dwordx2 v[3:4], v[0:1]
	buffer_load_dword v0, off, s[0:3], 0 offset:16
	s_nop 0
	;; [unrolled: 5-line block ×29, first 2 shown]
	buffer_load_dword v1, off, s[0:3], 0 offset:236
	s_waitcnt vmcnt(0)
	flat_store_dwordx2 v[59:60], v[0:1]
	s_endpgm
	.section	.rodata,"a",@progbits
	.p2align	6, 0x0
	.amdhsa_kernel _ZN9rocsolver6v33100L18getri_kernel_smallILi30E19rocblas_complex_numIfEPKPS3_EEvT1_iilPiilS8_bb
		.amdhsa_group_segment_fixed_size 484
		.amdhsa_private_segment_fixed_size 256
		.amdhsa_kernarg_size 60
		.amdhsa_user_sgpr_count 6
		.amdhsa_user_sgpr_private_segment_buffer 1
		.amdhsa_user_sgpr_dispatch_ptr 0
		.amdhsa_user_sgpr_queue_ptr 0
		.amdhsa_user_sgpr_kernarg_segment_ptr 1
		.amdhsa_user_sgpr_dispatch_id 0
		.amdhsa_user_sgpr_flat_scratch_init 0
		.amdhsa_user_sgpr_private_segment_size 0
		.amdhsa_uses_dynamic_stack 0
		.amdhsa_system_sgpr_private_segment_wavefront_offset 1
		.amdhsa_system_sgpr_workgroup_id_x 1
		.amdhsa_system_sgpr_workgroup_id_y 0
		.amdhsa_system_sgpr_workgroup_id_z 0
		.amdhsa_system_sgpr_workgroup_info 0
		.amdhsa_system_vgpr_workitem_id 0
		.amdhsa_next_free_vgpr 181
		.amdhsa_next_free_sgpr 21
		.amdhsa_reserve_vcc 1
		.amdhsa_reserve_flat_scratch 0
		.amdhsa_float_round_mode_32 0
		.amdhsa_float_round_mode_16_64 0
		.amdhsa_float_denorm_mode_32 3
		.amdhsa_float_denorm_mode_16_64 3
		.amdhsa_dx10_clamp 1
		.amdhsa_ieee_mode 1
		.amdhsa_fp16_overflow 0
		.amdhsa_exception_fp_ieee_invalid_op 0
		.amdhsa_exception_fp_denorm_src 0
		.amdhsa_exception_fp_ieee_div_zero 0
		.amdhsa_exception_fp_ieee_overflow 0
		.amdhsa_exception_fp_ieee_underflow 0
		.amdhsa_exception_fp_ieee_inexact 0
		.amdhsa_exception_int_div_zero 0
	.end_amdhsa_kernel
	.section	.text._ZN9rocsolver6v33100L18getri_kernel_smallILi30E19rocblas_complex_numIfEPKPS3_EEvT1_iilPiilS8_bb,"axG",@progbits,_ZN9rocsolver6v33100L18getri_kernel_smallILi30E19rocblas_complex_numIfEPKPS3_EEvT1_iilPiilS8_bb,comdat
.Lfunc_end93:
	.size	_ZN9rocsolver6v33100L18getri_kernel_smallILi30E19rocblas_complex_numIfEPKPS3_EEvT1_iilPiilS8_bb, .Lfunc_end93-_ZN9rocsolver6v33100L18getri_kernel_smallILi30E19rocblas_complex_numIfEPKPS3_EEvT1_iilPiilS8_bb
                                        ; -- End function
	.set _ZN9rocsolver6v33100L18getri_kernel_smallILi30E19rocblas_complex_numIfEPKPS3_EEvT1_iilPiilS8_bb.num_vgpr, 181
	.set _ZN9rocsolver6v33100L18getri_kernel_smallILi30E19rocblas_complex_numIfEPKPS3_EEvT1_iilPiilS8_bb.num_agpr, 0
	.set _ZN9rocsolver6v33100L18getri_kernel_smallILi30E19rocblas_complex_numIfEPKPS3_EEvT1_iilPiilS8_bb.numbered_sgpr, 21
	.set _ZN9rocsolver6v33100L18getri_kernel_smallILi30E19rocblas_complex_numIfEPKPS3_EEvT1_iilPiilS8_bb.num_named_barrier, 0
	.set _ZN9rocsolver6v33100L18getri_kernel_smallILi30E19rocblas_complex_numIfEPKPS3_EEvT1_iilPiilS8_bb.private_seg_size, 256
	.set _ZN9rocsolver6v33100L18getri_kernel_smallILi30E19rocblas_complex_numIfEPKPS3_EEvT1_iilPiilS8_bb.uses_vcc, 1
	.set _ZN9rocsolver6v33100L18getri_kernel_smallILi30E19rocblas_complex_numIfEPKPS3_EEvT1_iilPiilS8_bb.uses_flat_scratch, 0
	.set _ZN9rocsolver6v33100L18getri_kernel_smallILi30E19rocblas_complex_numIfEPKPS3_EEvT1_iilPiilS8_bb.has_dyn_sized_stack, 0
	.set _ZN9rocsolver6v33100L18getri_kernel_smallILi30E19rocblas_complex_numIfEPKPS3_EEvT1_iilPiilS8_bb.has_recursion, 0
	.set _ZN9rocsolver6v33100L18getri_kernel_smallILi30E19rocblas_complex_numIfEPKPS3_EEvT1_iilPiilS8_bb.has_indirect_call, 0
	.section	.AMDGPU.csdata,"",@progbits
; Kernel info:
; codeLenInByte = 40324
; TotalNumSgprs: 25
; NumVgprs: 181
; ScratchSize: 256
; MemoryBound: 0
; FloatMode: 240
; IeeeMode: 1
; LDSByteSize: 484 bytes/workgroup (compile time only)
; SGPRBlocks: 3
; VGPRBlocks: 45
; NumSGPRsForWavesPerEU: 25
; NumVGPRsForWavesPerEU: 181
; Occupancy: 1
; WaveLimiterHint : 1
; COMPUTE_PGM_RSRC2:SCRATCH_EN: 1
; COMPUTE_PGM_RSRC2:USER_SGPR: 6
; COMPUTE_PGM_RSRC2:TRAP_HANDLER: 0
; COMPUTE_PGM_RSRC2:TGID_X_EN: 1
; COMPUTE_PGM_RSRC2:TGID_Y_EN: 0
; COMPUTE_PGM_RSRC2:TGID_Z_EN: 0
; COMPUTE_PGM_RSRC2:TIDIG_COMP_CNT: 0
	.section	.text._ZN9rocsolver6v33100L18getri_kernel_smallILi31E19rocblas_complex_numIfEPKPS3_EEvT1_iilPiilS8_bb,"axG",@progbits,_ZN9rocsolver6v33100L18getri_kernel_smallILi31E19rocblas_complex_numIfEPKPS3_EEvT1_iilPiilS8_bb,comdat
	.globl	_ZN9rocsolver6v33100L18getri_kernel_smallILi31E19rocblas_complex_numIfEPKPS3_EEvT1_iilPiilS8_bb ; -- Begin function _ZN9rocsolver6v33100L18getri_kernel_smallILi31E19rocblas_complex_numIfEPKPS3_EEvT1_iilPiilS8_bb
	.p2align	8
	.type	_ZN9rocsolver6v33100L18getri_kernel_smallILi31E19rocblas_complex_numIfEPKPS3_EEvT1_iilPiilS8_bb,@function
_ZN9rocsolver6v33100L18getri_kernel_smallILi31E19rocblas_complex_numIfEPKPS3_EEvT1_iilPiilS8_bb: ; @_ZN9rocsolver6v33100L18getri_kernel_smallILi31E19rocblas_complex_numIfEPKPS3_EEvT1_iilPiilS8_bb
; %bb.0:
	s_add_u32 s0, s0, s7
	s_addc_u32 s1, s1, 0
	v_cmp_gt_u32_e32 vcc, 31, v0
	s_and_saveexec_b64 s[8:9], vcc
	s_cbranch_execz .LBB94_138
; %bb.1:
	s_load_dword s18, s[4:5], 0x38
	s_load_dwordx2 s[12:13], s[4:5], 0x0
	s_load_dwordx4 s[8:11], s[4:5], 0x28
	s_waitcnt lgkmcnt(0)
	s_bitcmp1_b32 s18, 8
	s_cselect_b64 s[14:15], -1, 0
	s_ashr_i32 s7, s6, 31
	s_lshl_b64 s[16:17], s[6:7], 3
	s_add_u32 s12, s12, s16
	s_addc_u32 s13, s13, s17
	s_load_dwordx2 s[16:17], s[12:13], 0x0
	s_bfe_u32 s12, s18, 0x10008
	s_cmp_eq_u32 s12, 0
                                        ; implicit-def: $sgpr12_sgpr13
	s_cbranch_scc1 .LBB94_3
; %bb.2:
	s_load_dword s12, s[4:5], 0x20
	s_load_dwordx2 s[18:19], s[4:5], 0x18
	s_mul_i32 s13, s8, s7
	s_mul_hi_u32 s20, s8, s6
	s_add_i32 s20, s20, s13
	s_mul_i32 s9, s9, s6
	s_add_i32 s9, s20, s9
	s_mul_i32 s8, s8, s6
	s_waitcnt lgkmcnt(0)
	s_ashr_i32 s13, s12, 31
	s_lshl_b64 s[8:9], s[8:9], 2
	s_add_u32 s18, s18, s8
	s_addc_u32 s19, s19, s9
	s_lshl_b64 s[8:9], s[12:13], 2
	s_add_u32 s12, s18, s8
	s_addc_u32 s13, s19, s9
.LBB94_3:
	s_load_dwordx2 s[8:9], s[4:5], 0x8
	s_load_dword s18, s[4:5], 0x38
	v_lshlrev_b32_e32 v65, 3, v0
	s_waitcnt lgkmcnt(0)
	s_ashr_i32 s5, s8, 31
	s_mov_b32 s4, s8
	s_lshl_b64 s[4:5], s[4:5], 3
	s_add_u32 s4, s16, s4
	s_addc_u32 s5, s17, s5
	v_mov_b32_e32 v2, s5
	v_add_co_u32_e32 v1, vcc, s4, v65
	v_addc_co_u32_e32 v2, vcc, 0, v2, vcc
	flat_load_dwordx2 v[5:6], v[1:2]
	s_mov_b32 s16, s9
	s_ashr_i32 s17, s9, 31
	s_lshl_b64 s[16:17], s[16:17], 3
	v_mov_b32_e32 v4, s17
	v_add_co_u32_e32 v3, vcc, s16, v1
	v_addc_co_u32_e32 v4, vcc, v2, v4, vcc
	s_add_i32 s8, s9, s9
	v_add_u32_e32 v9, s8, v0
	v_ashrrev_i32_e32 v10, 31, v9
	v_mov_b32_e32 v11, s5
	v_add_u32_e32 v12, s9, v9
	v_ashrrev_i32_e32 v13, 31, v12
	v_mov_b32_e32 v14, s5
	v_mov_b32_e32 v15, s5
	;; [unrolled: 1-line block ×27, first 2 shown]
	s_bitcmp0_b32 s18, 0
	s_waitcnt vmcnt(0) lgkmcnt(0)
	buffer_store_dword v6, off, s[0:3], 0 offset:4
	buffer_store_dword v5, off, s[0:3], 0
	flat_load_dwordx2 v[7:8], v[3:4]
	v_lshlrev_b64 v[5:6], 3, v[9:10]
	s_waitcnt vmcnt(0) lgkmcnt(0)
	buffer_store_dword v8, off, s[0:3], 0 offset:12
	buffer_store_dword v7, off, s[0:3], 0 offset:8
	v_add_co_u32_e32 v5, vcc, s4, v5
	v_addc_co_u32_e32 v6, vcc, v11, v6, vcc
	flat_load_dwordx2 v[10:11], v[5:6]
	v_lshlrev_b64 v[7:8], 3, v[12:13]
	s_waitcnt vmcnt(0) lgkmcnt(0)
	buffer_store_dword v11, off, s[0:3], 0 offset:20
	buffer_store_dword v10, off, s[0:3], 0 offset:16
	v_add_co_u32_e32 v7, vcc, s4, v7
	v_addc_co_u32_e32 v8, vcc, v14, v8, vcc
	flat_load_dwordx2 v[13:14], v[7:8]
	v_add_u32_e32 v11, s9, v12
	v_ashrrev_i32_e32 v12, 31, v11
	v_lshlrev_b64 v[9:10], 3, v[11:12]
	s_waitcnt vmcnt(0) lgkmcnt(0)
	buffer_store_dword v14, off, s[0:3], 0 offset:28
	buffer_store_dword v13, off, s[0:3], 0 offset:24
	v_add_co_u32_e32 v9, vcc, s4, v9
	v_addc_co_u32_e32 v10, vcc, v15, v10, vcc
	flat_load_dwordx2 v[13:14], v[9:10]
	v_add_u32_e32 v15, s9, v11
	v_ashrrev_i32_e32 v16, 31, v15
	v_lshlrev_b64 v[11:12], 3, v[15:16]
	v_add_u32_e32 v18, s9, v15
	v_add_co_u32_e32 v11, vcc, s4, v11
	v_addc_co_u32_e32 v12, vcc, v17, v12, vcc
	v_ashrrev_i32_e32 v19, 31, v18
	s_waitcnt vmcnt(0) lgkmcnt(0)
	buffer_store_dword v14, off, s[0:3], 0 offset:36
	buffer_store_dword v13, off, s[0:3], 0 offset:32
	flat_load_dwordx2 v[16:17], v[11:12]
	v_lshlrev_b64 v[13:14], 3, v[18:19]
	s_waitcnt vmcnt(0) lgkmcnt(0)
	buffer_store_dword v17, off, s[0:3], 0 offset:44
	buffer_store_dword v16, off, s[0:3], 0 offset:40
	v_add_co_u32_e32 v13, vcc, s4, v13
	v_addc_co_u32_e32 v14, vcc, v20, v14, vcc
	flat_load_dwordx2 v[19:20], v[13:14]
	v_add_u32_e32 v17, s9, v18
	v_ashrrev_i32_e32 v18, 31, v17
	v_lshlrev_b64 v[15:16], 3, v[17:18]
	s_waitcnt vmcnt(0) lgkmcnt(0)
	buffer_store_dword v20, off, s[0:3], 0 offset:52
	buffer_store_dword v19, off, s[0:3], 0 offset:48
	v_add_co_u32_e32 v15, vcc, s4, v15
	v_addc_co_u32_e32 v16, vcc, v21, v16, vcc
	flat_load_dwordx2 v[19:20], v[15:16]
	v_add_u32_e32 v21, s9, v17
	v_ashrrev_i32_e32 v22, 31, v21
	v_lshlrev_b64 v[17:18], 3, v[21:22]
	v_add_u32_e32 v24, s9, v21
	v_add_co_u32_e32 v17, vcc, s4, v17
	v_addc_co_u32_e32 v18, vcc, v23, v18, vcc
	v_ashrrev_i32_e32 v25, 31, v24
	s_waitcnt vmcnt(0) lgkmcnt(0)
	buffer_store_dword v20, off, s[0:3], 0 offset:60
	buffer_store_dword v19, off, s[0:3], 0 offset:56
	;; [unrolled: 27-line block ×7, first 2 shown]
	flat_load_dwordx2 v[52:53], v[47:48]
	v_lshlrev_b64 v[49:50], 3, v[54:55]
	s_waitcnt vmcnt(0) lgkmcnt(0)
	buffer_store_dword v53, off, s[0:3], 0 offset:188
	buffer_store_dword v52, off, s[0:3], 0 offset:184
	v_add_co_u32_e32 v49, vcc, s4, v49
	v_addc_co_u32_e32 v50, vcc, v56, v50, vcc
	flat_load_dwordx2 v[55:56], v[49:50]
	v_add_u32_e32 v53, s9, v54
	v_ashrrev_i32_e32 v54, 31, v53
	v_lshlrev_b64 v[51:52], 3, v[53:54]
	s_waitcnt vmcnt(0) lgkmcnt(0)
	buffer_store_dword v56, off, s[0:3], 0 offset:196
	buffer_store_dword v55, off, s[0:3], 0 offset:192
	v_add_co_u32_e32 v51, vcc, s4, v51
	v_addc_co_u32_e32 v52, vcc, v57, v52, vcc
	flat_load_dwordx2 v[55:56], v[51:52]
	v_add_u32_e32 v57, s9, v53
	v_ashrrev_i32_e32 v58, 31, v57
	v_lshlrev_b64 v[53:54], 3, v[57:58]
	v_add_u32_e32 v60, s9, v57
	v_add_co_u32_e32 v53, vcc, s4, v53
	v_addc_co_u32_e32 v54, vcc, v59, v54, vcc
	s_waitcnt vmcnt(0) lgkmcnt(0)
	buffer_store_dword v56, off, s[0:3], 0 offset:204
	buffer_store_dword v55, off, s[0:3], 0 offset:200
	flat_load_dwordx2 v[58:59], v[53:54]
	v_ashrrev_i32_e32 v61, 31, v60
	v_lshlrev_b64 v[55:56], 3, v[60:61]
	s_waitcnt vmcnt(0) lgkmcnt(0)
	buffer_store_dword v59, off, s[0:3], 0 offset:212
	buffer_store_dword v58, off, s[0:3], 0 offset:208
	v_add_co_u32_e32 v55, vcc, s4, v55
	v_addc_co_u32_e32 v56, vcc, v62, v56, vcc
	flat_load_dwordx2 v[61:62], v[55:56]
	v_add_u32_e32 v59, s9, v60
	v_ashrrev_i32_e32 v60, 31, v59
	v_lshlrev_b64 v[57:58], 3, v[59:60]
	s_waitcnt vmcnt(0) lgkmcnt(0)
	buffer_store_dword v62, off, s[0:3], 0 offset:220
	buffer_store_dword v61, off, s[0:3], 0 offset:216
	v_add_co_u32_e32 v57, vcc, s4, v57
	v_addc_co_u32_e32 v58, vcc, v63, v58, vcc
	flat_load_dwordx2 v[61:62], v[57:58]
	v_add_u32_e32 v63, s9, v59
	;; [unrolled: 9-line block ×3, first 2 shown]
	v_ashrrev_i32_e32 v62, 31, v61
	v_lshlrev_b64 v[61:62], 3, v[61:62]
	v_mov_b32_e32 v64, s5
	v_add_co_u32_e32 v61, vcc, s4, v61
	v_addc_co_u32_e32 v62, vcc, v64, v62, vcc
	s_waitcnt vmcnt(0) lgkmcnt(0)
	buffer_store_dword v67, off, s[0:3], 0 offset:236
	buffer_store_dword v66, off, s[0:3], 0 offset:232
	flat_load_dwordx2 v[63:64], v[61:62]
	s_mov_b64 s[8:9], -1
	s_waitcnt vmcnt(0) lgkmcnt(0)
	buffer_store_dword v64, off, s[0:3], 0 offset:244
	buffer_store_dword v63, off, s[0:3], 0 offset:240
	s_cbranch_scc1 .LBB94_136
; %bb.4:
	v_cmp_eq_u32_e64 s[4:5], 0, v0
	s_and_saveexec_b64 s[8:9], s[4:5]
; %bb.5:
	v_mov_b32_e32 v63, 0
	ds_write_b32 v63, v63 offset:248
; %bb.6:
	s_or_b64 exec, exec, s[8:9]
	v_mov_b32_e32 v63, 0
	v_lshl_add_u32 v67, v0, 3, v63
	s_waitcnt lgkmcnt(0)
	; wave barrier
	buffer_load_dword v63, v67, s[0:3], 0 offen
	buffer_load_dword v64, v67, s[0:3], 0 offen offset:4
	s_waitcnt vmcnt(1)
	v_cmp_eq_f32_e32 vcc, 0, v63
	s_waitcnt vmcnt(0)
	v_cmp_eq_f32_e64 s[8:9], 0, v64
	s_and_b64 s[8:9], vcc, s[8:9]
	s_and_saveexec_b64 s[16:17], s[8:9]
	s_cbranch_execz .LBB94_10
; %bb.7:
	v_mov_b32_e32 v63, 0
	ds_read_b32 v66, v63 offset:248
	v_add_u32_e32 v64, 1, v0
	s_waitcnt lgkmcnt(0)
	v_readfirstlane_b32 s8, v66
	s_cmp_eq_u32 s8, 0
	s_cselect_b64 s[18:19], -1, 0
	v_cmp_gt_i32_e32 vcc, s8, v64
	s_or_b64 s[18:19], s[18:19], vcc
	s_and_b64 exec, exec, s[18:19]
	s_cbranch_execz .LBB94_10
; %bb.8:
	s_mov_b64 s[18:19], 0
	v_mov_b32_e32 v66, s8
.LBB94_9:                               ; =>This Inner Loop Header: Depth=1
	ds_cmpst_rtn_b32 v66, v63, v66, v64 offset:248
	s_waitcnt lgkmcnt(0)
	v_cmp_ne_u32_e32 vcc, 0, v66
	v_cmp_le_i32_e64 s[8:9], v66, v64
	s_and_b64 s[8:9], vcc, s[8:9]
	s_and_b64 s[8:9], exec, s[8:9]
	s_or_b64 s[18:19], s[8:9], s[18:19]
	s_andn2_b64 exec, exec, s[18:19]
	s_cbranch_execnz .LBB94_9
.LBB94_10:
	s_or_b64 exec, exec, s[16:17]
	v_mov_b32_e32 v64, 0
	; wave barrier
	ds_read_b32 v63, v64 offset:248
	s_and_saveexec_b64 s[8:9], s[4:5]
	s_cbranch_execz .LBB94_12
; %bb.11:
	s_lshl_b64 s[16:17], s[6:7], 2
	s_add_u32 s16, s10, s16
	s_addc_u32 s17, s11, s17
	s_waitcnt lgkmcnt(0)
	global_store_dword v64, v63, s[16:17]
.LBB94_12:
	s_or_b64 exec, exec, s[8:9]
	s_waitcnt lgkmcnt(0)
	v_cmp_ne_u32_e32 vcc, 0, v63
	s_mov_b64 s[8:9], 0
	s_cbranch_vccnz .LBB94_136
; %bb.13:
	buffer_load_dword v64, v67, s[0:3], 0 offen
	buffer_load_dword v66, v67, s[0:3], 0 offen offset:4
                                        ; implicit-def: $vgpr69
                                        ; implicit-def: $vgpr68
                                        ; implicit-def: $vgpr63
	s_waitcnt vmcnt(0)
	v_cmp_ngt_f32_e64 s[8:9], |v64|, |v66|
	s_and_saveexec_b64 s[16:17], s[8:9]
	s_xor_b64 s[8:9], exec, s[16:17]
	s_cbranch_execz .LBB94_15
; %bb.14:
	v_div_scale_f32 v63, s[16:17], v66, v66, v64
	v_div_scale_f32 v68, vcc, v64, v66, v64
	v_rcp_f32_e32 v69, v63
	v_fma_f32 v70, -v63, v69, 1.0
	v_fmac_f32_e32 v69, v70, v69
	v_mul_f32_e32 v70, v68, v69
	v_fma_f32 v71, -v63, v70, v68
	v_fmac_f32_e32 v70, v71, v69
	v_fma_f32 v63, -v63, v70, v68
	v_div_fmas_f32 v63, v63, v69, v70
	v_div_fixup_f32 v63, v63, v66, v64
	v_fmac_f32_e32 v66, v64, v63
	v_div_scale_f32 v64, s[16:17], v66, v66, 1.0
	v_div_scale_f32 v68, vcc, 1.0, v66, 1.0
	v_rcp_f32_e32 v69, v64
	v_fma_f32 v70, -v64, v69, 1.0
	v_fmac_f32_e32 v69, v70, v69
	v_mul_f32_e32 v70, v68, v69
	v_fma_f32 v71, -v64, v70, v68
	v_fmac_f32_e32 v70, v71, v69
	v_fma_f32 v64, -v64, v70, v68
	v_div_fmas_f32 v64, v64, v69, v70
	v_div_fixup_f32 v64, v64, v66, 1.0
	v_mul_f32_e32 v69, v63, v64
	v_xor_b32_e32 v68, 0x80000000, v64
	v_xor_b32_e32 v63, 0x80000000, v69
                                        ; implicit-def: $vgpr64
                                        ; implicit-def: $vgpr66
.LBB94_15:
	s_andn2_saveexec_b64 s[8:9], s[8:9]
	s_cbranch_execz .LBB94_17
; %bb.16:
	v_div_scale_f32 v63, s[16:17], v64, v64, v66
	v_div_scale_f32 v68, vcc, v66, v64, v66
	v_rcp_f32_e32 v69, v63
	v_fma_f32 v70, -v63, v69, 1.0
	v_fmac_f32_e32 v69, v70, v69
	v_mul_f32_e32 v70, v68, v69
	v_fma_f32 v71, -v63, v70, v68
	v_fmac_f32_e32 v70, v71, v69
	v_fma_f32 v63, -v63, v70, v68
	v_div_fmas_f32 v63, v63, v69, v70
	v_div_fixup_f32 v68, v63, v64, v66
	v_fmac_f32_e32 v64, v66, v68
	v_div_scale_f32 v63, s[16:17], v64, v64, 1.0
	v_div_scale_f32 v66, vcc, 1.0, v64, 1.0
	v_rcp_f32_e32 v69, v63
	v_fma_f32 v70, -v63, v69, 1.0
	v_fmac_f32_e32 v69, v70, v69
	v_mul_f32_e32 v70, v66, v69
	v_fma_f32 v71, -v63, v70, v66
	v_fmac_f32_e32 v70, v71, v69
	v_fma_f32 v63, -v63, v70, v66
	v_div_fmas_f32 v63, v63, v69, v70
	v_div_fixup_f32 v69, v63, v64, 1.0
	v_xor_b32_e32 v63, 0x80000000, v69
	v_mul_f32_e64 v68, v68, -v69
.LBB94_17:
	s_or_b64 exec, exec, s[8:9]
	buffer_store_dword v69, v67, s[0:3], 0 offen
	buffer_store_dword v68, v67, s[0:3], 0 offen offset:4
	buffer_load_dword v70, off, s[0:3], 0 offset:12
	s_nop 0
	buffer_load_dword v69, off, s[0:3], 0 offset:8
	v_xor_b32_e32 v64, 0x80000000, v68
	v_add_u32_e32 v66, 0x100, v65
	s_waitcnt vmcnt(0)
	ds_write2_b64 v65, v[63:64], v[69:70] offset1:32
	s_waitcnt lgkmcnt(0)
	; wave barrier
	s_and_saveexec_b64 s[8:9], s[4:5]
	s_cbranch_execz .LBB94_19
; %bb.18:
	buffer_load_dword v70, v67, s[0:3], 0 offen offset:4
	buffer_load_dword v71, v67, s[0:3], 0 offen
	ds_read_b64 v[63:64], v66
	v_mov_b32_e32 v68, 0
	ds_read_b64 v[68:69], v68 offset:8
	s_waitcnt vmcnt(1) lgkmcnt(1)
	v_mul_f32_e32 v72, v64, v70
	v_mul_f32_e32 v70, v63, v70
	s_waitcnt vmcnt(0)
	v_fmac_f32_e32 v70, v64, v71
	v_fma_f32 v63, v63, v71, -v72
	v_add_f32_e32 v64, 0, v70
	v_add_f32_e32 v63, 0, v63
	s_waitcnt lgkmcnt(0)
	v_mul_f32_e32 v70, v64, v69
	v_mul_f32_e32 v69, v63, v69
	v_fma_f32 v63, v63, v68, -v70
	v_fmac_f32_e32 v69, v64, v68
	buffer_store_dword v63, off, s[0:3], 0 offset:8
	buffer_store_dword v69, off, s[0:3], 0 offset:12
.LBB94_19:
	s_or_b64 exec, exec, s[8:9]
	; wave barrier
	buffer_load_dword v63, off, s[0:3], 0 offset:16
	buffer_load_dword v64, off, s[0:3], 0 offset:20
	v_cmp_gt_u32_e32 vcc, 2, v0
	s_waitcnt vmcnt(0)
	ds_write_b64 v66, v[63:64]
	s_waitcnt lgkmcnt(0)
	; wave barrier
	s_and_saveexec_b64 s[8:9], vcc
	s_cbranch_execz .LBB94_23
; %bb.20:
	buffer_load_dword v68, v67, s[0:3], 0 offen offset:4
	buffer_load_dword v69, v67, s[0:3], 0 offen
	ds_read_b64 v[63:64], v66
	s_waitcnt vmcnt(1) lgkmcnt(0)
	v_mul_f32_e32 v67, v64, v68
	v_mul_f32_e32 v68, v63, v68
	s_waitcnt vmcnt(0)
	v_fma_f32 v63, v63, v69, -v67
	v_fmac_f32_e32 v68, v64, v69
	v_add_f32_e32 v64, 0, v63
	v_add_f32_e32 v63, 0, v68
	s_and_saveexec_b64 s[16:17], s[4:5]
	s_cbranch_execz .LBB94_22
; %bb.21:
	buffer_load_dword v69, off, s[0:3], 0 offset:12
	buffer_load_dword v70, off, s[0:3], 0 offset:8
	v_mov_b32_e32 v67, 0
	ds_read_b64 v[67:68], v67 offset:264
	s_waitcnt vmcnt(1) lgkmcnt(0)
	v_mul_f32_e32 v71, v67, v69
	v_mul_f32_e32 v69, v68, v69
	s_waitcnt vmcnt(0)
	v_fmac_f32_e32 v71, v68, v70
	v_fma_f32 v67, v67, v70, -v69
	v_add_f32_e32 v63, v63, v71
	v_add_f32_e32 v64, v64, v67
.LBB94_22:
	s_or_b64 exec, exec, s[16:17]
	v_mov_b32_e32 v67, 0
	ds_read_b64 v[67:68], v67 offset:16
	s_waitcnt lgkmcnt(0)
	v_mul_f32_e32 v69, v63, v68
	v_mul_f32_e32 v68, v64, v68
	v_fma_f32 v64, v64, v67, -v69
	v_fmac_f32_e32 v68, v63, v67
	buffer_store_dword v64, off, s[0:3], 0 offset:16
	buffer_store_dword v68, off, s[0:3], 0 offset:20
.LBB94_23:
	s_or_b64 exec, exec, s[8:9]
	; wave barrier
	buffer_load_dword v63, off, s[0:3], 0 offset:24
	buffer_load_dword v64, off, s[0:3], 0 offset:28
	v_cmp_gt_u32_e32 vcc, 3, v0
	s_waitcnt vmcnt(0)
	ds_write_b64 v66, v[63:64]
	v_add_u32_e32 v63, -1, v0
	s_waitcnt lgkmcnt(0)
	; wave barrier
	s_and_saveexec_b64 s[4:5], vcc
	s_cbranch_execz .LBB94_27
; %bb.24:
	v_add_u32_e32 v67, -1, v0
	v_add_u32_e32 v68, 0x100, v65
	v_mov_b32_e32 v69, v65
	v_mov_b32_e32 v64, 0
	s_mov_b64 s[8:9], 0
	v_mov_b32_e32 v70, 0
.LBB94_25:                              ; =>This Inner Loop Header: Depth=1
	buffer_load_dword v73, v69, s[0:3], 0 offen offset:4
	buffer_load_dword v74, v69, s[0:3], 0 offen
	ds_read_b64 v[71:72], v68
	v_add_u32_e32 v67, 1, v67
	v_cmp_lt_u32_e32 vcc, 1, v67
	v_add_u32_e32 v68, 8, v68
	v_add_u32_e32 v69, 8, v69
	s_or_b64 s[8:9], vcc, s[8:9]
	s_waitcnt vmcnt(1) lgkmcnt(0)
	v_mul_f32_e32 v75, v72, v73
	v_mul_f32_e32 v73, v71, v73
	s_waitcnt vmcnt(0)
	v_fma_f32 v71, v71, v74, -v75
	v_fmac_f32_e32 v73, v72, v74
	v_add_f32_e32 v70, v70, v71
	v_add_f32_e32 v64, v64, v73
	s_andn2_b64 exec, exec, s[8:9]
	s_cbranch_execnz .LBB94_25
; %bb.26:
	s_or_b64 exec, exec, s[8:9]
	v_mov_b32_e32 v67, 0
	ds_read_b64 v[67:68], v67 offset:24
	s_waitcnt lgkmcnt(0)
	v_mul_f32_e32 v69, v64, v68
	v_mul_f32_e32 v68, v70, v68
	v_fma_f32 v69, v70, v67, -v69
	v_fmac_f32_e32 v68, v64, v67
	buffer_store_dword v69, off, s[0:3], 0 offset:24
	buffer_store_dword v68, off, s[0:3], 0 offset:28
.LBB94_27:
	s_or_b64 exec, exec, s[4:5]
	; wave barrier
	buffer_load_dword v67, off, s[0:3], 0 offset:32
	buffer_load_dword v68, off, s[0:3], 0 offset:36
	v_cmp_gt_u32_e32 vcc, 4, v0
	s_waitcnt vmcnt(0)
	ds_write_b64 v66, v[67:68]
	s_waitcnt lgkmcnt(0)
	; wave barrier
	s_and_saveexec_b64 s[4:5], vcc
	s_cbranch_execz .LBB94_31
; %bb.28:
	v_add_u32_e32 v67, -1, v0
	v_add_u32_e32 v68, 0x100, v65
	v_mov_b32_e32 v69, v65
	v_mov_b32_e32 v64, 0
	s_mov_b64 s[8:9], 0
	v_mov_b32_e32 v70, 0
.LBB94_29:                              ; =>This Inner Loop Header: Depth=1
	buffer_load_dword v73, v69, s[0:3], 0 offen offset:4
	buffer_load_dword v74, v69, s[0:3], 0 offen
	ds_read_b64 v[71:72], v68
	v_add_u32_e32 v67, 1, v67
	v_cmp_lt_u32_e32 vcc, 2, v67
	v_add_u32_e32 v68, 8, v68
	v_add_u32_e32 v69, 8, v69
	s_or_b64 s[8:9], vcc, s[8:9]
	s_waitcnt vmcnt(1) lgkmcnt(0)
	v_mul_f32_e32 v75, v72, v73
	v_mul_f32_e32 v73, v71, v73
	s_waitcnt vmcnt(0)
	v_fma_f32 v71, v71, v74, -v75
	v_fmac_f32_e32 v73, v72, v74
	v_add_f32_e32 v70, v70, v71
	v_add_f32_e32 v64, v64, v73
	s_andn2_b64 exec, exec, s[8:9]
	s_cbranch_execnz .LBB94_29
; %bb.30:
	s_or_b64 exec, exec, s[8:9]
	v_mov_b32_e32 v67, 0
	ds_read_b64 v[67:68], v67 offset:32
	s_waitcnt lgkmcnt(0)
	v_mul_f32_e32 v69, v64, v68
	v_mul_f32_e32 v68, v70, v68
	v_fma_f32 v69, v70, v67, -v69
	v_fmac_f32_e32 v68, v64, v67
	buffer_store_dword v69, off, s[0:3], 0 offset:32
	buffer_store_dword v68, off, s[0:3], 0 offset:36
.LBB94_31:
	s_or_b64 exec, exec, s[4:5]
	; wave barrier
	buffer_load_dword v67, off, s[0:3], 0 offset:40
	buffer_load_dword v68, off, s[0:3], 0 offset:44
	v_cmp_gt_u32_e32 vcc, 5, v0
	s_waitcnt vmcnt(0)
	ds_write_b64 v66, v[67:68]
	;; [unrolled: 49-line block ×19, first 2 shown]
	s_waitcnt lgkmcnt(0)
	; wave barrier
	s_and_saveexec_b64 s[4:5], vcc
	s_cbranch_execz .LBB94_103
; %bb.100:
	v_add_u32_e32 v67, -1, v0
	v_add_u32_e32 v68, 0x100, v65
	v_mov_b32_e32 v69, v65
	v_mov_b32_e32 v64, 0
	s_mov_b64 s[8:9], 0
	v_mov_b32_e32 v70, 0
.LBB94_101:                             ; =>This Inner Loop Header: Depth=1
	buffer_load_dword v73, v69, s[0:3], 0 offen offset:4
	buffer_load_dword v74, v69, s[0:3], 0 offen
	ds_read_b64 v[71:72], v68
	v_add_u32_e32 v67, 1, v67
	v_cmp_lt_u32_e32 vcc, 20, v67
	v_add_u32_e32 v68, 8, v68
	v_add_u32_e32 v69, 8, v69
	s_or_b64 s[8:9], vcc, s[8:9]
	s_waitcnt vmcnt(1) lgkmcnt(0)
	v_mul_f32_e32 v75, v72, v73
	v_mul_f32_e32 v73, v71, v73
	s_waitcnt vmcnt(0)
	v_fma_f32 v71, v71, v74, -v75
	v_fmac_f32_e32 v73, v72, v74
	v_add_f32_e32 v70, v70, v71
	v_add_f32_e32 v64, v64, v73
	s_andn2_b64 exec, exec, s[8:9]
	s_cbranch_execnz .LBB94_101
; %bb.102:
	s_or_b64 exec, exec, s[8:9]
	v_mov_b32_e32 v67, 0
	ds_read_b64 v[67:68], v67 offset:176
	s_waitcnt lgkmcnt(0)
	v_mul_f32_e32 v69, v64, v68
	v_mul_f32_e32 v68, v70, v68
	v_fma_f32 v69, v70, v67, -v69
	v_fmac_f32_e32 v68, v64, v67
	buffer_store_dword v69, off, s[0:3], 0 offset:176
	buffer_store_dword v68, off, s[0:3], 0 offset:180
.LBB94_103:
	s_or_b64 exec, exec, s[4:5]
	; wave barrier
	buffer_load_dword v67, off, s[0:3], 0 offset:184
	buffer_load_dword v68, off, s[0:3], 0 offset:188
	v_cmp_gt_u32_e32 vcc, 23, v0
	s_waitcnt vmcnt(0)
	ds_write_b64 v66, v[67:68]
	s_waitcnt lgkmcnt(0)
	; wave barrier
	s_and_saveexec_b64 s[4:5], vcc
	s_cbranch_execz .LBB94_107
; %bb.104:
	v_add_u32_e32 v67, -1, v0
	v_add_u32_e32 v68, 0x100, v65
	v_mov_b32_e32 v69, v65
	v_mov_b32_e32 v64, 0
	s_mov_b64 s[8:9], 0
	v_mov_b32_e32 v70, 0
.LBB94_105:                             ; =>This Inner Loop Header: Depth=1
	buffer_load_dword v73, v69, s[0:3], 0 offen offset:4
	buffer_load_dword v74, v69, s[0:3], 0 offen
	ds_read_b64 v[71:72], v68
	v_add_u32_e32 v67, 1, v67
	v_cmp_lt_u32_e32 vcc, 21, v67
	v_add_u32_e32 v68, 8, v68
	v_add_u32_e32 v69, 8, v69
	s_or_b64 s[8:9], vcc, s[8:9]
	s_waitcnt vmcnt(1) lgkmcnt(0)
	v_mul_f32_e32 v75, v72, v73
	v_mul_f32_e32 v73, v71, v73
	s_waitcnt vmcnt(0)
	v_fma_f32 v71, v71, v74, -v75
	v_fmac_f32_e32 v73, v72, v74
	v_add_f32_e32 v70, v70, v71
	v_add_f32_e32 v64, v64, v73
	s_andn2_b64 exec, exec, s[8:9]
	s_cbranch_execnz .LBB94_105
; %bb.106:
	s_or_b64 exec, exec, s[8:9]
	v_mov_b32_e32 v67, 0
	ds_read_b64 v[67:68], v67 offset:184
	s_waitcnt lgkmcnt(0)
	v_mul_f32_e32 v69, v64, v68
	v_mul_f32_e32 v68, v70, v68
	v_fma_f32 v69, v70, v67, -v69
	v_fmac_f32_e32 v68, v64, v67
	buffer_store_dword v69, off, s[0:3], 0 offset:184
	buffer_store_dword v68, off, s[0:3], 0 offset:188
.LBB94_107:
	s_or_b64 exec, exec, s[4:5]
	; wave barrier
	buffer_load_dword v67, off, s[0:3], 0 offset:192
	buffer_load_dword v68, off, s[0:3], 0 offset:196
	v_cmp_gt_u32_e32 vcc, 24, v0
	s_waitcnt vmcnt(0)
	ds_write_b64 v66, v[67:68]
	;; [unrolled: 49-line block ×7, first 2 shown]
	s_waitcnt lgkmcnt(0)
	; wave barrier
	s_and_saveexec_b64 s[4:5], vcc
	s_cbranch_execz .LBB94_131
; %bb.128:
	v_add_u32_e32 v67, -1, v0
	v_add_u32_e32 v68, 0x100, v65
	v_mov_b32_e32 v69, v65
	v_mov_b32_e32 v64, 0
	s_mov_b64 s[8:9], 0
	v_mov_b32_e32 v70, 0
.LBB94_129:                             ; =>This Inner Loop Header: Depth=1
	buffer_load_dword v73, v69, s[0:3], 0 offen offset:4
	buffer_load_dword v74, v69, s[0:3], 0 offen
	ds_read_b64 v[71:72], v68
	v_add_u32_e32 v67, 1, v67
	v_cmp_lt_u32_e32 vcc, 27, v67
	v_add_u32_e32 v68, 8, v68
	v_add_u32_e32 v69, 8, v69
	s_or_b64 s[8:9], vcc, s[8:9]
	s_waitcnt vmcnt(1) lgkmcnt(0)
	v_mul_f32_e32 v75, v72, v73
	v_mul_f32_e32 v73, v71, v73
	s_waitcnt vmcnt(0)
	v_fma_f32 v71, v71, v74, -v75
	v_fmac_f32_e32 v73, v72, v74
	v_add_f32_e32 v70, v70, v71
	v_add_f32_e32 v64, v64, v73
	s_andn2_b64 exec, exec, s[8:9]
	s_cbranch_execnz .LBB94_129
; %bb.130:
	s_or_b64 exec, exec, s[8:9]
	v_mov_b32_e32 v67, 0
	ds_read_b64 v[67:68], v67 offset:232
	s_waitcnt lgkmcnt(0)
	v_mul_f32_e32 v69, v64, v68
	v_mul_f32_e32 v68, v70, v68
	v_fma_f32 v69, v70, v67, -v69
	v_fmac_f32_e32 v68, v64, v67
	buffer_store_dword v69, off, s[0:3], 0 offset:232
	buffer_store_dword v68, off, s[0:3], 0 offset:236
.LBB94_131:
	s_or_b64 exec, exec, s[4:5]
	; wave barrier
	buffer_load_dword v67, off, s[0:3], 0 offset:240
	buffer_load_dword v68, off, s[0:3], 0 offset:244
	v_cmp_ne_u32_e32 vcc, 30, v0
	s_waitcnt vmcnt(0)
	ds_write_b64 v66, v[67:68]
	s_waitcnt lgkmcnt(0)
	; wave barrier
	s_and_saveexec_b64 s[4:5], vcc
	s_cbranch_execz .LBB94_135
; %bb.132:
	v_add_u32_e32 v66, 0x100, v65
	v_mov_b32_e32 v64, 0
	s_mov_b64 s[8:9], 0
	v_mov_b32_e32 v67, 0
.LBB94_133:                             ; =>This Inner Loop Header: Depth=1
	buffer_load_dword v70, v65, s[0:3], 0 offen offset:4
	buffer_load_dword v71, v65, s[0:3], 0 offen
	ds_read_b64 v[68:69], v66
	v_add_u32_e32 v63, 1, v63
	v_cmp_lt_u32_e32 vcc, 28, v63
	v_add_u32_e32 v66, 8, v66
	v_add_u32_e32 v65, 8, v65
	s_or_b64 s[8:9], vcc, s[8:9]
	s_waitcnt vmcnt(1) lgkmcnt(0)
	v_mul_f32_e32 v72, v69, v70
	v_mul_f32_e32 v70, v68, v70
	s_waitcnt vmcnt(0)
	v_fma_f32 v68, v68, v71, -v72
	v_fmac_f32_e32 v70, v69, v71
	v_add_f32_e32 v67, v67, v68
	v_add_f32_e32 v64, v64, v70
	s_andn2_b64 exec, exec, s[8:9]
	s_cbranch_execnz .LBB94_133
; %bb.134:
	s_or_b64 exec, exec, s[8:9]
	v_mov_b32_e32 v63, 0
	ds_read_b64 v[65:66], v63 offset:240
	s_waitcnt lgkmcnt(0)
	v_mul_f32_e32 v63, v64, v66
	v_mul_f32_e32 v66, v67, v66
	v_fma_f32 v63, v67, v65, -v63
	v_fmac_f32_e32 v66, v64, v65
	buffer_store_dword v63, off, s[0:3], 0 offset:240
	buffer_store_dword v66, off, s[0:3], 0 offset:244
.LBB94_135:
	s_or_b64 exec, exec, s[4:5]
	s_mov_b64 s[8:9], -1
	; wave barrier
.LBB94_136:
	s_and_b64 vcc, exec, s[8:9]
	s_cbranch_vccz .LBB94_138
; %bb.137:
	s_lshl_b64 s[4:5], s[6:7], 2
	s_add_u32 s4, s10, s4
	s_addc_u32 s5, s11, s5
	v_mov_b32_e32 v63, 0
	global_load_dword v63, v63, s[4:5]
	s_waitcnt vmcnt(0)
	v_cmp_ne_u32_e32 vcc, 0, v63
	s_cbranch_vccz .LBB94_139
.LBB94_138:
	s_endpgm
.LBB94_139:
	v_mov_b32_e32 v63, 0x100
	v_lshl_add_u32 v63, v0, 3, v63
	v_cmp_eq_u32_e32 vcc, 30, v0
	s_and_saveexec_b64 s[4:5], vcc
	s_cbranch_execz .LBB94_141
; %bb.140:
	buffer_load_dword v64, off, s[0:3], 0 offset:232
	buffer_load_dword v65, off, s[0:3], 0 offset:236
	v_mov_b32_e32 v66, 0
	buffer_store_dword v66, off, s[0:3], 0 offset:232
	buffer_store_dword v66, off, s[0:3], 0 offset:236
	s_waitcnt vmcnt(2)
	ds_write_b64 v63, v[64:65]
.LBB94_141:
	s_or_b64 exec, exec, s[4:5]
	s_waitcnt lgkmcnt(0)
	; wave barrier
	buffer_load_dword v67, off, s[0:3], 0 offset:244
	buffer_load_dword v68, off, s[0:3], 0 offset:240
	;; [unrolled: 1-line block ×4, first 2 shown]
	v_mov_b32_e32 v64, 0
	ds_read_b64 v[65:66], v64 offset:496
	v_cmp_lt_u32_e32 vcc, 28, v0
	s_waitcnt vmcnt(3) lgkmcnt(0)
	v_mul_f32_e32 v71, v65, v67
	v_mul_f32_e32 v67, v66, v67
	s_waitcnt vmcnt(2)
	v_fma_f32 v65, v65, v68, -v67
	v_fmac_f32_e32 v71, v66, v68
	v_add_f32_e32 v65, 0, v65
	v_add_f32_e32 v66, 0, v71
	s_waitcnt vmcnt(1)
	v_sub_f32_e32 v65, v69, v65
	s_waitcnt vmcnt(0)
	v_sub_f32_e32 v66, v70, v66
	buffer_store_dword v65, off, s[0:3], 0 offset:232
	buffer_store_dword v66, off, s[0:3], 0 offset:236
	s_and_saveexec_b64 s[4:5], vcc
	s_cbranch_execz .LBB94_143
; %bb.142:
	buffer_load_dword v65, off, s[0:3], 0 offset:224
	buffer_load_dword v66, off, s[0:3], 0 offset:228
	s_waitcnt vmcnt(0)
	ds_write_b64 v63, v[65:66]
	buffer_store_dword v64, off, s[0:3], 0 offset:224
	buffer_store_dword v64, off, s[0:3], 0 offset:228
.LBB94_143:
	s_or_b64 exec, exec, s[4:5]
	s_waitcnt lgkmcnt(0)
	; wave barrier
	buffer_load_dword v68, off, s[0:3], 0 offset:236
	buffer_load_dword v69, off, s[0:3], 0 offset:244
	buffer_load_dword v70, off, s[0:3], 0 offset:232
	buffer_load_dword v71, off, s[0:3], 0 offset:240
	buffer_load_dword v72, off, s[0:3], 0 offset:224
	buffer_load_dword v73, off, s[0:3], 0 offset:228
	ds_read2_b64 v[64:67], v64 offset0:61 offset1:62
	v_cmp_lt_u32_e32 vcc, 27, v0
	s_waitcnt vmcnt(5) lgkmcnt(0)
	v_mul_f32_e32 v74, v64, v68
	v_mul_f32_e32 v68, v65, v68
	s_waitcnt vmcnt(4)
	v_mul_f32_e32 v75, v66, v69
	v_mul_f32_e32 v69, v67, v69
	s_waitcnt vmcnt(3)
	v_fma_f32 v64, v64, v70, -v68
	v_fmac_f32_e32 v74, v65, v70
	s_waitcnt vmcnt(2)
	v_fma_f32 v65, v66, v71, -v69
	v_add_f32_e32 v64, 0, v64
	v_fmac_f32_e32 v75, v67, v71
	v_add_f32_e32 v66, 0, v74
	v_add_f32_e32 v64, v64, v65
	;; [unrolled: 1-line block ×3, first 2 shown]
	s_waitcnt vmcnt(1)
	v_sub_f32_e32 v64, v72, v64
	s_waitcnt vmcnt(0)
	v_sub_f32_e32 v65, v73, v66
	buffer_store_dword v64, off, s[0:3], 0 offset:224
	buffer_store_dword v65, off, s[0:3], 0 offset:228
	s_and_saveexec_b64 s[4:5], vcc
	s_cbranch_execz .LBB94_145
; %bb.144:
	buffer_load_dword v64, off, s[0:3], 0 offset:216
	buffer_load_dword v65, off, s[0:3], 0 offset:220
	v_mov_b32_e32 v66, 0
	buffer_store_dword v66, off, s[0:3], 0 offset:216
	buffer_store_dword v66, off, s[0:3], 0 offset:220
	s_waitcnt vmcnt(2)
	ds_write_b64 v63, v[64:65]
.LBB94_145:
	s_or_b64 exec, exec, s[4:5]
	s_waitcnt lgkmcnt(0)
	; wave barrier
	buffer_load_dword v71, off, s[0:3], 0 offset:228
	buffer_load_dword v72, off, s[0:3], 0 offset:236
	;; [unrolled: 1-line block ×8, first 2 shown]
	v_mov_b32_e32 v64, 0
	ds_read_b128 v[65:68], v64 offset:480
	ds_read_b64 v[69:70], v64 offset:496
	v_cmp_lt_u32_e32 vcc, 26, v0
	s_waitcnt vmcnt(7) lgkmcnt(1)
	v_mul_f32_e32 v79, v65, v71
	v_mul_f32_e32 v71, v66, v71
	s_waitcnt vmcnt(6)
	v_mul_f32_e32 v80, v67, v72
	v_mul_f32_e32 v72, v68, v72
	s_waitcnt vmcnt(4)
	v_fma_f32 v65, v65, v74, -v71
	s_waitcnt lgkmcnt(0)
	v_mul_f32_e32 v81, v69, v73
	v_mul_f32_e32 v73, v70, v73
	v_fmac_f32_e32 v79, v66, v74
	s_waitcnt vmcnt(3)
	v_fma_f32 v66, v67, v75, -v72
	v_add_f32_e32 v65, 0, v65
	v_fmac_f32_e32 v80, v68, v75
	s_waitcnt vmcnt(2)
	v_fma_f32 v67, v69, v76, -v73
	v_add_f32_e32 v68, 0, v79
	v_add_f32_e32 v65, v65, v66
	v_fmac_f32_e32 v81, v70, v76
	v_add_f32_e32 v68, v68, v80
	v_add_f32_e32 v65, v65, v67
	;; [unrolled: 1-line block ×3, first 2 shown]
	s_waitcnt vmcnt(1)
	v_sub_f32_e32 v65, v77, v65
	s_waitcnt vmcnt(0)
	v_sub_f32_e32 v66, v78, v66
	buffer_store_dword v65, off, s[0:3], 0 offset:216
	buffer_store_dword v66, off, s[0:3], 0 offset:220
	s_and_saveexec_b64 s[4:5], vcc
	s_cbranch_execz .LBB94_147
; %bb.146:
	buffer_load_dword v65, off, s[0:3], 0 offset:208
	buffer_load_dword v66, off, s[0:3], 0 offset:212
	s_waitcnt vmcnt(0)
	ds_write_b64 v63, v[65:66]
	buffer_store_dword v64, off, s[0:3], 0 offset:208
	buffer_store_dword v64, off, s[0:3], 0 offset:212
.LBB94_147:
	s_or_b64 exec, exec, s[4:5]
	s_waitcnt lgkmcnt(0)
	; wave barrier
	buffer_load_dword v73, off, s[0:3], 0 offset:220
	buffer_load_dword v74, off, s[0:3], 0 offset:228
	;; [unrolled: 1-line block ×10, first 2 shown]
	ds_read2_b64 v[65:68], v64 offset0:59 offset1:60
	ds_read2_b64 v[69:72], v64 offset0:61 offset1:62
	v_cmp_lt_u32_e32 vcc, 25, v0
	s_waitcnt vmcnt(9) lgkmcnt(1)
	v_mul_f32_e32 v64, v65, v73
	v_mul_f32_e32 v73, v66, v73
	s_waitcnt vmcnt(8)
	v_mul_f32_e32 v83, v67, v74
	v_mul_f32_e32 v74, v68, v74
	s_waitcnt vmcnt(5)
	v_fma_f32 v65, v65, v77, -v73
	s_waitcnt lgkmcnt(0)
	v_mul_f32_e32 v84, v69, v75
	v_mul_f32_e32 v75, v70, v75
	v_fmac_f32_e32 v64, v66, v77
	s_waitcnt vmcnt(4)
	v_fma_f32 v66, v67, v78, -v74
	v_add_f32_e32 v65, 0, v65
	v_mul_f32_e32 v85, v71, v76
	v_mul_f32_e32 v76, v72, v76
	v_fmac_f32_e32 v83, v68, v78
	s_waitcnt vmcnt(3)
	v_fma_f32 v67, v69, v79, -v75
	v_add_f32_e32 v64, 0, v64
	v_add_f32_e32 v65, v65, v66
	v_fmac_f32_e32 v84, v70, v79
	s_waitcnt vmcnt(2)
	v_fma_f32 v68, v71, v80, -v76
	v_add_f32_e32 v64, v64, v83
	v_add_f32_e32 v65, v65, v67
	v_fmac_f32_e32 v85, v72, v80
	v_add_f32_e32 v64, v64, v84
	v_add_f32_e32 v65, v65, v68
	;; [unrolled: 1-line block ×3, first 2 shown]
	s_waitcnt vmcnt(1)
	v_sub_f32_e32 v65, v81, v65
	s_waitcnt vmcnt(0)
	v_sub_f32_e32 v64, v82, v64
	buffer_store_dword v65, off, s[0:3], 0 offset:208
	buffer_store_dword v64, off, s[0:3], 0 offset:212
	s_and_saveexec_b64 s[4:5], vcc
	s_cbranch_execz .LBB94_149
; %bb.148:
	buffer_load_dword v64, off, s[0:3], 0 offset:200
	buffer_load_dword v65, off, s[0:3], 0 offset:204
	v_mov_b32_e32 v66, 0
	buffer_store_dword v66, off, s[0:3], 0 offset:200
	buffer_store_dword v66, off, s[0:3], 0 offset:204
	s_waitcnt vmcnt(2)
	ds_write_b64 v63, v[64:65]
.LBB94_149:
	s_or_b64 exec, exec, s[4:5]
	s_waitcnt lgkmcnt(0)
	; wave barrier
	buffer_load_dword v75, off, s[0:3], 0 offset:212
	buffer_load_dword v76, off, s[0:3], 0 offset:220
	;; [unrolled: 1-line block ×12, first 2 shown]
	v_mov_b32_e32 v64, 0
	ds_read_b128 v[65:68], v64 offset:464
	ds_read_b128 v[69:72], v64 offset:480
	ds_read_b64 v[73:74], v64 offset:496
	v_cmp_lt_u32_e32 vcc, 24, v0
	s_waitcnt vmcnt(11) lgkmcnt(2)
	v_mul_f32_e32 v87, v65, v75
	v_mul_f32_e32 v75, v66, v75
	s_waitcnt vmcnt(10)
	v_mul_f32_e32 v88, v67, v76
	v_mul_f32_e32 v76, v68, v76
	s_waitcnt vmcnt(9) lgkmcnt(1)
	v_mul_f32_e32 v89, v69, v77
	s_waitcnt vmcnt(6)
	v_fma_f32 v65, v65, v80, -v75
	v_mul_f32_e32 v77, v70, v77
	v_fmac_f32_e32 v87, v66, v80
	s_waitcnt vmcnt(5)
	v_fma_f32 v66, v67, v81, -v76
	v_add_f32_e32 v65, 0, v65
	v_mul_f32_e32 v90, v71, v78
	v_mul_f32_e32 v78, v72, v78
	v_fmac_f32_e32 v88, v68, v81
	s_waitcnt vmcnt(4)
	v_fmac_f32_e32 v89, v70, v82
	v_fma_f32 v67, v69, v82, -v77
	v_add_f32_e32 v70, 0, v87
	v_add_f32_e32 v65, v65, v66
	s_waitcnt lgkmcnt(0)
	v_mul_f32_e32 v91, v73, v79
	v_mul_f32_e32 v79, v74, v79
	s_waitcnt vmcnt(3)
	v_fma_f32 v68, v71, v83, -v78
	v_add_f32_e32 v70, v70, v88
	v_add_f32_e32 v65, v65, v67
	v_fmac_f32_e32 v90, v72, v83
	s_waitcnt vmcnt(2)
	v_fma_f32 v69, v73, v84, -v79
	v_add_f32_e32 v66, v70, v89
	v_add_f32_e32 v65, v65, v68
	v_fmac_f32_e32 v91, v74, v84
	v_add_f32_e32 v66, v66, v90
	v_add_f32_e32 v65, v65, v69
	;; [unrolled: 1-line block ×3, first 2 shown]
	s_waitcnt vmcnt(1)
	v_sub_f32_e32 v65, v85, v65
	s_waitcnt vmcnt(0)
	v_sub_f32_e32 v66, v86, v66
	buffer_store_dword v65, off, s[0:3], 0 offset:200
	buffer_store_dword v66, off, s[0:3], 0 offset:204
	s_and_saveexec_b64 s[4:5], vcc
	s_cbranch_execz .LBB94_151
; %bb.150:
	buffer_load_dword v65, off, s[0:3], 0 offset:192
	buffer_load_dword v66, off, s[0:3], 0 offset:196
	s_waitcnt vmcnt(0)
	ds_write_b64 v63, v[65:66]
	buffer_store_dword v64, off, s[0:3], 0 offset:192
	buffer_store_dword v64, off, s[0:3], 0 offset:196
.LBB94_151:
	s_or_b64 exec, exec, s[4:5]
	s_waitcnt lgkmcnt(0)
	; wave barrier
	buffer_load_dword v77, off, s[0:3], 0 offset:204
	buffer_load_dword v78, off, s[0:3], 0 offset:212
	;; [unrolled: 1-line block ×14, first 2 shown]
	ds_read2_b64 v[65:68], v64 offset0:57 offset1:58
	ds_read2_b64 v[69:72], v64 offset0:59 offset1:60
	;; [unrolled: 1-line block ×3, first 2 shown]
	v_cmp_lt_u32_e32 vcc, 23, v0
	s_waitcnt vmcnt(13) lgkmcnt(2)
	v_mul_f32_e32 v64, v65, v77
	v_mul_f32_e32 v77, v66, v77
	s_waitcnt vmcnt(12)
	v_mul_f32_e32 v91, v67, v78
	v_mul_f32_e32 v78, v68, v78
	s_waitcnt vmcnt(11) lgkmcnt(1)
	v_mul_f32_e32 v92, v69, v79
	v_mul_f32_e32 v79, v70, v79
	s_waitcnt vmcnt(7)
	v_fma_f32 v65, v65, v83, -v77
	v_fmac_f32_e32 v64, v66, v83
	s_waitcnt vmcnt(6)
	v_fma_f32 v66, v67, v84, -v78
	v_add_f32_e32 v65, 0, v65
	v_mul_f32_e32 v93, v71, v80
	v_mul_f32_e32 v80, v72, v80
	v_fmac_f32_e32 v91, v68, v84
	s_waitcnt vmcnt(5)
	v_fma_f32 v67, v69, v85, -v79
	v_add_f32_e32 v64, 0, v64
	v_add_f32_e32 v65, v65, v66
	s_waitcnt lgkmcnt(0)
	v_mul_f32_e32 v94, v73, v81
	v_mul_f32_e32 v81, v74, v81
	v_fmac_f32_e32 v92, v70, v85
	s_waitcnt vmcnt(4)
	v_fma_f32 v68, v71, v86, -v80
	v_add_f32_e32 v64, v64, v91
	v_add_f32_e32 v65, v65, v67
	v_mul_f32_e32 v95, v75, v82
	v_mul_f32_e32 v82, v76, v82
	v_fmac_f32_e32 v93, v72, v86
	s_waitcnt vmcnt(3)
	v_fma_f32 v69, v73, v87, -v81
	v_add_f32_e32 v64, v64, v92
	v_add_f32_e32 v65, v65, v68
	v_fmac_f32_e32 v94, v74, v87
	s_waitcnt vmcnt(2)
	v_fma_f32 v70, v75, v88, -v82
	v_add_f32_e32 v64, v64, v93
	v_add_f32_e32 v65, v65, v69
	v_fmac_f32_e32 v95, v76, v88
	v_add_f32_e32 v64, v64, v94
	v_add_f32_e32 v65, v65, v70
	;; [unrolled: 1-line block ×3, first 2 shown]
	s_waitcnt vmcnt(1)
	v_sub_f32_e32 v65, v89, v65
	s_waitcnt vmcnt(0)
	v_sub_f32_e32 v64, v90, v64
	buffer_store_dword v65, off, s[0:3], 0 offset:192
	buffer_store_dword v64, off, s[0:3], 0 offset:196
	s_and_saveexec_b64 s[4:5], vcc
	s_cbranch_execz .LBB94_153
; %bb.152:
	buffer_load_dword v64, off, s[0:3], 0 offset:184
	buffer_load_dword v65, off, s[0:3], 0 offset:188
	v_mov_b32_e32 v66, 0
	buffer_store_dword v66, off, s[0:3], 0 offset:184
	buffer_store_dword v66, off, s[0:3], 0 offset:188
	s_waitcnt vmcnt(2)
	ds_write_b64 v63, v[64:65]
.LBB94_153:
	s_or_b64 exec, exec, s[4:5]
	s_waitcnt lgkmcnt(0)
	; wave barrier
	buffer_load_dword v79, off, s[0:3], 0 offset:196
	buffer_load_dword v80, off, s[0:3], 0 offset:204
	;; [unrolled: 1-line block ×16, first 2 shown]
	v_mov_b32_e32 v64, 0
	ds_read_b128 v[65:68], v64 offset:448
	ds_read_b128 v[69:72], v64 offset:464
	;; [unrolled: 1-line block ×3, first 2 shown]
	ds_read_b64 v[77:78], v64 offset:496
	v_cmp_lt_u32_e32 vcc, 22, v0
	s_waitcnt vmcnt(15) lgkmcnt(3)
	v_mul_f32_e32 v95, v65, v79
	v_mul_f32_e32 v79, v66, v79
	s_waitcnt vmcnt(14)
	v_mul_f32_e32 v96, v67, v80
	v_mul_f32_e32 v80, v68, v80
	s_waitcnt vmcnt(13) lgkmcnt(2)
	v_mul_f32_e32 v97, v69, v81
	s_waitcnt vmcnt(12)
	v_mul_f32_e32 v98, v71, v82
	v_mul_f32_e32 v81, v70, v81
	s_waitcnt vmcnt(8)
	v_fma_f32 v65, v65, v86, -v79
	v_fmac_f32_e32 v95, v66, v86
	s_waitcnt vmcnt(7)
	v_fma_f32 v66, v67, v87, -v80
	v_add_f32_e32 v65, 0, v65
	v_mul_f32_e32 v82, v72, v82
	v_fmac_f32_e32 v96, v68, v87
	s_waitcnt vmcnt(5)
	v_fmac_f32_e32 v98, v72, v89
	v_fma_f32 v67, v69, v88, -v81
	v_add_f32_e32 v72, 0, v95
	v_add_f32_e32 v65, v65, v66
	s_waitcnt lgkmcnt(1)
	v_mul_f32_e32 v99, v73, v83
	v_mul_f32_e32 v83, v74, v83
	v_fmac_f32_e32 v97, v70, v88
	v_fma_f32 v68, v71, v89, -v82
	v_add_f32_e32 v72, v72, v96
	v_add_f32_e32 v65, v65, v67
	v_mul_f32_e32 v100, v75, v84
	v_mul_f32_e32 v84, v76, v84
	s_waitcnt vmcnt(4)
	v_fma_f32 v69, v73, v90, -v83
	v_add_f32_e32 v66, v72, v97
	v_add_f32_e32 v65, v65, v68
	s_waitcnt lgkmcnt(0)
	v_mul_f32_e32 v101, v77, v85
	v_mul_f32_e32 v85, v78, v85
	v_fmac_f32_e32 v99, v74, v90
	s_waitcnt vmcnt(3)
	v_fma_f32 v70, v75, v91, -v84
	v_add_f32_e32 v66, v66, v98
	v_add_f32_e32 v65, v65, v69
	v_fmac_f32_e32 v100, v76, v91
	s_waitcnt vmcnt(2)
	v_fma_f32 v71, v77, v92, -v85
	v_add_f32_e32 v66, v66, v99
	v_add_f32_e32 v65, v65, v70
	v_fmac_f32_e32 v101, v78, v92
	v_add_f32_e32 v66, v66, v100
	v_add_f32_e32 v65, v65, v71
	;; [unrolled: 1-line block ×3, first 2 shown]
	s_waitcnt vmcnt(1)
	v_sub_f32_e32 v65, v93, v65
	s_waitcnt vmcnt(0)
	v_sub_f32_e32 v66, v94, v66
	buffer_store_dword v65, off, s[0:3], 0 offset:184
	buffer_store_dword v66, off, s[0:3], 0 offset:188
	s_and_saveexec_b64 s[4:5], vcc
	s_cbranch_execz .LBB94_155
; %bb.154:
	buffer_load_dword v65, off, s[0:3], 0 offset:176
	buffer_load_dword v66, off, s[0:3], 0 offset:180
	s_waitcnt vmcnt(0)
	ds_write_b64 v63, v[65:66]
	buffer_store_dword v64, off, s[0:3], 0 offset:176
	buffer_store_dword v64, off, s[0:3], 0 offset:180
.LBB94_155:
	s_or_b64 exec, exec, s[4:5]
	s_waitcnt lgkmcnt(0)
	; wave barrier
	buffer_load_dword v81, off, s[0:3], 0 offset:188
	buffer_load_dword v82, off, s[0:3], 0 offset:196
	;; [unrolled: 1-line block ×18, first 2 shown]
	ds_read2_b64 v[65:68], v64 offset0:55 offset1:56
	ds_read2_b64 v[69:72], v64 offset0:57 offset1:58
	;; [unrolled: 1-line block ×4, first 2 shown]
	v_cmp_lt_u32_e32 vcc, 21, v0
	s_waitcnt vmcnt(17) lgkmcnt(3)
	v_mul_f32_e32 v64, v65, v81
	v_mul_f32_e32 v81, v66, v81
	s_waitcnt vmcnt(16)
	v_mul_f32_e32 v99, v67, v82
	v_mul_f32_e32 v82, v68, v82
	s_waitcnt vmcnt(15) lgkmcnt(2)
	v_mul_f32_e32 v100, v69, v83
	v_mul_f32_e32 v83, v70, v83
	s_waitcnt vmcnt(14)
	v_mul_f32_e32 v101, v71, v84
	v_mul_f32_e32 v84, v72, v84
	s_waitcnt vmcnt(9)
	v_fma_f32 v65, v65, v89, -v81
	v_fmac_f32_e32 v64, v66, v89
	s_waitcnt vmcnt(8)
	v_fma_f32 v66, v67, v90, -v82
	v_add_f32_e32 v65, 0, v65
	v_fmac_f32_e32 v99, v68, v90
	s_waitcnt vmcnt(7)
	v_fma_f32 v67, v69, v91, -v83
	v_add_f32_e32 v64, 0, v64
	v_add_f32_e32 v65, v65, v66
	s_waitcnt lgkmcnt(1)
	v_mul_f32_e32 v102, v73, v85
	v_mul_f32_e32 v85, v74, v85
	v_fmac_f32_e32 v100, v70, v91
	s_waitcnt vmcnt(6)
	v_fma_f32 v68, v71, v92, -v84
	v_add_f32_e32 v64, v64, v99
	v_add_f32_e32 v65, v65, v67
	v_mul_f32_e32 v103, v75, v86
	v_mul_f32_e32 v86, v76, v86
	v_fmac_f32_e32 v101, v72, v92
	s_waitcnt vmcnt(5)
	v_fma_f32 v69, v73, v93, -v85
	v_add_f32_e32 v64, v64, v100
	v_add_f32_e32 v65, v65, v68
	s_waitcnt lgkmcnt(0)
	v_mul_f32_e32 v104, v77, v87
	v_mul_f32_e32 v87, v78, v87
	v_fmac_f32_e32 v102, v74, v93
	s_waitcnt vmcnt(4)
	v_fma_f32 v70, v75, v94, -v86
	v_add_f32_e32 v64, v64, v101
	v_add_f32_e32 v65, v65, v69
	v_mul_f32_e32 v105, v79, v88
	v_mul_f32_e32 v88, v80, v88
	v_fmac_f32_e32 v103, v76, v94
	s_waitcnt vmcnt(3)
	v_fma_f32 v71, v77, v95, -v87
	v_add_f32_e32 v64, v64, v102
	v_add_f32_e32 v65, v65, v70
	v_fmac_f32_e32 v104, v78, v95
	s_waitcnt vmcnt(2)
	v_fma_f32 v72, v79, v96, -v88
	v_add_f32_e32 v64, v64, v103
	v_add_f32_e32 v65, v65, v71
	v_fmac_f32_e32 v105, v80, v96
	v_add_f32_e32 v64, v64, v104
	v_add_f32_e32 v65, v65, v72
	;; [unrolled: 1-line block ×3, first 2 shown]
	s_waitcnt vmcnt(1)
	v_sub_f32_e32 v65, v97, v65
	s_waitcnt vmcnt(0)
	v_sub_f32_e32 v64, v98, v64
	buffer_store_dword v65, off, s[0:3], 0 offset:176
	buffer_store_dword v64, off, s[0:3], 0 offset:180
	s_and_saveexec_b64 s[4:5], vcc
	s_cbranch_execz .LBB94_157
; %bb.156:
	buffer_load_dword v64, off, s[0:3], 0 offset:168
	buffer_load_dword v65, off, s[0:3], 0 offset:172
	v_mov_b32_e32 v66, 0
	buffer_store_dword v66, off, s[0:3], 0 offset:168
	buffer_store_dword v66, off, s[0:3], 0 offset:172
	s_waitcnt vmcnt(2)
	ds_write_b64 v63, v[64:65]
.LBB94_157:
	s_or_b64 exec, exec, s[4:5]
	s_waitcnt lgkmcnt(0)
	; wave barrier
	buffer_load_dword v83, off, s[0:3], 0 offset:180
	buffer_load_dword v84, off, s[0:3], 0 offset:188
	;; [unrolled: 1-line block ×20, first 2 shown]
	v_mov_b32_e32 v64, 0
	ds_read_b128 v[65:68], v64 offset:432
	ds_read_b128 v[69:72], v64 offset:448
	;; [unrolled: 1-line block ×4, first 2 shown]
	ds_read_b64 v[81:82], v64 offset:496
	v_cmp_lt_u32_e32 vcc, 20, v0
	s_waitcnt vmcnt(19) lgkmcnt(4)
	v_mul_f32_e32 v103, v65, v83
	v_mul_f32_e32 v83, v66, v83
	s_waitcnt vmcnt(18)
	v_mul_f32_e32 v104, v67, v84
	v_mul_f32_e32 v84, v68, v84
	s_waitcnt vmcnt(17) lgkmcnt(3)
	v_mul_f32_e32 v105, v69, v85
	s_waitcnt vmcnt(15) lgkmcnt(2)
	v_mul_f32_e32 v107, v73, v87
	v_mul_f32_e32 v85, v70, v85
	;; [unrolled: 1-line block ×4, first 2 shown]
	s_waitcnt vmcnt(10)
	v_fma_f32 v65, v65, v92, -v83
	v_fmac_f32_e32 v103, v66, v92
	s_waitcnt vmcnt(9)
	v_fma_f32 v66, v67, v93, -v84
	v_add_f32_e32 v65, 0, v65
	v_mul_f32_e32 v87, v74, v87
	v_fmac_f32_e32 v104, v68, v93
	s_waitcnt vmcnt(6)
	v_fmac_f32_e32 v107, v74, v96
	v_fma_f32 v67, v69, v94, -v85
	v_add_f32_e32 v74, 0, v103
	v_add_f32_e32 v65, v65, v66
	v_fmac_f32_e32 v105, v70, v94
	v_fma_f32 v68, v71, v95, -v86
	v_add_f32_e32 v74, v74, v104
	v_add_f32_e32 v65, v65, v67
	v_mul_f32_e32 v108, v75, v88
	v_mul_f32_e32 v88, v76, v88
	v_fmac_f32_e32 v106, v72, v95
	v_fma_f32 v69, v73, v96, -v87
	v_add_f32_e32 v66, v74, v105
	v_add_f32_e32 v65, v65, v68
	s_waitcnt lgkmcnt(1)
	v_mul_f32_e32 v109, v77, v89
	v_mul_f32_e32 v89, v78, v89
	s_waitcnt vmcnt(5)
	v_fma_f32 v70, v75, v97, -v88
	v_add_f32_e32 v66, v66, v106
	v_add_f32_e32 v65, v65, v69
	v_mul_f32_e32 v110, v79, v90
	v_mul_f32_e32 v90, v80, v90
	v_fmac_f32_e32 v108, v76, v97
	s_waitcnt vmcnt(4)
	v_fma_f32 v71, v77, v98, -v89
	v_add_f32_e32 v66, v66, v107
	v_add_f32_e32 v65, v65, v70
	s_waitcnt lgkmcnt(0)
	v_mul_f32_e32 v111, v81, v91
	v_mul_f32_e32 v91, v82, v91
	v_fmac_f32_e32 v109, v78, v98
	s_waitcnt vmcnt(3)
	v_fma_f32 v72, v79, v99, -v90
	v_add_f32_e32 v66, v66, v108
	v_add_f32_e32 v65, v65, v71
	v_fmac_f32_e32 v110, v80, v99
	s_waitcnt vmcnt(2)
	v_fma_f32 v73, v81, v100, -v91
	v_add_f32_e32 v66, v66, v109
	v_add_f32_e32 v65, v65, v72
	v_fmac_f32_e32 v111, v82, v100
	v_add_f32_e32 v66, v66, v110
	v_add_f32_e32 v65, v65, v73
	;; [unrolled: 1-line block ×3, first 2 shown]
	s_waitcnt vmcnt(1)
	v_sub_f32_e32 v65, v101, v65
	s_waitcnt vmcnt(0)
	v_sub_f32_e32 v66, v102, v66
	buffer_store_dword v65, off, s[0:3], 0 offset:168
	buffer_store_dword v66, off, s[0:3], 0 offset:172
	s_and_saveexec_b64 s[4:5], vcc
	s_cbranch_execz .LBB94_159
; %bb.158:
	buffer_load_dword v65, off, s[0:3], 0 offset:160
	buffer_load_dword v66, off, s[0:3], 0 offset:164
	s_waitcnt vmcnt(0)
	ds_write_b64 v63, v[65:66]
	buffer_store_dword v64, off, s[0:3], 0 offset:160
	buffer_store_dword v64, off, s[0:3], 0 offset:164
.LBB94_159:
	s_or_b64 exec, exec, s[4:5]
	s_waitcnt lgkmcnt(0)
	; wave barrier
	buffer_load_dword v85, off, s[0:3], 0 offset:172
	buffer_load_dword v86, off, s[0:3], 0 offset:180
	;; [unrolled: 1-line block ×22, first 2 shown]
	ds_read2_b64 v[65:68], v64 offset0:53 offset1:54
	ds_read2_b64 v[69:72], v64 offset0:55 offset1:56
	;; [unrolled: 1-line block ×5, first 2 shown]
	v_cmp_lt_u32_e32 vcc, 19, v0
	s_waitcnt vmcnt(21) lgkmcnt(4)
	v_mul_f32_e32 v64, v65, v85
	v_mul_f32_e32 v85, v66, v85
	s_waitcnt vmcnt(20)
	v_mul_f32_e32 v107, v67, v86
	v_mul_f32_e32 v86, v68, v86
	s_waitcnt vmcnt(19) lgkmcnt(3)
	v_mul_f32_e32 v108, v69, v87
	v_mul_f32_e32 v87, v70, v87
	s_waitcnt vmcnt(18)
	v_mul_f32_e32 v109, v71, v88
	v_mul_f32_e32 v88, v72, v88
	s_waitcnt vmcnt(17) lgkmcnt(2)
	v_mul_f32_e32 v110, v73, v89
	v_mul_f32_e32 v89, v74, v89
	s_waitcnt vmcnt(11)
	v_fma_f32 v65, v65, v95, -v85
	v_fmac_f32_e32 v64, v66, v95
	s_waitcnt vmcnt(10)
	v_fma_f32 v66, v67, v96, -v86
	v_add_f32_e32 v65, 0, v65
	v_fmac_f32_e32 v107, v68, v96
	s_waitcnt vmcnt(9)
	v_fma_f32 v67, v69, v97, -v87
	v_add_f32_e32 v64, 0, v64
	v_add_f32_e32 v65, v65, v66
	v_fmac_f32_e32 v108, v70, v97
	s_waitcnt vmcnt(8)
	v_fma_f32 v68, v71, v98, -v88
	v_add_f32_e32 v64, v64, v107
	v_add_f32_e32 v65, v65, v67
	v_mul_f32_e32 v111, v75, v90
	v_mul_f32_e32 v90, v76, v90
	v_fmac_f32_e32 v109, v72, v98
	s_waitcnt vmcnt(7)
	v_fma_f32 v69, v73, v99, -v89
	v_add_f32_e32 v64, v64, v108
	v_add_f32_e32 v65, v65, v68
	s_waitcnt lgkmcnt(1)
	v_mul_f32_e32 v112, v77, v91
	v_mul_f32_e32 v91, v78, v91
	v_fmac_f32_e32 v110, v74, v99
	s_waitcnt vmcnt(6)
	v_fma_f32 v70, v75, v100, -v90
	v_add_f32_e32 v64, v64, v109
	v_add_f32_e32 v65, v65, v69
	v_mul_f32_e32 v113, v79, v92
	v_mul_f32_e32 v92, v80, v92
	v_fmac_f32_e32 v111, v76, v100
	s_waitcnt vmcnt(5)
	v_fma_f32 v71, v77, v101, -v91
	v_add_f32_e32 v64, v64, v110
	v_add_f32_e32 v65, v65, v70
	s_waitcnt lgkmcnt(0)
	v_mul_f32_e32 v114, v81, v93
	v_mul_f32_e32 v93, v82, v93
	v_fmac_f32_e32 v112, v78, v101
	s_waitcnt vmcnt(4)
	v_fma_f32 v72, v79, v102, -v92
	v_add_f32_e32 v64, v64, v111
	v_add_f32_e32 v65, v65, v71
	v_mul_f32_e32 v115, v83, v94
	v_mul_f32_e32 v94, v84, v94
	v_fmac_f32_e32 v113, v80, v102
	s_waitcnt vmcnt(3)
	v_fma_f32 v73, v81, v103, -v93
	v_add_f32_e32 v64, v64, v112
	v_add_f32_e32 v65, v65, v72
	v_fmac_f32_e32 v114, v82, v103
	s_waitcnt vmcnt(2)
	v_fma_f32 v74, v83, v104, -v94
	v_add_f32_e32 v64, v64, v113
	v_add_f32_e32 v65, v65, v73
	v_fmac_f32_e32 v115, v84, v104
	v_add_f32_e32 v64, v64, v114
	v_add_f32_e32 v65, v65, v74
	;; [unrolled: 1-line block ×3, first 2 shown]
	s_waitcnt vmcnt(1)
	v_sub_f32_e32 v65, v105, v65
	s_waitcnt vmcnt(0)
	v_sub_f32_e32 v64, v106, v64
	buffer_store_dword v65, off, s[0:3], 0 offset:160
	buffer_store_dword v64, off, s[0:3], 0 offset:164
	s_and_saveexec_b64 s[4:5], vcc
	s_cbranch_execz .LBB94_161
; %bb.160:
	buffer_load_dword v64, off, s[0:3], 0 offset:152
	buffer_load_dword v65, off, s[0:3], 0 offset:156
	v_mov_b32_e32 v66, 0
	buffer_store_dword v66, off, s[0:3], 0 offset:152
	buffer_store_dword v66, off, s[0:3], 0 offset:156
	s_waitcnt vmcnt(2)
	ds_write_b64 v63, v[64:65]
.LBB94_161:
	s_or_b64 exec, exec, s[4:5]
	s_waitcnt lgkmcnt(0)
	; wave barrier
	buffer_load_dword v87, off, s[0:3], 0 offset:164
	buffer_load_dword v88, off, s[0:3], 0 offset:172
	;; [unrolled: 1-line block ×24, first 2 shown]
	v_mov_b32_e32 v64, 0
	ds_read_b128 v[65:68], v64 offset:416
	ds_read_b128 v[69:72], v64 offset:432
	;; [unrolled: 1-line block ×5, first 2 shown]
	ds_read_b64 v[85:86], v64 offset:496
	v_cmp_lt_u32_e32 vcc, 18, v0
	s_waitcnt vmcnt(23) lgkmcnt(5)
	v_mul_f32_e32 v111, v65, v87
	v_mul_f32_e32 v87, v66, v87
	s_waitcnt vmcnt(22)
	v_mul_f32_e32 v112, v67, v88
	v_mul_f32_e32 v88, v68, v88
	s_waitcnt vmcnt(21) lgkmcnt(4)
	v_mul_f32_e32 v113, v69, v89
	v_mul_f32_e32 v89, v70, v89
	s_waitcnt vmcnt(20)
	v_mul_f32_e32 v114, v71, v90
	s_waitcnt vmcnt(19) lgkmcnt(3)
	v_mul_f32_e32 v115, v73, v91
	v_mul_f32_e32 v90, v72, v90
	;; [unrolled: 1-line block ×3, first 2 shown]
	s_waitcnt vmcnt(18)
	v_mul_f32_e32 v116, v75, v92
	s_waitcnt vmcnt(12)
	v_fma_f32 v65, v65, v98, -v87
	v_fmac_f32_e32 v111, v66, v98
	s_waitcnt vmcnt(11)
	v_fma_f32 v66, v67, v99, -v88
	v_add_f32_e32 v65, 0, v65
	s_waitcnt vmcnt(10)
	v_fma_f32 v67, v69, v100, -v89
	v_add_f32_e32 v65, v65, v66
	v_fmac_f32_e32 v112, v68, v99
	s_waitcnt vmcnt(8)
	v_fmac_f32_e32 v115, v74, v102
	v_fma_f32 v68, v71, v101, -v90
	v_add_f32_e32 v74, 0, v111
	v_add_f32_e32 v65, v65, v67
	v_mul_f32_e32 v92, v76, v92
	v_fmac_f32_e32 v113, v70, v100
	v_fma_f32 v69, v73, v102, -v91
	v_add_f32_e32 v74, v74, v112
	v_add_f32_e32 v65, v65, v68
	s_waitcnt lgkmcnt(2)
	v_mul_f32_e32 v117, v77, v93
	v_mul_f32_e32 v93, v78, v93
	v_fmac_f32_e32 v114, v72, v101
	s_waitcnt vmcnt(7)
	v_fma_f32 v70, v75, v103, -v92
	v_add_f32_e32 v66, v74, v113
	v_add_f32_e32 v65, v65, v69
	v_mul_f32_e32 v118, v79, v94
	v_mul_f32_e32 v94, v80, v94
	s_waitcnt vmcnt(6)
	v_fma_f32 v71, v77, v104, -v93
	v_add_f32_e32 v66, v66, v114
	v_add_f32_e32 v65, v65, v70
	s_waitcnt lgkmcnt(1)
	v_mul_f32_e32 v119, v81, v95
	v_mul_f32_e32 v95, v82, v95
	v_fmac_f32_e32 v116, v76, v103
	s_waitcnt vmcnt(5)
	v_fma_f32 v72, v79, v105, -v94
	v_add_f32_e32 v66, v66, v115
	v_add_f32_e32 v65, v65, v71
	v_fmac_f32_e32 v117, v78, v104
	s_waitcnt vmcnt(4)
	v_fma_f32 v73, v81, v106, -v95
	v_add_f32_e32 v66, v66, v116
	v_add_f32_e32 v65, v65, v72
	v_mul_f32_e32 v67, v84, v96
	v_fmac_f32_e32 v118, v80, v105
	v_add_f32_e32 v66, v66, v117
	v_add_f32_e32 v65, v65, v73
	s_waitcnt vmcnt(3)
	v_fma_f32 v67, v83, v107, -v67
	v_mul_f32_e32 v120, v83, v96
	v_fmac_f32_e32 v119, v82, v106
	v_add_f32_e32 v66, v66, v118
	v_add_f32_e32 v65, v65, v67
	s_waitcnt lgkmcnt(0)
	v_mul_f32_e32 v67, v86, v97
	v_mul_f32_e32 v121, v85, v97
	v_fmac_f32_e32 v120, v84, v107
	v_add_f32_e32 v66, v66, v119
	s_waitcnt vmcnt(2)
	v_fma_f32 v67, v85, v108, -v67
	v_fmac_f32_e32 v121, v86, v108
	v_add_f32_e32 v66, v66, v120
	v_add_f32_e32 v65, v65, v67
	v_add_f32_e32 v66, v66, v121
	s_waitcnt vmcnt(1)
	v_sub_f32_e32 v65, v109, v65
	s_waitcnt vmcnt(0)
	v_sub_f32_e32 v66, v110, v66
	buffer_store_dword v65, off, s[0:3], 0 offset:152
	buffer_store_dword v66, off, s[0:3], 0 offset:156
	s_and_saveexec_b64 s[4:5], vcc
	s_cbranch_execz .LBB94_163
; %bb.162:
	buffer_load_dword v65, off, s[0:3], 0 offset:144
	buffer_load_dword v66, off, s[0:3], 0 offset:148
	s_waitcnt vmcnt(0)
	ds_write_b64 v63, v[65:66]
	buffer_store_dword v64, off, s[0:3], 0 offset:144
	buffer_store_dword v64, off, s[0:3], 0 offset:148
.LBB94_163:
	s_or_b64 exec, exec, s[4:5]
	s_waitcnt lgkmcnt(0)
	; wave barrier
	buffer_load_dword v89, off, s[0:3], 0 offset:156
	buffer_load_dword v90, off, s[0:3], 0 offset:164
	;; [unrolled: 1-line block ×26, first 2 shown]
	ds_read2_b64 v[65:68], v64 offset0:51 offset1:52
	ds_read2_b64 v[69:72], v64 offset0:53 offset1:54
	;; [unrolled: 1-line block ×6, first 2 shown]
	v_cmp_lt_u32_e32 vcc, 17, v0
	s_waitcnt vmcnt(25) lgkmcnt(5)
	v_mul_f32_e32 v64, v65, v89
	v_mul_f32_e32 v89, v66, v89
	s_waitcnt vmcnt(24)
	v_mul_f32_e32 v115, v67, v90
	v_mul_f32_e32 v90, v68, v90
	s_waitcnt vmcnt(23) lgkmcnt(4)
	v_mul_f32_e32 v116, v69, v91
	v_mul_f32_e32 v91, v70, v91
	s_waitcnt vmcnt(22)
	v_mul_f32_e32 v117, v71, v92
	v_mul_f32_e32 v92, v72, v92
	;; [unrolled: 6-line block ×3, first 2 shown]
	s_waitcnt vmcnt(13)
	v_fma_f32 v65, v65, v101, -v89
	v_fmac_f32_e32 v64, v66, v101
	s_waitcnt vmcnt(12)
	v_fma_f32 v66, v67, v102, -v90
	v_add_f32_e32 v65, 0, v65
	s_waitcnt vmcnt(11)
	v_fma_f32 v67, v69, v103, -v91
	v_add_f32_e32 v65, v65, v66
	v_fmac_f32_e32 v115, v68, v102
	s_waitcnt vmcnt(10)
	v_fma_f32 v68, v71, v104, -v92
	v_add_f32_e32 v65, v65, v67
	s_waitcnt vmcnt(9)
	v_fma_f32 v69, v73, v105, -v93
	v_add_f32_e32 v65, v65, v68
	s_waitcnt lgkmcnt(2)
	v_mul_f32_e32 v120, v77, v95
	v_mul_f32_e32 v95, v78, v95
	v_fmac_f32_e32 v116, v70, v103
	s_waitcnt vmcnt(8)
	v_fma_f32 v70, v75, v106, -v94
	v_add_f32_e32 v64, 0, v64
	v_add_f32_e32 v65, v65, v69
	v_mul_f32_e32 v121, v79, v96
	v_mul_f32_e32 v96, v80, v96
	s_waitcnt vmcnt(7)
	v_fma_f32 v71, v77, v107, -v95
	v_add_f32_e32 v64, v64, v115
	v_add_f32_e32 v65, v65, v70
	v_fmac_f32_e32 v117, v72, v104
	s_waitcnt vmcnt(6)
	v_fma_f32 v72, v79, v108, -v96
	v_add_f32_e32 v64, v64, v116
	v_add_f32_e32 v65, v65, v71
	s_waitcnt lgkmcnt(1)
	v_mul_f32_e32 v66, v82, v97
	v_fmac_f32_e32 v118, v74, v105
	v_add_f32_e32 v64, v64, v117
	v_add_f32_e32 v65, v65, v72
	s_waitcnt vmcnt(5)
	v_fma_f32 v66, v81, v109, -v66
	v_fmac_f32_e32 v119, v76, v106
	v_add_f32_e32 v64, v64, v118
	v_add_f32_e32 v65, v65, v66
	v_mul_f32_e32 v66, v84, v98
	v_fmac_f32_e32 v120, v78, v107
	v_add_f32_e32 v64, v64, v119
	s_waitcnt vmcnt(4)
	v_fma_f32 v66, v83, v110, -v66
	v_mul_f32_e32 v122, v81, v97
	v_fmac_f32_e32 v121, v80, v108
	v_add_f32_e32 v64, v64, v120
	v_add_f32_e32 v65, v65, v66
	s_waitcnt lgkmcnt(0)
	v_mul_f32_e32 v66, v86, v99
	v_mul_f32_e32 v123, v83, v98
	v_fmac_f32_e32 v122, v82, v109
	v_add_f32_e32 v64, v64, v121
	s_waitcnt vmcnt(3)
	v_fma_f32 v66, v85, v111, -v66
	v_mul_f32_e32 v124, v85, v99
	v_fmac_f32_e32 v123, v84, v110
	v_add_f32_e32 v64, v64, v122
	v_add_f32_e32 v65, v65, v66
	v_mul_f32_e32 v66, v88, v100
	v_mul_f32_e32 v125, v87, v100
	v_fmac_f32_e32 v124, v86, v111
	v_add_f32_e32 v64, v64, v123
	s_waitcnt vmcnt(2)
	v_fma_f32 v66, v87, v112, -v66
	v_fmac_f32_e32 v125, v88, v112
	v_add_f32_e32 v64, v64, v124
	v_add_f32_e32 v65, v65, v66
	v_add_f32_e32 v64, v64, v125
	s_waitcnt vmcnt(1)
	v_sub_f32_e32 v65, v113, v65
	s_waitcnt vmcnt(0)
	v_sub_f32_e32 v64, v114, v64
	buffer_store_dword v65, off, s[0:3], 0 offset:144
	buffer_store_dword v64, off, s[0:3], 0 offset:148
	s_and_saveexec_b64 s[4:5], vcc
	s_cbranch_execz .LBB94_165
; %bb.164:
	buffer_load_dword v64, off, s[0:3], 0 offset:136
	buffer_load_dword v65, off, s[0:3], 0 offset:140
	v_mov_b32_e32 v66, 0
	buffer_store_dword v66, off, s[0:3], 0 offset:136
	buffer_store_dword v66, off, s[0:3], 0 offset:140
	s_waitcnt vmcnt(2)
	ds_write_b64 v63, v[64:65]
.LBB94_165:
	s_or_b64 exec, exec, s[4:5]
	v_mov_b32_e32 v64, 0
	s_waitcnt lgkmcnt(0)
	; wave barrier
	ds_read_b128 v[65:68], v64 offset:400
	ds_read_b128 v[69:72], v64 offset:416
	;; [unrolled: 1-line block ×4, first 2 shown]
	buffer_load_dword v91, off, s[0:3], 0 offset:136
	buffer_load_dword v92, off, s[0:3], 0 offset:140
	;; [unrolled: 1-line block ×18, first 2 shown]
	v_cmp_lt_u32_e32 vcc, 16, v0
	s_waitcnt vmcnt(14) lgkmcnt(3)
	v_mul_f32_e32 v81, v65, v94
	v_fmac_f32_e32 v81, v66, v93
	s_waitcnt vmcnt(12)
	v_mul_f32_e32 v82, v67, v96
	v_add_f32_e32 v81, 0, v81
	v_fmac_f32_e32 v82, v68, v95
	v_add_f32_e32 v81, v81, v82
	s_waitcnt vmcnt(10) lgkmcnt(2)
	v_mul_f32_e32 v82, v69, v98
	v_fmac_f32_e32 v82, v70, v97
	v_add_f32_e32 v81, v81, v82
	s_waitcnt vmcnt(8)
	v_mul_f32_e32 v82, v71, v100
	v_fmac_f32_e32 v82, v72, v99
	v_add_f32_e32 v81, v81, v82
	s_waitcnt vmcnt(6) lgkmcnt(1)
	v_mul_f32_e32 v82, v73, v102
	v_fmac_f32_e32 v82, v74, v101
	v_add_f32_e32 v81, v81, v82
	s_waitcnt vmcnt(4)
	v_mul_f32_e32 v82, v75, v104
	;; [unrolled: 8-line block ×3, first 2 shown]
	v_fmac_f32_e32 v82, v80, v107
	v_add_f32_e32 v85, v81, v82
	ds_read_b128 v[81:84], v64 offset:464
	buffer_load_dword v109, off, s[0:3], 0 offset:208
	buffer_load_dword v110, off, s[0:3], 0 offset:212
	;; [unrolled: 1-line block ×4, first 2 shown]
	v_mul_f32_e32 v66, v66, v94
	v_fma_f32 v65, v65, v93, -v66
	v_mul_f32_e32 v66, v68, v96
	v_add_f32_e32 v65, 0, v65
	v_fma_f32 v66, v67, v95, -v66
	v_add_f32_e32 v65, v65, v66
	v_mul_f32_e32 v66, v70, v98
	v_fma_f32 v66, v69, v97, -v66
	v_add_f32_e32 v65, v65, v66
	v_mul_f32_e32 v66, v72, v100
	;; [unrolled: 3-line block ×6, first 2 shown]
	v_fma_f32 v66, v79, v107, -v66
	v_add_f32_e32 v65, v65, v66
	s_waitcnt vmcnt(2) lgkmcnt(0)
	v_mul_f32_e32 v86, v81, v110
	v_fmac_f32_e32 v86, v82, v109
	v_add_f32_e32 v85, v85, v86
	s_waitcnt vmcnt(0)
	v_mul_f32_e32 v86, v83, v112
	v_fmac_f32_e32 v86, v84, v111
	v_add_f32_e32 v89, v85, v86
	ds_read_b128 v[85:88], v64 offset:480
	buffer_load_dword v113, off, s[0:3], 0 offset:224
	buffer_load_dword v114, off, s[0:3], 0 offset:228
	;; [unrolled: 1-line block ×4, first 2 shown]
	v_mul_f32_e32 v66, v82, v110
	v_fma_f32 v66, v81, v109, -v66
	v_add_f32_e32 v65, v65, v66
	v_mul_f32_e32 v66, v84, v112
	v_fma_f32 v66, v83, v111, -v66
	v_add_f32_e32 v65, v65, v66
	s_waitcnt vmcnt(2) lgkmcnt(0)
	v_mul_f32_e32 v90, v85, v114
	v_fmac_f32_e32 v90, v86, v113
	v_add_f32_e32 v89, v89, v90
	s_waitcnt vmcnt(0)
	v_mul_f32_e32 v90, v87, v116
	v_fmac_f32_e32 v90, v88, v115
	v_add_f32_e32 v117, v89, v90
	ds_read_b64 v[89:90], v64 offset:496
	buffer_load_dword v118, off, s[0:3], 0 offset:240
	buffer_load_dword v119, off, s[0:3], 0 offset:244
	v_mul_f32_e32 v66, v86, v114
	v_fma_f32 v66, v85, v113, -v66
	v_add_f32_e32 v65, v65, v66
	v_mul_f32_e32 v66, v88, v116
	v_fma_f32 v66, v87, v115, -v66
	v_add_f32_e32 v65, v65, v66
	s_waitcnt vmcnt(0) lgkmcnt(0)
	v_mul_f32_e32 v66, v90, v119
	v_mul_f32_e32 v120, v89, v119
	v_fma_f32 v66, v89, v118, -v66
	v_fmac_f32_e32 v120, v90, v118
	v_add_f32_e32 v65, v65, v66
	v_add_f32_e32 v117, v117, v120
	v_sub_f32_e32 v65, v91, v65
	v_sub_f32_e32 v66, v92, v117
	buffer_store_dword v65, off, s[0:3], 0 offset:136
	buffer_store_dword v66, off, s[0:3], 0 offset:140
	s_and_saveexec_b64 s[4:5], vcc
	s_cbranch_execz .LBB94_167
; %bb.166:
	buffer_load_dword v65, off, s[0:3], 0 offset:128
	buffer_load_dword v66, off, s[0:3], 0 offset:132
	s_waitcnt vmcnt(0)
	ds_write_b64 v63, v[65:66]
	buffer_store_dword v64, off, s[0:3], 0 offset:128
	buffer_store_dword v64, off, s[0:3], 0 offset:132
.LBB94_167:
	s_or_b64 exec, exec, s[4:5]
	s_waitcnt lgkmcnt(0)
	; wave barrier
	ds_read2_b64 v[65:68], v64 offset0:49 offset1:50
	buffer_load_dword v93, off, s[0:3], 0 offset:128
	buffer_load_dword v94, off, s[0:3], 0 offset:132
	;; [unrolled: 1-line block ×16, first 2 shown]
	v_cmp_lt_u32_e32 vcc, 15, v0
	s_waitcnt vmcnt(12) lgkmcnt(0)
	v_mul_f32_e32 v69, v65, v96
	v_fmac_f32_e32 v69, v66, v95
	s_waitcnt vmcnt(10)
	v_mul_f32_e32 v70, v67, v98
	v_add_f32_e32 v69, 0, v69
	v_fmac_f32_e32 v70, v68, v97
	v_add_f32_e32 v73, v69, v70
	ds_read2_b64 v[69:72], v64 offset0:51 offset1:52
	v_mul_f32_e32 v66, v66, v96
	v_fma_f32 v65, v65, v95, -v66
	v_mul_f32_e32 v66, v68, v98
	v_add_f32_e32 v65, 0, v65
	s_waitcnt vmcnt(8) lgkmcnt(0)
	v_mul_f32_e32 v74, v69, v100
	v_fmac_f32_e32 v74, v70, v99
	v_add_f32_e32 v73, v73, v74
	s_waitcnt vmcnt(6)
	v_mul_f32_e32 v74, v71, v102
	v_fmac_f32_e32 v74, v72, v101
	v_add_f32_e32 v77, v73, v74
	ds_read2_b64 v[73:76], v64 offset0:53 offset1:54
	v_fma_f32 v66, v67, v97, -v66
	v_add_f32_e32 v65, v65, v66
	v_mul_f32_e32 v66, v70, v100
	v_fma_f32 v66, v69, v99, -v66
	s_waitcnt vmcnt(4) lgkmcnt(0)
	v_mul_f32_e32 v78, v73, v104
	v_fmac_f32_e32 v78, v74, v103
	v_add_f32_e32 v77, v77, v78
	s_waitcnt vmcnt(2)
	v_mul_f32_e32 v78, v75, v106
	v_fmac_f32_e32 v78, v76, v105
	v_add_f32_e32 v81, v77, v78
	ds_read2_b64 v[77:80], v64 offset0:55 offset1:56
	buffer_load_dword v109, off, s[0:3], 0 offset:192
	buffer_load_dword v110, off, s[0:3], 0 offset:196
	v_add_f32_e32 v65, v65, v66
	v_mul_f32_e32 v66, v72, v102
	v_fma_f32 v66, v71, v101, -v66
	s_waitcnt vmcnt(2) lgkmcnt(0)
	v_mul_f32_e32 v82, v77, v108
	v_fmac_f32_e32 v82, v78, v107
	v_add_f32_e32 v81, v81, v82
	v_add_f32_e32 v65, v65, v66
	v_mul_f32_e32 v66, v74, v104
	v_fma_f32 v66, v73, v103, -v66
	v_add_f32_e32 v65, v65, v66
	v_mul_f32_e32 v66, v76, v106
	v_fma_f32 v66, v75, v105, -v66
	v_add_f32_e32 v65, v65, v66
	v_mul_f32_e32 v66, v78, v108
	v_fma_f32 v66, v77, v107, -v66
	v_add_f32_e32 v65, v65, v66
	s_waitcnt vmcnt(0)
	v_mul_f32_e32 v82, v79, v110
	v_fmac_f32_e32 v82, v80, v109
	v_add_f32_e32 v85, v81, v82
	ds_read2_b64 v[81:84], v64 offset0:57 offset1:58
	buffer_load_dword v111, off, s[0:3], 0 offset:200
	buffer_load_dword v112, off, s[0:3], 0 offset:204
	;; [unrolled: 1-line block ×4, first 2 shown]
	v_mul_f32_e32 v66, v80, v110
	v_fma_f32 v66, v79, v109, -v66
	v_add_f32_e32 v65, v65, v66
	s_waitcnt vmcnt(2) lgkmcnt(0)
	v_mul_f32_e32 v86, v81, v112
	v_fmac_f32_e32 v86, v82, v111
	v_add_f32_e32 v85, v85, v86
	s_waitcnt vmcnt(0)
	v_mul_f32_e32 v86, v83, v114
	v_fmac_f32_e32 v86, v84, v113
	v_add_f32_e32 v89, v85, v86
	ds_read2_b64 v[85:88], v64 offset0:59 offset1:60
	buffer_load_dword v115, off, s[0:3], 0 offset:216
	buffer_load_dword v116, off, s[0:3], 0 offset:220
	;; [unrolled: 1-line block ×4, first 2 shown]
	v_mul_f32_e32 v66, v82, v112
	v_fma_f32 v66, v81, v111, -v66
	v_add_f32_e32 v65, v65, v66
	v_mul_f32_e32 v66, v84, v114
	v_fma_f32 v66, v83, v113, -v66
	v_add_f32_e32 v65, v65, v66
	s_waitcnt vmcnt(2) lgkmcnt(0)
	v_mul_f32_e32 v90, v85, v116
	v_fmac_f32_e32 v90, v86, v115
	v_add_f32_e32 v89, v89, v90
	s_waitcnt vmcnt(0)
	v_mul_f32_e32 v90, v87, v118
	v_fmac_f32_e32 v90, v88, v117
	v_add_f32_e32 v119, v89, v90
	ds_read2_b64 v[89:92], v64 offset0:61 offset1:62
	buffer_load_dword v64, off, s[0:3], 0 offset:232
	buffer_load_dword v120, off, s[0:3], 0 offset:236
	v_mul_f32_e32 v66, v86, v116
	v_fma_f32 v66, v85, v115, -v66
	v_add_f32_e32 v65, v65, v66
	v_mul_f32_e32 v66, v88, v118
	v_fma_f32 v66, v87, v117, -v66
	v_add_f32_e32 v65, v65, v66
	s_waitcnt vmcnt(0) lgkmcnt(0)
	v_mul_f32_e32 v121, v89, v120
	v_fmac_f32_e32 v121, v90, v64
	v_add_f32_e32 v119, v119, v121
	buffer_load_dword v121, off, s[0:3], 0 offset:240
	buffer_load_dword v122, off, s[0:3], 0 offset:244
	v_mul_f32_e32 v66, v90, v120
	v_fma_f32 v64, v89, v64, -v66
	v_add_f32_e32 v64, v65, v64
	s_waitcnt vmcnt(0)
	v_mul_f32_e32 v65, v92, v122
	v_mul_f32_e32 v123, v91, v122
	v_fma_f32 v65, v91, v121, -v65
	v_fmac_f32_e32 v123, v92, v121
	v_add_f32_e32 v64, v64, v65
	v_add_f32_e32 v119, v119, v123
	v_sub_f32_e32 v64, v93, v64
	v_sub_f32_e32 v65, v94, v119
	buffer_store_dword v64, off, s[0:3], 0 offset:128
	buffer_store_dword v65, off, s[0:3], 0 offset:132
	s_and_saveexec_b64 s[4:5], vcc
	s_cbranch_execz .LBB94_169
; %bb.168:
	buffer_load_dword v64, off, s[0:3], 0 offset:120
	buffer_load_dword v65, off, s[0:3], 0 offset:124
	v_mov_b32_e32 v66, 0
	buffer_store_dword v66, off, s[0:3], 0 offset:120
	buffer_store_dword v66, off, s[0:3], 0 offset:124
	s_waitcnt vmcnt(2)
	ds_write_b64 v63, v[64:65]
.LBB94_169:
	s_or_b64 exec, exec, s[4:5]
	s_waitcnt lgkmcnt(0)
	; wave barrier
	buffer_load_dword v95, off, s[0:3], 0 offset:132
	buffer_load_dword v96, off, s[0:3], 0 offset:140
	buffer_load_dword v97, off, s[0:3], 0 offset:148
	buffer_load_dword v98, off, s[0:3], 0 offset:156
	buffer_load_dword v99, off, s[0:3], 0 offset:164
	buffer_load_dword v100, off, s[0:3], 0 offset:172
	buffer_load_dword v101, off, s[0:3], 0 offset:180
	buffer_load_dword v102, off, s[0:3], 0 offset:188
	buffer_load_dword v103, off, s[0:3], 0 offset:196
	buffer_load_dword v104, off, s[0:3], 0 offset:204
	buffer_load_dword v105, off, s[0:3], 0 offset:212
	buffer_load_dword v106, off, s[0:3], 0 offset:220
	buffer_load_dword v107, off, s[0:3], 0 offset:228
	buffer_load_dword v108, off, s[0:3], 0 offset:236
	buffer_load_dword v109, off, s[0:3], 0 offset:244
	buffer_load_dword v110, off, s[0:3], 0 offset:128
	buffer_load_dword v111, off, s[0:3], 0 offset:136
	buffer_load_dword v112, off, s[0:3], 0 offset:144
	buffer_load_dword v113, off, s[0:3], 0 offset:152
	buffer_load_dword v114, off, s[0:3], 0 offset:160
	buffer_load_dword v115, off, s[0:3], 0 offset:168
	buffer_load_dword v116, off, s[0:3], 0 offset:176
	buffer_load_dword v117, off, s[0:3], 0 offset:184
	buffer_load_dword v118, off, s[0:3], 0 offset:192
	buffer_load_dword v119, off, s[0:3], 0 offset:200
	buffer_load_dword v120, off, s[0:3], 0 offset:208
	buffer_load_dword v121, off, s[0:3], 0 offset:216
	buffer_load_dword v122, off, s[0:3], 0 offset:224
	buffer_load_dword v123, off, s[0:3], 0 offset:232
	buffer_load_dword v124, off, s[0:3], 0 offset:240
	buffer_load_dword v125, off, s[0:3], 0 offset:120
	buffer_load_dword v126, off, s[0:3], 0 offset:124
	v_mov_b32_e32 v64, 0
	ds_read_b128 v[65:68], v64 offset:384
	ds_read_b128 v[69:72], v64 offset:400
	;; [unrolled: 1-line block ×7, first 2 shown]
	ds_read_b64 v[93:94], v64 offset:496
	v_cmp_lt_u32_e32 vcc, 14, v0
	s_waitcnt vmcnt(31) lgkmcnt(7)
	v_mul_f32_e32 v127, v65, v95
	v_mul_f32_e32 v95, v66, v95
	s_waitcnt vmcnt(30)
	v_mul_f32_e32 v128, v67, v96
	v_mul_f32_e32 v96, v68, v96
	s_waitcnt vmcnt(29) lgkmcnt(6)
	v_mul_f32_e32 v129, v69, v97
	v_mul_f32_e32 v97, v70, v97
	s_waitcnt vmcnt(28)
	v_mul_f32_e32 v130, v71, v98
	s_waitcnt vmcnt(27) lgkmcnt(5)
	v_mul_f32_e32 v131, v73, v99
	s_waitcnt vmcnt(26)
	v_mul_f32_e32 v132, v75, v100
	s_waitcnt vmcnt(25) lgkmcnt(4)
	;; [unrolled: 4-line block ×4, first 2 shown]
	v_mul_f32_e32 v137, v85, v105
	s_waitcnt vmcnt(20)
	v_mul_f32_e32 v138, v87, v106
	s_waitcnt vmcnt(16)
	v_fma_f32 v65, v65, v110, -v95
	v_fmac_f32_e32 v127, v66, v110
	s_waitcnt vmcnt(15)
	v_fma_f32 v66, v67, v111, -v96
	v_add_f32_e32 v65, 0, v65
	s_waitcnt vmcnt(14)
	v_fma_f32 v67, v69, v112, -v97
	v_add_f32_e32 v65, v65, v66
	v_add_f32_e32 v65, v65, v67
	v_mul_f32_e32 v67, v72, v98
	s_waitcnt vmcnt(13)
	v_fma_f32 v67, v71, v113, -v67
	v_add_f32_e32 v65, v65, v67
	v_mul_f32_e32 v67, v74, v99
	s_waitcnt vmcnt(12)
	v_fma_f32 v67, v73, v114, -v67
	;; [unrolled: 4-line block ×5, first 2 shown]
	v_add_f32_e32 v65, v65, v67
	v_mul_f32_e32 v67, v82, v103
	v_fmac_f32_e32 v128, v68, v111
	v_add_f32_e32 v68, 0, v127
	s_waitcnt vmcnt(8)
	v_fma_f32 v67, v81, v118, -v67
	v_fmac_f32_e32 v129, v70, v112
	v_add_f32_e32 v68, v68, v128
	v_add_f32_e32 v65, v65, v67
	v_mul_f32_e32 v67, v84, v104
	v_fmac_f32_e32 v130, v72, v113
	v_add_f32_e32 v66, v68, v129
	s_waitcnt vmcnt(7)
	v_fma_f32 v67, v83, v119, -v67
	v_fmac_f32_e32 v131, v74, v114
	v_add_f32_e32 v66, v66, v130
	;; [unrolled: 8-line block ×4, first 2 shown]
	v_add_f32_e32 v65, v65, v67
	s_waitcnt lgkmcnt(1)
	v_mul_f32_e32 v67, v90, v107
	v_fmac_f32_e32 v136, v84, v119
	v_add_f32_e32 v66, v66, v135
	s_waitcnt vmcnt(4)
	v_fma_f32 v67, v89, v122, -v67
	v_fmac_f32_e32 v137, v86, v120
	v_add_f32_e32 v66, v66, v136
	v_add_f32_e32 v65, v65, v67
	v_mul_f32_e32 v67, v92, v108
	v_mul_f32_e32 v139, v89, v107
	v_fmac_f32_e32 v138, v88, v121
	v_add_f32_e32 v66, v66, v137
	s_waitcnt vmcnt(3)
	v_fma_f32 v67, v91, v123, -v67
	v_mul_f32_e32 v140, v91, v108
	v_fmac_f32_e32 v139, v90, v122
	v_add_f32_e32 v66, v66, v138
	v_add_f32_e32 v65, v65, v67
	s_waitcnt lgkmcnt(0)
	v_mul_f32_e32 v67, v94, v109
	v_mul_f32_e32 v141, v93, v109
	v_fmac_f32_e32 v140, v92, v123
	v_add_f32_e32 v66, v66, v139
	s_waitcnt vmcnt(2)
	v_fma_f32 v67, v93, v124, -v67
	v_fmac_f32_e32 v141, v94, v124
	v_add_f32_e32 v66, v66, v140
	v_add_f32_e32 v65, v65, v67
	;; [unrolled: 1-line block ×3, first 2 shown]
	s_waitcnt vmcnt(1)
	v_sub_f32_e32 v65, v125, v65
	s_waitcnt vmcnt(0)
	v_sub_f32_e32 v66, v126, v66
	buffer_store_dword v65, off, s[0:3], 0 offset:120
	buffer_store_dword v66, off, s[0:3], 0 offset:124
	s_and_saveexec_b64 s[4:5], vcc
	s_cbranch_execz .LBB94_171
; %bb.170:
	buffer_load_dword v65, off, s[0:3], 0 offset:112
	buffer_load_dword v66, off, s[0:3], 0 offset:116
	s_waitcnt vmcnt(0)
	ds_write_b64 v63, v[65:66]
	buffer_store_dword v64, off, s[0:3], 0 offset:112
	buffer_store_dword v64, off, s[0:3], 0 offset:116
.LBB94_171:
	s_or_b64 exec, exec, s[4:5]
	s_waitcnt lgkmcnt(0)
	; wave barrier
	buffer_load_dword v97, off, s[0:3], 0 offset:124
	buffer_load_dword v98, off, s[0:3], 0 offset:132
	;; [unrolled: 1-line block ×34, first 2 shown]
	ds_read2_b64 v[65:68], v64 offset0:47 offset1:48
	ds_read2_b64 v[69:72], v64 offset0:49 offset1:50
	;; [unrolled: 1-line block ×8, first 2 shown]
	v_cmp_lt_u32_e32 vcc, 13, v0
	s_waitcnt vmcnt(33) lgkmcnt(7)
	v_mul_f32_e32 v64, v65, v97
	v_mul_f32_e32 v97, v66, v97
	s_waitcnt vmcnt(32)
	v_mul_f32_e32 v131, v67, v98
	v_mul_f32_e32 v98, v68, v98
	s_waitcnt vmcnt(31) lgkmcnt(6)
	v_mul_f32_e32 v132, v69, v99
	s_waitcnt vmcnt(30)
	v_mul_f32_e32 v133, v71, v100
	s_waitcnt vmcnt(29) lgkmcnt(5)
	v_mul_f32_e32 v134, v73, v101
	s_waitcnt vmcnt(28)
	;; [unrolled: 4-line block ×6, first 2 shown]
	v_mul_f32_e32 v143, v91, v110
	s_waitcnt vmcnt(17)
	v_fma_f32 v65, v65, v113, -v97
	v_fmac_f32_e32 v64, v66, v113
	s_waitcnt vmcnt(16)
	v_fma_f32 v66, v67, v114, -v98
	v_add_f32_e32 v65, 0, v65
	v_add_f32_e32 v65, v65, v66
	v_mul_f32_e32 v66, v70, v99
	s_waitcnt vmcnt(15)
	v_fma_f32 v66, v69, v115, -v66
	v_add_f32_e32 v65, v65, v66
	v_mul_f32_e32 v66, v72, v100
	s_waitcnt vmcnt(14)
	v_fma_f32 v66, v71, v116, -v66
	;; [unrolled: 4-line block ×7, first 2 shown]
	v_fmac_f32_e32 v131, v68, v114
	v_add_f32_e32 v64, 0, v64
	v_add_f32_e32 v65, v65, v66
	v_mul_f32_e32 v66, v84, v106
	v_fmac_f32_e32 v132, v70, v115
	v_add_f32_e32 v64, v64, v131
	s_waitcnt vmcnt(8)
	v_fma_f32 v66, v83, v122, -v66
	v_fmac_f32_e32 v133, v72, v116
	v_add_f32_e32 v64, v64, v132
	v_add_f32_e32 v65, v65, v66
	v_mul_f32_e32 v66, v86, v107
	v_fmac_f32_e32 v134, v74, v117
	v_add_f32_e32 v64, v64, v133
	s_waitcnt vmcnt(7)
	v_fma_f32 v66, v85, v123, -v66
	;; [unrolled: 8-line block ×5, first 2 shown]
	v_fmac_f32_e32 v141, v88, v124
	v_add_f32_e32 v64, v64, v140
	v_add_f32_e32 v65, v65, v66
	s_waitcnt lgkmcnt(0)
	v_mul_f32_e32 v66, v94, v111
	v_fmac_f32_e32 v142, v90, v125
	v_add_f32_e32 v64, v64, v141
	s_waitcnt vmcnt(3)
	v_fma_f32 v66, v93, v127, -v66
	v_mul_f32_e32 v144, v93, v111
	v_fmac_f32_e32 v143, v92, v126
	v_add_f32_e32 v64, v64, v142
	v_add_f32_e32 v65, v65, v66
	v_mul_f32_e32 v66, v96, v112
	v_mul_f32_e32 v145, v95, v112
	v_fmac_f32_e32 v144, v94, v127
	v_add_f32_e32 v64, v64, v143
	s_waitcnt vmcnt(2)
	v_fma_f32 v66, v95, v128, -v66
	v_fmac_f32_e32 v145, v96, v128
	v_add_f32_e32 v64, v64, v144
	v_add_f32_e32 v65, v65, v66
	;; [unrolled: 1-line block ×3, first 2 shown]
	s_waitcnt vmcnt(1)
	v_sub_f32_e32 v65, v129, v65
	s_waitcnt vmcnt(0)
	v_sub_f32_e32 v64, v130, v64
	buffer_store_dword v65, off, s[0:3], 0 offset:112
	buffer_store_dword v64, off, s[0:3], 0 offset:116
	s_and_saveexec_b64 s[4:5], vcc
	s_cbranch_execz .LBB94_173
; %bb.172:
	buffer_load_dword v64, off, s[0:3], 0 offset:104
	buffer_load_dword v65, off, s[0:3], 0 offset:108
	v_mov_b32_e32 v66, 0
	buffer_store_dword v66, off, s[0:3], 0 offset:104
	buffer_store_dword v66, off, s[0:3], 0 offset:108
	s_waitcnt vmcnt(2)
	ds_write_b64 v63, v[64:65]
.LBB94_173:
	s_or_b64 exec, exec, s[4:5]
	s_waitcnt lgkmcnt(0)
	; wave barrier
	buffer_load_dword v99, off, s[0:3], 0 offset:116
	buffer_load_dword v100, off, s[0:3], 0 offset:124
	;; [unrolled: 1-line block ×36, first 2 shown]
	v_mov_b32_e32 v64, 0
	ds_read_b128 v[65:68], v64 offset:368
	ds_read_b128 v[69:72], v64 offset:384
	;; [unrolled: 1-line block ×8, first 2 shown]
	ds_read_b64 v[97:98], v64 offset:496
	v_cmp_lt_u32_e32 vcc, 12, v0
	s_waitcnt vmcnt(35) lgkmcnt(8)
	v_mul_f32_e32 v135, v65, v99
	s_waitcnt vmcnt(34)
	v_mul_f32_e32 v136, v67, v100
	s_waitcnt vmcnt(33) lgkmcnt(7)
	v_mul_f32_e32 v137, v69, v101
	s_waitcnt vmcnt(32)
	v_mul_f32_e32 v138, v71, v102
	;; [unrolled: 4-line block ×8, first 2 shown]
	s_waitcnt vmcnt(19) lgkmcnt(0)
	v_mul_f32_e32 v151, v97, v115
	s_waitcnt vmcnt(18)
	v_fmac_f32_e32 v135, v66, v116
	v_mul_f32_e32 v66, v66, v99
	v_fma_f32 v65, v65, v116, -v66
	v_mul_f32_e32 v66, v68, v100
	v_add_f32_e32 v65, 0, v65
	s_waitcnt vmcnt(17)
	v_fma_f32 v66, v67, v117, -v66
	v_add_f32_e32 v65, v65, v66
	v_mul_f32_e32 v66, v70, v101
	s_waitcnt vmcnt(16)
	v_fma_f32 v66, v69, v118, -v66
	v_add_f32_e32 v65, v65, v66
	v_mul_f32_e32 v66, v72, v102
	;; [unrolled: 4-line block ×8, first 2 shown]
	v_fmac_f32_e32 v136, v68, v117
	v_add_f32_e32 v135, 0, v135
	s_waitcnt vmcnt(9)
	v_fma_f32 v66, v83, v125, -v66
	v_fmac_f32_e32 v137, v70, v118
	v_add_f32_e32 v135, v135, v136
	v_add_f32_e32 v65, v65, v66
	v_mul_f32_e32 v66, v86, v109
	v_fmac_f32_e32 v138, v72, v119
	v_add_f32_e32 v135, v135, v137
	s_waitcnt vmcnt(8)
	v_fma_f32 v66, v85, v126, -v66
	v_fmac_f32_e32 v139, v74, v120
	v_add_f32_e32 v135, v135, v138
	v_add_f32_e32 v65, v65, v66
	v_mul_f32_e32 v66, v88, v110
	;; [unrolled: 8-line block ×7, first 2 shown]
	v_fmac_f32_e32 v150, v96, v131
	v_add_f32_e32 v135, v135, v149
	s_waitcnt vmcnt(2)
	v_fma_f32 v66, v97, v132, -v66
	v_fmac_f32_e32 v151, v98, v132
	v_add_f32_e32 v135, v135, v150
	v_add_f32_e32 v65, v65, v66
	;; [unrolled: 1-line block ×3, first 2 shown]
	s_waitcnt vmcnt(1)
	v_sub_f32_e32 v65, v133, v65
	s_waitcnt vmcnt(0)
	v_sub_f32_e32 v66, v134, v135
	buffer_store_dword v65, off, s[0:3], 0 offset:104
	buffer_store_dword v66, off, s[0:3], 0 offset:108
	s_and_saveexec_b64 s[4:5], vcc
	s_cbranch_execz .LBB94_175
; %bb.174:
	buffer_load_dword v65, off, s[0:3], 0 offset:96
	buffer_load_dword v66, off, s[0:3], 0 offset:100
	s_waitcnt vmcnt(0)
	ds_write_b64 v63, v[65:66]
	buffer_store_dword v64, off, s[0:3], 0 offset:96
	buffer_store_dword v64, off, s[0:3], 0 offset:100
.LBB94_175:
	s_or_b64 exec, exec, s[4:5]
	s_waitcnt lgkmcnt(0)
	; wave barrier
	buffer_load_dword v101, off, s[0:3], 0 offset:108
	buffer_load_dword v102, off, s[0:3], 0 offset:116
	;; [unrolled: 1-line block ×38, first 2 shown]
	ds_read2_b64 v[65:68], v64 offset0:45 offset1:46
	ds_read2_b64 v[69:72], v64 offset0:47 offset1:48
	;; [unrolled: 1-line block ×9, first 2 shown]
	v_cmp_lt_u32_e32 vcc, 11, v0
	s_waitcnt vmcnt(37) lgkmcnt(8)
	v_mul_f32_e32 v64, v65, v101
	s_waitcnt vmcnt(36)
	v_mul_f32_e32 v139, v67, v102
	s_waitcnt vmcnt(35) lgkmcnt(7)
	v_mul_f32_e32 v140, v69, v103
	s_waitcnt vmcnt(34)
	v_mul_f32_e32 v141, v71, v104
	;; [unrolled: 4-line block ×8, first 2 shown]
	s_waitcnt vmcnt(21) lgkmcnt(0)
	v_mul_f32_e32 v154, v97, v117
	s_waitcnt vmcnt(20)
	v_fmac_f32_e32 v64, v66, v118
	v_mul_f32_e32 v66, v66, v101
	v_fma_f32 v65, v65, v118, -v66
	v_mul_f32_e32 v66, v68, v102
	v_add_f32_e32 v65, 0, v65
	s_waitcnt vmcnt(19)
	v_fma_f32 v66, v67, v119, -v66
	v_add_f32_e32 v65, v65, v66
	v_mul_f32_e32 v66, v70, v103
	s_waitcnt vmcnt(18)
	v_fma_f32 v66, v69, v120, -v66
	v_add_f32_e32 v65, v65, v66
	v_mul_f32_e32 v66, v72, v104
	;; [unrolled: 4-line block ×8, first 2 shown]
	s_waitcnt vmcnt(11)
	v_fma_f32 v66, v83, v127, -v66
	v_fmac_f32_e32 v139, v68, v119
	v_add_f32_e32 v64, 0, v64
	v_add_f32_e32 v65, v65, v66
	v_mul_f32_e32 v66, v86, v111
	v_fmac_f32_e32 v140, v70, v120
	v_add_f32_e32 v64, v64, v139
	s_waitcnt vmcnt(10)
	v_fma_f32 v66, v85, v128, -v66
	v_fmac_f32_e32 v141, v72, v121
	v_add_f32_e32 v64, v64, v140
	v_add_f32_e32 v65, v65, v66
	v_mul_f32_e32 v66, v88, v112
	v_fmac_f32_e32 v142, v74, v122
	v_add_f32_e32 v64, v64, v141
	;; [unrolled: 8-line block ×7, first 2 shown]
	s_waitcnt vmcnt(4)
	v_fma_f32 v66, v97, v134, -v66
	v_fmac_f32_e32 v153, v96, v133
	v_add_f32_e32 v64, v64, v152
	v_add_f32_e32 v65, v65, v66
	s_waitcnt vmcnt(3)
	v_mul_f32_e32 v66, v100, v135
	v_add_f32_e32 v64, v64, v153
	v_fmac_f32_e32 v154, v98, v134
	v_mul_f32_e32 v139, v99, v135
	s_waitcnt vmcnt(2)
	v_fma_f32 v66, v99, v136, -v66
	v_add_f32_e32 v64, v64, v154
	v_fmac_f32_e32 v139, v100, v136
	v_add_f32_e32 v65, v65, v66
	v_add_f32_e32 v64, v64, v139
	s_waitcnt vmcnt(1)
	v_sub_f32_e32 v65, v137, v65
	s_waitcnt vmcnt(0)
	v_sub_f32_e32 v64, v138, v64
	buffer_store_dword v65, off, s[0:3], 0 offset:96
	buffer_store_dword v64, off, s[0:3], 0 offset:100
	s_and_saveexec_b64 s[4:5], vcc
	s_cbranch_execz .LBB94_177
; %bb.176:
	buffer_load_dword v64, off, s[0:3], 0 offset:88
	buffer_load_dword v65, off, s[0:3], 0 offset:92
	v_mov_b32_e32 v66, 0
	buffer_store_dword v66, off, s[0:3], 0 offset:88
	buffer_store_dword v66, off, s[0:3], 0 offset:92
	s_waitcnt vmcnt(2)
	ds_write_b64 v63, v[64:65]
.LBB94_177:
	s_or_b64 exec, exec, s[4:5]
	s_waitcnt lgkmcnt(0)
	; wave barrier
	buffer_load_dword v103, off, s[0:3], 0 offset:100
	buffer_load_dword v104, off, s[0:3], 0 offset:108
	;; [unrolled: 1-line block ×40, first 2 shown]
	v_mov_b32_e32 v64, 0
	ds_read_b128 v[65:68], v64 offset:352
	ds_read_b128 v[69:72], v64 offset:368
	;; [unrolled: 1-line block ×9, first 2 shown]
	v_cmp_lt_u32_e32 vcc, 10, v0
	s_waitcnt vmcnt(39) lgkmcnt(8)
	v_mul_f32_e32 v101, v65, v103
	s_waitcnt vmcnt(38)
	v_mul_f32_e32 v102, v67, v104
	s_waitcnt vmcnt(37) lgkmcnt(7)
	v_mul_f32_e32 v143, v69, v105
	s_waitcnt vmcnt(36)
	v_mul_f32_e32 v144, v71, v106
	;; [unrolled: 4-line block ×7, first 2 shown]
	s_waitcnt vmcnt(25) lgkmcnt(1)
	v_mul_f32_e32 v155, v93, v117
	s_waitcnt vmcnt(24)
	v_fmac_f32_e32 v101, v66, v118
	v_mul_f32_e32 v66, v66, v103
	v_fma_f32 v65, v65, v118, -v66
	v_mul_f32_e32 v66, v68, v104
	v_add_f32_e32 v65, 0, v65
	s_waitcnt vmcnt(23)
	v_fma_f32 v66, v67, v119, -v66
	v_add_f32_e32 v65, v65, v66
	v_mul_f32_e32 v66, v70, v105
	s_waitcnt vmcnt(22)
	v_fma_f32 v66, v69, v120, -v66
	v_add_f32_e32 v65, v65, v66
	v_mul_f32_e32 v66, v72, v106
	;; [unrolled: 4-line block ×6, first 2 shown]
	s_waitcnt vmcnt(17)
	v_fma_f32 v66, v79, v125, -v66
	v_fmac_f32_e32 v102, v68, v119
	v_add_f32_e32 v101, 0, v101
	v_add_f32_e32 v65, v65, v66
	v_mul_f32_e32 v66, v82, v111
	v_fmac_f32_e32 v143, v70, v120
	v_add_f32_e32 v101, v101, v102
	s_waitcnt vmcnt(16)
	v_fma_f32 v66, v81, v126, -v66
	v_fmac_f32_e32 v144, v72, v121
	v_add_f32_e32 v101, v101, v143
	v_add_f32_e32 v65, v65, v66
	v_mul_f32_e32 v66, v84, v112
	v_fmac_f32_e32 v145, v74, v122
	v_add_f32_e32 v101, v101, v144
	;; [unrolled: 8-line block ×6, first 2 shown]
	s_waitcnt vmcnt(11)
	v_fma_f32 v66, v91, v131, -v66
	v_fmac_f32_e32 v154, v92, v131
	v_add_f32_e32 v101, v101, v153
	v_add_f32_e32 v65, v65, v66
	v_mul_f32_e32 v66, v94, v117
	s_waitcnt vmcnt(10)
	v_fmac_f32_e32 v155, v94, v132
	v_add_f32_e32 v101, v101, v154
	s_waitcnt vmcnt(9)
	v_mul_f32_e32 v102, v95, v133
	v_fma_f32 v66, v93, v132, -v66
	v_add_f32_e32 v101, v101, v155
	s_waitcnt vmcnt(8)
	v_fmac_f32_e32 v102, v96, v134
	v_add_f32_e32 v65, v65, v66
	v_mul_f32_e32 v66, v96, v133
	v_add_f32_e32 v143, v101, v102
	ds_read_b64 v[101:102], v64 offset:496
	v_fma_f32 v66, v95, v134, -v66
	v_add_f32_e32 v65, v65, v66
	s_waitcnt vmcnt(7) lgkmcnt(1)
	v_mul_f32_e32 v66, v98, v135
	v_mul_f32_e32 v144, v97, v135
	s_waitcnt vmcnt(6)
	v_fma_f32 v66, v97, v136, -v66
	v_fmac_f32_e32 v144, v98, v136
	v_add_f32_e32 v65, v65, v66
	s_waitcnt vmcnt(5)
	v_mul_f32_e32 v66, v100, v137
	v_add_f32_e32 v143, v143, v144
	v_mul_f32_e32 v144, v99, v137
	s_waitcnt vmcnt(4)
	v_fma_f32 v66, v99, v138, -v66
	v_fmac_f32_e32 v144, v100, v138
	v_add_f32_e32 v65, v65, v66
	s_waitcnt vmcnt(3) lgkmcnt(0)
	v_mul_f32_e32 v66, v102, v139
	v_add_f32_e32 v143, v143, v144
	v_mul_f32_e32 v144, v101, v139
	s_waitcnt vmcnt(2)
	v_fma_f32 v66, v101, v140, -v66
	v_fmac_f32_e32 v144, v102, v140
	v_add_f32_e32 v65, v65, v66
	v_add_f32_e32 v143, v143, v144
	s_waitcnt vmcnt(1)
	v_sub_f32_e32 v65, v141, v65
	s_waitcnt vmcnt(0)
	v_sub_f32_e32 v66, v142, v143
	buffer_store_dword v65, off, s[0:3], 0 offset:88
	buffer_store_dword v66, off, s[0:3], 0 offset:92
	s_and_saveexec_b64 s[4:5], vcc
	s_cbranch_execz .LBB94_179
; %bb.178:
	buffer_load_dword v65, off, s[0:3], 0 offset:80
	buffer_load_dword v66, off, s[0:3], 0 offset:84
	s_waitcnt vmcnt(0)
	ds_write_b64 v63, v[65:66]
	buffer_store_dword v64, off, s[0:3], 0 offset:80
	buffer_store_dword v64, off, s[0:3], 0 offset:84
.LBB94_179:
	s_or_b64 exec, exec, s[4:5]
	s_waitcnt lgkmcnt(0)
	; wave barrier
	buffer_load_dword v105, off, s[0:3], 0 offset:92
	buffer_load_dword v106, off, s[0:3], 0 offset:100
	;; [unrolled: 1-line block ×42, first 2 shown]
	ds_read2_b64 v[65:68], v64 offset0:43 offset1:44
	ds_read2_b64 v[69:72], v64 offset0:45 offset1:46
	;; [unrolled: 1-line block ×8, first 2 shown]
	v_cmp_lt_u32_e32 vcc, 9, v0
	s_waitcnt vmcnt(41) lgkmcnt(7)
	v_mul_f32_e32 v97, v65, v105
	s_waitcnt vmcnt(40)
	v_mul_f32_e32 v98, v67, v106
	s_waitcnt vmcnt(39) lgkmcnt(6)
	v_mul_f32_e32 v99, v69, v107
	s_waitcnt vmcnt(38)
	v_mul_f32_e32 v100, v71, v108
	;; [unrolled: 4-line block ×7, first 2 shown]
	s_waitcnt vmcnt(27) lgkmcnt(0)
	v_mul_f32_e32 v153, v93, v119
	s_waitcnt vmcnt(26)
	v_fmac_f32_e32 v97, v66, v120
	v_mul_f32_e32 v66, v66, v105
	v_fma_f32 v65, v65, v120, -v66
	v_mul_f32_e32 v66, v68, v106
	v_add_f32_e32 v65, 0, v65
	s_waitcnt vmcnt(25)
	v_fma_f32 v66, v67, v121, -v66
	v_add_f32_e32 v65, v65, v66
	v_mul_f32_e32 v66, v70, v107
	s_waitcnt vmcnt(24)
	v_fma_f32 v66, v69, v122, -v66
	v_add_f32_e32 v65, v65, v66
	v_mul_f32_e32 v66, v72, v108
	;; [unrolled: 4-line block ×5, first 2 shown]
	v_fmac_f32_e32 v98, v68, v121
	v_add_f32_e32 v97, 0, v97
	s_waitcnt vmcnt(20)
	v_fma_f32 v66, v77, v126, -v66
	v_fmac_f32_e32 v99, v70, v122
	v_add_f32_e32 v97, v97, v98
	v_add_f32_e32 v65, v65, v66
	v_mul_f32_e32 v66, v80, v112
	v_fmac_f32_e32 v100, v72, v123
	v_add_f32_e32 v97, v97, v99
	s_waitcnt vmcnt(19)
	v_fma_f32 v66, v79, v127, -v66
	v_fmac_f32_e32 v101, v74, v124
	v_add_f32_e32 v97, v97, v100
	v_add_f32_e32 v65, v65, v66
	v_mul_f32_e32 v66, v82, v113
	;; [unrolled: 8-line block ×5, first 2 shown]
	s_waitcnt vmcnt(15)
	v_fmac_f32_e32 v150, v88, v131
	v_add_f32_e32 v97, v97, v149
	v_fma_f32 v66, v87, v131, -v66
	s_waitcnt vmcnt(14)
	v_fmac_f32_e32 v151, v90, v132
	v_add_f32_e32 v97, v97, v150
	v_add_f32_e32 v65, v65, v66
	v_mul_f32_e32 v66, v90, v117
	s_waitcnt vmcnt(13)
	v_fmac_f32_e32 v152, v92, v133
	v_add_f32_e32 v97, v97, v151
	v_fma_f32 v66, v89, v132, -v66
	s_waitcnt vmcnt(12)
	v_fmac_f32_e32 v153, v94, v134
	v_add_f32_e32 v97, v97, v152
	v_add_f32_e32 v65, v65, v66
	v_mul_f32_e32 v66, v92, v118
	v_add_f32_e32 v101, v97, v153
	ds_read2_b64 v[97:100], v64 offset0:59 offset1:60
	v_fma_f32 v66, v91, v133, -v66
	v_add_f32_e32 v65, v65, v66
	v_mul_f32_e32 v66, v94, v119
	s_waitcnt vmcnt(11)
	v_mul_f32_e32 v102, v95, v135
	v_fma_f32 v66, v93, v134, -v66
	s_waitcnt vmcnt(10)
	v_fmac_f32_e32 v102, v96, v136
	v_add_f32_e32 v65, v65, v66
	v_mul_f32_e32 v66, v96, v135
	v_add_f32_e32 v147, v101, v102
	ds_read2_b64 v[101:104], v64 offset0:61 offset1:62
	v_fma_f32 v66, v95, v136, -v66
	v_add_f32_e32 v65, v65, v66
	s_waitcnt vmcnt(9) lgkmcnt(1)
	v_mul_f32_e32 v66, v98, v137
	v_mul_f32_e32 v64, v97, v137
	s_waitcnt vmcnt(8)
	v_fma_f32 v66, v97, v138, -v66
	v_fmac_f32_e32 v64, v98, v138
	v_add_f32_e32 v65, v65, v66
	s_waitcnt vmcnt(7)
	v_mul_f32_e32 v66, v100, v139
	v_add_f32_e32 v64, v147, v64
	v_mul_f32_e32 v147, v99, v139
	s_waitcnt vmcnt(6)
	v_fma_f32 v66, v99, v140, -v66
	v_fmac_f32_e32 v147, v100, v140
	v_add_f32_e32 v65, v65, v66
	s_waitcnt vmcnt(5) lgkmcnt(0)
	v_mul_f32_e32 v66, v102, v141
	v_add_f32_e32 v64, v64, v147
	v_mul_f32_e32 v147, v101, v141
	s_waitcnt vmcnt(4)
	v_fma_f32 v66, v101, v142, -v66
	v_fmac_f32_e32 v147, v102, v142
	v_add_f32_e32 v65, v65, v66
	s_waitcnt vmcnt(3)
	v_mul_f32_e32 v66, v104, v143
	v_add_f32_e32 v64, v64, v147
	v_mul_f32_e32 v147, v103, v143
	s_waitcnt vmcnt(2)
	v_fma_f32 v66, v103, v144, -v66
	v_fmac_f32_e32 v147, v104, v144
	v_add_f32_e32 v65, v65, v66
	v_add_f32_e32 v64, v64, v147
	s_waitcnt vmcnt(1)
	v_sub_f32_e32 v65, v145, v65
	s_waitcnt vmcnt(0)
	v_sub_f32_e32 v64, v146, v64
	buffer_store_dword v65, off, s[0:3], 0 offset:80
	buffer_store_dword v64, off, s[0:3], 0 offset:84
	s_and_saveexec_b64 s[4:5], vcc
	s_cbranch_execz .LBB94_181
; %bb.180:
	buffer_load_dword v64, off, s[0:3], 0 offset:72
	buffer_load_dword v65, off, s[0:3], 0 offset:76
	v_mov_b32_e32 v66, 0
	buffer_store_dword v66, off, s[0:3], 0 offset:72
	buffer_store_dword v66, off, s[0:3], 0 offset:76
	s_waitcnt vmcnt(2)
	ds_write_b64 v63, v[64:65]
.LBB94_181:
	s_or_b64 exec, exec, s[4:5]
	s_waitcnt lgkmcnt(0)
	; wave barrier
	buffer_load_dword v107, off, s[0:3], 0 offset:84
	buffer_load_dword v108, off, s[0:3], 0 offset:92
	;; [unrolled: 1-line block ×44, first 2 shown]
	v_mov_b32_e32 v64, 0
	ds_read_b128 v[65:68], v64 offset:336
	ds_read_b128 v[69:72], v64 offset:352
	;; [unrolled: 1-line block ×8, first 2 shown]
	v_cmp_lt_u32_e32 vcc, 8, v0
	s_waitcnt vmcnt(43) lgkmcnt(7)
	v_mul_f32_e32 v97, v65, v107
	s_waitcnt vmcnt(42)
	v_mul_f32_e32 v98, v67, v108
	s_waitcnt vmcnt(41) lgkmcnt(6)
	v_mul_f32_e32 v99, v69, v109
	s_waitcnt vmcnt(40)
	v_mul_f32_e32 v100, v71, v110
	;; [unrolled: 4-line block ×7, first 2 shown]
	s_waitcnt vmcnt(29)
	v_fmac_f32_e32 v97, v66, v121
	v_mul_f32_e32 v66, v66, v107
	v_fma_f32 v65, v65, v121, -v66
	v_mul_f32_e32 v66, v68, v108
	v_add_f32_e32 v65, 0, v65
	s_waitcnt vmcnt(28)
	v_fma_f32 v66, v67, v122, -v66
	v_add_f32_e32 v65, v65, v66
	v_mul_f32_e32 v66, v70, v109
	s_waitcnt vmcnt(27)
	v_fma_f32 v66, v69, v123, -v66
	v_add_f32_e32 v65, v65, v66
	v_mul_f32_e32 v66, v72, v110
	;; [unrolled: 4-line block ×4, first 2 shown]
	s_waitcnt vmcnt(24)
	v_fma_f32 v66, v75, v126, -v66
	v_fmac_f32_e32 v98, v68, v122
	v_add_f32_e32 v97, 0, v97
	v_add_f32_e32 v65, v65, v66
	v_mul_f32_e32 v66, v78, v113
	v_fmac_f32_e32 v99, v70, v123
	v_add_f32_e32 v97, v97, v98
	s_waitcnt vmcnt(23)
	v_fma_f32 v66, v77, v127, -v66
	v_fmac_f32_e32 v100, v72, v124
	v_add_f32_e32 v97, v97, v99
	v_add_f32_e32 v65, v65, v66
	v_mul_f32_e32 v66, v80, v114
	v_fmac_f32_e32 v101, v74, v125
	v_add_f32_e32 v97, v97, v100
	;; [unrolled: 8-line block ×4, first 2 shown]
	s_waitcnt vmcnt(20)
	v_fma_f32 v66, v83, v130, -v66
	v_fmac_f32_e32 v106, v84, v130
	v_add_f32_e32 v97, v97, v105
	v_add_f32_e32 v65, v65, v66
	v_mul_f32_e32 v66, v86, v117
	s_waitcnt vmcnt(19)
	v_fmac_f32_e32 v151, v86, v131
	v_add_f32_e32 v97, v97, v106
	v_fma_f32 v66, v85, v131, -v66
	s_waitcnt vmcnt(18)
	v_fmac_f32_e32 v152, v88, v132
	v_add_f32_e32 v97, v97, v151
	v_add_f32_e32 v65, v65, v66
	v_mul_f32_e32 v66, v88, v118
	s_waitcnt vmcnt(17)
	v_fmac_f32_e32 v153, v90, v133
	v_add_f32_e32 v97, v97, v152
	v_fma_f32 v66, v87, v132, -v66
	v_add_f32_e32 v97, v97, v153
	s_waitcnt vmcnt(16)
	v_fmac_f32_e32 v154, v92, v134
	s_waitcnt vmcnt(15) lgkmcnt(0)
	v_mul_f32_e32 v98, v93, v135
	v_add_f32_e32 v65, v65, v66
	v_mul_f32_e32 v66, v90, v119
	v_add_f32_e32 v97, v97, v154
	s_waitcnt vmcnt(14)
	v_fmac_f32_e32 v98, v94, v136
	v_fma_f32 v66, v89, v133, -v66
	v_add_f32_e32 v101, v97, v98
	ds_read_b128 v[97:100], v64 offset:464
	v_add_f32_e32 v65, v65, v66
	v_mul_f32_e32 v66, v92, v120
	v_fma_f32 v66, v91, v134, -v66
	v_add_f32_e32 v65, v65, v66
	v_mul_f32_e32 v66, v94, v135
	s_waitcnt vmcnt(13)
	v_mul_f32_e32 v102, v95, v137
	v_fma_f32 v66, v93, v136, -v66
	s_waitcnt vmcnt(12)
	v_fmac_f32_e32 v102, v96, v138
	v_add_f32_e32 v65, v65, v66
	v_mul_f32_e32 v66, v96, v137
	v_add_f32_e32 v105, v101, v102
	ds_read_b128 v[101:104], v64 offset:480
	s_waitcnt vmcnt(11) lgkmcnt(1)
	v_mul_f32_e32 v106, v97, v139
	v_fma_f32 v66, v95, v138, -v66
	s_waitcnt vmcnt(10)
	v_fmac_f32_e32 v106, v98, v140
	v_add_f32_e32 v65, v65, v66
	v_mul_f32_e32 v66, v98, v139
	v_add_f32_e32 v105, v105, v106
	s_waitcnt vmcnt(9)
	v_mul_f32_e32 v106, v99, v141
	v_fma_f32 v66, v97, v140, -v66
	s_waitcnt vmcnt(8)
	v_fmac_f32_e32 v106, v100, v142
	v_add_f32_e32 v65, v65, v66
	v_mul_f32_e32 v66, v100, v141
	v_add_f32_e32 v151, v105, v106
	ds_read_b64 v[105:106], v64 offset:496
	v_fma_f32 v66, v99, v142, -v66
	v_add_f32_e32 v65, v65, v66
	s_waitcnt vmcnt(7) lgkmcnt(1)
	v_mul_f32_e32 v66, v102, v143
	v_mul_f32_e32 v152, v101, v143
	s_waitcnt vmcnt(6)
	v_fma_f32 v66, v101, v144, -v66
	v_fmac_f32_e32 v152, v102, v144
	v_add_f32_e32 v65, v65, v66
	s_waitcnt vmcnt(5)
	v_mul_f32_e32 v66, v104, v145
	v_add_f32_e32 v151, v151, v152
	v_mul_f32_e32 v152, v103, v145
	s_waitcnt vmcnt(4)
	v_fma_f32 v66, v103, v146, -v66
	v_fmac_f32_e32 v152, v104, v146
	v_add_f32_e32 v65, v65, v66
	s_waitcnt vmcnt(3) lgkmcnt(0)
	v_mul_f32_e32 v66, v106, v147
	v_add_f32_e32 v151, v151, v152
	v_mul_f32_e32 v152, v105, v147
	s_waitcnt vmcnt(2)
	v_fma_f32 v66, v105, v148, -v66
	v_fmac_f32_e32 v152, v106, v148
	v_add_f32_e32 v65, v65, v66
	v_add_f32_e32 v151, v151, v152
	s_waitcnt vmcnt(1)
	v_sub_f32_e32 v65, v149, v65
	s_waitcnt vmcnt(0)
	v_sub_f32_e32 v66, v150, v151
	buffer_store_dword v65, off, s[0:3], 0 offset:72
	buffer_store_dword v66, off, s[0:3], 0 offset:76
	s_and_saveexec_b64 s[4:5], vcc
	s_cbranch_execz .LBB94_183
; %bb.182:
	buffer_load_dword v65, off, s[0:3], 0 offset:64
	buffer_load_dword v66, off, s[0:3], 0 offset:68
	s_waitcnt vmcnt(0)
	ds_write_b64 v63, v[65:66]
	buffer_store_dword v64, off, s[0:3], 0 offset:64
	buffer_store_dword v64, off, s[0:3], 0 offset:68
.LBB94_183:
	s_or_b64 exec, exec, s[4:5]
	s_waitcnt lgkmcnt(0)
	; wave barrier
	buffer_load_dword v109, off, s[0:3], 0 offset:76
	buffer_load_dword v110, off, s[0:3], 0 offset:84
	;; [unrolled: 1-line block ×46, first 2 shown]
	ds_read2_b64 v[65:68], v64 offset0:41 offset1:42
	ds_read2_b64 v[69:72], v64 offset0:43 offset1:44
	;; [unrolled: 1-line block ×8, first 2 shown]
	v_cmp_lt_u32_e32 vcc, 7, v0
	s_waitcnt vmcnt(45) lgkmcnt(7)
	v_mul_f32_e32 v97, v65, v109
	s_waitcnt vmcnt(44)
	v_mul_f32_e32 v98, v67, v110
	s_waitcnt vmcnt(43) lgkmcnt(6)
	v_mul_f32_e32 v99, v69, v111
	s_waitcnt vmcnt(42)
	v_mul_f32_e32 v100, v71, v112
	;; [unrolled: 4-line block ×6, first 2 shown]
	s_waitcnt vmcnt(33) lgkmcnt(1)
	v_mul_f32_e32 v155, v89, v121
	s_waitcnt vmcnt(32)
	v_fmac_f32_e32 v97, v66, v122
	v_mul_f32_e32 v66, v66, v109
	v_fma_f32 v65, v65, v122, -v66
	v_mul_f32_e32 v66, v68, v110
	v_add_f32_e32 v65, 0, v65
	s_waitcnt vmcnt(31)
	v_fma_f32 v66, v67, v123, -v66
	v_add_f32_e32 v65, v65, v66
	v_mul_f32_e32 v66, v70, v111
	s_waitcnt vmcnt(30)
	v_fma_f32 v66, v69, v124, -v66
	v_add_f32_e32 v65, v65, v66
	v_mul_f32_e32 v66, v72, v112
	;; [unrolled: 4-line block ×4, first 2 shown]
	v_fmac_f32_e32 v98, v68, v123
	v_add_f32_e32 v97, 0, v97
	s_waitcnt vmcnt(27)
	v_fma_f32 v66, v75, v127, -v66
	v_fmac_f32_e32 v99, v70, v124
	v_add_f32_e32 v97, v97, v98
	v_add_f32_e32 v65, v65, v66
	v_mul_f32_e32 v66, v78, v115
	v_fmac_f32_e32 v100, v72, v125
	v_add_f32_e32 v97, v97, v99
	s_waitcnt vmcnt(26)
	v_fma_f32 v66, v77, v128, -v66
	v_fmac_f32_e32 v101, v74, v126
	v_add_f32_e32 v97, v97, v100
	v_add_f32_e32 v65, v65, v66
	v_mul_f32_e32 v66, v80, v116
	;; [unrolled: 8-line block ×4, first 2 shown]
	s_waitcnt vmcnt(23)
	v_fmac_f32_e32 v106, v84, v131
	v_add_f32_e32 v97, v97, v105
	v_fma_f32 v66, v83, v131, -v66
	s_waitcnt vmcnt(22)
	v_fmac_f32_e32 v107, v86, v132
	v_add_f32_e32 v97, v97, v106
	v_add_f32_e32 v65, v65, v66
	v_mul_f32_e32 v66, v86, v119
	s_waitcnt vmcnt(21)
	v_fmac_f32_e32 v108, v88, v133
	v_add_f32_e32 v97, v97, v107
	v_fma_f32 v66, v85, v132, -v66
	s_waitcnt vmcnt(20)
	v_fmac_f32_e32 v155, v90, v134
	v_add_f32_e32 v97, v97, v108
	s_waitcnt vmcnt(19)
	v_mul_f32_e32 v98, v91, v135
	v_add_f32_e32 v65, v65, v66
	v_mul_f32_e32 v66, v88, v120
	v_add_f32_e32 v97, v97, v155
	s_waitcnt vmcnt(18)
	v_fmac_f32_e32 v98, v92, v136
	v_fma_f32 v66, v87, v133, -v66
	v_add_f32_e32 v97, v97, v98
	s_waitcnt vmcnt(17) lgkmcnt(0)
	v_mul_f32_e32 v98, v93, v137
	v_add_f32_e32 v65, v65, v66
	v_mul_f32_e32 v66, v90, v121
	s_waitcnt vmcnt(16)
	v_fmac_f32_e32 v98, v94, v138
	v_fma_f32 v66, v89, v134, -v66
	v_add_f32_e32 v101, v97, v98
	ds_read2_b64 v[97:100], v64 offset0:57 offset1:58
	v_add_f32_e32 v65, v65, v66
	v_mul_f32_e32 v66, v92, v135
	v_fma_f32 v66, v91, v136, -v66
	v_add_f32_e32 v65, v65, v66
	v_mul_f32_e32 v66, v94, v137
	s_waitcnt vmcnt(15)
	v_mul_f32_e32 v102, v95, v139
	v_fma_f32 v66, v93, v138, -v66
	s_waitcnt vmcnt(14)
	v_fmac_f32_e32 v102, v96, v140
	v_add_f32_e32 v65, v65, v66
	v_mul_f32_e32 v66, v96, v139
	v_add_f32_e32 v105, v101, v102
	ds_read2_b64 v[101:104], v64 offset0:59 offset1:60
	s_waitcnt vmcnt(13) lgkmcnt(1)
	v_mul_f32_e32 v106, v97, v141
	v_fma_f32 v66, v95, v140, -v66
	s_waitcnt vmcnt(12)
	v_fmac_f32_e32 v106, v98, v142
	v_add_f32_e32 v65, v65, v66
	v_mul_f32_e32 v66, v98, v141
	v_add_f32_e32 v105, v105, v106
	s_waitcnt vmcnt(11)
	v_mul_f32_e32 v106, v99, v143
	v_fma_f32 v66, v97, v142, -v66
	s_waitcnt vmcnt(10)
	v_fmac_f32_e32 v106, v100, v144
	v_add_f32_e32 v65, v65, v66
	v_mul_f32_e32 v66, v100, v143
	v_add_f32_e32 v155, v105, v106
	ds_read2_b64 v[105:108], v64 offset0:61 offset1:62
	v_fma_f32 v66, v99, v144, -v66
	v_add_f32_e32 v65, v65, v66
	s_waitcnt vmcnt(9) lgkmcnt(1)
	v_mul_f32_e32 v66, v102, v145
	v_mul_f32_e32 v156, v101, v145
	s_waitcnt vmcnt(8)
	v_fma_f32 v66, v101, v146, -v66
	v_fmac_f32_e32 v156, v102, v146
	v_add_f32_e32 v65, v65, v66
	s_waitcnt vmcnt(7)
	v_mul_f32_e32 v66, v104, v147
	v_add_f32_e32 v64, v155, v156
	v_mul_f32_e32 v155, v103, v147
	s_waitcnt vmcnt(6)
	v_fma_f32 v66, v103, v148, -v66
	v_fmac_f32_e32 v155, v104, v148
	v_add_f32_e32 v65, v65, v66
	s_waitcnt vmcnt(5) lgkmcnt(0)
	v_mul_f32_e32 v66, v106, v149
	v_add_f32_e32 v64, v64, v155
	v_mul_f32_e32 v155, v105, v149
	s_waitcnt vmcnt(4)
	v_fma_f32 v66, v105, v150, -v66
	v_fmac_f32_e32 v155, v106, v150
	v_add_f32_e32 v65, v65, v66
	s_waitcnt vmcnt(3)
	v_mul_f32_e32 v66, v108, v151
	v_add_f32_e32 v64, v64, v155
	v_mul_f32_e32 v155, v107, v151
	s_waitcnt vmcnt(2)
	v_fma_f32 v66, v107, v152, -v66
	v_fmac_f32_e32 v155, v108, v152
	v_add_f32_e32 v65, v65, v66
	v_add_f32_e32 v64, v64, v155
	s_waitcnt vmcnt(1)
	v_sub_f32_e32 v65, v153, v65
	s_waitcnt vmcnt(0)
	v_sub_f32_e32 v64, v154, v64
	buffer_store_dword v65, off, s[0:3], 0 offset:64
	buffer_store_dword v64, off, s[0:3], 0 offset:68
	s_and_saveexec_b64 s[4:5], vcc
	s_cbranch_execz .LBB94_185
; %bb.184:
	buffer_load_dword v64, off, s[0:3], 0 offset:56
	buffer_load_dword v65, off, s[0:3], 0 offset:60
	v_mov_b32_e32 v66, 0
	buffer_store_dword v66, off, s[0:3], 0 offset:56
	buffer_store_dword v66, off, s[0:3], 0 offset:60
	s_waitcnt vmcnt(2)
	ds_write_b64 v63, v[64:65]
.LBB94_185:
	s_or_b64 exec, exec, s[4:5]
	s_waitcnt lgkmcnt(0)
	; wave barrier
	buffer_load_dword v111, off, s[0:3], 0 offset:68
	buffer_load_dword v112, off, s[0:3], 0 offset:76
	;; [unrolled: 1-line block ×48, first 2 shown]
	v_mov_b32_e32 v64, 0
	ds_read_b128 v[65:68], v64 offset:320
	ds_read_b128 v[69:72], v64 offset:336
	;; [unrolled: 1-line block ×7, first 2 shown]
	v_cmp_lt_u32_e32 vcc, 6, v0
	s_waitcnt vmcnt(47) lgkmcnt(6)
	v_mul_f32_e32 v93, v65, v111
	s_waitcnt vmcnt(46)
	v_mul_f32_e32 v94, v67, v112
	s_waitcnt vmcnt(45) lgkmcnt(5)
	v_mul_f32_e32 v95, v69, v113
	s_waitcnt vmcnt(44)
	v_mul_f32_e32 v96, v71, v114
	;; [unrolled: 4-line block ×6, first 2 shown]
	s_waitcnt vmcnt(35)
	v_fmac_f32_e32 v93, v66, v123
	v_mul_f32_e32 v66, v66, v111
	v_fma_f32 v65, v65, v123, -v66
	v_mul_f32_e32 v66, v68, v112
	v_add_f32_e32 v65, 0, v65
	s_waitcnt vmcnt(34)
	v_fma_f32 v66, v67, v124, -v66
	v_add_f32_e32 v65, v65, v66
	v_mul_f32_e32 v66, v70, v113
	s_waitcnt vmcnt(33)
	v_fma_f32 v66, v69, v125, -v66
	v_fmac_f32_e32 v94, v68, v124
	v_add_f32_e32 v93, 0, v93
	v_add_f32_e32 v65, v65, v66
	v_mul_f32_e32 v66, v72, v114
	v_fmac_f32_e32 v95, v70, v125
	v_add_f32_e32 v93, v93, v94
	s_waitcnt vmcnt(32)
	v_fma_f32 v66, v71, v126, -v66
	v_fmac_f32_e32 v96, v72, v126
	v_add_f32_e32 v93, v93, v95
	v_add_f32_e32 v65, v65, v66
	v_mul_f32_e32 v66, v74, v115
	s_waitcnt vmcnt(31)
	v_fmac_f32_e32 v97, v74, v127
	v_add_f32_e32 v93, v93, v96
	v_fma_f32 v66, v73, v127, -v66
	s_waitcnt vmcnt(30)
	v_fmac_f32_e32 v98, v76, v128
	v_add_f32_e32 v93, v93, v97
	v_add_f32_e32 v65, v65, v66
	v_mul_f32_e32 v66, v76, v116
	s_waitcnt vmcnt(29)
	v_fmac_f32_e32 v99, v78, v129
	v_add_f32_e32 v93, v93, v98
	v_fma_f32 v66, v75, v128, -v66
	s_waitcnt vmcnt(28)
	;; [unrolled: 9-line block ×4, first 2 shown]
	v_fmac_f32_e32 v104, v88, v134
	v_add_f32_e32 v93, v93, v103
	v_add_f32_e32 v65, v65, v66
	v_mul_f32_e32 v66, v82, v119
	v_add_f32_e32 v97, v93, v104
	ds_read_b128 v[93:96], v64 offset:432
	v_fma_f32 v66, v81, v131, -v66
	s_waitcnt vmcnt(23) lgkmcnt(1)
	v_mul_f32_e32 v98, v89, v135
	v_add_f32_e32 v65, v65, v66
	v_mul_f32_e32 v66, v84, v120
	s_waitcnt vmcnt(22)
	v_fmac_f32_e32 v98, v90, v136
	v_fma_f32 v66, v83, v132, -v66
	v_add_f32_e32 v97, v97, v98
	s_waitcnt vmcnt(21)
	v_mul_f32_e32 v98, v91, v137
	v_add_f32_e32 v65, v65, v66
	v_mul_f32_e32 v66, v86, v121
	s_waitcnt vmcnt(20)
	v_fmac_f32_e32 v98, v92, v138
	v_fma_f32 v66, v85, v133, -v66
	v_add_f32_e32 v97, v97, v98
	s_waitcnt vmcnt(19) lgkmcnt(0)
	v_mul_f32_e32 v98, v93, v139
	v_add_f32_e32 v65, v65, v66
	v_mul_f32_e32 v66, v88, v122
	s_waitcnt vmcnt(18)
	v_fmac_f32_e32 v98, v94, v140
	v_fma_f32 v66, v87, v134, -v66
	v_add_f32_e32 v101, v97, v98
	ds_read_b128 v[97:100], v64 offset:448
	v_add_f32_e32 v65, v65, v66
	v_mul_f32_e32 v66, v90, v135
	v_fma_f32 v66, v89, v136, -v66
	s_waitcnt vmcnt(17)
	v_mul_f32_e32 v102, v95, v141
	v_add_f32_e32 v65, v65, v66
	v_mul_f32_e32 v66, v92, v137
	s_waitcnt vmcnt(16)
	v_fmac_f32_e32 v102, v96, v142
	v_fma_f32 v66, v91, v138, -v66
	v_add_f32_e32 v105, v101, v102
	ds_read_b128 v[101:104], v64 offset:464
	v_add_f32_e32 v65, v65, v66
	v_mul_f32_e32 v66, v94, v139
	s_waitcnt vmcnt(15) lgkmcnt(1)
	v_mul_f32_e32 v106, v97, v143
	v_fma_f32 v66, v93, v140, -v66
	s_waitcnt vmcnt(14)
	v_fmac_f32_e32 v106, v98, v144
	v_add_f32_e32 v65, v65, v66
	v_mul_f32_e32 v66, v96, v141
	v_add_f32_e32 v105, v105, v106
	s_waitcnt vmcnt(13)
	v_mul_f32_e32 v106, v99, v145
	v_fma_f32 v66, v95, v142, -v66
	s_waitcnt vmcnt(12)
	v_fmac_f32_e32 v106, v100, v146
	v_add_f32_e32 v65, v65, v66
	v_mul_f32_e32 v66, v98, v143
	v_add_f32_e32 v105, v105, v106
	s_waitcnt vmcnt(11) lgkmcnt(0)
	v_mul_f32_e32 v106, v101, v147
	v_fma_f32 v66, v97, v144, -v66
	s_waitcnt vmcnt(10)
	v_fmac_f32_e32 v106, v102, v148
	v_add_f32_e32 v65, v65, v66
	v_mul_f32_e32 v66, v100, v145
	v_add_f32_e32 v109, v105, v106
	ds_read_b128 v[105:108], v64 offset:480
	v_fma_f32 v66, v99, v146, -v66
	v_add_f32_e32 v65, v65, v66
	v_mul_f32_e32 v66, v102, v147
	s_waitcnt vmcnt(9)
	v_mul_f32_e32 v110, v103, v149
	v_fma_f32 v66, v101, v148, -v66
	s_waitcnt vmcnt(8)
	v_fmac_f32_e32 v110, v104, v150
	v_add_f32_e32 v65, v65, v66
	v_mul_f32_e32 v66, v104, v149
	v_add_f32_e32 v159, v109, v110
	ds_read_b64 v[109:110], v64 offset:496
	v_fma_f32 v66, v103, v150, -v66
	v_add_f32_e32 v65, v65, v66
	s_waitcnt vmcnt(6) lgkmcnt(1)
	v_mul_f32_e32 v66, v106, v152
	v_mul_f32_e32 v160, v105, v152
	v_fma_f32 v66, v105, v151, -v66
	v_fmac_f32_e32 v160, v106, v151
	v_add_f32_e32 v65, v65, v66
	s_waitcnt vmcnt(3)
	v_mul_f32_e32 v66, v108, v155
	v_add_f32_e32 v159, v159, v160
	v_mul_f32_e32 v160, v107, v155
	s_waitcnt vmcnt(2)
	v_fma_f32 v66, v107, v156, -v66
	v_fmac_f32_e32 v160, v108, v156
	v_add_f32_e32 v65, v65, v66
	s_waitcnt vmcnt(0) lgkmcnt(0)
	v_mul_f32_e32 v66, v110, v158
	v_add_f32_e32 v159, v159, v160
	v_mul_f32_e32 v160, v109, v158
	v_fma_f32 v66, v109, v157, -v66
	v_fmac_f32_e32 v160, v110, v157
	v_add_f32_e32 v65, v65, v66
	v_add_f32_e32 v159, v159, v160
	v_sub_f32_e32 v65, v153, v65
	v_sub_f32_e32 v66, v154, v159
	buffer_store_dword v65, off, s[0:3], 0 offset:56
	buffer_store_dword v66, off, s[0:3], 0 offset:60
	s_and_saveexec_b64 s[4:5], vcc
	s_cbranch_execz .LBB94_187
; %bb.186:
	buffer_load_dword v65, off, s[0:3], 0 offset:48
	buffer_load_dword v66, off, s[0:3], 0 offset:52
	s_waitcnt vmcnt(0)
	ds_write_b64 v63, v[65:66]
	buffer_store_dword v64, off, s[0:3], 0 offset:48
	buffer_store_dword v64, off, s[0:3], 0 offset:52
.LBB94_187:
	s_or_b64 exec, exec, s[4:5]
	s_waitcnt lgkmcnt(0)
	; wave barrier
	buffer_load_dword v113, off, s[0:3], 0 offset:60
	buffer_load_dword v114, off, s[0:3], 0 offset:68
	;; [unrolled: 1-line block ×48, first 2 shown]
	ds_read2_b64 v[65:68], v64 offset0:39 offset1:40
	ds_read2_b64 v[69:72], v64 offset0:41 offset1:42
	buffer_load_dword v161, off, s[0:3], 0 offset:240
	buffer_load_dword v162, off, s[0:3], 0 offset:244
	ds_read2_b64 v[73:76], v64 offset0:43 offset1:44
	ds_read2_b64 v[77:80], v64 offset0:45 offset1:46
	;; [unrolled: 1-line block ×5, first 2 shown]
	v_cmp_lt_u32_e32 vcc, 5, v0
	s_waitcnt vmcnt(49) lgkmcnt(6)
	v_mul_f32_e32 v93, v65, v113
	s_waitcnt vmcnt(48)
	v_mul_f32_e32 v94, v67, v114
	s_waitcnt vmcnt(47) lgkmcnt(5)
	v_mul_f32_e32 v95, v69, v115
	s_waitcnt vmcnt(46)
	v_mul_f32_e32 v96, v71, v116
	;; [unrolled: 4-line block ×6, first 2 shown]
	s_waitcnt vmcnt(37)
	v_fmac_f32_e32 v93, v66, v125
	v_mul_f32_e32 v66, v66, v113
	v_fma_f32 v65, v65, v125, -v66
	v_mul_f32_e32 v66, v68, v114
	v_add_f32_e32 v65, 0, v65
	s_waitcnt vmcnt(36)
	v_fma_f32 v66, v67, v126, -v66
	v_add_f32_e32 v65, v65, v66
	v_mul_f32_e32 v66, v70, v115
	s_waitcnt vmcnt(35)
	v_fma_f32 v66, v69, v127, -v66
	v_fmac_f32_e32 v94, v68, v126
	v_add_f32_e32 v93, 0, v93
	v_add_f32_e32 v65, v65, v66
	v_mul_f32_e32 v66, v72, v116
	v_fmac_f32_e32 v95, v70, v127
	v_add_f32_e32 v93, v93, v94
	s_waitcnt vmcnt(34)
	v_fma_f32 v66, v71, v128, -v66
	v_fmac_f32_e32 v96, v72, v128
	v_add_f32_e32 v93, v93, v95
	v_add_f32_e32 v65, v65, v66
	v_mul_f32_e32 v66, v74, v117
	s_waitcnt vmcnt(33)
	v_fmac_f32_e32 v97, v74, v129
	v_add_f32_e32 v93, v93, v96
	v_fma_f32 v66, v73, v129, -v66
	s_waitcnt vmcnt(32)
	v_fmac_f32_e32 v98, v76, v130
	v_add_f32_e32 v93, v93, v97
	v_add_f32_e32 v65, v65, v66
	v_mul_f32_e32 v66, v76, v118
	s_waitcnt vmcnt(31)
	v_fmac_f32_e32 v99, v78, v131
	v_add_f32_e32 v93, v93, v98
	v_fma_f32 v66, v75, v130, -v66
	s_waitcnt vmcnt(30)
	;; [unrolled: 9-line block ×3, first 2 shown]
	v_fmac_f32_e32 v102, v84, v134
	v_add_f32_e32 v93, v93, v101
	v_add_f32_e32 v65, v65, v66
	v_mul_f32_e32 v66, v80, v120
	s_waitcnt vmcnt(27)
	v_fmac_f32_e32 v103, v86, v135
	v_add_f32_e32 v93, v93, v102
	v_fma_f32 v66, v79, v132, -v66
	v_add_f32_e32 v93, v93, v103
	s_waitcnt vmcnt(26)
	v_fmac_f32_e32 v104, v88, v136
	v_add_f32_e32 v65, v65, v66
	v_mul_f32_e32 v66, v82, v121
	v_add_f32_e32 v97, v93, v104
	ds_read2_b64 v[93:96], v64 offset0:53 offset1:54
	v_fma_f32 v66, v81, v133, -v66
	s_waitcnt vmcnt(25) lgkmcnt(1)
	v_mul_f32_e32 v98, v89, v137
	v_add_f32_e32 v65, v65, v66
	v_mul_f32_e32 v66, v84, v122
	s_waitcnt vmcnt(24)
	v_fmac_f32_e32 v98, v90, v138
	v_fma_f32 v66, v83, v134, -v66
	v_add_f32_e32 v97, v97, v98
	s_waitcnt vmcnt(23)
	v_mul_f32_e32 v98, v91, v139
	v_add_f32_e32 v65, v65, v66
	v_mul_f32_e32 v66, v86, v123
	s_waitcnt vmcnt(22)
	v_fmac_f32_e32 v98, v92, v140
	v_fma_f32 v66, v85, v135, -v66
	v_add_f32_e32 v97, v97, v98
	s_waitcnt vmcnt(21) lgkmcnt(0)
	v_mul_f32_e32 v98, v93, v141
	v_add_f32_e32 v65, v65, v66
	v_mul_f32_e32 v66, v88, v124
	s_waitcnt vmcnt(20)
	v_fmac_f32_e32 v98, v94, v142
	v_fma_f32 v66, v87, v136, -v66
	v_add_f32_e32 v101, v97, v98
	ds_read2_b64 v[97:100], v64 offset0:55 offset1:56
	v_add_f32_e32 v65, v65, v66
	v_mul_f32_e32 v66, v90, v137
	v_fma_f32 v66, v89, v138, -v66
	s_waitcnt vmcnt(19)
	v_mul_f32_e32 v102, v95, v143
	v_add_f32_e32 v65, v65, v66
	v_mul_f32_e32 v66, v92, v139
	s_waitcnt vmcnt(18)
	v_fmac_f32_e32 v102, v96, v144
	v_fma_f32 v66, v91, v140, -v66
	v_add_f32_e32 v105, v101, v102
	ds_read2_b64 v[101:104], v64 offset0:57 offset1:58
	v_add_f32_e32 v65, v65, v66
	v_mul_f32_e32 v66, v94, v141
	s_waitcnt vmcnt(17) lgkmcnt(1)
	v_mul_f32_e32 v106, v97, v145
	v_fma_f32 v66, v93, v142, -v66
	s_waitcnt vmcnt(16)
	v_fmac_f32_e32 v106, v98, v146
	v_add_f32_e32 v65, v65, v66
	v_mul_f32_e32 v66, v96, v143
	v_add_f32_e32 v105, v105, v106
	s_waitcnt vmcnt(15)
	v_mul_f32_e32 v106, v99, v147
	v_fma_f32 v66, v95, v144, -v66
	s_waitcnt vmcnt(14)
	v_fmac_f32_e32 v106, v100, v148
	v_add_f32_e32 v65, v65, v66
	v_mul_f32_e32 v66, v98, v145
	v_add_f32_e32 v105, v105, v106
	s_waitcnt vmcnt(13) lgkmcnt(0)
	v_mul_f32_e32 v106, v101, v149
	v_fma_f32 v66, v97, v146, -v66
	s_waitcnt vmcnt(12)
	v_fmac_f32_e32 v106, v102, v150
	v_add_f32_e32 v65, v65, v66
	v_mul_f32_e32 v66, v100, v147
	v_add_f32_e32 v109, v105, v106
	ds_read2_b64 v[105:108], v64 offset0:59 offset1:60
	v_fma_f32 v66, v99, v148, -v66
	v_add_f32_e32 v65, v65, v66
	v_mul_f32_e32 v66, v102, v149
	s_waitcnt vmcnt(11)
	v_mul_f32_e32 v110, v103, v151
	v_fma_f32 v66, v101, v150, -v66
	s_waitcnt vmcnt(10)
	v_fmac_f32_e32 v110, v104, v152
	v_add_f32_e32 v65, v65, v66
	v_mul_f32_e32 v66, v104, v151
	v_add_f32_e32 v163, v109, v110
	ds_read2_b64 v[109:112], v64 offset0:61 offset1:62
	v_fma_f32 v66, v103, v152, -v66
	v_add_f32_e32 v65, v65, v66
	s_waitcnt vmcnt(7) lgkmcnt(1)
	v_mul_f32_e32 v66, v106, v155
	v_mul_f32_e32 v64, v105, v155
	s_waitcnt vmcnt(6)
	v_fma_f32 v66, v105, v156, -v66
	v_fmac_f32_e32 v64, v106, v156
	v_add_f32_e32 v65, v65, v66
	s_waitcnt vmcnt(4)
	v_mul_f32_e32 v66, v108, v158
	v_add_f32_e32 v64, v163, v64
	v_mul_f32_e32 v163, v107, v158
	v_fma_f32 v66, v107, v157, -v66
	v_fmac_f32_e32 v163, v108, v157
	v_add_f32_e32 v65, v65, v66
	s_waitcnt vmcnt(2) lgkmcnt(0)
	v_mul_f32_e32 v66, v110, v160
	v_add_f32_e32 v64, v64, v163
	v_mul_f32_e32 v163, v109, v160
	v_fma_f32 v66, v109, v159, -v66
	v_fmac_f32_e32 v163, v110, v159
	v_add_f32_e32 v65, v65, v66
	s_waitcnt vmcnt(0)
	v_mul_f32_e32 v66, v112, v162
	v_add_f32_e32 v64, v64, v163
	v_mul_f32_e32 v163, v111, v162
	v_fma_f32 v66, v111, v161, -v66
	v_fmac_f32_e32 v163, v112, v161
	v_add_f32_e32 v65, v65, v66
	v_add_f32_e32 v64, v64, v163
	v_sub_f32_e32 v65, v153, v65
	v_sub_f32_e32 v64, v154, v64
	buffer_store_dword v65, off, s[0:3], 0 offset:48
	buffer_store_dword v64, off, s[0:3], 0 offset:52
	s_and_saveexec_b64 s[4:5], vcc
	s_cbranch_execz .LBB94_189
; %bb.188:
	buffer_load_dword v64, off, s[0:3], 0 offset:40
	buffer_load_dword v65, off, s[0:3], 0 offset:44
	v_mov_b32_e32 v66, 0
	buffer_store_dword v66, off, s[0:3], 0 offset:40
	buffer_store_dword v66, off, s[0:3], 0 offset:44
	s_waitcnt vmcnt(2)
	ds_write_b64 v63, v[64:65]
.LBB94_189:
	s_or_b64 exec, exec, s[4:5]
	s_waitcnt lgkmcnt(0)
	; wave barrier
	buffer_load_dword v115, off, s[0:3], 0 offset:52
	buffer_load_dword v116, off, s[0:3], 0 offset:60
	;; [unrolled: 1-line block ×52, first 2 shown]
	v_mov_b32_e32 v64, 0
	ds_read_b128 v[65:68], v64 offset:304
	ds_read_b128 v[69:72], v64 offset:320
	;; [unrolled: 1-line block ×6, first 2 shown]
	v_cmp_lt_u32_e32 vcc, 4, v0
	s_waitcnt vmcnt(51) lgkmcnt(5)
	v_mul_f32_e32 v89, v65, v115
	s_waitcnt vmcnt(50)
	v_mul_f32_e32 v90, v67, v116
	s_waitcnt vmcnt(49) lgkmcnt(4)
	v_mul_f32_e32 v91, v69, v117
	s_waitcnt vmcnt(48)
	v_mul_f32_e32 v92, v71, v118
	;; [unrolled: 4-line block ×5, first 2 shown]
	s_waitcnt vmcnt(41) lgkmcnt(0)
	v_mul_f32_e32 v99, v85, v125
	s_waitcnt vmcnt(40)
	v_fmac_f32_e32 v89, v66, v126
	v_mul_f32_e32 v66, v66, v115
	s_waitcnt vmcnt(39)
	v_fmac_f32_e32 v90, v68, v127
	v_add_f32_e32 v89, 0, v89
	v_fma_f32 v65, v65, v126, -v66
	v_mul_f32_e32 v66, v68, v116
	s_waitcnt vmcnt(38)
	v_fmac_f32_e32 v91, v70, v128
	v_add_f32_e32 v89, v89, v90
	v_add_f32_e32 v65, 0, v65
	v_fma_f32 v66, v67, v127, -v66
	s_waitcnt vmcnt(37)
	v_fmac_f32_e32 v92, v72, v129
	v_add_f32_e32 v89, v89, v91
	v_add_f32_e32 v65, v65, v66
	v_mul_f32_e32 v66, v70, v117
	s_waitcnt vmcnt(36)
	v_fmac_f32_e32 v93, v74, v130
	v_add_f32_e32 v89, v89, v92
	v_fma_f32 v66, v69, v128, -v66
	s_waitcnt vmcnt(35)
	v_fmac_f32_e32 v94, v76, v131
	v_add_f32_e32 v89, v89, v93
	v_add_f32_e32 v65, v65, v66
	v_mul_f32_e32 v66, v72, v118
	s_waitcnt vmcnt(34)
	v_fmac_f32_e32 v95, v78, v132
	;; [unrolled: 9-line block ×3, first 2 shown]
	v_add_f32_e32 v89, v89, v96
	v_fma_f32 v66, v73, v130, -v66
	s_waitcnt vmcnt(31)
	v_fmac_f32_e32 v98, v84, v135
	v_add_f32_e32 v89, v89, v97
	v_add_f32_e32 v65, v65, v66
	v_mul_f32_e32 v66, v76, v120
	v_add_f32_e32 v89, v89, v98
	s_waitcnt vmcnt(30)
	v_fmac_f32_e32 v99, v86, v136
	v_fma_f32 v66, v75, v131, -v66
	v_add_f32_e32 v93, v89, v99
	ds_read_b128 v[89:92], v64 offset:400
	v_add_f32_e32 v65, v65, v66
	v_mul_f32_e32 v66, v78, v121
	v_fma_f32 v66, v77, v132, -v66
	s_waitcnt vmcnt(29)
	v_mul_f32_e32 v94, v87, v137
	v_add_f32_e32 v65, v65, v66
	v_mul_f32_e32 v66, v80, v122
	s_waitcnt vmcnt(28)
	v_fmac_f32_e32 v94, v88, v138
	v_fma_f32 v66, v79, v133, -v66
	v_add_f32_e32 v97, v93, v94
	ds_read_b128 v[93:96], v64 offset:416
	v_add_f32_e32 v65, v65, v66
	v_mul_f32_e32 v66, v82, v123
	s_waitcnt vmcnt(27) lgkmcnt(1)
	v_mul_f32_e32 v98, v89, v139
	v_fma_f32 v66, v81, v134, -v66
	s_waitcnt vmcnt(26)
	v_fmac_f32_e32 v98, v90, v140
	v_add_f32_e32 v65, v65, v66
	v_mul_f32_e32 v66, v84, v124
	v_add_f32_e32 v97, v97, v98
	s_waitcnt vmcnt(25)
	v_mul_f32_e32 v98, v91, v141
	v_fma_f32 v66, v83, v135, -v66
	s_waitcnt vmcnt(24)
	v_fmac_f32_e32 v98, v92, v142
	v_add_f32_e32 v65, v65, v66
	v_mul_f32_e32 v66, v86, v125
	v_add_f32_e32 v97, v97, v98
	s_waitcnt vmcnt(23) lgkmcnt(0)
	v_mul_f32_e32 v98, v93, v143
	v_fma_f32 v66, v85, v136, -v66
	s_waitcnt vmcnt(22)
	v_fmac_f32_e32 v98, v94, v144
	v_add_f32_e32 v65, v65, v66
	v_mul_f32_e32 v66, v88, v137
	v_add_f32_e32 v101, v97, v98
	ds_read_b128 v[97:100], v64 offset:432
	v_fma_f32 v66, v87, v138, -v66
	v_add_f32_e32 v65, v65, v66
	v_mul_f32_e32 v66, v90, v139
	s_waitcnt vmcnt(21)
	v_mul_f32_e32 v102, v95, v145
	v_fma_f32 v66, v89, v140, -v66
	s_waitcnt vmcnt(20)
	v_fmac_f32_e32 v102, v96, v146
	v_add_f32_e32 v65, v65, v66
	v_mul_f32_e32 v66, v92, v141
	v_add_f32_e32 v105, v101, v102
	ds_read_b128 v[101:104], v64 offset:448
	v_fma_f32 v66, v91, v142, -v66
	s_waitcnt vmcnt(19) lgkmcnt(1)
	v_mul_f32_e32 v106, v97, v147
	v_add_f32_e32 v65, v65, v66
	v_mul_f32_e32 v66, v94, v143
	s_waitcnt vmcnt(18)
	v_fmac_f32_e32 v106, v98, v148
	v_fma_f32 v66, v93, v144, -v66
	v_add_f32_e32 v105, v105, v106
	s_waitcnt vmcnt(17)
	v_mul_f32_e32 v106, v99, v149
	v_add_f32_e32 v65, v65, v66
	v_mul_f32_e32 v66, v96, v145
	s_waitcnt vmcnt(16)
	v_fmac_f32_e32 v106, v100, v150
	v_fma_f32 v66, v95, v146, -v66
	v_add_f32_e32 v105, v105, v106
	s_waitcnt vmcnt(14) lgkmcnt(0)
	v_mul_f32_e32 v106, v101, v152
	v_add_f32_e32 v65, v65, v66
	v_mul_f32_e32 v66, v98, v147
	v_fmac_f32_e32 v106, v102, v151
	v_fma_f32 v66, v97, v148, -v66
	v_add_f32_e32 v109, v105, v106
	ds_read_b128 v[105:108], v64 offset:464
	v_add_f32_e32 v65, v65, v66
	v_mul_f32_e32 v66, v100, v149
	v_fma_f32 v66, v99, v150, -v66
	v_add_f32_e32 v65, v65, v66
	v_mul_f32_e32 v66, v102, v152
	s_waitcnt vmcnt(11)
	v_mul_f32_e32 v110, v103, v155
	v_fma_f32 v66, v101, v151, -v66
	s_waitcnt vmcnt(10)
	v_fmac_f32_e32 v110, v104, v156
	v_add_f32_e32 v65, v65, v66
	v_mul_f32_e32 v66, v104, v155
	v_add_f32_e32 v113, v109, v110
	ds_read_b128 v[109:112], v64 offset:480
	s_waitcnt vmcnt(8) lgkmcnt(1)
	v_mul_f32_e32 v114, v105, v158
	v_fma_f32 v66, v103, v156, -v66
	v_fmac_f32_e32 v114, v106, v157
	v_add_f32_e32 v65, v65, v66
	v_mul_f32_e32 v66, v106, v158
	v_add_f32_e32 v113, v113, v114
	s_waitcnt vmcnt(6)
	v_mul_f32_e32 v114, v107, v160
	v_fma_f32 v66, v105, v157, -v66
	v_fmac_f32_e32 v114, v108, v159
	v_add_f32_e32 v65, v65, v66
	v_mul_f32_e32 v66, v108, v160
	v_add_f32_e32 v167, v113, v114
	ds_read_b64 v[113:114], v64 offset:496
	v_fma_f32 v66, v107, v159, -v66
	v_add_f32_e32 v65, v65, v66
	s_waitcnt vmcnt(4) lgkmcnt(1)
	v_mul_f32_e32 v66, v110, v162
	v_mul_f32_e32 v168, v109, v162
	v_fma_f32 v66, v109, v161, -v66
	v_fmac_f32_e32 v168, v110, v161
	v_add_f32_e32 v65, v65, v66
	s_waitcnt vmcnt(2)
	v_mul_f32_e32 v66, v112, v164
	v_add_f32_e32 v167, v167, v168
	v_mul_f32_e32 v168, v111, v164
	v_fma_f32 v66, v111, v163, -v66
	v_fmac_f32_e32 v168, v112, v163
	v_add_f32_e32 v65, v65, v66
	s_waitcnt vmcnt(0) lgkmcnt(0)
	v_mul_f32_e32 v66, v114, v166
	v_add_f32_e32 v167, v167, v168
	v_mul_f32_e32 v168, v113, v166
	v_fma_f32 v66, v113, v165, -v66
	v_fmac_f32_e32 v168, v114, v165
	v_add_f32_e32 v65, v65, v66
	v_add_f32_e32 v167, v167, v168
	v_sub_f32_e32 v65, v153, v65
	v_sub_f32_e32 v66, v154, v167
	buffer_store_dword v65, off, s[0:3], 0 offset:40
	buffer_store_dword v66, off, s[0:3], 0 offset:44
	s_and_saveexec_b64 s[4:5], vcc
	s_cbranch_execz .LBB94_191
; %bb.190:
	buffer_load_dword v65, off, s[0:3], 0 offset:32
	buffer_load_dword v66, off, s[0:3], 0 offset:36
	s_waitcnt vmcnt(0)
	ds_write_b64 v63, v[65:66]
	buffer_store_dword v64, off, s[0:3], 0 offset:32
	buffer_store_dword v64, off, s[0:3], 0 offset:36
.LBB94_191:
	s_or_b64 exec, exec, s[4:5]
	s_waitcnt lgkmcnt(0)
	; wave barrier
	buffer_load_dword v117, off, s[0:3], 0 offset:44
	buffer_load_dword v118, off, s[0:3], 0 offset:52
	;; [unrolled: 1-line block ×42, first 2 shown]
	ds_read2_b64 v[65:68], v64 offset0:37 offset1:38
	ds_read2_b64 v[69:72], v64 offset0:39 offset1:40
	;; [unrolled: 1-line block ×4, first 2 shown]
	buffer_load_dword v159, off, s[0:3], 0 offset:204
	buffer_load_dword v160, off, s[0:3], 0 offset:200
	;; [unrolled: 1-line block ×6, first 2 shown]
	ds_read2_b64 v[81:84], v64 offset0:45 offset1:46
	ds_read2_b64 v[85:88], v64 offset0:47 offset1:48
	buffer_load_dword v165, off, s[0:3], 0 offset:224
	buffer_load_dword v166, off, s[0:3], 0 offset:228
	;; [unrolled: 1-line block ×6, first 2 shown]
	v_cmp_lt_u32_e32 vcc, 3, v0
	s_waitcnt vmcnt(53) lgkmcnt(5)
	v_mul_f32_e32 v89, v65, v117
	s_waitcnt vmcnt(52)
	v_mul_f32_e32 v90, v67, v118
	s_waitcnt vmcnt(51) lgkmcnt(4)
	v_mul_f32_e32 v91, v69, v119
	s_waitcnt vmcnt(50)
	v_mul_f32_e32 v92, v71, v120
	;; [unrolled: 4-line block ×5, first 2 shown]
	s_waitcnt vmcnt(43)
	v_fmac_f32_e32 v89, v66, v127
	v_mul_f32_e32 v66, v66, v117
	s_waitcnt vmcnt(42)
	v_fmac_f32_e32 v90, v68, v128
	v_add_f32_e32 v89, 0, v89
	v_fma_f32 v65, v65, v127, -v66
	v_mul_f32_e32 v66, v68, v118
	s_waitcnt vmcnt(41)
	v_fmac_f32_e32 v91, v70, v129
	v_add_f32_e32 v89, v89, v90
	v_add_f32_e32 v65, 0, v65
	v_fma_f32 v66, v67, v128, -v66
	s_waitcnt vmcnt(40)
	v_fmac_f32_e32 v92, v72, v130
	v_add_f32_e32 v89, v89, v91
	v_add_f32_e32 v65, v65, v66
	v_mul_f32_e32 v66, v70, v119
	s_waitcnt vmcnt(39)
	v_fmac_f32_e32 v93, v74, v131
	v_add_f32_e32 v89, v89, v92
	v_fma_f32 v66, v69, v129, -v66
	s_waitcnt vmcnt(38)
	v_fmac_f32_e32 v94, v76, v132
	v_add_f32_e32 v89, v89, v93
	v_add_f32_e32 v65, v65, v66
	v_mul_f32_e32 v66, v72, v120
	s_waitcnt vmcnt(37)
	v_fmac_f32_e32 v95, v78, v133
	;; [unrolled: 9-line block ×3, first 2 shown]
	v_add_f32_e32 v89, v89, v96
	v_fma_f32 v66, v73, v131, -v66
	s_waitcnt vmcnt(34)
	v_fmac_f32_e32 v98, v84, v136
	v_add_f32_e32 v89, v89, v97
	s_waitcnt vmcnt(33) lgkmcnt(0)
	v_mul_f32_e32 v90, v85, v137
	v_add_f32_e32 v65, v65, v66
	v_mul_f32_e32 v66, v76, v122
	v_add_f32_e32 v89, v89, v98
	s_waitcnt vmcnt(32)
	v_fmac_f32_e32 v90, v86, v138
	v_fma_f32 v66, v75, v132, -v66
	v_add_f32_e32 v93, v89, v90
	ds_read2_b64 v[89:92], v64 offset0:49 offset1:50
	v_add_f32_e32 v65, v65, v66
	v_mul_f32_e32 v66, v78, v123
	v_fma_f32 v66, v77, v133, -v66
	s_waitcnt vmcnt(31)
	v_mul_f32_e32 v94, v87, v139
	v_add_f32_e32 v65, v65, v66
	v_mul_f32_e32 v66, v80, v124
	s_waitcnt vmcnt(30)
	v_fmac_f32_e32 v94, v88, v140
	v_fma_f32 v66, v79, v134, -v66
	v_add_f32_e32 v97, v93, v94
	ds_read2_b64 v[93:96], v64 offset0:51 offset1:52
	v_add_f32_e32 v65, v65, v66
	v_mul_f32_e32 v66, v82, v125
	s_waitcnt vmcnt(29) lgkmcnt(1)
	v_mul_f32_e32 v98, v89, v141
	v_fma_f32 v66, v81, v135, -v66
	s_waitcnt vmcnt(28)
	v_fmac_f32_e32 v98, v90, v142
	v_add_f32_e32 v65, v65, v66
	v_mul_f32_e32 v66, v84, v126
	v_add_f32_e32 v97, v97, v98
	s_waitcnt vmcnt(27)
	v_mul_f32_e32 v98, v91, v143
	v_fma_f32 v66, v83, v136, -v66
	s_waitcnt vmcnt(26)
	v_fmac_f32_e32 v98, v92, v144
	v_add_f32_e32 v65, v65, v66
	v_mul_f32_e32 v66, v86, v137
	v_add_f32_e32 v97, v97, v98
	s_waitcnt vmcnt(25) lgkmcnt(0)
	v_mul_f32_e32 v98, v93, v145
	v_fma_f32 v66, v85, v138, -v66
	s_waitcnt vmcnt(24)
	v_fmac_f32_e32 v98, v94, v146
	v_add_f32_e32 v65, v65, v66
	v_mul_f32_e32 v66, v88, v139
	v_add_f32_e32 v101, v97, v98
	ds_read2_b64 v[97:100], v64 offset0:53 offset1:54
	v_fma_f32 v66, v87, v140, -v66
	v_add_f32_e32 v65, v65, v66
	v_mul_f32_e32 v66, v90, v141
	s_waitcnt vmcnt(23)
	v_mul_f32_e32 v102, v95, v147
	v_fma_f32 v66, v89, v142, -v66
	s_waitcnt vmcnt(22)
	v_fmac_f32_e32 v102, v96, v148
	v_add_f32_e32 v65, v65, v66
	v_mul_f32_e32 v66, v92, v143
	v_add_f32_e32 v105, v101, v102
	ds_read2_b64 v[101:104], v64 offset0:55 offset1:56
	v_fma_f32 v66, v91, v144, -v66
	s_waitcnt vmcnt(21) lgkmcnt(1)
	v_mul_f32_e32 v106, v97, v149
	v_add_f32_e32 v65, v65, v66
	v_mul_f32_e32 v66, v94, v145
	s_waitcnt vmcnt(20)
	v_fmac_f32_e32 v106, v98, v150
	v_fma_f32 v66, v93, v146, -v66
	v_add_f32_e32 v105, v105, v106
	s_waitcnt vmcnt(18)
	v_mul_f32_e32 v106, v99, v152
	v_add_f32_e32 v65, v65, v66
	v_mul_f32_e32 v66, v96, v147
	v_fmac_f32_e32 v106, v100, v151
	v_fma_f32 v66, v95, v148, -v66
	v_add_f32_e32 v105, v105, v106
	s_waitcnt vmcnt(15) lgkmcnt(0)
	v_mul_f32_e32 v106, v101, v155
	v_add_f32_e32 v65, v65, v66
	v_mul_f32_e32 v66, v98, v149
	s_waitcnt vmcnt(14)
	v_fmac_f32_e32 v106, v102, v156
	v_fma_f32 v66, v97, v150, -v66
	v_add_f32_e32 v109, v105, v106
	ds_read2_b64 v[105:108], v64 offset0:57 offset1:58
	v_add_f32_e32 v65, v65, v66
	v_mul_f32_e32 v66, v100, v152
	v_fma_f32 v66, v99, v151, -v66
	v_add_f32_e32 v65, v65, v66
	v_mul_f32_e32 v66, v102, v155
	s_waitcnt vmcnt(12)
	v_mul_f32_e32 v110, v103, v158
	v_fma_f32 v66, v101, v156, -v66
	v_fmac_f32_e32 v110, v104, v157
	v_add_f32_e32 v65, v65, v66
	v_mul_f32_e32 v66, v104, v158
	v_add_f32_e32 v113, v109, v110
	ds_read2_b64 v[109:112], v64 offset0:59 offset1:60
	s_waitcnt vmcnt(11) lgkmcnt(1)
	v_mul_f32_e32 v114, v105, v159
	v_fma_f32 v66, v103, v157, -v66
	s_waitcnt vmcnt(10)
	v_fmac_f32_e32 v114, v106, v160
	v_add_f32_e32 v65, v65, v66
	v_mul_f32_e32 v66, v106, v159
	v_add_f32_e32 v113, v113, v114
	s_waitcnt vmcnt(8)
	v_mul_f32_e32 v114, v107, v162
	v_fma_f32 v66, v105, v160, -v66
	v_fmac_f32_e32 v114, v108, v161
	v_add_f32_e32 v65, v65, v66
	v_mul_f32_e32 v66, v108, v162
	v_add_f32_e32 v171, v113, v114
	ds_read2_b64 v[113:116], v64 offset0:61 offset1:62
	v_fma_f32 v66, v107, v161, -v66
	v_add_f32_e32 v65, v65, v66
	s_waitcnt vmcnt(6) lgkmcnt(1)
	v_mul_f32_e32 v66, v110, v164
	v_mul_f32_e32 v172, v109, v164
	v_fma_f32 v66, v109, v163, -v66
	v_fmac_f32_e32 v172, v110, v163
	v_add_f32_e32 v65, v65, v66
	s_waitcnt vmcnt(4)
	v_mul_f32_e32 v66, v112, v166
	v_add_f32_e32 v64, v171, v172
	v_mul_f32_e32 v171, v111, v166
	v_fma_f32 v66, v111, v165, -v66
	v_fmac_f32_e32 v171, v112, v165
	v_add_f32_e32 v65, v65, v66
	s_waitcnt vmcnt(2) lgkmcnt(0)
	v_mul_f32_e32 v66, v114, v168
	v_add_f32_e32 v64, v64, v171
	v_mul_f32_e32 v171, v113, v168
	v_fma_f32 v66, v113, v167, -v66
	v_fmac_f32_e32 v171, v114, v167
	v_add_f32_e32 v65, v65, v66
	s_waitcnt vmcnt(0)
	v_mul_f32_e32 v66, v116, v170
	v_add_f32_e32 v64, v64, v171
	v_mul_f32_e32 v171, v115, v170
	v_fma_f32 v66, v115, v169, -v66
	v_fmac_f32_e32 v171, v116, v169
	v_add_f32_e32 v65, v65, v66
	v_add_f32_e32 v64, v64, v171
	v_sub_f32_e32 v65, v153, v65
	v_sub_f32_e32 v64, v154, v64
	buffer_store_dword v65, off, s[0:3], 0 offset:32
	buffer_store_dword v64, off, s[0:3], 0 offset:36
	s_and_saveexec_b64 s[4:5], vcc
	s_cbranch_execz .LBB94_193
; %bb.192:
	buffer_load_dword v64, off, s[0:3], 0 offset:24
	buffer_load_dword v65, off, s[0:3], 0 offset:28
	v_mov_b32_e32 v66, 0
	buffer_store_dword v66, off, s[0:3], 0 offset:24
	buffer_store_dword v66, off, s[0:3], 0 offset:28
	s_waitcnt vmcnt(2)
	ds_write_b64 v63, v[64:65]
.LBB94_193:
	s_or_b64 exec, exec, s[4:5]
	s_waitcnt lgkmcnt(0)
	; wave barrier
	buffer_load_dword v119, off, s[0:3], 0 offset:36
	buffer_load_dword v120, off, s[0:3], 0 offset:44
	;; [unrolled: 1-line block ×56, first 2 shown]
	v_mov_b32_e32 v64, 0
	ds_read_b128 v[65:68], v64 offset:288
	ds_read_b128 v[69:72], v64 offset:304
	;; [unrolled: 1-line block ×6, first 2 shown]
	v_cmp_lt_u32_e32 vcc, 2, v0
	s_waitcnt vmcnt(55) lgkmcnt(5)
	v_mul_f32_e32 v89, v65, v119
	s_waitcnt vmcnt(54)
	v_mul_f32_e32 v90, v67, v120
	s_waitcnt vmcnt(53) lgkmcnt(4)
	v_mul_f32_e32 v91, v69, v121
	s_waitcnt vmcnt(52)
	v_mul_f32_e32 v92, v71, v122
	;; [unrolled: 4-line block ×4, first 2 shown]
	s_waitcnt vmcnt(47) lgkmcnt(1)
	v_mul_f32_e32 v97, v81, v127
	s_waitcnt vmcnt(46)
	v_fmac_f32_e32 v89, v66, v128
	s_waitcnt vmcnt(45)
	v_fmac_f32_e32 v90, v68, v129
	v_add_f32_e32 v89, 0, v89
	s_waitcnt vmcnt(44)
	v_fmac_f32_e32 v91, v70, v130
	v_add_f32_e32 v89, v89, v90
	;; [unrolled: 3-line block ×3, first 2 shown]
	v_mul_f32_e32 v66, v66, v119
	s_waitcnt vmcnt(42)
	v_fmac_f32_e32 v93, v74, v132
	v_add_f32_e32 v89, v89, v92
	v_fma_f32 v65, v65, v128, -v66
	v_mul_f32_e32 v66, v68, v120
	s_waitcnt vmcnt(41)
	v_fmac_f32_e32 v94, v76, v133
	v_add_f32_e32 v89, v89, v93
	v_add_f32_e32 v65, 0, v65
	v_fma_f32 v66, v67, v129, -v66
	s_waitcnt vmcnt(40)
	v_fmac_f32_e32 v95, v78, v134
	v_add_f32_e32 v89, v89, v94
	v_add_f32_e32 v65, v65, v66
	v_mul_f32_e32 v66, v70, v121
	s_waitcnt vmcnt(39)
	v_fmac_f32_e32 v96, v80, v135
	v_add_f32_e32 v89, v89, v95
	v_fma_f32 v66, v69, v130, -v66
	v_add_f32_e32 v89, v89, v96
	s_waitcnt vmcnt(38)
	v_fmac_f32_e32 v97, v82, v136
	s_waitcnt vmcnt(37)
	v_mul_f32_e32 v90, v83, v137
	v_add_f32_e32 v65, v65, v66
	v_mul_f32_e32 v66, v72, v122
	v_add_f32_e32 v89, v89, v97
	s_waitcnt vmcnt(36)
	v_fmac_f32_e32 v90, v84, v138
	v_fma_f32 v66, v71, v131, -v66
	v_add_f32_e32 v89, v89, v90
	s_waitcnt vmcnt(35) lgkmcnt(0)
	v_mul_f32_e32 v90, v85, v139
	v_add_f32_e32 v65, v65, v66
	v_mul_f32_e32 v66, v74, v123
	s_waitcnt vmcnt(34)
	v_fmac_f32_e32 v90, v86, v140
	v_fma_f32 v66, v73, v132, -v66
	v_add_f32_e32 v93, v89, v90
	ds_read_b128 v[89:92], v64 offset:384
	v_add_f32_e32 v65, v65, v66
	v_mul_f32_e32 v66, v76, v124
	v_fma_f32 v66, v75, v133, -v66
	s_waitcnt vmcnt(33)
	v_mul_f32_e32 v94, v87, v141
	v_add_f32_e32 v65, v65, v66
	v_mul_f32_e32 v66, v78, v125
	s_waitcnt vmcnt(32)
	v_fmac_f32_e32 v94, v88, v142
	v_fma_f32 v66, v77, v134, -v66
	v_add_f32_e32 v97, v93, v94
	ds_read_b128 v[93:96], v64 offset:400
	v_add_f32_e32 v65, v65, v66
	v_mul_f32_e32 v66, v80, v126
	s_waitcnt vmcnt(31) lgkmcnt(1)
	v_mul_f32_e32 v98, v89, v143
	v_fma_f32 v66, v79, v135, -v66
	s_waitcnt vmcnt(30)
	v_fmac_f32_e32 v98, v90, v144
	v_add_f32_e32 v65, v65, v66
	v_mul_f32_e32 v66, v82, v127
	v_add_f32_e32 v97, v97, v98
	s_waitcnt vmcnt(29)
	v_mul_f32_e32 v98, v91, v145
	v_fma_f32 v66, v81, v136, -v66
	s_waitcnt vmcnt(28)
	v_fmac_f32_e32 v98, v92, v146
	v_add_f32_e32 v65, v65, v66
	v_mul_f32_e32 v66, v84, v137
	v_add_f32_e32 v97, v97, v98
	s_waitcnt vmcnt(27) lgkmcnt(0)
	v_mul_f32_e32 v98, v93, v147
	v_fma_f32 v66, v83, v138, -v66
	s_waitcnt vmcnt(26)
	v_fmac_f32_e32 v98, v94, v148
	v_add_f32_e32 v65, v65, v66
	v_mul_f32_e32 v66, v86, v139
	v_add_f32_e32 v101, v97, v98
	ds_read_b128 v[97:100], v64 offset:416
	v_fma_f32 v66, v85, v140, -v66
	v_add_f32_e32 v65, v65, v66
	v_mul_f32_e32 v66, v88, v141
	s_waitcnt vmcnt(24)
	v_mul_f32_e32 v102, v95, v150
	v_fma_f32 v66, v87, v142, -v66
	v_fmac_f32_e32 v102, v96, v149
	v_add_f32_e32 v65, v65, v66
	v_mul_f32_e32 v66, v90, v143
	v_add_f32_e32 v105, v101, v102
	ds_read_b128 v[101:104], v64 offset:432
	v_fma_f32 v66, v89, v144, -v66
	s_waitcnt vmcnt(21) lgkmcnt(1)
	v_mul_f32_e32 v106, v97, v153
	v_add_f32_e32 v65, v65, v66
	v_mul_f32_e32 v66, v92, v145
	s_waitcnt vmcnt(20)
	v_fmac_f32_e32 v106, v98, v154
	v_fma_f32 v66, v91, v146, -v66
	v_add_f32_e32 v105, v105, v106
	s_waitcnt vmcnt(18)
	v_mul_f32_e32 v106, v99, v156
	v_add_f32_e32 v65, v65, v66
	v_mul_f32_e32 v66, v94, v147
	v_fmac_f32_e32 v106, v100, v155
	v_fma_f32 v66, v93, v148, -v66
	v_add_f32_e32 v105, v105, v106
	s_waitcnt vmcnt(16) lgkmcnt(0)
	v_mul_f32_e32 v106, v101, v158
	v_add_f32_e32 v65, v65, v66
	v_mul_f32_e32 v66, v96, v150
	v_fmac_f32_e32 v106, v102, v157
	v_fma_f32 v66, v95, v149, -v66
	v_add_f32_e32 v109, v105, v106
	ds_read_b128 v[105:108], v64 offset:448
	v_add_f32_e32 v65, v65, v66
	v_mul_f32_e32 v66, v98, v153
	v_fma_f32 v66, v97, v154, -v66
	s_waitcnt vmcnt(14)
	v_mul_f32_e32 v110, v103, v160
	v_add_f32_e32 v65, v65, v66
	v_mul_f32_e32 v66, v100, v156
	v_fmac_f32_e32 v110, v104, v159
	v_fma_f32 v66, v99, v155, -v66
	v_add_f32_e32 v113, v109, v110
	ds_read_b128 v[109:112], v64 offset:464
	v_add_f32_e32 v65, v65, v66
	v_mul_f32_e32 v66, v102, v158
	s_waitcnt vmcnt(12) lgkmcnt(1)
	v_mul_f32_e32 v114, v105, v162
	v_fma_f32 v66, v101, v157, -v66
	v_fmac_f32_e32 v114, v106, v161
	v_add_f32_e32 v65, v65, v66
	v_mul_f32_e32 v66, v104, v160
	v_add_f32_e32 v113, v113, v114
	s_waitcnt vmcnt(10)
	v_mul_f32_e32 v114, v107, v164
	v_fma_f32 v66, v103, v159, -v66
	v_fmac_f32_e32 v114, v108, v163
	v_add_f32_e32 v65, v65, v66
	v_mul_f32_e32 v66, v106, v162
	v_add_f32_e32 v113, v113, v114
	s_waitcnt vmcnt(8) lgkmcnt(0)
	v_mul_f32_e32 v114, v109, v166
	v_fma_f32 v66, v105, v161, -v66
	v_fmac_f32_e32 v114, v110, v165
	v_add_f32_e32 v65, v65, v66
	v_mul_f32_e32 v66, v108, v164
	v_add_f32_e32 v117, v113, v114
	ds_read_b128 v[113:116], v64 offset:480
	v_fma_f32 v66, v107, v163, -v66
	v_add_f32_e32 v65, v65, v66
	v_mul_f32_e32 v66, v110, v166
	s_waitcnt vmcnt(6)
	v_mul_f32_e32 v118, v111, v168
	v_fma_f32 v66, v109, v165, -v66
	v_fmac_f32_e32 v118, v112, v167
	v_add_f32_e32 v65, v65, v66
	v_mul_f32_e32 v66, v112, v168
	v_add_f32_e32 v175, v117, v118
	ds_read_b64 v[117:118], v64 offset:496
	v_fma_f32 v66, v111, v167, -v66
	v_add_f32_e32 v65, v65, v66
	s_waitcnt vmcnt(4) lgkmcnt(1)
	v_mul_f32_e32 v66, v114, v170
	v_mul_f32_e32 v176, v113, v170
	v_fma_f32 v66, v113, v169, -v66
	v_fmac_f32_e32 v176, v114, v169
	v_add_f32_e32 v65, v65, v66
	s_waitcnt vmcnt(2)
	v_mul_f32_e32 v66, v116, v172
	v_add_f32_e32 v175, v175, v176
	v_mul_f32_e32 v176, v115, v172
	v_fma_f32 v66, v115, v171, -v66
	v_fmac_f32_e32 v176, v116, v171
	v_add_f32_e32 v65, v65, v66
	s_waitcnt vmcnt(0) lgkmcnt(0)
	v_mul_f32_e32 v66, v118, v174
	v_add_f32_e32 v175, v175, v176
	v_mul_f32_e32 v176, v117, v174
	v_fma_f32 v66, v117, v173, -v66
	v_fmac_f32_e32 v176, v118, v173
	v_add_f32_e32 v65, v65, v66
	v_add_f32_e32 v175, v175, v176
	v_sub_f32_e32 v65, v151, v65
	v_sub_f32_e32 v66, v152, v175
	buffer_store_dword v65, off, s[0:3], 0 offset:24
	buffer_store_dword v66, off, s[0:3], 0 offset:28
	s_and_saveexec_b64 s[4:5], vcc
	s_cbranch_execz .LBB94_195
; %bb.194:
	buffer_load_dword v65, off, s[0:3], 0 offset:16
	buffer_load_dword v66, off, s[0:3], 0 offset:20
	s_waitcnt vmcnt(0)
	ds_write_b64 v63, v[65:66]
	buffer_store_dword v64, off, s[0:3], 0 offset:16
	buffer_store_dword v64, off, s[0:3], 0 offset:20
.LBB94_195:
	s_or_b64 exec, exec, s[4:5]
	s_waitcnt lgkmcnt(0)
	; wave barrier
	buffer_load_dword v121, off, s[0:3], 0 offset:28
	buffer_load_dword v122, off, s[0:3], 0 offset:36
	buffer_load_dword v123, off, s[0:3], 0 offset:44
	buffer_load_dword v124, off, s[0:3], 0 offset:52
	buffer_load_dword v125, off, s[0:3], 0 offset:60
	buffer_load_dword v126, off, s[0:3], 0 offset:68
	buffer_load_dword v127, off, s[0:3], 0 offset:76
	buffer_load_dword v128, off, s[0:3], 0 offset:84
	buffer_load_dword v129, off, s[0:3], 0 offset:24
	buffer_load_dword v130, off, s[0:3], 0 offset:32
	buffer_load_dword v131, off, s[0:3], 0 offset:40
	buffer_load_dword v132, off, s[0:3], 0 offset:48
	buffer_load_dword v133, off, s[0:3], 0 offset:56
	buffer_load_dword v134, off, s[0:3], 0 offset:64
	buffer_load_dword v135, off, s[0:3], 0 offset:72
	buffer_load_dword v136, off, s[0:3], 0 offset:80
	buffer_load_dword v137, off, s[0:3], 0 offset:92
	buffer_load_dword v138, off, s[0:3], 0 offset:88
	buffer_load_dword v139, off, s[0:3], 0 offset:100
	buffer_load_dword v140, off, s[0:3], 0 offset:96
	buffer_load_dword v141, off, s[0:3], 0 offset:108
	buffer_load_dword v142, off, s[0:3], 0 offset:104
	buffer_load_dword v143, off, s[0:3], 0 offset:116
	buffer_load_dword v144, off, s[0:3], 0 offset:112
	buffer_load_dword v145, off, s[0:3], 0 offset:124
	buffer_load_dword v146, off, s[0:3], 0 offset:120
	buffer_load_dword v147, off, s[0:3], 0 offset:132
	buffer_load_dword v148, off, s[0:3], 0 offset:128
	buffer_load_dword v149, off, s[0:3], 0 offset:140
	buffer_load_dword v150, off, s[0:3], 0 offset:136
	buffer_load_dword v151, off, s[0:3], 0 offset:16
	buffer_load_dword v152, off, s[0:3], 0 offset:20
	buffer_load_dword v153, off, s[0:3], 0 offset:148
	buffer_load_dword v154, off, s[0:3], 0 offset:144
	ds_read2_b64 v[65:68], v64 offset0:35 offset1:36
	ds_read2_b64 v[69:72], v64 offset0:37 offset1:38
	buffer_load_dword v155, off, s[0:3], 0 offset:156
	buffer_load_dword v156, off, s[0:3], 0 offset:152
	;; [unrolled: 1-line block ×6, first 2 shown]
	ds_read2_b64 v[73:76], v64 offset0:39 offset1:40
	ds_read2_b64 v[77:80], v64 offset0:41 offset1:42
	;; [unrolled: 1-line block ×4, first 2 shown]
	buffer_load_dword v161, off, s[0:3], 0 offset:180
	buffer_load_dword v162, off, s[0:3], 0 offset:176
	;; [unrolled: 1-line block ×18, first 2 shown]
	v_cmp_lt_u32_e32 vcc, 1, v0
	s_waitcnt vmcnt(57) lgkmcnt(5)
	v_mul_f32_e32 v89, v65, v121
	s_waitcnt vmcnt(56)
	v_mul_f32_e32 v90, v67, v122
	s_waitcnt vmcnt(55) lgkmcnt(4)
	v_mul_f32_e32 v91, v69, v123
	s_waitcnt vmcnt(54)
	v_mul_f32_e32 v92, v71, v124
	;; [unrolled: 4-line block ×4, first 2 shown]
	s_waitcnt vmcnt(49)
	v_fmac_f32_e32 v89, v66, v129
	s_waitcnt vmcnt(48)
	v_fmac_f32_e32 v90, v68, v130
	v_add_f32_e32 v89, 0, v89
	s_waitcnt vmcnt(47)
	v_fmac_f32_e32 v91, v70, v131
	v_add_f32_e32 v89, v89, v90
	;; [unrolled: 3-line block ×4, first 2 shown]
	v_mul_f32_e32 v66, v66, v121
	s_waitcnt vmcnt(44)
	v_fmac_f32_e32 v94, v76, v134
	v_add_f32_e32 v89, v89, v93
	v_fma_f32 v65, v65, v129, -v66
	v_mul_f32_e32 v66, v68, v122
	s_waitcnt vmcnt(43)
	v_fmac_f32_e32 v95, v78, v135
	v_add_f32_e32 v89, v89, v94
	v_add_f32_e32 v65, 0, v65
	v_fma_f32 v66, v67, v130, -v66
	s_waitcnt vmcnt(42)
	v_fmac_f32_e32 v96, v80, v136
	v_add_f32_e32 v89, v89, v95
	s_waitcnt vmcnt(41) lgkmcnt(1)
	v_mul_f32_e32 v90, v81, v137
	v_add_f32_e32 v65, v65, v66
	v_mul_f32_e32 v66, v70, v123
	v_add_f32_e32 v89, v89, v96
	s_waitcnt vmcnt(40)
	v_fmac_f32_e32 v90, v82, v138
	v_fma_f32 v66, v69, v131, -v66
	v_add_f32_e32 v89, v89, v90
	s_waitcnt vmcnt(39)
	v_mul_f32_e32 v90, v83, v139
	v_add_f32_e32 v65, v65, v66
	v_mul_f32_e32 v66, v72, v124
	s_waitcnt vmcnt(38)
	v_fmac_f32_e32 v90, v84, v140
	v_fma_f32 v66, v71, v132, -v66
	v_add_f32_e32 v89, v89, v90
	s_waitcnt vmcnt(37) lgkmcnt(0)
	v_mul_f32_e32 v90, v85, v141
	v_add_f32_e32 v65, v65, v66
	v_mul_f32_e32 v66, v74, v125
	s_waitcnt vmcnt(36)
	v_fmac_f32_e32 v90, v86, v142
	v_fma_f32 v66, v73, v133, -v66
	v_add_f32_e32 v93, v89, v90
	ds_read2_b64 v[89:92], v64 offset0:47 offset1:48
	v_add_f32_e32 v65, v65, v66
	v_mul_f32_e32 v66, v76, v126
	v_fma_f32 v66, v75, v134, -v66
	s_waitcnt vmcnt(35)
	v_mul_f32_e32 v94, v87, v143
	v_add_f32_e32 v65, v65, v66
	v_mul_f32_e32 v66, v78, v127
	s_waitcnt vmcnt(34)
	v_fmac_f32_e32 v94, v88, v144
	v_fma_f32 v66, v77, v135, -v66
	v_add_f32_e32 v97, v93, v94
	ds_read2_b64 v[93:96], v64 offset0:49 offset1:50
	v_add_f32_e32 v65, v65, v66
	v_mul_f32_e32 v66, v80, v128
	s_waitcnt vmcnt(33) lgkmcnt(1)
	v_mul_f32_e32 v98, v89, v145
	v_fma_f32 v66, v79, v136, -v66
	s_waitcnt vmcnt(32)
	v_fmac_f32_e32 v98, v90, v146
	v_add_f32_e32 v65, v65, v66
	v_mul_f32_e32 v66, v82, v137
	v_add_f32_e32 v97, v97, v98
	s_waitcnt vmcnt(31)
	v_mul_f32_e32 v98, v91, v147
	v_fma_f32 v66, v81, v138, -v66
	s_waitcnt vmcnt(30)
	v_fmac_f32_e32 v98, v92, v148
	v_add_f32_e32 v65, v65, v66
	v_mul_f32_e32 v66, v84, v139
	v_add_f32_e32 v97, v97, v98
	s_waitcnt vmcnt(29) lgkmcnt(0)
	v_mul_f32_e32 v98, v93, v149
	v_fma_f32 v66, v83, v140, -v66
	s_waitcnt vmcnt(28)
	v_fmac_f32_e32 v98, v94, v150
	v_add_f32_e32 v65, v65, v66
	v_mul_f32_e32 v66, v86, v141
	v_add_f32_e32 v101, v97, v98
	ds_read2_b64 v[97:100], v64 offset0:51 offset1:52
	v_fma_f32 v66, v85, v142, -v66
	v_add_f32_e32 v65, v65, v66
	v_mul_f32_e32 v66, v88, v143
	s_waitcnt vmcnt(25)
	v_mul_f32_e32 v102, v95, v153
	v_fma_f32 v66, v87, v144, -v66
	s_waitcnt vmcnt(24)
	v_fmac_f32_e32 v102, v96, v154
	v_add_f32_e32 v65, v65, v66
	v_mul_f32_e32 v66, v90, v145
	v_add_f32_e32 v105, v101, v102
	ds_read2_b64 v[101:104], v64 offset0:53 offset1:54
	v_fma_f32 v66, v89, v146, -v66
	s_waitcnt vmcnt(23) lgkmcnt(1)
	v_mul_f32_e32 v106, v97, v155
	v_add_f32_e32 v65, v65, v66
	v_mul_f32_e32 v66, v92, v147
	s_waitcnt vmcnt(22)
	v_fmac_f32_e32 v106, v98, v156
	v_fma_f32 v66, v91, v148, -v66
	v_add_f32_e32 v105, v105, v106
	s_waitcnt vmcnt(20)
	v_mul_f32_e32 v106, v99, v158
	v_add_f32_e32 v65, v65, v66
	v_mul_f32_e32 v66, v94, v149
	v_fmac_f32_e32 v106, v100, v157
	v_fma_f32 v66, v93, v150, -v66
	v_add_f32_e32 v105, v105, v106
	s_waitcnt vmcnt(18) lgkmcnt(0)
	v_mul_f32_e32 v106, v101, v160
	v_add_f32_e32 v65, v65, v66
	v_mul_f32_e32 v66, v96, v153
	v_fmac_f32_e32 v106, v102, v159
	v_fma_f32 v66, v95, v154, -v66
	v_add_f32_e32 v109, v105, v106
	ds_read2_b64 v[105:108], v64 offset0:55 offset1:56
	v_add_f32_e32 v65, v65, v66
	v_mul_f32_e32 v66, v98, v155
	v_fma_f32 v66, v97, v156, -v66
	s_waitcnt vmcnt(17)
	v_mul_f32_e32 v110, v103, v161
	v_add_f32_e32 v65, v65, v66
	v_mul_f32_e32 v66, v100, v158
	s_waitcnt vmcnt(16)
	v_fmac_f32_e32 v110, v104, v162
	v_fma_f32 v66, v99, v157, -v66
	v_add_f32_e32 v113, v109, v110
	ds_read2_b64 v[109:112], v64 offset0:57 offset1:58
	v_add_f32_e32 v65, v65, v66
	v_mul_f32_e32 v66, v102, v160
	s_waitcnt vmcnt(14) lgkmcnt(1)
	v_mul_f32_e32 v114, v105, v164
	v_fma_f32 v66, v101, v159, -v66
	v_fmac_f32_e32 v114, v106, v163
	v_add_f32_e32 v65, v65, v66
	v_mul_f32_e32 v66, v104, v161
	v_add_f32_e32 v113, v113, v114
	s_waitcnt vmcnt(12)
	v_mul_f32_e32 v114, v107, v166
	v_fma_f32 v66, v103, v162, -v66
	v_fmac_f32_e32 v114, v108, v165
	v_add_f32_e32 v65, v65, v66
	v_mul_f32_e32 v66, v106, v164
	v_add_f32_e32 v113, v113, v114
	s_waitcnt vmcnt(10) lgkmcnt(0)
	v_mul_f32_e32 v114, v109, v168
	v_fma_f32 v66, v105, v163, -v66
	v_fmac_f32_e32 v114, v110, v167
	v_add_f32_e32 v65, v65, v66
	v_mul_f32_e32 v66, v108, v166
	v_add_f32_e32 v117, v113, v114
	ds_read2_b64 v[113:116], v64 offset0:59 offset1:60
	v_fma_f32 v66, v107, v165, -v66
	v_add_f32_e32 v65, v65, v66
	v_mul_f32_e32 v66, v110, v168
	s_waitcnt vmcnt(8)
	v_mul_f32_e32 v118, v111, v170
	v_fma_f32 v66, v109, v167, -v66
	v_fmac_f32_e32 v118, v112, v169
	v_add_f32_e32 v65, v65, v66
	v_mul_f32_e32 v66, v112, v170
	v_add_f32_e32 v179, v117, v118
	ds_read2_b64 v[117:120], v64 offset0:61 offset1:62
	v_fma_f32 v66, v111, v169, -v66
	v_add_f32_e32 v65, v65, v66
	s_waitcnt vmcnt(6) lgkmcnt(1)
	v_mul_f32_e32 v66, v114, v172
	v_mul_f32_e32 v64, v113, v172
	v_fma_f32 v66, v113, v171, -v66
	v_fmac_f32_e32 v64, v114, v171
	v_add_f32_e32 v65, v65, v66
	s_waitcnt vmcnt(4)
	v_mul_f32_e32 v66, v116, v174
	v_add_f32_e32 v64, v179, v64
	v_mul_f32_e32 v179, v115, v174
	v_fma_f32 v66, v115, v173, -v66
	v_fmac_f32_e32 v179, v116, v173
	v_add_f32_e32 v65, v65, v66
	s_waitcnt vmcnt(2) lgkmcnt(0)
	v_mul_f32_e32 v66, v118, v176
	v_add_f32_e32 v64, v64, v179
	v_mul_f32_e32 v179, v117, v176
	v_fma_f32 v66, v117, v175, -v66
	v_fmac_f32_e32 v179, v118, v175
	v_add_f32_e32 v65, v65, v66
	s_waitcnt vmcnt(0)
	v_mul_f32_e32 v66, v120, v178
	v_add_f32_e32 v64, v64, v179
	v_mul_f32_e32 v179, v119, v178
	v_fma_f32 v66, v119, v177, -v66
	v_fmac_f32_e32 v179, v120, v177
	v_add_f32_e32 v65, v65, v66
	v_add_f32_e32 v64, v64, v179
	v_sub_f32_e32 v65, v151, v65
	v_sub_f32_e32 v64, v152, v64
	buffer_store_dword v65, off, s[0:3], 0 offset:16
	buffer_store_dword v64, off, s[0:3], 0 offset:20
	s_and_saveexec_b64 s[4:5], vcc
	s_cbranch_execz .LBB94_197
; %bb.196:
	buffer_load_dword v64, off, s[0:3], 0 offset:8
	buffer_load_dword v65, off, s[0:3], 0 offset:12
	v_mov_b32_e32 v66, 0
	buffer_store_dword v66, off, s[0:3], 0 offset:8
	buffer_store_dword v66, off, s[0:3], 0 offset:12
	s_waitcnt vmcnt(2)
	ds_write_b64 v63, v[64:65]
.LBB94_197:
	s_or_b64 exec, exec, s[4:5]
	s_waitcnt lgkmcnt(0)
	; wave barrier
	buffer_load_dword v123, off, s[0:3], 0 offset:20
	buffer_load_dword v124, off, s[0:3], 0 offset:28
	;; [unrolled: 1-line block ×60, first 2 shown]
	v_mov_b32_e32 v64, 0
	ds_read_b128 v[65:68], v64 offset:272
	ds_read_b128 v[69:72], v64 offset:288
	;; [unrolled: 1-line block ×5, first 2 shown]
	v_cmp_ne_u32_e32 vcc, 0, v0
	s_waitcnt vmcnt(59) lgkmcnt(4)
	v_mul_f32_e32 v85, v65, v123
	s_waitcnt vmcnt(58)
	v_mul_f32_e32 v86, v67, v124
	s_waitcnt vmcnt(57) lgkmcnt(3)
	v_mul_f32_e32 v87, v69, v125
	s_waitcnt vmcnt(56)
	v_mul_f32_e32 v88, v71, v126
	;; [unrolled: 4-line block ×3, first 2 shown]
	s_waitcnt vmcnt(53) lgkmcnt(1)
	v_mul_f32_e32 v91, v77, v129
	s_waitcnt vmcnt(52)
	v_fmac_f32_e32 v85, v66, v130
	s_waitcnt vmcnt(51)
	v_fmac_f32_e32 v86, v68, v131
	v_add_f32_e32 v85, 0, v85
	s_waitcnt vmcnt(50)
	v_fmac_f32_e32 v87, v70, v132
	v_add_f32_e32 v85, v85, v86
	;; [unrolled: 3-line block ×6, first 2 shown]
	s_waitcnt vmcnt(45)
	v_mul_f32_e32 v86, v79, v137
	v_add_f32_e32 v85, v85, v91
	s_waitcnt vmcnt(44)
	v_fmac_f32_e32 v86, v80, v138
	v_mul_f32_e32 v66, v66, v123
	v_add_f32_e32 v89, v85, v86
	ds_read_b128 v[85:88], v64 offset:352
	v_fma_f32 v65, v65, v130, -v66
	v_mul_f32_e32 v66, v68, v124
	s_waitcnt vmcnt(43) lgkmcnt(1)
	v_mul_f32_e32 v90, v81, v139
	v_add_f32_e32 v65, 0, v65
	v_fma_f32 v66, v67, v131, -v66
	s_waitcnt vmcnt(42)
	v_fmac_f32_e32 v90, v82, v140
	v_add_f32_e32 v65, v65, v66
	v_mul_f32_e32 v66, v70, v125
	v_add_f32_e32 v89, v89, v90
	s_waitcnt vmcnt(41)
	v_mul_f32_e32 v90, v83, v141
	v_fma_f32 v66, v69, v132, -v66
	s_waitcnt vmcnt(40)
	v_fmac_f32_e32 v90, v84, v142
	v_add_f32_e32 v65, v65, v66
	v_mul_f32_e32 v66, v72, v126
	v_add_f32_e32 v89, v89, v90
	s_waitcnt vmcnt(39) lgkmcnt(0)
	v_mul_f32_e32 v90, v85, v143
	v_fma_f32 v66, v71, v133, -v66
	s_waitcnt vmcnt(38)
	v_fmac_f32_e32 v90, v86, v144
	v_add_f32_e32 v65, v65, v66
	v_mul_f32_e32 v66, v74, v127
	v_add_f32_e32 v93, v89, v90
	ds_read_b128 v[89:92], v64 offset:368
	v_fma_f32 v66, v73, v134, -v66
	v_add_f32_e32 v65, v65, v66
	v_mul_f32_e32 v66, v76, v128
	s_waitcnt vmcnt(37)
	v_mul_f32_e32 v94, v87, v145
	v_fma_f32 v66, v75, v135, -v66
	s_waitcnt vmcnt(36)
	v_fmac_f32_e32 v94, v88, v146
	v_add_f32_e32 v65, v65, v66
	v_mul_f32_e32 v66, v78, v129
	v_add_f32_e32 v97, v93, v94
	ds_read_b128 v[93:96], v64 offset:384
	v_fma_f32 v66, v77, v136, -v66
	s_waitcnt vmcnt(34) lgkmcnt(1)
	v_mul_f32_e32 v98, v89, v148
	v_add_f32_e32 v65, v65, v66
	v_mul_f32_e32 v66, v80, v137
	v_fmac_f32_e32 v98, v90, v147
	v_fma_f32 v66, v79, v138, -v66
	v_add_f32_e32 v97, v97, v98
	s_waitcnt vmcnt(31)
	v_mul_f32_e32 v98, v91, v151
	v_add_f32_e32 v65, v65, v66
	v_mul_f32_e32 v66, v82, v139
	s_waitcnt vmcnt(30)
	v_fmac_f32_e32 v98, v92, v152
	v_fma_f32 v66, v81, v140, -v66
	v_add_f32_e32 v97, v97, v98
	s_waitcnt vmcnt(28) lgkmcnt(0)
	v_mul_f32_e32 v98, v93, v154
	v_add_f32_e32 v65, v65, v66
	v_mul_f32_e32 v66, v84, v141
	v_fmac_f32_e32 v98, v94, v153
	v_fma_f32 v66, v83, v142, -v66
	v_add_f32_e32 v101, v97, v98
	ds_read_b128 v[97:100], v64 offset:400
	v_add_f32_e32 v65, v65, v66
	v_mul_f32_e32 v66, v86, v143
	v_fma_f32 v66, v85, v144, -v66
	s_waitcnt vmcnt(26)
	v_mul_f32_e32 v102, v95, v156
	v_add_f32_e32 v65, v65, v66
	v_mul_f32_e32 v66, v88, v145
	v_fmac_f32_e32 v102, v96, v155
	v_fma_f32 v66, v87, v146, -v66
	v_add_f32_e32 v105, v101, v102
	ds_read_b128 v[101:104], v64 offset:416
	v_add_f32_e32 v65, v65, v66
	v_mul_f32_e32 v66, v90, v148
	s_waitcnt vmcnt(24) lgkmcnt(1)
	v_mul_f32_e32 v106, v97, v158
	v_fma_f32 v66, v89, v147, -v66
	v_fmac_f32_e32 v106, v98, v157
	v_add_f32_e32 v65, v65, v66
	v_mul_f32_e32 v66, v92, v151
	v_add_f32_e32 v105, v105, v106
	s_waitcnt vmcnt(22)
	v_mul_f32_e32 v106, v99, v160
	v_fma_f32 v66, v91, v152, -v66
	v_fmac_f32_e32 v106, v100, v159
	v_add_f32_e32 v65, v65, v66
	v_mul_f32_e32 v66, v94, v154
	v_add_f32_e32 v105, v105, v106
	s_waitcnt vmcnt(20) lgkmcnt(0)
	v_mul_f32_e32 v106, v101, v162
	v_fma_f32 v66, v93, v153, -v66
	v_fmac_f32_e32 v106, v102, v161
	v_add_f32_e32 v65, v65, v66
	v_mul_f32_e32 v66, v96, v156
	v_add_f32_e32 v109, v105, v106
	ds_read_b128 v[105:108], v64 offset:432
	v_fma_f32 v66, v95, v155, -v66
	v_add_f32_e32 v65, v65, v66
	v_mul_f32_e32 v66, v98, v158
	s_waitcnt vmcnt(18)
	v_mul_f32_e32 v110, v103, v164
	v_fma_f32 v66, v97, v157, -v66
	v_fmac_f32_e32 v110, v104, v163
	v_add_f32_e32 v65, v65, v66
	v_mul_f32_e32 v66, v100, v160
	v_add_f32_e32 v113, v109, v110
	ds_read_b128 v[109:112], v64 offset:448
	v_fma_f32 v66, v99, v159, -v66
	s_waitcnt vmcnt(16) lgkmcnt(1)
	v_mul_f32_e32 v114, v105, v166
	v_add_f32_e32 v65, v65, v66
	v_mul_f32_e32 v66, v102, v162
	v_fmac_f32_e32 v114, v106, v165
	v_fma_f32 v66, v101, v161, -v66
	v_add_f32_e32 v113, v113, v114
	s_waitcnt vmcnt(14)
	v_mul_f32_e32 v114, v107, v168
	v_add_f32_e32 v65, v65, v66
	v_mul_f32_e32 v66, v104, v164
	v_fmac_f32_e32 v114, v108, v167
	v_fma_f32 v66, v103, v163, -v66
	v_add_f32_e32 v113, v113, v114
	s_waitcnt vmcnt(12) lgkmcnt(0)
	v_mul_f32_e32 v114, v109, v170
	v_add_f32_e32 v65, v65, v66
	v_mul_f32_e32 v66, v106, v166
	v_fmac_f32_e32 v114, v110, v169
	v_fma_f32 v66, v105, v165, -v66
	v_add_f32_e32 v117, v113, v114
	ds_read_b128 v[113:116], v64 offset:464
	v_add_f32_e32 v65, v65, v66
	v_mul_f32_e32 v66, v108, v168
	v_fma_f32 v66, v107, v167, -v66
	v_add_f32_e32 v65, v65, v66
	v_mul_f32_e32 v66, v110, v170
	s_waitcnt vmcnt(10)
	v_mul_f32_e32 v118, v111, v172
	v_fma_f32 v66, v109, v169, -v66
	v_fmac_f32_e32 v118, v112, v171
	v_add_f32_e32 v65, v65, v66
	v_mul_f32_e32 v66, v112, v172
	v_add_f32_e32 v121, v117, v118
	ds_read_b128 v[117:120], v64 offset:480
	s_waitcnt vmcnt(8) lgkmcnt(1)
	v_mul_f32_e32 v122, v113, v174
	v_fma_f32 v66, v111, v171, -v66
	v_fmac_f32_e32 v122, v114, v173
	v_add_f32_e32 v65, v65, v66
	v_mul_f32_e32 v66, v114, v174
	v_add_f32_e32 v121, v121, v122
	s_waitcnt vmcnt(6)
	v_mul_f32_e32 v122, v115, v176
	v_fma_f32 v66, v113, v173, -v66
	v_fmac_f32_e32 v122, v116, v175
	v_add_f32_e32 v65, v65, v66
	v_mul_f32_e32 v66, v116, v176
	v_add_f32_e32 v183, v121, v122
	ds_read_b64 v[121:122], v64 offset:496
	v_fma_f32 v66, v115, v175, -v66
	v_add_f32_e32 v65, v65, v66
	s_waitcnt vmcnt(4) lgkmcnt(1)
	v_mul_f32_e32 v66, v118, v178
	v_mul_f32_e32 v184, v117, v178
	v_fma_f32 v66, v117, v177, -v66
	v_fmac_f32_e32 v184, v118, v177
	v_add_f32_e32 v65, v65, v66
	s_waitcnt vmcnt(2)
	v_mul_f32_e32 v66, v120, v180
	v_add_f32_e32 v183, v183, v184
	v_mul_f32_e32 v184, v119, v180
	v_fma_f32 v66, v119, v179, -v66
	v_fmac_f32_e32 v184, v120, v179
	v_add_f32_e32 v65, v65, v66
	s_waitcnt vmcnt(0) lgkmcnt(0)
	v_mul_f32_e32 v66, v122, v182
	v_add_f32_e32 v183, v183, v184
	v_mul_f32_e32 v184, v121, v182
	v_fma_f32 v66, v121, v181, -v66
	v_fmac_f32_e32 v184, v122, v181
	v_add_f32_e32 v65, v65, v66
	v_add_f32_e32 v183, v183, v184
	v_sub_f32_e32 v65, v149, v65
	v_sub_f32_e32 v66, v150, v183
	buffer_store_dword v65, off, s[0:3], 0 offset:8
	buffer_store_dword v66, off, s[0:3], 0 offset:12
	s_and_saveexec_b64 s[4:5], vcc
	s_cbranch_execz .LBB94_199
; %bb.198:
	buffer_load_dword v65, off, s[0:3], 0
	buffer_load_dword v66, off, s[0:3], 0 offset:4
	s_waitcnt vmcnt(0)
	ds_write_b64 v63, v[65:66]
	buffer_store_dword v64, off, s[0:3], 0
	buffer_store_dword v64, off, s[0:3], 0 offset:4
.LBB94_199:
	s_or_b64 exec, exec, s[4:5]
	s_waitcnt lgkmcnt(0)
	; wave barrier
	buffer_load_dword v0, off, s[0:3], 0 offset:12
	buffer_load_dword v63, off, s[0:3], 0 offset:20
	;; [unrolled: 1-line block ×24, first 2 shown]
	buffer_load_dword v147, off, s[0:3], 0
	buffer_load_dword v148, off, s[0:3], 0 offset:4
	buffer_load_dword v149, off, s[0:3], 0 offset:108
	;; [unrolled: 1-line block ×7, first 2 shown]
	ds_read2_b64 v[65:68], v64 offset0:33 offset1:34
	ds_read2_b64 v[69:72], v64 offset0:35 offset1:36
	;; [unrolled: 1-line block ×4, first 2 shown]
	buffer_load_dword v155, off, s[0:3], 0 offset:132
	buffer_load_dword v156, off, s[0:3], 0 offset:128
	;; [unrolled: 1-line block ×30, first 2 shown]
	s_and_b64 vcc, exec, s[14:15]
	s_waitcnt vmcnt(61) lgkmcnt(3)
	v_mul_f32_e32 v81, v65, v0
	s_waitcnt vmcnt(60)
	v_mul_f32_e32 v82, v67, v63
	s_waitcnt vmcnt(59) lgkmcnt(2)
	v_mul_f32_e32 v83, v69, v125
	s_waitcnt vmcnt(58)
	v_mul_f32_e32 v84, v71, v126
	s_waitcnt vmcnt(57) lgkmcnt(1)
	v_mul_f32_e32 v85, v73, v127
	s_waitcnt vmcnt(56)
	v_mul_f32_e32 v86, v75, v128
	s_waitcnt vmcnt(55) lgkmcnt(0)
	v_mul_f32_e32 v87, v77, v129
	s_waitcnt vmcnt(54)
	v_fmac_f32_e32 v81, v66, v130
	s_waitcnt vmcnt(53)
	v_fmac_f32_e32 v82, v68, v131
	v_add_f32_e32 v81, 0, v81
	s_waitcnt vmcnt(52)
	v_fmac_f32_e32 v83, v70, v132
	v_add_f32_e32 v81, v81, v82
	;; [unrolled: 3-line block ×6, first 2 shown]
	v_add_f32_e32 v85, v81, v87
	ds_read2_b64 v[81:84], v64 offset0:41 offset1:42
	s_waitcnt vmcnt(47)
	v_mul_f32_e32 v86, v79, v137
	s_waitcnt vmcnt(46)
	v_fmac_f32_e32 v86, v80, v138
	v_mul_f32_e32 v0, v66, v0
	v_add_f32_e32 v89, v85, v86
	ds_read2_b64 v[85:88], v64 offset0:43 offset1:44
	v_fma_f32 v0, v65, v130, -v0
	v_mul_f32_e32 v63, v68, v63
	s_waitcnt vmcnt(45) lgkmcnt(1)
	v_mul_f32_e32 v90, v81, v139
	v_add_f32_e32 v0, 0, v0
	v_fma_f32 v63, v67, v131, -v63
	s_waitcnt vmcnt(44)
	v_fmac_f32_e32 v90, v82, v140
	v_add_f32_e32 v0, v0, v63
	v_mul_f32_e32 v63, v70, v125
	v_add_f32_e32 v89, v89, v90
	s_waitcnt vmcnt(43)
	v_mul_f32_e32 v90, v83, v141
	v_fma_f32 v63, v69, v132, -v63
	s_waitcnt vmcnt(42)
	v_fmac_f32_e32 v90, v84, v142
	v_add_f32_e32 v0, v0, v63
	v_mul_f32_e32 v63, v72, v126
	v_add_f32_e32 v89, v89, v90
	s_waitcnt vmcnt(41) lgkmcnt(0)
	v_mul_f32_e32 v90, v85, v143
	v_fma_f32 v63, v71, v133, -v63
	s_waitcnt vmcnt(40)
	v_fmac_f32_e32 v90, v86, v144
	v_add_f32_e32 v0, v0, v63
	v_mul_f32_e32 v63, v74, v127
	v_add_f32_e32 v93, v89, v90
	ds_read2_b64 v[89:92], v64 offset0:45 offset1:46
	v_fma_f32 v63, v73, v134, -v63
	v_add_f32_e32 v0, v0, v63
	v_mul_f32_e32 v63, v76, v128
	s_waitcnt vmcnt(39)
	v_mul_f32_e32 v94, v87, v145
	v_fma_f32 v63, v75, v135, -v63
	s_waitcnt vmcnt(38)
	v_fmac_f32_e32 v94, v88, v146
	v_add_f32_e32 v0, v0, v63
	v_mul_f32_e32 v63, v78, v129
	v_add_f32_e32 v97, v93, v94
	ds_read2_b64 v[93:96], v64 offset0:47 offset1:48
	v_fma_f32 v63, v77, v136, -v63
	s_waitcnt vmcnt(35) lgkmcnt(1)
	v_mul_f32_e32 v98, v89, v149
	v_add_f32_e32 v0, v0, v63
	v_mul_f32_e32 v63, v80, v137
	s_waitcnt vmcnt(34)
	v_fmac_f32_e32 v98, v90, v150
	v_fma_f32 v63, v79, v138, -v63
	v_add_f32_e32 v97, v97, v98
	s_waitcnt vmcnt(32)
	v_mul_f32_e32 v98, v91, v152
	v_add_f32_e32 v0, v0, v63
	v_mul_f32_e32 v63, v82, v139
	v_fmac_f32_e32 v98, v92, v151
	v_fma_f32 v63, v81, v140, -v63
	v_add_f32_e32 v97, v97, v98
	s_waitcnt vmcnt(30) lgkmcnt(0)
	v_mul_f32_e32 v98, v93, v154
	v_add_f32_e32 v0, v0, v63
	v_mul_f32_e32 v63, v84, v141
	v_fmac_f32_e32 v98, v94, v153
	v_fma_f32 v63, v83, v142, -v63
	v_add_f32_e32 v101, v97, v98
	ds_read2_b64 v[97:100], v64 offset0:49 offset1:50
	v_add_f32_e32 v0, v0, v63
	v_mul_f32_e32 v63, v86, v143
	v_fma_f32 v63, v85, v144, -v63
	s_waitcnt vmcnt(29)
	v_mul_f32_e32 v102, v95, v155
	v_add_f32_e32 v0, v0, v63
	v_mul_f32_e32 v63, v88, v145
	s_waitcnt vmcnt(28)
	v_fmac_f32_e32 v102, v96, v156
	v_fma_f32 v63, v87, v146, -v63
	v_add_f32_e32 v105, v101, v102
	ds_read2_b64 v[101:104], v64 offset0:51 offset1:52
	v_add_f32_e32 v0, v0, v63
	v_mul_f32_e32 v63, v90, v149
	s_waitcnt vmcnt(26) lgkmcnt(1)
	v_mul_f32_e32 v106, v97, v158
	v_fma_f32 v63, v89, v150, -v63
	v_fmac_f32_e32 v106, v98, v157
	v_add_f32_e32 v0, v0, v63
	v_mul_f32_e32 v63, v92, v152
	v_add_f32_e32 v105, v105, v106
	s_waitcnt vmcnt(24)
	v_mul_f32_e32 v106, v99, v160
	v_fma_f32 v63, v91, v151, -v63
	v_fmac_f32_e32 v106, v100, v159
	v_add_f32_e32 v0, v0, v63
	v_mul_f32_e32 v63, v94, v154
	v_add_f32_e32 v105, v105, v106
	s_waitcnt vmcnt(22) lgkmcnt(0)
	v_mul_f32_e32 v106, v101, v162
	v_fma_f32 v63, v93, v153, -v63
	v_fmac_f32_e32 v106, v102, v161
	v_add_f32_e32 v0, v0, v63
	v_mul_f32_e32 v63, v96, v155
	v_add_f32_e32 v109, v105, v106
	ds_read2_b64 v[105:108], v64 offset0:53 offset1:54
	v_fma_f32 v63, v95, v156, -v63
	v_add_f32_e32 v0, v0, v63
	v_mul_f32_e32 v63, v98, v158
	s_waitcnt vmcnt(20)
	v_mul_f32_e32 v110, v103, v164
	v_fma_f32 v63, v97, v157, -v63
	v_fmac_f32_e32 v110, v104, v163
	v_add_f32_e32 v0, v0, v63
	v_mul_f32_e32 v63, v100, v160
	v_add_f32_e32 v113, v109, v110
	ds_read2_b64 v[109:112], v64 offset0:55 offset1:56
	v_fma_f32 v63, v99, v159, -v63
	s_waitcnt vmcnt(18) lgkmcnt(1)
	v_mul_f32_e32 v114, v105, v166
	v_add_f32_e32 v0, v0, v63
	v_mul_f32_e32 v63, v102, v162
	v_fmac_f32_e32 v114, v106, v165
	v_fma_f32 v63, v101, v161, -v63
	v_add_f32_e32 v113, v113, v114
	s_waitcnt vmcnt(16)
	v_mul_f32_e32 v114, v107, v168
	v_add_f32_e32 v0, v0, v63
	v_mul_f32_e32 v63, v104, v164
	v_fmac_f32_e32 v114, v108, v167
	v_fma_f32 v63, v103, v163, -v63
	v_add_f32_e32 v113, v113, v114
	s_waitcnt vmcnt(14) lgkmcnt(0)
	v_mul_f32_e32 v114, v109, v170
	v_add_f32_e32 v0, v0, v63
	v_mul_f32_e32 v63, v106, v166
	v_fmac_f32_e32 v114, v110, v169
	v_fma_f32 v63, v105, v165, -v63
	v_add_f32_e32 v117, v113, v114
	ds_read2_b64 v[113:116], v64 offset0:57 offset1:58
	v_add_f32_e32 v0, v0, v63
	v_mul_f32_e32 v63, v108, v168
	v_fma_f32 v63, v107, v167, -v63
	v_add_f32_e32 v0, v0, v63
	v_mul_f32_e32 v63, v110, v170
	s_waitcnt vmcnt(12)
	v_mul_f32_e32 v118, v111, v172
	v_fma_f32 v63, v109, v169, -v63
	v_fmac_f32_e32 v118, v112, v171
	v_add_f32_e32 v0, v0, v63
	v_mul_f32_e32 v63, v112, v172
	v_add_f32_e32 v121, v117, v118
	ds_read2_b64 v[117:120], v64 offset0:59 offset1:60
	s_waitcnt vmcnt(10) lgkmcnt(1)
	v_mul_f32_e32 v122, v113, v174
	v_fma_f32 v63, v111, v171, -v63
	v_fmac_f32_e32 v122, v114, v173
	v_add_f32_e32 v0, v0, v63
	v_mul_f32_e32 v63, v114, v174
	v_add_f32_e32 v121, v121, v122
	s_waitcnt vmcnt(8)
	v_mul_f32_e32 v122, v115, v176
	v_fma_f32 v63, v113, v173, -v63
	v_fmac_f32_e32 v122, v116, v175
	v_add_f32_e32 v0, v0, v63
	v_mul_f32_e32 v63, v116, v176
	v_add_f32_e32 v185, v121, v122
	ds_read2_b64 v[121:124], v64 offset0:61 offset1:62
	v_fma_f32 v63, v115, v175, -v63
	v_add_f32_e32 v0, v0, v63
	s_waitcnt vmcnt(6) lgkmcnt(1)
	v_mul_f32_e32 v63, v118, v178
	v_mul_f32_e32 v186, v117, v178
	v_fma_f32 v63, v117, v177, -v63
	v_fmac_f32_e32 v186, v118, v177
	v_add_f32_e32 v0, v0, v63
	s_waitcnt vmcnt(4)
	v_mul_f32_e32 v63, v120, v180
	v_add_f32_e32 v64, v185, v186
	v_mul_f32_e32 v185, v119, v180
	v_fma_f32 v63, v119, v179, -v63
	v_fmac_f32_e32 v185, v120, v179
	v_add_f32_e32 v0, v0, v63
	s_waitcnt vmcnt(2) lgkmcnt(0)
	v_mul_f32_e32 v63, v122, v182
	v_add_f32_e32 v64, v64, v185
	v_mul_f32_e32 v185, v121, v182
	v_fma_f32 v63, v121, v181, -v63
	v_fmac_f32_e32 v185, v122, v181
	v_add_f32_e32 v0, v0, v63
	s_waitcnt vmcnt(0)
	v_mul_f32_e32 v63, v124, v184
	v_add_f32_e32 v64, v64, v185
	v_mul_f32_e32 v185, v123, v184
	v_fma_f32 v63, v123, v183, -v63
	v_fmac_f32_e32 v185, v124, v183
	v_add_f32_e32 v0, v0, v63
	v_add_f32_e32 v64, v64, v185
	v_sub_f32_e32 v0, v147, v0
	v_sub_f32_e32 v63, v148, v64
	buffer_store_dword v0, off, s[0:3], 0
	buffer_store_dword v63, off, s[0:3], 0 offset:4
	s_cbranch_vccz .LBB94_260
; %bb.200:
	v_mov_b32_e32 v0, 0
	global_load_dword v63, v0, s[12:13] offset:116
	s_waitcnt vmcnt(0)
	v_add_u32_e32 v63, -1, v63
	v_cmp_ne_u32_e32 vcc, 29, v63
	s_cbranch_vccz .LBB94_202
; %bb.201:
	v_lshlrev_b32_e32 v63, 3, v63
	buffer_load_dword v64, v63, s[0:3], 0 offen
	buffer_load_dword v65, v63, s[0:3], 0 offen offset:4
	buffer_load_dword v66, off, s[0:3], 0 offset:232
	buffer_load_dword v67, off, s[0:3], 0 offset:236
	s_waitcnt vmcnt(3)
	buffer_store_dword v64, off, s[0:3], 0 offset:232
	s_waitcnt vmcnt(3)
	buffer_store_dword v65, off, s[0:3], 0 offset:236
	s_waitcnt vmcnt(3)
	buffer_store_dword v66, v63, s[0:3], 0 offen
	s_waitcnt vmcnt(3)
	buffer_store_dword v67, v63, s[0:3], 0 offen offset:4
.LBB94_202:
	global_load_dword v0, v0, s[12:13] offset:112
	s_waitcnt vmcnt(0)
	v_add_u32_e32 v0, -1, v0
	v_cmp_eq_u32_e32 vcc, 28, v0
	s_cbranch_vccnz .LBB94_204
; %bb.203:
	v_lshlrev_b32_e32 v0, 3, v0
	buffer_load_dword v63, v0, s[0:3], 0 offen
	buffer_load_dword v64, v0, s[0:3], 0 offen offset:4
	buffer_load_dword v65, off, s[0:3], 0 offset:228
	buffer_load_dword v66, off, s[0:3], 0 offset:224
	s_waitcnt vmcnt(3)
	buffer_store_dword v63, off, s[0:3], 0 offset:224
	s_waitcnt vmcnt(3)
	buffer_store_dword v64, off, s[0:3], 0 offset:228
	s_waitcnt vmcnt(3)
	buffer_store_dword v65, v0, s[0:3], 0 offen offset:4
	s_waitcnt vmcnt(3)
	buffer_store_dword v66, v0, s[0:3], 0 offen
.LBB94_204:
	v_mov_b32_e32 v0, 0
	global_load_dword v63, v0, s[12:13] offset:108
	s_waitcnt vmcnt(0)
	v_add_u32_e32 v63, -1, v63
	v_cmp_eq_u32_e32 vcc, 27, v63
	s_cbranch_vccnz .LBB94_206
; %bb.205:
	v_lshlrev_b32_e32 v63, 3, v63
	buffer_load_dword v64, v63, s[0:3], 0 offen
	buffer_load_dword v65, v63, s[0:3], 0 offen offset:4
	buffer_load_dword v66, off, s[0:3], 0 offset:216
	buffer_load_dword v67, off, s[0:3], 0 offset:220
	s_waitcnt vmcnt(3)
	buffer_store_dword v64, off, s[0:3], 0 offset:216
	s_waitcnt vmcnt(3)
	buffer_store_dword v65, off, s[0:3], 0 offset:220
	s_waitcnt vmcnt(3)
	buffer_store_dword v66, v63, s[0:3], 0 offen
	s_waitcnt vmcnt(3)
	buffer_store_dword v67, v63, s[0:3], 0 offen offset:4
.LBB94_206:
	global_load_dword v0, v0, s[12:13] offset:104
	s_waitcnt vmcnt(0)
	v_add_u32_e32 v0, -1, v0
	v_cmp_eq_u32_e32 vcc, 26, v0
	s_cbranch_vccnz .LBB94_208
; %bb.207:
	v_lshlrev_b32_e32 v0, 3, v0
	buffer_load_dword v63, v0, s[0:3], 0 offen
	buffer_load_dword v64, v0, s[0:3], 0 offen offset:4
	buffer_load_dword v65, off, s[0:3], 0 offset:212
	buffer_load_dword v66, off, s[0:3], 0 offset:208
	s_waitcnt vmcnt(3)
	buffer_store_dword v63, off, s[0:3], 0 offset:208
	s_waitcnt vmcnt(3)
	buffer_store_dword v64, off, s[0:3], 0 offset:212
	s_waitcnt vmcnt(3)
	buffer_store_dword v65, v0, s[0:3], 0 offen offset:4
	s_waitcnt vmcnt(3)
	buffer_store_dword v66, v0, s[0:3], 0 offen
.LBB94_208:
	v_mov_b32_e32 v0, 0
	global_load_dword v63, v0, s[12:13] offset:100
	s_waitcnt vmcnt(0)
	v_add_u32_e32 v63, -1, v63
	v_cmp_eq_u32_e32 vcc, 25, v63
	s_cbranch_vccnz .LBB94_210
; %bb.209:
	v_lshlrev_b32_e32 v63, 3, v63
	buffer_load_dword v64, v63, s[0:3], 0 offen
	buffer_load_dword v65, v63, s[0:3], 0 offen offset:4
	buffer_load_dword v66, off, s[0:3], 0 offset:200
	buffer_load_dword v67, off, s[0:3], 0 offset:204
	s_waitcnt vmcnt(3)
	buffer_store_dword v64, off, s[0:3], 0 offset:200
	s_waitcnt vmcnt(3)
	buffer_store_dword v65, off, s[0:3], 0 offset:204
	s_waitcnt vmcnt(3)
	buffer_store_dword v66, v63, s[0:3], 0 offen
	s_waitcnt vmcnt(3)
	buffer_store_dword v67, v63, s[0:3], 0 offen offset:4
.LBB94_210:
	;; [unrolled: 41-line block ×14, first 2 shown]
	global_load_dword v0, v0, s[12:13]
	s_waitcnt vmcnt(0)
	v_add_u32_e32 v0, -1, v0
	v_cmp_eq_u32_e32 vcc, 0, v0
	s_cbranch_vccnz .LBB94_260
; %bb.259:
	v_lshlrev_b32_e32 v0, 3, v0
	buffer_load_dword v63, v0, s[0:3], 0 offen
	buffer_load_dword v64, v0, s[0:3], 0 offen offset:4
	buffer_load_dword v65, off, s[0:3], 0 offset:4
	buffer_load_dword v66, off, s[0:3], 0
	s_waitcnt vmcnt(3)
	buffer_store_dword v63, off, s[0:3], 0
	s_waitcnt vmcnt(3)
	buffer_store_dword v64, off, s[0:3], 0 offset:4
	s_waitcnt vmcnt(3)
	buffer_store_dword v65, v0, s[0:3], 0 offen offset:4
	s_waitcnt vmcnt(3)
	buffer_store_dword v66, v0, s[0:3], 0 offen
.LBB94_260:
	buffer_load_dword v63, off, s[0:3], 0
	buffer_load_dword v64, off, s[0:3], 0 offset:4
	s_waitcnt vmcnt(0)
	flat_store_dwordx2 v[1:2], v[63:64]
	buffer_load_dword v0, off, s[0:3], 0 offset:8
	s_nop 0
	buffer_load_dword v1, off, s[0:3], 0 offset:12
	s_waitcnt vmcnt(0)
	flat_store_dwordx2 v[3:4], v[0:1]
	buffer_load_dword v0, off, s[0:3], 0 offset:16
	s_nop 0
	;; [unrolled: 5-line block ×30, first 2 shown]
	buffer_load_dword v1, off, s[0:3], 0 offset:244
	s_waitcnt vmcnt(0)
	flat_store_dwordx2 v[61:62], v[0:1]
	s_endpgm
	.section	.rodata,"a",@progbits
	.p2align	6, 0x0
	.amdhsa_kernel _ZN9rocsolver6v33100L18getri_kernel_smallILi31E19rocblas_complex_numIfEPKPS3_EEvT1_iilPiilS8_bb
		.amdhsa_group_segment_fixed_size 504
		.amdhsa_private_segment_fixed_size 256
		.amdhsa_kernarg_size 60
		.amdhsa_user_sgpr_count 6
		.amdhsa_user_sgpr_private_segment_buffer 1
		.amdhsa_user_sgpr_dispatch_ptr 0
		.amdhsa_user_sgpr_queue_ptr 0
		.amdhsa_user_sgpr_kernarg_segment_ptr 1
		.amdhsa_user_sgpr_dispatch_id 0
		.amdhsa_user_sgpr_flat_scratch_init 0
		.amdhsa_user_sgpr_private_segment_size 0
		.amdhsa_uses_dynamic_stack 0
		.amdhsa_system_sgpr_private_segment_wavefront_offset 1
		.amdhsa_system_sgpr_workgroup_id_x 1
		.amdhsa_system_sgpr_workgroup_id_y 0
		.amdhsa_system_sgpr_workgroup_id_z 0
		.amdhsa_system_sgpr_workgroup_info 0
		.amdhsa_system_vgpr_workitem_id 0
		.amdhsa_next_free_vgpr 187
		.amdhsa_next_free_sgpr 21
		.amdhsa_reserve_vcc 1
		.amdhsa_reserve_flat_scratch 0
		.amdhsa_float_round_mode_32 0
		.amdhsa_float_round_mode_16_64 0
		.amdhsa_float_denorm_mode_32 3
		.amdhsa_float_denorm_mode_16_64 3
		.amdhsa_dx10_clamp 1
		.amdhsa_ieee_mode 1
		.amdhsa_fp16_overflow 0
		.amdhsa_exception_fp_ieee_invalid_op 0
		.amdhsa_exception_fp_denorm_src 0
		.amdhsa_exception_fp_ieee_div_zero 0
		.amdhsa_exception_fp_ieee_overflow 0
		.amdhsa_exception_fp_ieee_underflow 0
		.amdhsa_exception_fp_ieee_inexact 0
		.amdhsa_exception_int_div_zero 0
	.end_amdhsa_kernel
	.section	.text._ZN9rocsolver6v33100L18getri_kernel_smallILi31E19rocblas_complex_numIfEPKPS3_EEvT1_iilPiilS8_bb,"axG",@progbits,_ZN9rocsolver6v33100L18getri_kernel_smallILi31E19rocblas_complex_numIfEPKPS3_EEvT1_iilPiilS8_bb,comdat
.Lfunc_end94:
	.size	_ZN9rocsolver6v33100L18getri_kernel_smallILi31E19rocblas_complex_numIfEPKPS3_EEvT1_iilPiilS8_bb, .Lfunc_end94-_ZN9rocsolver6v33100L18getri_kernel_smallILi31E19rocblas_complex_numIfEPKPS3_EEvT1_iilPiilS8_bb
                                        ; -- End function
	.set _ZN9rocsolver6v33100L18getri_kernel_smallILi31E19rocblas_complex_numIfEPKPS3_EEvT1_iilPiilS8_bb.num_vgpr, 187
	.set _ZN9rocsolver6v33100L18getri_kernel_smallILi31E19rocblas_complex_numIfEPKPS3_EEvT1_iilPiilS8_bb.num_agpr, 0
	.set _ZN9rocsolver6v33100L18getri_kernel_smallILi31E19rocblas_complex_numIfEPKPS3_EEvT1_iilPiilS8_bb.numbered_sgpr, 21
	.set _ZN9rocsolver6v33100L18getri_kernel_smallILi31E19rocblas_complex_numIfEPKPS3_EEvT1_iilPiilS8_bb.num_named_barrier, 0
	.set _ZN9rocsolver6v33100L18getri_kernel_smallILi31E19rocblas_complex_numIfEPKPS3_EEvT1_iilPiilS8_bb.private_seg_size, 256
	.set _ZN9rocsolver6v33100L18getri_kernel_smallILi31E19rocblas_complex_numIfEPKPS3_EEvT1_iilPiilS8_bb.uses_vcc, 1
	.set _ZN9rocsolver6v33100L18getri_kernel_smallILi31E19rocblas_complex_numIfEPKPS3_EEvT1_iilPiilS8_bb.uses_flat_scratch, 0
	.set _ZN9rocsolver6v33100L18getri_kernel_smallILi31E19rocblas_complex_numIfEPKPS3_EEvT1_iilPiilS8_bb.has_dyn_sized_stack, 0
	.set _ZN9rocsolver6v33100L18getri_kernel_smallILi31E19rocblas_complex_numIfEPKPS3_EEvT1_iilPiilS8_bb.has_recursion, 0
	.set _ZN9rocsolver6v33100L18getri_kernel_smallILi31E19rocblas_complex_numIfEPKPS3_EEvT1_iilPiilS8_bb.has_indirect_call, 0
	.section	.AMDGPU.csdata,"",@progbits
; Kernel info:
; codeLenInByte = 42552
; TotalNumSgprs: 25
; NumVgprs: 187
; ScratchSize: 256
; MemoryBound: 0
; FloatMode: 240
; IeeeMode: 1
; LDSByteSize: 504 bytes/workgroup (compile time only)
; SGPRBlocks: 3
; VGPRBlocks: 46
; NumSGPRsForWavesPerEU: 25
; NumVGPRsForWavesPerEU: 187
; Occupancy: 1
; WaveLimiterHint : 1
; COMPUTE_PGM_RSRC2:SCRATCH_EN: 1
; COMPUTE_PGM_RSRC2:USER_SGPR: 6
; COMPUTE_PGM_RSRC2:TRAP_HANDLER: 0
; COMPUTE_PGM_RSRC2:TGID_X_EN: 1
; COMPUTE_PGM_RSRC2:TGID_Y_EN: 0
; COMPUTE_PGM_RSRC2:TGID_Z_EN: 0
; COMPUTE_PGM_RSRC2:TIDIG_COMP_CNT: 0
	.section	.text._ZN9rocsolver6v33100L18getri_kernel_smallILi32E19rocblas_complex_numIfEPKPS3_EEvT1_iilPiilS8_bb,"axG",@progbits,_ZN9rocsolver6v33100L18getri_kernel_smallILi32E19rocblas_complex_numIfEPKPS3_EEvT1_iilPiilS8_bb,comdat
	.globl	_ZN9rocsolver6v33100L18getri_kernel_smallILi32E19rocblas_complex_numIfEPKPS3_EEvT1_iilPiilS8_bb ; -- Begin function _ZN9rocsolver6v33100L18getri_kernel_smallILi32E19rocblas_complex_numIfEPKPS3_EEvT1_iilPiilS8_bb
	.p2align	8
	.type	_ZN9rocsolver6v33100L18getri_kernel_smallILi32E19rocblas_complex_numIfEPKPS3_EEvT1_iilPiilS8_bb,@function
_ZN9rocsolver6v33100L18getri_kernel_smallILi32E19rocblas_complex_numIfEPKPS3_EEvT1_iilPiilS8_bb: ; @_ZN9rocsolver6v33100L18getri_kernel_smallILi32E19rocblas_complex_numIfEPKPS3_EEvT1_iilPiilS8_bb
; %bb.0:
	s_add_u32 s0, s0, s7
	s_addc_u32 s1, s1, 0
	v_cmp_gt_u32_e32 vcc, 32, v0
	s_and_saveexec_b64 s[8:9], vcc
	s_cbranch_execz .LBB95_142
; %bb.1:
	s_load_dword s18, s[4:5], 0x38
	s_load_dwordx2 s[12:13], s[4:5], 0x0
	s_load_dwordx4 s[8:11], s[4:5], 0x28
	s_waitcnt lgkmcnt(0)
	s_bitcmp1_b32 s18, 8
	s_cselect_b64 s[14:15], -1, 0
	s_ashr_i32 s7, s6, 31
	s_lshl_b64 s[16:17], s[6:7], 3
	s_add_u32 s12, s12, s16
	s_addc_u32 s13, s13, s17
	s_load_dwordx2 s[16:17], s[12:13], 0x0
	s_bfe_u32 s12, s18, 0x10008
	s_cmp_eq_u32 s12, 0
                                        ; implicit-def: $sgpr12_sgpr13
	s_cbranch_scc1 .LBB95_3
; %bb.2:
	s_load_dword s12, s[4:5], 0x20
	s_load_dwordx2 s[18:19], s[4:5], 0x18
	s_mul_i32 s13, s8, s7
	s_mul_hi_u32 s20, s8, s6
	s_add_i32 s20, s20, s13
	s_mul_i32 s9, s9, s6
	s_add_i32 s9, s20, s9
	s_mul_i32 s8, s8, s6
	s_waitcnt lgkmcnt(0)
	s_ashr_i32 s13, s12, 31
	s_lshl_b64 s[8:9], s[8:9], 2
	s_add_u32 s18, s18, s8
	s_addc_u32 s19, s19, s9
	s_lshl_b64 s[8:9], s[12:13], 2
	s_add_u32 s12, s18, s8
	s_addc_u32 s13, s19, s9
.LBB95_3:
	s_load_dwordx2 s[8:9], s[4:5], 0x8
	s_load_dword s18, s[4:5], 0x38
	v_lshlrev_b32_e32 v67, 3, v0
	s_waitcnt lgkmcnt(0)
	s_ashr_i32 s5, s8, 31
	s_mov_b32 s4, s8
	s_lshl_b64 s[4:5], s[4:5], 3
	s_add_u32 s4, s16, s4
	s_addc_u32 s5, s17, s5
	v_mov_b32_e32 v2, s5
	v_add_co_u32_e32 v1, vcc, s4, v67
	v_addc_co_u32_e32 v2, vcc, 0, v2, vcc
	flat_load_dwordx2 v[5:6], v[1:2]
	s_mov_b32 s16, s9
	s_ashr_i32 s17, s9, 31
	s_lshl_b64 s[16:17], s[16:17], 3
	v_mov_b32_e32 v4, s17
	v_add_co_u32_e32 v3, vcc, s16, v1
	v_addc_co_u32_e32 v4, vcc, v2, v4, vcc
	s_add_i32 s8, s9, s9
	v_add_u32_e32 v9, s8, v0
	v_ashrrev_i32_e32 v10, 31, v9
	v_mov_b32_e32 v11, s5
	v_add_u32_e32 v12, s9, v9
	v_ashrrev_i32_e32 v13, 31, v12
	v_mov_b32_e32 v14, s5
	v_mov_b32_e32 v15, s5
	;; [unrolled: 1-line block ×28, first 2 shown]
	s_bitcmp0_b32 s18, 0
	s_waitcnt vmcnt(0) lgkmcnt(0)
	buffer_store_dword v6, off, s[0:3], 0 offset:4
	buffer_store_dword v5, off, s[0:3], 0
	flat_load_dwordx2 v[7:8], v[3:4]
	v_lshlrev_b64 v[5:6], 3, v[9:10]
	s_waitcnt vmcnt(0) lgkmcnt(0)
	buffer_store_dword v8, off, s[0:3], 0 offset:12
	buffer_store_dword v7, off, s[0:3], 0 offset:8
	v_add_co_u32_e32 v5, vcc, s4, v5
	v_addc_co_u32_e32 v6, vcc, v11, v6, vcc
	flat_load_dwordx2 v[10:11], v[5:6]
	v_lshlrev_b64 v[7:8], 3, v[12:13]
	s_waitcnt vmcnt(0) lgkmcnt(0)
	buffer_store_dword v11, off, s[0:3], 0 offset:20
	buffer_store_dword v10, off, s[0:3], 0 offset:16
	v_add_co_u32_e32 v7, vcc, s4, v7
	v_addc_co_u32_e32 v8, vcc, v14, v8, vcc
	flat_load_dwordx2 v[13:14], v[7:8]
	v_add_u32_e32 v11, s9, v12
	v_ashrrev_i32_e32 v12, 31, v11
	v_lshlrev_b64 v[9:10], 3, v[11:12]
	s_waitcnt vmcnt(0) lgkmcnt(0)
	buffer_store_dword v14, off, s[0:3], 0 offset:28
	buffer_store_dword v13, off, s[0:3], 0 offset:24
	v_add_co_u32_e32 v9, vcc, s4, v9
	v_addc_co_u32_e32 v10, vcc, v15, v10, vcc
	flat_load_dwordx2 v[13:14], v[9:10]
	v_add_u32_e32 v15, s9, v11
	v_ashrrev_i32_e32 v16, 31, v15
	v_lshlrev_b64 v[11:12], 3, v[15:16]
	v_add_u32_e32 v18, s9, v15
	v_add_co_u32_e32 v11, vcc, s4, v11
	v_addc_co_u32_e32 v12, vcc, v17, v12, vcc
	v_ashrrev_i32_e32 v19, 31, v18
	s_waitcnt vmcnt(0) lgkmcnt(0)
	buffer_store_dword v14, off, s[0:3], 0 offset:36
	buffer_store_dword v13, off, s[0:3], 0 offset:32
	flat_load_dwordx2 v[16:17], v[11:12]
	v_lshlrev_b64 v[13:14], 3, v[18:19]
	s_waitcnt vmcnt(0) lgkmcnt(0)
	buffer_store_dword v17, off, s[0:3], 0 offset:44
	buffer_store_dword v16, off, s[0:3], 0 offset:40
	v_add_co_u32_e32 v13, vcc, s4, v13
	v_addc_co_u32_e32 v14, vcc, v20, v14, vcc
	flat_load_dwordx2 v[19:20], v[13:14]
	v_add_u32_e32 v17, s9, v18
	v_ashrrev_i32_e32 v18, 31, v17
	v_lshlrev_b64 v[15:16], 3, v[17:18]
	s_waitcnt vmcnt(0) lgkmcnt(0)
	buffer_store_dword v20, off, s[0:3], 0 offset:52
	buffer_store_dword v19, off, s[0:3], 0 offset:48
	v_add_co_u32_e32 v15, vcc, s4, v15
	v_addc_co_u32_e32 v16, vcc, v21, v16, vcc
	flat_load_dwordx2 v[19:20], v[15:16]
	v_add_u32_e32 v21, s9, v17
	v_ashrrev_i32_e32 v22, 31, v21
	v_lshlrev_b64 v[17:18], 3, v[21:22]
	v_add_u32_e32 v24, s9, v21
	v_add_co_u32_e32 v17, vcc, s4, v17
	v_addc_co_u32_e32 v18, vcc, v23, v18, vcc
	v_ashrrev_i32_e32 v25, 31, v24
	s_waitcnt vmcnt(0) lgkmcnt(0)
	buffer_store_dword v20, off, s[0:3], 0 offset:60
	buffer_store_dword v19, off, s[0:3], 0 offset:56
	;; [unrolled: 27-line block ×7, first 2 shown]
	flat_load_dwordx2 v[52:53], v[47:48]
	v_lshlrev_b64 v[49:50], 3, v[54:55]
	s_waitcnt vmcnt(0) lgkmcnt(0)
	buffer_store_dword v53, off, s[0:3], 0 offset:188
	buffer_store_dword v52, off, s[0:3], 0 offset:184
	v_add_co_u32_e32 v49, vcc, s4, v49
	v_addc_co_u32_e32 v50, vcc, v56, v50, vcc
	flat_load_dwordx2 v[55:56], v[49:50]
	v_add_u32_e32 v53, s9, v54
	v_ashrrev_i32_e32 v54, 31, v53
	v_lshlrev_b64 v[51:52], 3, v[53:54]
	s_waitcnt vmcnt(0) lgkmcnt(0)
	buffer_store_dword v56, off, s[0:3], 0 offset:196
	buffer_store_dword v55, off, s[0:3], 0 offset:192
	v_add_co_u32_e32 v51, vcc, s4, v51
	v_addc_co_u32_e32 v52, vcc, v57, v52, vcc
	flat_load_dwordx2 v[55:56], v[51:52]
	v_add_u32_e32 v57, s9, v53
	v_ashrrev_i32_e32 v58, 31, v57
	v_lshlrev_b64 v[53:54], 3, v[57:58]
	v_add_u32_e32 v60, s9, v57
	v_add_co_u32_e32 v53, vcc, s4, v53
	v_addc_co_u32_e32 v54, vcc, v59, v54, vcc
	s_waitcnt vmcnt(0) lgkmcnt(0)
	buffer_store_dword v56, off, s[0:3], 0 offset:204
	buffer_store_dword v55, off, s[0:3], 0 offset:200
	flat_load_dwordx2 v[58:59], v[53:54]
	v_ashrrev_i32_e32 v61, 31, v60
	v_lshlrev_b64 v[55:56], 3, v[60:61]
	s_waitcnt vmcnt(0) lgkmcnt(0)
	buffer_store_dword v59, off, s[0:3], 0 offset:212
	buffer_store_dword v58, off, s[0:3], 0 offset:208
	v_add_co_u32_e32 v55, vcc, s4, v55
	v_addc_co_u32_e32 v56, vcc, v62, v56, vcc
	flat_load_dwordx2 v[61:62], v[55:56]
	v_add_u32_e32 v59, s9, v60
	v_ashrrev_i32_e32 v60, 31, v59
	v_lshlrev_b64 v[57:58], 3, v[59:60]
	s_waitcnt vmcnt(0) lgkmcnt(0)
	buffer_store_dword v62, off, s[0:3], 0 offset:220
	buffer_store_dword v61, off, s[0:3], 0 offset:216
	v_add_co_u32_e32 v57, vcc, s4, v57
	v_addc_co_u32_e32 v58, vcc, v63, v58, vcc
	flat_load_dwordx2 v[61:62], v[57:58]
	v_add_u32_e32 v63, s9, v59
	;; [unrolled: 9-line block ×4, first 2 shown]
	v_ashrrev_i32_e32 v64, 31, v63
	v_lshlrev_b64 v[63:64], 3, v[63:64]
	v_mov_b32_e32 v69, s5
	v_add_co_u32_e32 v63, vcc, s4, v63
	v_addc_co_u32_e32 v64, vcc, v69, v64, vcc
	s_waitcnt vmcnt(0) lgkmcnt(0)
	buffer_store_dword v66, off, s[0:3], 0 offset:244
	buffer_store_dword v65, off, s[0:3], 0 offset:240
	flat_load_dwordx2 v[65:66], v[63:64]
	s_mov_b64 s[8:9], -1
	s_waitcnt vmcnt(0) lgkmcnt(0)
	buffer_store_dword v66, off, s[0:3], 0 offset:252
	buffer_store_dword v65, off, s[0:3], 0 offset:248
	s_cbranch_scc1 .LBB95_140
; %bb.4:
	v_cmp_eq_u32_e64 s[4:5], 0, v0
	s_and_saveexec_b64 s[8:9], s[4:5]
; %bb.5:
	v_mov_b32_e32 v65, 0
	ds_write_b32 v65, v65 offset:512
; %bb.6:
	s_or_b64 exec, exec, s[8:9]
	v_mov_b32_e32 v65, 0
	v_lshl_add_u32 v69, v0, 3, v65
	s_waitcnt lgkmcnt(0)
	; wave barrier
	buffer_load_dword v65, v69, s[0:3], 0 offen
	buffer_load_dword v66, v69, s[0:3], 0 offen offset:4
	s_waitcnt vmcnt(1)
	v_cmp_eq_f32_e32 vcc, 0, v65
	s_waitcnt vmcnt(0)
	v_cmp_eq_f32_e64 s[8:9], 0, v66
	s_and_b64 s[8:9], vcc, s[8:9]
	s_and_saveexec_b64 s[16:17], s[8:9]
	s_cbranch_execz .LBB95_10
; %bb.7:
	v_mov_b32_e32 v65, 0
	ds_read_b32 v68, v65 offset:512
	v_add_u32_e32 v66, 1, v0
	s_waitcnt lgkmcnt(0)
	v_readfirstlane_b32 s8, v68
	s_cmp_eq_u32 s8, 0
	s_cselect_b64 s[18:19], -1, 0
	v_cmp_gt_i32_e32 vcc, s8, v66
	s_or_b64 s[18:19], s[18:19], vcc
	s_and_b64 exec, exec, s[18:19]
	s_cbranch_execz .LBB95_10
; %bb.8:
	s_mov_b64 s[18:19], 0
	v_mov_b32_e32 v68, s8
.LBB95_9:                               ; =>This Inner Loop Header: Depth=1
	ds_cmpst_rtn_b32 v68, v65, v68, v66 offset:512
	s_waitcnt lgkmcnt(0)
	v_cmp_ne_u32_e32 vcc, 0, v68
	v_cmp_le_i32_e64 s[8:9], v68, v66
	s_and_b64 s[8:9], vcc, s[8:9]
	s_and_b64 s[8:9], exec, s[8:9]
	s_or_b64 s[18:19], s[8:9], s[18:19]
	s_andn2_b64 exec, exec, s[18:19]
	s_cbranch_execnz .LBB95_9
.LBB95_10:
	s_or_b64 exec, exec, s[16:17]
	v_mov_b32_e32 v66, 0
	; wave barrier
	ds_read_b32 v65, v66 offset:512
	s_and_saveexec_b64 s[8:9], s[4:5]
	s_cbranch_execz .LBB95_12
; %bb.11:
	s_lshl_b64 s[16:17], s[6:7], 2
	s_add_u32 s16, s10, s16
	s_addc_u32 s17, s11, s17
	s_waitcnt lgkmcnt(0)
	global_store_dword v66, v65, s[16:17]
.LBB95_12:
	s_or_b64 exec, exec, s[8:9]
	s_waitcnt lgkmcnt(0)
	v_cmp_ne_u32_e32 vcc, 0, v65
	s_mov_b64 s[8:9], 0
	s_cbranch_vccnz .LBB95_140
; %bb.13:
	buffer_load_dword v66, v69, s[0:3], 0 offen
	buffer_load_dword v68, v69, s[0:3], 0 offen offset:4
                                        ; implicit-def: $vgpr71
                                        ; implicit-def: $vgpr70
                                        ; implicit-def: $vgpr65
	s_waitcnt vmcnt(0)
	v_cmp_ngt_f32_e64 s[8:9], |v66|, |v68|
	s_and_saveexec_b64 s[16:17], s[8:9]
	s_xor_b64 s[8:9], exec, s[16:17]
	s_cbranch_execz .LBB95_15
; %bb.14:
	v_div_scale_f32 v65, s[16:17], v68, v68, v66
	v_div_scale_f32 v70, vcc, v66, v68, v66
	v_rcp_f32_e32 v71, v65
	v_fma_f32 v72, -v65, v71, 1.0
	v_fmac_f32_e32 v71, v72, v71
	v_mul_f32_e32 v72, v70, v71
	v_fma_f32 v73, -v65, v72, v70
	v_fmac_f32_e32 v72, v73, v71
	v_fma_f32 v65, -v65, v72, v70
	v_div_fmas_f32 v65, v65, v71, v72
	v_div_fixup_f32 v65, v65, v68, v66
	v_fmac_f32_e32 v68, v66, v65
	v_div_scale_f32 v66, s[16:17], v68, v68, 1.0
	v_div_scale_f32 v70, vcc, 1.0, v68, 1.0
	v_rcp_f32_e32 v71, v66
	v_fma_f32 v72, -v66, v71, 1.0
	v_fmac_f32_e32 v71, v72, v71
	v_mul_f32_e32 v72, v70, v71
	v_fma_f32 v73, -v66, v72, v70
	v_fmac_f32_e32 v72, v73, v71
	v_fma_f32 v66, -v66, v72, v70
	v_div_fmas_f32 v66, v66, v71, v72
	v_div_fixup_f32 v66, v66, v68, 1.0
	v_mul_f32_e32 v71, v65, v66
	v_xor_b32_e32 v70, 0x80000000, v66
	v_xor_b32_e32 v65, 0x80000000, v71
                                        ; implicit-def: $vgpr66
                                        ; implicit-def: $vgpr68
.LBB95_15:
	s_andn2_saveexec_b64 s[8:9], s[8:9]
	s_cbranch_execz .LBB95_17
; %bb.16:
	v_div_scale_f32 v65, s[16:17], v66, v66, v68
	v_div_scale_f32 v70, vcc, v68, v66, v68
	v_rcp_f32_e32 v71, v65
	v_fma_f32 v72, -v65, v71, 1.0
	v_fmac_f32_e32 v71, v72, v71
	v_mul_f32_e32 v72, v70, v71
	v_fma_f32 v73, -v65, v72, v70
	v_fmac_f32_e32 v72, v73, v71
	v_fma_f32 v65, -v65, v72, v70
	v_div_fmas_f32 v65, v65, v71, v72
	v_div_fixup_f32 v70, v65, v66, v68
	v_fmac_f32_e32 v66, v68, v70
	v_div_scale_f32 v65, s[16:17], v66, v66, 1.0
	v_div_scale_f32 v68, vcc, 1.0, v66, 1.0
	v_rcp_f32_e32 v71, v65
	v_fma_f32 v72, -v65, v71, 1.0
	v_fmac_f32_e32 v71, v72, v71
	v_mul_f32_e32 v72, v68, v71
	v_fma_f32 v73, -v65, v72, v68
	v_fmac_f32_e32 v72, v73, v71
	v_fma_f32 v65, -v65, v72, v68
	v_div_fmas_f32 v65, v65, v71, v72
	v_div_fixup_f32 v71, v65, v66, 1.0
	v_xor_b32_e32 v65, 0x80000000, v71
	v_mul_f32_e64 v70, v70, -v71
.LBB95_17:
	s_or_b64 exec, exec, s[8:9]
	buffer_store_dword v71, v69, s[0:3], 0 offen
	buffer_store_dword v70, v69, s[0:3], 0 offen offset:4
	buffer_load_dword v72, off, s[0:3], 0 offset:12
	s_nop 0
	buffer_load_dword v71, off, s[0:3], 0 offset:8
	v_xor_b32_e32 v66, 0x80000000, v70
	v_add_u32_e32 v68, 0x100, v67
	s_waitcnt vmcnt(0)
	ds_write2_b64 v67, v[65:66], v[71:72] offset1:32
	s_waitcnt lgkmcnt(0)
	; wave barrier
	s_and_saveexec_b64 s[8:9], s[4:5]
	s_cbranch_execz .LBB95_19
; %bb.18:
	buffer_load_dword v72, v69, s[0:3], 0 offen offset:4
	buffer_load_dword v73, v69, s[0:3], 0 offen
	ds_read_b64 v[65:66], v68
	v_mov_b32_e32 v70, 0
	ds_read_b64 v[70:71], v70 offset:8
	s_waitcnt vmcnt(1) lgkmcnt(1)
	v_mul_f32_e32 v74, v66, v72
	v_mul_f32_e32 v72, v65, v72
	s_waitcnt vmcnt(0)
	v_fmac_f32_e32 v72, v66, v73
	v_fma_f32 v65, v65, v73, -v74
	v_add_f32_e32 v66, 0, v72
	v_add_f32_e32 v65, 0, v65
	s_waitcnt lgkmcnt(0)
	v_mul_f32_e32 v72, v66, v71
	v_mul_f32_e32 v71, v65, v71
	v_fma_f32 v65, v65, v70, -v72
	v_fmac_f32_e32 v71, v66, v70
	buffer_store_dword v65, off, s[0:3], 0 offset:8
	buffer_store_dword v71, off, s[0:3], 0 offset:12
.LBB95_19:
	s_or_b64 exec, exec, s[8:9]
	; wave barrier
	buffer_load_dword v65, off, s[0:3], 0 offset:16
	buffer_load_dword v66, off, s[0:3], 0 offset:20
	v_cmp_gt_u32_e32 vcc, 2, v0
	s_waitcnt vmcnt(0)
	ds_write_b64 v68, v[65:66]
	s_waitcnt lgkmcnt(0)
	; wave barrier
	s_and_saveexec_b64 s[8:9], vcc
	s_cbranch_execz .LBB95_23
; %bb.20:
	buffer_load_dword v70, v69, s[0:3], 0 offen offset:4
	buffer_load_dword v71, v69, s[0:3], 0 offen
	ds_read_b64 v[65:66], v68
	s_waitcnt vmcnt(1) lgkmcnt(0)
	v_mul_f32_e32 v69, v66, v70
	v_mul_f32_e32 v70, v65, v70
	s_waitcnt vmcnt(0)
	v_fma_f32 v65, v65, v71, -v69
	v_fmac_f32_e32 v70, v66, v71
	v_add_f32_e32 v66, 0, v65
	v_add_f32_e32 v65, 0, v70
	s_and_saveexec_b64 s[16:17], s[4:5]
	s_cbranch_execz .LBB95_22
; %bb.21:
	buffer_load_dword v71, off, s[0:3], 0 offset:12
	buffer_load_dword v72, off, s[0:3], 0 offset:8
	v_mov_b32_e32 v69, 0
	ds_read_b64 v[69:70], v69 offset:264
	s_waitcnt vmcnt(1) lgkmcnt(0)
	v_mul_f32_e32 v73, v69, v71
	v_mul_f32_e32 v71, v70, v71
	s_waitcnt vmcnt(0)
	v_fmac_f32_e32 v73, v70, v72
	v_fma_f32 v69, v69, v72, -v71
	v_add_f32_e32 v65, v65, v73
	v_add_f32_e32 v66, v66, v69
.LBB95_22:
	s_or_b64 exec, exec, s[16:17]
	v_mov_b32_e32 v69, 0
	ds_read_b64 v[69:70], v69 offset:16
	s_waitcnt lgkmcnt(0)
	v_mul_f32_e32 v71, v65, v70
	v_mul_f32_e32 v70, v66, v70
	v_fma_f32 v66, v66, v69, -v71
	v_fmac_f32_e32 v70, v65, v69
	buffer_store_dword v66, off, s[0:3], 0 offset:16
	buffer_store_dword v70, off, s[0:3], 0 offset:20
.LBB95_23:
	s_or_b64 exec, exec, s[8:9]
	; wave barrier
	buffer_load_dword v65, off, s[0:3], 0 offset:24
	buffer_load_dword v66, off, s[0:3], 0 offset:28
	v_cmp_gt_u32_e32 vcc, 3, v0
	s_waitcnt vmcnt(0)
	ds_write_b64 v68, v[65:66]
	v_add_u32_e32 v65, -1, v0
	s_waitcnt lgkmcnt(0)
	; wave barrier
	s_and_saveexec_b64 s[4:5], vcc
	s_cbranch_execz .LBB95_27
; %bb.24:
	v_add_u32_e32 v69, -1, v0
	v_add_u32_e32 v70, 0x100, v67
	v_mov_b32_e32 v71, v67
	v_mov_b32_e32 v66, 0
	s_mov_b64 s[8:9], 0
	v_mov_b32_e32 v72, 0
.LBB95_25:                              ; =>This Inner Loop Header: Depth=1
	buffer_load_dword v75, v71, s[0:3], 0 offen offset:4
	buffer_load_dword v76, v71, s[0:3], 0 offen
	ds_read_b64 v[73:74], v70
	v_add_u32_e32 v69, 1, v69
	v_cmp_lt_u32_e32 vcc, 1, v69
	v_add_u32_e32 v70, 8, v70
	v_add_u32_e32 v71, 8, v71
	s_or_b64 s[8:9], vcc, s[8:9]
	s_waitcnt vmcnt(1) lgkmcnt(0)
	v_mul_f32_e32 v77, v74, v75
	v_mul_f32_e32 v75, v73, v75
	s_waitcnt vmcnt(0)
	v_fma_f32 v73, v73, v76, -v77
	v_fmac_f32_e32 v75, v74, v76
	v_add_f32_e32 v72, v72, v73
	v_add_f32_e32 v66, v66, v75
	s_andn2_b64 exec, exec, s[8:9]
	s_cbranch_execnz .LBB95_25
; %bb.26:
	s_or_b64 exec, exec, s[8:9]
	v_mov_b32_e32 v69, 0
	ds_read_b64 v[69:70], v69 offset:24
	s_waitcnt lgkmcnt(0)
	v_mul_f32_e32 v71, v66, v70
	v_mul_f32_e32 v70, v72, v70
	v_fma_f32 v71, v72, v69, -v71
	v_fmac_f32_e32 v70, v66, v69
	buffer_store_dword v71, off, s[0:3], 0 offset:24
	buffer_store_dword v70, off, s[0:3], 0 offset:28
.LBB95_27:
	s_or_b64 exec, exec, s[4:5]
	; wave barrier
	buffer_load_dword v69, off, s[0:3], 0 offset:32
	buffer_load_dword v70, off, s[0:3], 0 offset:36
	v_cmp_gt_u32_e32 vcc, 4, v0
	s_waitcnt vmcnt(0)
	ds_write_b64 v68, v[69:70]
	s_waitcnt lgkmcnt(0)
	; wave barrier
	s_and_saveexec_b64 s[4:5], vcc
	s_cbranch_execz .LBB95_31
; %bb.28:
	v_add_u32_e32 v69, -1, v0
	v_add_u32_e32 v70, 0x100, v67
	v_mov_b32_e32 v71, v67
	v_mov_b32_e32 v66, 0
	s_mov_b64 s[8:9], 0
	v_mov_b32_e32 v72, 0
.LBB95_29:                              ; =>This Inner Loop Header: Depth=1
	buffer_load_dword v75, v71, s[0:3], 0 offen offset:4
	buffer_load_dword v76, v71, s[0:3], 0 offen
	ds_read_b64 v[73:74], v70
	v_add_u32_e32 v69, 1, v69
	v_cmp_lt_u32_e32 vcc, 2, v69
	v_add_u32_e32 v70, 8, v70
	v_add_u32_e32 v71, 8, v71
	s_or_b64 s[8:9], vcc, s[8:9]
	s_waitcnt vmcnt(1) lgkmcnt(0)
	v_mul_f32_e32 v77, v74, v75
	v_mul_f32_e32 v75, v73, v75
	s_waitcnt vmcnt(0)
	v_fma_f32 v73, v73, v76, -v77
	v_fmac_f32_e32 v75, v74, v76
	v_add_f32_e32 v72, v72, v73
	v_add_f32_e32 v66, v66, v75
	s_andn2_b64 exec, exec, s[8:9]
	s_cbranch_execnz .LBB95_29
; %bb.30:
	s_or_b64 exec, exec, s[8:9]
	v_mov_b32_e32 v69, 0
	ds_read_b64 v[69:70], v69 offset:32
	s_waitcnt lgkmcnt(0)
	v_mul_f32_e32 v71, v66, v70
	v_mul_f32_e32 v70, v72, v70
	v_fma_f32 v71, v72, v69, -v71
	v_fmac_f32_e32 v70, v66, v69
	buffer_store_dword v71, off, s[0:3], 0 offset:32
	buffer_store_dword v70, off, s[0:3], 0 offset:36
.LBB95_31:
	s_or_b64 exec, exec, s[4:5]
	; wave barrier
	buffer_load_dword v69, off, s[0:3], 0 offset:40
	buffer_load_dword v70, off, s[0:3], 0 offset:44
	v_cmp_gt_u32_e32 vcc, 5, v0
	s_waitcnt vmcnt(0)
	ds_write_b64 v68, v[69:70]
	;; [unrolled: 49-line block ×19, first 2 shown]
	s_waitcnt lgkmcnt(0)
	; wave barrier
	s_and_saveexec_b64 s[4:5], vcc
	s_cbranch_execz .LBB95_103
; %bb.100:
	v_add_u32_e32 v69, -1, v0
	v_add_u32_e32 v70, 0x100, v67
	v_mov_b32_e32 v71, v67
	v_mov_b32_e32 v66, 0
	s_mov_b64 s[8:9], 0
	v_mov_b32_e32 v72, 0
.LBB95_101:                             ; =>This Inner Loop Header: Depth=1
	buffer_load_dword v75, v71, s[0:3], 0 offen offset:4
	buffer_load_dword v76, v71, s[0:3], 0 offen
	ds_read_b64 v[73:74], v70
	v_add_u32_e32 v69, 1, v69
	v_cmp_lt_u32_e32 vcc, 20, v69
	v_add_u32_e32 v70, 8, v70
	v_add_u32_e32 v71, 8, v71
	s_or_b64 s[8:9], vcc, s[8:9]
	s_waitcnt vmcnt(1) lgkmcnt(0)
	v_mul_f32_e32 v77, v74, v75
	v_mul_f32_e32 v75, v73, v75
	s_waitcnt vmcnt(0)
	v_fma_f32 v73, v73, v76, -v77
	v_fmac_f32_e32 v75, v74, v76
	v_add_f32_e32 v72, v72, v73
	v_add_f32_e32 v66, v66, v75
	s_andn2_b64 exec, exec, s[8:9]
	s_cbranch_execnz .LBB95_101
; %bb.102:
	s_or_b64 exec, exec, s[8:9]
	v_mov_b32_e32 v69, 0
	ds_read_b64 v[69:70], v69 offset:176
	s_waitcnt lgkmcnt(0)
	v_mul_f32_e32 v71, v66, v70
	v_mul_f32_e32 v70, v72, v70
	v_fma_f32 v71, v72, v69, -v71
	v_fmac_f32_e32 v70, v66, v69
	buffer_store_dword v71, off, s[0:3], 0 offset:176
	buffer_store_dword v70, off, s[0:3], 0 offset:180
.LBB95_103:
	s_or_b64 exec, exec, s[4:5]
	; wave barrier
	buffer_load_dword v69, off, s[0:3], 0 offset:184
	buffer_load_dword v70, off, s[0:3], 0 offset:188
	v_cmp_gt_u32_e32 vcc, 23, v0
	s_waitcnt vmcnt(0)
	ds_write_b64 v68, v[69:70]
	s_waitcnt lgkmcnt(0)
	; wave barrier
	s_and_saveexec_b64 s[4:5], vcc
	s_cbranch_execz .LBB95_107
; %bb.104:
	v_add_u32_e32 v69, -1, v0
	v_add_u32_e32 v70, 0x100, v67
	v_mov_b32_e32 v71, v67
	v_mov_b32_e32 v66, 0
	s_mov_b64 s[8:9], 0
	v_mov_b32_e32 v72, 0
.LBB95_105:                             ; =>This Inner Loop Header: Depth=1
	buffer_load_dword v75, v71, s[0:3], 0 offen offset:4
	buffer_load_dword v76, v71, s[0:3], 0 offen
	ds_read_b64 v[73:74], v70
	v_add_u32_e32 v69, 1, v69
	v_cmp_lt_u32_e32 vcc, 21, v69
	v_add_u32_e32 v70, 8, v70
	v_add_u32_e32 v71, 8, v71
	s_or_b64 s[8:9], vcc, s[8:9]
	s_waitcnt vmcnt(1) lgkmcnt(0)
	v_mul_f32_e32 v77, v74, v75
	v_mul_f32_e32 v75, v73, v75
	s_waitcnt vmcnt(0)
	v_fma_f32 v73, v73, v76, -v77
	v_fmac_f32_e32 v75, v74, v76
	v_add_f32_e32 v72, v72, v73
	v_add_f32_e32 v66, v66, v75
	s_andn2_b64 exec, exec, s[8:9]
	s_cbranch_execnz .LBB95_105
; %bb.106:
	s_or_b64 exec, exec, s[8:9]
	v_mov_b32_e32 v69, 0
	ds_read_b64 v[69:70], v69 offset:184
	s_waitcnt lgkmcnt(0)
	v_mul_f32_e32 v71, v66, v70
	v_mul_f32_e32 v70, v72, v70
	v_fma_f32 v71, v72, v69, -v71
	v_fmac_f32_e32 v70, v66, v69
	buffer_store_dword v71, off, s[0:3], 0 offset:184
	buffer_store_dword v70, off, s[0:3], 0 offset:188
.LBB95_107:
	s_or_b64 exec, exec, s[4:5]
	; wave barrier
	buffer_load_dword v69, off, s[0:3], 0 offset:192
	buffer_load_dword v70, off, s[0:3], 0 offset:196
	v_cmp_gt_u32_e32 vcc, 24, v0
	s_waitcnt vmcnt(0)
	ds_write_b64 v68, v[69:70]
	;; [unrolled: 49-line block ×8, first 2 shown]
	s_waitcnt lgkmcnt(0)
	; wave barrier
	s_and_saveexec_b64 s[4:5], vcc
	s_cbranch_execz .LBB95_135
; %bb.132:
	v_add_u32_e32 v69, -1, v0
	v_add_u32_e32 v70, 0x100, v67
	v_mov_b32_e32 v71, v67
	v_mov_b32_e32 v66, 0
	s_mov_b64 s[8:9], 0
	v_mov_b32_e32 v72, 0
.LBB95_133:                             ; =>This Inner Loop Header: Depth=1
	buffer_load_dword v75, v71, s[0:3], 0 offen offset:4
	buffer_load_dword v76, v71, s[0:3], 0 offen
	ds_read_b64 v[73:74], v70
	v_add_u32_e32 v69, 1, v69
	v_cmp_lt_u32_e32 vcc, 28, v69
	v_add_u32_e32 v70, 8, v70
	v_add_u32_e32 v71, 8, v71
	s_or_b64 s[8:9], vcc, s[8:9]
	s_waitcnt vmcnt(1) lgkmcnt(0)
	v_mul_f32_e32 v77, v74, v75
	v_mul_f32_e32 v75, v73, v75
	s_waitcnt vmcnt(0)
	v_fma_f32 v73, v73, v76, -v77
	v_fmac_f32_e32 v75, v74, v76
	v_add_f32_e32 v72, v72, v73
	v_add_f32_e32 v66, v66, v75
	s_andn2_b64 exec, exec, s[8:9]
	s_cbranch_execnz .LBB95_133
; %bb.134:
	s_or_b64 exec, exec, s[8:9]
	v_mov_b32_e32 v69, 0
	ds_read_b64 v[69:70], v69 offset:240
	s_waitcnt lgkmcnt(0)
	v_mul_f32_e32 v71, v66, v70
	v_mul_f32_e32 v70, v72, v70
	v_fma_f32 v71, v72, v69, -v71
	v_fmac_f32_e32 v70, v66, v69
	buffer_store_dword v71, off, s[0:3], 0 offset:240
	buffer_store_dword v70, off, s[0:3], 0 offset:244
.LBB95_135:
	s_or_b64 exec, exec, s[4:5]
	; wave barrier
	buffer_load_dword v69, off, s[0:3], 0 offset:248
	buffer_load_dword v70, off, s[0:3], 0 offset:252
	v_cmp_ne_u32_e32 vcc, 31, v0
	s_waitcnt vmcnt(0)
	ds_write_b64 v68, v[69:70]
	s_waitcnt lgkmcnt(0)
	; wave barrier
	s_and_saveexec_b64 s[4:5], vcc
	s_cbranch_execz .LBB95_139
; %bb.136:
	v_add_u32_e32 v68, 0x100, v67
	v_mov_b32_e32 v66, 0
	s_mov_b64 s[8:9], 0
	v_mov_b32_e32 v69, 0
.LBB95_137:                             ; =>This Inner Loop Header: Depth=1
	buffer_load_dword v72, v67, s[0:3], 0 offen offset:4
	buffer_load_dword v73, v67, s[0:3], 0 offen
	ds_read_b64 v[70:71], v68
	v_add_u32_e32 v65, 1, v65
	v_cmp_lt_u32_e32 vcc, 29, v65
	v_add_u32_e32 v68, 8, v68
	v_add_u32_e32 v67, 8, v67
	s_or_b64 s[8:9], vcc, s[8:9]
	s_waitcnt vmcnt(1) lgkmcnt(0)
	v_mul_f32_e32 v74, v71, v72
	v_mul_f32_e32 v72, v70, v72
	s_waitcnt vmcnt(0)
	v_fma_f32 v70, v70, v73, -v74
	v_fmac_f32_e32 v72, v71, v73
	v_add_f32_e32 v69, v69, v70
	v_add_f32_e32 v66, v66, v72
	s_andn2_b64 exec, exec, s[8:9]
	s_cbranch_execnz .LBB95_137
; %bb.138:
	s_or_b64 exec, exec, s[8:9]
	v_mov_b32_e32 v65, 0
	ds_read_b64 v[67:68], v65 offset:248
	s_waitcnt lgkmcnt(0)
	v_mul_f32_e32 v65, v66, v68
	v_mul_f32_e32 v68, v69, v68
	v_fma_f32 v65, v69, v67, -v65
	v_fmac_f32_e32 v68, v66, v67
	buffer_store_dword v65, off, s[0:3], 0 offset:248
	buffer_store_dword v68, off, s[0:3], 0 offset:252
.LBB95_139:
	s_or_b64 exec, exec, s[4:5]
	s_mov_b64 s[8:9], -1
	; wave barrier
.LBB95_140:
	s_and_b64 vcc, exec, s[8:9]
	s_cbranch_vccz .LBB95_142
; %bb.141:
	s_lshl_b64 s[4:5], s[6:7], 2
	s_add_u32 s4, s10, s4
	s_addc_u32 s5, s11, s5
	v_mov_b32_e32 v65, 0
	global_load_dword v65, v65, s[4:5]
	s_waitcnt vmcnt(0)
	v_cmp_ne_u32_e32 vcc, 0, v65
	s_cbranch_vccz .LBB95_143
.LBB95_142:
	s_endpgm
.LBB95_143:
	v_mov_b32_e32 v65, 0x100
	v_lshl_add_u32 v65, v0, 3, v65
	v_cmp_eq_u32_e32 vcc, 31, v0
	s_and_saveexec_b64 s[4:5], vcc
	s_cbranch_execz .LBB95_145
; %bb.144:
	buffer_load_dword v66, off, s[0:3], 0 offset:240
	buffer_load_dword v67, off, s[0:3], 0 offset:244
	v_mov_b32_e32 v68, 0
	buffer_store_dword v68, off, s[0:3], 0 offset:240
	buffer_store_dword v68, off, s[0:3], 0 offset:244
	s_waitcnt vmcnt(2)
	ds_write_b64 v65, v[66:67]
.LBB95_145:
	s_or_b64 exec, exec, s[4:5]
	s_waitcnt lgkmcnt(0)
	; wave barrier
	buffer_load_dword v69, off, s[0:3], 0 offset:252
	buffer_load_dword v70, off, s[0:3], 0 offset:248
	;; [unrolled: 1-line block ×4, first 2 shown]
	v_mov_b32_e32 v66, 0
	ds_read_b64 v[67:68], v66 offset:504
	v_cmp_lt_u32_e32 vcc, 29, v0
	s_waitcnt vmcnt(3) lgkmcnt(0)
	v_mul_f32_e32 v73, v67, v69
	v_mul_f32_e32 v69, v68, v69
	s_waitcnt vmcnt(2)
	v_fma_f32 v67, v67, v70, -v69
	v_fmac_f32_e32 v73, v68, v70
	v_add_f32_e32 v67, 0, v67
	v_add_f32_e32 v68, 0, v73
	s_waitcnt vmcnt(1)
	v_sub_f32_e32 v67, v71, v67
	s_waitcnt vmcnt(0)
	v_sub_f32_e32 v68, v72, v68
	buffer_store_dword v67, off, s[0:3], 0 offset:240
	buffer_store_dword v68, off, s[0:3], 0 offset:244
	s_and_saveexec_b64 s[4:5], vcc
	s_cbranch_execz .LBB95_147
; %bb.146:
	buffer_load_dword v67, off, s[0:3], 0 offset:232
	buffer_load_dword v68, off, s[0:3], 0 offset:236
	s_waitcnt vmcnt(0)
	ds_write_b64 v65, v[67:68]
	buffer_store_dword v66, off, s[0:3], 0 offset:232
	buffer_store_dword v66, off, s[0:3], 0 offset:236
.LBB95_147:
	s_or_b64 exec, exec, s[4:5]
	s_waitcnt lgkmcnt(0)
	; wave barrier
	buffer_load_dword v70, off, s[0:3], 0 offset:244
	buffer_load_dword v71, off, s[0:3], 0 offset:252
	;; [unrolled: 1-line block ×6, first 2 shown]
	ds_read_b128 v[66:69], v66 offset:496
	v_cmp_lt_u32_e32 vcc, 28, v0
	s_waitcnt vmcnt(5) lgkmcnt(0)
	v_mul_f32_e32 v76, v66, v70
	v_mul_f32_e32 v70, v67, v70
	s_waitcnt vmcnt(4)
	v_mul_f32_e32 v77, v68, v71
	v_mul_f32_e32 v71, v69, v71
	s_waitcnt vmcnt(3)
	v_fma_f32 v66, v66, v72, -v70
	v_fmac_f32_e32 v76, v67, v72
	s_waitcnt vmcnt(2)
	v_fma_f32 v67, v68, v73, -v71
	v_add_f32_e32 v66, 0, v66
	v_fmac_f32_e32 v77, v69, v73
	v_add_f32_e32 v68, 0, v76
	v_add_f32_e32 v66, v66, v67
	;; [unrolled: 1-line block ×3, first 2 shown]
	s_waitcnt vmcnt(1)
	v_sub_f32_e32 v66, v74, v66
	s_waitcnt vmcnt(0)
	v_sub_f32_e32 v67, v75, v68
	buffer_store_dword v66, off, s[0:3], 0 offset:232
	buffer_store_dword v67, off, s[0:3], 0 offset:236
	s_and_saveexec_b64 s[4:5], vcc
	s_cbranch_execz .LBB95_149
; %bb.148:
	buffer_load_dword v66, off, s[0:3], 0 offset:224
	buffer_load_dword v67, off, s[0:3], 0 offset:228
	v_mov_b32_e32 v68, 0
	buffer_store_dword v68, off, s[0:3], 0 offset:224
	buffer_store_dword v68, off, s[0:3], 0 offset:228
	s_waitcnt vmcnt(2)
	ds_write_b64 v65, v[66:67]
.LBB95_149:
	s_or_b64 exec, exec, s[4:5]
	v_mov_b32_e32 v66, 0
	s_waitcnt lgkmcnt(0)
	; wave barrier
	ds_read2_b64 v[67:70], v66 offset0:61 offset1:62
	buffer_load_dword v73, off, s[0:3], 0 offset:224
	buffer_load_dword v74, off, s[0:3], 0 offset:228
	;; [unrolled: 1-line block ×8, first 2 shown]
	v_cmp_lt_u32_e32 vcc, 27, v0
	s_waitcnt vmcnt(4) lgkmcnt(0)
	v_mul_f32_e32 v71, v67, v76
	v_fmac_f32_e32 v71, v68, v75
	s_waitcnt vmcnt(2)
	v_mul_f32_e32 v72, v69, v78
	v_add_f32_e32 v71, 0, v71
	v_fmac_f32_e32 v72, v70, v77
	v_add_f32_e32 v81, v71, v72
	ds_read_b64 v[71:72], v66 offset:504
	v_mul_f32_e32 v68, v68, v76
	v_fma_f32 v67, v67, v75, -v68
	v_mul_f32_e32 v68, v70, v78
	v_add_f32_e32 v67, 0, v67
	v_fma_f32 v68, v69, v77, -v68
	v_add_f32_e32 v67, v67, v68
	s_waitcnt vmcnt(0) lgkmcnt(0)
	v_mul_f32_e32 v68, v72, v80
	v_mul_f32_e32 v82, v71, v80
	v_fma_f32 v68, v71, v79, -v68
	v_fmac_f32_e32 v82, v72, v79
	v_add_f32_e32 v67, v67, v68
	v_add_f32_e32 v81, v81, v82
	v_sub_f32_e32 v67, v73, v67
	v_sub_f32_e32 v68, v74, v81
	buffer_store_dword v67, off, s[0:3], 0 offset:224
	buffer_store_dword v68, off, s[0:3], 0 offset:228
	s_and_saveexec_b64 s[4:5], vcc
	s_cbranch_execz .LBB95_151
; %bb.150:
	buffer_load_dword v67, off, s[0:3], 0 offset:216
	buffer_load_dword v68, off, s[0:3], 0 offset:220
	s_waitcnt vmcnt(0)
	ds_write_b64 v65, v[67:68]
	buffer_store_dword v66, off, s[0:3], 0 offset:216
	buffer_store_dword v66, off, s[0:3], 0 offset:220
.LBB95_151:
	s_or_b64 exec, exec, s[4:5]
	s_waitcnt lgkmcnt(0)
	; wave barrier
	buffer_load_dword v75, off, s[0:3], 0 offset:228
	buffer_load_dword v76, off, s[0:3], 0 offset:236
	;; [unrolled: 1-line block ×10, first 2 shown]
	ds_read_b128 v[67:70], v66 offset:480
	ds_read_b128 v[71:74], v66 offset:496
	v_cmp_lt_u32_e32 vcc, 26, v0
	s_waitcnt vmcnt(9) lgkmcnt(1)
	v_mul_f32_e32 v66, v67, v75
	v_mul_f32_e32 v75, v68, v75
	s_waitcnt vmcnt(8)
	v_mul_f32_e32 v85, v69, v76
	v_mul_f32_e32 v76, v70, v76
	s_waitcnt vmcnt(5)
	v_fma_f32 v67, v67, v79, -v75
	s_waitcnt lgkmcnt(0)
	v_mul_f32_e32 v86, v71, v77
	v_mul_f32_e32 v77, v72, v77
	v_fmac_f32_e32 v66, v68, v79
	s_waitcnt vmcnt(4)
	v_fma_f32 v68, v69, v80, -v76
	v_add_f32_e32 v67, 0, v67
	v_mul_f32_e32 v87, v73, v78
	v_mul_f32_e32 v78, v74, v78
	v_fmac_f32_e32 v85, v70, v80
	s_waitcnt vmcnt(3)
	v_fma_f32 v69, v71, v81, -v77
	v_add_f32_e32 v66, 0, v66
	v_add_f32_e32 v67, v67, v68
	v_fmac_f32_e32 v86, v72, v81
	s_waitcnt vmcnt(2)
	v_fma_f32 v70, v73, v82, -v78
	v_add_f32_e32 v66, v66, v85
	v_add_f32_e32 v67, v67, v69
	v_fmac_f32_e32 v87, v74, v82
	v_add_f32_e32 v66, v66, v86
	v_add_f32_e32 v67, v67, v70
	;; [unrolled: 1-line block ×3, first 2 shown]
	s_waitcnt vmcnt(1)
	v_sub_f32_e32 v67, v83, v67
	s_waitcnt vmcnt(0)
	v_sub_f32_e32 v66, v84, v66
	buffer_store_dword v67, off, s[0:3], 0 offset:216
	buffer_store_dword v66, off, s[0:3], 0 offset:220
	s_and_saveexec_b64 s[4:5], vcc
	s_cbranch_execz .LBB95_153
; %bb.152:
	buffer_load_dword v66, off, s[0:3], 0 offset:208
	buffer_load_dword v67, off, s[0:3], 0 offset:212
	v_mov_b32_e32 v68, 0
	buffer_store_dword v68, off, s[0:3], 0 offset:208
	buffer_store_dword v68, off, s[0:3], 0 offset:212
	s_waitcnt vmcnt(2)
	ds_write_b64 v65, v[66:67]
.LBB95_153:
	s_or_b64 exec, exec, s[4:5]
	s_waitcnt lgkmcnt(0)
	; wave barrier
	buffer_load_dword v77, off, s[0:3], 0 offset:220
	buffer_load_dword v78, off, s[0:3], 0 offset:228
	buffer_load_dword v79, off, s[0:3], 0 offset:236
	buffer_load_dword v80, off, s[0:3], 0 offset:244
	buffer_load_dword v81, off, s[0:3], 0 offset:252
	buffer_load_dword v82, off, s[0:3], 0 offset:216
	buffer_load_dword v83, off, s[0:3], 0 offset:224
	buffer_load_dword v84, off, s[0:3], 0 offset:232
	buffer_load_dword v85, off, s[0:3], 0 offset:240
	buffer_load_dword v86, off, s[0:3], 0 offset:248
	buffer_load_dword v87, off, s[0:3], 0 offset:208
	buffer_load_dword v88, off, s[0:3], 0 offset:212
	v_mov_b32_e32 v66, 0
	ds_read2_b64 v[67:70], v66 offset0:59 offset1:60
	ds_read2_b64 v[71:74], v66 offset0:61 offset1:62
	ds_read_b64 v[75:76], v66 offset:504
	v_cmp_lt_u32_e32 vcc, 25, v0
	s_waitcnt vmcnt(11) lgkmcnt(2)
	v_mul_f32_e32 v89, v67, v77
	v_mul_f32_e32 v77, v68, v77
	s_waitcnt vmcnt(10)
	v_mul_f32_e32 v90, v69, v78
	v_mul_f32_e32 v78, v70, v78
	s_waitcnt vmcnt(9) lgkmcnt(1)
	v_mul_f32_e32 v91, v71, v79
	s_waitcnt vmcnt(6)
	v_fma_f32 v67, v67, v82, -v77
	v_mul_f32_e32 v79, v72, v79
	v_fmac_f32_e32 v89, v68, v82
	s_waitcnt vmcnt(5)
	v_fma_f32 v68, v69, v83, -v78
	v_add_f32_e32 v67, 0, v67
	v_mul_f32_e32 v92, v73, v80
	v_mul_f32_e32 v80, v74, v80
	v_fmac_f32_e32 v90, v70, v83
	s_waitcnt vmcnt(4)
	v_fmac_f32_e32 v91, v72, v84
	v_fma_f32 v69, v71, v84, -v79
	v_add_f32_e32 v72, 0, v89
	v_add_f32_e32 v67, v67, v68
	s_waitcnt lgkmcnt(0)
	v_mul_f32_e32 v93, v75, v81
	v_mul_f32_e32 v81, v76, v81
	s_waitcnt vmcnt(3)
	v_fma_f32 v70, v73, v85, -v80
	v_add_f32_e32 v72, v72, v90
	v_add_f32_e32 v67, v67, v69
	v_fmac_f32_e32 v92, v74, v85
	s_waitcnt vmcnt(2)
	v_fma_f32 v71, v75, v86, -v81
	v_add_f32_e32 v68, v72, v91
	v_add_f32_e32 v67, v67, v70
	v_fmac_f32_e32 v93, v76, v86
	v_add_f32_e32 v68, v68, v92
	v_add_f32_e32 v67, v67, v71
	v_add_f32_e32 v68, v68, v93
	s_waitcnt vmcnt(1)
	v_sub_f32_e32 v67, v87, v67
	s_waitcnt vmcnt(0)
	v_sub_f32_e32 v68, v88, v68
	buffer_store_dword v67, off, s[0:3], 0 offset:208
	buffer_store_dword v68, off, s[0:3], 0 offset:212
	s_and_saveexec_b64 s[4:5], vcc
	s_cbranch_execz .LBB95_155
; %bb.154:
	buffer_load_dword v67, off, s[0:3], 0 offset:200
	buffer_load_dword v68, off, s[0:3], 0 offset:204
	s_waitcnt vmcnt(0)
	ds_write_b64 v65, v[67:68]
	buffer_store_dword v66, off, s[0:3], 0 offset:200
	buffer_store_dword v66, off, s[0:3], 0 offset:204
.LBB95_155:
	s_or_b64 exec, exec, s[4:5]
	s_waitcnt lgkmcnt(0)
	; wave barrier
	buffer_load_dword v79, off, s[0:3], 0 offset:212
	buffer_load_dword v80, off, s[0:3], 0 offset:220
	;; [unrolled: 1-line block ×14, first 2 shown]
	ds_read_b128 v[67:70], v66 offset:464
	ds_read_b128 v[71:74], v66 offset:480
	;; [unrolled: 1-line block ×3, first 2 shown]
	v_cmp_lt_u32_e32 vcc, 24, v0
	s_waitcnt vmcnt(13) lgkmcnt(2)
	v_mul_f32_e32 v66, v67, v79
	v_mul_f32_e32 v79, v68, v79
	s_waitcnt vmcnt(12)
	v_mul_f32_e32 v93, v69, v80
	v_mul_f32_e32 v80, v70, v80
	s_waitcnt vmcnt(11) lgkmcnt(1)
	v_mul_f32_e32 v94, v71, v81
	v_mul_f32_e32 v81, v72, v81
	s_waitcnt vmcnt(7)
	v_fma_f32 v67, v67, v85, -v79
	v_fmac_f32_e32 v66, v68, v85
	s_waitcnt vmcnt(6)
	v_fma_f32 v68, v69, v86, -v80
	v_add_f32_e32 v67, 0, v67
	v_mul_f32_e32 v95, v73, v82
	v_mul_f32_e32 v82, v74, v82
	v_fmac_f32_e32 v93, v70, v86
	s_waitcnt vmcnt(5)
	v_fma_f32 v69, v71, v87, -v81
	v_add_f32_e32 v66, 0, v66
	v_add_f32_e32 v67, v67, v68
	s_waitcnt lgkmcnt(0)
	v_mul_f32_e32 v96, v75, v83
	v_mul_f32_e32 v83, v76, v83
	v_fmac_f32_e32 v94, v72, v87
	s_waitcnt vmcnt(4)
	v_fma_f32 v70, v73, v88, -v82
	v_add_f32_e32 v66, v66, v93
	v_add_f32_e32 v67, v67, v69
	v_mul_f32_e32 v97, v77, v84
	v_mul_f32_e32 v84, v78, v84
	v_fmac_f32_e32 v95, v74, v88
	s_waitcnt vmcnt(3)
	v_fma_f32 v71, v75, v89, -v83
	v_add_f32_e32 v66, v66, v94
	v_add_f32_e32 v67, v67, v70
	v_fmac_f32_e32 v96, v76, v89
	s_waitcnt vmcnt(2)
	v_fma_f32 v72, v77, v90, -v84
	v_add_f32_e32 v66, v66, v95
	v_add_f32_e32 v67, v67, v71
	v_fmac_f32_e32 v97, v78, v90
	v_add_f32_e32 v66, v66, v96
	v_add_f32_e32 v67, v67, v72
	;; [unrolled: 1-line block ×3, first 2 shown]
	s_waitcnt vmcnt(1)
	v_sub_f32_e32 v67, v91, v67
	s_waitcnt vmcnt(0)
	v_sub_f32_e32 v66, v92, v66
	buffer_store_dword v67, off, s[0:3], 0 offset:200
	buffer_store_dword v66, off, s[0:3], 0 offset:204
	s_and_saveexec_b64 s[4:5], vcc
	s_cbranch_execz .LBB95_157
; %bb.156:
	buffer_load_dword v66, off, s[0:3], 0 offset:192
	buffer_load_dword v67, off, s[0:3], 0 offset:196
	v_mov_b32_e32 v68, 0
	buffer_store_dword v68, off, s[0:3], 0 offset:192
	buffer_store_dword v68, off, s[0:3], 0 offset:196
	s_waitcnt vmcnt(2)
	ds_write_b64 v65, v[66:67]
.LBB95_157:
	s_or_b64 exec, exec, s[4:5]
	s_waitcnt lgkmcnt(0)
	; wave barrier
	buffer_load_dword v81, off, s[0:3], 0 offset:204
	buffer_load_dword v82, off, s[0:3], 0 offset:212
	;; [unrolled: 1-line block ×16, first 2 shown]
	v_mov_b32_e32 v66, 0
	ds_read2_b64 v[67:70], v66 offset0:57 offset1:58
	ds_read2_b64 v[71:74], v66 offset0:59 offset1:60
	;; [unrolled: 1-line block ×3, first 2 shown]
	ds_read_b64 v[79:80], v66 offset:504
	v_cmp_lt_u32_e32 vcc, 23, v0
	s_waitcnt vmcnt(15) lgkmcnt(3)
	v_mul_f32_e32 v97, v67, v81
	v_mul_f32_e32 v81, v68, v81
	s_waitcnt vmcnt(14)
	v_mul_f32_e32 v98, v69, v82
	v_mul_f32_e32 v82, v70, v82
	s_waitcnt vmcnt(13) lgkmcnt(2)
	v_mul_f32_e32 v99, v71, v83
	s_waitcnt vmcnt(12)
	v_mul_f32_e32 v100, v73, v84
	v_mul_f32_e32 v83, v72, v83
	s_waitcnt vmcnt(8)
	v_fma_f32 v67, v67, v88, -v81
	v_fmac_f32_e32 v97, v68, v88
	s_waitcnt vmcnt(7)
	v_fma_f32 v68, v69, v89, -v82
	v_add_f32_e32 v67, 0, v67
	v_mul_f32_e32 v84, v74, v84
	v_fmac_f32_e32 v98, v70, v89
	s_waitcnt vmcnt(5)
	v_fmac_f32_e32 v100, v74, v91
	v_fma_f32 v69, v71, v90, -v83
	v_add_f32_e32 v74, 0, v97
	v_add_f32_e32 v67, v67, v68
	s_waitcnt lgkmcnt(1)
	v_mul_f32_e32 v101, v75, v85
	v_mul_f32_e32 v85, v76, v85
	v_fmac_f32_e32 v99, v72, v90
	v_fma_f32 v70, v73, v91, -v84
	v_add_f32_e32 v74, v74, v98
	v_add_f32_e32 v67, v67, v69
	v_mul_f32_e32 v102, v77, v86
	v_mul_f32_e32 v86, v78, v86
	s_waitcnt vmcnt(4)
	v_fma_f32 v71, v75, v92, -v85
	v_add_f32_e32 v68, v74, v99
	v_add_f32_e32 v67, v67, v70
	s_waitcnt lgkmcnt(0)
	v_mul_f32_e32 v103, v79, v87
	v_mul_f32_e32 v87, v80, v87
	v_fmac_f32_e32 v101, v76, v92
	s_waitcnt vmcnt(3)
	v_fma_f32 v72, v77, v93, -v86
	v_add_f32_e32 v68, v68, v100
	v_add_f32_e32 v67, v67, v71
	v_fmac_f32_e32 v102, v78, v93
	s_waitcnt vmcnt(2)
	v_fma_f32 v73, v79, v94, -v87
	v_add_f32_e32 v68, v68, v101
	v_add_f32_e32 v67, v67, v72
	v_fmac_f32_e32 v103, v80, v94
	v_add_f32_e32 v68, v68, v102
	v_add_f32_e32 v67, v67, v73
	v_add_f32_e32 v68, v68, v103
	s_waitcnt vmcnt(1)
	v_sub_f32_e32 v67, v95, v67
	s_waitcnt vmcnt(0)
	v_sub_f32_e32 v68, v96, v68
	buffer_store_dword v67, off, s[0:3], 0 offset:192
	buffer_store_dword v68, off, s[0:3], 0 offset:196
	s_and_saveexec_b64 s[4:5], vcc
	s_cbranch_execz .LBB95_159
; %bb.158:
	buffer_load_dword v67, off, s[0:3], 0 offset:184
	buffer_load_dword v68, off, s[0:3], 0 offset:188
	s_waitcnt vmcnt(0)
	ds_write_b64 v65, v[67:68]
	buffer_store_dword v66, off, s[0:3], 0 offset:184
	buffer_store_dword v66, off, s[0:3], 0 offset:188
.LBB95_159:
	s_or_b64 exec, exec, s[4:5]
	s_waitcnt lgkmcnt(0)
	; wave barrier
	buffer_load_dword v83, off, s[0:3], 0 offset:196
	buffer_load_dword v84, off, s[0:3], 0 offset:204
	;; [unrolled: 1-line block ×18, first 2 shown]
	ds_read_b128 v[67:70], v66 offset:448
	ds_read_b128 v[71:74], v66 offset:464
	;; [unrolled: 1-line block ×4, first 2 shown]
	v_cmp_lt_u32_e32 vcc, 22, v0
	s_waitcnt vmcnt(17) lgkmcnt(3)
	v_mul_f32_e32 v66, v67, v83
	v_mul_f32_e32 v83, v68, v83
	s_waitcnt vmcnt(16)
	v_mul_f32_e32 v101, v69, v84
	v_mul_f32_e32 v84, v70, v84
	s_waitcnt vmcnt(15) lgkmcnt(2)
	v_mul_f32_e32 v102, v71, v85
	v_mul_f32_e32 v85, v72, v85
	s_waitcnt vmcnt(14)
	v_mul_f32_e32 v103, v73, v86
	v_mul_f32_e32 v86, v74, v86
	s_waitcnt vmcnt(9)
	v_fma_f32 v67, v67, v91, -v83
	v_fmac_f32_e32 v66, v68, v91
	s_waitcnt vmcnt(8)
	v_fma_f32 v68, v69, v92, -v84
	v_add_f32_e32 v67, 0, v67
	v_fmac_f32_e32 v101, v70, v92
	s_waitcnt vmcnt(7)
	v_fma_f32 v69, v71, v93, -v85
	v_add_f32_e32 v66, 0, v66
	v_add_f32_e32 v67, v67, v68
	s_waitcnt lgkmcnt(1)
	v_mul_f32_e32 v104, v75, v87
	v_mul_f32_e32 v87, v76, v87
	v_fmac_f32_e32 v102, v72, v93
	s_waitcnt vmcnt(6)
	v_fma_f32 v70, v73, v94, -v86
	v_add_f32_e32 v66, v66, v101
	v_add_f32_e32 v67, v67, v69
	v_mul_f32_e32 v105, v77, v88
	v_mul_f32_e32 v88, v78, v88
	v_fmac_f32_e32 v103, v74, v94
	s_waitcnt vmcnt(5)
	v_fma_f32 v71, v75, v95, -v87
	v_add_f32_e32 v66, v66, v102
	v_add_f32_e32 v67, v67, v70
	s_waitcnt lgkmcnt(0)
	v_mul_f32_e32 v106, v79, v89
	v_mul_f32_e32 v89, v80, v89
	v_fmac_f32_e32 v104, v76, v95
	s_waitcnt vmcnt(4)
	v_fma_f32 v72, v77, v96, -v88
	v_add_f32_e32 v66, v66, v103
	v_add_f32_e32 v67, v67, v71
	v_mul_f32_e32 v107, v81, v90
	v_mul_f32_e32 v90, v82, v90
	v_fmac_f32_e32 v105, v78, v96
	s_waitcnt vmcnt(3)
	v_fma_f32 v73, v79, v97, -v89
	v_add_f32_e32 v66, v66, v104
	v_add_f32_e32 v67, v67, v72
	v_fmac_f32_e32 v106, v80, v97
	s_waitcnt vmcnt(2)
	v_fma_f32 v74, v81, v98, -v90
	v_add_f32_e32 v66, v66, v105
	v_add_f32_e32 v67, v67, v73
	v_fmac_f32_e32 v107, v82, v98
	v_add_f32_e32 v66, v66, v106
	v_add_f32_e32 v67, v67, v74
	;; [unrolled: 1-line block ×3, first 2 shown]
	s_waitcnt vmcnt(1)
	v_sub_f32_e32 v67, v99, v67
	s_waitcnt vmcnt(0)
	v_sub_f32_e32 v66, v100, v66
	buffer_store_dword v67, off, s[0:3], 0 offset:184
	buffer_store_dword v66, off, s[0:3], 0 offset:188
	s_and_saveexec_b64 s[4:5], vcc
	s_cbranch_execz .LBB95_161
; %bb.160:
	buffer_load_dword v66, off, s[0:3], 0 offset:176
	buffer_load_dword v67, off, s[0:3], 0 offset:180
	v_mov_b32_e32 v68, 0
	buffer_store_dword v68, off, s[0:3], 0 offset:176
	buffer_store_dword v68, off, s[0:3], 0 offset:180
	s_waitcnt vmcnt(2)
	ds_write_b64 v65, v[66:67]
.LBB95_161:
	s_or_b64 exec, exec, s[4:5]
	s_waitcnt lgkmcnt(0)
	; wave barrier
	buffer_load_dword v85, off, s[0:3], 0 offset:188
	buffer_load_dword v86, off, s[0:3], 0 offset:196
	;; [unrolled: 1-line block ×20, first 2 shown]
	v_mov_b32_e32 v66, 0
	ds_read2_b64 v[67:70], v66 offset0:55 offset1:56
	ds_read2_b64 v[71:74], v66 offset0:57 offset1:58
	;; [unrolled: 1-line block ×4, first 2 shown]
	ds_read_b64 v[83:84], v66 offset:504
	v_cmp_lt_u32_e32 vcc, 21, v0
	s_waitcnt vmcnt(19) lgkmcnt(4)
	v_mul_f32_e32 v105, v67, v85
	v_mul_f32_e32 v85, v68, v85
	s_waitcnt vmcnt(18)
	v_mul_f32_e32 v106, v69, v86
	v_mul_f32_e32 v86, v70, v86
	s_waitcnt vmcnt(17) lgkmcnt(3)
	v_mul_f32_e32 v107, v71, v87
	s_waitcnt vmcnt(15) lgkmcnt(2)
	v_mul_f32_e32 v109, v75, v89
	v_mul_f32_e32 v87, v72, v87
	;; [unrolled: 1-line block ×4, first 2 shown]
	s_waitcnt vmcnt(10)
	v_fma_f32 v67, v67, v94, -v85
	v_fmac_f32_e32 v105, v68, v94
	s_waitcnt vmcnt(9)
	v_fma_f32 v68, v69, v95, -v86
	v_add_f32_e32 v67, 0, v67
	v_mul_f32_e32 v89, v76, v89
	v_fmac_f32_e32 v106, v70, v95
	s_waitcnt vmcnt(6)
	v_fmac_f32_e32 v109, v76, v98
	v_fma_f32 v69, v71, v96, -v87
	v_add_f32_e32 v76, 0, v105
	v_add_f32_e32 v67, v67, v68
	v_fmac_f32_e32 v107, v72, v96
	v_fma_f32 v70, v73, v97, -v88
	v_add_f32_e32 v76, v76, v106
	v_add_f32_e32 v67, v67, v69
	v_mul_f32_e32 v110, v77, v90
	v_mul_f32_e32 v90, v78, v90
	v_fmac_f32_e32 v108, v74, v97
	v_fma_f32 v71, v75, v98, -v89
	v_add_f32_e32 v68, v76, v107
	v_add_f32_e32 v67, v67, v70
	s_waitcnt lgkmcnt(1)
	v_mul_f32_e32 v111, v79, v91
	v_mul_f32_e32 v91, v80, v91
	s_waitcnt vmcnt(5)
	v_fma_f32 v72, v77, v99, -v90
	v_add_f32_e32 v68, v68, v108
	v_add_f32_e32 v67, v67, v71
	v_mul_f32_e32 v112, v81, v92
	v_mul_f32_e32 v92, v82, v92
	v_fmac_f32_e32 v110, v78, v99
	s_waitcnt vmcnt(4)
	v_fma_f32 v73, v79, v100, -v91
	v_add_f32_e32 v68, v68, v109
	v_add_f32_e32 v67, v67, v72
	s_waitcnt lgkmcnt(0)
	v_mul_f32_e32 v113, v83, v93
	v_mul_f32_e32 v93, v84, v93
	v_fmac_f32_e32 v111, v80, v100
	s_waitcnt vmcnt(3)
	v_fma_f32 v74, v81, v101, -v92
	v_add_f32_e32 v68, v68, v110
	v_add_f32_e32 v67, v67, v73
	v_fmac_f32_e32 v112, v82, v101
	s_waitcnt vmcnt(2)
	v_fma_f32 v75, v83, v102, -v93
	v_add_f32_e32 v68, v68, v111
	v_add_f32_e32 v67, v67, v74
	v_fmac_f32_e32 v113, v84, v102
	v_add_f32_e32 v68, v68, v112
	v_add_f32_e32 v67, v67, v75
	;; [unrolled: 1-line block ×3, first 2 shown]
	s_waitcnt vmcnt(1)
	v_sub_f32_e32 v67, v103, v67
	s_waitcnt vmcnt(0)
	v_sub_f32_e32 v68, v104, v68
	buffer_store_dword v67, off, s[0:3], 0 offset:176
	buffer_store_dword v68, off, s[0:3], 0 offset:180
	s_and_saveexec_b64 s[4:5], vcc
	s_cbranch_execz .LBB95_163
; %bb.162:
	buffer_load_dword v67, off, s[0:3], 0 offset:168
	buffer_load_dword v68, off, s[0:3], 0 offset:172
	s_waitcnt vmcnt(0)
	ds_write_b64 v65, v[67:68]
	buffer_store_dword v66, off, s[0:3], 0 offset:168
	buffer_store_dword v66, off, s[0:3], 0 offset:172
.LBB95_163:
	s_or_b64 exec, exec, s[4:5]
	s_waitcnt lgkmcnt(0)
	; wave barrier
	buffer_load_dword v87, off, s[0:3], 0 offset:180
	buffer_load_dword v88, off, s[0:3], 0 offset:188
	;; [unrolled: 1-line block ×22, first 2 shown]
	ds_read_b128 v[67:70], v66 offset:432
	ds_read_b128 v[71:74], v66 offset:448
	;; [unrolled: 1-line block ×5, first 2 shown]
	v_cmp_lt_u32_e32 vcc, 20, v0
	s_waitcnt vmcnt(21) lgkmcnt(4)
	v_mul_f32_e32 v66, v67, v87
	v_mul_f32_e32 v87, v68, v87
	s_waitcnt vmcnt(20)
	v_mul_f32_e32 v109, v69, v88
	v_mul_f32_e32 v88, v70, v88
	s_waitcnt vmcnt(19) lgkmcnt(3)
	v_mul_f32_e32 v110, v71, v89
	v_mul_f32_e32 v89, v72, v89
	s_waitcnt vmcnt(18)
	v_mul_f32_e32 v111, v73, v90
	v_mul_f32_e32 v90, v74, v90
	s_waitcnt vmcnt(17) lgkmcnt(2)
	v_mul_f32_e32 v112, v75, v91
	v_mul_f32_e32 v91, v76, v91
	s_waitcnt vmcnt(11)
	v_fma_f32 v67, v67, v97, -v87
	v_fmac_f32_e32 v66, v68, v97
	s_waitcnt vmcnt(10)
	v_fma_f32 v68, v69, v98, -v88
	v_add_f32_e32 v67, 0, v67
	v_fmac_f32_e32 v109, v70, v98
	s_waitcnt vmcnt(9)
	v_fma_f32 v69, v71, v99, -v89
	v_add_f32_e32 v66, 0, v66
	v_add_f32_e32 v67, v67, v68
	v_fmac_f32_e32 v110, v72, v99
	s_waitcnt vmcnt(8)
	v_fma_f32 v70, v73, v100, -v90
	v_add_f32_e32 v66, v66, v109
	v_add_f32_e32 v67, v67, v69
	v_mul_f32_e32 v113, v77, v92
	v_mul_f32_e32 v92, v78, v92
	v_fmac_f32_e32 v111, v74, v100
	s_waitcnt vmcnt(7)
	v_fma_f32 v71, v75, v101, -v91
	v_add_f32_e32 v66, v66, v110
	v_add_f32_e32 v67, v67, v70
	s_waitcnt lgkmcnt(1)
	v_mul_f32_e32 v114, v79, v93
	v_mul_f32_e32 v93, v80, v93
	v_fmac_f32_e32 v112, v76, v101
	s_waitcnt vmcnt(6)
	v_fma_f32 v72, v77, v102, -v92
	v_add_f32_e32 v66, v66, v111
	v_add_f32_e32 v67, v67, v71
	v_mul_f32_e32 v115, v81, v94
	v_mul_f32_e32 v94, v82, v94
	v_fmac_f32_e32 v113, v78, v102
	s_waitcnt vmcnt(5)
	v_fma_f32 v73, v79, v103, -v93
	v_add_f32_e32 v66, v66, v112
	v_add_f32_e32 v67, v67, v72
	s_waitcnt lgkmcnt(0)
	v_mul_f32_e32 v116, v83, v95
	v_mul_f32_e32 v95, v84, v95
	v_fmac_f32_e32 v114, v80, v103
	s_waitcnt vmcnt(4)
	v_fma_f32 v74, v81, v104, -v94
	v_add_f32_e32 v66, v66, v113
	v_add_f32_e32 v67, v67, v73
	v_mul_f32_e32 v117, v85, v96
	v_mul_f32_e32 v96, v86, v96
	v_fmac_f32_e32 v115, v82, v104
	s_waitcnt vmcnt(3)
	v_fma_f32 v75, v83, v105, -v95
	v_add_f32_e32 v66, v66, v114
	v_add_f32_e32 v67, v67, v74
	v_fmac_f32_e32 v116, v84, v105
	s_waitcnt vmcnt(2)
	v_fma_f32 v76, v85, v106, -v96
	v_add_f32_e32 v66, v66, v115
	v_add_f32_e32 v67, v67, v75
	v_fmac_f32_e32 v117, v86, v106
	v_add_f32_e32 v66, v66, v116
	v_add_f32_e32 v67, v67, v76
	;; [unrolled: 1-line block ×3, first 2 shown]
	s_waitcnt vmcnt(1)
	v_sub_f32_e32 v67, v107, v67
	s_waitcnt vmcnt(0)
	v_sub_f32_e32 v66, v108, v66
	buffer_store_dword v67, off, s[0:3], 0 offset:168
	buffer_store_dword v66, off, s[0:3], 0 offset:172
	s_and_saveexec_b64 s[4:5], vcc
	s_cbranch_execz .LBB95_165
; %bb.164:
	buffer_load_dword v66, off, s[0:3], 0 offset:160
	buffer_load_dword v67, off, s[0:3], 0 offset:164
	v_mov_b32_e32 v68, 0
	buffer_store_dword v68, off, s[0:3], 0 offset:160
	buffer_store_dword v68, off, s[0:3], 0 offset:164
	s_waitcnt vmcnt(2)
	ds_write_b64 v65, v[66:67]
.LBB95_165:
	s_or_b64 exec, exec, s[4:5]
	s_waitcnt lgkmcnt(0)
	; wave barrier
	buffer_load_dword v89, off, s[0:3], 0 offset:172
	buffer_load_dword v90, off, s[0:3], 0 offset:180
	;; [unrolled: 1-line block ×24, first 2 shown]
	v_mov_b32_e32 v66, 0
	ds_read2_b64 v[67:70], v66 offset0:53 offset1:54
	ds_read2_b64 v[71:74], v66 offset0:55 offset1:56
	;; [unrolled: 1-line block ×5, first 2 shown]
	ds_read_b64 v[87:88], v66 offset:504
	v_cmp_lt_u32_e32 vcc, 19, v0
	s_waitcnt vmcnt(23) lgkmcnt(5)
	v_mul_f32_e32 v113, v67, v89
	v_mul_f32_e32 v89, v68, v89
	s_waitcnt vmcnt(22)
	v_mul_f32_e32 v114, v69, v90
	v_mul_f32_e32 v90, v70, v90
	s_waitcnt vmcnt(21) lgkmcnt(4)
	v_mul_f32_e32 v115, v71, v91
	v_mul_f32_e32 v91, v72, v91
	s_waitcnt vmcnt(20)
	v_mul_f32_e32 v116, v73, v92
	s_waitcnt vmcnt(19) lgkmcnt(3)
	v_mul_f32_e32 v117, v75, v93
	v_mul_f32_e32 v92, v74, v92
	;; [unrolled: 1-line block ×3, first 2 shown]
	s_waitcnt vmcnt(18)
	v_mul_f32_e32 v118, v77, v94
	s_waitcnt vmcnt(12)
	v_fma_f32 v67, v67, v100, -v89
	v_fmac_f32_e32 v113, v68, v100
	s_waitcnt vmcnt(11)
	v_fma_f32 v68, v69, v101, -v90
	v_add_f32_e32 v67, 0, v67
	s_waitcnt vmcnt(10)
	v_fma_f32 v69, v71, v102, -v91
	v_add_f32_e32 v67, v67, v68
	v_fmac_f32_e32 v114, v70, v101
	s_waitcnt vmcnt(8)
	v_fmac_f32_e32 v117, v76, v104
	v_fma_f32 v70, v73, v103, -v92
	v_add_f32_e32 v76, 0, v113
	v_add_f32_e32 v67, v67, v69
	v_mul_f32_e32 v94, v78, v94
	v_fmac_f32_e32 v115, v72, v102
	v_fma_f32 v71, v75, v104, -v93
	v_add_f32_e32 v76, v76, v114
	v_add_f32_e32 v67, v67, v70
	s_waitcnt lgkmcnt(2)
	v_mul_f32_e32 v119, v79, v95
	v_mul_f32_e32 v95, v80, v95
	v_fmac_f32_e32 v116, v74, v103
	s_waitcnt vmcnt(7)
	v_fma_f32 v72, v77, v105, -v94
	v_add_f32_e32 v68, v76, v115
	v_add_f32_e32 v67, v67, v71
	v_mul_f32_e32 v120, v81, v96
	v_mul_f32_e32 v96, v82, v96
	s_waitcnt vmcnt(6)
	v_fma_f32 v73, v79, v106, -v95
	v_add_f32_e32 v68, v68, v116
	v_add_f32_e32 v67, v67, v72
	s_waitcnt lgkmcnt(1)
	v_mul_f32_e32 v121, v83, v97
	v_mul_f32_e32 v97, v84, v97
	v_fmac_f32_e32 v118, v78, v105
	s_waitcnt vmcnt(5)
	v_fma_f32 v74, v81, v107, -v96
	v_add_f32_e32 v68, v68, v117
	v_add_f32_e32 v67, v67, v73
	v_fmac_f32_e32 v119, v80, v106
	s_waitcnt vmcnt(4)
	v_fma_f32 v75, v83, v108, -v97
	v_add_f32_e32 v68, v68, v118
	v_add_f32_e32 v67, v67, v74
	v_mul_f32_e32 v69, v86, v98
	v_fmac_f32_e32 v120, v82, v107
	v_add_f32_e32 v68, v68, v119
	v_add_f32_e32 v67, v67, v75
	s_waitcnt vmcnt(3)
	v_fma_f32 v69, v85, v109, -v69
	v_mul_f32_e32 v122, v85, v98
	v_fmac_f32_e32 v121, v84, v108
	v_add_f32_e32 v68, v68, v120
	v_add_f32_e32 v67, v67, v69
	s_waitcnt lgkmcnt(0)
	v_mul_f32_e32 v69, v88, v99
	v_mul_f32_e32 v123, v87, v99
	v_fmac_f32_e32 v122, v86, v109
	v_add_f32_e32 v68, v68, v121
	s_waitcnt vmcnt(2)
	v_fma_f32 v69, v87, v110, -v69
	v_fmac_f32_e32 v123, v88, v110
	v_add_f32_e32 v68, v68, v122
	v_add_f32_e32 v67, v67, v69
	;; [unrolled: 1-line block ×3, first 2 shown]
	s_waitcnt vmcnt(1)
	v_sub_f32_e32 v67, v111, v67
	s_waitcnt vmcnt(0)
	v_sub_f32_e32 v68, v112, v68
	buffer_store_dword v67, off, s[0:3], 0 offset:160
	buffer_store_dword v68, off, s[0:3], 0 offset:164
	s_and_saveexec_b64 s[4:5], vcc
	s_cbranch_execz .LBB95_167
; %bb.166:
	buffer_load_dword v67, off, s[0:3], 0 offset:152
	buffer_load_dword v68, off, s[0:3], 0 offset:156
	s_waitcnt vmcnt(0)
	ds_write_b64 v65, v[67:68]
	buffer_store_dword v66, off, s[0:3], 0 offset:152
	buffer_store_dword v66, off, s[0:3], 0 offset:156
.LBB95_167:
	s_or_b64 exec, exec, s[4:5]
	s_waitcnt lgkmcnt(0)
	; wave barrier
	ds_read_b128 v[67:70], v66 offset:416
	ds_read_b128 v[71:74], v66 offset:432
	;; [unrolled: 1-line block ×4, first 2 shown]
	buffer_load_dword v91, off, s[0:3], 0 offset:152
	buffer_load_dword v92, off, s[0:3], 0 offset:156
	;; [unrolled: 1-line block ×18, first 2 shown]
	v_cmp_lt_u32_e32 vcc, 18, v0
	s_waitcnt vmcnt(14) lgkmcnt(3)
	v_mul_f32_e32 v83, v67, v94
	v_fmac_f32_e32 v83, v68, v93
	s_waitcnt vmcnt(12)
	v_mul_f32_e32 v84, v69, v96
	v_add_f32_e32 v83, 0, v83
	v_fmac_f32_e32 v84, v70, v95
	v_add_f32_e32 v83, v83, v84
	s_waitcnt vmcnt(10) lgkmcnt(2)
	v_mul_f32_e32 v84, v71, v98
	v_fmac_f32_e32 v84, v72, v97
	v_add_f32_e32 v83, v83, v84
	s_waitcnt vmcnt(8)
	v_mul_f32_e32 v84, v73, v100
	v_fmac_f32_e32 v84, v74, v99
	v_add_f32_e32 v83, v83, v84
	s_waitcnt vmcnt(6) lgkmcnt(1)
	v_mul_f32_e32 v84, v75, v102
	v_fmac_f32_e32 v84, v76, v101
	v_add_f32_e32 v83, v83, v84
	s_waitcnt vmcnt(4)
	v_mul_f32_e32 v84, v77, v104
	;; [unrolled: 8-line block ×3, first 2 shown]
	v_fmac_f32_e32 v84, v82, v107
	v_add_f32_e32 v87, v83, v84
	ds_read_b128 v[83:86], v66 offset:480
	buffer_load_dword v109, off, s[0:3], 0 offset:224
	buffer_load_dword v110, off, s[0:3], 0 offset:228
	buffer_load_dword v111, off, s[0:3], 0 offset:232
	buffer_load_dword v112, off, s[0:3], 0 offset:236
	v_mul_f32_e32 v68, v68, v94
	v_fma_f32 v67, v67, v93, -v68
	v_mul_f32_e32 v68, v70, v96
	v_add_f32_e32 v67, 0, v67
	v_fma_f32 v68, v69, v95, -v68
	v_add_f32_e32 v67, v67, v68
	v_mul_f32_e32 v68, v72, v98
	v_fma_f32 v68, v71, v97, -v68
	v_add_f32_e32 v67, v67, v68
	v_mul_f32_e32 v68, v74, v100
	;; [unrolled: 3-line block ×6, first 2 shown]
	v_fma_f32 v68, v81, v107, -v68
	v_add_f32_e32 v67, v67, v68
	s_waitcnt vmcnt(2) lgkmcnt(0)
	v_mul_f32_e32 v88, v83, v110
	v_fmac_f32_e32 v88, v84, v109
	v_add_f32_e32 v87, v87, v88
	s_waitcnt vmcnt(0)
	v_mul_f32_e32 v88, v85, v112
	v_fmac_f32_e32 v88, v86, v111
	v_add_f32_e32 v113, v87, v88
	ds_read_b128 v[87:90], v66 offset:496
	buffer_load_dword v66, off, s[0:3], 0 offset:240
	buffer_load_dword v114, off, s[0:3], 0 offset:244
	v_mul_f32_e32 v68, v84, v110
	v_fma_f32 v68, v83, v109, -v68
	v_add_f32_e32 v67, v67, v68
	v_mul_f32_e32 v68, v86, v112
	v_fma_f32 v68, v85, v111, -v68
	v_add_f32_e32 v67, v67, v68
	s_waitcnt vmcnt(0) lgkmcnt(0)
	v_mul_f32_e32 v115, v87, v114
	v_fmac_f32_e32 v115, v88, v66
	v_add_f32_e32 v113, v113, v115
	buffer_load_dword v115, off, s[0:3], 0 offset:248
	buffer_load_dword v116, off, s[0:3], 0 offset:252
	v_mul_f32_e32 v68, v88, v114
	v_fma_f32 v66, v87, v66, -v68
	v_add_f32_e32 v66, v67, v66
	s_waitcnt vmcnt(0)
	v_mul_f32_e32 v67, v90, v116
	v_mul_f32_e32 v117, v89, v116
	v_fma_f32 v67, v89, v115, -v67
	v_fmac_f32_e32 v117, v90, v115
	v_add_f32_e32 v66, v66, v67
	v_add_f32_e32 v113, v113, v117
	v_sub_f32_e32 v66, v91, v66
	v_sub_f32_e32 v67, v92, v113
	buffer_store_dword v66, off, s[0:3], 0 offset:152
	buffer_store_dword v67, off, s[0:3], 0 offset:156
	s_and_saveexec_b64 s[4:5], vcc
	s_cbranch_execz .LBB95_169
; %bb.168:
	buffer_load_dword v66, off, s[0:3], 0 offset:144
	buffer_load_dword v67, off, s[0:3], 0 offset:148
	v_mov_b32_e32 v68, 0
	buffer_store_dword v68, off, s[0:3], 0 offset:144
	buffer_store_dword v68, off, s[0:3], 0 offset:148
	s_waitcnt vmcnt(2)
	ds_write_b64 v65, v[66:67]
.LBB95_169:
	s_or_b64 exec, exec, s[4:5]
	v_mov_b32_e32 v66, 0
	s_waitcnt lgkmcnt(0)
	; wave barrier
	ds_read2_b64 v[67:70], v66 offset0:51 offset1:52
	buffer_load_dword v93, off, s[0:3], 0 offset:144
	buffer_load_dword v94, off, s[0:3], 0 offset:148
	;; [unrolled: 1-line block ×16, first 2 shown]
	v_cmp_lt_u32_e32 vcc, 17, v0
	s_waitcnt vmcnt(12) lgkmcnt(0)
	v_mul_f32_e32 v71, v67, v96
	v_fmac_f32_e32 v71, v68, v95
	s_waitcnt vmcnt(10)
	v_mul_f32_e32 v72, v69, v98
	v_add_f32_e32 v71, 0, v71
	v_fmac_f32_e32 v72, v70, v97
	v_add_f32_e32 v75, v71, v72
	ds_read2_b64 v[71:74], v66 offset0:53 offset1:54
	v_mul_f32_e32 v68, v68, v96
	v_fma_f32 v67, v67, v95, -v68
	v_mul_f32_e32 v68, v70, v98
	v_add_f32_e32 v67, 0, v67
	s_waitcnt vmcnt(8) lgkmcnt(0)
	v_mul_f32_e32 v76, v71, v100
	v_fmac_f32_e32 v76, v72, v99
	v_add_f32_e32 v75, v75, v76
	s_waitcnt vmcnt(6)
	v_mul_f32_e32 v76, v73, v102
	v_fmac_f32_e32 v76, v74, v101
	v_add_f32_e32 v79, v75, v76
	ds_read2_b64 v[75:78], v66 offset0:55 offset1:56
	v_fma_f32 v68, v69, v97, -v68
	v_add_f32_e32 v67, v67, v68
	v_mul_f32_e32 v68, v72, v100
	v_fma_f32 v68, v71, v99, -v68
	s_waitcnt vmcnt(4) lgkmcnt(0)
	v_mul_f32_e32 v80, v75, v104
	v_fmac_f32_e32 v80, v76, v103
	v_add_f32_e32 v79, v79, v80
	s_waitcnt vmcnt(2)
	v_mul_f32_e32 v80, v77, v106
	v_fmac_f32_e32 v80, v78, v105
	v_add_f32_e32 v83, v79, v80
	ds_read2_b64 v[79:82], v66 offset0:57 offset1:58
	buffer_load_dword v109, off, s[0:3], 0 offset:208
	buffer_load_dword v110, off, s[0:3], 0 offset:212
	v_add_f32_e32 v67, v67, v68
	v_mul_f32_e32 v68, v74, v102
	v_fma_f32 v68, v73, v101, -v68
	s_waitcnt vmcnt(2) lgkmcnt(0)
	v_mul_f32_e32 v84, v79, v108
	v_fmac_f32_e32 v84, v80, v107
	v_add_f32_e32 v83, v83, v84
	v_add_f32_e32 v67, v67, v68
	v_mul_f32_e32 v68, v76, v104
	v_fma_f32 v68, v75, v103, -v68
	v_add_f32_e32 v67, v67, v68
	v_mul_f32_e32 v68, v78, v106
	v_fma_f32 v68, v77, v105, -v68
	;; [unrolled: 3-line block ×3, first 2 shown]
	v_add_f32_e32 v67, v67, v68
	s_waitcnt vmcnt(0)
	v_mul_f32_e32 v84, v81, v110
	v_fmac_f32_e32 v84, v82, v109
	v_add_f32_e32 v87, v83, v84
	ds_read2_b64 v[83:86], v66 offset0:59 offset1:60
	buffer_load_dword v111, off, s[0:3], 0 offset:216
	buffer_load_dword v112, off, s[0:3], 0 offset:220
	buffer_load_dword v113, off, s[0:3], 0 offset:224
	buffer_load_dword v114, off, s[0:3], 0 offset:228
	v_mul_f32_e32 v68, v82, v110
	v_fma_f32 v68, v81, v109, -v68
	v_add_f32_e32 v67, v67, v68
	s_waitcnt vmcnt(2) lgkmcnt(0)
	v_mul_f32_e32 v88, v83, v112
	v_fmac_f32_e32 v88, v84, v111
	v_add_f32_e32 v87, v87, v88
	s_waitcnt vmcnt(0)
	v_mul_f32_e32 v88, v85, v114
	v_fmac_f32_e32 v88, v86, v113
	v_add_f32_e32 v91, v87, v88
	ds_read2_b64 v[87:90], v66 offset0:61 offset1:62
	buffer_load_dword v115, off, s[0:3], 0 offset:232
	buffer_load_dword v116, off, s[0:3], 0 offset:236
	;; [unrolled: 1-line block ×4, first 2 shown]
	v_mul_f32_e32 v68, v84, v112
	v_fma_f32 v68, v83, v111, -v68
	v_add_f32_e32 v67, v67, v68
	v_mul_f32_e32 v68, v86, v114
	v_fma_f32 v68, v85, v113, -v68
	v_add_f32_e32 v67, v67, v68
	s_waitcnt vmcnt(2) lgkmcnt(0)
	v_mul_f32_e32 v92, v87, v116
	v_fmac_f32_e32 v92, v88, v115
	v_add_f32_e32 v91, v91, v92
	s_waitcnt vmcnt(0)
	v_mul_f32_e32 v92, v89, v118
	v_fmac_f32_e32 v92, v90, v117
	v_add_f32_e32 v119, v91, v92
	ds_read_b64 v[91:92], v66 offset:504
	buffer_load_dword v120, off, s[0:3], 0 offset:248
	buffer_load_dword v121, off, s[0:3], 0 offset:252
	v_mul_f32_e32 v68, v88, v116
	v_fma_f32 v68, v87, v115, -v68
	v_add_f32_e32 v67, v67, v68
	v_mul_f32_e32 v68, v90, v118
	v_fma_f32 v68, v89, v117, -v68
	v_add_f32_e32 v67, v67, v68
	s_waitcnt vmcnt(0) lgkmcnt(0)
	v_mul_f32_e32 v68, v92, v121
	v_mul_f32_e32 v122, v91, v121
	v_fma_f32 v68, v91, v120, -v68
	v_fmac_f32_e32 v122, v92, v120
	v_add_f32_e32 v67, v67, v68
	v_add_f32_e32 v119, v119, v122
	v_sub_f32_e32 v67, v93, v67
	v_sub_f32_e32 v68, v94, v119
	buffer_store_dword v67, off, s[0:3], 0 offset:144
	buffer_store_dword v68, off, s[0:3], 0 offset:148
	s_and_saveexec_b64 s[4:5], vcc
	s_cbranch_execz .LBB95_171
; %bb.170:
	buffer_load_dword v67, off, s[0:3], 0 offset:136
	buffer_load_dword v68, off, s[0:3], 0 offset:140
	s_waitcnt vmcnt(0)
	ds_write_b64 v65, v[67:68]
	buffer_store_dword v66, off, s[0:3], 0 offset:136
	buffer_store_dword v66, off, s[0:3], 0 offset:140
.LBB95_171:
	s_or_b64 exec, exec, s[4:5]
	s_waitcnt lgkmcnt(0)
	; wave barrier
	ds_read_b128 v[67:70], v66 offset:400
	ds_read_b128 v[71:74], v66 offset:416
	ds_read_b128 v[75:78], v66 offset:432
	ds_read_b128 v[79:82], v66 offset:448
	buffer_load_dword v95, off, s[0:3], 0 offset:136
	buffer_load_dword v96, off, s[0:3], 0 offset:140
	buffer_load_dword v97, off, s[0:3], 0 offset:144
	buffer_load_dword v98, off, s[0:3], 0 offset:148
	buffer_load_dword v99, off, s[0:3], 0 offset:152
	buffer_load_dword v100, off, s[0:3], 0 offset:156
	buffer_load_dword v101, off, s[0:3], 0 offset:160
	buffer_load_dword v102, off, s[0:3], 0 offset:164
	buffer_load_dword v103, off, s[0:3], 0 offset:168
	buffer_load_dword v104, off, s[0:3], 0 offset:172
	buffer_load_dword v105, off, s[0:3], 0 offset:176
	buffer_load_dword v106, off, s[0:3], 0 offset:180
	buffer_load_dword v107, off, s[0:3], 0 offset:184
	buffer_load_dword v108, off, s[0:3], 0 offset:188
	buffer_load_dword v109, off, s[0:3], 0 offset:192
	buffer_load_dword v110, off, s[0:3], 0 offset:196
	buffer_load_dword v111, off, s[0:3], 0 offset:200
	buffer_load_dword v112, off, s[0:3], 0 offset:204
	v_cmp_lt_u32_e32 vcc, 16, v0
	s_waitcnt vmcnt(14) lgkmcnt(3)
	v_mul_f32_e32 v83, v67, v98
	v_fmac_f32_e32 v83, v68, v97
	s_waitcnt vmcnt(12)
	v_mul_f32_e32 v84, v69, v100
	v_add_f32_e32 v83, 0, v83
	v_fmac_f32_e32 v84, v70, v99
	v_add_f32_e32 v83, v83, v84
	s_waitcnt vmcnt(10) lgkmcnt(2)
	v_mul_f32_e32 v84, v71, v102
	v_fmac_f32_e32 v84, v72, v101
	v_add_f32_e32 v83, v83, v84
	s_waitcnt vmcnt(8)
	v_mul_f32_e32 v84, v73, v104
	v_fmac_f32_e32 v84, v74, v103
	v_add_f32_e32 v83, v83, v84
	s_waitcnt vmcnt(6) lgkmcnt(1)
	v_mul_f32_e32 v84, v75, v106
	v_fmac_f32_e32 v84, v76, v105
	v_add_f32_e32 v83, v83, v84
	s_waitcnt vmcnt(4)
	v_mul_f32_e32 v84, v77, v108
	;; [unrolled: 8-line block ×3, first 2 shown]
	v_fmac_f32_e32 v84, v82, v111
	v_add_f32_e32 v87, v83, v84
	ds_read_b128 v[83:86], v66 offset:464
	buffer_load_dword v113, off, s[0:3], 0 offset:208
	buffer_load_dword v114, off, s[0:3], 0 offset:212
	;; [unrolled: 1-line block ×4, first 2 shown]
	v_mul_f32_e32 v68, v68, v98
	v_fma_f32 v67, v67, v97, -v68
	v_mul_f32_e32 v68, v70, v100
	v_add_f32_e32 v67, 0, v67
	v_fma_f32 v68, v69, v99, -v68
	v_add_f32_e32 v67, v67, v68
	v_mul_f32_e32 v68, v72, v102
	v_fma_f32 v68, v71, v101, -v68
	v_add_f32_e32 v67, v67, v68
	v_mul_f32_e32 v68, v74, v104
	v_fma_f32 v68, v73, v103, -v68
	v_add_f32_e32 v67, v67, v68
	v_mul_f32_e32 v68, v76, v106
	v_fma_f32 v68, v75, v105, -v68
	v_add_f32_e32 v67, v67, v68
	v_mul_f32_e32 v68, v78, v108
	v_fma_f32 v68, v77, v107, -v68
	v_add_f32_e32 v67, v67, v68
	v_mul_f32_e32 v68, v80, v110
	v_fma_f32 v68, v79, v109, -v68
	v_add_f32_e32 v67, v67, v68
	v_mul_f32_e32 v68, v82, v112
	v_fma_f32 v68, v81, v111, -v68
	v_add_f32_e32 v67, v67, v68
	s_waitcnt vmcnt(2) lgkmcnt(0)
	v_mul_f32_e32 v88, v83, v114
	v_fmac_f32_e32 v88, v84, v113
	v_add_f32_e32 v87, v87, v88
	s_waitcnt vmcnt(0)
	v_mul_f32_e32 v88, v85, v116
	v_fmac_f32_e32 v88, v86, v115
	v_add_f32_e32 v91, v87, v88
	ds_read_b128 v[87:90], v66 offset:480
	buffer_load_dword v117, off, s[0:3], 0 offset:224
	buffer_load_dword v118, off, s[0:3], 0 offset:228
	;; [unrolled: 1-line block ×4, first 2 shown]
	v_mul_f32_e32 v68, v84, v114
	v_fma_f32 v68, v83, v113, -v68
	v_add_f32_e32 v67, v67, v68
	v_mul_f32_e32 v68, v86, v116
	v_fma_f32 v68, v85, v115, -v68
	v_add_f32_e32 v67, v67, v68
	s_waitcnt vmcnt(2) lgkmcnt(0)
	v_mul_f32_e32 v92, v87, v118
	v_fmac_f32_e32 v92, v88, v117
	v_add_f32_e32 v91, v91, v92
	s_waitcnt vmcnt(0)
	v_mul_f32_e32 v92, v89, v120
	v_fmac_f32_e32 v92, v90, v119
	v_add_f32_e32 v121, v91, v92
	ds_read_b128 v[91:94], v66 offset:496
	buffer_load_dword v66, off, s[0:3], 0 offset:240
	buffer_load_dword v122, off, s[0:3], 0 offset:244
	v_mul_f32_e32 v68, v88, v118
	v_fma_f32 v68, v87, v117, -v68
	v_add_f32_e32 v67, v67, v68
	v_mul_f32_e32 v68, v90, v120
	v_fma_f32 v68, v89, v119, -v68
	v_add_f32_e32 v67, v67, v68
	s_waitcnt vmcnt(0) lgkmcnt(0)
	v_mul_f32_e32 v123, v91, v122
	v_fmac_f32_e32 v123, v92, v66
	v_add_f32_e32 v121, v121, v123
	buffer_load_dword v123, off, s[0:3], 0 offset:248
	buffer_load_dword v124, off, s[0:3], 0 offset:252
	v_mul_f32_e32 v68, v92, v122
	v_fma_f32 v66, v91, v66, -v68
	v_add_f32_e32 v66, v67, v66
	s_waitcnt vmcnt(0)
	v_mul_f32_e32 v67, v94, v124
	v_mul_f32_e32 v125, v93, v124
	v_fma_f32 v67, v93, v123, -v67
	v_fmac_f32_e32 v125, v94, v123
	v_add_f32_e32 v66, v66, v67
	v_add_f32_e32 v121, v121, v125
	v_sub_f32_e32 v66, v95, v66
	v_sub_f32_e32 v67, v96, v121
	buffer_store_dword v66, off, s[0:3], 0 offset:136
	buffer_store_dword v67, off, s[0:3], 0 offset:140
	s_and_saveexec_b64 s[4:5], vcc
	s_cbranch_execz .LBB95_173
; %bb.172:
	buffer_load_dword v66, off, s[0:3], 0 offset:128
	buffer_load_dword v67, off, s[0:3], 0 offset:132
	v_mov_b32_e32 v68, 0
	buffer_store_dword v68, off, s[0:3], 0 offset:128
	buffer_store_dword v68, off, s[0:3], 0 offset:132
	s_waitcnt vmcnt(2)
	ds_write_b64 v65, v[66:67]
.LBB95_173:
	s_or_b64 exec, exec, s[4:5]
	s_waitcnt lgkmcnt(0)
	; wave barrier
	buffer_load_dword v97, off, s[0:3], 0 offset:140
	buffer_load_dword v98, off, s[0:3], 0 offset:148
	;; [unrolled: 1-line block ×32, first 2 shown]
	v_mov_b32_e32 v66, 0
	ds_read2_b64 v[67:70], v66 offset0:49 offset1:50
	ds_read2_b64 v[71:74], v66 offset0:51 offset1:52
	;; [unrolled: 1-line block ×7, first 2 shown]
	ds_read_b64 v[95:96], v66 offset:504
	v_cmp_lt_u32_e32 vcc, 15, v0
	s_waitcnt vmcnt(31) lgkmcnt(7)
	v_mul_f32_e32 v129, v67, v97
	v_mul_f32_e32 v97, v68, v97
	s_waitcnt vmcnt(30)
	v_mul_f32_e32 v130, v69, v98
	v_mul_f32_e32 v98, v70, v98
	s_waitcnt vmcnt(29) lgkmcnt(6)
	v_mul_f32_e32 v131, v71, v99
	v_mul_f32_e32 v99, v72, v99
	s_waitcnt vmcnt(28)
	v_mul_f32_e32 v132, v73, v100
	s_waitcnt vmcnt(27) lgkmcnt(5)
	v_mul_f32_e32 v133, v75, v101
	s_waitcnt vmcnt(26)
	v_mul_f32_e32 v134, v77, v102
	s_waitcnt vmcnt(25) lgkmcnt(4)
	;; [unrolled: 4-line block ×4, first 2 shown]
	v_mul_f32_e32 v139, v87, v107
	s_waitcnt vmcnt(20)
	v_mul_f32_e32 v140, v89, v108
	s_waitcnt vmcnt(16)
	v_fma_f32 v67, v67, v112, -v97
	v_fmac_f32_e32 v129, v68, v112
	s_waitcnt vmcnt(15)
	v_fma_f32 v68, v69, v113, -v98
	v_add_f32_e32 v67, 0, v67
	s_waitcnt vmcnt(14)
	v_fma_f32 v69, v71, v114, -v99
	v_add_f32_e32 v67, v67, v68
	v_add_f32_e32 v67, v67, v69
	v_mul_f32_e32 v69, v74, v100
	s_waitcnt vmcnt(13)
	v_fma_f32 v69, v73, v115, -v69
	v_add_f32_e32 v67, v67, v69
	v_mul_f32_e32 v69, v76, v101
	s_waitcnt vmcnt(12)
	v_fma_f32 v69, v75, v116, -v69
	;; [unrolled: 4-line block ×5, first 2 shown]
	v_add_f32_e32 v67, v67, v69
	v_mul_f32_e32 v69, v84, v105
	v_fmac_f32_e32 v130, v70, v113
	v_add_f32_e32 v70, 0, v129
	s_waitcnt vmcnt(8)
	v_fma_f32 v69, v83, v120, -v69
	v_fmac_f32_e32 v131, v72, v114
	v_add_f32_e32 v70, v70, v130
	v_add_f32_e32 v67, v67, v69
	v_mul_f32_e32 v69, v86, v106
	v_fmac_f32_e32 v132, v74, v115
	v_add_f32_e32 v68, v70, v131
	s_waitcnt vmcnt(7)
	v_fma_f32 v69, v85, v121, -v69
	v_fmac_f32_e32 v133, v76, v116
	v_add_f32_e32 v68, v68, v132
	;; [unrolled: 8-line block ×4, first 2 shown]
	v_add_f32_e32 v67, v67, v69
	s_waitcnt lgkmcnt(1)
	v_mul_f32_e32 v69, v92, v109
	v_fmac_f32_e32 v138, v86, v121
	v_add_f32_e32 v68, v68, v137
	s_waitcnt vmcnt(4)
	v_fma_f32 v69, v91, v124, -v69
	v_fmac_f32_e32 v139, v88, v122
	v_add_f32_e32 v68, v68, v138
	v_add_f32_e32 v67, v67, v69
	v_mul_f32_e32 v69, v94, v110
	v_mul_f32_e32 v141, v91, v109
	v_fmac_f32_e32 v140, v90, v123
	v_add_f32_e32 v68, v68, v139
	s_waitcnt vmcnt(3)
	v_fma_f32 v69, v93, v125, -v69
	v_mul_f32_e32 v142, v93, v110
	v_fmac_f32_e32 v141, v92, v124
	v_add_f32_e32 v68, v68, v140
	v_add_f32_e32 v67, v67, v69
	s_waitcnt lgkmcnt(0)
	v_mul_f32_e32 v69, v96, v111
	v_mul_f32_e32 v143, v95, v111
	v_fmac_f32_e32 v142, v94, v125
	v_add_f32_e32 v68, v68, v141
	s_waitcnt vmcnt(2)
	v_fma_f32 v69, v95, v126, -v69
	v_fmac_f32_e32 v143, v96, v126
	v_add_f32_e32 v68, v68, v142
	v_add_f32_e32 v67, v67, v69
	;; [unrolled: 1-line block ×3, first 2 shown]
	s_waitcnt vmcnt(1)
	v_sub_f32_e32 v67, v127, v67
	s_waitcnt vmcnt(0)
	v_sub_f32_e32 v68, v128, v68
	buffer_store_dword v67, off, s[0:3], 0 offset:128
	buffer_store_dword v68, off, s[0:3], 0 offset:132
	s_and_saveexec_b64 s[4:5], vcc
	s_cbranch_execz .LBB95_175
; %bb.174:
	buffer_load_dword v67, off, s[0:3], 0 offset:120
	buffer_load_dword v68, off, s[0:3], 0 offset:124
	s_waitcnt vmcnt(0)
	ds_write_b64 v65, v[67:68]
	buffer_store_dword v66, off, s[0:3], 0 offset:120
	buffer_store_dword v66, off, s[0:3], 0 offset:124
.LBB95_175:
	s_or_b64 exec, exec, s[4:5]
	s_waitcnt lgkmcnt(0)
	; wave barrier
	buffer_load_dword v99, off, s[0:3], 0 offset:132
	buffer_load_dword v100, off, s[0:3], 0 offset:140
	;; [unrolled: 1-line block ×34, first 2 shown]
	ds_read_b128 v[67:70], v66 offset:384
	ds_read_b128 v[71:74], v66 offset:400
	;; [unrolled: 1-line block ×8, first 2 shown]
	v_cmp_lt_u32_e32 vcc, 14, v0
	s_waitcnt vmcnt(33) lgkmcnt(7)
	v_mul_f32_e32 v66, v67, v99
	v_mul_f32_e32 v99, v68, v99
	s_waitcnt vmcnt(32)
	v_mul_f32_e32 v133, v69, v100
	v_mul_f32_e32 v100, v70, v100
	s_waitcnt vmcnt(31) lgkmcnt(6)
	v_mul_f32_e32 v134, v71, v101
	s_waitcnt vmcnt(30)
	v_mul_f32_e32 v135, v73, v102
	s_waitcnt vmcnt(29) lgkmcnt(5)
	v_mul_f32_e32 v136, v75, v103
	s_waitcnt vmcnt(28)
	;; [unrolled: 4-line block ×6, first 2 shown]
	v_mul_f32_e32 v145, v93, v112
	s_waitcnt vmcnt(17)
	v_fma_f32 v67, v67, v115, -v99
	v_fmac_f32_e32 v66, v68, v115
	s_waitcnt vmcnt(16)
	v_fma_f32 v68, v69, v116, -v100
	v_add_f32_e32 v67, 0, v67
	v_add_f32_e32 v67, v67, v68
	v_mul_f32_e32 v68, v72, v101
	s_waitcnt vmcnt(15)
	v_fma_f32 v68, v71, v117, -v68
	v_add_f32_e32 v67, v67, v68
	v_mul_f32_e32 v68, v74, v102
	s_waitcnt vmcnt(14)
	v_fma_f32 v68, v73, v118, -v68
	;; [unrolled: 4-line block ×7, first 2 shown]
	v_fmac_f32_e32 v133, v70, v116
	v_add_f32_e32 v66, 0, v66
	v_add_f32_e32 v67, v67, v68
	v_mul_f32_e32 v68, v86, v108
	v_fmac_f32_e32 v134, v72, v117
	v_add_f32_e32 v66, v66, v133
	s_waitcnt vmcnt(8)
	v_fma_f32 v68, v85, v124, -v68
	v_fmac_f32_e32 v135, v74, v118
	v_add_f32_e32 v66, v66, v134
	v_add_f32_e32 v67, v67, v68
	v_mul_f32_e32 v68, v88, v109
	v_fmac_f32_e32 v136, v76, v119
	v_add_f32_e32 v66, v66, v135
	s_waitcnt vmcnt(7)
	v_fma_f32 v68, v87, v125, -v68
	;; [unrolled: 8-line block ×5, first 2 shown]
	v_fmac_f32_e32 v143, v90, v126
	v_add_f32_e32 v66, v66, v142
	v_add_f32_e32 v67, v67, v68
	s_waitcnt lgkmcnt(0)
	v_mul_f32_e32 v68, v96, v113
	v_fmac_f32_e32 v144, v92, v127
	v_add_f32_e32 v66, v66, v143
	s_waitcnt vmcnt(3)
	v_fma_f32 v68, v95, v129, -v68
	v_mul_f32_e32 v146, v95, v113
	v_fmac_f32_e32 v145, v94, v128
	v_add_f32_e32 v66, v66, v144
	v_add_f32_e32 v67, v67, v68
	v_mul_f32_e32 v68, v98, v114
	v_mul_f32_e32 v147, v97, v114
	v_fmac_f32_e32 v146, v96, v129
	v_add_f32_e32 v66, v66, v145
	s_waitcnt vmcnt(2)
	v_fma_f32 v68, v97, v130, -v68
	v_fmac_f32_e32 v147, v98, v130
	v_add_f32_e32 v66, v66, v146
	v_add_f32_e32 v67, v67, v68
	;; [unrolled: 1-line block ×3, first 2 shown]
	s_waitcnt vmcnt(1)
	v_sub_f32_e32 v67, v131, v67
	s_waitcnt vmcnt(0)
	v_sub_f32_e32 v66, v132, v66
	buffer_store_dword v67, off, s[0:3], 0 offset:120
	buffer_store_dword v66, off, s[0:3], 0 offset:124
	s_and_saveexec_b64 s[4:5], vcc
	s_cbranch_execz .LBB95_177
; %bb.176:
	buffer_load_dword v66, off, s[0:3], 0 offset:112
	buffer_load_dword v67, off, s[0:3], 0 offset:116
	v_mov_b32_e32 v68, 0
	buffer_store_dword v68, off, s[0:3], 0 offset:112
	buffer_store_dword v68, off, s[0:3], 0 offset:116
	s_waitcnt vmcnt(2)
	ds_write_b64 v65, v[66:67]
.LBB95_177:
	s_or_b64 exec, exec, s[4:5]
	s_waitcnt lgkmcnt(0)
	; wave barrier
	buffer_load_dword v101, off, s[0:3], 0 offset:124
	buffer_load_dword v102, off, s[0:3], 0 offset:132
	;; [unrolled: 1-line block ×36, first 2 shown]
	v_mov_b32_e32 v66, 0
	ds_read2_b64 v[67:70], v66 offset0:47 offset1:48
	ds_read2_b64 v[71:74], v66 offset0:49 offset1:50
	;; [unrolled: 1-line block ×8, first 2 shown]
	ds_read_b64 v[99:100], v66 offset:504
	v_cmp_lt_u32_e32 vcc, 13, v0
	s_waitcnt vmcnt(35) lgkmcnt(8)
	v_mul_f32_e32 v137, v67, v101
	s_waitcnt vmcnt(34)
	v_mul_f32_e32 v138, v69, v102
	s_waitcnt vmcnt(33) lgkmcnt(7)
	v_mul_f32_e32 v139, v71, v103
	s_waitcnt vmcnt(32)
	v_mul_f32_e32 v140, v73, v104
	s_waitcnt vmcnt(31) lgkmcnt(6)
	v_mul_f32_e32 v141, v75, v105
	s_waitcnt vmcnt(30)
	v_mul_f32_e32 v142, v77, v106
	s_waitcnt vmcnt(29) lgkmcnt(5)
	v_mul_f32_e32 v143, v79, v107
	s_waitcnt vmcnt(28)
	v_mul_f32_e32 v144, v81, v108
	s_waitcnt vmcnt(27) lgkmcnt(4)
	v_mul_f32_e32 v145, v83, v109
	s_waitcnt vmcnt(26)
	v_mul_f32_e32 v146, v85, v110
	s_waitcnt vmcnt(25) lgkmcnt(3)
	v_mul_f32_e32 v147, v87, v111
	s_waitcnt vmcnt(24)
	v_mul_f32_e32 v148, v89, v112
	s_waitcnt vmcnt(23) lgkmcnt(2)
	v_mul_f32_e32 v149, v91, v113
	s_waitcnt vmcnt(22)
	v_mul_f32_e32 v150, v93, v114
	s_waitcnt vmcnt(21) lgkmcnt(1)
	v_mul_f32_e32 v151, v95, v115
	s_waitcnt vmcnt(20)
	v_mul_f32_e32 v152, v97, v116
	s_waitcnt vmcnt(19) lgkmcnt(0)
	v_mul_f32_e32 v153, v99, v117
	s_waitcnt vmcnt(18)
	v_fmac_f32_e32 v137, v68, v118
	v_mul_f32_e32 v68, v68, v101
	v_fma_f32 v67, v67, v118, -v68
	v_mul_f32_e32 v68, v70, v102
	v_add_f32_e32 v67, 0, v67
	s_waitcnt vmcnt(17)
	v_fma_f32 v68, v69, v119, -v68
	v_add_f32_e32 v67, v67, v68
	v_mul_f32_e32 v68, v72, v103
	s_waitcnt vmcnt(16)
	v_fma_f32 v68, v71, v120, -v68
	v_add_f32_e32 v67, v67, v68
	v_mul_f32_e32 v68, v74, v104
	;; [unrolled: 4-line block ×8, first 2 shown]
	v_fmac_f32_e32 v138, v70, v119
	v_add_f32_e32 v137, 0, v137
	s_waitcnt vmcnt(9)
	v_fma_f32 v68, v85, v127, -v68
	v_fmac_f32_e32 v139, v72, v120
	v_add_f32_e32 v137, v137, v138
	v_add_f32_e32 v67, v67, v68
	v_mul_f32_e32 v68, v88, v111
	v_fmac_f32_e32 v140, v74, v121
	v_add_f32_e32 v137, v137, v139
	s_waitcnt vmcnt(8)
	v_fma_f32 v68, v87, v128, -v68
	v_fmac_f32_e32 v141, v76, v122
	v_add_f32_e32 v137, v137, v140
	v_add_f32_e32 v67, v67, v68
	v_mul_f32_e32 v68, v90, v112
	;; [unrolled: 8-line block ×7, first 2 shown]
	v_fmac_f32_e32 v152, v98, v133
	v_add_f32_e32 v137, v137, v151
	s_waitcnt vmcnt(2)
	v_fma_f32 v68, v99, v134, -v68
	v_fmac_f32_e32 v153, v100, v134
	v_add_f32_e32 v137, v137, v152
	v_add_f32_e32 v67, v67, v68
	;; [unrolled: 1-line block ×3, first 2 shown]
	s_waitcnt vmcnt(1)
	v_sub_f32_e32 v67, v135, v67
	s_waitcnt vmcnt(0)
	v_sub_f32_e32 v68, v136, v137
	buffer_store_dword v67, off, s[0:3], 0 offset:112
	buffer_store_dword v68, off, s[0:3], 0 offset:116
	s_and_saveexec_b64 s[4:5], vcc
	s_cbranch_execz .LBB95_179
; %bb.178:
	buffer_load_dword v67, off, s[0:3], 0 offset:104
	buffer_load_dword v68, off, s[0:3], 0 offset:108
	s_waitcnt vmcnt(0)
	ds_write_b64 v65, v[67:68]
	buffer_store_dword v66, off, s[0:3], 0 offset:104
	buffer_store_dword v66, off, s[0:3], 0 offset:108
.LBB95_179:
	s_or_b64 exec, exec, s[4:5]
	s_waitcnt lgkmcnt(0)
	; wave barrier
	buffer_load_dword v103, off, s[0:3], 0 offset:116
	buffer_load_dword v104, off, s[0:3], 0 offset:124
	;; [unrolled: 1-line block ×38, first 2 shown]
	ds_read_b128 v[67:70], v66 offset:368
	ds_read_b128 v[71:74], v66 offset:384
	;; [unrolled: 1-line block ×9, first 2 shown]
	v_cmp_lt_u32_e32 vcc, 12, v0
	s_waitcnt vmcnt(37) lgkmcnt(8)
	v_mul_f32_e32 v66, v67, v103
	s_waitcnt vmcnt(36)
	v_mul_f32_e32 v141, v69, v104
	s_waitcnt vmcnt(35) lgkmcnt(7)
	v_mul_f32_e32 v142, v71, v105
	s_waitcnt vmcnt(34)
	v_mul_f32_e32 v143, v73, v106
	s_waitcnt vmcnt(33) lgkmcnt(6)
	v_mul_f32_e32 v144, v75, v107
	s_waitcnt vmcnt(32)
	v_mul_f32_e32 v145, v77, v108
	s_waitcnt vmcnt(31) lgkmcnt(5)
	v_mul_f32_e32 v146, v79, v109
	s_waitcnt vmcnt(30)
	v_mul_f32_e32 v147, v81, v110
	s_waitcnt vmcnt(29) lgkmcnt(4)
	v_mul_f32_e32 v148, v83, v111
	s_waitcnt vmcnt(28)
	v_mul_f32_e32 v149, v85, v112
	s_waitcnt vmcnt(27) lgkmcnt(3)
	v_mul_f32_e32 v150, v87, v113
	s_waitcnt vmcnt(26)
	v_mul_f32_e32 v151, v89, v114
	s_waitcnt vmcnt(25) lgkmcnt(2)
	v_mul_f32_e32 v152, v91, v115
	s_waitcnt vmcnt(24)
	v_mul_f32_e32 v153, v93, v116
	s_waitcnt vmcnt(23) lgkmcnt(1)
	v_mul_f32_e32 v154, v95, v117
	s_waitcnt vmcnt(22)
	v_mul_f32_e32 v155, v97, v118
	s_waitcnt vmcnt(21) lgkmcnt(0)
	v_mul_f32_e32 v156, v99, v119
	s_waitcnt vmcnt(20)
	v_fmac_f32_e32 v66, v68, v120
	v_mul_f32_e32 v68, v68, v103
	v_fma_f32 v67, v67, v120, -v68
	v_mul_f32_e32 v68, v70, v104
	v_add_f32_e32 v67, 0, v67
	s_waitcnt vmcnt(19)
	v_fma_f32 v68, v69, v121, -v68
	v_add_f32_e32 v67, v67, v68
	v_mul_f32_e32 v68, v72, v105
	s_waitcnt vmcnt(18)
	v_fma_f32 v68, v71, v122, -v68
	v_add_f32_e32 v67, v67, v68
	v_mul_f32_e32 v68, v74, v106
	;; [unrolled: 4-line block ×8, first 2 shown]
	s_waitcnt vmcnt(11)
	v_fma_f32 v68, v85, v129, -v68
	v_fmac_f32_e32 v141, v70, v121
	v_add_f32_e32 v66, 0, v66
	v_add_f32_e32 v67, v67, v68
	v_mul_f32_e32 v68, v88, v113
	v_fmac_f32_e32 v142, v72, v122
	v_add_f32_e32 v66, v66, v141
	s_waitcnt vmcnt(10)
	v_fma_f32 v68, v87, v130, -v68
	v_fmac_f32_e32 v143, v74, v123
	v_add_f32_e32 v66, v66, v142
	v_add_f32_e32 v67, v67, v68
	v_mul_f32_e32 v68, v90, v114
	v_fmac_f32_e32 v144, v76, v124
	v_add_f32_e32 v66, v66, v143
	;; [unrolled: 8-line block ×7, first 2 shown]
	s_waitcnt vmcnt(4)
	v_fma_f32 v68, v99, v136, -v68
	v_fmac_f32_e32 v155, v98, v135
	v_add_f32_e32 v66, v66, v154
	v_add_f32_e32 v67, v67, v68
	s_waitcnt vmcnt(3)
	v_mul_f32_e32 v68, v102, v137
	v_add_f32_e32 v66, v66, v155
	v_fmac_f32_e32 v156, v100, v136
	v_mul_f32_e32 v141, v101, v137
	s_waitcnt vmcnt(2)
	v_fma_f32 v68, v101, v138, -v68
	v_add_f32_e32 v66, v66, v156
	v_fmac_f32_e32 v141, v102, v138
	v_add_f32_e32 v67, v67, v68
	v_add_f32_e32 v66, v66, v141
	s_waitcnt vmcnt(1)
	v_sub_f32_e32 v67, v139, v67
	s_waitcnt vmcnt(0)
	v_sub_f32_e32 v66, v140, v66
	buffer_store_dword v67, off, s[0:3], 0 offset:104
	buffer_store_dword v66, off, s[0:3], 0 offset:108
	s_and_saveexec_b64 s[4:5], vcc
	s_cbranch_execz .LBB95_181
; %bb.180:
	buffer_load_dword v66, off, s[0:3], 0 offset:96
	buffer_load_dword v67, off, s[0:3], 0 offset:100
	v_mov_b32_e32 v68, 0
	buffer_store_dword v68, off, s[0:3], 0 offset:96
	buffer_store_dword v68, off, s[0:3], 0 offset:100
	s_waitcnt vmcnt(2)
	ds_write_b64 v65, v[66:67]
.LBB95_181:
	s_or_b64 exec, exec, s[4:5]
	s_waitcnt lgkmcnt(0)
	; wave barrier
	buffer_load_dword v105, off, s[0:3], 0 offset:108
	buffer_load_dword v106, off, s[0:3], 0 offset:116
	buffer_load_dword v107, off, s[0:3], 0 offset:124
	buffer_load_dword v108, off, s[0:3], 0 offset:132
	buffer_load_dword v109, off, s[0:3], 0 offset:140
	buffer_load_dword v110, off, s[0:3], 0 offset:148
	buffer_load_dword v111, off, s[0:3], 0 offset:156
	buffer_load_dword v112, off, s[0:3], 0 offset:164
	buffer_load_dword v113, off, s[0:3], 0 offset:172
	buffer_load_dword v114, off, s[0:3], 0 offset:180
	buffer_load_dword v115, off, s[0:3], 0 offset:188
	buffer_load_dword v116, off, s[0:3], 0 offset:196
	buffer_load_dword v117, off, s[0:3], 0 offset:204
	buffer_load_dword v118, off, s[0:3], 0 offset:212
	buffer_load_dword v119, off, s[0:3], 0 offset:220
	buffer_load_dword v120, off, s[0:3], 0 offset:104
	buffer_load_dword v121, off, s[0:3], 0 offset:112
	buffer_load_dword v122, off, s[0:3], 0 offset:120
	buffer_load_dword v123, off, s[0:3], 0 offset:128
	buffer_load_dword v124, off, s[0:3], 0 offset:136
	buffer_load_dword v125, off, s[0:3], 0 offset:144
	buffer_load_dword v126, off, s[0:3], 0 offset:152
	buffer_load_dword v127, off, s[0:3], 0 offset:160
	buffer_load_dword v128, off, s[0:3], 0 offset:168
	buffer_load_dword v129, off, s[0:3], 0 offset:176
	buffer_load_dword v130, off, s[0:3], 0 offset:184
	buffer_load_dword v131, off, s[0:3], 0 offset:192
	buffer_load_dword v132, off, s[0:3], 0 offset:200
	buffer_load_dword v133, off, s[0:3], 0 offset:208
	buffer_load_dword v134, off, s[0:3], 0 offset:216
	buffer_load_dword v135, off, s[0:3], 0 offset:228
	buffer_load_dword v136, off, s[0:3], 0 offset:224
	buffer_load_dword v137, off, s[0:3], 0 offset:236
	buffer_load_dword v138, off, s[0:3], 0 offset:232
	buffer_load_dword v139, off, s[0:3], 0 offset:244
	buffer_load_dword v140, off, s[0:3], 0 offset:240
	buffer_load_dword v141, off, s[0:3], 0 offset:252
	buffer_load_dword v142, off, s[0:3], 0 offset:248
	buffer_load_dword v143, off, s[0:3], 0 offset:96
	buffer_load_dword v144, off, s[0:3], 0 offset:100
	v_mov_b32_e32 v66, 0
	ds_read2_b64 v[67:70], v66 offset0:45 offset1:46
	ds_read2_b64 v[71:74], v66 offset0:47 offset1:48
	;; [unrolled: 1-line block ×9, first 2 shown]
	v_cmp_lt_u32_e32 vcc, 11, v0
	s_waitcnt vmcnt(39) lgkmcnt(8)
	v_mul_f32_e32 v103, v67, v105
	s_waitcnt vmcnt(38)
	v_mul_f32_e32 v104, v69, v106
	s_waitcnt vmcnt(37) lgkmcnt(7)
	v_mul_f32_e32 v145, v71, v107
	s_waitcnt vmcnt(36)
	v_mul_f32_e32 v146, v73, v108
	;; [unrolled: 4-line block ×7, first 2 shown]
	s_waitcnt vmcnt(25) lgkmcnt(1)
	v_mul_f32_e32 v157, v95, v119
	s_waitcnt vmcnt(24)
	v_fmac_f32_e32 v103, v68, v120
	v_mul_f32_e32 v68, v68, v105
	v_fma_f32 v67, v67, v120, -v68
	v_mul_f32_e32 v68, v70, v106
	v_add_f32_e32 v67, 0, v67
	s_waitcnt vmcnt(23)
	v_fma_f32 v68, v69, v121, -v68
	v_add_f32_e32 v67, v67, v68
	v_mul_f32_e32 v68, v72, v107
	s_waitcnt vmcnt(22)
	v_fma_f32 v68, v71, v122, -v68
	v_add_f32_e32 v67, v67, v68
	v_mul_f32_e32 v68, v74, v108
	;; [unrolled: 4-line block ×6, first 2 shown]
	s_waitcnt vmcnt(17)
	v_fma_f32 v68, v81, v127, -v68
	v_fmac_f32_e32 v104, v70, v121
	v_add_f32_e32 v103, 0, v103
	v_add_f32_e32 v67, v67, v68
	v_mul_f32_e32 v68, v84, v113
	v_fmac_f32_e32 v145, v72, v122
	v_add_f32_e32 v103, v103, v104
	s_waitcnt vmcnt(16)
	v_fma_f32 v68, v83, v128, -v68
	v_fmac_f32_e32 v146, v74, v123
	v_add_f32_e32 v103, v103, v145
	v_add_f32_e32 v67, v67, v68
	v_mul_f32_e32 v68, v86, v114
	v_fmac_f32_e32 v147, v76, v124
	v_add_f32_e32 v103, v103, v146
	;; [unrolled: 8-line block ×6, first 2 shown]
	s_waitcnt vmcnt(11)
	v_fma_f32 v68, v93, v133, -v68
	v_fmac_f32_e32 v156, v94, v133
	v_add_f32_e32 v103, v103, v155
	v_add_f32_e32 v67, v67, v68
	v_mul_f32_e32 v68, v96, v119
	s_waitcnt vmcnt(10)
	v_fmac_f32_e32 v157, v96, v134
	v_add_f32_e32 v103, v103, v156
	s_waitcnt vmcnt(9)
	v_mul_f32_e32 v104, v97, v135
	v_fma_f32 v68, v95, v134, -v68
	v_add_f32_e32 v103, v103, v157
	s_waitcnt vmcnt(8)
	v_fmac_f32_e32 v104, v98, v136
	v_add_f32_e32 v67, v67, v68
	v_mul_f32_e32 v68, v98, v135
	v_add_f32_e32 v145, v103, v104
	ds_read_b64 v[103:104], v66 offset:504
	v_fma_f32 v68, v97, v136, -v68
	v_add_f32_e32 v67, v67, v68
	s_waitcnt vmcnt(7) lgkmcnt(1)
	v_mul_f32_e32 v68, v100, v137
	v_mul_f32_e32 v146, v99, v137
	s_waitcnt vmcnt(6)
	v_fma_f32 v68, v99, v138, -v68
	v_fmac_f32_e32 v146, v100, v138
	v_add_f32_e32 v67, v67, v68
	s_waitcnt vmcnt(5)
	v_mul_f32_e32 v68, v102, v139
	v_add_f32_e32 v145, v145, v146
	v_mul_f32_e32 v146, v101, v139
	s_waitcnt vmcnt(4)
	v_fma_f32 v68, v101, v140, -v68
	v_fmac_f32_e32 v146, v102, v140
	v_add_f32_e32 v67, v67, v68
	s_waitcnt vmcnt(3) lgkmcnt(0)
	v_mul_f32_e32 v68, v104, v141
	v_add_f32_e32 v145, v145, v146
	v_mul_f32_e32 v146, v103, v141
	s_waitcnt vmcnt(2)
	v_fma_f32 v68, v103, v142, -v68
	v_fmac_f32_e32 v146, v104, v142
	v_add_f32_e32 v67, v67, v68
	v_add_f32_e32 v145, v145, v146
	s_waitcnt vmcnt(1)
	v_sub_f32_e32 v67, v143, v67
	s_waitcnt vmcnt(0)
	v_sub_f32_e32 v68, v144, v145
	buffer_store_dword v67, off, s[0:3], 0 offset:96
	buffer_store_dword v68, off, s[0:3], 0 offset:100
	s_and_saveexec_b64 s[4:5], vcc
	s_cbranch_execz .LBB95_183
; %bb.182:
	buffer_load_dword v67, off, s[0:3], 0 offset:88
	buffer_load_dword v68, off, s[0:3], 0 offset:92
	s_waitcnt vmcnt(0)
	ds_write_b64 v65, v[67:68]
	buffer_store_dword v66, off, s[0:3], 0 offset:88
	buffer_store_dword v66, off, s[0:3], 0 offset:92
.LBB95_183:
	s_or_b64 exec, exec, s[4:5]
	s_waitcnt lgkmcnt(0)
	; wave barrier
	buffer_load_dword v107, off, s[0:3], 0 offset:100
	buffer_load_dword v108, off, s[0:3], 0 offset:108
	buffer_load_dword v109, off, s[0:3], 0 offset:116
	buffer_load_dword v110, off, s[0:3], 0 offset:124
	buffer_load_dword v111, off, s[0:3], 0 offset:132
	buffer_load_dword v112, off, s[0:3], 0 offset:140
	buffer_load_dword v113, off, s[0:3], 0 offset:148
	buffer_load_dword v114, off, s[0:3], 0 offset:156
	buffer_load_dword v115, off, s[0:3], 0 offset:164
	buffer_load_dword v116, off, s[0:3], 0 offset:172
	buffer_load_dword v117, off, s[0:3], 0 offset:180
	buffer_load_dword v118, off, s[0:3], 0 offset:188
	buffer_load_dword v119, off, s[0:3], 0 offset:196
	buffer_load_dword v120, off, s[0:3], 0 offset:204
	buffer_load_dword v121, off, s[0:3], 0 offset:212
	buffer_load_dword v122, off, s[0:3], 0 offset:96
	buffer_load_dword v123, off, s[0:3], 0 offset:104
	buffer_load_dword v124, off, s[0:3], 0 offset:112
	buffer_load_dword v125, off, s[0:3], 0 offset:120
	buffer_load_dword v126, off, s[0:3], 0 offset:128
	buffer_load_dword v127, off, s[0:3], 0 offset:136
	buffer_load_dword v128, off, s[0:3], 0 offset:144
	buffer_load_dword v129, off, s[0:3], 0 offset:152
	buffer_load_dword v130, off, s[0:3], 0 offset:160
	buffer_load_dword v131, off, s[0:3], 0 offset:168
	buffer_load_dword v132, off, s[0:3], 0 offset:176
	buffer_load_dword v133, off, s[0:3], 0 offset:184
	buffer_load_dword v134, off, s[0:3], 0 offset:192
	buffer_load_dword v135, off, s[0:3], 0 offset:200
	buffer_load_dword v136, off, s[0:3], 0 offset:208
	buffer_load_dword v137, off, s[0:3], 0 offset:220
	buffer_load_dword v138, off, s[0:3], 0 offset:216
	buffer_load_dword v139, off, s[0:3], 0 offset:228
	buffer_load_dword v140, off, s[0:3], 0 offset:224
	buffer_load_dword v141, off, s[0:3], 0 offset:236
	buffer_load_dword v142, off, s[0:3], 0 offset:232
	buffer_load_dword v143, off, s[0:3], 0 offset:244
	buffer_load_dword v144, off, s[0:3], 0 offset:240
	buffer_load_dword v145, off, s[0:3], 0 offset:252
	buffer_load_dword v146, off, s[0:3], 0 offset:248
	buffer_load_dword v147, off, s[0:3], 0 offset:88
	buffer_load_dword v148, off, s[0:3], 0 offset:92
	ds_read_b128 v[67:70], v66 offset:352
	ds_read_b128 v[71:74], v66 offset:368
	;; [unrolled: 1-line block ×8, first 2 shown]
	v_cmp_lt_u32_e32 vcc, 10, v0
	s_waitcnt vmcnt(41) lgkmcnt(7)
	v_mul_f32_e32 v99, v67, v107
	s_waitcnt vmcnt(40)
	v_mul_f32_e32 v100, v69, v108
	s_waitcnt vmcnt(39) lgkmcnt(6)
	v_mul_f32_e32 v101, v71, v109
	s_waitcnt vmcnt(38)
	v_mul_f32_e32 v102, v73, v110
	;; [unrolled: 4-line block ×7, first 2 shown]
	s_waitcnt vmcnt(27) lgkmcnt(0)
	v_mul_f32_e32 v155, v95, v121
	s_waitcnt vmcnt(26)
	v_fmac_f32_e32 v99, v68, v122
	v_mul_f32_e32 v68, v68, v107
	v_fma_f32 v67, v67, v122, -v68
	v_mul_f32_e32 v68, v70, v108
	v_add_f32_e32 v67, 0, v67
	s_waitcnt vmcnt(25)
	v_fma_f32 v68, v69, v123, -v68
	v_add_f32_e32 v67, v67, v68
	v_mul_f32_e32 v68, v72, v109
	s_waitcnt vmcnt(24)
	v_fma_f32 v68, v71, v124, -v68
	v_add_f32_e32 v67, v67, v68
	v_mul_f32_e32 v68, v74, v110
	;; [unrolled: 4-line block ×5, first 2 shown]
	v_fmac_f32_e32 v100, v70, v123
	v_add_f32_e32 v99, 0, v99
	s_waitcnt vmcnt(20)
	v_fma_f32 v68, v79, v128, -v68
	v_fmac_f32_e32 v101, v72, v124
	v_add_f32_e32 v99, v99, v100
	v_add_f32_e32 v67, v67, v68
	v_mul_f32_e32 v68, v82, v114
	v_fmac_f32_e32 v102, v74, v125
	v_add_f32_e32 v99, v99, v101
	s_waitcnt vmcnt(19)
	v_fma_f32 v68, v81, v129, -v68
	v_fmac_f32_e32 v103, v76, v126
	v_add_f32_e32 v99, v99, v102
	v_add_f32_e32 v67, v67, v68
	v_mul_f32_e32 v68, v84, v115
	;; [unrolled: 8-line block ×5, first 2 shown]
	s_waitcnt vmcnt(15)
	v_fmac_f32_e32 v152, v90, v133
	v_add_f32_e32 v99, v99, v151
	v_fma_f32 v68, v89, v133, -v68
	s_waitcnt vmcnt(14)
	v_fmac_f32_e32 v153, v92, v134
	v_add_f32_e32 v99, v99, v152
	v_add_f32_e32 v67, v67, v68
	v_mul_f32_e32 v68, v92, v119
	s_waitcnt vmcnt(13)
	v_fmac_f32_e32 v154, v94, v135
	v_add_f32_e32 v99, v99, v153
	v_fma_f32 v68, v91, v134, -v68
	s_waitcnt vmcnt(12)
	v_fmac_f32_e32 v155, v96, v136
	v_add_f32_e32 v99, v99, v154
	v_add_f32_e32 v67, v67, v68
	v_mul_f32_e32 v68, v94, v120
	v_add_f32_e32 v103, v99, v155
	ds_read_b128 v[99:102], v66 offset:480
	v_fma_f32 v68, v93, v135, -v68
	v_add_f32_e32 v67, v67, v68
	v_mul_f32_e32 v68, v96, v121
	s_waitcnt vmcnt(11)
	v_mul_f32_e32 v104, v97, v137
	v_fma_f32 v68, v95, v136, -v68
	s_waitcnt vmcnt(10)
	v_fmac_f32_e32 v104, v98, v138
	v_add_f32_e32 v67, v67, v68
	v_mul_f32_e32 v68, v98, v137
	v_add_f32_e32 v149, v103, v104
	ds_read_b128 v[103:106], v66 offset:496
	v_fma_f32 v68, v97, v138, -v68
	v_add_f32_e32 v67, v67, v68
	s_waitcnt vmcnt(9) lgkmcnt(1)
	v_mul_f32_e32 v68, v100, v139
	v_mul_f32_e32 v66, v99, v139
	s_waitcnt vmcnt(8)
	v_fma_f32 v68, v99, v140, -v68
	v_fmac_f32_e32 v66, v100, v140
	v_add_f32_e32 v67, v67, v68
	s_waitcnt vmcnt(7)
	v_mul_f32_e32 v68, v102, v141
	v_add_f32_e32 v66, v149, v66
	v_mul_f32_e32 v149, v101, v141
	s_waitcnt vmcnt(6)
	v_fma_f32 v68, v101, v142, -v68
	v_fmac_f32_e32 v149, v102, v142
	v_add_f32_e32 v67, v67, v68
	s_waitcnt vmcnt(5) lgkmcnt(0)
	v_mul_f32_e32 v68, v104, v143
	v_add_f32_e32 v66, v66, v149
	v_mul_f32_e32 v149, v103, v143
	s_waitcnt vmcnt(4)
	v_fma_f32 v68, v103, v144, -v68
	v_fmac_f32_e32 v149, v104, v144
	v_add_f32_e32 v67, v67, v68
	s_waitcnt vmcnt(3)
	v_mul_f32_e32 v68, v106, v145
	v_add_f32_e32 v66, v66, v149
	v_mul_f32_e32 v149, v105, v145
	s_waitcnt vmcnt(2)
	v_fma_f32 v68, v105, v146, -v68
	v_fmac_f32_e32 v149, v106, v146
	v_add_f32_e32 v67, v67, v68
	v_add_f32_e32 v66, v66, v149
	s_waitcnt vmcnt(1)
	v_sub_f32_e32 v67, v147, v67
	s_waitcnt vmcnt(0)
	v_sub_f32_e32 v66, v148, v66
	buffer_store_dword v67, off, s[0:3], 0 offset:88
	buffer_store_dword v66, off, s[0:3], 0 offset:92
	s_and_saveexec_b64 s[4:5], vcc
	s_cbranch_execz .LBB95_185
; %bb.184:
	buffer_load_dword v66, off, s[0:3], 0 offset:80
	buffer_load_dword v67, off, s[0:3], 0 offset:84
	v_mov_b32_e32 v68, 0
	buffer_store_dword v68, off, s[0:3], 0 offset:80
	buffer_store_dword v68, off, s[0:3], 0 offset:84
	s_waitcnt vmcnt(2)
	ds_write_b64 v65, v[66:67]
.LBB95_185:
	s_or_b64 exec, exec, s[4:5]
	s_waitcnt lgkmcnt(0)
	; wave barrier
	buffer_load_dword v109, off, s[0:3], 0 offset:92
	buffer_load_dword v110, off, s[0:3], 0 offset:100
	;; [unrolled: 1-line block ×44, first 2 shown]
	v_mov_b32_e32 v66, 0
	ds_read2_b64 v[67:70], v66 offset0:43 offset1:44
	ds_read2_b64 v[71:74], v66 offset0:45 offset1:46
	;; [unrolled: 1-line block ×8, first 2 shown]
	v_cmp_lt_u32_e32 vcc, 9, v0
	s_waitcnt vmcnt(43) lgkmcnt(7)
	v_mul_f32_e32 v99, v67, v109
	s_waitcnt vmcnt(42)
	v_mul_f32_e32 v100, v69, v110
	s_waitcnt vmcnt(41) lgkmcnt(6)
	v_mul_f32_e32 v101, v71, v111
	s_waitcnt vmcnt(40)
	v_mul_f32_e32 v102, v73, v112
	;; [unrolled: 4-line block ×7, first 2 shown]
	s_waitcnt vmcnt(29)
	v_fmac_f32_e32 v99, v68, v123
	v_mul_f32_e32 v68, v68, v109
	v_fma_f32 v67, v67, v123, -v68
	v_mul_f32_e32 v68, v70, v110
	v_add_f32_e32 v67, 0, v67
	s_waitcnt vmcnt(28)
	v_fma_f32 v68, v69, v124, -v68
	v_add_f32_e32 v67, v67, v68
	v_mul_f32_e32 v68, v72, v111
	s_waitcnt vmcnt(27)
	v_fma_f32 v68, v71, v125, -v68
	v_add_f32_e32 v67, v67, v68
	v_mul_f32_e32 v68, v74, v112
	;; [unrolled: 4-line block ×4, first 2 shown]
	s_waitcnt vmcnt(24)
	v_fma_f32 v68, v77, v128, -v68
	v_fmac_f32_e32 v100, v70, v124
	v_add_f32_e32 v99, 0, v99
	v_add_f32_e32 v67, v67, v68
	v_mul_f32_e32 v68, v80, v115
	v_fmac_f32_e32 v101, v72, v125
	v_add_f32_e32 v99, v99, v100
	s_waitcnt vmcnt(23)
	v_fma_f32 v68, v79, v129, -v68
	v_fmac_f32_e32 v102, v74, v126
	v_add_f32_e32 v99, v99, v101
	v_add_f32_e32 v67, v67, v68
	v_mul_f32_e32 v68, v82, v116
	v_fmac_f32_e32 v103, v76, v127
	v_add_f32_e32 v99, v99, v102
	;; [unrolled: 8-line block ×4, first 2 shown]
	s_waitcnt vmcnt(20)
	v_fma_f32 v68, v85, v132, -v68
	v_fmac_f32_e32 v108, v86, v132
	v_add_f32_e32 v99, v99, v107
	v_add_f32_e32 v67, v67, v68
	v_mul_f32_e32 v68, v88, v119
	s_waitcnt vmcnt(19)
	v_fmac_f32_e32 v153, v88, v133
	v_add_f32_e32 v99, v99, v108
	v_fma_f32 v68, v87, v133, -v68
	s_waitcnt vmcnt(18)
	v_fmac_f32_e32 v154, v90, v134
	v_add_f32_e32 v99, v99, v153
	v_add_f32_e32 v67, v67, v68
	v_mul_f32_e32 v68, v90, v120
	s_waitcnt vmcnt(17)
	v_fmac_f32_e32 v155, v92, v135
	v_add_f32_e32 v99, v99, v154
	v_fma_f32 v68, v89, v134, -v68
	v_add_f32_e32 v99, v99, v155
	s_waitcnt vmcnt(16)
	v_fmac_f32_e32 v156, v94, v136
	s_waitcnt vmcnt(15) lgkmcnt(0)
	v_mul_f32_e32 v100, v95, v137
	v_add_f32_e32 v67, v67, v68
	v_mul_f32_e32 v68, v92, v121
	v_add_f32_e32 v99, v99, v156
	s_waitcnt vmcnt(14)
	v_fmac_f32_e32 v100, v96, v138
	v_fma_f32 v68, v91, v135, -v68
	v_add_f32_e32 v103, v99, v100
	ds_read2_b64 v[99:102], v66 offset0:59 offset1:60
	v_add_f32_e32 v67, v67, v68
	v_mul_f32_e32 v68, v94, v122
	v_fma_f32 v68, v93, v136, -v68
	v_add_f32_e32 v67, v67, v68
	v_mul_f32_e32 v68, v96, v137
	s_waitcnt vmcnt(13)
	v_mul_f32_e32 v104, v97, v139
	v_fma_f32 v68, v95, v138, -v68
	s_waitcnt vmcnt(12)
	v_fmac_f32_e32 v104, v98, v140
	v_add_f32_e32 v67, v67, v68
	v_mul_f32_e32 v68, v98, v139
	v_add_f32_e32 v107, v103, v104
	ds_read2_b64 v[103:106], v66 offset0:61 offset1:62
	s_waitcnt vmcnt(11) lgkmcnt(1)
	v_mul_f32_e32 v108, v99, v141
	v_fma_f32 v68, v97, v140, -v68
	s_waitcnt vmcnt(10)
	v_fmac_f32_e32 v108, v100, v142
	v_add_f32_e32 v67, v67, v68
	v_mul_f32_e32 v68, v100, v141
	v_add_f32_e32 v107, v107, v108
	s_waitcnt vmcnt(9)
	v_mul_f32_e32 v108, v101, v143
	v_fma_f32 v68, v99, v142, -v68
	s_waitcnt vmcnt(8)
	v_fmac_f32_e32 v108, v102, v144
	v_add_f32_e32 v67, v67, v68
	v_mul_f32_e32 v68, v102, v143
	v_add_f32_e32 v153, v107, v108
	ds_read_b64 v[107:108], v66 offset:504
	v_fma_f32 v68, v101, v144, -v68
	v_add_f32_e32 v67, v67, v68
	s_waitcnt vmcnt(7) lgkmcnt(1)
	v_mul_f32_e32 v68, v104, v145
	v_mul_f32_e32 v154, v103, v145
	s_waitcnt vmcnt(6)
	v_fma_f32 v68, v103, v146, -v68
	v_fmac_f32_e32 v154, v104, v146
	v_add_f32_e32 v67, v67, v68
	s_waitcnt vmcnt(5)
	v_mul_f32_e32 v68, v106, v147
	v_add_f32_e32 v153, v153, v154
	v_mul_f32_e32 v154, v105, v147
	s_waitcnt vmcnt(4)
	v_fma_f32 v68, v105, v148, -v68
	v_fmac_f32_e32 v154, v106, v148
	v_add_f32_e32 v67, v67, v68
	s_waitcnt vmcnt(3) lgkmcnt(0)
	v_mul_f32_e32 v68, v108, v149
	v_add_f32_e32 v153, v153, v154
	v_mul_f32_e32 v154, v107, v149
	s_waitcnt vmcnt(2)
	v_fma_f32 v68, v107, v150, -v68
	v_fmac_f32_e32 v154, v108, v150
	v_add_f32_e32 v67, v67, v68
	v_add_f32_e32 v153, v153, v154
	s_waitcnt vmcnt(1)
	v_sub_f32_e32 v67, v151, v67
	s_waitcnt vmcnt(0)
	v_sub_f32_e32 v68, v152, v153
	buffer_store_dword v67, off, s[0:3], 0 offset:80
	buffer_store_dword v68, off, s[0:3], 0 offset:84
	s_and_saveexec_b64 s[4:5], vcc
	s_cbranch_execz .LBB95_187
; %bb.186:
	buffer_load_dword v67, off, s[0:3], 0 offset:72
	buffer_load_dword v68, off, s[0:3], 0 offset:76
	s_waitcnt vmcnt(0)
	ds_write_b64 v65, v[67:68]
	buffer_store_dword v66, off, s[0:3], 0 offset:72
	buffer_store_dword v66, off, s[0:3], 0 offset:76
.LBB95_187:
	s_or_b64 exec, exec, s[4:5]
	s_waitcnt lgkmcnt(0)
	; wave barrier
	buffer_load_dword v111, off, s[0:3], 0 offset:84
	buffer_load_dword v112, off, s[0:3], 0 offset:92
	;; [unrolled: 1-line block ×46, first 2 shown]
	ds_read_b128 v[67:70], v66 offset:336
	ds_read_b128 v[71:74], v66 offset:352
	;; [unrolled: 1-line block ×8, first 2 shown]
	v_cmp_lt_u32_e32 vcc, 8, v0
	s_waitcnt vmcnt(45) lgkmcnt(7)
	v_mul_f32_e32 v99, v67, v111
	s_waitcnt vmcnt(44)
	v_mul_f32_e32 v100, v69, v112
	s_waitcnt vmcnt(43) lgkmcnt(6)
	v_mul_f32_e32 v101, v71, v113
	s_waitcnt vmcnt(42)
	v_mul_f32_e32 v102, v73, v114
	;; [unrolled: 4-line block ×6, first 2 shown]
	s_waitcnt vmcnt(33) lgkmcnt(1)
	v_mul_f32_e32 v157, v91, v123
	s_waitcnt vmcnt(32)
	v_fmac_f32_e32 v99, v68, v124
	v_mul_f32_e32 v68, v68, v111
	v_fma_f32 v67, v67, v124, -v68
	v_mul_f32_e32 v68, v70, v112
	v_add_f32_e32 v67, 0, v67
	s_waitcnt vmcnt(31)
	v_fma_f32 v68, v69, v125, -v68
	v_add_f32_e32 v67, v67, v68
	v_mul_f32_e32 v68, v72, v113
	s_waitcnt vmcnt(30)
	v_fma_f32 v68, v71, v126, -v68
	v_add_f32_e32 v67, v67, v68
	v_mul_f32_e32 v68, v74, v114
	;; [unrolled: 4-line block ×4, first 2 shown]
	v_fmac_f32_e32 v100, v70, v125
	v_add_f32_e32 v99, 0, v99
	s_waitcnt vmcnt(27)
	v_fma_f32 v68, v77, v129, -v68
	v_fmac_f32_e32 v101, v72, v126
	v_add_f32_e32 v99, v99, v100
	v_add_f32_e32 v67, v67, v68
	v_mul_f32_e32 v68, v80, v117
	v_fmac_f32_e32 v102, v74, v127
	v_add_f32_e32 v99, v99, v101
	s_waitcnt vmcnt(26)
	v_fma_f32 v68, v79, v130, -v68
	v_fmac_f32_e32 v103, v76, v128
	v_add_f32_e32 v99, v99, v102
	v_add_f32_e32 v67, v67, v68
	v_mul_f32_e32 v68, v82, v118
	;; [unrolled: 8-line block ×4, first 2 shown]
	s_waitcnt vmcnt(23)
	v_fmac_f32_e32 v108, v86, v133
	v_add_f32_e32 v99, v99, v107
	v_fma_f32 v68, v85, v133, -v68
	s_waitcnt vmcnt(22)
	v_fmac_f32_e32 v109, v88, v134
	v_add_f32_e32 v99, v99, v108
	v_add_f32_e32 v67, v67, v68
	v_mul_f32_e32 v68, v88, v121
	s_waitcnt vmcnt(21)
	v_fmac_f32_e32 v110, v90, v135
	v_add_f32_e32 v99, v99, v109
	v_fma_f32 v68, v87, v134, -v68
	s_waitcnt vmcnt(20)
	v_fmac_f32_e32 v157, v92, v136
	v_add_f32_e32 v99, v99, v110
	s_waitcnt vmcnt(19)
	v_mul_f32_e32 v100, v93, v137
	v_add_f32_e32 v67, v67, v68
	v_mul_f32_e32 v68, v90, v122
	v_add_f32_e32 v99, v99, v157
	s_waitcnt vmcnt(18)
	v_fmac_f32_e32 v100, v94, v138
	v_fma_f32 v68, v89, v135, -v68
	v_add_f32_e32 v99, v99, v100
	s_waitcnt vmcnt(17) lgkmcnt(0)
	v_mul_f32_e32 v100, v95, v139
	v_add_f32_e32 v67, v67, v68
	v_mul_f32_e32 v68, v92, v123
	s_waitcnt vmcnt(16)
	v_fmac_f32_e32 v100, v96, v140
	v_fma_f32 v68, v91, v136, -v68
	v_add_f32_e32 v103, v99, v100
	ds_read_b128 v[99:102], v66 offset:464
	v_add_f32_e32 v67, v67, v68
	v_mul_f32_e32 v68, v94, v137
	v_fma_f32 v68, v93, v138, -v68
	v_add_f32_e32 v67, v67, v68
	v_mul_f32_e32 v68, v96, v139
	s_waitcnt vmcnt(15)
	v_mul_f32_e32 v104, v97, v141
	v_fma_f32 v68, v95, v140, -v68
	s_waitcnt vmcnt(14)
	v_fmac_f32_e32 v104, v98, v142
	v_add_f32_e32 v67, v67, v68
	v_mul_f32_e32 v68, v98, v141
	v_add_f32_e32 v107, v103, v104
	ds_read_b128 v[103:106], v66 offset:480
	s_waitcnt vmcnt(13) lgkmcnt(1)
	v_mul_f32_e32 v108, v99, v143
	v_fma_f32 v68, v97, v142, -v68
	s_waitcnt vmcnt(12)
	v_fmac_f32_e32 v108, v100, v144
	v_add_f32_e32 v67, v67, v68
	v_mul_f32_e32 v68, v100, v143
	v_add_f32_e32 v107, v107, v108
	s_waitcnt vmcnt(11)
	v_mul_f32_e32 v108, v101, v145
	v_fma_f32 v68, v99, v144, -v68
	s_waitcnt vmcnt(10)
	v_fmac_f32_e32 v108, v102, v146
	v_add_f32_e32 v67, v67, v68
	v_mul_f32_e32 v68, v102, v145
	v_add_f32_e32 v157, v107, v108
	ds_read_b128 v[107:110], v66 offset:496
	v_fma_f32 v68, v101, v146, -v68
	v_add_f32_e32 v67, v67, v68
	s_waitcnt vmcnt(9) lgkmcnt(1)
	v_mul_f32_e32 v68, v104, v147
	v_mul_f32_e32 v158, v103, v147
	s_waitcnt vmcnt(8)
	v_fma_f32 v68, v103, v148, -v68
	v_fmac_f32_e32 v158, v104, v148
	v_add_f32_e32 v67, v67, v68
	s_waitcnt vmcnt(7)
	v_mul_f32_e32 v68, v106, v149
	v_add_f32_e32 v66, v157, v158
	v_mul_f32_e32 v157, v105, v149
	s_waitcnt vmcnt(6)
	v_fma_f32 v68, v105, v150, -v68
	v_fmac_f32_e32 v157, v106, v150
	v_add_f32_e32 v67, v67, v68
	s_waitcnt vmcnt(5) lgkmcnt(0)
	v_mul_f32_e32 v68, v108, v151
	v_add_f32_e32 v66, v66, v157
	v_mul_f32_e32 v157, v107, v151
	s_waitcnt vmcnt(4)
	v_fma_f32 v68, v107, v152, -v68
	v_fmac_f32_e32 v157, v108, v152
	v_add_f32_e32 v67, v67, v68
	s_waitcnt vmcnt(3)
	v_mul_f32_e32 v68, v110, v153
	v_add_f32_e32 v66, v66, v157
	v_mul_f32_e32 v157, v109, v153
	s_waitcnt vmcnt(2)
	v_fma_f32 v68, v109, v154, -v68
	v_fmac_f32_e32 v157, v110, v154
	v_add_f32_e32 v67, v67, v68
	v_add_f32_e32 v66, v66, v157
	s_waitcnt vmcnt(1)
	v_sub_f32_e32 v67, v155, v67
	s_waitcnt vmcnt(0)
	v_sub_f32_e32 v66, v156, v66
	buffer_store_dword v67, off, s[0:3], 0 offset:72
	buffer_store_dword v66, off, s[0:3], 0 offset:76
	s_and_saveexec_b64 s[4:5], vcc
	s_cbranch_execz .LBB95_189
; %bb.188:
	buffer_load_dword v66, off, s[0:3], 0 offset:64
	buffer_load_dword v67, off, s[0:3], 0 offset:68
	v_mov_b32_e32 v68, 0
	buffer_store_dword v68, off, s[0:3], 0 offset:64
	buffer_store_dword v68, off, s[0:3], 0 offset:68
	s_waitcnt vmcnt(2)
	ds_write_b64 v65, v[66:67]
.LBB95_189:
	s_or_b64 exec, exec, s[4:5]
	s_waitcnt lgkmcnt(0)
	; wave barrier
	buffer_load_dword v113, off, s[0:3], 0 offset:76
	buffer_load_dword v114, off, s[0:3], 0 offset:84
	;; [unrolled: 1-line block ×48, first 2 shown]
	v_mov_b32_e32 v66, 0
	ds_read2_b64 v[67:70], v66 offset0:41 offset1:42
	ds_read2_b64 v[71:74], v66 offset0:43 offset1:44
	;; [unrolled: 1-line block ×7, first 2 shown]
	v_cmp_lt_u32_e32 vcc, 7, v0
	s_waitcnt vmcnt(47) lgkmcnt(6)
	v_mul_f32_e32 v95, v67, v113
	s_waitcnt vmcnt(46)
	v_mul_f32_e32 v96, v69, v114
	s_waitcnt vmcnt(45) lgkmcnt(5)
	v_mul_f32_e32 v97, v71, v115
	s_waitcnt vmcnt(44)
	v_mul_f32_e32 v98, v73, v116
	;; [unrolled: 4-line block ×6, first 2 shown]
	s_waitcnt vmcnt(35)
	v_fmac_f32_e32 v95, v68, v125
	v_mul_f32_e32 v68, v68, v113
	v_fma_f32 v67, v67, v125, -v68
	v_mul_f32_e32 v68, v70, v114
	v_add_f32_e32 v67, 0, v67
	s_waitcnt vmcnt(34)
	v_fma_f32 v68, v69, v126, -v68
	v_add_f32_e32 v67, v67, v68
	v_mul_f32_e32 v68, v72, v115
	s_waitcnt vmcnt(33)
	v_fma_f32 v68, v71, v127, -v68
	v_fmac_f32_e32 v96, v70, v126
	v_add_f32_e32 v95, 0, v95
	v_add_f32_e32 v67, v67, v68
	v_mul_f32_e32 v68, v74, v116
	v_fmac_f32_e32 v97, v72, v127
	v_add_f32_e32 v95, v95, v96
	s_waitcnt vmcnt(32)
	v_fma_f32 v68, v73, v128, -v68
	v_fmac_f32_e32 v98, v74, v128
	v_add_f32_e32 v95, v95, v97
	v_add_f32_e32 v67, v67, v68
	v_mul_f32_e32 v68, v76, v117
	s_waitcnt vmcnt(31)
	v_fmac_f32_e32 v99, v76, v129
	v_add_f32_e32 v95, v95, v98
	v_fma_f32 v68, v75, v129, -v68
	s_waitcnt vmcnt(30)
	v_fmac_f32_e32 v100, v78, v130
	v_add_f32_e32 v95, v95, v99
	v_add_f32_e32 v67, v67, v68
	v_mul_f32_e32 v68, v78, v118
	s_waitcnt vmcnt(29)
	v_fmac_f32_e32 v101, v80, v131
	v_add_f32_e32 v95, v95, v100
	v_fma_f32 v68, v77, v130, -v68
	s_waitcnt vmcnt(28)
	v_fmac_f32_e32 v102, v82, v132
	v_add_f32_e32 v95, v95, v101
	v_add_f32_e32 v67, v67, v68
	v_mul_f32_e32 v68, v80, v119
	s_waitcnt vmcnt(27)
	v_fmac_f32_e32 v103, v84, v133
	v_add_f32_e32 v95, v95, v102
	v_fma_f32 v68, v79, v131, -v68
	s_waitcnt vmcnt(26)
	v_fmac_f32_e32 v104, v86, v134
	v_add_f32_e32 v95, v95, v103
	v_add_f32_e32 v67, v67, v68
	v_mul_f32_e32 v68, v82, v120
	s_waitcnt vmcnt(25)
	v_fmac_f32_e32 v105, v88, v135
	v_add_f32_e32 v95, v95, v104
	v_fma_f32 v68, v81, v132, -v68
	s_waitcnt vmcnt(24)
	v_fmac_f32_e32 v106, v90, v136
	v_add_f32_e32 v95, v95, v105
	v_add_f32_e32 v67, v67, v68
	v_mul_f32_e32 v68, v84, v121
	v_add_f32_e32 v99, v95, v106
	ds_read2_b64 v[95:98], v66 offset0:55 offset1:56
	v_fma_f32 v68, v83, v133, -v68
	s_waitcnt vmcnt(23) lgkmcnt(1)
	v_mul_f32_e32 v100, v91, v137
	v_add_f32_e32 v67, v67, v68
	v_mul_f32_e32 v68, v86, v122
	s_waitcnt vmcnt(22)
	v_fmac_f32_e32 v100, v92, v138
	v_fma_f32 v68, v85, v134, -v68
	v_add_f32_e32 v99, v99, v100
	s_waitcnt vmcnt(21)
	v_mul_f32_e32 v100, v93, v139
	v_add_f32_e32 v67, v67, v68
	v_mul_f32_e32 v68, v88, v123
	s_waitcnt vmcnt(20)
	v_fmac_f32_e32 v100, v94, v140
	v_fma_f32 v68, v87, v135, -v68
	v_add_f32_e32 v99, v99, v100
	s_waitcnt vmcnt(19) lgkmcnt(0)
	v_mul_f32_e32 v100, v95, v141
	v_add_f32_e32 v67, v67, v68
	v_mul_f32_e32 v68, v90, v124
	s_waitcnt vmcnt(18)
	v_fmac_f32_e32 v100, v96, v142
	v_fma_f32 v68, v89, v136, -v68
	v_add_f32_e32 v103, v99, v100
	ds_read2_b64 v[99:102], v66 offset0:57 offset1:58
	v_add_f32_e32 v67, v67, v68
	v_mul_f32_e32 v68, v92, v137
	v_fma_f32 v68, v91, v138, -v68
	s_waitcnt vmcnt(17)
	v_mul_f32_e32 v104, v97, v143
	v_add_f32_e32 v67, v67, v68
	v_mul_f32_e32 v68, v94, v139
	s_waitcnt vmcnt(16)
	v_fmac_f32_e32 v104, v98, v144
	v_fma_f32 v68, v93, v140, -v68
	v_add_f32_e32 v107, v103, v104
	ds_read2_b64 v[103:106], v66 offset0:59 offset1:60
	v_add_f32_e32 v67, v67, v68
	v_mul_f32_e32 v68, v96, v141
	s_waitcnt vmcnt(15) lgkmcnt(1)
	v_mul_f32_e32 v108, v99, v145
	v_fma_f32 v68, v95, v142, -v68
	s_waitcnt vmcnt(14)
	v_fmac_f32_e32 v108, v100, v146
	v_add_f32_e32 v67, v67, v68
	v_mul_f32_e32 v68, v98, v143
	v_add_f32_e32 v107, v107, v108
	s_waitcnt vmcnt(13)
	v_mul_f32_e32 v108, v101, v147
	v_fma_f32 v68, v97, v144, -v68
	s_waitcnt vmcnt(12)
	v_fmac_f32_e32 v108, v102, v148
	v_add_f32_e32 v67, v67, v68
	v_mul_f32_e32 v68, v100, v145
	v_add_f32_e32 v107, v107, v108
	s_waitcnt vmcnt(11) lgkmcnt(0)
	v_mul_f32_e32 v108, v103, v149
	v_fma_f32 v68, v99, v146, -v68
	s_waitcnt vmcnt(10)
	v_fmac_f32_e32 v108, v104, v150
	v_add_f32_e32 v67, v67, v68
	v_mul_f32_e32 v68, v102, v147
	v_add_f32_e32 v111, v107, v108
	ds_read2_b64 v[107:110], v66 offset0:61 offset1:62
	v_fma_f32 v68, v101, v148, -v68
	v_add_f32_e32 v67, v67, v68
	v_mul_f32_e32 v68, v104, v149
	s_waitcnt vmcnt(9)
	v_mul_f32_e32 v112, v105, v151
	v_fma_f32 v68, v103, v150, -v68
	s_waitcnt vmcnt(8)
	v_fmac_f32_e32 v112, v106, v152
	v_add_f32_e32 v67, v67, v68
	v_mul_f32_e32 v68, v106, v151
	v_add_f32_e32 v161, v111, v112
	ds_read_b64 v[111:112], v66 offset:504
	v_fma_f32 v68, v105, v152, -v68
	v_add_f32_e32 v67, v67, v68
	s_waitcnt vmcnt(6) lgkmcnt(1)
	v_mul_f32_e32 v68, v108, v154
	v_mul_f32_e32 v162, v107, v154
	v_fma_f32 v68, v107, v153, -v68
	v_fmac_f32_e32 v162, v108, v153
	v_add_f32_e32 v67, v67, v68
	s_waitcnt vmcnt(3)
	v_mul_f32_e32 v68, v110, v157
	v_add_f32_e32 v161, v161, v162
	v_mul_f32_e32 v162, v109, v157
	s_waitcnt vmcnt(2)
	v_fma_f32 v68, v109, v158, -v68
	v_fmac_f32_e32 v162, v110, v158
	v_add_f32_e32 v67, v67, v68
	s_waitcnt vmcnt(0) lgkmcnt(0)
	v_mul_f32_e32 v68, v112, v160
	v_add_f32_e32 v161, v161, v162
	v_mul_f32_e32 v162, v111, v160
	v_fma_f32 v68, v111, v159, -v68
	v_fmac_f32_e32 v162, v112, v159
	v_add_f32_e32 v67, v67, v68
	v_add_f32_e32 v161, v161, v162
	v_sub_f32_e32 v67, v155, v67
	v_sub_f32_e32 v68, v156, v161
	buffer_store_dword v67, off, s[0:3], 0 offset:64
	buffer_store_dword v68, off, s[0:3], 0 offset:68
	s_and_saveexec_b64 s[4:5], vcc
	s_cbranch_execz .LBB95_191
; %bb.190:
	buffer_load_dword v67, off, s[0:3], 0 offset:56
	buffer_load_dword v68, off, s[0:3], 0 offset:60
	s_waitcnt vmcnt(0)
	ds_write_b64 v65, v[67:68]
	buffer_store_dword v66, off, s[0:3], 0 offset:56
	buffer_store_dword v66, off, s[0:3], 0 offset:60
.LBB95_191:
	s_or_b64 exec, exec, s[4:5]
	s_waitcnt lgkmcnt(0)
	; wave barrier
	buffer_load_dword v115, off, s[0:3], 0 offset:68
	buffer_load_dword v116, off, s[0:3], 0 offset:76
	;; [unrolled: 1-line block ×48, first 2 shown]
	ds_read_b128 v[67:70], v66 offset:320
	ds_read_b128 v[71:74], v66 offset:336
	buffer_load_dword v163, off, s[0:3], 0 offset:248
	buffer_load_dword v164, off, s[0:3], 0 offset:252
	ds_read_b128 v[75:78], v66 offset:352
	ds_read_b128 v[79:82], v66 offset:368
	;; [unrolled: 1-line block ×5, first 2 shown]
	v_cmp_lt_u32_e32 vcc, 6, v0
	s_waitcnt vmcnt(49) lgkmcnt(6)
	v_mul_f32_e32 v95, v67, v115
	s_waitcnt vmcnt(48)
	v_mul_f32_e32 v96, v69, v116
	s_waitcnt vmcnt(47) lgkmcnt(5)
	v_mul_f32_e32 v97, v71, v117
	s_waitcnt vmcnt(46)
	v_mul_f32_e32 v98, v73, v118
	;; [unrolled: 4-line block ×6, first 2 shown]
	s_waitcnt vmcnt(37)
	v_fmac_f32_e32 v95, v68, v127
	v_mul_f32_e32 v68, v68, v115
	v_fma_f32 v67, v67, v127, -v68
	v_mul_f32_e32 v68, v70, v116
	v_add_f32_e32 v67, 0, v67
	s_waitcnt vmcnt(36)
	v_fma_f32 v68, v69, v128, -v68
	v_add_f32_e32 v67, v67, v68
	v_mul_f32_e32 v68, v72, v117
	s_waitcnt vmcnt(35)
	v_fma_f32 v68, v71, v129, -v68
	v_fmac_f32_e32 v96, v70, v128
	v_add_f32_e32 v95, 0, v95
	v_add_f32_e32 v67, v67, v68
	v_mul_f32_e32 v68, v74, v118
	v_fmac_f32_e32 v97, v72, v129
	v_add_f32_e32 v95, v95, v96
	s_waitcnt vmcnt(34)
	v_fma_f32 v68, v73, v130, -v68
	v_fmac_f32_e32 v98, v74, v130
	v_add_f32_e32 v95, v95, v97
	v_add_f32_e32 v67, v67, v68
	v_mul_f32_e32 v68, v76, v119
	s_waitcnt vmcnt(33)
	v_fmac_f32_e32 v99, v76, v131
	v_add_f32_e32 v95, v95, v98
	v_fma_f32 v68, v75, v131, -v68
	s_waitcnt vmcnt(32)
	v_fmac_f32_e32 v100, v78, v132
	v_add_f32_e32 v95, v95, v99
	v_add_f32_e32 v67, v67, v68
	v_mul_f32_e32 v68, v78, v120
	s_waitcnt vmcnt(31)
	v_fmac_f32_e32 v101, v80, v133
	v_add_f32_e32 v95, v95, v100
	v_fma_f32 v68, v77, v132, -v68
	s_waitcnt vmcnt(30)
	;; [unrolled: 9-line block ×3, first 2 shown]
	v_fmac_f32_e32 v104, v86, v136
	v_add_f32_e32 v95, v95, v103
	v_add_f32_e32 v67, v67, v68
	v_mul_f32_e32 v68, v82, v122
	s_waitcnt vmcnt(27)
	v_fmac_f32_e32 v105, v88, v137
	v_add_f32_e32 v95, v95, v104
	v_fma_f32 v68, v81, v134, -v68
	v_add_f32_e32 v95, v95, v105
	s_waitcnt vmcnt(26)
	v_fmac_f32_e32 v106, v90, v138
	v_add_f32_e32 v67, v67, v68
	v_mul_f32_e32 v68, v84, v123
	v_add_f32_e32 v99, v95, v106
	ds_read_b128 v[95:98], v66 offset:432
	v_fma_f32 v68, v83, v135, -v68
	s_waitcnt vmcnt(25) lgkmcnt(1)
	v_mul_f32_e32 v100, v91, v139
	v_add_f32_e32 v67, v67, v68
	v_mul_f32_e32 v68, v86, v124
	s_waitcnt vmcnt(24)
	v_fmac_f32_e32 v100, v92, v140
	v_fma_f32 v68, v85, v136, -v68
	v_add_f32_e32 v99, v99, v100
	s_waitcnt vmcnt(23)
	v_mul_f32_e32 v100, v93, v141
	v_add_f32_e32 v67, v67, v68
	v_mul_f32_e32 v68, v88, v125
	s_waitcnt vmcnt(22)
	v_fmac_f32_e32 v100, v94, v142
	v_fma_f32 v68, v87, v137, -v68
	v_add_f32_e32 v99, v99, v100
	s_waitcnt vmcnt(21) lgkmcnt(0)
	v_mul_f32_e32 v100, v95, v143
	v_add_f32_e32 v67, v67, v68
	v_mul_f32_e32 v68, v90, v126
	s_waitcnt vmcnt(20)
	v_fmac_f32_e32 v100, v96, v144
	v_fma_f32 v68, v89, v138, -v68
	v_add_f32_e32 v103, v99, v100
	ds_read_b128 v[99:102], v66 offset:448
	v_add_f32_e32 v67, v67, v68
	v_mul_f32_e32 v68, v92, v139
	v_fma_f32 v68, v91, v140, -v68
	s_waitcnt vmcnt(19)
	v_mul_f32_e32 v104, v97, v145
	v_add_f32_e32 v67, v67, v68
	v_mul_f32_e32 v68, v94, v141
	s_waitcnt vmcnt(18)
	v_fmac_f32_e32 v104, v98, v146
	v_fma_f32 v68, v93, v142, -v68
	v_add_f32_e32 v107, v103, v104
	ds_read_b128 v[103:106], v66 offset:464
	v_add_f32_e32 v67, v67, v68
	v_mul_f32_e32 v68, v96, v143
	s_waitcnt vmcnt(17) lgkmcnt(1)
	v_mul_f32_e32 v108, v99, v147
	v_fma_f32 v68, v95, v144, -v68
	s_waitcnt vmcnt(16)
	v_fmac_f32_e32 v108, v100, v148
	v_add_f32_e32 v67, v67, v68
	v_mul_f32_e32 v68, v98, v145
	v_add_f32_e32 v107, v107, v108
	s_waitcnt vmcnt(15)
	v_mul_f32_e32 v108, v101, v149
	v_fma_f32 v68, v97, v146, -v68
	s_waitcnt vmcnt(14)
	v_fmac_f32_e32 v108, v102, v150
	v_add_f32_e32 v67, v67, v68
	v_mul_f32_e32 v68, v100, v147
	v_add_f32_e32 v107, v107, v108
	s_waitcnt vmcnt(13) lgkmcnt(0)
	v_mul_f32_e32 v108, v103, v151
	v_fma_f32 v68, v99, v148, -v68
	s_waitcnt vmcnt(12)
	v_fmac_f32_e32 v108, v104, v152
	v_add_f32_e32 v67, v67, v68
	v_mul_f32_e32 v68, v102, v149
	v_add_f32_e32 v111, v107, v108
	ds_read_b128 v[107:110], v66 offset:480
	v_fma_f32 v68, v101, v150, -v68
	v_add_f32_e32 v67, v67, v68
	v_mul_f32_e32 v68, v104, v151
	s_waitcnt vmcnt(11)
	v_mul_f32_e32 v112, v105, v153
	v_fma_f32 v68, v103, v152, -v68
	s_waitcnt vmcnt(10)
	v_fmac_f32_e32 v112, v106, v154
	v_add_f32_e32 v67, v67, v68
	v_mul_f32_e32 v68, v106, v153
	v_add_f32_e32 v165, v111, v112
	ds_read_b128 v[111:114], v66 offset:496
	v_fma_f32 v68, v105, v154, -v68
	v_add_f32_e32 v67, v67, v68
	s_waitcnt vmcnt(7) lgkmcnt(1)
	v_mul_f32_e32 v68, v108, v157
	v_mul_f32_e32 v66, v107, v157
	s_waitcnt vmcnt(6)
	v_fma_f32 v68, v107, v158, -v68
	v_fmac_f32_e32 v66, v108, v158
	v_add_f32_e32 v67, v67, v68
	s_waitcnt vmcnt(4)
	v_mul_f32_e32 v68, v110, v160
	v_add_f32_e32 v66, v165, v66
	v_mul_f32_e32 v165, v109, v160
	v_fma_f32 v68, v109, v159, -v68
	v_fmac_f32_e32 v165, v110, v159
	v_add_f32_e32 v67, v67, v68
	s_waitcnt vmcnt(2) lgkmcnt(0)
	v_mul_f32_e32 v68, v112, v162
	v_add_f32_e32 v66, v66, v165
	v_mul_f32_e32 v165, v111, v162
	v_fma_f32 v68, v111, v161, -v68
	v_fmac_f32_e32 v165, v112, v161
	v_add_f32_e32 v67, v67, v68
	s_waitcnt vmcnt(0)
	v_mul_f32_e32 v68, v114, v164
	v_add_f32_e32 v66, v66, v165
	v_mul_f32_e32 v165, v113, v164
	v_fma_f32 v68, v113, v163, -v68
	v_fmac_f32_e32 v165, v114, v163
	v_add_f32_e32 v67, v67, v68
	v_add_f32_e32 v66, v66, v165
	v_sub_f32_e32 v67, v155, v67
	v_sub_f32_e32 v66, v156, v66
	buffer_store_dword v67, off, s[0:3], 0 offset:56
	buffer_store_dword v66, off, s[0:3], 0 offset:60
	s_and_saveexec_b64 s[4:5], vcc
	s_cbranch_execz .LBB95_193
; %bb.192:
	buffer_load_dword v66, off, s[0:3], 0 offset:48
	buffer_load_dword v67, off, s[0:3], 0 offset:52
	v_mov_b32_e32 v68, 0
	buffer_store_dword v68, off, s[0:3], 0 offset:48
	buffer_store_dword v68, off, s[0:3], 0 offset:52
	s_waitcnt vmcnt(2)
	ds_write_b64 v65, v[66:67]
.LBB95_193:
	s_or_b64 exec, exec, s[4:5]
	s_waitcnt lgkmcnt(0)
	; wave barrier
	buffer_load_dword v117, off, s[0:3], 0 offset:60
	buffer_load_dword v118, off, s[0:3], 0 offset:68
	;; [unrolled: 1-line block ×52, first 2 shown]
	v_mov_b32_e32 v66, 0
	ds_read2_b64 v[67:70], v66 offset0:39 offset1:40
	ds_read2_b64 v[71:74], v66 offset0:41 offset1:42
	;; [unrolled: 1-line block ×6, first 2 shown]
	v_cmp_lt_u32_e32 vcc, 5, v0
	s_waitcnt vmcnt(51) lgkmcnt(5)
	v_mul_f32_e32 v91, v67, v117
	s_waitcnt vmcnt(50)
	v_mul_f32_e32 v92, v69, v118
	s_waitcnt vmcnt(49) lgkmcnt(4)
	v_mul_f32_e32 v93, v71, v119
	s_waitcnt vmcnt(48)
	v_mul_f32_e32 v94, v73, v120
	;; [unrolled: 4-line block ×5, first 2 shown]
	s_waitcnt vmcnt(41) lgkmcnt(0)
	v_mul_f32_e32 v101, v87, v127
	s_waitcnt vmcnt(40)
	v_fmac_f32_e32 v91, v68, v128
	v_mul_f32_e32 v68, v68, v117
	s_waitcnt vmcnt(39)
	v_fmac_f32_e32 v92, v70, v129
	v_add_f32_e32 v91, 0, v91
	v_fma_f32 v67, v67, v128, -v68
	v_mul_f32_e32 v68, v70, v118
	s_waitcnt vmcnt(38)
	v_fmac_f32_e32 v93, v72, v130
	v_add_f32_e32 v91, v91, v92
	v_add_f32_e32 v67, 0, v67
	v_fma_f32 v68, v69, v129, -v68
	s_waitcnt vmcnt(37)
	v_fmac_f32_e32 v94, v74, v131
	v_add_f32_e32 v91, v91, v93
	v_add_f32_e32 v67, v67, v68
	v_mul_f32_e32 v68, v72, v119
	s_waitcnt vmcnt(36)
	v_fmac_f32_e32 v95, v76, v132
	v_add_f32_e32 v91, v91, v94
	v_fma_f32 v68, v71, v130, -v68
	s_waitcnt vmcnt(35)
	v_fmac_f32_e32 v96, v78, v133
	v_add_f32_e32 v91, v91, v95
	v_add_f32_e32 v67, v67, v68
	v_mul_f32_e32 v68, v74, v120
	s_waitcnt vmcnt(34)
	v_fmac_f32_e32 v97, v80, v134
	;; [unrolled: 9-line block ×3, first 2 shown]
	v_add_f32_e32 v91, v91, v98
	v_fma_f32 v68, v75, v132, -v68
	s_waitcnt vmcnt(31)
	v_fmac_f32_e32 v100, v86, v137
	v_add_f32_e32 v91, v91, v99
	v_add_f32_e32 v67, v67, v68
	v_mul_f32_e32 v68, v78, v122
	v_add_f32_e32 v91, v91, v100
	s_waitcnt vmcnt(30)
	v_fmac_f32_e32 v101, v88, v138
	v_fma_f32 v68, v77, v133, -v68
	v_add_f32_e32 v95, v91, v101
	ds_read2_b64 v[91:94], v66 offset0:51 offset1:52
	v_add_f32_e32 v67, v67, v68
	v_mul_f32_e32 v68, v80, v123
	v_fma_f32 v68, v79, v134, -v68
	s_waitcnt vmcnt(29)
	v_mul_f32_e32 v96, v89, v139
	v_add_f32_e32 v67, v67, v68
	v_mul_f32_e32 v68, v82, v124
	s_waitcnt vmcnt(28)
	v_fmac_f32_e32 v96, v90, v140
	v_fma_f32 v68, v81, v135, -v68
	v_add_f32_e32 v99, v95, v96
	ds_read2_b64 v[95:98], v66 offset0:53 offset1:54
	v_add_f32_e32 v67, v67, v68
	v_mul_f32_e32 v68, v84, v125
	s_waitcnt vmcnt(27) lgkmcnt(1)
	v_mul_f32_e32 v100, v91, v141
	v_fma_f32 v68, v83, v136, -v68
	s_waitcnt vmcnt(26)
	v_fmac_f32_e32 v100, v92, v142
	v_add_f32_e32 v67, v67, v68
	v_mul_f32_e32 v68, v86, v126
	v_add_f32_e32 v99, v99, v100
	s_waitcnt vmcnt(25)
	v_mul_f32_e32 v100, v93, v143
	v_fma_f32 v68, v85, v137, -v68
	s_waitcnt vmcnt(24)
	v_fmac_f32_e32 v100, v94, v144
	v_add_f32_e32 v67, v67, v68
	v_mul_f32_e32 v68, v88, v127
	v_add_f32_e32 v99, v99, v100
	s_waitcnt vmcnt(23) lgkmcnt(0)
	v_mul_f32_e32 v100, v95, v145
	v_fma_f32 v68, v87, v138, -v68
	s_waitcnt vmcnt(22)
	v_fmac_f32_e32 v100, v96, v146
	v_add_f32_e32 v67, v67, v68
	v_mul_f32_e32 v68, v90, v139
	v_add_f32_e32 v103, v99, v100
	ds_read2_b64 v[99:102], v66 offset0:55 offset1:56
	v_fma_f32 v68, v89, v140, -v68
	v_add_f32_e32 v67, v67, v68
	v_mul_f32_e32 v68, v92, v141
	s_waitcnt vmcnt(21)
	v_mul_f32_e32 v104, v97, v147
	v_fma_f32 v68, v91, v142, -v68
	s_waitcnt vmcnt(20)
	v_fmac_f32_e32 v104, v98, v148
	v_add_f32_e32 v67, v67, v68
	v_mul_f32_e32 v68, v94, v143
	v_add_f32_e32 v107, v103, v104
	ds_read2_b64 v[103:106], v66 offset0:57 offset1:58
	v_fma_f32 v68, v93, v144, -v68
	s_waitcnt vmcnt(19) lgkmcnt(1)
	v_mul_f32_e32 v108, v99, v149
	v_add_f32_e32 v67, v67, v68
	v_mul_f32_e32 v68, v96, v145
	s_waitcnt vmcnt(18)
	v_fmac_f32_e32 v108, v100, v150
	v_fma_f32 v68, v95, v146, -v68
	v_add_f32_e32 v107, v107, v108
	s_waitcnt vmcnt(17)
	v_mul_f32_e32 v108, v101, v151
	v_add_f32_e32 v67, v67, v68
	v_mul_f32_e32 v68, v98, v147
	s_waitcnt vmcnt(16)
	v_fmac_f32_e32 v108, v102, v152
	v_fma_f32 v68, v97, v148, -v68
	v_add_f32_e32 v107, v107, v108
	s_waitcnt vmcnt(14) lgkmcnt(0)
	v_mul_f32_e32 v108, v103, v154
	v_add_f32_e32 v67, v67, v68
	v_mul_f32_e32 v68, v100, v149
	v_fmac_f32_e32 v108, v104, v153
	v_fma_f32 v68, v99, v150, -v68
	v_add_f32_e32 v111, v107, v108
	ds_read2_b64 v[107:110], v66 offset0:59 offset1:60
	v_add_f32_e32 v67, v67, v68
	v_mul_f32_e32 v68, v102, v151
	v_fma_f32 v68, v101, v152, -v68
	v_add_f32_e32 v67, v67, v68
	v_mul_f32_e32 v68, v104, v154
	s_waitcnt vmcnt(11)
	v_mul_f32_e32 v112, v105, v157
	v_fma_f32 v68, v103, v153, -v68
	s_waitcnt vmcnt(10)
	v_fmac_f32_e32 v112, v106, v158
	v_add_f32_e32 v67, v67, v68
	v_mul_f32_e32 v68, v106, v157
	v_add_f32_e32 v115, v111, v112
	ds_read2_b64 v[111:114], v66 offset0:61 offset1:62
	s_waitcnt vmcnt(8) lgkmcnt(1)
	v_mul_f32_e32 v116, v107, v160
	v_fma_f32 v68, v105, v158, -v68
	v_fmac_f32_e32 v116, v108, v159
	v_add_f32_e32 v67, v67, v68
	v_mul_f32_e32 v68, v108, v160
	v_add_f32_e32 v115, v115, v116
	s_waitcnt vmcnt(6)
	v_mul_f32_e32 v116, v109, v162
	v_fma_f32 v68, v107, v159, -v68
	v_fmac_f32_e32 v116, v110, v161
	v_add_f32_e32 v67, v67, v68
	v_mul_f32_e32 v68, v110, v162
	v_add_f32_e32 v169, v115, v116
	ds_read_b64 v[115:116], v66 offset:504
	v_fma_f32 v68, v109, v161, -v68
	v_add_f32_e32 v67, v67, v68
	s_waitcnt vmcnt(4) lgkmcnt(1)
	v_mul_f32_e32 v68, v112, v164
	v_mul_f32_e32 v170, v111, v164
	v_fma_f32 v68, v111, v163, -v68
	v_fmac_f32_e32 v170, v112, v163
	v_add_f32_e32 v67, v67, v68
	s_waitcnt vmcnt(2)
	v_mul_f32_e32 v68, v114, v166
	v_add_f32_e32 v169, v169, v170
	v_mul_f32_e32 v170, v113, v166
	v_fma_f32 v68, v113, v165, -v68
	v_fmac_f32_e32 v170, v114, v165
	v_add_f32_e32 v67, v67, v68
	s_waitcnt vmcnt(0) lgkmcnt(0)
	v_mul_f32_e32 v68, v116, v168
	v_add_f32_e32 v169, v169, v170
	v_mul_f32_e32 v170, v115, v168
	v_fma_f32 v68, v115, v167, -v68
	v_fmac_f32_e32 v170, v116, v167
	v_add_f32_e32 v67, v67, v68
	v_add_f32_e32 v169, v169, v170
	v_sub_f32_e32 v67, v155, v67
	v_sub_f32_e32 v68, v156, v169
	buffer_store_dword v67, off, s[0:3], 0 offset:48
	buffer_store_dword v68, off, s[0:3], 0 offset:52
	s_and_saveexec_b64 s[4:5], vcc
	s_cbranch_execz .LBB95_195
; %bb.194:
	buffer_load_dword v67, off, s[0:3], 0 offset:40
	buffer_load_dword v68, off, s[0:3], 0 offset:44
	s_waitcnt vmcnt(0)
	ds_write_b64 v65, v[67:68]
	buffer_store_dword v66, off, s[0:3], 0 offset:40
	buffer_store_dword v66, off, s[0:3], 0 offset:44
.LBB95_195:
	s_or_b64 exec, exec, s[4:5]
	s_waitcnt lgkmcnt(0)
	; wave barrier
	buffer_load_dword v119, off, s[0:3], 0 offset:52
	buffer_load_dword v120, off, s[0:3], 0 offset:60
	;; [unrolled: 1-line block ×42, first 2 shown]
	ds_read_b128 v[67:70], v66 offset:304
	ds_read_b128 v[71:74], v66 offset:320
	;; [unrolled: 1-line block ×4, first 2 shown]
	buffer_load_dword v161, off, s[0:3], 0 offset:212
	buffer_load_dword v162, off, s[0:3], 0 offset:208
	;; [unrolled: 1-line block ×6, first 2 shown]
	ds_read_b128 v[83:86], v66 offset:368
	ds_read_b128 v[87:90], v66 offset:384
	buffer_load_dword v167, off, s[0:3], 0 offset:232
	buffer_load_dword v168, off, s[0:3], 0 offset:236
	;; [unrolled: 1-line block ×6, first 2 shown]
	v_cmp_lt_u32_e32 vcc, 4, v0
	s_waitcnt vmcnt(53) lgkmcnt(5)
	v_mul_f32_e32 v91, v67, v119
	s_waitcnt vmcnt(52)
	v_mul_f32_e32 v92, v69, v120
	s_waitcnt vmcnt(51) lgkmcnt(4)
	v_mul_f32_e32 v93, v71, v121
	s_waitcnt vmcnt(50)
	v_mul_f32_e32 v94, v73, v122
	;; [unrolled: 4-line block ×5, first 2 shown]
	s_waitcnt vmcnt(43)
	v_fmac_f32_e32 v91, v68, v129
	v_mul_f32_e32 v68, v68, v119
	s_waitcnt vmcnt(42)
	v_fmac_f32_e32 v92, v70, v130
	v_add_f32_e32 v91, 0, v91
	v_fma_f32 v67, v67, v129, -v68
	v_mul_f32_e32 v68, v70, v120
	s_waitcnt vmcnt(41)
	v_fmac_f32_e32 v93, v72, v131
	v_add_f32_e32 v91, v91, v92
	v_add_f32_e32 v67, 0, v67
	v_fma_f32 v68, v69, v130, -v68
	s_waitcnt vmcnt(40)
	v_fmac_f32_e32 v94, v74, v132
	v_add_f32_e32 v91, v91, v93
	v_add_f32_e32 v67, v67, v68
	v_mul_f32_e32 v68, v72, v121
	s_waitcnt vmcnt(39)
	v_fmac_f32_e32 v95, v76, v133
	v_add_f32_e32 v91, v91, v94
	v_fma_f32 v68, v71, v131, -v68
	s_waitcnt vmcnt(38)
	v_fmac_f32_e32 v96, v78, v134
	v_add_f32_e32 v91, v91, v95
	v_add_f32_e32 v67, v67, v68
	v_mul_f32_e32 v68, v74, v122
	s_waitcnt vmcnt(37)
	v_fmac_f32_e32 v97, v80, v135
	;; [unrolled: 9-line block ×3, first 2 shown]
	v_add_f32_e32 v91, v91, v98
	v_fma_f32 v68, v75, v133, -v68
	s_waitcnt vmcnt(34)
	v_fmac_f32_e32 v100, v86, v138
	v_add_f32_e32 v91, v91, v99
	s_waitcnt vmcnt(33) lgkmcnt(0)
	v_mul_f32_e32 v92, v87, v139
	v_add_f32_e32 v67, v67, v68
	v_mul_f32_e32 v68, v78, v124
	v_add_f32_e32 v91, v91, v100
	s_waitcnt vmcnt(32)
	v_fmac_f32_e32 v92, v88, v140
	v_fma_f32 v68, v77, v134, -v68
	v_add_f32_e32 v95, v91, v92
	ds_read_b128 v[91:94], v66 offset:400
	v_add_f32_e32 v67, v67, v68
	v_mul_f32_e32 v68, v80, v125
	v_fma_f32 v68, v79, v135, -v68
	s_waitcnt vmcnt(31)
	v_mul_f32_e32 v96, v89, v141
	v_add_f32_e32 v67, v67, v68
	v_mul_f32_e32 v68, v82, v126
	s_waitcnt vmcnt(30)
	v_fmac_f32_e32 v96, v90, v142
	v_fma_f32 v68, v81, v136, -v68
	v_add_f32_e32 v99, v95, v96
	ds_read_b128 v[95:98], v66 offset:416
	v_add_f32_e32 v67, v67, v68
	v_mul_f32_e32 v68, v84, v127
	s_waitcnt vmcnt(29) lgkmcnt(1)
	v_mul_f32_e32 v100, v91, v143
	v_fma_f32 v68, v83, v137, -v68
	s_waitcnt vmcnt(28)
	v_fmac_f32_e32 v100, v92, v144
	v_add_f32_e32 v67, v67, v68
	v_mul_f32_e32 v68, v86, v128
	v_add_f32_e32 v99, v99, v100
	s_waitcnt vmcnt(27)
	v_mul_f32_e32 v100, v93, v145
	v_fma_f32 v68, v85, v138, -v68
	s_waitcnt vmcnt(26)
	v_fmac_f32_e32 v100, v94, v146
	v_add_f32_e32 v67, v67, v68
	v_mul_f32_e32 v68, v88, v139
	v_add_f32_e32 v99, v99, v100
	s_waitcnt vmcnt(25) lgkmcnt(0)
	v_mul_f32_e32 v100, v95, v147
	v_fma_f32 v68, v87, v140, -v68
	s_waitcnt vmcnt(24)
	v_fmac_f32_e32 v100, v96, v148
	v_add_f32_e32 v67, v67, v68
	v_mul_f32_e32 v68, v90, v141
	v_add_f32_e32 v103, v99, v100
	ds_read_b128 v[99:102], v66 offset:432
	v_fma_f32 v68, v89, v142, -v68
	v_add_f32_e32 v67, v67, v68
	v_mul_f32_e32 v68, v92, v143
	s_waitcnt vmcnt(23)
	v_mul_f32_e32 v104, v97, v149
	v_fma_f32 v68, v91, v144, -v68
	s_waitcnt vmcnt(22)
	v_fmac_f32_e32 v104, v98, v150
	v_add_f32_e32 v67, v67, v68
	v_mul_f32_e32 v68, v94, v145
	v_add_f32_e32 v107, v103, v104
	ds_read_b128 v[103:106], v66 offset:448
	v_fma_f32 v68, v93, v146, -v68
	s_waitcnt vmcnt(21) lgkmcnt(1)
	v_mul_f32_e32 v108, v99, v151
	v_add_f32_e32 v67, v67, v68
	v_mul_f32_e32 v68, v96, v147
	s_waitcnt vmcnt(20)
	v_fmac_f32_e32 v108, v100, v152
	v_fma_f32 v68, v95, v148, -v68
	v_add_f32_e32 v107, v107, v108
	s_waitcnt vmcnt(18)
	v_mul_f32_e32 v108, v101, v154
	v_add_f32_e32 v67, v67, v68
	v_mul_f32_e32 v68, v98, v149
	v_fmac_f32_e32 v108, v102, v153
	v_fma_f32 v68, v97, v150, -v68
	v_add_f32_e32 v107, v107, v108
	s_waitcnt vmcnt(15) lgkmcnt(0)
	v_mul_f32_e32 v108, v103, v157
	v_add_f32_e32 v67, v67, v68
	v_mul_f32_e32 v68, v100, v151
	s_waitcnt vmcnt(14)
	v_fmac_f32_e32 v108, v104, v158
	v_fma_f32 v68, v99, v152, -v68
	v_add_f32_e32 v111, v107, v108
	ds_read_b128 v[107:110], v66 offset:464
	v_add_f32_e32 v67, v67, v68
	v_mul_f32_e32 v68, v102, v154
	v_fma_f32 v68, v101, v153, -v68
	v_add_f32_e32 v67, v67, v68
	v_mul_f32_e32 v68, v104, v157
	s_waitcnt vmcnt(12)
	v_mul_f32_e32 v112, v105, v160
	v_fma_f32 v68, v103, v158, -v68
	v_fmac_f32_e32 v112, v106, v159
	v_add_f32_e32 v67, v67, v68
	v_mul_f32_e32 v68, v106, v160
	v_add_f32_e32 v115, v111, v112
	ds_read_b128 v[111:114], v66 offset:480
	s_waitcnt vmcnt(11) lgkmcnt(1)
	v_mul_f32_e32 v116, v107, v161
	v_fma_f32 v68, v105, v159, -v68
	s_waitcnt vmcnt(10)
	v_fmac_f32_e32 v116, v108, v162
	v_add_f32_e32 v67, v67, v68
	v_mul_f32_e32 v68, v108, v161
	v_add_f32_e32 v115, v115, v116
	s_waitcnt vmcnt(8)
	v_mul_f32_e32 v116, v109, v164
	v_fma_f32 v68, v107, v162, -v68
	v_fmac_f32_e32 v116, v110, v163
	v_add_f32_e32 v67, v67, v68
	v_mul_f32_e32 v68, v110, v164
	v_add_f32_e32 v173, v115, v116
	ds_read_b128 v[115:118], v66 offset:496
	v_fma_f32 v68, v109, v163, -v68
	v_add_f32_e32 v67, v67, v68
	s_waitcnt vmcnt(6) lgkmcnt(1)
	v_mul_f32_e32 v68, v112, v166
	v_mul_f32_e32 v174, v111, v166
	v_fma_f32 v68, v111, v165, -v68
	v_fmac_f32_e32 v174, v112, v165
	v_add_f32_e32 v67, v67, v68
	s_waitcnt vmcnt(4)
	v_mul_f32_e32 v68, v114, v168
	v_add_f32_e32 v66, v173, v174
	v_mul_f32_e32 v173, v113, v168
	v_fma_f32 v68, v113, v167, -v68
	v_fmac_f32_e32 v173, v114, v167
	v_add_f32_e32 v67, v67, v68
	s_waitcnt vmcnt(2) lgkmcnt(0)
	v_mul_f32_e32 v68, v116, v170
	v_add_f32_e32 v66, v66, v173
	v_mul_f32_e32 v173, v115, v170
	v_fma_f32 v68, v115, v169, -v68
	v_fmac_f32_e32 v173, v116, v169
	v_add_f32_e32 v67, v67, v68
	s_waitcnt vmcnt(0)
	v_mul_f32_e32 v68, v118, v172
	v_add_f32_e32 v66, v66, v173
	v_mul_f32_e32 v173, v117, v172
	v_fma_f32 v68, v117, v171, -v68
	v_fmac_f32_e32 v173, v118, v171
	v_add_f32_e32 v67, v67, v68
	v_add_f32_e32 v66, v66, v173
	v_sub_f32_e32 v67, v155, v67
	v_sub_f32_e32 v66, v156, v66
	buffer_store_dword v67, off, s[0:3], 0 offset:40
	buffer_store_dword v66, off, s[0:3], 0 offset:44
	s_and_saveexec_b64 s[4:5], vcc
	s_cbranch_execz .LBB95_197
; %bb.196:
	buffer_load_dword v66, off, s[0:3], 0 offset:32
	buffer_load_dword v67, off, s[0:3], 0 offset:36
	v_mov_b32_e32 v68, 0
	buffer_store_dword v68, off, s[0:3], 0 offset:32
	buffer_store_dword v68, off, s[0:3], 0 offset:36
	s_waitcnt vmcnt(2)
	ds_write_b64 v65, v[66:67]
.LBB95_197:
	s_or_b64 exec, exec, s[4:5]
	s_waitcnt lgkmcnt(0)
	; wave barrier
	buffer_load_dword v121, off, s[0:3], 0 offset:44
	buffer_load_dword v122, off, s[0:3], 0 offset:52
	;; [unrolled: 1-line block ×56, first 2 shown]
	v_mov_b32_e32 v66, 0
	ds_read2_b64 v[67:70], v66 offset0:37 offset1:38
	ds_read2_b64 v[71:74], v66 offset0:39 offset1:40
	;; [unrolled: 1-line block ×6, first 2 shown]
	v_cmp_lt_u32_e32 vcc, 3, v0
	s_waitcnt vmcnt(55) lgkmcnt(5)
	v_mul_f32_e32 v91, v67, v121
	s_waitcnt vmcnt(54)
	v_mul_f32_e32 v92, v69, v122
	s_waitcnt vmcnt(53) lgkmcnt(4)
	v_mul_f32_e32 v93, v71, v123
	s_waitcnt vmcnt(52)
	v_mul_f32_e32 v94, v73, v124
	s_waitcnt vmcnt(51) lgkmcnt(3)
	v_mul_f32_e32 v95, v75, v125
	s_waitcnt vmcnt(50)
	v_mul_f32_e32 v96, v77, v126
	s_waitcnt vmcnt(49) lgkmcnt(2)
	v_mul_f32_e32 v97, v79, v127
	s_waitcnt vmcnt(48)
	v_mul_f32_e32 v98, v81, v128
	s_waitcnt vmcnt(47) lgkmcnt(1)
	v_mul_f32_e32 v99, v83, v129
	s_waitcnt vmcnt(46)
	v_fmac_f32_e32 v91, v68, v130
	s_waitcnt vmcnt(45)
	v_fmac_f32_e32 v92, v70, v131
	v_add_f32_e32 v91, 0, v91
	s_waitcnt vmcnt(44)
	v_fmac_f32_e32 v93, v72, v132
	v_add_f32_e32 v91, v91, v92
	;; [unrolled: 3-line block ×3, first 2 shown]
	v_mul_f32_e32 v68, v68, v121
	s_waitcnt vmcnt(42)
	v_fmac_f32_e32 v95, v76, v134
	v_add_f32_e32 v91, v91, v94
	v_fma_f32 v67, v67, v130, -v68
	v_mul_f32_e32 v68, v70, v122
	s_waitcnt vmcnt(41)
	v_fmac_f32_e32 v96, v78, v135
	v_add_f32_e32 v91, v91, v95
	v_add_f32_e32 v67, 0, v67
	v_fma_f32 v68, v69, v131, -v68
	s_waitcnt vmcnt(40)
	v_fmac_f32_e32 v97, v80, v136
	v_add_f32_e32 v91, v91, v96
	v_add_f32_e32 v67, v67, v68
	v_mul_f32_e32 v68, v72, v123
	s_waitcnt vmcnt(39)
	v_fmac_f32_e32 v98, v82, v137
	v_add_f32_e32 v91, v91, v97
	v_fma_f32 v68, v71, v132, -v68
	v_add_f32_e32 v91, v91, v98
	s_waitcnt vmcnt(38)
	v_fmac_f32_e32 v99, v84, v138
	s_waitcnt vmcnt(37)
	v_mul_f32_e32 v92, v85, v139
	v_add_f32_e32 v67, v67, v68
	v_mul_f32_e32 v68, v74, v124
	v_add_f32_e32 v91, v91, v99
	s_waitcnt vmcnt(36)
	v_fmac_f32_e32 v92, v86, v140
	v_fma_f32 v68, v73, v133, -v68
	v_add_f32_e32 v91, v91, v92
	s_waitcnt vmcnt(35) lgkmcnt(0)
	v_mul_f32_e32 v92, v87, v141
	v_add_f32_e32 v67, v67, v68
	v_mul_f32_e32 v68, v76, v125
	s_waitcnt vmcnt(34)
	v_fmac_f32_e32 v92, v88, v142
	v_fma_f32 v68, v75, v134, -v68
	v_add_f32_e32 v95, v91, v92
	ds_read2_b64 v[91:94], v66 offset0:49 offset1:50
	v_add_f32_e32 v67, v67, v68
	v_mul_f32_e32 v68, v78, v126
	v_fma_f32 v68, v77, v135, -v68
	s_waitcnt vmcnt(33)
	v_mul_f32_e32 v96, v89, v143
	v_add_f32_e32 v67, v67, v68
	v_mul_f32_e32 v68, v80, v127
	s_waitcnt vmcnt(32)
	v_fmac_f32_e32 v96, v90, v144
	v_fma_f32 v68, v79, v136, -v68
	v_add_f32_e32 v99, v95, v96
	ds_read2_b64 v[95:98], v66 offset0:51 offset1:52
	v_add_f32_e32 v67, v67, v68
	v_mul_f32_e32 v68, v82, v128
	s_waitcnt vmcnt(31) lgkmcnt(1)
	v_mul_f32_e32 v100, v91, v145
	v_fma_f32 v68, v81, v137, -v68
	s_waitcnt vmcnt(30)
	v_fmac_f32_e32 v100, v92, v146
	v_add_f32_e32 v67, v67, v68
	v_mul_f32_e32 v68, v84, v129
	v_add_f32_e32 v99, v99, v100
	s_waitcnt vmcnt(29)
	v_mul_f32_e32 v100, v93, v147
	v_fma_f32 v68, v83, v138, -v68
	s_waitcnt vmcnt(28)
	v_fmac_f32_e32 v100, v94, v148
	v_add_f32_e32 v67, v67, v68
	v_mul_f32_e32 v68, v86, v139
	v_add_f32_e32 v99, v99, v100
	s_waitcnt vmcnt(27) lgkmcnt(0)
	v_mul_f32_e32 v100, v95, v149
	v_fma_f32 v68, v85, v140, -v68
	s_waitcnt vmcnt(26)
	v_fmac_f32_e32 v100, v96, v150
	v_add_f32_e32 v67, v67, v68
	v_mul_f32_e32 v68, v88, v141
	v_add_f32_e32 v103, v99, v100
	ds_read2_b64 v[99:102], v66 offset0:53 offset1:54
	v_fma_f32 v68, v87, v142, -v68
	v_add_f32_e32 v67, v67, v68
	v_mul_f32_e32 v68, v90, v143
	s_waitcnt vmcnt(24)
	v_mul_f32_e32 v104, v97, v152
	v_fma_f32 v68, v89, v144, -v68
	v_fmac_f32_e32 v104, v98, v151
	v_add_f32_e32 v67, v67, v68
	v_mul_f32_e32 v68, v92, v145
	v_add_f32_e32 v107, v103, v104
	ds_read2_b64 v[103:106], v66 offset0:55 offset1:56
	v_fma_f32 v68, v91, v146, -v68
	s_waitcnt vmcnt(21) lgkmcnt(1)
	v_mul_f32_e32 v108, v99, v155
	v_add_f32_e32 v67, v67, v68
	v_mul_f32_e32 v68, v94, v147
	s_waitcnt vmcnt(20)
	v_fmac_f32_e32 v108, v100, v156
	v_fma_f32 v68, v93, v148, -v68
	v_add_f32_e32 v107, v107, v108
	s_waitcnt vmcnt(18)
	v_mul_f32_e32 v108, v101, v158
	v_add_f32_e32 v67, v67, v68
	v_mul_f32_e32 v68, v96, v149
	v_fmac_f32_e32 v108, v102, v157
	v_fma_f32 v68, v95, v150, -v68
	v_add_f32_e32 v107, v107, v108
	s_waitcnt vmcnt(16) lgkmcnt(0)
	v_mul_f32_e32 v108, v103, v160
	v_add_f32_e32 v67, v67, v68
	v_mul_f32_e32 v68, v98, v152
	v_fmac_f32_e32 v108, v104, v159
	v_fma_f32 v68, v97, v151, -v68
	v_add_f32_e32 v111, v107, v108
	ds_read2_b64 v[107:110], v66 offset0:57 offset1:58
	v_add_f32_e32 v67, v67, v68
	v_mul_f32_e32 v68, v100, v155
	v_fma_f32 v68, v99, v156, -v68
	s_waitcnt vmcnt(14)
	v_mul_f32_e32 v112, v105, v162
	v_add_f32_e32 v67, v67, v68
	v_mul_f32_e32 v68, v102, v158
	v_fmac_f32_e32 v112, v106, v161
	v_fma_f32 v68, v101, v157, -v68
	v_add_f32_e32 v115, v111, v112
	ds_read2_b64 v[111:114], v66 offset0:59 offset1:60
	v_add_f32_e32 v67, v67, v68
	v_mul_f32_e32 v68, v104, v160
	s_waitcnt vmcnt(12) lgkmcnt(1)
	v_mul_f32_e32 v116, v107, v164
	v_fma_f32 v68, v103, v159, -v68
	v_fmac_f32_e32 v116, v108, v163
	v_add_f32_e32 v67, v67, v68
	v_mul_f32_e32 v68, v106, v162
	v_add_f32_e32 v115, v115, v116
	s_waitcnt vmcnt(10)
	v_mul_f32_e32 v116, v109, v166
	v_fma_f32 v68, v105, v161, -v68
	v_fmac_f32_e32 v116, v110, v165
	v_add_f32_e32 v67, v67, v68
	v_mul_f32_e32 v68, v108, v164
	v_add_f32_e32 v115, v115, v116
	s_waitcnt vmcnt(8) lgkmcnt(0)
	v_mul_f32_e32 v116, v111, v168
	v_fma_f32 v68, v107, v163, -v68
	v_fmac_f32_e32 v116, v112, v167
	v_add_f32_e32 v67, v67, v68
	v_mul_f32_e32 v68, v110, v166
	v_add_f32_e32 v119, v115, v116
	ds_read2_b64 v[115:118], v66 offset0:61 offset1:62
	v_fma_f32 v68, v109, v165, -v68
	v_add_f32_e32 v67, v67, v68
	v_mul_f32_e32 v68, v112, v168
	s_waitcnt vmcnt(6)
	v_mul_f32_e32 v120, v113, v170
	v_fma_f32 v68, v111, v167, -v68
	v_fmac_f32_e32 v120, v114, v169
	v_add_f32_e32 v67, v67, v68
	v_mul_f32_e32 v68, v114, v170
	v_add_f32_e32 v177, v119, v120
	ds_read_b64 v[119:120], v66 offset:504
	v_fma_f32 v68, v113, v169, -v68
	v_add_f32_e32 v67, v67, v68
	s_waitcnt vmcnt(4) lgkmcnt(1)
	v_mul_f32_e32 v68, v116, v172
	v_mul_f32_e32 v178, v115, v172
	v_fma_f32 v68, v115, v171, -v68
	v_fmac_f32_e32 v178, v116, v171
	v_add_f32_e32 v67, v67, v68
	s_waitcnt vmcnt(2)
	v_mul_f32_e32 v68, v118, v174
	v_add_f32_e32 v177, v177, v178
	v_mul_f32_e32 v178, v117, v174
	v_fma_f32 v68, v117, v173, -v68
	v_fmac_f32_e32 v178, v118, v173
	v_add_f32_e32 v67, v67, v68
	s_waitcnt vmcnt(0) lgkmcnt(0)
	v_mul_f32_e32 v68, v120, v176
	v_add_f32_e32 v177, v177, v178
	v_mul_f32_e32 v178, v119, v176
	v_fma_f32 v68, v119, v175, -v68
	v_fmac_f32_e32 v178, v120, v175
	v_add_f32_e32 v67, v67, v68
	v_add_f32_e32 v177, v177, v178
	v_sub_f32_e32 v67, v153, v67
	v_sub_f32_e32 v68, v154, v177
	buffer_store_dword v67, off, s[0:3], 0 offset:32
	buffer_store_dword v68, off, s[0:3], 0 offset:36
	s_and_saveexec_b64 s[4:5], vcc
	s_cbranch_execz .LBB95_199
; %bb.198:
	buffer_load_dword v67, off, s[0:3], 0 offset:24
	buffer_load_dword v68, off, s[0:3], 0 offset:28
	s_waitcnt vmcnt(0)
	ds_write_b64 v65, v[67:68]
	buffer_store_dword v66, off, s[0:3], 0 offset:24
	buffer_store_dword v66, off, s[0:3], 0 offset:28
.LBB95_199:
	s_or_b64 exec, exec, s[4:5]
	s_waitcnt lgkmcnt(0)
	; wave barrier
	buffer_load_dword v123, off, s[0:3], 0 offset:36
	buffer_load_dword v124, off, s[0:3], 0 offset:44
	;; [unrolled: 1-line block ×34, first 2 shown]
	ds_read_b128 v[67:70], v66 offset:288
	ds_read_b128 v[71:74], v66 offset:304
	buffer_load_dword v157, off, s[0:3], 0 offset:164
	buffer_load_dword v158, off, s[0:3], 0 offset:160
	;; [unrolled: 1-line block ×6, first 2 shown]
	ds_read_b128 v[75:78], v66 offset:320
	ds_read_b128 v[79:82], v66 offset:336
	;; [unrolled: 1-line block ×4, first 2 shown]
	buffer_load_dword v163, off, s[0:3], 0 offset:188
	buffer_load_dword v164, off, s[0:3], 0 offset:184
	;; [unrolled: 1-line block ×18, first 2 shown]
	v_cmp_lt_u32_e32 vcc, 2, v0
	s_waitcnt vmcnt(57) lgkmcnt(5)
	v_mul_f32_e32 v91, v67, v123
	s_waitcnt vmcnt(56)
	v_mul_f32_e32 v92, v69, v124
	s_waitcnt vmcnt(55) lgkmcnt(4)
	v_mul_f32_e32 v93, v71, v125
	s_waitcnt vmcnt(54)
	v_mul_f32_e32 v94, v73, v126
	;; [unrolled: 4-line block ×4, first 2 shown]
	s_waitcnt vmcnt(49)
	v_fmac_f32_e32 v91, v68, v131
	s_waitcnt vmcnt(48)
	v_fmac_f32_e32 v92, v70, v132
	v_add_f32_e32 v91, 0, v91
	s_waitcnt vmcnt(47)
	v_fmac_f32_e32 v93, v72, v133
	v_add_f32_e32 v91, v91, v92
	;; [unrolled: 3-line block ×4, first 2 shown]
	v_mul_f32_e32 v68, v68, v123
	s_waitcnt vmcnt(44)
	v_fmac_f32_e32 v96, v78, v136
	v_add_f32_e32 v91, v91, v95
	v_fma_f32 v67, v67, v131, -v68
	v_mul_f32_e32 v68, v70, v124
	s_waitcnt vmcnt(43)
	v_fmac_f32_e32 v97, v80, v137
	v_add_f32_e32 v91, v91, v96
	v_add_f32_e32 v67, 0, v67
	v_fma_f32 v68, v69, v132, -v68
	s_waitcnt vmcnt(42)
	v_fmac_f32_e32 v98, v82, v138
	v_add_f32_e32 v91, v91, v97
	s_waitcnt vmcnt(41) lgkmcnt(1)
	v_mul_f32_e32 v92, v83, v139
	v_add_f32_e32 v67, v67, v68
	v_mul_f32_e32 v68, v72, v125
	v_add_f32_e32 v91, v91, v98
	s_waitcnt vmcnt(40)
	v_fmac_f32_e32 v92, v84, v140
	v_fma_f32 v68, v71, v133, -v68
	v_add_f32_e32 v91, v91, v92
	s_waitcnt vmcnt(39)
	v_mul_f32_e32 v92, v85, v141
	v_add_f32_e32 v67, v67, v68
	v_mul_f32_e32 v68, v74, v126
	s_waitcnt vmcnt(38)
	v_fmac_f32_e32 v92, v86, v142
	v_fma_f32 v68, v73, v134, -v68
	v_add_f32_e32 v91, v91, v92
	s_waitcnt vmcnt(37) lgkmcnt(0)
	v_mul_f32_e32 v92, v87, v143
	v_add_f32_e32 v67, v67, v68
	v_mul_f32_e32 v68, v76, v127
	s_waitcnt vmcnt(36)
	v_fmac_f32_e32 v92, v88, v144
	v_fma_f32 v68, v75, v135, -v68
	v_add_f32_e32 v95, v91, v92
	ds_read_b128 v[91:94], v66 offset:384
	v_add_f32_e32 v67, v67, v68
	v_mul_f32_e32 v68, v78, v128
	v_fma_f32 v68, v77, v136, -v68
	s_waitcnt vmcnt(35)
	v_mul_f32_e32 v96, v89, v145
	v_add_f32_e32 v67, v67, v68
	v_mul_f32_e32 v68, v80, v129
	s_waitcnt vmcnt(34)
	v_fmac_f32_e32 v96, v90, v146
	v_fma_f32 v68, v79, v137, -v68
	v_add_f32_e32 v99, v95, v96
	ds_read_b128 v[95:98], v66 offset:400
	v_add_f32_e32 v67, v67, v68
	v_mul_f32_e32 v68, v82, v130
	s_waitcnt vmcnt(33) lgkmcnt(1)
	v_mul_f32_e32 v100, v91, v147
	v_fma_f32 v68, v81, v138, -v68
	s_waitcnt vmcnt(32)
	v_fmac_f32_e32 v100, v92, v148
	v_add_f32_e32 v67, v67, v68
	v_mul_f32_e32 v68, v84, v139
	v_add_f32_e32 v99, v99, v100
	s_waitcnt vmcnt(31)
	v_mul_f32_e32 v100, v93, v149
	v_fma_f32 v68, v83, v140, -v68
	s_waitcnt vmcnt(30)
	v_fmac_f32_e32 v100, v94, v150
	v_add_f32_e32 v67, v67, v68
	v_mul_f32_e32 v68, v86, v141
	v_add_f32_e32 v99, v99, v100
	s_waitcnt vmcnt(29) lgkmcnt(0)
	v_mul_f32_e32 v100, v95, v151
	v_fma_f32 v68, v85, v142, -v68
	s_waitcnt vmcnt(28)
	v_fmac_f32_e32 v100, v96, v152
	v_add_f32_e32 v67, v67, v68
	v_mul_f32_e32 v68, v88, v143
	v_add_f32_e32 v103, v99, v100
	ds_read_b128 v[99:102], v66 offset:416
	v_fma_f32 v68, v87, v144, -v68
	v_add_f32_e32 v67, v67, v68
	v_mul_f32_e32 v68, v90, v145
	s_waitcnt vmcnt(25)
	v_mul_f32_e32 v104, v97, v155
	v_fma_f32 v68, v89, v146, -v68
	s_waitcnt vmcnt(24)
	v_fmac_f32_e32 v104, v98, v156
	v_add_f32_e32 v67, v67, v68
	v_mul_f32_e32 v68, v92, v147
	v_add_f32_e32 v107, v103, v104
	ds_read_b128 v[103:106], v66 offset:432
	v_fma_f32 v68, v91, v148, -v68
	s_waitcnt vmcnt(23) lgkmcnt(1)
	v_mul_f32_e32 v108, v99, v157
	v_add_f32_e32 v67, v67, v68
	v_mul_f32_e32 v68, v94, v149
	s_waitcnt vmcnt(22)
	v_fmac_f32_e32 v108, v100, v158
	v_fma_f32 v68, v93, v150, -v68
	v_add_f32_e32 v107, v107, v108
	s_waitcnt vmcnt(20)
	v_mul_f32_e32 v108, v101, v160
	v_add_f32_e32 v67, v67, v68
	v_mul_f32_e32 v68, v96, v151
	v_fmac_f32_e32 v108, v102, v159
	v_fma_f32 v68, v95, v152, -v68
	v_add_f32_e32 v107, v107, v108
	s_waitcnt vmcnt(18) lgkmcnt(0)
	v_mul_f32_e32 v108, v103, v162
	v_add_f32_e32 v67, v67, v68
	v_mul_f32_e32 v68, v98, v155
	v_fmac_f32_e32 v108, v104, v161
	v_fma_f32 v68, v97, v156, -v68
	v_add_f32_e32 v111, v107, v108
	ds_read_b128 v[107:110], v66 offset:448
	v_add_f32_e32 v67, v67, v68
	v_mul_f32_e32 v68, v100, v157
	v_fma_f32 v68, v99, v158, -v68
	s_waitcnt vmcnt(17)
	v_mul_f32_e32 v112, v105, v163
	v_add_f32_e32 v67, v67, v68
	v_mul_f32_e32 v68, v102, v160
	s_waitcnt vmcnt(16)
	v_fmac_f32_e32 v112, v106, v164
	v_fma_f32 v68, v101, v159, -v68
	v_add_f32_e32 v115, v111, v112
	ds_read_b128 v[111:114], v66 offset:464
	v_add_f32_e32 v67, v67, v68
	v_mul_f32_e32 v68, v104, v162
	s_waitcnt vmcnt(14) lgkmcnt(1)
	v_mul_f32_e32 v116, v107, v166
	v_fma_f32 v68, v103, v161, -v68
	v_fmac_f32_e32 v116, v108, v165
	v_add_f32_e32 v67, v67, v68
	v_mul_f32_e32 v68, v106, v163
	v_add_f32_e32 v115, v115, v116
	s_waitcnt vmcnt(12)
	v_mul_f32_e32 v116, v109, v168
	v_fma_f32 v68, v105, v164, -v68
	v_fmac_f32_e32 v116, v110, v167
	v_add_f32_e32 v67, v67, v68
	v_mul_f32_e32 v68, v108, v166
	v_add_f32_e32 v115, v115, v116
	s_waitcnt vmcnt(10) lgkmcnt(0)
	v_mul_f32_e32 v116, v111, v170
	v_fma_f32 v68, v107, v165, -v68
	v_fmac_f32_e32 v116, v112, v169
	v_add_f32_e32 v67, v67, v68
	v_mul_f32_e32 v68, v110, v168
	v_add_f32_e32 v119, v115, v116
	ds_read_b128 v[115:118], v66 offset:480
	v_fma_f32 v68, v109, v167, -v68
	v_add_f32_e32 v67, v67, v68
	v_mul_f32_e32 v68, v112, v170
	s_waitcnt vmcnt(8)
	v_mul_f32_e32 v120, v113, v172
	v_fma_f32 v68, v111, v169, -v68
	v_fmac_f32_e32 v120, v114, v171
	v_add_f32_e32 v67, v67, v68
	v_mul_f32_e32 v68, v114, v172
	v_add_f32_e32 v181, v119, v120
	ds_read_b128 v[119:122], v66 offset:496
	v_fma_f32 v68, v113, v171, -v68
	v_add_f32_e32 v67, v67, v68
	s_waitcnt vmcnt(6) lgkmcnt(1)
	v_mul_f32_e32 v68, v116, v174
	v_mul_f32_e32 v66, v115, v174
	v_fma_f32 v68, v115, v173, -v68
	v_fmac_f32_e32 v66, v116, v173
	v_add_f32_e32 v67, v67, v68
	s_waitcnt vmcnt(4)
	v_mul_f32_e32 v68, v118, v176
	v_add_f32_e32 v66, v181, v66
	v_mul_f32_e32 v181, v117, v176
	v_fma_f32 v68, v117, v175, -v68
	v_fmac_f32_e32 v181, v118, v175
	v_add_f32_e32 v67, v67, v68
	s_waitcnt vmcnt(2) lgkmcnt(0)
	v_mul_f32_e32 v68, v120, v178
	v_add_f32_e32 v66, v66, v181
	v_mul_f32_e32 v181, v119, v178
	v_fma_f32 v68, v119, v177, -v68
	v_fmac_f32_e32 v181, v120, v177
	v_add_f32_e32 v67, v67, v68
	s_waitcnt vmcnt(0)
	v_mul_f32_e32 v68, v122, v180
	v_add_f32_e32 v66, v66, v181
	v_mul_f32_e32 v181, v121, v180
	v_fma_f32 v68, v121, v179, -v68
	v_fmac_f32_e32 v181, v122, v179
	v_add_f32_e32 v67, v67, v68
	v_add_f32_e32 v66, v66, v181
	v_sub_f32_e32 v67, v153, v67
	v_sub_f32_e32 v66, v154, v66
	buffer_store_dword v67, off, s[0:3], 0 offset:24
	buffer_store_dword v66, off, s[0:3], 0 offset:28
	s_and_saveexec_b64 s[4:5], vcc
	s_cbranch_execz .LBB95_201
; %bb.200:
	buffer_load_dword v66, off, s[0:3], 0 offset:16
	buffer_load_dword v67, off, s[0:3], 0 offset:20
	v_mov_b32_e32 v68, 0
	buffer_store_dword v68, off, s[0:3], 0 offset:16
	buffer_store_dword v68, off, s[0:3], 0 offset:20
	s_waitcnt vmcnt(2)
	ds_write_b64 v65, v[66:67]
.LBB95_201:
	s_or_b64 exec, exec, s[4:5]
	s_waitcnt lgkmcnt(0)
	; wave barrier
	buffer_load_dword v125, off, s[0:3], 0 offset:28
	buffer_load_dword v126, off, s[0:3], 0 offset:36
	;; [unrolled: 1-line block ×60, first 2 shown]
	v_mov_b32_e32 v66, 0
	ds_read2_b64 v[67:70], v66 offset0:35 offset1:36
	ds_read2_b64 v[71:74], v66 offset0:37 offset1:38
	;; [unrolled: 1-line block ×5, first 2 shown]
	v_cmp_lt_u32_e32 vcc, 1, v0
	s_waitcnt vmcnt(59) lgkmcnt(4)
	v_mul_f32_e32 v87, v67, v125
	s_waitcnt vmcnt(58)
	v_mul_f32_e32 v88, v69, v126
	s_waitcnt vmcnt(57) lgkmcnt(3)
	v_mul_f32_e32 v89, v71, v127
	s_waitcnt vmcnt(56)
	v_mul_f32_e32 v90, v73, v128
	;; [unrolled: 4-line block ×3, first 2 shown]
	s_waitcnt vmcnt(53) lgkmcnt(1)
	v_mul_f32_e32 v93, v79, v131
	s_waitcnt vmcnt(52)
	v_fmac_f32_e32 v87, v68, v132
	s_waitcnt vmcnt(51)
	v_fmac_f32_e32 v88, v70, v133
	v_add_f32_e32 v87, 0, v87
	s_waitcnt vmcnt(50)
	v_fmac_f32_e32 v89, v72, v134
	v_add_f32_e32 v87, v87, v88
	;; [unrolled: 3-line block ×6, first 2 shown]
	s_waitcnt vmcnt(45)
	v_mul_f32_e32 v88, v81, v139
	v_add_f32_e32 v87, v87, v93
	s_waitcnt vmcnt(44)
	v_fmac_f32_e32 v88, v82, v140
	v_mul_f32_e32 v68, v68, v125
	v_add_f32_e32 v91, v87, v88
	ds_read2_b64 v[87:90], v66 offset0:45 offset1:46
	v_fma_f32 v67, v67, v132, -v68
	v_mul_f32_e32 v68, v70, v126
	s_waitcnt vmcnt(43) lgkmcnt(1)
	v_mul_f32_e32 v92, v83, v141
	v_add_f32_e32 v67, 0, v67
	v_fma_f32 v68, v69, v133, -v68
	s_waitcnt vmcnt(42)
	v_fmac_f32_e32 v92, v84, v142
	v_add_f32_e32 v67, v67, v68
	v_mul_f32_e32 v68, v72, v127
	v_add_f32_e32 v91, v91, v92
	s_waitcnt vmcnt(41)
	v_mul_f32_e32 v92, v85, v143
	v_fma_f32 v68, v71, v134, -v68
	s_waitcnt vmcnt(40)
	v_fmac_f32_e32 v92, v86, v144
	v_add_f32_e32 v67, v67, v68
	v_mul_f32_e32 v68, v74, v128
	v_add_f32_e32 v91, v91, v92
	s_waitcnt vmcnt(39) lgkmcnt(0)
	v_mul_f32_e32 v92, v87, v145
	v_fma_f32 v68, v73, v135, -v68
	s_waitcnt vmcnt(38)
	v_fmac_f32_e32 v92, v88, v146
	v_add_f32_e32 v67, v67, v68
	v_mul_f32_e32 v68, v76, v129
	v_add_f32_e32 v95, v91, v92
	ds_read2_b64 v[91:94], v66 offset0:47 offset1:48
	v_fma_f32 v68, v75, v136, -v68
	v_add_f32_e32 v67, v67, v68
	v_mul_f32_e32 v68, v78, v130
	s_waitcnt vmcnt(37)
	v_mul_f32_e32 v96, v89, v147
	v_fma_f32 v68, v77, v137, -v68
	s_waitcnt vmcnt(36)
	v_fmac_f32_e32 v96, v90, v148
	v_add_f32_e32 v67, v67, v68
	v_mul_f32_e32 v68, v80, v131
	v_add_f32_e32 v99, v95, v96
	ds_read2_b64 v[95:98], v66 offset0:49 offset1:50
	v_fma_f32 v68, v79, v138, -v68
	s_waitcnt vmcnt(34) lgkmcnt(1)
	v_mul_f32_e32 v100, v91, v150
	v_add_f32_e32 v67, v67, v68
	v_mul_f32_e32 v68, v82, v139
	v_fmac_f32_e32 v100, v92, v149
	v_fma_f32 v68, v81, v140, -v68
	v_add_f32_e32 v99, v99, v100
	s_waitcnt vmcnt(31)
	v_mul_f32_e32 v100, v93, v153
	v_add_f32_e32 v67, v67, v68
	v_mul_f32_e32 v68, v84, v141
	s_waitcnt vmcnt(30)
	v_fmac_f32_e32 v100, v94, v154
	v_fma_f32 v68, v83, v142, -v68
	v_add_f32_e32 v99, v99, v100
	s_waitcnt vmcnt(28) lgkmcnt(0)
	v_mul_f32_e32 v100, v95, v156
	v_add_f32_e32 v67, v67, v68
	v_mul_f32_e32 v68, v86, v143
	v_fmac_f32_e32 v100, v96, v155
	v_fma_f32 v68, v85, v144, -v68
	v_add_f32_e32 v103, v99, v100
	ds_read2_b64 v[99:102], v66 offset0:51 offset1:52
	v_add_f32_e32 v67, v67, v68
	v_mul_f32_e32 v68, v88, v145
	v_fma_f32 v68, v87, v146, -v68
	s_waitcnt vmcnt(26)
	v_mul_f32_e32 v104, v97, v158
	v_add_f32_e32 v67, v67, v68
	v_mul_f32_e32 v68, v90, v147
	v_fmac_f32_e32 v104, v98, v157
	v_fma_f32 v68, v89, v148, -v68
	v_add_f32_e32 v107, v103, v104
	ds_read2_b64 v[103:106], v66 offset0:53 offset1:54
	v_add_f32_e32 v67, v67, v68
	v_mul_f32_e32 v68, v92, v150
	s_waitcnt vmcnt(24) lgkmcnt(1)
	v_mul_f32_e32 v108, v99, v160
	v_fma_f32 v68, v91, v149, -v68
	v_fmac_f32_e32 v108, v100, v159
	v_add_f32_e32 v67, v67, v68
	v_mul_f32_e32 v68, v94, v153
	v_add_f32_e32 v107, v107, v108
	s_waitcnt vmcnt(22)
	v_mul_f32_e32 v108, v101, v162
	v_fma_f32 v68, v93, v154, -v68
	v_fmac_f32_e32 v108, v102, v161
	v_add_f32_e32 v67, v67, v68
	v_mul_f32_e32 v68, v96, v156
	v_add_f32_e32 v107, v107, v108
	s_waitcnt vmcnt(20) lgkmcnt(0)
	v_mul_f32_e32 v108, v103, v164
	v_fma_f32 v68, v95, v155, -v68
	v_fmac_f32_e32 v108, v104, v163
	v_add_f32_e32 v67, v67, v68
	v_mul_f32_e32 v68, v98, v158
	v_add_f32_e32 v111, v107, v108
	ds_read2_b64 v[107:110], v66 offset0:55 offset1:56
	v_fma_f32 v68, v97, v157, -v68
	v_add_f32_e32 v67, v67, v68
	v_mul_f32_e32 v68, v100, v160
	s_waitcnt vmcnt(18)
	v_mul_f32_e32 v112, v105, v166
	v_fma_f32 v68, v99, v159, -v68
	v_fmac_f32_e32 v112, v106, v165
	v_add_f32_e32 v67, v67, v68
	v_mul_f32_e32 v68, v102, v162
	v_add_f32_e32 v115, v111, v112
	ds_read2_b64 v[111:114], v66 offset0:57 offset1:58
	v_fma_f32 v68, v101, v161, -v68
	s_waitcnt vmcnt(16) lgkmcnt(1)
	v_mul_f32_e32 v116, v107, v168
	v_add_f32_e32 v67, v67, v68
	v_mul_f32_e32 v68, v104, v164
	v_fmac_f32_e32 v116, v108, v167
	v_fma_f32 v68, v103, v163, -v68
	v_add_f32_e32 v115, v115, v116
	s_waitcnt vmcnt(14)
	v_mul_f32_e32 v116, v109, v170
	v_add_f32_e32 v67, v67, v68
	v_mul_f32_e32 v68, v106, v166
	v_fmac_f32_e32 v116, v110, v169
	v_fma_f32 v68, v105, v165, -v68
	v_add_f32_e32 v115, v115, v116
	s_waitcnt vmcnt(12) lgkmcnt(0)
	v_mul_f32_e32 v116, v111, v172
	v_add_f32_e32 v67, v67, v68
	v_mul_f32_e32 v68, v108, v168
	v_fmac_f32_e32 v116, v112, v171
	v_fma_f32 v68, v107, v167, -v68
	v_add_f32_e32 v119, v115, v116
	ds_read2_b64 v[115:118], v66 offset0:59 offset1:60
	v_add_f32_e32 v67, v67, v68
	v_mul_f32_e32 v68, v110, v170
	v_fma_f32 v68, v109, v169, -v68
	v_add_f32_e32 v67, v67, v68
	v_mul_f32_e32 v68, v112, v172
	s_waitcnt vmcnt(10)
	v_mul_f32_e32 v120, v113, v174
	v_fma_f32 v68, v111, v171, -v68
	v_fmac_f32_e32 v120, v114, v173
	v_add_f32_e32 v67, v67, v68
	v_mul_f32_e32 v68, v114, v174
	v_add_f32_e32 v123, v119, v120
	ds_read2_b64 v[119:122], v66 offset0:61 offset1:62
	s_waitcnt vmcnt(8) lgkmcnt(1)
	v_mul_f32_e32 v124, v115, v176
	v_fma_f32 v68, v113, v173, -v68
	v_fmac_f32_e32 v124, v116, v175
	v_add_f32_e32 v67, v67, v68
	v_mul_f32_e32 v68, v116, v176
	v_add_f32_e32 v123, v123, v124
	s_waitcnt vmcnt(6)
	v_mul_f32_e32 v124, v117, v178
	v_fma_f32 v68, v115, v175, -v68
	v_fmac_f32_e32 v124, v118, v177
	v_add_f32_e32 v67, v67, v68
	v_mul_f32_e32 v68, v118, v178
	v_add_f32_e32 v185, v123, v124
	ds_read_b64 v[123:124], v66 offset:504
	v_fma_f32 v68, v117, v177, -v68
	v_add_f32_e32 v67, v67, v68
	s_waitcnt vmcnt(4) lgkmcnt(1)
	v_mul_f32_e32 v68, v120, v180
	v_mul_f32_e32 v186, v119, v180
	v_fma_f32 v68, v119, v179, -v68
	v_fmac_f32_e32 v186, v120, v179
	v_add_f32_e32 v67, v67, v68
	s_waitcnt vmcnt(2)
	v_mul_f32_e32 v68, v122, v182
	v_add_f32_e32 v185, v185, v186
	v_mul_f32_e32 v186, v121, v182
	v_fma_f32 v68, v121, v181, -v68
	v_fmac_f32_e32 v186, v122, v181
	v_add_f32_e32 v67, v67, v68
	s_waitcnt vmcnt(0) lgkmcnt(0)
	v_mul_f32_e32 v68, v124, v184
	v_add_f32_e32 v185, v185, v186
	v_mul_f32_e32 v186, v123, v184
	v_fma_f32 v68, v123, v183, -v68
	v_fmac_f32_e32 v186, v124, v183
	v_add_f32_e32 v67, v67, v68
	v_add_f32_e32 v185, v185, v186
	v_sub_f32_e32 v67, v151, v67
	v_sub_f32_e32 v68, v152, v185
	buffer_store_dword v67, off, s[0:3], 0 offset:16
	buffer_store_dword v68, off, s[0:3], 0 offset:20
	s_and_saveexec_b64 s[4:5], vcc
	s_cbranch_execz .LBB95_203
; %bb.202:
	buffer_load_dword v67, off, s[0:3], 0 offset:8
	buffer_load_dword v68, off, s[0:3], 0 offset:12
	s_waitcnt vmcnt(0)
	ds_write_b64 v65, v[67:68]
	buffer_store_dword v66, off, s[0:3], 0 offset:8
	buffer_store_dword v66, off, s[0:3], 0 offset:12
.LBB95_203:
	s_or_b64 exec, exec, s[4:5]
	s_waitcnt lgkmcnt(0)
	; wave barrier
	buffer_load_dword v127, off, s[0:3], 0 offset:20
	buffer_load_dword v128, off, s[0:3], 0 offset:28
	;; [unrolled: 1-line block ×32, first 2 shown]
	ds_read_b128 v[67:70], v66 offset:272
	ds_read_b128 v[71:74], v66 offset:288
	;; [unrolled: 1-line block ×4, first 2 shown]
	buffer_load_dword v159, off, s[0:3], 0 offset:140
	buffer_load_dword v160, off, s[0:3], 0 offset:136
	;; [unrolled: 1-line block ×30, first 2 shown]
	v_cmp_ne_u32_e32 vcc, 0, v0
	s_waitcnt vmcnt(61) lgkmcnt(3)
	v_mul_f32_e32 v83, v67, v127
	s_waitcnt vmcnt(60)
	v_mul_f32_e32 v84, v69, v128
	s_waitcnt vmcnt(59) lgkmcnt(2)
	v_mul_f32_e32 v85, v71, v129
	s_waitcnt vmcnt(58)
	v_mul_f32_e32 v86, v73, v130
	s_waitcnt vmcnt(57) lgkmcnt(1)
	v_mul_f32_e32 v87, v75, v131
	s_waitcnt vmcnt(56)
	v_mul_f32_e32 v88, v77, v132
	s_waitcnt vmcnt(55) lgkmcnt(0)
	v_mul_f32_e32 v89, v79, v133
	s_waitcnt vmcnt(54)
	v_fmac_f32_e32 v83, v68, v134
	s_waitcnt vmcnt(53)
	v_fmac_f32_e32 v84, v70, v135
	v_add_f32_e32 v83, 0, v83
	s_waitcnt vmcnt(52)
	v_fmac_f32_e32 v85, v72, v136
	v_add_f32_e32 v83, v83, v84
	;; [unrolled: 3-line block ×6, first 2 shown]
	v_add_f32_e32 v87, v83, v89
	ds_read_b128 v[83:86], v66 offset:336
	s_waitcnt vmcnt(47)
	v_mul_f32_e32 v88, v81, v141
	s_waitcnt vmcnt(46)
	v_fmac_f32_e32 v88, v82, v142
	v_mul_f32_e32 v68, v68, v127
	v_add_f32_e32 v91, v87, v88
	ds_read_b128 v[87:90], v66 offset:352
	v_fma_f32 v67, v67, v134, -v68
	v_mul_f32_e32 v68, v70, v128
	s_waitcnt vmcnt(45) lgkmcnt(1)
	v_mul_f32_e32 v92, v83, v143
	v_add_f32_e32 v67, 0, v67
	v_fma_f32 v68, v69, v135, -v68
	s_waitcnt vmcnt(44)
	v_fmac_f32_e32 v92, v84, v144
	v_add_f32_e32 v67, v67, v68
	v_mul_f32_e32 v68, v72, v129
	v_add_f32_e32 v91, v91, v92
	s_waitcnt vmcnt(43)
	v_mul_f32_e32 v92, v85, v145
	v_fma_f32 v68, v71, v136, -v68
	s_waitcnt vmcnt(42)
	v_fmac_f32_e32 v92, v86, v146
	v_add_f32_e32 v67, v67, v68
	v_mul_f32_e32 v68, v74, v130
	v_add_f32_e32 v91, v91, v92
	s_waitcnt vmcnt(41) lgkmcnt(0)
	v_mul_f32_e32 v92, v87, v147
	v_fma_f32 v68, v73, v137, -v68
	s_waitcnt vmcnt(40)
	v_fmac_f32_e32 v92, v88, v148
	v_add_f32_e32 v67, v67, v68
	v_mul_f32_e32 v68, v76, v131
	v_add_f32_e32 v95, v91, v92
	ds_read_b128 v[91:94], v66 offset:368
	v_fma_f32 v68, v75, v138, -v68
	v_add_f32_e32 v67, v67, v68
	v_mul_f32_e32 v68, v78, v132
	s_waitcnt vmcnt(39)
	v_mul_f32_e32 v96, v89, v149
	v_fma_f32 v68, v77, v139, -v68
	s_waitcnt vmcnt(38)
	v_fmac_f32_e32 v96, v90, v150
	v_add_f32_e32 v67, v67, v68
	v_mul_f32_e32 v68, v80, v133
	v_add_f32_e32 v99, v95, v96
	ds_read_b128 v[95:98], v66 offset:384
	v_fma_f32 v68, v79, v140, -v68
	s_waitcnt vmcnt(35) lgkmcnt(1)
	v_mul_f32_e32 v100, v91, v153
	v_add_f32_e32 v67, v67, v68
	v_mul_f32_e32 v68, v82, v141
	s_waitcnt vmcnt(34)
	v_fmac_f32_e32 v100, v92, v154
	v_fma_f32 v68, v81, v142, -v68
	v_add_f32_e32 v99, v99, v100
	s_waitcnt vmcnt(32)
	v_mul_f32_e32 v100, v93, v156
	v_add_f32_e32 v67, v67, v68
	v_mul_f32_e32 v68, v84, v143
	v_fmac_f32_e32 v100, v94, v155
	v_fma_f32 v68, v83, v144, -v68
	v_add_f32_e32 v99, v99, v100
	s_waitcnt vmcnt(30) lgkmcnt(0)
	v_mul_f32_e32 v100, v95, v158
	v_add_f32_e32 v67, v67, v68
	v_mul_f32_e32 v68, v86, v145
	v_fmac_f32_e32 v100, v96, v157
	v_fma_f32 v68, v85, v146, -v68
	v_add_f32_e32 v103, v99, v100
	ds_read_b128 v[99:102], v66 offset:400
	v_add_f32_e32 v67, v67, v68
	v_mul_f32_e32 v68, v88, v147
	v_fma_f32 v68, v87, v148, -v68
	s_waitcnt vmcnt(29)
	v_mul_f32_e32 v104, v97, v159
	v_add_f32_e32 v67, v67, v68
	v_mul_f32_e32 v68, v90, v149
	s_waitcnt vmcnt(28)
	v_fmac_f32_e32 v104, v98, v160
	v_fma_f32 v68, v89, v150, -v68
	v_add_f32_e32 v107, v103, v104
	ds_read_b128 v[103:106], v66 offset:416
	v_add_f32_e32 v67, v67, v68
	v_mul_f32_e32 v68, v92, v153
	s_waitcnt vmcnt(26) lgkmcnt(1)
	v_mul_f32_e32 v108, v99, v162
	v_fma_f32 v68, v91, v154, -v68
	v_fmac_f32_e32 v108, v100, v161
	v_add_f32_e32 v67, v67, v68
	v_mul_f32_e32 v68, v94, v156
	v_add_f32_e32 v107, v107, v108
	s_waitcnt vmcnt(24)
	v_mul_f32_e32 v108, v101, v164
	v_fma_f32 v68, v93, v155, -v68
	v_fmac_f32_e32 v108, v102, v163
	v_add_f32_e32 v67, v67, v68
	v_mul_f32_e32 v68, v96, v158
	v_add_f32_e32 v107, v107, v108
	s_waitcnt vmcnt(22) lgkmcnt(0)
	v_mul_f32_e32 v108, v103, v166
	v_fma_f32 v68, v95, v157, -v68
	v_fmac_f32_e32 v108, v104, v165
	v_add_f32_e32 v67, v67, v68
	v_mul_f32_e32 v68, v98, v159
	v_add_f32_e32 v111, v107, v108
	ds_read_b128 v[107:110], v66 offset:432
	v_fma_f32 v68, v97, v160, -v68
	v_add_f32_e32 v67, v67, v68
	v_mul_f32_e32 v68, v100, v162
	s_waitcnt vmcnt(20)
	v_mul_f32_e32 v112, v105, v168
	v_fma_f32 v68, v99, v161, -v68
	v_fmac_f32_e32 v112, v106, v167
	v_add_f32_e32 v67, v67, v68
	v_mul_f32_e32 v68, v102, v164
	v_add_f32_e32 v115, v111, v112
	ds_read_b128 v[111:114], v66 offset:448
	v_fma_f32 v68, v101, v163, -v68
	s_waitcnt vmcnt(18) lgkmcnt(1)
	v_mul_f32_e32 v116, v107, v170
	v_add_f32_e32 v67, v67, v68
	v_mul_f32_e32 v68, v104, v166
	v_fmac_f32_e32 v116, v108, v169
	v_fma_f32 v68, v103, v165, -v68
	v_add_f32_e32 v115, v115, v116
	s_waitcnt vmcnt(16)
	v_mul_f32_e32 v116, v109, v172
	v_add_f32_e32 v67, v67, v68
	v_mul_f32_e32 v68, v106, v168
	v_fmac_f32_e32 v116, v110, v171
	v_fma_f32 v68, v105, v167, -v68
	v_add_f32_e32 v115, v115, v116
	s_waitcnt vmcnt(14) lgkmcnt(0)
	v_mul_f32_e32 v116, v111, v174
	v_add_f32_e32 v67, v67, v68
	v_mul_f32_e32 v68, v108, v170
	v_fmac_f32_e32 v116, v112, v173
	v_fma_f32 v68, v107, v169, -v68
	v_add_f32_e32 v119, v115, v116
	ds_read_b128 v[115:118], v66 offset:464
	v_add_f32_e32 v67, v67, v68
	v_mul_f32_e32 v68, v110, v172
	v_fma_f32 v68, v109, v171, -v68
	v_add_f32_e32 v67, v67, v68
	v_mul_f32_e32 v68, v112, v174
	s_waitcnt vmcnt(12)
	v_mul_f32_e32 v120, v113, v176
	v_fma_f32 v68, v111, v173, -v68
	v_fmac_f32_e32 v120, v114, v175
	v_add_f32_e32 v67, v67, v68
	v_mul_f32_e32 v68, v114, v176
	v_add_f32_e32 v123, v119, v120
	ds_read_b128 v[119:122], v66 offset:480
	s_waitcnt vmcnt(10) lgkmcnt(1)
	v_mul_f32_e32 v124, v115, v178
	v_fma_f32 v68, v113, v175, -v68
	v_fmac_f32_e32 v124, v116, v177
	v_add_f32_e32 v67, v67, v68
	v_mul_f32_e32 v68, v116, v178
	v_add_f32_e32 v123, v123, v124
	s_waitcnt vmcnt(8)
	v_mul_f32_e32 v124, v117, v180
	v_fma_f32 v68, v115, v177, -v68
	v_fmac_f32_e32 v124, v118, v179
	v_add_f32_e32 v67, v67, v68
	v_mul_f32_e32 v68, v118, v180
	v_add_f32_e32 v189, v123, v124
	ds_read_b128 v[123:126], v66 offset:496
	v_fma_f32 v68, v117, v179, -v68
	v_add_f32_e32 v67, v67, v68
	s_waitcnt vmcnt(6) lgkmcnt(1)
	v_mul_f32_e32 v68, v120, v182
	v_mul_f32_e32 v190, v119, v182
	v_fma_f32 v68, v119, v181, -v68
	v_fmac_f32_e32 v190, v120, v181
	v_add_f32_e32 v67, v67, v68
	s_waitcnt vmcnt(4)
	v_mul_f32_e32 v68, v122, v184
	v_add_f32_e32 v66, v189, v190
	v_mul_f32_e32 v189, v121, v184
	v_fma_f32 v68, v121, v183, -v68
	v_fmac_f32_e32 v189, v122, v183
	v_add_f32_e32 v67, v67, v68
	s_waitcnt vmcnt(2) lgkmcnt(0)
	v_mul_f32_e32 v68, v124, v186
	v_add_f32_e32 v66, v66, v189
	v_mul_f32_e32 v189, v123, v186
	v_fma_f32 v68, v123, v185, -v68
	v_fmac_f32_e32 v189, v124, v185
	v_add_f32_e32 v67, v67, v68
	s_waitcnt vmcnt(0)
	v_mul_f32_e32 v68, v126, v188
	v_add_f32_e32 v66, v66, v189
	v_mul_f32_e32 v189, v125, v188
	v_fma_f32 v68, v125, v187, -v68
	v_fmac_f32_e32 v189, v126, v187
	v_add_f32_e32 v67, v67, v68
	v_add_f32_e32 v66, v66, v189
	v_sub_f32_e32 v67, v151, v67
	v_sub_f32_e32 v66, v152, v66
	buffer_store_dword v67, off, s[0:3], 0 offset:8
	buffer_store_dword v66, off, s[0:3], 0 offset:12
	s_and_saveexec_b64 s[4:5], vcc
	s_cbranch_execz .LBB95_205
; %bb.204:
	buffer_load_dword v66, off, s[0:3], 0
	buffer_load_dword v67, off, s[0:3], 0 offset:4
	v_mov_b32_e32 v0, 0
	buffer_store_dword v0, off, s[0:3], 0
	buffer_store_dword v0, off, s[0:3], 0 offset:4
	s_waitcnt vmcnt(2)
	ds_write_b64 v65, v[66:67]
.LBB95_205:
	s_or_b64 exec, exec, s[4:5]
	s_waitcnt lgkmcnt(0)
	; wave barrier
	buffer_load_dword v127, off, s[0:3], 0 offset:12
	buffer_load_dword v128, off, s[0:3], 0 offset:20
	;; [unrolled: 1-line block ×22, first 2 shown]
	buffer_load_dword v149, off, s[0:3], 0
	buffer_load_dword v150, off, s[0:3], 0 offset:4
	buffer_load_dword v151, off, s[0:3], 0 offset:100
	;; [unrolled: 1-line block ×33, first 2 shown]
	v_mov_b32_e32 v0, 0
	ds_read2_b64 v[65:68], v0 offset0:33 offset1:34
	buffer_load_dword v183, off, s[0:3], 0 offset:224
	buffer_load_dword v184, off, s[0:3], 0 offset:228
	buffer_load_dword v185, off, s[0:3], 0 offset:232
	buffer_load_dword v186, off, s[0:3], 0 offset:236
	ds_read2_b64 v[69:72], v0 offset0:35 offset1:36
	ds_read2_b64 v[73:76], v0 offset0:37 offset1:38
	;; [unrolled: 1-line block ×3, first 2 shown]
	s_and_b64 vcc, exec, s[14:15]
	s_waitcnt vmcnt(59) lgkmcnt(3)
	v_mul_f32_e32 v81, v65, v127
	s_waitcnt vmcnt(58)
	v_mul_f32_e32 v82, v67, v128
	s_waitcnt vmcnt(57) lgkmcnt(2)
	v_mul_f32_e32 v83, v69, v129
	s_waitcnt vmcnt(56)
	v_mul_f32_e32 v84, v71, v130
	;; [unrolled: 4-line block ×4, first 2 shown]
	s_waitcnt vmcnt(51)
	v_fmac_f32_e32 v81, v66, v135
	s_waitcnt vmcnt(50)
	v_fmac_f32_e32 v82, v68, v136
	v_add_f32_e32 v81, 0, v81
	s_waitcnt vmcnt(49)
	v_fmac_f32_e32 v83, v70, v137
	v_add_f32_e32 v81, v81, v82
	;; [unrolled: 3-line block ×6, first 2 shown]
	v_add_f32_e32 v85, v81, v87
	ds_read2_b64 v[81:84], v0 offset0:41 offset1:42
	buffer_load_dword v187, off, s[0:3], 0 offset:244
	buffer_load_dword v188, off, s[0:3], 0 offset:240
	;; [unrolled: 1-line block ×4, first 2 shown]
	s_waitcnt vmcnt(48)
	v_fmac_f32_e32 v88, v80, v142
	v_add_f32_e32 v89, v85, v88
	ds_read2_b64 v[85:88], v0 offset0:43 offset1:44
	s_waitcnt vmcnt(47) lgkmcnt(1)
	v_mul_f32_e32 v90, v81, v143
	v_mul_f32_e32 v66, v66, v127
	s_waitcnt vmcnt(46)
	v_fmac_f32_e32 v90, v82, v144
	v_fma_f32 v65, v65, v135, -v66
	v_mul_f32_e32 v66, v68, v128
	v_add_f32_e32 v89, v89, v90
	s_waitcnt vmcnt(45)
	v_mul_f32_e32 v90, v83, v145
	v_add_f32_e32 v65, 0, v65
	v_fma_f32 v66, v67, v136, -v66
	s_waitcnt vmcnt(44)
	v_fmac_f32_e32 v90, v84, v146
	v_add_f32_e32 v65, v65, v66
	v_mul_f32_e32 v66, v70, v129
	v_add_f32_e32 v89, v89, v90
	s_waitcnt vmcnt(42) lgkmcnt(0)
	v_mul_f32_e32 v90, v85, v148
	v_fma_f32 v66, v69, v137, -v66
	v_fmac_f32_e32 v90, v86, v147
	v_add_f32_e32 v65, v65, v66
	v_mul_f32_e32 v66, v72, v130
	v_add_f32_e32 v93, v89, v90
	ds_read2_b64 v[89:92], v0 offset0:45 offset1:46
	v_fma_f32 v66, v71, v138, -v66
	v_add_f32_e32 v65, v65, v66
	v_mul_f32_e32 v66, v74, v131
	s_waitcnt vmcnt(39)
	v_mul_f32_e32 v94, v87, v151
	v_fma_f32 v66, v73, v139, -v66
	s_waitcnt vmcnt(38)
	v_fmac_f32_e32 v94, v88, v152
	v_add_f32_e32 v65, v65, v66
	v_mul_f32_e32 v66, v76, v132
	v_add_f32_e32 v97, v93, v94
	ds_read2_b64 v[93:96], v0 offset0:47 offset1:48
	v_fma_f32 v66, v75, v140, -v66
	s_waitcnt vmcnt(36) lgkmcnt(1)
	v_mul_f32_e32 v98, v89, v154
	v_add_f32_e32 v65, v65, v66
	v_mul_f32_e32 v66, v78, v133
	v_fmac_f32_e32 v98, v90, v153
	v_fma_f32 v66, v77, v141, -v66
	v_add_f32_e32 v97, v97, v98
	s_waitcnt vmcnt(34)
	v_mul_f32_e32 v98, v91, v156
	v_add_f32_e32 v65, v65, v66
	v_mul_f32_e32 v66, v80, v134
	v_fmac_f32_e32 v98, v92, v155
	v_fma_f32 v66, v79, v142, -v66
	v_add_f32_e32 v97, v97, v98
	s_waitcnt vmcnt(32) lgkmcnt(0)
	v_mul_f32_e32 v98, v93, v158
	v_add_f32_e32 v65, v65, v66
	v_mul_f32_e32 v66, v82, v143
	v_fmac_f32_e32 v98, v94, v157
	v_fma_f32 v66, v81, v144, -v66
	v_add_f32_e32 v101, v97, v98
	ds_read2_b64 v[97:100], v0 offset0:49 offset1:50
	v_add_f32_e32 v65, v65, v66
	v_mul_f32_e32 v66, v84, v145
	v_fma_f32 v66, v83, v146, -v66
	s_waitcnt vmcnt(30)
	v_mul_f32_e32 v102, v95, v160
	v_add_f32_e32 v65, v65, v66
	v_mul_f32_e32 v66, v86, v148
	v_fmac_f32_e32 v102, v96, v159
	v_fma_f32 v66, v85, v147, -v66
	v_add_f32_e32 v105, v101, v102
	ds_read2_b64 v[101:104], v0 offset0:51 offset1:52
	v_add_f32_e32 v65, v65, v66
	v_mul_f32_e32 v66, v88, v151
	s_waitcnt vmcnt(28) lgkmcnt(1)
	v_mul_f32_e32 v106, v97, v162
	v_fma_f32 v66, v87, v152, -v66
	v_fmac_f32_e32 v106, v98, v161
	v_add_f32_e32 v65, v65, v66
	v_mul_f32_e32 v66, v90, v154
	v_add_f32_e32 v105, v105, v106
	s_waitcnt vmcnt(26)
	v_mul_f32_e32 v106, v99, v164
	v_fma_f32 v66, v89, v153, -v66
	v_fmac_f32_e32 v106, v100, v163
	v_add_f32_e32 v65, v65, v66
	v_mul_f32_e32 v66, v92, v156
	v_add_f32_e32 v105, v105, v106
	s_waitcnt vmcnt(24) lgkmcnt(0)
	v_mul_f32_e32 v106, v101, v166
	v_fma_f32 v66, v91, v155, -v66
	v_fmac_f32_e32 v106, v102, v165
	v_add_f32_e32 v65, v65, v66
	v_mul_f32_e32 v66, v94, v158
	v_add_f32_e32 v109, v105, v106
	ds_read2_b64 v[105:108], v0 offset0:53 offset1:54
	v_fma_f32 v66, v93, v157, -v66
	v_add_f32_e32 v65, v65, v66
	v_mul_f32_e32 v66, v96, v160
	s_waitcnt vmcnt(22)
	v_mul_f32_e32 v110, v103, v168
	v_fma_f32 v66, v95, v159, -v66
	v_fmac_f32_e32 v110, v104, v167
	v_add_f32_e32 v65, v65, v66
	v_mul_f32_e32 v66, v98, v162
	v_add_f32_e32 v113, v109, v110
	ds_read2_b64 v[109:112], v0 offset0:55 offset1:56
	v_fma_f32 v66, v97, v161, -v66
	s_waitcnt vmcnt(20) lgkmcnt(1)
	v_mul_f32_e32 v114, v105, v170
	v_add_f32_e32 v65, v65, v66
	v_mul_f32_e32 v66, v100, v164
	v_fmac_f32_e32 v114, v106, v169
	v_fma_f32 v66, v99, v163, -v66
	v_add_f32_e32 v113, v113, v114
	s_waitcnt vmcnt(18)
	v_mul_f32_e32 v114, v107, v172
	v_add_f32_e32 v65, v65, v66
	v_mul_f32_e32 v66, v102, v166
	v_fmac_f32_e32 v114, v108, v171
	v_fma_f32 v66, v101, v165, -v66
	v_add_f32_e32 v113, v113, v114
	s_waitcnt vmcnt(16) lgkmcnt(0)
	v_mul_f32_e32 v114, v109, v174
	v_add_f32_e32 v65, v65, v66
	v_mul_f32_e32 v66, v104, v168
	v_fmac_f32_e32 v114, v110, v173
	v_fma_f32 v66, v103, v167, -v66
	v_add_f32_e32 v117, v113, v114
	ds_read2_b64 v[113:116], v0 offset0:57 offset1:58
	v_add_f32_e32 v65, v65, v66
	v_mul_f32_e32 v66, v106, v170
	v_fma_f32 v66, v105, v169, -v66
	s_waitcnt vmcnt(14)
	v_mul_f32_e32 v118, v111, v176
	v_add_f32_e32 v65, v65, v66
	v_mul_f32_e32 v66, v108, v172
	v_fmac_f32_e32 v118, v112, v175
	v_fma_f32 v66, v107, v171, -v66
	v_add_f32_e32 v121, v117, v118
	ds_read2_b64 v[117:120], v0 offset0:59 offset1:60
	v_add_f32_e32 v65, v65, v66
	v_mul_f32_e32 v66, v110, v174
	s_waitcnt vmcnt(12) lgkmcnt(1)
	v_mul_f32_e32 v122, v113, v178
	v_fma_f32 v66, v109, v173, -v66
	v_fmac_f32_e32 v122, v114, v177
	v_add_f32_e32 v65, v65, v66
	v_mul_f32_e32 v66, v112, v176
	v_add_f32_e32 v121, v121, v122
	s_waitcnt vmcnt(10)
	v_mul_f32_e32 v122, v115, v180
	v_fma_f32 v66, v111, v175, -v66
	v_fmac_f32_e32 v122, v116, v179
	v_add_f32_e32 v65, v65, v66
	v_mul_f32_e32 v66, v114, v178
	v_add_f32_e32 v121, v121, v122
	s_waitcnt vmcnt(8) lgkmcnt(0)
	v_mul_f32_e32 v122, v117, v182
	v_fma_f32 v66, v113, v177, -v66
	v_fmac_f32_e32 v122, v118, v181
	v_add_f32_e32 v65, v65, v66
	v_mul_f32_e32 v66, v116, v180
	v_add_f32_e32 v125, v121, v122
	ds_read2_b64 v[121:124], v0 offset0:61 offset1:62
	v_fma_f32 v66, v115, v179, -v66
	v_add_f32_e32 v65, v65, v66
	v_mul_f32_e32 v66, v118, v182
	s_waitcnt vmcnt(6)
	v_mul_f32_e32 v126, v119, v184
	v_fma_f32 v66, v117, v181, -v66
	v_fmac_f32_e32 v126, v120, v183
	v_add_f32_e32 v65, v65, v66
	v_mul_f32_e32 v66, v120, v184
	v_add_f32_e32 v191, v125, v126
	ds_read_b64 v[125:126], v0 offset:504
	v_fma_f32 v66, v119, v183, -v66
	v_add_f32_e32 v65, v65, v66
	s_waitcnt vmcnt(4) lgkmcnt(1)
	v_mul_f32_e32 v66, v122, v186
	v_mul_f32_e32 v192, v121, v186
	v_fma_f32 v66, v121, v185, -v66
	v_fmac_f32_e32 v192, v122, v185
	v_add_f32_e32 v65, v65, v66
	s_waitcnt vmcnt(3)
	v_mul_f32_e32 v66, v124, v187
	v_add_f32_e32 v191, v191, v192
	v_mul_f32_e32 v192, v123, v187
	s_waitcnt vmcnt(2)
	v_fma_f32 v66, v123, v188, -v66
	v_fmac_f32_e32 v192, v124, v188
	v_add_f32_e32 v65, v65, v66
	s_waitcnt vmcnt(0) lgkmcnt(0)
	v_mul_f32_e32 v66, v126, v190
	v_add_f32_e32 v191, v191, v192
	v_mul_f32_e32 v192, v125, v190
	v_fma_f32 v66, v125, v189, -v66
	v_fmac_f32_e32 v192, v126, v189
	v_add_f32_e32 v65, v65, v66
	v_add_f32_e32 v191, v191, v192
	v_sub_f32_e32 v65, v149, v65
	v_sub_f32_e32 v66, v150, v191
	buffer_store_dword v65, off, s[0:3], 0
	buffer_store_dword v66, off, s[0:3], 0 offset:4
	s_cbranch_vccz .LBB95_268
; %bb.206:
	global_load_dword v0, v0, s[12:13] offset:120
	s_waitcnt vmcnt(0)
	v_add_u32_e32 v0, -1, v0
	v_cmp_ne_u32_e32 vcc, 30, v0
	s_cbranch_vccz .LBB95_208
; %bb.207:
	v_lshlrev_b32_e32 v0, 3, v0
	buffer_load_dword v65, v0, s[0:3], 0 offen
	buffer_load_dword v66, v0, s[0:3], 0 offen offset:4
	buffer_load_dword v67, off, s[0:3], 0 offset:244
	buffer_load_dword v68, off, s[0:3], 0 offset:240
	s_waitcnt vmcnt(3)
	buffer_store_dword v65, off, s[0:3], 0 offset:240
	s_waitcnt vmcnt(3)
	buffer_store_dword v66, off, s[0:3], 0 offset:244
	s_waitcnt vmcnt(3)
	buffer_store_dword v67, v0, s[0:3], 0 offen offset:4
	s_waitcnt vmcnt(3)
	buffer_store_dword v68, v0, s[0:3], 0 offen
.LBB95_208:
	v_mov_b32_e32 v0, 0
	global_load_dword v65, v0, s[12:13] offset:116
	s_waitcnt vmcnt(0)
	v_add_u32_e32 v65, -1, v65
	v_cmp_eq_u32_e32 vcc, 29, v65
	s_cbranch_vccnz .LBB95_210
; %bb.209:
	v_lshlrev_b32_e32 v65, 3, v65
	buffer_load_dword v66, v65, s[0:3], 0 offen
	buffer_load_dword v67, v65, s[0:3], 0 offen offset:4
	buffer_load_dword v68, off, s[0:3], 0 offset:232
	buffer_load_dword v69, off, s[0:3], 0 offset:236
	s_waitcnt vmcnt(3)
	buffer_store_dword v66, off, s[0:3], 0 offset:232
	s_waitcnt vmcnt(3)
	buffer_store_dword v67, off, s[0:3], 0 offset:236
	s_waitcnt vmcnt(3)
	buffer_store_dword v68, v65, s[0:3], 0 offen
	s_waitcnt vmcnt(3)
	buffer_store_dword v69, v65, s[0:3], 0 offen offset:4
.LBB95_210:
	global_load_dword v0, v0, s[12:13] offset:112
	s_waitcnt vmcnt(0)
	v_add_u32_e32 v0, -1, v0
	v_cmp_eq_u32_e32 vcc, 28, v0
	s_cbranch_vccnz .LBB95_212
; %bb.211:
	v_lshlrev_b32_e32 v0, 3, v0
	buffer_load_dword v65, v0, s[0:3], 0 offen
	buffer_load_dword v66, v0, s[0:3], 0 offen offset:4
	buffer_load_dword v67, off, s[0:3], 0 offset:228
	buffer_load_dword v68, off, s[0:3], 0 offset:224
	s_waitcnt vmcnt(3)
	buffer_store_dword v65, off, s[0:3], 0 offset:224
	s_waitcnt vmcnt(3)
	buffer_store_dword v66, off, s[0:3], 0 offset:228
	s_waitcnt vmcnt(3)
	buffer_store_dword v67, v0, s[0:3], 0 offen offset:4
	s_waitcnt vmcnt(3)
	buffer_store_dword v68, v0, s[0:3], 0 offen
.LBB95_212:
	v_mov_b32_e32 v0, 0
	global_load_dword v65, v0, s[12:13] offset:108
	s_waitcnt vmcnt(0)
	v_add_u32_e32 v65, -1, v65
	v_cmp_eq_u32_e32 vcc, 27, v65
	s_cbranch_vccnz .LBB95_214
; %bb.213:
	v_lshlrev_b32_e32 v65, 3, v65
	buffer_load_dword v66, v65, s[0:3], 0 offen
	buffer_load_dword v67, v65, s[0:3], 0 offen offset:4
	buffer_load_dword v68, off, s[0:3], 0 offset:216
	buffer_load_dword v69, off, s[0:3], 0 offset:220
	s_waitcnt vmcnt(3)
	buffer_store_dword v66, off, s[0:3], 0 offset:216
	s_waitcnt vmcnt(3)
	buffer_store_dword v67, off, s[0:3], 0 offset:220
	s_waitcnt vmcnt(3)
	buffer_store_dword v68, v65, s[0:3], 0 offen
	s_waitcnt vmcnt(3)
	buffer_store_dword v69, v65, s[0:3], 0 offen offset:4
.LBB95_214:
	global_load_dword v0, v0, s[12:13] offset:104
	s_waitcnt vmcnt(0)
	v_add_u32_e32 v0, -1, v0
	v_cmp_eq_u32_e32 vcc, 26, v0
	s_cbranch_vccnz .LBB95_216
; %bb.215:
	v_lshlrev_b32_e32 v0, 3, v0
	buffer_load_dword v65, v0, s[0:3], 0 offen
	buffer_load_dword v66, v0, s[0:3], 0 offen offset:4
	buffer_load_dword v67, off, s[0:3], 0 offset:212
	buffer_load_dword v68, off, s[0:3], 0 offset:208
	s_waitcnt vmcnt(3)
	buffer_store_dword v65, off, s[0:3], 0 offset:208
	s_waitcnt vmcnt(3)
	buffer_store_dword v66, off, s[0:3], 0 offset:212
	s_waitcnt vmcnt(3)
	buffer_store_dword v67, v0, s[0:3], 0 offen offset:4
	s_waitcnt vmcnt(3)
	buffer_store_dword v68, v0, s[0:3], 0 offen
.LBB95_216:
	;; [unrolled: 41-line block ×14, first 2 shown]
	v_mov_b32_e32 v0, 0
	global_load_dword v65, v0, s[12:13] offset:4
	s_waitcnt vmcnt(0)
	v_add_u32_e32 v65, -1, v65
	v_cmp_eq_u32_e32 vcc, 1, v65
	s_cbranch_vccnz .LBB95_266
; %bb.265:
	v_lshlrev_b32_e32 v65, 3, v65
	buffer_load_dword v66, v65, s[0:3], 0 offen
	buffer_load_dword v67, v65, s[0:3], 0 offen offset:4
	buffer_load_dword v68, off, s[0:3], 0 offset:8
	buffer_load_dword v69, off, s[0:3], 0 offset:12
	s_waitcnt vmcnt(3)
	buffer_store_dword v66, off, s[0:3], 0 offset:8
	s_waitcnt vmcnt(3)
	buffer_store_dword v67, off, s[0:3], 0 offset:12
	s_waitcnt vmcnt(3)
	buffer_store_dword v68, v65, s[0:3], 0 offen
	s_waitcnt vmcnt(3)
	buffer_store_dword v69, v65, s[0:3], 0 offen offset:4
.LBB95_266:
	global_load_dword v0, v0, s[12:13]
	s_waitcnt vmcnt(0)
	v_add_u32_e32 v0, -1, v0
	v_cmp_eq_u32_e32 vcc, 0, v0
	s_cbranch_vccnz .LBB95_268
; %bb.267:
	v_lshlrev_b32_e32 v0, 3, v0
	buffer_load_dword v65, v0, s[0:3], 0 offen
	buffer_load_dword v66, v0, s[0:3], 0 offen offset:4
	buffer_load_dword v67, off, s[0:3], 0 offset:4
	buffer_load_dword v68, off, s[0:3], 0
	s_waitcnt vmcnt(3)
	buffer_store_dword v65, off, s[0:3], 0
	s_waitcnt vmcnt(3)
	buffer_store_dword v66, off, s[0:3], 0 offset:4
	s_waitcnt vmcnt(3)
	buffer_store_dword v67, v0, s[0:3], 0 offen offset:4
	s_waitcnt vmcnt(3)
	buffer_store_dword v68, v0, s[0:3], 0 offen
.LBB95_268:
	buffer_load_dword v65, off, s[0:3], 0
	buffer_load_dword v66, off, s[0:3], 0 offset:4
	s_waitcnt vmcnt(0)
	flat_store_dwordx2 v[1:2], v[65:66]
	buffer_load_dword v0, off, s[0:3], 0 offset:8
	s_nop 0
	buffer_load_dword v1, off, s[0:3], 0 offset:12
	s_waitcnt vmcnt(0)
	flat_store_dwordx2 v[3:4], v[0:1]
	buffer_load_dword v0, off, s[0:3], 0 offset:16
	s_nop 0
	;; [unrolled: 5-line block ×31, first 2 shown]
	buffer_load_dword v1, off, s[0:3], 0 offset:252
	s_waitcnt vmcnt(0)
	flat_store_dwordx2 v[63:64], v[0:1]
	s_endpgm
	.section	.rodata,"a",@progbits
	.p2align	6, 0x0
	.amdhsa_kernel _ZN9rocsolver6v33100L18getri_kernel_smallILi32E19rocblas_complex_numIfEPKPS3_EEvT1_iilPiilS8_bb
		.amdhsa_group_segment_fixed_size 516
		.amdhsa_private_segment_fixed_size 272
		.amdhsa_kernarg_size 60
		.amdhsa_user_sgpr_count 6
		.amdhsa_user_sgpr_private_segment_buffer 1
		.amdhsa_user_sgpr_dispatch_ptr 0
		.amdhsa_user_sgpr_queue_ptr 0
		.amdhsa_user_sgpr_kernarg_segment_ptr 1
		.amdhsa_user_sgpr_dispatch_id 0
		.amdhsa_user_sgpr_flat_scratch_init 0
		.amdhsa_user_sgpr_private_segment_size 0
		.amdhsa_uses_dynamic_stack 0
		.amdhsa_system_sgpr_private_segment_wavefront_offset 1
		.amdhsa_system_sgpr_workgroup_id_x 1
		.amdhsa_system_sgpr_workgroup_id_y 0
		.amdhsa_system_sgpr_workgroup_id_z 0
		.amdhsa_system_sgpr_workgroup_info 0
		.amdhsa_system_vgpr_workitem_id 0
		.amdhsa_next_free_vgpr 193
		.amdhsa_next_free_sgpr 21
		.amdhsa_reserve_vcc 1
		.amdhsa_reserve_flat_scratch 0
		.amdhsa_float_round_mode_32 0
		.amdhsa_float_round_mode_16_64 0
		.amdhsa_float_denorm_mode_32 3
		.amdhsa_float_denorm_mode_16_64 3
		.amdhsa_dx10_clamp 1
		.amdhsa_ieee_mode 1
		.amdhsa_fp16_overflow 0
		.amdhsa_exception_fp_ieee_invalid_op 0
		.amdhsa_exception_fp_denorm_src 0
		.amdhsa_exception_fp_ieee_div_zero 0
		.amdhsa_exception_fp_ieee_overflow 0
		.amdhsa_exception_fp_ieee_underflow 0
		.amdhsa_exception_fp_ieee_inexact 0
		.amdhsa_exception_int_div_zero 0
	.end_amdhsa_kernel
	.section	.text._ZN9rocsolver6v33100L18getri_kernel_smallILi32E19rocblas_complex_numIfEPKPS3_EEvT1_iilPiilS8_bb,"axG",@progbits,_ZN9rocsolver6v33100L18getri_kernel_smallILi32E19rocblas_complex_numIfEPKPS3_EEvT1_iilPiilS8_bb,comdat
.Lfunc_end95:
	.size	_ZN9rocsolver6v33100L18getri_kernel_smallILi32E19rocblas_complex_numIfEPKPS3_EEvT1_iilPiilS8_bb, .Lfunc_end95-_ZN9rocsolver6v33100L18getri_kernel_smallILi32E19rocblas_complex_numIfEPKPS3_EEvT1_iilPiilS8_bb
                                        ; -- End function
	.set _ZN9rocsolver6v33100L18getri_kernel_smallILi32E19rocblas_complex_numIfEPKPS3_EEvT1_iilPiilS8_bb.num_vgpr, 193
	.set _ZN9rocsolver6v33100L18getri_kernel_smallILi32E19rocblas_complex_numIfEPKPS3_EEvT1_iilPiilS8_bb.num_agpr, 0
	.set _ZN9rocsolver6v33100L18getri_kernel_smallILi32E19rocblas_complex_numIfEPKPS3_EEvT1_iilPiilS8_bb.numbered_sgpr, 21
	.set _ZN9rocsolver6v33100L18getri_kernel_smallILi32E19rocblas_complex_numIfEPKPS3_EEvT1_iilPiilS8_bb.num_named_barrier, 0
	.set _ZN9rocsolver6v33100L18getri_kernel_smallILi32E19rocblas_complex_numIfEPKPS3_EEvT1_iilPiilS8_bb.private_seg_size, 272
	.set _ZN9rocsolver6v33100L18getri_kernel_smallILi32E19rocblas_complex_numIfEPKPS3_EEvT1_iilPiilS8_bb.uses_vcc, 1
	.set _ZN9rocsolver6v33100L18getri_kernel_smallILi32E19rocblas_complex_numIfEPKPS3_EEvT1_iilPiilS8_bb.uses_flat_scratch, 0
	.set _ZN9rocsolver6v33100L18getri_kernel_smallILi32E19rocblas_complex_numIfEPKPS3_EEvT1_iilPiilS8_bb.has_dyn_sized_stack, 0
	.set _ZN9rocsolver6v33100L18getri_kernel_smallILi32E19rocblas_complex_numIfEPKPS3_EEvT1_iilPiilS8_bb.has_recursion, 0
	.set _ZN9rocsolver6v33100L18getri_kernel_smallILi32E19rocblas_complex_numIfEPKPS3_EEvT1_iilPiilS8_bb.has_indirect_call, 0
	.section	.AMDGPU.csdata,"",@progbits
; Kernel info:
; codeLenInByte = 44680
; TotalNumSgprs: 25
; NumVgprs: 193
; ScratchSize: 272
; MemoryBound: 0
; FloatMode: 240
; IeeeMode: 1
; LDSByteSize: 516 bytes/workgroup (compile time only)
; SGPRBlocks: 3
; VGPRBlocks: 48
; NumSGPRsForWavesPerEU: 25
; NumVGPRsForWavesPerEU: 193
; Occupancy: 1
; WaveLimiterHint : 1
; COMPUTE_PGM_RSRC2:SCRATCH_EN: 1
; COMPUTE_PGM_RSRC2:USER_SGPR: 6
; COMPUTE_PGM_RSRC2:TRAP_HANDLER: 0
; COMPUTE_PGM_RSRC2:TGID_X_EN: 1
; COMPUTE_PGM_RSRC2:TGID_Y_EN: 0
; COMPUTE_PGM_RSRC2:TGID_Z_EN: 0
; COMPUTE_PGM_RSRC2:TIDIG_COMP_CNT: 0
	.section	.text._ZN9rocsolver6v33100L18getri_kernel_smallILi33E19rocblas_complex_numIfEPKPS3_EEvT1_iilPiilS8_bb,"axG",@progbits,_ZN9rocsolver6v33100L18getri_kernel_smallILi33E19rocblas_complex_numIfEPKPS3_EEvT1_iilPiilS8_bb,comdat
	.globl	_ZN9rocsolver6v33100L18getri_kernel_smallILi33E19rocblas_complex_numIfEPKPS3_EEvT1_iilPiilS8_bb ; -- Begin function _ZN9rocsolver6v33100L18getri_kernel_smallILi33E19rocblas_complex_numIfEPKPS3_EEvT1_iilPiilS8_bb
	.p2align	8
	.type	_ZN9rocsolver6v33100L18getri_kernel_smallILi33E19rocblas_complex_numIfEPKPS3_EEvT1_iilPiilS8_bb,@function
_ZN9rocsolver6v33100L18getri_kernel_smallILi33E19rocblas_complex_numIfEPKPS3_EEvT1_iilPiilS8_bb: ; @_ZN9rocsolver6v33100L18getri_kernel_smallILi33E19rocblas_complex_numIfEPKPS3_EEvT1_iilPiilS8_bb
; %bb.0:
	s_add_u32 s0, s0, s7
	s_addc_u32 s1, s1, 0
	v_cmp_gt_u32_e32 vcc, 33, v0
	s_and_saveexec_b64 s[8:9], vcc
	s_cbranch_execz .LBB96_146
; %bb.1:
	s_load_dword s18, s[4:5], 0x38
	s_load_dwordx2 s[12:13], s[4:5], 0x0
	s_load_dwordx4 s[8:11], s[4:5], 0x28
	s_waitcnt lgkmcnt(0)
	s_bitcmp1_b32 s18, 8
	s_cselect_b64 s[14:15], -1, 0
	s_ashr_i32 s7, s6, 31
	s_lshl_b64 s[16:17], s[6:7], 3
	s_add_u32 s12, s12, s16
	s_addc_u32 s13, s13, s17
	s_load_dwordx2 s[16:17], s[12:13], 0x0
	s_bfe_u32 s12, s18, 0x10008
	s_cmp_eq_u32 s12, 0
                                        ; implicit-def: $sgpr12_sgpr13
	s_cbranch_scc1 .LBB96_3
; %bb.2:
	s_load_dword s12, s[4:5], 0x20
	s_load_dwordx2 s[18:19], s[4:5], 0x18
	s_mul_i32 s13, s8, s7
	s_mul_hi_u32 s20, s8, s6
	s_add_i32 s20, s20, s13
	s_mul_i32 s9, s9, s6
	s_add_i32 s9, s20, s9
	s_mul_i32 s8, s8, s6
	s_waitcnt lgkmcnt(0)
	s_ashr_i32 s13, s12, 31
	s_lshl_b64 s[8:9], s[8:9], 2
	s_add_u32 s18, s18, s8
	s_addc_u32 s19, s19, s9
	s_lshl_b64 s[8:9], s[12:13], 2
	s_add_u32 s12, s18, s8
	s_addc_u32 s13, s19, s9
.LBB96_3:
	s_load_dwordx2 s[8:9], s[4:5], 0x8
	s_load_dword s18, s[4:5], 0x38
	v_lshlrev_b32_e32 v69, 3, v0
	s_waitcnt lgkmcnt(0)
	s_ashr_i32 s5, s8, 31
	s_mov_b32 s4, s8
	s_lshl_b64 s[4:5], s[4:5], 3
	s_add_u32 s4, s16, s4
	s_addc_u32 s5, s17, s5
	v_mov_b32_e32 v2, s5
	v_add_co_u32_e32 v1, vcc, s4, v69
	v_addc_co_u32_e32 v2, vcc, 0, v2, vcc
	flat_load_dwordx2 v[5:6], v[1:2]
	s_mov_b32 s16, s9
	s_ashr_i32 s17, s9, 31
	s_lshl_b64 s[16:17], s[16:17], 3
	v_mov_b32_e32 v4, s17
	v_add_co_u32_e32 v3, vcc, s16, v1
	v_addc_co_u32_e32 v4, vcc, v2, v4, vcc
	s_add_i32 s8, s9, s9
	v_add_u32_e32 v9, s8, v0
	v_ashrrev_i32_e32 v10, 31, v9
	v_mov_b32_e32 v11, s5
	v_add_u32_e32 v12, s9, v9
	v_ashrrev_i32_e32 v13, 31, v12
	v_mov_b32_e32 v14, s5
	v_mov_b32_e32 v15, s5
	;; [unrolled: 1-line block ×29, first 2 shown]
	s_bitcmp0_b32 s18, 0
	s_waitcnt vmcnt(0) lgkmcnt(0)
	buffer_store_dword v6, off, s[0:3], 0 offset:4
	buffer_store_dword v5, off, s[0:3], 0
	flat_load_dwordx2 v[7:8], v[3:4]
	v_lshlrev_b64 v[5:6], 3, v[9:10]
	s_waitcnt vmcnt(0) lgkmcnt(0)
	buffer_store_dword v8, off, s[0:3], 0 offset:12
	buffer_store_dword v7, off, s[0:3], 0 offset:8
	v_add_co_u32_e32 v5, vcc, s4, v5
	v_addc_co_u32_e32 v6, vcc, v11, v6, vcc
	flat_load_dwordx2 v[10:11], v[5:6]
	v_lshlrev_b64 v[7:8], 3, v[12:13]
	s_waitcnt vmcnt(0) lgkmcnt(0)
	buffer_store_dword v11, off, s[0:3], 0 offset:20
	buffer_store_dword v10, off, s[0:3], 0 offset:16
	v_add_co_u32_e32 v7, vcc, s4, v7
	v_addc_co_u32_e32 v8, vcc, v14, v8, vcc
	flat_load_dwordx2 v[13:14], v[7:8]
	v_add_u32_e32 v11, s9, v12
	v_ashrrev_i32_e32 v12, 31, v11
	v_lshlrev_b64 v[9:10], 3, v[11:12]
	s_waitcnt vmcnt(0) lgkmcnt(0)
	buffer_store_dword v14, off, s[0:3], 0 offset:28
	buffer_store_dword v13, off, s[0:3], 0 offset:24
	v_add_co_u32_e32 v9, vcc, s4, v9
	v_addc_co_u32_e32 v10, vcc, v15, v10, vcc
	flat_load_dwordx2 v[13:14], v[9:10]
	v_add_u32_e32 v15, s9, v11
	v_ashrrev_i32_e32 v16, 31, v15
	v_lshlrev_b64 v[11:12], 3, v[15:16]
	v_add_u32_e32 v18, s9, v15
	v_add_co_u32_e32 v11, vcc, s4, v11
	v_addc_co_u32_e32 v12, vcc, v17, v12, vcc
	v_ashrrev_i32_e32 v19, 31, v18
	s_waitcnt vmcnt(0) lgkmcnt(0)
	buffer_store_dword v14, off, s[0:3], 0 offset:36
	buffer_store_dword v13, off, s[0:3], 0 offset:32
	flat_load_dwordx2 v[16:17], v[11:12]
	v_lshlrev_b64 v[13:14], 3, v[18:19]
	s_waitcnt vmcnt(0) lgkmcnt(0)
	buffer_store_dword v17, off, s[0:3], 0 offset:44
	buffer_store_dword v16, off, s[0:3], 0 offset:40
	v_add_co_u32_e32 v13, vcc, s4, v13
	v_addc_co_u32_e32 v14, vcc, v20, v14, vcc
	flat_load_dwordx2 v[19:20], v[13:14]
	v_add_u32_e32 v17, s9, v18
	v_ashrrev_i32_e32 v18, 31, v17
	v_lshlrev_b64 v[15:16], 3, v[17:18]
	s_waitcnt vmcnt(0) lgkmcnt(0)
	buffer_store_dword v20, off, s[0:3], 0 offset:52
	buffer_store_dword v19, off, s[0:3], 0 offset:48
	v_add_co_u32_e32 v15, vcc, s4, v15
	v_addc_co_u32_e32 v16, vcc, v21, v16, vcc
	flat_load_dwordx2 v[19:20], v[15:16]
	v_add_u32_e32 v21, s9, v17
	v_ashrrev_i32_e32 v22, 31, v21
	v_lshlrev_b64 v[17:18], 3, v[21:22]
	v_add_u32_e32 v24, s9, v21
	v_add_co_u32_e32 v17, vcc, s4, v17
	v_addc_co_u32_e32 v18, vcc, v23, v18, vcc
	v_ashrrev_i32_e32 v25, 31, v24
	s_waitcnt vmcnt(0) lgkmcnt(0)
	buffer_store_dword v20, off, s[0:3], 0 offset:60
	buffer_store_dword v19, off, s[0:3], 0 offset:56
	;; [unrolled: 27-line block ×7, first 2 shown]
	flat_load_dwordx2 v[52:53], v[47:48]
	v_lshlrev_b64 v[49:50], 3, v[54:55]
	s_waitcnt vmcnt(0) lgkmcnt(0)
	buffer_store_dword v53, off, s[0:3], 0 offset:188
	buffer_store_dword v52, off, s[0:3], 0 offset:184
	v_add_co_u32_e32 v49, vcc, s4, v49
	v_addc_co_u32_e32 v50, vcc, v56, v50, vcc
	flat_load_dwordx2 v[55:56], v[49:50]
	v_add_u32_e32 v53, s9, v54
	v_ashrrev_i32_e32 v54, 31, v53
	v_lshlrev_b64 v[51:52], 3, v[53:54]
	s_waitcnt vmcnt(0) lgkmcnt(0)
	buffer_store_dword v56, off, s[0:3], 0 offset:196
	buffer_store_dword v55, off, s[0:3], 0 offset:192
	v_add_co_u32_e32 v51, vcc, s4, v51
	v_addc_co_u32_e32 v52, vcc, v57, v52, vcc
	flat_load_dwordx2 v[55:56], v[51:52]
	v_add_u32_e32 v57, s9, v53
	v_ashrrev_i32_e32 v58, 31, v57
	v_lshlrev_b64 v[53:54], 3, v[57:58]
	v_add_u32_e32 v60, s9, v57
	v_add_co_u32_e32 v53, vcc, s4, v53
	v_addc_co_u32_e32 v54, vcc, v59, v54, vcc
	s_waitcnt vmcnt(0) lgkmcnt(0)
	buffer_store_dword v56, off, s[0:3], 0 offset:204
	buffer_store_dword v55, off, s[0:3], 0 offset:200
	flat_load_dwordx2 v[58:59], v[53:54]
	v_ashrrev_i32_e32 v61, 31, v60
	v_lshlrev_b64 v[55:56], 3, v[60:61]
	s_waitcnt vmcnt(0) lgkmcnt(0)
	buffer_store_dword v59, off, s[0:3], 0 offset:212
	buffer_store_dword v58, off, s[0:3], 0 offset:208
	v_add_co_u32_e32 v55, vcc, s4, v55
	v_addc_co_u32_e32 v56, vcc, v62, v56, vcc
	flat_load_dwordx2 v[61:62], v[55:56]
	v_add_u32_e32 v59, s9, v60
	v_ashrrev_i32_e32 v60, 31, v59
	v_lshlrev_b64 v[57:58], 3, v[59:60]
	s_waitcnt vmcnt(0) lgkmcnt(0)
	buffer_store_dword v62, off, s[0:3], 0 offset:220
	buffer_store_dword v61, off, s[0:3], 0 offset:216
	v_add_co_u32_e32 v57, vcc, s4, v57
	v_addc_co_u32_e32 v58, vcc, v63, v58, vcc
	flat_load_dwordx2 v[61:62], v[57:58]
	v_add_u32_e32 v63, s9, v59
	;; [unrolled: 9-line block ×5, first 2 shown]
	v_ashrrev_i32_e32 v66, 31, v65
	v_lshlrev_b64 v[65:66], 3, v[65:66]
	s_waitcnt vmcnt(0) lgkmcnt(0)
	buffer_store_dword v68, off, s[0:3], 0 offset:252
	buffer_store_dword v67, off, s[0:3], 0 offset:248
	v_add_co_u32_e32 v65, vcc, s4, v65
	v_addc_co_u32_e32 v66, vcc, v70, v66, vcc
	flat_load_dwordx2 v[67:68], v[65:66]
	s_mov_b64 s[8:9], -1
	s_waitcnt vmcnt(0) lgkmcnt(0)
	buffer_store_dword v68, off, s[0:3], 0 offset:260
	buffer_store_dword v67, off, s[0:3], 0 offset:256
	s_cbranch_scc1 .LBB96_144
; %bb.4:
	v_cmp_eq_u32_e64 s[4:5], 0, v0
	s_and_saveexec_b64 s[8:9], s[4:5]
; %bb.5:
	v_mov_b32_e32 v67, 0
	ds_write_b32 v67, v67 offset:264
; %bb.6:
	s_or_b64 exec, exec, s[8:9]
	v_mov_b32_e32 v67, 0
	v_lshl_add_u32 v71, v0, 3, v67
	s_waitcnt lgkmcnt(0)
	; wave barrier
	buffer_load_dword v67, v71, s[0:3], 0 offen
	buffer_load_dword v68, v71, s[0:3], 0 offen offset:4
	s_waitcnt vmcnt(1)
	v_cmp_eq_f32_e32 vcc, 0, v67
	s_waitcnt vmcnt(0)
	v_cmp_eq_f32_e64 s[8:9], 0, v68
	s_and_b64 s[8:9], vcc, s[8:9]
	s_and_saveexec_b64 s[16:17], s[8:9]
	s_cbranch_execz .LBB96_10
; %bb.7:
	v_mov_b32_e32 v67, 0
	ds_read_b32 v70, v67 offset:264
	v_add_u32_e32 v68, 1, v0
	s_waitcnt lgkmcnt(0)
	v_readfirstlane_b32 s8, v70
	s_cmp_eq_u32 s8, 0
	s_cselect_b64 s[18:19], -1, 0
	v_cmp_gt_i32_e32 vcc, s8, v68
	s_or_b64 s[18:19], s[18:19], vcc
	s_and_b64 exec, exec, s[18:19]
	s_cbranch_execz .LBB96_10
; %bb.8:
	s_mov_b64 s[18:19], 0
	v_mov_b32_e32 v70, s8
.LBB96_9:                               ; =>This Inner Loop Header: Depth=1
	ds_cmpst_rtn_b32 v70, v67, v70, v68 offset:264
	s_waitcnt lgkmcnt(0)
	v_cmp_ne_u32_e32 vcc, 0, v70
	v_cmp_le_i32_e64 s[8:9], v70, v68
	s_and_b64 s[8:9], vcc, s[8:9]
	s_and_b64 s[8:9], exec, s[8:9]
	s_or_b64 s[18:19], s[8:9], s[18:19]
	s_andn2_b64 exec, exec, s[18:19]
	s_cbranch_execnz .LBB96_9
.LBB96_10:
	s_or_b64 exec, exec, s[16:17]
	v_mov_b32_e32 v68, 0
	; wave barrier
	ds_read_b32 v67, v68 offset:264
	s_and_saveexec_b64 s[8:9], s[4:5]
	s_cbranch_execz .LBB96_12
; %bb.11:
	s_lshl_b64 s[16:17], s[6:7], 2
	s_add_u32 s16, s10, s16
	s_addc_u32 s17, s11, s17
	s_waitcnt lgkmcnt(0)
	global_store_dword v68, v67, s[16:17]
.LBB96_12:
	s_or_b64 exec, exec, s[8:9]
	s_waitcnt lgkmcnt(0)
	v_cmp_ne_u32_e32 vcc, 0, v67
	s_mov_b64 s[8:9], 0
	s_cbranch_vccnz .LBB96_144
; %bb.13:
	buffer_load_dword v68, v71, s[0:3], 0 offen
	buffer_load_dword v70, v71, s[0:3], 0 offen offset:4
                                        ; implicit-def: $vgpr73
                                        ; implicit-def: $vgpr72
                                        ; implicit-def: $vgpr67
	s_waitcnt vmcnt(0)
	v_cmp_ngt_f32_e64 s[8:9], |v68|, |v70|
	s_and_saveexec_b64 s[16:17], s[8:9]
	s_xor_b64 s[8:9], exec, s[16:17]
	s_cbranch_execz .LBB96_15
; %bb.14:
	v_div_scale_f32 v67, s[16:17], v70, v70, v68
	v_div_scale_f32 v72, vcc, v68, v70, v68
	v_rcp_f32_e32 v73, v67
	v_fma_f32 v74, -v67, v73, 1.0
	v_fmac_f32_e32 v73, v74, v73
	v_mul_f32_e32 v74, v72, v73
	v_fma_f32 v75, -v67, v74, v72
	v_fmac_f32_e32 v74, v75, v73
	v_fma_f32 v67, -v67, v74, v72
	v_div_fmas_f32 v67, v67, v73, v74
	v_div_fixup_f32 v67, v67, v70, v68
	v_fmac_f32_e32 v70, v68, v67
	v_div_scale_f32 v68, s[16:17], v70, v70, 1.0
	v_div_scale_f32 v72, vcc, 1.0, v70, 1.0
	v_rcp_f32_e32 v73, v68
	v_fma_f32 v74, -v68, v73, 1.0
	v_fmac_f32_e32 v73, v74, v73
	v_mul_f32_e32 v74, v72, v73
	v_fma_f32 v75, -v68, v74, v72
	v_fmac_f32_e32 v74, v75, v73
	v_fma_f32 v68, -v68, v74, v72
	v_div_fmas_f32 v68, v68, v73, v74
	v_div_fixup_f32 v68, v68, v70, 1.0
	v_mul_f32_e32 v73, v67, v68
	v_xor_b32_e32 v72, 0x80000000, v68
	v_xor_b32_e32 v67, 0x80000000, v73
                                        ; implicit-def: $vgpr68
                                        ; implicit-def: $vgpr70
.LBB96_15:
	s_andn2_saveexec_b64 s[8:9], s[8:9]
	s_cbranch_execz .LBB96_17
; %bb.16:
	v_div_scale_f32 v67, s[16:17], v68, v68, v70
	v_div_scale_f32 v72, vcc, v70, v68, v70
	v_rcp_f32_e32 v73, v67
	v_fma_f32 v74, -v67, v73, 1.0
	v_fmac_f32_e32 v73, v74, v73
	v_mul_f32_e32 v74, v72, v73
	v_fma_f32 v75, -v67, v74, v72
	v_fmac_f32_e32 v74, v75, v73
	v_fma_f32 v67, -v67, v74, v72
	v_div_fmas_f32 v67, v67, v73, v74
	v_div_fixup_f32 v72, v67, v68, v70
	v_fmac_f32_e32 v68, v70, v72
	v_div_scale_f32 v67, s[16:17], v68, v68, 1.0
	v_div_scale_f32 v70, vcc, 1.0, v68, 1.0
	v_rcp_f32_e32 v73, v67
	v_fma_f32 v74, -v67, v73, 1.0
	v_fmac_f32_e32 v73, v74, v73
	v_mul_f32_e32 v74, v70, v73
	v_fma_f32 v75, -v67, v74, v70
	v_fmac_f32_e32 v74, v75, v73
	v_fma_f32 v67, -v67, v74, v70
	v_div_fmas_f32 v67, v67, v73, v74
	v_div_fixup_f32 v73, v67, v68, 1.0
	v_xor_b32_e32 v67, 0x80000000, v73
	v_mul_f32_e64 v72, v72, -v73
.LBB96_17:
	s_or_b64 exec, exec, s[8:9]
	buffer_store_dword v73, v71, s[0:3], 0 offen
	buffer_store_dword v72, v71, s[0:3], 0 offen offset:4
	buffer_load_dword v74, off, s[0:3], 0 offset:12
	s_nop 0
	buffer_load_dword v73, off, s[0:3], 0 offset:8
	v_xor_b32_e32 v68, 0x80000000, v72
	v_add_u32_e32 v70, 0x110, v69
	s_waitcnt vmcnt(0)
	ds_write2_b64 v69, v[67:68], v[73:74] offset1:34
	s_waitcnt lgkmcnt(0)
	; wave barrier
	s_and_saveexec_b64 s[8:9], s[4:5]
	s_cbranch_execz .LBB96_19
; %bb.18:
	buffer_load_dword v74, v71, s[0:3], 0 offen offset:4
	buffer_load_dword v75, v71, s[0:3], 0 offen
	ds_read_b64 v[67:68], v70
	v_mov_b32_e32 v72, 0
	ds_read_b64 v[72:73], v72 offset:8
	s_waitcnt vmcnt(1) lgkmcnt(1)
	v_mul_f32_e32 v76, v68, v74
	v_mul_f32_e32 v74, v67, v74
	s_waitcnt vmcnt(0)
	v_fmac_f32_e32 v74, v68, v75
	v_fma_f32 v67, v67, v75, -v76
	v_add_f32_e32 v68, 0, v74
	v_add_f32_e32 v67, 0, v67
	s_waitcnt lgkmcnt(0)
	v_mul_f32_e32 v74, v68, v73
	v_mul_f32_e32 v73, v67, v73
	v_fma_f32 v67, v67, v72, -v74
	v_fmac_f32_e32 v73, v68, v72
	buffer_store_dword v67, off, s[0:3], 0 offset:8
	buffer_store_dword v73, off, s[0:3], 0 offset:12
.LBB96_19:
	s_or_b64 exec, exec, s[8:9]
	; wave barrier
	buffer_load_dword v67, off, s[0:3], 0 offset:16
	buffer_load_dword v68, off, s[0:3], 0 offset:20
	v_cmp_gt_u32_e32 vcc, 2, v0
	s_waitcnt vmcnt(0)
	ds_write_b64 v70, v[67:68]
	s_waitcnt lgkmcnt(0)
	; wave barrier
	s_and_saveexec_b64 s[8:9], vcc
	s_cbranch_execz .LBB96_23
; %bb.20:
	buffer_load_dword v72, v71, s[0:3], 0 offen offset:4
	buffer_load_dword v73, v71, s[0:3], 0 offen
	ds_read_b64 v[67:68], v70
	s_waitcnt vmcnt(1) lgkmcnt(0)
	v_mul_f32_e32 v71, v68, v72
	v_mul_f32_e32 v72, v67, v72
	s_waitcnt vmcnt(0)
	v_fma_f32 v67, v67, v73, -v71
	v_fmac_f32_e32 v72, v68, v73
	v_add_f32_e32 v68, 0, v67
	v_add_f32_e32 v67, 0, v72
	s_and_saveexec_b64 s[16:17], s[4:5]
	s_cbranch_execz .LBB96_22
; %bb.21:
	buffer_load_dword v73, off, s[0:3], 0 offset:12
	buffer_load_dword v74, off, s[0:3], 0 offset:8
	v_mov_b32_e32 v71, 0
	ds_read_b64 v[71:72], v71 offset:280
	s_waitcnt vmcnt(1) lgkmcnt(0)
	v_mul_f32_e32 v75, v71, v73
	v_mul_f32_e32 v73, v72, v73
	s_waitcnt vmcnt(0)
	v_fmac_f32_e32 v75, v72, v74
	v_fma_f32 v71, v71, v74, -v73
	v_add_f32_e32 v67, v67, v75
	v_add_f32_e32 v68, v68, v71
.LBB96_22:
	s_or_b64 exec, exec, s[16:17]
	v_mov_b32_e32 v71, 0
	ds_read_b64 v[71:72], v71 offset:16
	s_waitcnt lgkmcnt(0)
	v_mul_f32_e32 v73, v67, v72
	v_mul_f32_e32 v72, v68, v72
	v_fma_f32 v68, v68, v71, -v73
	v_fmac_f32_e32 v72, v67, v71
	buffer_store_dword v68, off, s[0:3], 0 offset:16
	buffer_store_dword v72, off, s[0:3], 0 offset:20
.LBB96_23:
	s_or_b64 exec, exec, s[8:9]
	; wave barrier
	buffer_load_dword v67, off, s[0:3], 0 offset:24
	buffer_load_dword v68, off, s[0:3], 0 offset:28
	v_cmp_gt_u32_e32 vcc, 3, v0
	s_waitcnt vmcnt(0)
	ds_write_b64 v70, v[67:68]
	v_add_u32_e32 v67, -1, v0
	s_waitcnt lgkmcnt(0)
	; wave barrier
	s_and_saveexec_b64 s[4:5], vcc
	s_cbranch_execz .LBB96_27
; %bb.24:
	v_add_u32_e32 v71, -1, v0
	v_add_u32_e32 v72, 0x110, v69
	v_mov_b32_e32 v73, v69
	v_mov_b32_e32 v68, 0
	s_mov_b64 s[8:9], 0
	v_mov_b32_e32 v74, 0
.LBB96_25:                              ; =>This Inner Loop Header: Depth=1
	buffer_load_dword v77, v73, s[0:3], 0 offen offset:4
	buffer_load_dword v78, v73, s[0:3], 0 offen
	ds_read_b64 v[75:76], v72
	v_add_u32_e32 v71, 1, v71
	v_cmp_lt_u32_e32 vcc, 1, v71
	v_add_u32_e32 v72, 8, v72
	v_add_u32_e32 v73, 8, v73
	s_or_b64 s[8:9], vcc, s[8:9]
	s_waitcnt vmcnt(1) lgkmcnt(0)
	v_mul_f32_e32 v79, v76, v77
	v_mul_f32_e32 v77, v75, v77
	s_waitcnt vmcnt(0)
	v_fma_f32 v75, v75, v78, -v79
	v_fmac_f32_e32 v77, v76, v78
	v_add_f32_e32 v74, v74, v75
	v_add_f32_e32 v68, v68, v77
	s_andn2_b64 exec, exec, s[8:9]
	s_cbranch_execnz .LBB96_25
; %bb.26:
	s_or_b64 exec, exec, s[8:9]
	v_mov_b32_e32 v71, 0
	ds_read_b64 v[71:72], v71 offset:24
	s_waitcnt lgkmcnt(0)
	v_mul_f32_e32 v73, v68, v72
	v_mul_f32_e32 v72, v74, v72
	v_fma_f32 v73, v74, v71, -v73
	v_fmac_f32_e32 v72, v68, v71
	buffer_store_dword v73, off, s[0:3], 0 offset:24
	buffer_store_dword v72, off, s[0:3], 0 offset:28
.LBB96_27:
	s_or_b64 exec, exec, s[4:5]
	; wave barrier
	buffer_load_dword v71, off, s[0:3], 0 offset:32
	buffer_load_dword v72, off, s[0:3], 0 offset:36
	v_cmp_gt_u32_e32 vcc, 4, v0
	s_waitcnt vmcnt(0)
	ds_write_b64 v70, v[71:72]
	s_waitcnt lgkmcnt(0)
	; wave barrier
	s_and_saveexec_b64 s[4:5], vcc
	s_cbranch_execz .LBB96_31
; %bb.28:
	v_add_u32_e32 v71, -1, v0
	v_add_u32_e32 v72, 0x110, v69
	v_mov_b32_e32 v73, v69
	v_mov_b32_e32 v68, 0
	s_mov_b64 s[8:9], 0
	v_mov_b32_e32 v74, 0
.LBB96_29:                              ; =>This Inner Loop Header: Depth=1
	buffer_load_dword v77, v73, s[0:3], 0 offen offset:4
	buffer_load_dword v78, v73, s[0:3], 0 offen
	ds_read_b64 v[75:76], v72
	v_add_u32_e32 v71, 1, v71
	v_cmp_lt_u32_e32 vcc, 2, v71
	v_add_u32_e32 v72, 8, v72
	v_add_u32_e32 v73, 8, v73
	s_or_b64 s[8:9], vcc, s[8:9]
	s_waitcnt vmcnt(1) lgkmcnt(0)
	v_mul_f32_e32 v79, v76, v77
	v_mul_f32_e32 v77, v75, v77
	s_waitcnt vmcnt(0)
	v_fma_f32 v75, v75, v78, -v79
	v_fmac_f32_e32 v77, v76, v78
	v_add_f32_e32 v74, v74, v75
	v_add_f32_e32 v68, v68, v77
	s_andn2_b64 exec, exec, s[8:9]
	s_cbranch_execnz .LBB96_29
; %bb.30:
	s_or_b64 exec, exec, s[8:9]
	v_mov_b32_e32 v71, 0
	ds_read_b64 v[71:72], v71 offset:32
	s_waitcnt lgkmcnt(0)
	v_mul_f32_e32 v73, v68, v72
	v_mul_f32_e32 v72, v74, v72
	v_fma_f32 v73, v74, v71, -v73
	v_fmac_f32_e32 v72, v68, v71
	buffer_store_dword v73, off, s[0:3], 0 offset:32
	buffer_store_dword v72, off, s[0:3], 0 offset:36
.LBB96_31:
	s_or_b64 exec, exec, s[4:5]
	; wave barrier
	buffer_load_dword v71, off, s[0:3], 0 offset:40
	buffer_load_dword v72, off, s[0:3], 0 offset:44
	v_cmp_gt_u32_e32 vcc, 5, v0
	s_waitcnt vmcnt(0)
	ds_write_b64 v70, v[71:72]
	;; [unrolled: 49-line block ×19, first 2 shown]
	s_waitcnt lgkmcnt(0)
	; wave barrier
	s_and_saveexec_b64 s[4:5], vcc
	s_cbranch_execz .LBB96_103
; %bb.100:
	v_add_u32_e32 v71, -1, v0
	v_add_u32_e32 v72, 0x110, v69
	v_mov_b32_e32 v73, v69
	v_mov_b32_e32 v68, 0
	s_mov_b64 s[8:9], 0
	v_mov_b32_e32 v74, 0
.LBB96_101:                             ; =>This Inner Loop Header: Depth=1
	buffer_load_dword v77, v73, s[0:3], 0 offen offset:4
	buffer_load_dword v78, v73, s[0:3], 0 offen
	ds_read_b64 v[75:76], v72
	v_add_u32_e32 v71, 1, v71
	v_cmp_lt_u32_e32 vcc, 20, v71
	v_add_u32_e32 v72, 8, v72
	v_add_u32_e32 v73, 8, v73
	s_or_b64 s[8:9], vcc, s[8:9]
	s_waitcnt vmcnt(1) lgkmcnt(0)
	v_mul_f32_e32 v79, v76, v77
	v_mul_f32_e32 v77, v75, v77
	s_waitcnt vmcnt(0)
	v_fma_f32 v75, v75, v78, -v79
	v_fmac_f32_e32 v77, v76, v78
	v_add_f32_e32 v74, v74, v75
	v_add_f32_e32 v68, v68, v77
	s_andn2_b64 exec, exec, s[8:9]
	s_cbranch_execnz .LBB96_101
; %bb.102:
	s_or_b64 exec, exec, s[8:9]
	v_mov_b32_e32 v71, 0
	ds_read_b64 v[71:72], v71 offset:176
	s_waitcnt lgkmcnt(0)
	v_mul_f32_e32 v73, v68, v72
	v_mul_f32_e32 v72, v74, v72
	v_fma_f32 v73, v74, v71, -v73
	v_fmac_f32_e32 v72, v68, v71
	buffer_store_dword v73, off, s[0:3], 0 offset:176
	buffer_store_dword v72, off, s[0:3], 0 offset:180
.LBB96_103:
	s_or_b64 exec, exec, s[4:5]
	; wave barrier
	buffer_load_dword v71, off, s[0:3], 0 offset:184
	buffer_load_dword v72, off, s[0:3], 0 offset:188
	v_cmp_gt_u32_e32 vcc, 23, v0
	s_waitcnt vmcnt(0)
	ds_write_b64 v70, v[71:72]
	s_waitcnt lgkmcnt(0)
	; wave barrier
	s_and_saveexec_b64 s[4:5], vcc
	s_cbranch_execz .LBB96_107
; %bb.104:
	v_add_u32_e32 v71, -1, v0
	v_add_u32_e32 v72, 0x110, v69
	v_mov_b32_e32 v73, v69
	v_mov_b32_e32 v68, 0
	s_mov_b64 s[8:9], 0
	v_mov_b32_e32 v74, 0
.LBB96_105:                             ; =>This Inner Loop Header: Depth=1
	buffer_load_dword v77, v73, s[0:3], 0 offen offset:4
	buffer_load_dword v78, v73, s[0:3], 0 offen
	ds_read_b64 v[75:76], v72
	v_add_u32_e32 v71, 1, v71
	v_cmp_lt_u32_e32 vcc, 21, v71
	v_add_u32_e32 v72, 8, v72
	v_add_u32_e32 v73, 8, v73
	s_or_b64 s[8:9], vcc, s[8:9]
	s_waitcnt vmcnt(1) lgkmcnt(0)
	v_mul_f32_e32 v79, v76, v77
	v_mul_f32_e32 v77, v75, v77
	s_waitcnt vmcnt(0)
	v_fma_f32 v75, v75, v78, -v79
	v_fmac_f32_e32 v77, v76, v78
	v_add_f32_e32 v74, v74, v75
	v_add_f32_e32 v68, v68, v77
	s_andn2_b64 exec, exec, s[8:9]
	s_cbranch_execnz .LBB96_105
; %bb.106:
	s_or_b64 exec, exec, s[8:9]
	v_mov_b32_e32 v71, 0
	ds_read_b64 v[71:72], v71 offset:184
	s_waitcnt lgkmcnt(0)
	v_mul_f32_e32 v73, v68, v72
	v_mul_f32_e32 v72, v74, v72
	v_fma_f32 v73, v74, v71, -v73
	v_fmac_f32_e32 v72, v68, v71
	buffer_store_dword v73, off, s[0:3], 0 offset:184
	buffer_store_dword v72, off, s[0:3], 0 offset:188
.LBB96_107:
	s_or_b64 exec, exec, s[4:5]
	; wave barrier
	buffer_load_dword v71, off, s[0:3], 0 offset:192
	buffer_load_dword v72, off, s[0:3], 0 offset:196
	v_cmp_gt_u32_e32 vcc, 24, v0
	s_waitcnt vmcnt(0)
	ds_write_b64 v70, v[71:72]
	;; [unrolled: 49-line block ×9, first 2 shown]
	s_waitcnt lgkmcnt(0)
	; wave barrier
	s_and_saveexec_b64 s[4:5], vcc
	s_cbranch_execz .LBB96_139
; %bb.136:
	v_add_u32_e32 v71, -1, v0
	v_add_u32_e32 v72, 0x110, v69
	v_mov_b32_e32 v73, v69
	v_mov_b32_e32 v68, 0
	s_mov_b64 s[8:9], 0
	v_mov_b32_e32 v74, 0
.LBB96_137:                             ; =>This Inner Loop Header: Depth=1
	buffer_load_dword v77, v73, s[0:3], 0 offen offset:4
	buffer_load_dword v78, v73, s[0:3], 0 offen
	ds_read_b64 v[75:76], v72
	v_add_u32_e32 v71, 1, v71
	v_cmp_lt_u32_e32 vcc, 29, v71
	v_add_u32_e32 v72, 8, v72
	v_add_u32_e32 v73, 8, v73
	s_or_b64 s[8:9], vcc, s[8:9]
	s_waitcnt vmcnt(1) lgkmcnt(0)
	v_mul_f32_e32 v79, v76, v77
	v_mul_f32_e32 v77, v75, v77
	s_waitcnt vmcnt(0)
	v_fma_f32 v75, v75, v78, -v79
	v_fmac_f32_e32 v77, v76, v78
	v_add_f32_e32 v74, v74, v75
	v_add_f32_e32 v68, v68, v77
	s_andn2_b64 exec, exec, s[8:9]
	s_cbranch_execnz .LBB96_137
; %bb.138:
	s_or_b64 exec, exec, s[8:9]
	v_mov_b32_e32 v71, 0
	ds_read_b64 v[71:72], v71 offset:248
	s_waitcnt lgkmcnt(0)
	v_mul_f32_e32 v73, v68, v72
	v_mul_f32_e32 v72, v74, v72
	v_fma_f32 v73, v74, v71, -v73
	v_fmac_f32_e32 v72, v68, v71
	buffer_store_dword v73, off, s[0:3], 0 offset:248
	buffer_store_dword v72, off, s[0:3], 0 offset:252
.LBB96_139:
	s_or_b64 exec, exec, s[4:5]
	; wave barrier
	buffer_load_dword v71, off, s[0:3], 0 offset:256
	buffer_load_dword v72, off, s[0:3], 0 offset:260
	v_cmp_ne_u32_e32 vcc, 32, v0
	s_waitcnt vmcnt(0)
	ds_write_b64 v70, v[71:72]
	s_waitcnt lgkmcnt(0)
	; wave barrier
	s_and_saveexec_b64 s[4:5], vcc
	s_cbranch_execz .LBB96_143
; %bb.140:
	v_add_u32_e32 v70, 0x110, v69
	v_mov_b32_e32 v68, 0
	s_mov_b64 s[8:9], 0
	v_mov_b32_e32 v71, 0
.LBB96_141:                             ; =>This Inner Loop Header: Depth=1
	buffer_load_dword v74, v69, s[0:3], 0 offen offset:4
	buffer_load_dword v75, v69, s[0:3], 0 offen
	ds_read_b64 v[72:73], v70
	v_add_u32_e32 v67, 1, v67
	v_cmp_lt_u32_e32 vcc, 30, v67
	v_add_u32_e32 v70, 8, v70
	v_add_u32_e32 v69, 8, v69
	s_or_b64 s[8:9], vcc, s[8:9]
	s_waitcnt vmcnt(1) lgkmcnt(0)
	v_mul_f32_e32 v76, v73, v74
	v_mul_f32_e32 v74, v72, v74
	s_waitcnt vmcnt(0)
	v_fma_f32 v72, v72, v75, -v76
	v_fmac_f32_e32 v74, v73, v75
	v_add_f32_e32 v71, v71, v72
	v_add_f32_e32 v68, v68, v74
	s_andn2_b64 exec, exec, s[8:9]
	s_cbranch_execnz .LBB96_141
; %bb.142:
	s_or_b64 exec, exec, s[8:9]
	v_mov_b32_e32 v67, 0
	ds_read_b64 v[69:70], v67 offset:256
	s_waitcnt lgkmcnt(0)
	v_mul_f32_e32 v67, v68, v70
	v_mul_f32_e32 v70, v71, v70
	v_fma_f32 v67, v71, v69, -v67
	v_fmac_f32_e32 v70, v68, v69
	buffer_store_dword v67, off, s[0:3], 0 offset:256
	buffer_store_dword v70, off, s[0:3], 0 offset:260
.LBB96_143:
	s_or_b64 exec, exec, s[4:5]
	s_mov_b64 s[8:9], -1
	; wave barrier
.LBB96_144:
	s_and_b64 vcc, exec, s[8:9]
	s_cbranch_vccz .LBB96_146
; %bb.145:
	s_lshl_b64 s[4:5], s[6:7], 2
	s_add_u32 s4, s10, s4
	s_addc_u32 s5, s11, s5
	v_mov_b32_e32 v67, 0
	global_load_dword v67, v67, s[4:5]
	s_waitcnt vmcnt(0)
	v_cmp_ne_u32_e32 vcc, 0, v67
	s_cbranch_vccz .LBB96_147
.LBB96_146:
	s_endpgm
.LBB96_147:
	v_mov_b32_e32 v67, 0x110
	v_lshl_add_u32 v67, v0, 3, v67
	v_cmp_eq_u32_e32 vcc, 32, v0
	s_and_saveexec_b64 s[4:5], vcc
	s_cbranch_execz .LBB96_149
; %bb.148:
	buffer_load_dword v68, off, s[0:3], 0 offset:248
	buffer_load_dword v69, off, s[0:3], 0 offset:252
	v_mov_b32_e32 v70, 0
	buffer_store_dword v70, off, s[0:3], 0 offset:248
	buffer_store_dword v70, off, s[0:3], 0 offset:252
	s_waitcnt vmcnt(2)
	ds_write_b64 v67, v[68:69]
.LBB96_149:
	s_or_b64 exec, exec, s[4:5]
	s_waitcnt lgkmcnt(0)
	; wave barrier
	buffer_load_dword v71, off, s[0:3], 0 offset:260
	buffer_load_dword v72, off, s[0:3], 0 offset:256
	;; [unrolled: 1-line block ×4, first 2 shown]
	v_mov_b32_e32 v68, 0
	ds_read_b64 v[69:70], v68 offset:528
	v_cmp_lt_u32_e32 vcc, 30, v0
	s_waitcnt vmcnt(3) lgkmcnt(0)
	v_mul_f32_e32 v75, v69, v71
	v_mul_f32_e32 v71, v70, v71
	s_waitcnt vmcnt(2)
	v_fma_f32 v69, v69, v72, -v71
	v_fmac_f32_e32 v75, v70, v72
	v_add_f32_e32 v69, 0, v69
	v_add_f32_e32 v70, 0, v75
	s_waitcnt vmcnt(1)
	v_sub_f32_e32 v69, v73, v69
	s_waitcnt vmcnt(0)
	v_sub_f32_e32 v70, v74, v70
	buffer_store_dword v69, off, s[0:3], 0 offset:248
	buffer_store_dword v70, off, s[0:3], 0 offset:252
	s_and_saveexec_b64 s[4:5], vcc
	s_cbranch_execz .LBB96_151
; %bb.150:
	buffer_load_dword v69, off, s[0:3], 0 offset:240
	buffer_load_dword v70, off, s[0:3], 0 offset:244
	s_waitcnt vmcnt(0)
	ds_write_b64 v67, v[69:70]
	buffer_store_dword v68, off, s[0:3], 0 offset:240
	buffer_store_dword v68, off, s[0:3], 0 offset:244
.LBB96_151:
	s_or_b64 exec, exec, s[4:5]
	s_waitcnt lgkmcnt(0)
	; wave barrier
	buffer_load_dword v72, off, s[0:3], 0 offset:252
	buffer_load_dword v73, off, s[0:3], 0 offset:260
	;; [unrolled: 1-line block ×6, first 2 shown]
	ds_read2_b64 v[68:71], v68 offset0:65 offset1:66
	v_cmp_lt_u32_e32 vcc, 29, v0
	s_waitcnt vmcnt(5) lgkmcnt(0)
	v_mul_f32_e32 v78, v68, v72
	v_mul_f32_e32 v72, v69, v72
	s_waitcnt vmcnt(4)
	v_mul_f32_e32 v79, v70, v73
	v_mul_f32_e32 v73, v71, v73
	s_waitcnt vmcnt(3)
	v_fma_f32 v68, v68, v74, -v72
	v_fmac_f32_e32 v78, v69, v74
	s_waitcnt vmcnt(2)
	v_fma_f32 v69, v70, v75, -v73
	v_add_f32_e32 v68, 0, v68
	v_fmac_f32_e32 v79, v71, v75
	v_add_f32_e32 v70, 0, v78
	v_add_f32_e32 v68, v68, v69
	;; [unrolled: 1-line block ×3, first 2 shown]
	s_waitcnt vmcnt(1)
	v_sub_f32_e32 v68, v76, v68
	s_waitcnt vmcnt(0)
	v_sub_f32_e32 v69, v77, v70
	buffer_store_dword v68, off, s[0:3], 0 offset:240
	buffer_store_dword v69, off, s[0:3], 0 offset:244
	s_and_saveexec_b64 s[4:5], vcc
	s_cbranch_execz .LBB96_153
; %bb.152:
	buffer_load_dword v68, off, s[0:3], 0 offset:232
	buffer_load_dword v69, off, s[0:3], 0 offset:236
	v_mov_b32_e32 v70, 0
	buffer_store_dword v70, off, s[0:3], 0 offset:232
	buffer_store_dword v70, off, s[0:3], 0 offset:236
	s_waitcnt vmcnt(2)
	ds_write_b64 v67, v[68:69]
.LBB96_153:
	s_or_b64 exec, exec, s[4:5]
	s_waitcnt lgkmcnt(0)
	; wave barrier
	buffer_load_dword v75, off, s[0:3], 0 offset:244
	buffer_load_dword v76, off, s[0:3], 0 offset:252
	;; [unrolled: 1-line block ×8, first 2 shown]
	v_mov_b32_e32 v68, 0
	ds_read_b128 v[69:72], v68 offset:512
	ds_read_b64 v[73:74], v68 offset:528
	v_cmp_lt_u32_e32 vcc, 28, v0
	s_waitcnt vmcnt(7) lgkmcnt(1)
	v_mul_f32_e32 v83, v69, v75
	v_mul_f32_e32 v75, v70, v75
	s_waitcnt vmcnt(6)
	v_mul_f32_e32 v84, v71, v76
	v_mul_f32_e32 v76, v72, v76
	s_waitcnt vmcnt(4)
	v_fma_f32 v69, v69, v78, -v75
	s_waitcnt lgkmcnt(0)
	v_mul_f32_e32 v85, v73, v77
	v_mul_f32_e32 v77, v74, v77
	v_fmac_f32_e32 v83, v70, v78
	s_waitcnt vmcnt(3)
	v_fma_f32 v70, v71, v79, -v76
	v_add_f32_e32 v69, 0, v69
	v_fmac_f32_e32 v84, v72, v79
	s_waitcnt vmcnt(2)
	v_fma_f32 v71, v73, v80, -v77
	v_add_f32_e32 v72, 0, v83
	v_add_f32_e32 v69, v69, v70
	v_fmac_f32_e32 v85, v74, v80
	v_add_f32_e32 v72, v72, v84
	v_add_f32_e32 v69, v69, v71
	;; [unrolled: 1-line block ×3, first 2 shown]
	s_waitcnt vmcnt(1)
	v_sub_f32_e32 v69, v81, v69
	s_waitcnt vmcnt(0)
	v_sub_f32_e32 v70, v82, v70
	buffer_store_dword v69, off, s[0:3], 0 offset:232
	buffer_store_dword v70, off, s[0:3], 0 offset:236
	s_and_saveexec_b64 s[4:5], vcc
	s_cbranch_execz .LBB96_155
; %bb.154:
	buffer_load_dword v69, off, s[0:3], 0 offset:224
	buffer_load_dword v70, off, s[0:3], 0 offset:228
	s_waitcnt vmcnt(0)
	ds_write_b64 v67, v[69:70]
	buffer_store_dword v68, off, s[0:3], 0 offset:224
	buffer_store_dword v68, off, s[0:3], 0 offset:228
.LBB96_155:
	s_or_b64 exec, exec, s[4:5]
	s_waitcnt lgkmcnt(0)
	; wave barrier
	buffer_load_dword v77, off, s[0:3], 0 offset:236
	buffer_load_dword v78, off, s[0:3], 0 offset:244
	;; [unrolled: 1-line block ×10, first 2 shown]
	ds_read2_b64 v[69:72], v68 offset0:63 offset1:64
	ds_read2_b64 v[73:76], v68 offset0:65 offset1:66
	v_cmp_lt_u32_e32 vcc, 27, v0
	s_waitcnt vmcnt(9) lgkmcnt(1)
	v_mul_f32_e32 v68, v69, v77
	v_mul_f32_e32 v77, v70, v77
	s_waitcnt vmcnt(8)
	v_mul_f32_e32 v87, v71, v78
	v_mul_f32_e32 v78, v72, v78
	s_waitcnt vmcnt(5)
	v_fma_f32 v69, v69, v81, -v77
	s_waitcnt lgkmcnt(0)
	v_mul_f32_e32 v88, v73, v79
	v_mul_f32_e32 v79, v74, v79
	v_fmac_f32_e32 v68, v70, v81
	s_waitcnt vmcnt(4)
	v_fma_f32 v70, v71, v82, -v78
	v_add_f32_e32 v69, 0, v69
	v_mul_f32_e32 v89, v75, v80
	v_mul_f32_e32 v80, v76, v80
	v_fmac_f32_e32 v87, v72, v82
	s_waitcnt vmcnt(3)
	v_fma_f32 v71, v73, v83, -v79
	v_add_f32_e32 v68, 0, v68
	v_add_f32_e32 v69, v69, v70
	v_fmac_f32_e32 v88, v74, v83
	s_waitcnt vmcnt(2)
	v_fma_f32 v72, v75, v84, -v80
	v_add_f32_e32 v68, v68, v87
	v_add_f32_e32 v69, v69, v71
	v_fmac_f32_e32 v89, v76, v84
	v_add_f32_e32 v68, v68, v88
	v_add_f32_e32 v69, v69, v72
	;; [unrolled: 1-line block ×3, first 2 shown]
	s_waitcnt vmcnt(1)
	v_sub_f32_e32 v69, v85, v69
	s_waitcnt vmcnt(0)
	v_sub_f32_e32 v68, v86, v68
	buffer_store_dword v69, off, s[0:3], 0 offset:224
	buffer_store_dword v68, off, s[0:3], 0 offset:228
	s_and_saveexec_b64 s[4:5], vcc
	s_cbranch_execz .LBB96_157
; %bb.156:
	buffer_load_dword v68, off, s[0:3], 0 offset:216
	buffer_load_dword v69, off, s[0:3], 0 offset:220
	v_mov_b32_e32 v70, 0
	buffer_store_dword v70, off, s[0:3], 0 offset:216
	buffer_store_dword v70, off, s[0:3], 0 offset:220
	s_waitcnt vmcnt(2)
	ds_write_b64 v67, v[68:69]
.LBB96_157:
	s_or_b64 exec, exec, s[4:5]
	s_waitcnt lgkmcnt(0)
	; wave barrier
	buffer_load_dword v79, off, s[0:3], 0 offset:228
	buffer_load_dword v80, off, s[0:3], 0 offset:236
	;; [unrolled: 1-line block ×12, first 2 shown]
	v_mov_b32_e32 v68, 0
	ds_read_b128 v[69:72], v68 offset:496
	ds_read_b128 v[73:76], v68 offset:512
	ds_read_b64 v[77:78], v68 offset:528
	v_cmp_lt_u32_e32 vcc, 26, v0
	s_waitcnt vmcnt(11) lgkmcnt(2)
	v_mul_f32_e32 v91, v69, v79
	v_mul_f32_e32 v79, v70, v79
	s_waitcnt vmcnt(10)
	v_mul_f32_e32 v92, v71, v80
	v_mul_f32_e32 v80, v72, v80
	s_waitcnt vmcnt(9) lgkmcnt(1)
	v_mul_f32_e32 v93, v73, v81
	s_waitcnt vmcnt(6)
	v_fma_f32 v69, v69, v84, -v79
	v_mul_f32_e32 v81, v74, v81
	v_fmac_f32_e32 v91, v70, v84
	s_waitcnt vmcnt(5)
	v_fma_f32 v70, v71, v85, -v80
	v_add_f32_e32 v69, 0, v69
	v_mul_f32_e32 v94, v75, v82
	v_mul_f32_e32 v82, v76, v82
	v_fmac_f32_e32 v92, v72, v85
	s_waitcnt vmcnt(4)
	v_fmac_f32_e32 v93, v74, v86
	v_fma_f32 v71, v73, v86, -v81
	v_add_f32_e32 v74, 0, v91
	v_add_f32_e32 v69, v69, v70
	s_waitcnt lgkmcnt(0)
	v_mul_f32_e32 v95, v77, v83
	v_mul_f32_e32 v83, v78, v83
	s_waitcnt vmcnt(3)
	v_fma_f32 v72, v75, v87, -v82
	v_add_f32_e32 v74, v74, v92
	v_add_f32_e32 v69, v69, v71
	v_fmac_f32_e32 v94, v76, v87
	s_waitcnt vmcnt(2)
	v_fma_f32 v73, v77, v88, -v83
	v_add_f32_e32 v70, v74, v93
	v_add_f32_e32 v69, v69, v72
	v_fmac_f32_e32 v95, v78, v88
	v_add_f32_e32 v70, v70, v94
	v_add_f32_e32 v69, v69, v73
	;; [unrolled: 1-line block ×3, first 2 shown]
	s_waitcnt vmcnt(1)
	v_sub_f32_e32 v69, v89, v69
	s_waitcnt vmcnt(0)
	v_sub_f32_e32 v70, v90, v70
	buffer_store_dword v69, off, s[0:3], 0 offset:216
	buffer_store_dword v70, off, s[0:3], 0 offset:220
	s_and_saveexec_b64 s[4:5], vcc
	s_cbranch_execz .LBB96_159
; %bb.158:
	buffer_load_dword v69, off, s[0:3], 0 offset:208
	buffer_load_dword v70, off, s[0:3], 0 offset:212
	s_waitcnt vmcnt(0)
	ds_write_b64 v67, v[69:70]
	buffer_store_dword v68, off, s[0:3], 0 offset:208
	buffer_store_dword v68, off, s[0:3], 0 offset:212
.LBB96_159:
	s_or_b64 exec, exec, s[4:5]
	s_waitcnt lgkmcnt(0)
	; wave barrier
	buffer_load_dword v81, off, s[0:3], 0 offset:220
	buffer_load_dword v82, off, s[0:3], 0 offset:228
	;; [unrolled: 1-line block ×14, first 2 shown]
	ds_read2_b64 v[69:72], v68 offset0:61 offset1:62
	ds_read2_b64 v[73:76], v68 offset0:63 offset1:64
	;; [unrolled: 1-line block ×3, first 2 shown]
	v_cmp_lt_u32_e32 vcc, 25, v0
	s_waitcnt vmcnt(13) lgkmcnt(2)
	v_mul_f32_e32 v68, v69, v81
	v_mul_f32_e32 v81, v70, v81
	s_waitcnt vmcnt(12)
	v_mul_f32_e32 v95, v71, v82
	v_mul_f32_e32 v82, v72, v82
	s_waitcnt vmcnt(11) lgkmcnt(1)
	v_mul_f32_e32 v96, v73, v83
	v_mul_f32_e32 v83, v74, v83
	s_waitcnt vmcnt(7)
	v_fma_f32 v69, v69, v87, -v81
	v_fmac_f32_e32 v68, v70, v87
	s_waitcnt vmcnt(6)
	v_fma_f32 v70, v71, v88, -v82
	v_add_f32_e32 v69, 0, v69
	v_mul_f32_e32 v97, v75, v84
	v_mul_f32_e32 v84, v76, v84
	v_fmac_f32_e32 v95, v72, v88
	s_waitcnt vmcnt(5)
	v_fma_f32 v71, v73, v89, -v83
	v_add_f32_e32 v68, 0, v68
	v_add_f32_e32 v69, v69, v70
	s_waitcnt lgkmcnt(0)
	v_mul_f32_e32 v98, v77, v85
	v_mul_f32_e32 v85, v78, v85
	v_fmac_f32_e32 v96, v74, v89
	s_waitcnt vmcnt(4)
	v_fma_f32 v72, v75, v90, -v84
	v_add_f32_e32 v68, v68, v95
	v_add_f32_e32 v69, v69, v71
	v_mul_f32_e32 v99, v79, v86
	v_mul_f32_e32 v86, v80, v86
	v_fmac_f32_e32 v97, v76, v90
	s_waitcnt vmcnt(3)
	v_fma_f32 v73, v77, v91, -v85
	v_add_f32_e32 v68, v68, v96
	v_add_f32_e32 v69, v69, v72
	v_fmac_f32_e32 v98, v78, v91
	s_waitcnt vmcnt(2)
	v_fma_f32 v74, v79, v92, -v86
	v_add_f32_e32 v68, v68, v97
	v_add_f32_e32 v69, v69, v73
	v_fmac_f32_e32 v99, v80, v92
	v_add_f32_e32 v68, v68, v98
	v_add_f32_e32 v69, v69, v74
	;; [unrolled: 1-line block ×3, first 2 shown]
	s_waitcnt vmcnt(1)
	v_sub_f32_e32 v69, v93, v69
	s_waitcnt vmcnt(0)
	v_sub_f32_e32 v68, v94, v68
	buffer_store_dword v69, off, s[0:3], 0 offset:208
	buffer_store_dword v68, off, s[0:3], 0 offset:212
	s_and_saveexec_b64 s[4:5], vcc
	s_cbranch_execz .LBB96_161
; %bb.160:
	buffer_load_dword v68, off, s[0:3], 0 offset:200
	buffer_load_dword v69, off, s[0:3], 0 offset:204
	v_mov_b32_e32 v70, 0
	buffer_store_dword v70, off, s[0:3], 0 offset:200
	buffer_store_dword v70, off, s[0:3], 0 offset:204
	s_waitcnt vmcnt(2)
	ds_write_b64 v67, v[68:69]
.LBB96_161:
	s_or_b64 exec, exec, s[4:5]
	s_waitcnt lgkmcnt(0)
	; wave barrier
	buffer_load_dword v83, off, s[0:3], 0 offset:212
	buffer_load_dword v84, off, s[0:3], 0 offset:220
	;; [unrolled: 1-line block ×16, first 2 shown]
	v_mov_b32_e32 v68, 0
	ds_read_b128 v[69:72], v68 offset:480
	ds_read_b128 v[73:76], v68 offset:496
	ds_read_b128 v[77:80], v68 offset:512
	ds_read_b64 v[81:82], v68 offset:528
	v_cmp_lt_u32_e32 vcc, 24, v0
	s_waitcnt vmcnt(15) lgkmcnt(3)
	v_mul_f32_e32 v99, v69, v83
	v_mul_f32_e32 v83, v70, v83
	s_waitcnt vmcnt(14)
	v_mul_f32_e32 v100, v71, v84
	v_mul_f32_e32 v84, v72, v84
	s_waitcnt vmcnt(13) lgkmcnt(2)
	v_mul_f32_e32 v101, v73, v85
	s_waitcnt vmcnt(12)
	v_mul_f32_e32 v102, v75, v86
	v_mul_f32_e32 v85, v74, v85
	s_waitcnt vmcnt(8)
	v_fma_f32 v69, v69, v90, -v83
	v_fmac_f32_e32 v99, v70, v90
	s_waitcnt vmcnt(7)
	v_fma_f32 v70, v71, v91, -v84
	v_add_f32_e32 v69, 0, v69
	v_mul_f32_e32 v86, v76, v86
	v_fmac_f32_e32 v100, v72, v91
	s_waitcnt vmcnt(5)
	v_fmac_f32_e32 v102, v76, v93
	v_fma_f32 v71, v73, v92, -v85
	v_add_f32_e32 v76, 0, v99
	v_add_f32_e32 v69, v69, v70
	s_waitcnt lgkmcnt(1)
	v_mul_f32_e32 v103, v77, v87
	v_mul_f32_e32 v87, v78, v87
	v_fmac_f32_e32 v101, v74, v92
	v_fma_f32 v72, v75, v93, -v86
	v_add_f32_e32 v76, v76, v100
	v_add_f32_e32 v69, v69, v71
	v_mul_f32_e32 v104, v79, v88
	v_mul_f32_e32 v88, v80, v88
	s_waitcnt vmcnt(4)
	v_fma_f32 v73, v77, v94, -v87
	v_add_f32_e32 v70, v76, v101
	v_add_f32_e32 v69, v69, v72
	s_waitcnt lgkmcnt(0)
	v_mul_f32_e32 v105, v81, v89
	v_mul_f32_e32 v89, v82, v89
	v_fmac_f32_e32 v103, v78, v94
	s_waitcnt vmcnt(3)
	v_fma_f32 v74, v79, v95, -v88
	v_add_f32_e32 v70, v70, v102
	v_add_f32_e32 v69, v69, v73
	v_fmac_f32_e32 v104, v80, v95
	s_waitcnt vmcnt(2)
	v_fma_f32 v75, v81, v96, -v89
	v_add_f32_e32 v70, v70, v103
	v_add_f32_e32 v69, v69, v74
	v_fmac_f32_e32 v105, v82, v96
	v_add_f32_e32 v70, v70, v104
	v_add_f32_e32 v69, v69, v75
	;; [unrolled: 1-line block ×3, first 2 shown]
	s_waitcnt vmcnt(1)
	v_sub_f32_e32 v69, v97, v69
	s_waitcnt vmcnt(0)
	v_sub_f32_e32 v70, v98, v70
	buffer_store_dword v69, off, s[0:3], 0 offset:200
	buffer_store_dword v70, off, s[0:3], 0 offset:204
	s_and_saveexec_b64 s[4:5], vcc
	s_cbranch_execz .LBB96_163
; %bb.162:
	buffer_load_dword v69, off, s[0:3], 0 offset:192
	buffer_load_dword v70, off, s[0:3], 0 offset:196
	s_waitcnt vmcnt(0)
	ds_write_b64 v67, v[69:70]
	buffer_store_dword v68, off, s[0:3], 0 offset:192
	buffer_store_dword v68, off, s[0:3], 0 offset:196
.LBB96_163:
	s_or_b64 exec, exec, s[4:5]
	s_waitcnt lgkmcnt(0)
	; wave barrier
	buffer_load_dword v85, off, s[0:3], 0 offset:204
	buffer_load_dword v86, off, s[0:3], 0 offset:212
	;; [unrolled: 1-line block ×18, first 2 shown]
	ds_read2_b64 v[69:72], v68 offset0:59 offset1:60
	ds_read2_b64 v[73:76], v68 offset0:61 offset1:62
	;; [unrolled: 1-line block ×4, first 2 shown]
	v_cmp_lt_u32_e32 vcc, 23, v0
	s_waitcnt vmcnt(17) lgkmcnt(3)
	v_mul_f32_e32 v68, v69, v85
	v_mul_f32_e32 v85, v70, v85
	s_waitcnt vmcnt(16)
	v_mul_f32_e32 v103, v71, v86
	v_mul_f32_e32 v86, v72, v86
	s_waitcnt vmcnt(15) lgkmcnt(2)
	v_mul_f32_e32 v104, v73, v87
	v_mul_f32_e32 v87, v74, v87
	s_waitcnt vmcnt(14)
	v_mul_f32_e32 v105, v75, v88
	v_mul_f32_e32 v88, v76, v88
	s_waitcnt vmcnt(9)
	v_fma_f32 v69, v69, v93, -v85
	v_fmac_f32_e32 v68, v70, v93
	s_waitcnt vmcnt(8)
	v_fma_f32 v70, v71, v94, -v86
	v_add_f32_e32 v69, 0, v69
	v_fmac_f32_e32 v103, v72, v94
	s_waitcnt vmcnt(7)
	v_fma_f32 v71, v73, v95, -v87
	v_add_f32_e32 v68, 0, v68
	v_add_f32_e32 v69, v69, v70
	s_waitcnt lgkmcnt(1)
	v_mul_f32_e32 v106, v77, v89
	v_mul_f32_e32 v89, v78, v89
	v_fmac_f32_e32 v104, v74, v95
	s_waitcnt vmcnt(6)
	v_fma_f32 v72, v75, v96, -v88
	v_add_f32_e32 v68, v68, v103
	v_add_f32_e32 v69, v69, v71
	v_mul_f32_e32 v107, v79, v90
	v_mul_f32_e32 v90, v80, v90
	v_fmac_f32_e32 v105, v76, v96
	s_waitcnt vmcnt(5)
	v_fma_f32 v73, v77, v97, -v89
	v_add_f32_e32 v68, v68, v104
	v_add_f32_e32 v69, v69, v72
	s_waitcnt lgkmcnt(0)
	v_mul_f32_e32 v108, v81, v91
	v_mul_f32_e32 v91, v82, v91
	v_fmac_f32_e32 v106, v78, v97
	s_waitcnt vmcnt(4)
	v_fma_f32 v74, v79, v98, -v90
	v_add_f32_e32 v68, v68, v105
	v_add_f32_e32 v69, v69, v73
	v_mul_f32_e32 v109, v83, v92
	v_mul_f32_e32 v92, v84, v92
	v_fmac_f32_e32 v107, v80, v98
	s_waitcnt vmcnt(3)
	v_fma_f32 v75, v81, v99, -v91
	v_add_f32_e32 v68, v68, v106
	v_add_f32_e32 v69, v69, v74
	v_fmac_f32_e32 v108, v82, v99
	s_waitcnt vmcnt(2)
	v_fma_f32 v76, v83, v100, -v92
	v_add_f32_e32 v68, v68, v107
	v_add_f32_e32 v69, v69, v75
	v_fmac_f32_e32 v109, v84, v100
	v_add_f32_e32 v68, v68, v108
	v_add_f32_e32 v69, v69, v76
	;; [unrolled: 1-line block ×3, first 2 shown]
	s_waitcnt vmcnt(1)
	v_sub_f32_e32 v69, v101, v69
	s_waitcnt vmcnt(0)
	v_sub_f32_e32 v68, v102, v68
	buffer_store_dword v69, off, s[0:3], 0 offset:192
	buffer_store_dword v68, off, s[0:3], 0 offset:196
	s_and_saveexec_b64 s[4:5], vcc
	s_cbranch_execz .LBB96_165
; %bb.164:
	buffer_load_dword v68, off, s[0:3], 0 offset:184
	buffer_load_dword v69, off, s[0:3], 0 offset:188
	v_mov_b32_e32 v70, 0
	buffer_store_dword v70, off, s[0:3], 0 offset:184
	buffer_store_dword v70, off, s[0:3], 0 offset:188
	s_waitcnt vmcnt(2)
	ds_write_b64 v67, v[68:69]
.LBB96_165:
	s_or_b64 exec, exec, s[4:5]
	s_waitcnt lgkmcnt(0)
	; wave barrier
	buffer_load_dword v87, off, s[0:3], 0 offset:196
	buffer_load_dword v88, off, s[0:3], 0 offset:204
	;; [unrolled: 1-line block ×20, first 2 shown]
	v_mov_b32_e32 v68, 0
	ds_read_b128 v[69:72], v68 offset:464
	ds_read_b128 v[73:76], v68 offset:480
	;; [unrolled: 1-line block ×4, first 2 shown]
	ds_read_b64 v[85:86], v68 offset:528
	v_cmp_lt_u32_e32 vcc, 22, v0
	s_waitcnt vmcnt(19) lgkmcnt(4)
	v_mul_f32_e32 v107, v69, v87
	v_mul_f32_e32 v87, v70, v87
	s_waitcnt vmcnt(18)
	v_mul_f32_e32 v108, v71, v88
	v_mul_f32_e32 v88, v72, v88
	s_waitcnt vmcnt(17) lgkmcnt(3)
	v_mul_f32_e32 v109, v73, v89
	s_waitcnt vmcnt(15) lgkmcnt(2)
	v_mul_f32_e32 v111, v77, v91
	v_mul_f32_e32 v89, v74, v89
	;; [unrolled: 1-line block ×4, first 2 shown]
	s_waitcnt vmcnt(10)
	v_fma_f32 v69, v69, v96, -v87
	v_fmac_f32_e32 v107, v70, v96
	s_waitcnt vmcnt(9)
	v_fma_f32 v70, v71, v97, -v88
	v_add_f32_e32 v69, 0, v69
	v_mul_f32_e32 v91, v78, v91
	v_fmac_f32_e32 v108, v72, v97
	s_waitcnt vmcnt(6)
	v_fmac_f32_e32 v111, v78, v100
	v_fma_f32 v71, v73, v98, -v89
	v_add_f32_e32 v78, 0, v107
	v_add_f32_e32 v69, v69, v70
	v_fmac_f32_e32 v109, v74, v98
	v_fma_f32 v72, v75, v99, -v90
	v_add_f32_e32 v78, v78, v108
	v_add_f32_e32 v69, v69, v71
	v_mul_f32_e32 v112, v79, v92
	v_mul_f32_e32 v92, v80, v92
	v_fmac_f32_e32 v110, v76, v99
	v_fma_f32 v73, v77, v100, -v91
	v_add_f32_e32 v70, v78, v109
	v_add_f32_e32 v69, v69, v72
	s_waitcnt lgkmcnt(1)
	v_mul_f32_e32 v113, v81, v93
	v_mul_f32_e32 v93, v82, v93
	s_waitcnt vmcnt(5)
	v_fma_f32 v74, v79, v101, -v92
	v_add_f32_e32 v70, v70, v110
	v_add_f32_e32 v69, v69, v73
	v_mul_f32_e32 v114, v83, v94
	v_mul_f32_e32 v94, v84, v94
	v_fmac_f32_e32 v112, v80, v101
	s_waitcnt vmcnt(4)
	v_fma_f32 v75, v81, v102, -v93
	v_add_f32_e32 v70, v70, v111
	v_add_f32_e32 v69, v69, v74
	s_waitcnt lgkmcnt(0)
	v_mul_f32_e32 v115, v85, v95
	v_mul_f32_e32 v95, v86, v95
	v_fmac_f32_e32 v113, v82, v102
	s_waitcnt vmcnt(3)
	v_fma_f32 v76, v83, v103, -v94
	v_add_f32_e32 v70, v70, v112
	v_add_f32_e32 v69, v69, v75
	v_fmac_f32_e32 v114, v84, v103
	s_waitcnt vmcnt(2)
	v_fma_f32 v77, v85, v104, -v95
	v_add_f32_e32 v70, v70, v113
	v_add_f32_e32 v69, v69, v76
	v_fmac_f32_e32 v115, v86, v104
	v_add_f32_e32 v70, v70, v114
	v_add_f32_e32 v69, v69, v77
	;; [unrolled: 1-line block ×3, first 2 shown]
	s_waitcnt vmcnt(1)
	v_sub_f32_e32 v69, v105, v69
	s_waitcnt vmcnt(0)
	v_sub_f32_e32 v70, v106, v70
	buffer_store_dword v69, off, s[0:3], 0 offset:184
	buffer_store_dword v70, off, s[0:3], 0 offset:188
	s_and_saveexec_b64 s[4:5], vcc
	s_cbranch_execz .LBB96_167
; %bb.166:
	buffer_load_dword v69, off, s[0:3], 0 offset:176
	buffer_load_dword v70, off, s[0:3], 0 offset:180
	s_waitcnt vmcnt(0)
	ds_write_b64 v67, v[69:70]
	buffer_store_dword v68, off, s[0:3], 0 offset:176
	buffer_store_dword v68, off, s[0:3], 0 offset:180
.LBB96_167:
	s_or_b64 exec, exec, s[4:5]
	s_waitcnt lgkmcnt(0)
	; wave barrier
	buffer_load_dword v89, off, s[0:3], 0 offset:188
	buffer_load_dword v90, off, s[0:3], 0 offset:196
	;; [unrolled: 1-line block ×22, first 2 shown]
	ds_read2_b64 v[69:72], v68 offset0:57 offset1:58
	ds_read2_b64 v[73:76], v68 offset0:59 offset1:60
	;; [unrolled: 1-line block ×5, first 2 shown]
	v_cmp_lt_u32_e32 vcc, 21, v0
	s_waitcnt vmcnt(21) lgkmcnt(4)
	v_mul_f32_e32 v68, v69, v89
	v_mul_f32_e32 v89, v70, v89
	s_waitcnt vmcnt(20)
	v_mul_f32_e32 v111, v71, v90
	v_mul_f32_e32 v90, v72, v90
	s_waitcnt vmcnt(19) lgkmcnt(3)
	v_mul_f32_e32 v112, v73, v91
	v_mul_f32_e32 v91, v74, v91
	s_waitcnt vmcnt(18)
	v_mul_f32_e32 v113, v75, v92
	v_mul_f32_e32 v92, v76, v92
	s_waitcnt vmcnt(17) lgkmcnt(2)
	v_mul_f32_e32 v114, v77, v93
	v_mul_f32_e32 v93, v78, v93
	s_waitcnt vmcnt(11)
	v_fma_f32 v69, v69, v99, -v89
	v_fmac_f32_e32 v68, v70, v99
	s_waitcnt vmcnt(10)
	v_fma_f32 v70, v71, v100, -v90
	v_add_f32_e32 v69, 0, v69
	v_fmac_f32_e32 v111, v72, v100
	s_waitcnt vmcnt(9)
	v_fma_f32 v71, v73, v101, -v91
	v_add_f32_e32 v68, 0, v68
	v_add_f32_e32 v69, v69, v70
	v_fmac_f32_e32 v112, v74, v101
	s_waitcnt vmcnt(8)
	v_fma_f32 v72, v75, v102, -v92
	v_add_f32_e32 v68, v68, v111
	v_add_f32_e32 v69, v69, v71
	v_mul_f32_e32 v115, v79, v94
	v_mul_f32_e32 v94, v80, v94
	v_fmac_f32_e32 v113, v76, v102
	s_waitcnt vmcnt(7)
	v_fma_f32 v73, v77, v103, -v93
	v_add_f32_e32 v68, v68, v112
	v_add_f32_e32 v69, v69, v72
	s_waitcnt lgkmcnt(1)
	v_mul_f32_e32 v116, v81, v95
	v_mul_f32_e32 v95, v82, v95
	v_fmac_f32_e32 v114, v78, v103
	s_waitcnt vmcnt(6)
	v_fma_f32 v74, v79, v104, -v94
	v_add_f32_e32 v68, v68, v113
	v_add_f32_e32 v69, v69, v73
	v_mul_f32_e32 v117, v83, v96
	v_mul_f32_e32 v96, v84, v96
	v_fmac_f32_e32 v115, v80, v104
	s_waitcnt vmcnt(5)
	v_fma_f32 v75, v81, v105, -v95
	v_add_f32_e32 v68, v68, v114
	v_add_f32_e32 v69, v69, v74
	s_waitcnt lgkmcnt(0)
	v_mul_f32_e32 v118, v85, v97
	v_mul_f32_e32 v97, v86, v97
	v_fmac_f32_e32 v116, v82, v105
	s_waitcnt vmcnt(4)
	v_fma_f32 v76, v83, v106, -v96
	v_add_f32_e32 v68, v68, v115
	v_add_f32_e32 v69, v69, v75
	v_mul_f32_e32 v119, v87, v98
	v_mul_f32_e32 v98, v88, v98
	v_fmac_f32_e32 v117, v84, v106
	s_waitcnt vmcnt(3)
	v_fma_f32 v77, v85, v107, -v97
	v_add_f32_e32 v68, v68, v116
	v_add_f32_e32 v69, v69, v76
	v_fmac_f32_e32 v118, v86, v107
	s_waitcnt vmcnt(2)
	v_fma_f32 v78, v87, v108, -v98
	v_add_f32_e32 v68, v68, v117
	v_add_f32_e32 v69, v69, v77
	v_fmac_f32_e32 v119, v88, v108
	v_add_f32_e32 v68, v68, v118
	v_add_f32_e32 v69, v69, v78
	;; [unrolled: 1-line block ×3, first 2 shown]
	s_waitcnt vmcnt(1)
	v_sub_f32_e32 v69, v109, v69
	s_waitcnt vmcnt(0)
	v_sub_f32_e32 v68, v110, v68
	buffer_store_dword v69, off, s[0:3], 0 offset:176
	buffer_store_dword v68, off, s[0:3], 0 offset:180
	s_and_saveexec_b64 s[4:5], vcc
	s_cbranch_execz .LBB96_169
; %bb.168:
	buffer_load_dword v68, off, s[0:3], 0 offset:168
	buffer_load_dword v69, off, s[0:3], 0 offset:172
	v_mov_b32_e32 v70, 0
	buffer_store_dword v70, off, s[0:3], 0 offset:168
	buffer_store_dword v70, off, s[0:3], 0 offset:172
	s_waitcnt vmcnt(2)
	ds_write_b64 v67, v[68:69]
.LBB96_169:
	s_or_b64 exec, exec, s[4:5]
	s_waitcnt lgkmcnt(0)
	; wave barrier
	buffer_load_dword v91, off, s[0:3], 0 offset:180
	buffer_load_dword v92, off, s[0:3], 0 offset:188
	;; [unrolled: 1-line block ×24, first 2 shown]
	v_mov_b32_e32 v68, 0
	ds_read_b128 v[69:72], v68 offset:448
	ds_read_b128 v[73:76], v68 offset:464
	;; [unrolled: 1-line block ×5, first 2 shown]
	ds_read_b64 v[89:90], v68 offset:528
	v_cmp_lt_u32_e32 vcc, 20, v0
	s_waitcnt vmcnt(23) lgkmcnt(5)
	v_mul_f32_e32 v115, v69, v91
	v_mul_f32_e32 v91, v70, v91
	s_waitcnt vmcnt(22)
	v_mul_f32_e32 v116, v71, v92
	v_mul_f32_e32 v92, v72, v92
	s_waitcnt vmcnt(21) lgkmcnt(4)
	v_mul_f32_e32 v117, v73, v93
	v_mul_f32_e32 v93, v74, v93
	s_waitcnt vmcnt(20)
	v_mul_f32_e32 v118, v75, v94
	s_waitcnt vmcnt(19) lgkmcnt(3)
	v_mul_f32_e32 v119, v77, v95
	v_mul_f32_e32 v94, v76, v94
	;; [unrolled: 1-line block ×3, first 2 shown]
	s_waitcnt vmcnt(18)
	v_mul_f32_e32 v120, v79, v96
	s_waitcnt vmcnt(12)
	v_fma_f32 v69, v69, v102, -v91
	v_fmac_f32_e32 v115, v70, v102
	s_waitcnt vmcnt(11)
	v_fma_f32 v70, v71, v103, -v92
	v_add_f32_e32 v69, 0, v69
	s_waitcnt vmcnt(10)
	v_fma_f32 v71, v73, v104, -v93
	v_add_f32_e32 v69, v69, v70
	v_fmac_f32_e32 v116, v72, v103
	s_waitcnt vmcnt(8)
	v_fmac_f32_e32 v119, v78, v106
	v_fma_f32 v72, v75, v105, -v94
	v_add_f32_e32 v78, 0, v115
	v_add_f32_e32 v69, v69, v71
	v_mul_f32_e32 v96, v80, v96
	v_fmac_f32_e32 v117, v74, v104
	v_fma_f32 v73, v77, v106, -v95
	v_add_f32_e32 v78, v78, v116
	v_add_f32_e32 v69, v69, v72
	s_waitcnt lgkmcnt(2)
	v_mul_f32_e32 v121, v81, v97
	v_mul_f32_e32 v97, v82, v97
	v_fmac_f32_e32 v118, v76, v105
	s_waitcnt vmcnt(7)
	v_fma_f32 v74, v79, v107, -v96
	v_add_f32_e32 v70, v78, v117
	v_add_f32_e32 v69, v69, v73
	v_mul_f32_e32 v122, v83, v98
	v_mul_f32_e32 v98, v84, v98
	s_waitcnt vmcnt(6)
	v_fma_f32 v75, v81, v108, -v97
	v_add_f32_e32 v70, v70, v118
	v_add_f32_e32 v69, v69, v74
	s_waitcnt lgkmcnt(1)
	v_mul_f32_e32 v123, v85, v99
	v_mul_f32_e32 v99, v86, v99
	v_fmac_f32_e32 v120, v80, v107
	s_waitcnt vmcnt(5)
	v_fma_f32 v76, v83, v109, -v98
	v_add_f32_e32 v70, v70, v119
	v_add_f32_e32 v69, v69, v75
	v_fmac_f32_e32 v121, v82, v108
	s_waitcnt vmcnt(4)
	v_fma_f32 v77, v85, v110, -v99
	v_add_f32_e32 v70, v70, v120
	v_add_f32_e32 v69, v69, v76
	v_mul_f32_e32 v71, v88, v100
	v_fmac_f32_e32 v122, v84, v109
	v_add_f32_e32 v70, v70, v121
	v_add_f32_e32 v69, v69, v77
	s_waitcnt vmcnt(3)
	v_fma_f32 v71, v87, v111, -v71
	v_mul_f32_e32 v124, v87, v100
	v_fmac_f32_e32 v123, v86, v110
	v_add_f32_e32 v70, v70, v122
	v_add_f32_e32 v69, v69, v71
	s_waitcnt lgkmcnt(0)
	v_mul_f32_e32 v71, v90, v101
	v_mul_f32_e32 v125, v89, v101
	v_fmac_f32_e32 v124, v88, v111
	v_add_f32_e32 v70, v70, v123
	s_waitcnt vmcnt(2)
	v_fma_f32 v71, v89, v112, -v71
	v_fmac_f32_e32 v125, v90, v112
	v_add_f32_e32 v70, v70, v124
	v_add_f32_e32 v69, v69, v71
	;; [unrolled: 1-line block ×3, first 2 shown]
	s_waitcnt vmcnt(1)
	v_sub_f32_e32 v69, v113, v69
	s_waitcnt vmcnt(0)
	v_sub_f32_e32 v70, v114, v70
	buffer_store_dword v69, off, s[0:3], 0 offset:168
	buffer_store_dword v70, off, s[0:3], 0 offset:172
	s_and_saveexec_b64 s[4:5], vcc
	s_cbranch_execz .LBB96_171
; %bb.170:
	buffer_load_dword v69, off, s[0:3], 0 offset:160
	buffer_load_dword v70, off, s[0:3], 0 offset:164
	s_waitcnt vmcnt(0)
	ds_write_b64 v67, v[69:70]
	buffer_store_dword v68, off, s[0:3], 0 offset:160
	buffer_store_dword v68, off, s[0:3], 0 offset:164
.LBB96_171:
	s_or_b64 exec, exec, s[4:5]
	s_waitcnt lgkmcnt(0)
	; wave barrier
	ds_read2_b64 v[69:72], v68 offset0:55 offset1:56
	buffer_load_dword v93, off, s[0:3], 0 offset:160
	buffer_load_dword v94, off, s[0:3], 0 offset:164
	buffer_load_dword v95, off, s[0:3], 0 offset:168
	buffer_load_dword v96, off, s[0:3], 0 offset:172
	buffer_load_dword v97, off, s[0:3], 0 offset:176
	buffer_load_dword v98, off, s[0:3], 0 offset:180
	buffer_load_dword v99, off, s[0:3], 0 offset:184
	buffer_load_dword v100, off, s[0:3], 0 offset:188
	buffer_load_dword v101, off, s[0:3], 0 offset:192
	buffer_load_dword v102, off, s[0:3], 0 offset:196
	buffer_load_dword v103, off, s[0:3], 0 offset:200
	buffer_load_dword v104, off, s[0:3], 0 offset:204
	buffer_load_dword v105, off, s[0:3], 0 offset:208
	buffer_load_dword v106, off, s[0:3], 0 offset:212
	buffer_load_dword v107, off, s[0:3], 0 offset:216
	buffer_load_dword v108, off, s[0:3], 0 offset:220
	v_cmp_lt_u32_e32 vcc, 19, v0
	s_waitcnt vmcnt(12) lgkmcnt(0)
	v_mul_f32_e32 v73, v69, v96
	v_fmac_f32_e32 v73, v70, v95
	s_waitcnt vmcnt(10)
	v_mul_f32_e32 v74, v71, v98
	v_add_f32_e32 v73, 0, v73
	v_fmac_f32_e32 v74, v72, v97
	v_add_f32_e32 v77, v73, v74
	ds_read2_b64 v[73:76], v68 offset0:57 offset1:58
	v_mul_f32_e32 v70, v70, v96
	v_fma_f32 v69, v69, v95, -v70
	v_mul_f32_e32 v70, v72, v98
	v_add_f32_e32 v69, 0, v69
	s_waitcnt vmcnt(8) lgkmcnt(0)
	v_mul_f32_e32 v78, v73, v100
	v_fmac_f32_e32 v78, v74, v99
	v_add_f32_e32 v77, v77, v78
	s_waitcnt vmcnt(6)
	v_mul_f32_e32 v78, v75, v102
	v_fmac_f32_e32 v78, v76, v101
	v_add_f32_e32 v81, v77, v78
	ds_read2_b64 v[77:80], v68 offset0:59 offset1:60
	v_fma_f32 v70, v71, v97, -v70
	v_add_f32_e32 v69, v69, v70
	v_mul_f32_e32 v70, v74, v100
	v_fma_f32 v70, v73, v99, -v70
	s_waitcnt vmcnt(4) lgkmcnt(0)
	v_mul_f32_e32 v82, v77, v104
	v_fmac_f32_e32 v82, v78, v103
	v_add_f32_e32 v81, v81, v82
	s_waitcnt vmcnt(2)
	v_mul_f32_e32 v82, v79, v106
	v_fmac_f32_e32 v82, v80, v105
	v_add_f32_e32 v85, v81, v82
	ds_read2_b64 v[81:84], v68 offset0:61 offset1:62
	buffer_load_dword v109, off, s[0:3], 0 offset:224
	buffer_load_dword v110, off, s[0:3], 0 offset:228
	v_add_f32_e32 v69, v69, v70
	v_mul_f32_e32 v70, v76, v102
	v_fma_f32 v70, v75, v101, -v70
	s_waitcnt vmcnt(2) lgkmcnt(0)
	v_mul_f32_e32 v86, v81, v108
	v_fmac_f32_e32 v86, v82, v107
	v_add_f32_e32 v85, v85, v86
	v_add_f32_e32 v69, v69, v70
	v_mul_f32_e32 v70, v78, v104
	v_fma_f32 v70, v77, v103, -v70
	v_add_f32_e32 v69, v69, v70
	v_mul_f32_e32 v70, v80, v106
	v_fma_f32 v70, v79, v105, -v70
	;; [unrolled: 3-line block ×3, first 2 shown]
	v_add_f32_e32 v69, v69, v70
	s_waitcnt vmcnt(0)
	v_mul_f32_e32 v86, v83, v110
	v_fmac_f32_e32 v86, v84, v109
	v_add_f32_e32 v89, v85, v86
	ds_read2_b64 v[85:88], v68 offset0:63 offset1:64
	buffer_load_dword v111, off, s[0:3], 0 offset:232
	buffer_load_dword v112, off, s[0:3], 0 offset:236
	;; [unrolled: 1-line block ×4, first 2 shown]
	v_mul_f32_e32 v70, v84, v110
	v_fma_f32 v70, v83, v109, -v70
	v_add_f32_e32 v69, v69, v70
	s_waitcnt vmcnt(2) lgkmcnt(0)
	v_mul_f32_e32 v90, v85, v112
	v_fmac_f32_e32 v90, v86, v111
	v_add_f32_e32 v89, v89, v90
	s_waitcnt vmcnt(0)
	v_mul_f32_e32 v90, v87, v114
	v_fmac_f32_e32 v90, v88, v113
	v_add_f32_e32 v115, v89, v90
	ds_read2_b64 v[89:92], v68 offset0:65 offset1:66
	buffer_load_dword v68, off, s[0:3], 0 offset:248
	buffer_load_dword v116, off, s[0:3], 0 offset:252
	v_mul_f32_e32 v70, v86, v112
	v_fma_f32 v70, v85, v111, -v70
	v_add_f32_e32 v69, v69, v70
	v_mul_f32_e32 v70, v88, v114
	v_fma_f32 v70, v87, v113, -v70
	v_add_f32_e32 v69, v69, v70
	s_waitcnt vmcnt(0) lgkmcnt(0)
	v_mul_f32_e32 v117, v89, v116
	v_fmac_f32_e32 v117, v90, v68
	v_add_f32_e32 v115, v115, v117
	buffer_load_dword v117, off, s[0:3], 0 offset:256
	buffer_load_dword v118, off, s[0:3], 0 offset:260
	v_mul_f32_e32 v70, v90, v116
	v_fma_f32 v68, v89, v68, -v70
	v_add_f32_e32 v68, v69, v68
	s_waitcnt vmcnt(0)
	v_mul_f32_e32 v69, v92, v118
	v_mul_f32_e32 v119, v91, v118
	v_fma_f32 v69, v91, v117, -v69
	v_fmac_f32_e32 v119, v92, v117
	v_add_f32_e32 v68, v68, v69
	v_add_f32_e32 v115, v115, v119
	v_sub_f32_e32 v68, v93, v68
	v_sub_f32_e32 v69, v94, v115
	buffer_store_dword v68, off, s[0:3], 0 offset:160
	buffer_store_dword v69, off, s[0:3], 0 offset:164
	s_and_saveexec_b64 s[4:5], vcc
	s_cbranch_execz .LBB96_173
; %bb.172:
	buffer_load_dword v68, off, s[0:3], 0 offset:152
	buffer_load_dword v69, off, s[0:3], 0 offset:156
	v_mov_b32_e32 v70, 0
	buffer_store_dword v70, off, s[0:3], 0 offset:152
	buffer_store_dword v70, off, s[0:3], 0 offset:156
	s_waitcnt vmcnt(2)
	ds_write_b64 v67, v[68:69]
.LBB96_173:
	s_or_b64 exec, exec, s[4:5]
	v_mov_b32_e32 v68, 0
	s_waitcnt lgkmcnt(0)
	; wave barrier
	ds_read_b128 v[69:72], v68 offset:432
	ds_read_b128 v[73:76], v68 offset:448
	ds_read_b128 v[77:80], v68 offset:464
	ds_read_b128 v[81:84], v68 offset:480
	buffer_load_dword v95, off, s[0:3], 0 offset:152
	buffer_load_dword v96, off, s[0:3], 0 offset:156
	;; [unrolled: 1-line block ×18, first 2 shown]
	v_cmp_lt_u32_e32 vcc, 18, v0
	s_waitcnt vmcnt(14) lgkmcnt(3)
	v_mul_f32_e32 v85, v69, v98
	v_fmac_f32_e32 v85, v70, v97
	s_waitcnt vmcnt(12)
	v_mul_f32_e32 v86, v71, v100
	v_add_f32_e32 v85, 0, v85
	v_fmac_f32_e32 v86, v72, v99
	v_add_f32_e32 v85, v85, v86
	s_waitcnt vmcnt(10) lgkmcnt(2)
	v_mul_f32_e32 v86, v73, v102
	v_fmac_f32_e32 v86, v74, v101
	v_add_f32_e32 v85, v85, v86
	s_waitcnt vmcnt(8)
	v_mul_f32_e32 v86, v75, v104
	v_fmac_f32_e32 v86, v76, v103
	v_add_f32_e32 v85, v85, v86
	s_waitcnt vmcnt(6) lgkmcnt(1)
	v_mul_f32_e32 v86, v77, v106
	v_fmac_f32_e32 v86, v78, v105
	v_add_f32_e32 v85, v85, v86
	s_waitcnt vmcnt(4)
	v_mul_f32_e32 v86, v79, v108
	;; [unrolled: 8-line block ×3, first 2 shown]
	v_fmac_f32_e32 v86, v84, v111
	v_add_f32_e32 v89, v85, v86
	ds_read_b128 v[85:88], v68 offset:496
	buffer_load_dword v113, off, s[0:3], 0 offset:224
	buffer_load_dword v114, off, s[0:3], 0 offset:228
	;; [unrolled: 1-line block ×4, first 2 shown]
	v_mul_f32_e32 v70, v70, v98
	v_fma_f32 v69, v69, v97, -v70
	v_mul_f32_e32 v70, v72, v100
	v_add_f32_e32 v69, 0, v69
	v_fma_f32 v70, v71, v99, -v70
	v_add_f32_e32 v69, v69, v70
	v_mul_f32_e32 v70, v74, v102
	v_fma_f32 v70, v73, v101, -v70
	v_add_f32_e32 v69, v69, v70
	v_mul_f32_e32 v70, v76, v104
	;; [unrolled: 3-line block ×6, first 2 shown]
	v_fma_f32 v70, v83, v111, -v70
	v_add_f32_e32 v69, v69, v70
	s_waitcnt vmcnt(2) lgkmcnt(0)
	v_mul_f32_e32 v90, v85, v114
	v_fmac_f32_e32 v90, v86, v113
	v_add_f32_e32 v89, v89, v90
	s_waitcnt vmcnt(0)
	v_mul_f32_e32 v90, v87, v116
	v_fmac_f32_e32 v90, v88, v115
	v_add_f32_e32 v93, v89, v90
	ds_read_b128 v[89:92], v68 offset:512
	buffer_load_dword v117, off, s[0:3], 0 offset:240
	buffer_load_dword v118, off, s[0:3], 0 offset:244
	;; [unrolled: 1-line block ×4, first 2 shown]
	v_mul_f32_e32 v70, v86, v114
	v_fma_f32 v70, v85, v113, -v70
	v_add_f32_e32 v69, v69, v70
	v_mul_f32_e32 v70, v88, v116
	v_fma_f32 v70, v87, v115, -v70
	v_add_f32_e32 v69, v69, v70
	s_waitcnt vmcnt(2) lgkmcnt(0)
	v_mul_f32_e32 v94, v89, v118
	v_fmac_f32_e32 v94, v90, v117
	v_add_f32_e32 v93, v93, v94
	s_waitcnt vmcnt(0)
	v_mul_f32_e32 v94, v91, v120
	v_fmac_f32_e32 v94, v92, v119
	v_add_f32_e32 v121, v93, v94
	ds_read_b64 v[93:94], v68 offset:528
	buffer_load_dword v122, off, s[0:3], 0 offset:256
	buffer_load_dword v123, off, s[0:3], 0 offset:260
	v_mul_f32_e32 v70, v90, v118
	v_fma_f32 v70, v89, v117, -v70
	v_add_f32_e32 v69, v69, v70
	v_mul_f32_e32 v70, v92, v120
	v_fma_f32 v70, v91, v119, -v70
	v_add_f32_e32 v69, v69, v70
	s_waitcnt vmcnt(0) lgkmcnt(0)
	v_mul_f32_e32 v70, v94, v123
	v_mul_f32_e32 v124, v93, v123
	v_fma_f32 v70, v93, v122, -v70
	v_fmac_f32_e32 v124, v94, v122
	v_add_f32_e32 v69, v69, v70
	v_add_f32_e32 v121, v121, v124
	v_sub_f32_e32 v69, v95, v69
	v_sub_f32_e32 v70, v96, v121
	buffer_store_dword v69, off, s[0:3], 0 offset:152
	buffer_store_dword v70, off, s[0:3], 0 offset:156
	s_and_saveexec_b64 s[4:5], vcc
	s_cbranch_execz .LBB96_175
; %bb.174:
	buffer_load_dword v69, off, s[0:3], 0 offset:144
	buffer_load_dword v70, off, s[0:3], 0 offset:148
	s_waitcnt vmcnt(0)
	ds_write_b64 v67, v[69:70]
	buffer_store_dword v68, off, s[0:3], 0 offset:144
	buffer_store_dword v68, off, s[0:3], 0 offset:148
.LBB96_175:
	s_or_b64 exec, exec, s[4:5]
	s_waitcnt lgkmcnt(0)
	; wave barrier
	buffer_load_dword v97, off, s[0:3], 0 offset:156
	buffer_load_dword v98, off, s[0:3], 0 offset:164
	;; [unrolled: 1-line block ×30, first 2 shown]
	ds_read2_b64 v[69:72], v68 offset0:53 offset1:54
	ds_read2_b64 v[73:76], v68 offset0:55 offset1:56
	;; [unrolled: 1-line block ×7, first 2 shown]
	v_cmp_lt_u32_e32 vcc, 17, v0
	s_waitcnt vmcnt(29) lgkmcnt(6)
	v_mul_f32_e32 v68, v69, v97
	v_mul_f32_e32 v97, v70, v97
	s_waitcnt vmcnt(28)
	v_mul_f32_e32 v127, v71, v98
	v_mul_f32_e32 v98, v72, v98
	s_waitcnt vmcnt(27) lgkmcnt(5)
	v_mul_f32_e32 v128, v73, v99
	v_mul_f32_e32 v99, v74, v99
	s_waitcnt vmcnt(26)
	v_mul_f32_e32 v129, v75, v100
	v_mul_f32_e32 v100, v76, v100
	s_waitcnt vmcnt(25) lgkmcnt(4)
	v_mul_f32_e32 v130, v77, v101
	v_mul_f32_e32 v101, v78, v101
	s_waitcnt vmcnt(24)
	v_mul_f32_e32 v131, v79, v102
	s_waitcnt vmcnt(23) lgkmcnt(3)
	v_mul_f32_e32 v132, v81, v103
	s_waitcnt vmcnt(22)
	v_mul_f32_e32 v133, v83, v104
	s_waitcnt vmcnt(21) lgkmcnt(2)
	v_mul_f32_e32 v134, v85, v105
	s_waitcnt vmcnt(15)
	v_fma_f32 v69, v69, v111, -v97
	v_fmac_f32_e32 v68, v70, v111
	s_waitcnt vmcnt(14)
	v_fma_f32 v70, v71, v112, -v98
	v_add_f32_e32 v69, 0, v69
	s_waitcnt vmcnt(13)
	v_fma_f32 v71, v73, v113, -v99
	v_add_f32_e32 v69, v69, v70
	v_fmac_f32_e32 v127, v72, v112
	s_waitcnt vmcnt(12)
	v_fma_f32 v72, v75, v114, -v100
	v_add_f32_e32 v69, v69, v71
	s_waitcnt vmcnt(11)
	v_fma_f32 v73, v77, v115, -v101
	v_add_f32_e32 v69, v69, v72
	v_mul_f32_e32 v70, v80, v102
	v_add_f32_e32 v69, v69, v73
	s_waitcnt vmcnt(10)
	v_fma_f32 v70, v79, v116, -v70
	v_add_f32_e32 v69, v69, v70
	v_mul_f32_e32 v70, v82, v103
	s_waitcnt vmcnt(9)
	v_fma_f32 v70, v81, v117, -v70
	v_add_f32_e32 v69, v69, v70
	v_mul_f32_e32 v70, v84, v104
	s_waitcnt vmcnt(8)
	v_fma_f32 v70, v83, v118, -v70
	v_add_f32_e32 v68, 0, v68
	v_add_f32_e32 v69, v69, v70
	v_mul_f32_e32 v70, v86, v105
	v_fmac_f32_e32 v128, v74, v113
	v_add_f32_e32 v68, v68, v127
	s_waitcnt vmcnt(7)
	v_fma_f32 v70, v85, v119, -v70
	v_fmac_f32_e32 v129, v76, v114
	v_add_f32_e32 v68, v68, v128
	v_add_f32_e32 v69, v69, v70
	v_mul_f32_e32 v70, v88, v106
	v_fmac_f32_e32 v130, v78, v115
	v_add_f32_e32 v68, v68, v129
	s_waitcnt vmcnt(6)
	v_fma_f32 v70, v87, v120, -v70
	v_fmac_f32_e32 v131, v80, v116
	v_add_f32_e32 v68, v68, v130
	v_add_f32_e32 v69, v69, v70
	s_waitcnt lgkmcnt(1)
	v_mul_f32_e32 v70, v90, v107
	v_fmac_f32_e32 v132, v82, v117
	v_add_f32_e32 v68, v68, v131
	s_waitcnt vmcnt(5)
	v_fma_f32 v70, v89, v121, -v70
	v_fmac_f32_e32 v133, v84, v118
	v_add_f32_e32 v68, v68, v132
	v_add_f32_e32 v69, v69, v70
	v_mul_f32_e32 v70, v92, v108
	v_mul_f32_e32 v135, v87, v106
	v_fmac_f32_e32 v134, v86, v119
	v_add_f32_e32 v68, v68, v133
	s_waitcnt vmcnt(4)
	v_fma_f32 v70, v91, v122, -v70
	v_mul_f32_e32 v136, v89, v107
	v_fmac_f32_e32 v135, v88, v120
	v_add_f32_e32 v68, v68, v134
	v_add_f32_e32 v69, v69, v70
	s_waitcnt lgkmcnt(0)
	v_mul_f32_e32 v70, v94, v109
	v_mul_f32_e32 v137, v91, v108
	v_fmac_f32_e32 v136, v90, v121
	v_add_f32_e32 v68, v68, v135
	s_waitcnt vmcnt(3)
	v_fma_f32 v70, v93, v123, -v70
	v_mul_f32_e32 v138, v93, v109
	v_fmac_f32_e32 v137, v92, v122
	v_add_f32_e32 v68, v68, v136
	v_add_f32_e32 v69, v69, v70
	v_mul_f32_e32 v70, v96, v110
	v_mul_f32_e32 v139, v95, v110
	v_fmac_f32_e32 v138, v94, v123
	v_add_f32_e32 v68, v68, v137
	s_waitcnt vmcnt(2)
	v_fma_f32 v70, v95, v124, -v70
	v_fmac_f32_e32 v139, v96, v124
	v_add_f32_e32 v68, v68, v138
	v_add_f32_e32 v69, v69, v70
	;; [unrolled: 1-line block ×3, first 2 shown]
	s_waitcnt vmcnt(1)
	v_sub_f32_e32 v69, v125, v69
	s_waitcnt vmcnt(0)
	v_sub_f32_e32 v68, v126, v68
	buffer_store_dword v69, off, s[0:3], 0 offset:144
	buffer_store_dword v68, off, s[0:3], 0 offset:148
	s_and_saveexec_b64 s[4:5], vcc
	s_cbranch_execz .LBB96_177
; %bb.176:
	buffer_load_dword v68, off, s[0:3], 0 offset:136
	buffer_load_dword v69, off, s[0:3], 0 offset:140
	v_mov_b32_e32 v70, 0
	buffer_store_dword v70, off, s[0:3], 0 offset:136
	buffer_store_dword v70, off, s[0:3], 0 offset:140
	s_waitcnt vmcnt(2)
	ds_write_b64 v67, v[68:69]
.LBB96_177:
	s_or_b64 exec, exec, s[4:5]
	s_waitcnt lgkmcnt(0)
	; wave barrier
	buffer_load_dword v99, off, s[0:3], 0 offset:148
	buffer_load_dword v100, off, s[0:3], 0 offset:156
	;; [unrolled: 1-line block ×32, first 2 shown]
	v_mov_b32_e32 v68, 0
	ds_read_b128 v[69:72], v68 offset:416
	ds_read_b128 v[73:76], v68 offset:432
	;; [unrolled: 1-line block ×7, first 2 shown]
	ds_read_b64 v[97:98], v68 offset:528
	v_cmp_lt_u32_e32 vcc, 16, v0
	s_waitcnt vmcnt(31) lgkmcnt(7)
	v_mul_f32_e32 v131, v69, v99
	v_mul_f32_e32 v99, v70, v99
	s_waitcnt vmcnt(30)
	v_mul_f32_e32 v132, v71, v100
	v_mul_f32_e32 v100, v72, v100
	s_waitcnt vmcnt(29) lgkmcnt(6)
	v_mul_f32_e32 v133, v73, v101
	v_mul_f32_e32 v101, v74, v101
	s_waitcnt vmcnt(28)
	v_mul_f32_e32 v134, v75, v102
	s_waitcnt vmcnt(27) lgkmcnt(5)
	v_mul_f32_e32 v135, v77, v103
	s_waitcnt vmcnt(26)
	v_mul_f32_e32 v136, v79, v104
	s_waitcnt vmcnt(25) lgkmcnt(4)
	;; [unrolled: 4-line block ×4, first 2 shown]
	v_mul_f32_e32 v141, v89, v109
	s_waitcnt vmcnt(20)
	v_mul_f32_e32 v142, v91, v110
	s_waitcnt vmcnt(16)
	v_fma_f32 v69, v69, v114, -v99
	v_fmac_f32_e32 v131, v70, v114
	s_waitcnt vmcnt(15)
	v_fma_f32 v70, v71, v115, -v100
	v_add_f32_e32 v69, 0, v69
	s_waitcnt vmcnt(14)
	v_fma_f32 v71, v73, v116, -v101
	v_add_f32_e32 v69, v69, v70
	v_add_f32_e32 v69, v69, v71
	v_mul_f32_e32 v71, v76, v102
	s_waitcnt vmcnt(13)
	v_fma_f32 v71, v75, v117, -v71
	v_add_f32_e32 v69, v69, v71
	v_mul_f32_e32 v71, v78, v103
	s_waitcnt vmcnt(12)
	v_fma_f32 v71, v77, v118, -v71
	;; [unrolled: 4-line block ×5, first 2 shown]
	v_add_f32_e32 v69, v69, v71
	v_mul_f32_e32 v71, v86, v107
	v_fmac_f32_e32 v132, v72, v115
	v_add_f32_e32 v72, 0, v131
	s_waitcnt vmcnt(8)
	v_fma_f32 v71, v85, v122, -v71
	v_fmac_f32_e32 v133, v74, v116
	v_add_f32_e32 v72, v72, v132
	v_add_f32_e32 v69, v69, v71
	v_mul_f32_e32 v71, v88, v108
	v_fmac_f32_e32 v134, v76, v117
	v_add_f32_e32 v70, v72, v133
	s_waitcnt vmcnt(7)
	v_fma_f32 v71, v87, v123, -v71
	v_fmac_f32_e32 v135, v78, v118
	v_add_f32_e32 v70, v70, v134
	;; [unrolled: 8-line block ×4, first 2 shown]
	v_add_f32_e32 v69, v69, v71
	s_waitcnt lgkmcnt(1)
	v_mul_f32_e32 v71, v94, v111
	v_fmac_f32_e32 v140, v88, v123
	v_add_f32_e32 v70, v70, v139
	s_waitcnt vmcnt(4)
	v_fma_f32 v71, v93, v126, -v71
	v_fmac_f32_e32 v141, v90, v124
	v_add_f32_e32 v70, v70, v140
	v_add_f32_e32 v69, v69, v71
	v_mul_f32_e32 v71, v96, v112
	v_mul_f32_e32 v143, v93, v111
	v_fmac_f32_e32 v142, v92, v125
	v_add_f32_e32 v70, v70, v141
	s_waitcnt vmcnt(3)
	v_fma_f32 v71, v95, v127, -v71
	v_mul_f32_e32 v144, v95, v112
	v_fmac_f32_e32 v143, v94, v126
	v_add_f32_e32 v70, v70, v142
	v_add_f32_e32 v69, v69, v71
	s_waitcnt lgkmcnt(0)
	v_mul_f32_e32 v71, v98, v113
	v_mul_f32_e32 v145, v97, v113
	v_fmac_f32_e32 v144, v96, v127
	v_add_f32_e32 v70, v70, v143
	s_waitcnt vmcnt(2)
	v_fma_f32 v71, v97, v128, -v71
	v_fmac_f32_e32 v145, v98, v128
	v_add_f32_e32 v70, v70, v144
	v_add_f32_e32 v69, v69, v71
	;; [unrolled: 1-line block ×3, first 2 shown]
	s_waitcnt vmcnt(1)
	v_sub_f32_e32 v69, v129, v69
	s_waitcnt vmcnt(0)
	v_sub_f32_e32 v70, v130, v70
	buffer_store_dword v69, off, s[0:3], 0 offset:136
	buffer_store_dword v70, off, s[0:3], 0 offset:140
	s_and_saveexec_b64 s[4:5], vcc
	s_cbranch_execz .LBB96_179
; %bb.178:
	buffer_load_dword v69, off, s[0:3], 0 offset:128
	buffer_load_dword v70, off, s[0:3], 0 offset:132
	s_waitcnt vmcnt(0)
	ds_write_b64 v67, v[69:70]
	buffer_store_dword v68, off, s[0:3], 0 offset:128
	buffer_store_dword v68, off, s[0:3], 0 offset:132
.LBB96_179:
	s_or_b64 exec, exec, s[4:5]
	s_waitcnt lgkmcnt(0)
	; wave barrier
	buffer_load_dword v101, off, s[0:3], 0 offset:140
	buffer_load_dword v102, off, s[0:3], 0 offset:148
	;; [unrolled: 1-line block ×34, first 2 shown]
	ds_read2_b64 v[69:72], v68 offset0:51 offset1:52
	ds_read2_b64 v[73:76], v68 offset0:53 offset1:54
	;; [unrolled: 1-line block ×8, first 2 shown]
	v_cmp_lt_u32_e32 vcc, 15, v0
	s_waitcnt vmcnt(33) lgkmcnt(7)
	v_mul_f32_e32 v68, v69, v101
	v_mul_f32_e32 v101, v70, v101
	s_waitcnt vmcnt(32)
	v_mul_f32_e32 v135, v71, v102
	v_mul_f32_e32 v102, v72, v102
	s_waitcnt vmcnt(31) lgkmcnt(6)
	v_mul_f32_e32 v136, v73, v103
	s_waitcnt vmcnt(30)
	v_mul_f32_e32 v137, v75, v104
	s_waitcnt vmcnt(29) lgkmcnt(5)
	v_mul_f32_e32 v138, v77, v105
	s_waitcnt vmcnt(28)
	;; [unrolled: 4-line block ×6, first 2 shown]
	v_mul_f32_e32 v147, v95, v114
	s_waitcnt vmcnt(17)
	v_fma_f32 v69, v69, v117, -v101
	v_fmac_f32_e32 v68, v70, v117
	s_waitcnt vmcnt(16)
	v_fma_f32 v70, v71, v118, -v102
	v_add_f32_e32 v69, 0, v69
	v_add_f32_e32 v69, v69, v70
	v_mul_f32_e32 v70, v74, v103
	s_waitcnt vmcnt(15)
	v_fma_f32 v70, v73, v119, -v70
	v_add_f32_e32 v69, v69, v70
	v_mul_f32_e32 v70, v76, v104
	s_waitcnt vmcnt(14)
	v_fma_f32 v70, v75, v120, -v70
	v_add_f32_e32 v69, v69, v70
	v_mul_f32_e32 v70, v78, v105
	s_waitcnt vmcnt(13)
	v_fma_f32 v70, v77, v121, -v70
	v_add_f32_e32 v69, v69, v70
	v_mul_f32_e32 v70, v80, v106
	s_waitcnt vmcnt(12)
	v_fma_f32 v70, v79, v122, -v70
	v_add_f32_e32 v69, v69, v70
	v_mul_f32_e32 v70, v82, v107
	s_waitcnt vmcnt(11)
	v_fma_f32 v70, v81, v123, -v70
	v_add_f32_e32 v69, v69, v70
	v_mul_f32_e32 v70, v84, v108
	s_waitcnt vmcnt(10)
	v_fma_f32 v70, v83, v124, -v70
	v_add_f32_e32 v69, v69, v70
	v_mul_f32_e32 v70, v86, v109
	s_waitcnt vmcnt(9)
	v_fma_f32 v70, v85, v125, -v70
	v_fmac_f32_e32 v135, v72, v118
	v_add_f32_e32 v68, 0, v68
	v_add_f32_e32 v69, v69, v70
	v_mul_f32_e32 v70, v88, v110
	v_fmac_f32_e32 v136, v74, v119
	v_add_f32_e32 v68, v68, v135
	s_waitcnt vmcnt(8)
	v_fma_f32 v70, v87, v126, -v70
	v_fmac_f32_e32 v137, v76, v120
	v_add_f32_e32 v68, v68, v136
	v_add_f32_e32 v69, v69, v70
	v_mul_f32_e32 v70, v90, v111
	v_fmac_f32_e32 v138, v78, v121
	v_add_f32_e32 v68, v68, v137
	s_waitcnt vmcnt(7)
	v_fma_f32 v70, v89, v127, -v70
	;; [unrolled: 8-line block ×5, first 2 shown]
	v_fmac_f32_e32 v145, v92, v128
	v_add_f32_e32 v68, v68, v144
	v_add_f32_e32 v69, v69, v70
	s_waitcnt lgkmcnt(0)
	v_mul_f32_e32 v70, v98, v115
	v_fmac_f32_e32 v146, v94, v129
	v_add_f32_e32 v68, v68, v145
	s_waitcnt vmcnt(3)
	v_fma_f32 v70, v97, v131, -v70
	v_mul_f32_e32 v148, v97, v115
	v_fmac_f32_e32 v147, v96, v130
	v_add_f32_e32 v68, v68, v146
	v_add_f32_e32 v69, v69, v70
	v_mul_f32_e32 v70, v100, v116
	v_mul_f32_e32 v149, v99, v116
	v_fmac_f32_e32 v148, v98, v131
	v_add_f32_e32 v68, v68, v147
	s_waitcnt vmcnt(2)
	v_fma_f32 v70, v99, v132, -v70
	v_fmac_f32_e32 v149, v100, v132
	v_add_f32_e32 v68, v68, v148
	v_add_f32_e32 v69, v69, v70
	;; [unrolled: 1-line block ×3, first 2 shown]
	s_waitcnt vmcnt(1)
	v_sub_f32_e32 v69, v133, v69
	s_waitcnt vmcnt(0)
	v_sub_f32_e32 v68, v134, v68
	buffer_store_dword v69, off, s[0:3], 0 offset:128
	buffer_store_dword v68, off, s[0:3], 0 offset:132
	s_and_saveexec_b64 s[4:5], vcc
	s_cbranch_execz .LBB96_181
; %bb.180:
	buffer_load_dword v68, off, s[0:3], 0 offset:120
	buffer_load_dword v69, off, s[0:3], 0 offset:124
	v_mov_b32_e32 v70, 0
	buffer_store_dword v70, off, s[0:3], 0 offset:120
	buffer_store_dword v70, off, s[0:3], 0 offset:124
	s_waitcnt vmcnt(2)
	ds_write_b64 v67, v[68:69]
.LBB96_181:
	s_or_b64 exec, exec, s[4:5]
	s_waitcnt lgkmcnt(0)
	; wave barrier
	buffer_load_dword v103, off, s[0:3], 0 offset:132
	buffer_load_dword v104, off, s[0:3], 0 offset:140
	;; [unrolled: 1-line block ×36, first 2 shown]
	v_mov_b32_e32 v68, 0
	ds_read_b128 v[69:72], v68 offset:400
	ds_read_b128 v[73:76], v68 offset:416
	;; [unrolled: 1-line block ×8, first 2 shown]
	ds_read_b64 v[101:102], v68 offset:528
	v_cmp_lt_u32_e32 vcc, 14, v0
	s_waitcnt vmcnt(35) lgkmcnt(8)
	v_mul_f32_e32 v139, v69, v103
	s_waitcnt vmcnt(34)
	v_mul_f32_e32 v140, v71, v104
	s_waitcnt vmcnt(33) lgkmcnt(7)
	v_mul_f32_e32 v141, v73, v105
	s_waitcnt vmcnt(32)
	v_mul_f32_e32 v142, v75, v106
	;; [unrolled: 4-line block ×8, first 2 shown]
	s_waitcnt vmcnt(19) lgkmcnt(0)
	v_mul_f32_e32 v155, v101, v119
	s_waitcnt vmcnt(18)
	v_fmac_f32_e32 v139, v70, v120
	v_mul_f32_e32 v70, v70, v103
	v_fma_f32 v69, v69, v120, -v70
	v_mul_f32_e32 v70, v72, v104
	v_add_f32_e32 v69, 0, v69
	s_waitcnt vmcnt(17)
	v_fma_f32 v70, v71, v121, -v70
	v_add_f32_e32 v69, v69, v70
	v_mul_f32_e32 v70, v74, v105
	s_waitcnt vmcnt(16)
	v_fma_f32 v70, v73, v122, -v70
	v_add_f32_e32 v69, v69, v70
	v_mul_f32_e32 v70, v76, v106
	;; [unrolled: 4-line block ×8, first 2 shown]
	v_fmac_f32_e32 v140, v72, v121
	v_add_f32_e32 v139, 0, v139
	s_waitcnt vmcnt(9)
	v_fma_f32 v70, v87, v129, -v70
	v_fmac_f32_e32 v141, v74, v122
	v_add_f32_e32 v139, v139, v140
	v_add_f32_e32 v69, v69, v70
	v_mul_f32_e32 v70, v90, v113
	v_fmac_f32_e32 v142, v76, v123
	v_add_f32_e32 v139, v139, v141
	s_waitcnt vmcnt(8)
	v_fma_f32 v70, v89, v130, -v70
	v_fmac_f32_e32 v143, v78, v124
	v_add_f32_e32 v139, v139, v142
	v_add_f32_e32 v69, v69, v70
	v_mul_f32_e32 v70, v92, v114
	;; [unrolled: 8-line block ×7, first 2 shown]
	v_fmac_f32_e32 v154, v100, v135
	v_add_f32_e32 v139, v139, v153
	s_waitcnt vmcnt(2)
	v_fma_f32 v70, v101, v136, -v70
	v_fmac_f32_e32 v155, v102, v136
	v_add_f32_e32 v139, v139, v154
	v_add_f32_e32 v69, v69, v70
	;; [unrolled: 1-line block ×3, first 2 shown]
	s_waitcnt vmcnt(1)
	v_sub_f32_e32 v69, v137, v69
	s_waitcnt vmcnt(0)
	v_sub_f32_e32 v70, v138, v139
	buffer_store_dword v69, off, s[0:3], 0 offset:120
	buffer_store_dword v70, off, s[0:3], 0 offset:124
	s_and_saveexec_b64 s[4:5], vcc
	s_cbranch_execz .LBB96_183
; %bb.182:
	buffer_load_dword v69, off, s[0:3], 0 offset:112
	buffer_load_dword v70, off, s[0:3], 0 offset:116
	s_waitcnt vmcnt(0)
	ds_write_b64 v67, v[69:70]
	buffer_store_dword v68, off, s[0:3], 0 offset:112
	buffer_store_dword v68, off, s[0:3], 0 offset:116
.LBB96_183:
	s_or_b64 exec, exec, s[4:5]
	s_waitcnt lgkmcnt(0)
	; wave barrier
	buffer_load_dword v105, off, s[0:3], 0 offset:124
	buffer_load_dword v106, off, s[0:3], 0 offset:132
	;; [unrolled: 1-line block ×38, first 2 shown]
	ds_read2_b64 v[69:72], v68 offset0:49 offset1:50
	ds_read2_b64 v[73:76], v68 offset0:51 offset1:52
	;; [unrolled: 1-line block ×9, first 2 shown]
	v_cmp_lt_u32_e32 vcc, 13, v0
	s_waitcnt vmcnt(37) lgkmcnt(8)
	v_mul_f32_e32 v68, v69, v105
	s_waitcnt vmcnt(36)
	v_mul_f32_e32 v143, v71, v106
	s_waitcnt vmcnt(35) lgkmcnt(7)
	v_mul_f32_e32 v144, v73, v107
	s_waitcnt vmcnt(34)
	v_mul_f32_e32 v145, v75, v108
	;; [unrolled: 4-line block ×8, first 2 shown]
	s_waitcnt vmcnt(21) lgkmcnt(0)
	v_mul_f32_e32 v158, v101, v121
	s_waitcnt vmcnt(20)
	v_fmac_f32_e32 v68, v70, v122
	v_mul_f32_e32 v70, v70, v105
	v_fma_f32 v69, v69, v122, -v70
	v_mul_f32_e32 v70, v72, v106
	v_add_f32_e32 v69, 0, v69
	s_waitcnt vmcnt(19)
	v_fma_f32 v70, v71, v123, -v70
	v_add_f32_e32 v69, v69, v70
	v_mul_f32_e32 v70, v74, v107
	s_waitcnt vmcnt(18)
	v_fma_f32 v70, v73, v124, -v70
	v_add_f32_e32 v69, v69, v70
	v_mul_f32_e32 v70, v76, v108
	;; [unrolled: 4-line block ×8, first 2 shown]
	s_waitcnt vmcnt(11)
	v_fma_f32 v70, v87, v131, -v70
	v_fmac_f32_e32 v143, v72, v123
	v_add_f32_e32 v68, 0, v68
	v_add_f32_e32 v69, v69, v70
	v_mul_f32_e32 v70, v90, v115
	v_fmac_f32_e32 v144, v74, v124
	v_add_f32_e32 v68, v68, v143
	s_waitcnt vmcnt(10)
	v_fma_f32 v70, v89, v132, -v70
	v_fmac_f32_e32 v145, v76, v125
	v_add_f32_e32 v68, v68, v144
	v_add_f32_e32 v69, v69, v70
	v_mul_f32_e32 v70, v92, v116
	v_fmac_f32_e32 v146, v78, v126
	v_add_f32_e32 v68, v68, v145
	s_waitcnt vmcnt(9)
	v_fma_f32 v70, v91, v133, -v70
	v_fmac_f32_e32 v147, v80, v127
	v_add_f32_e32 v68, v68, v146
	v_add_f32_e32 v69, v69, v70
	v_mul_f32_e32 v70, v94, v117
	v_fmac_f32_e32 v148, v82, v128
	v_add_f32_e32 v68, v68, v147
	s_waitcnt vmcnt(8)
	v_fma_f32 v70, v93, v134, -v70
	v_fmac_f32_e32 v149, v84, v129
	v_add_f32_e32 v68, v68, v148
	v_add_f32_e32 v69, v69, v70
	v_mul_f32_e32 v70, v96, v118
	v_fmac_f32_e32 v150, v86, v130
	v_add_f32_e32 v68, v68, v149
	s_waitcnt vmcnt(7)
	v_fma_f32 v70, v95, v135, -v70
	v_fmac_f32_e32 v151, v88, v131
	v_add_f32_e32 v68, v68, v150
	v_add_f32_e32 v69, v69, v70
	v_mul_f32_e32 v70, v98, v119
	v_fmac_f32_e32 v152, v90, v132
	v_add_f32_e32 v68, v68, v151
	s_waitcnt vmcnt(6)
	v_fma_f32 v70, v97, v136, -v70
	v_fmac_f32_e32 v153, v92, v133
	v_add_f32_e32 v68, v68, v152
	v_add_f32_e32 v69, v69, v70
	v_mul_f32_e32 v70, v100, v120
	v_fmac_f32_e32 v154, v94, v134
	v_add_f32_e32 v68, v68, v153
	s_waitcnt vmcnt(5)
	v_fma_f32 v70, v99, v137, -v70
	v_fmac_f32_e32 v155, v96, v135
	v_add_f32_e32 v68, v68, v154
	v_add_f32_e32 v69, v69, v70
	v_mul_f32_e32 v70, v102, v121
	v_fmac_f32_e32 v156, v98, v136
	v_add_f32_e32 v68, v68, v155
	s_waitcnt vmcnt(4)
	v_fma_f32 v70, v101, v138, -v70
	v_fmac_f32_e32 v157, v100, v137
	v_add_f32_e32 v68, v68, v156
	v_add_f32_e32 v69, v69, v70
	s_waitcnt vmcnt(3)
	v_mul_f32_e32 v70, v104, v139
	v_add_f32_e32 v68, v68, v157
	v_fmac_f32_e32 v158, v102, v138
	v_mul_f32_e32 v143, v103, v139
	s_waitcnt vmcnt(2)
	v_fma_f32 v70, v103, v140, -v70
	v_add_f32_e32 v68, v68, v158
	v_fmac_f32_e32 v143, v104, v140
	v_add_f32_e32 v69, v69, v70
	v_add_f32_e32 v68, v68, v143
	s_waitcnt vmcnt(1)
	v_sub_f32_e32 v69, v141, v69
	s_waitcnt vmcnt(0)
	v_sub_f32_e32 v68, v142, v68
	buffer_store_dword v69, off, s[0:3], 0 offset:112
	buffer_store_dword v68, off, s[0:3], 0 offset:116
	s_and_saveexec_b64 s[4:5], vcc
	s_cbranch_execz .LBB96_185
; %bb.184:
	buffer_load_dword v68, off, s[0:3], 0 offset:104
	buffer_load_dword v69, off, s[0:3], 0 offset:108
	v_mov_b32_e32 v70, 0
	buffer_store_dword v70, off, s[0:3], 0 offset:104
	buffer_store_dword v70, off, s[0:3], 0 offset:108
	s_waitcnt vmcnt(2)
	ds_write_b64 v67, v[68:69]
.LBB96_185:
	s_or_b64 exec, exec, s[4:5]
	s_waitcnt lgkmcnt(0)
	; wave barrier
	buffer_load_dword v107, off, s[0:3], 0 offset:116
	buffer_load_dword v108, off, s[0:3], 0 offset:124
	buffer_load_dword v109, off, s[0:3], 0 offset:132
	buffer_load_dword v110, off, s[0:3], 0 offset:140
	buffer_load_dword v111, off, s[0:3], 0 offset:148
	buffer_load_dword v112, off, s[0:3], 0 offset:156
	buffer_load_dword v113, off, s[0:3], 0 offset:164
	buffer_load_dword v114, off, s[0:3], 0 offset:172
	buffer_load_dword v115, off, s[0:3], 0 offset:180
	buffer_load_dword v116, off, s[0:3], 0 offset:188
	buffer_load_dword v117, off, s[0:3], 0 offset:196
	buffer_load_dword v118, off, s[0:3], 0 offset:204
	buffer_load_dword v119, off, s[0:3], 0 offset:212
	buffer_load_dword v120, off, s[0:3], 0 offset:220
	buffer_load_dword v121, off, s[0:3], 0 offset:228
	buffer_load_dword v122, off, s[0:3], 0 offset:112
	buffer_load_dword v123, off, s[0:3], 0 offset:120
	buffer_load_dword v124, off, s[0:3], 0 offset:128
	buffer_load_dword v125, off, s[0:3], 0 offset:136
	buffer_load_dword v126, off, s[0:3], 0 offset:144
	buffer_load_dword v127, off, s[0:3], 0 offset:152
	buffer_load_dword v128, off, s[0:3], 0 offset:160
	buffer_load_dword v129, off, s[0:3], 0 offset:168
	buffer_load_dword v130, off, s[0:3], 0 offset:176
	buffer_load_dword v131, off, s[0:3], 0 offset:184
	buffer_load_dword v132, off, s[0:3], 0 offset:192
	buffer_load_dword v133, off, s[0:3], 0 offset:200
	buffer_load_dword v134, off, s[0:3], 0 offset:208
	buffer_load_dword v135, off, s[0:3], 0 offset:216
	buffer_load_dword v136, off, s[0:3], 0 offset:224
	buffer_load_dword v137, off, s[0:3], 0 offset:236
	buffer_load_dword v138, off, s[0:3], 0 offset:232
	buffer_load_dword v139, off, s[0:3], 0 offset:244
	buffer_load_dword v140, off, s[0:3], 0 offset:240
	buffer_load_dword v141, off, s[0:3], 0 offset:252
	buffer_load_dword v142, off, s[0:3], 0 offset:248
	buffer_load_dword v143, off, s[0:3], 0 offset:260
	buffer_load_dword v144, off, s[0:3], 0 offset:256
	buffer_load_dword v145, off, s[0:3], 0 offset:104
	buffer_load_dword v146, off, s[0:3], 0 offset:108
	v_mov_b32_e32 v68, 0
	ds_read_b128 v[69:72], v68 offset:384
	ds_read_b128 v[73:76], v68 offset:400
	;; [unrolled: 1-line block ×9, first 2 shown]
	v_cmp_lt_u32_e32 vcc, 12, v0
	s_waitcnt vmcnt(39) lgkmcnt(8)
	v_mul_f32_e32 v105, v69, v107
	s_waitcnt vmcnt(38)
	v_mul_f32_e32 v106, v71, v108
	s_waitcnt vmcnt(37) lgkmcnt(7)
	v_mul_f32_e32 v147, v73, v109
	s_waitcnt vmcnt(36)
	v_mul_f32_e32 v148, v75, v110
	;; [unrolled: 4-line block ×7, first 2 shown]
	s_waitcnt vmcnt(25) lgkmcnt(1)
	v_mul_f32_e32 v159, v97, v121
	s_waitcnt vmcnt(24)
	v_fmac_f32_e32 v105, v70, v122
	v_mul_f32_e32 v70, v70, v107
	v_fma_f32 v69, v69, v122, -v70
	v_mul_f32_e32 v70, v72, v108
	v_add_f32_e32 v69, 0, v69
	s_waitcnt vmcnt(23)
	v_fma_f32 v70, v71, v123, -v70
	v_add_f32_e32 v69, v69, v70
	v_mul_f32_e32 v70, v74, v109
	s_waitcnt vmcnt(22)
	v_fma_f32 v70, v73, v124, -v70
	v_add_f32_e32 v69, v69, v70
	v_mul_f32_e32 v70, v76, v110
	;; [unrolled: 4-line block ×6, first 2 shown]
	s_waitcnt vmcnt(17)
	v_fma_f32 v70, v83, v129, -v70
	v_fmac_f32_e32 v106, v72, v123
	v_add_f32_e32 v105, 0, v105
	v_add_f32_e32 v69, v69, v70
	v_mul_f32_e32 v70, v86, v115
	v_fmac_f32_e32 v147, v74, v124
	v_add_f32_e32 v105, v105, v106
	s_waitcnt vmcnt(16)
	v_fma_f32 v70, v85, v130, -v70
	v_fmac_f32_e32 v148, v76, v125
	v_add_f32_e32 v105, v105, v147
	v_add_f32_e32 v69, v69, v70
	v_mul_f32_e32 v70, v88, v116
	v_fmac_f32_e32 v149, v78, v126
	v_add_f32_e32 v105, v105, v148
	;; [unrolled: 8-line block ×6, first 2 shown]
	s_waitcnt vmcnt(11)
	v_fma_f32 v70, v95, v135, -v70
	v_fmac_f32_e32 v158, v96, v135
	v_add_f32_e32 v105, v105, v157
	v_add_f32_e32 v69, v69, v70
	v_mul_f32_e32 v70, v98, v121
	s_waitcnt vmcnt(10)
	v_fmac_f32_e32 v159, v98, v136
	v_add_f32_e32 v105, v105, v158
	s_waitcnt vmcnt(9)
	v_mul_f32_e32 v106, v99, v137
	v_fma_f32 v70, v97, v136, -v70
	v_add_f32_e32 v105, v105, v159
	s_waitcnt vmcnt(8)
	v_fmac_f32_e32 v106, v100, v138
	v_add_f32_e32 v69, v69, v70
	v_mul_f32_e32 v70, v100, v137
	v_add_f32_e32 v147, v105, v106
	ds_read_b64 v[105:106], v68 offset:528
	v_fma_f32 v70, v99, v138, -v70
	v_add_f32_e32 v69, v69, v70
	s_waitcnt vmcnt(7) lgkmcnt(1)
	v_mul_f32_e32 v70, v102, v139
	v_mul_f32_e32 v148, v101, v139
	s_waitcnt vmcnt(6)
	v_fma_f32 v70, v101, v140, -v70
	v_fmac_f32_e32 v148, v102, v140
	v_add_f32_e32 v69, v69, v70
	s_waitcnt vmcnt(5)
	v_mul_f32_e32 v70, v104, v141
	v_add_f32_e32 v147, v147, v148
	v_mul_f32_e32 v148, v103, v141
	s_waitcnt vmcnt(4)
	v_fma_f32 v70, v103, v142, -v70
	v_fmac_f32_e32 v148, v104, v142
	v_add_f32_e32 v69, v69, v70
	s_waitcnt vmcnt(3) lgkmcnt(0)
	v_mul_f32_e32 v70, v106, v143
	v_add_f32_e32 v147, v147, v148
	v_mul_f32_e32 v148, v105, v143
	s_waitcnt vmcnt(2)
	v_fma_f32 v70, v105, v144, -v70
	v_fmac_f32_e32 v148, v106, v144
	v_add_f32_e32 v69, v69, v70
	v_add_f32_e32 v147, v147, v148
	s_waitcnt vmcnt(1)
	v_sub_f32_e32 v69, v145, v69
	s_waitcnt vmcnt(0)
	v_sub_f32_e32 v70, v146, v147
	buffer_store_dword v69, off, s[0:3], 0 offset:104
	buffer_store_dword v70, off, s[0:3], 0 offset:108
	s_and_saveexec_b64 s[4:5], vcc
	s_cbranch_execz .LBB96_187
; %bb.186:
	buffer_load_dword v69, off, s[0:3], 0 offset:96
	buffer_load_dword v70, off, s[0:3], 0 offset:100
	s_waitcnt vmcnt(0)
	ds_write_b64 v67, v[69:70]
	buffer_store_dword v68, off, s[0:3], 0 offset:96
	buffer_store_dword v68, off, s[0:3], 0 offset:100
.LBB96_187:
	s_or_b64 exec, exec, s[4:5]
	s_waitcnt lgkmcnt(0)
	; wave barrier
	buffer_load_dword v109, off, s[0:3], 0 offset:108
	buffer_load_dword v110, off, s[0:3], 0 offset:116
	;; [unrolled: 1-line block ×42, first 2 shown]
	ds_read2_b64 v[69:72], v68 offset0:47 offset1:48
	ds_read2_b64 v[73:76], v68 offset0:49 offset1:50
	;; [unrolled: 1-line block ×8, first 2 shown]
	v_cmp_lt_u32_e32 vcc, 11, v0
	s_waitcnt vmcnt(41) lgkmcnt(7)
	v_mul_f32_e32 v101, v69, v109
	s_waitcnt vmcnt(40)
	v_mul_f32_e32 v102, v71, v110
	s_waitcnt vmcnt(39) lgkmcnt(6)
	v_mul_f32_e32 v103, v73, v111
	s_waitcnt vmcnt(38)
	v_mul_f32_e32 v104, v75, v112
	;; [unrolled: 4-line block ×7, first 2 shown]
	s_waitcnt vmcnt(27) lgkmcnt(0)
	v_mul_f32_e32 v157, v97, v123
	s_waitcnt vmcnt(26)
	v_fmac_f32_e32 v101, v70, v124
	v_mul_f32_e32 v70, v70, v109
	v_fma_f32 v69, v69, v124, -v70
	v_mul_f32_e32 v70, v72, v110
	v_add_f32_e32 v69, 0, v69
	s_waitcnt vmcnt(25)
	v_fma_f32 v70, v71, v125, -v70
	v_add_f32_e32 v69, v69, v70
	v_mul_f32_e32 v70, v74, v111
	s_waitcnt vmcnt(24)
	v_fma_f32 v70, v73, v126, -v70
	v_add_f32_e32 v69, v69, v70
	v_mul_f32_e32 v70, v76, v112
	;; [unrolled: 4-line block ×5, first 2 shown]
	v_fmac_f32_e32 v102, v72, v125
	v_add_f32_e32 v101, 0, v101
	s_waitcnt vmcnt(20)
	v_fma_f32 v70, v81, v130, -v70
	v_fmac_f32_e32 v103, v74, v126
	v_add_f32_e32 v101, v101, v102
	v_add_f32_e32 v69, v69, v70
	v_mul_f32_e32 v70, v84, v116
	v_fmac_f32_e32 v104, v76, v127
	v_add_f32_e32 v101, v101, v103
	s_waitcnt vmcnt(19)
	v_fma_f32 v70, v83, v131, -v70
	v_fmac_f32_e32 v105, v78, v128
	v_add_f32_e32 v101, v101, v104
	v_add_f32_e32 v69, v69, v70
	v_mul_f32_e32 v70, v86, v117
	;; [unrolled: 8-line block ×5, first 2 shown]
	s_waitcnt vmcnt(15)
	v_fmac_f32_e32 v154, v92, v135
	v_add_f32_e32 v101, v101, v153
	v_fma_f32 v70, v91, v135, -v70
	s_waitcnt vmcnt(14)
	v_fmac_f32_e32 v155, v94, v136
	v_add_f32_e32 v101, v101, v154
	v_add_f32_e32 v69, v69, v70
	v_mul_f32_e32 v70, v94, v121
	s_waitcnt vmcnt(13)
	v_fmac_f32_e32 v156, v96, v137
	v_add_f32_e32 v101, v101, v155
	v_fma_f32 v70, v93, v136, -v70
	s_waitcnt vmcnt(12)
	v_fmac_f32_e32 v157, v98, v138
	v_add_f32_e32 v101, v101, v156
	v_add_f32_e32 v69, v69, v70
	v_mul_f32_e32 v70, v96, v122
	v_add_f32_e32 v105, v101, v157
	ds_read2_b64 v[101:104], v68 offset0:63 offset1:64
	v_fma_f32 v70, v95, v137, -v70
	v_add_f32_e32 v69, v69, v70
	v_mul_f32_e32 v70, v98, v123
	s_waitcnt vmcnt(11)
	v_mul_f32_e32 v106, v99, v139
	v_fma_f32 v70, v97, v138, -v70
	s_waitcnt vmcnt(10)
	v_fmac_f32_e32 v106, v100, v140
	v_add_f32_e32 v69, v69, v70
	v_mul_f32_e32 v70, v100, v139
	v_add_f32_e32 v151, v105, v106
	ds_read2_b64 v[105:108], v68 offset0:65 offset1:66
	v_fma_f32 v70, v99, v140, -v70
	v_add_f32_e32 v69, v69, v70
	s_waitcnt vmcnt(9) lgkmcnt(1)
	v_mul_f32_e32 v70, v102, v141
	v_mul_f32_e32 v68, v101, v141
	s_waitcnt vmcnt(8)
	v_fma_f32 v70, v101, v142, -v70
	v_fmac_f32_e32 v68, v102, v142
	v_add_f32_e32 v69, v69, v70
	s_waitcnt vmcnt(7)
	v_mul_f32_e32 v70, v104, v143
	v_add_f32_e32 v68, v151, v68
	v_mul_f32_e32 v151, v103, v143
	s_waitcnt vmcnt(6)
	v_fma_f32 v70, v103, v144, -v70
	v_fmac_f32_e32 v151, v104, v144
	v_add_f32_e32 v69, v69, v70
	s_waitcnt vmcnt(5) lgkmcnt(0)
	v_mul_f32_e32 v70, v106, v145
	v_add_f32_e32 v68, v68, v151
	v_mul_f32_e32 v151, v105, v145
	s_waitcnt vmcnt(4)
	v_fma_f32 v70, v105, v146, -v70
	v_fmac_f32_e32 v151, v106, v146
	v_add_f32_e32 v69, v69, v70
	s_waitcnt vmcnt(3)
	v_mul_f32_e32 v70, v108, v147
	v_add_f32_e32 v68, v68, v151
	v_mul_f32_e32 v151, v107, v147
	s_waitcnt vmcnt(2)
	v_fma_f32 v70, v107, v148, -v70
	v_fmac_f32_e32 v151, v108, v148
	v_add_f32_e32 v69, v69, v70
	v_add_f32_e32 v68, v68, v151
	s_waitcnt vmcnt(1)
	v_sub_f32_e32 v69, v149, v69
	s_waitcnt vmcnt(0)
	v_sub_f32_e32 v68, v150, v68
	buffer_store_dword v69, off, s[0:3], 0 offset:96
	buffer_store_dword v68, off, s[0:3], 0 offset:100
	s_and_saveexec_b64 s[4:5], vcc
	s_cbranch_execz .LBB96_189
; %bb.188:
	buffer_load_dword v68, off, s[0:3], 0 offset:88
	buffer_load_dword v69, off, s[0:3], 0 offset:92
	v_mov_b32_e32 v70, 0
	buffer_store_dword v70, off, s[0:3], 0 offset:88
	buffer_store_dword v70, off, s[0:3], 0 offset:92
	s_waitcnt vmcnt(2)
	ds_write_b64 v67, v[68:69]
.LBB96_189:
	s_or_b64 exec, exec, s[4:5]
	s_waitcnt lgkmcnt(0)
	; wave barrier
	buffer_load_dword v111, off, s[0:3], 0 offset:100
	buffer_load_dword v112, off, s[0:3], 0 offset:108
	;; [unrolled: 1-line block ×44, first 2 shown]
	v_mov_b32_e32 v68, 0
	ds_read_b128 v[69:72], v68 offset:368
	ds_read_b128 v[73:76], v68 offset:384
	;; [unrolled: 1-line block ×8, first 2 shown]
	v_cmp_lt_u32_e32 vcc, 10, v0
	s_waitcnt vmcnt(43) lgkmcnt(7)
	v_mul_f32_e32 v101, v69, v111
	s_waitcnt vmcnt(42)
	v_mul_f32_e32 v102, v71, v112
	s_waitcnt vmcnt(41) lgkmcnt(6)
	v_mul_f32_e32 v103, v73, v113
	s_waitcnt vmcnt(40)
	v_mul_f32_e32 v104, v75, v114
	;; [unrolled: 4-line block ×7, first 2 shown]
	s_waitcnt vmcnt(29)
	v_fmac_f32_e32 v101, v70, v125
	v_mul_f32_e32 v70, v70, v111
	v_fma_f32 v69, v69, v125, -v70
	v_mul_f32_e32 v70, v72, v112
	v_add_f32_e32 v69, 0, v69
	s_waitcnt vmcnt(28)
	v_fma_f32 v70, v71, v126, -v70
	v_add_f32_e32 v69, v69, v70
	v_mul_f32_e32 v70, v74, v113
	s_waitcnt vmcnt(27)
	v_fma_f32 v70, v73, v127, -v70
	v_add_f32_e32 v69, v69, v70
	v_mul_f32_e32 v70, v76, v114
	;; [unrolled: 4-line block ×4, first 2 shown]
	s_waitcnt vmcnt(24)
	v_fma_f32 v70, v79, v130, -v70
	v_fmac_f32_e32 v102, v72, v126
	v_add_f32_e32 v101, 0, v101
	v_add_f32_e32 v69, v69, v70
	v_mul_f32_e32 v70, v82, v117
	v_fmac_f32_e32 v103, v74, v127
	v_add_f32_e32 v101, v101, v102
	s_waitcnt vmcnt(23)
	v_fma_f32 v70, v81, v131, -v70
	v_fmac_f32_e32 v104, v76, v128
	v_add_f32_e32 v101, v101, v103
	v_add_f32_e32 v69, v69, v70
	v_mul_f32_e32 v70, v84, v118
	v_fmac_f32_e32 v105, v78, v129
	v_add_f32_e32 v101, v101, v104
	;; [unrolled: 8-line block ×4, first 2 shown]
	s_waitcnt vmcnt(20)
	v_fma_f32 v70, v87, v134, -v70
	v_fmac_f32_e32 v110, v88, v134
	v_add_f32_e32 v101, v101, v109
	v_add_f32_e32 v69, v69, v70
	v_mul_f32_e32 v70, v90, v121
	s_waitcnt vmcnt(19)
	v_fmac_f32_e32 v155, v90, v135
	v_add_f32_e32 v101, v101, v110
	v_fma_f32 v70, v89, v135, -v70
	s_waitcnt vmcnt(18)
	v_fmac_f32_e32 v156, v92, v136
	v_add_f32_e32 v101, v101, v155
	v_add_f32_e32 v69, v69, v70
	v_mul_f32_e32 v70, v92, v122
	s_waitcnt vmcnt(17)
	v_fmac_f32_e32 v157, v94, v137
	v_add_f32_e32 v101, v101, v156
	v_fma_f32 v70, v91, v136, -v70
	v_add_f32_e32 v101, v101, v157
	s_waitcnt vmcnt(16)
	v_fmac_f32_e32 v158, v96, v138
	s_waitcnt vmcnt(15) lgkmcnt(0)
	v_mul_f32_e32 v102, v97, v139
	v_add_f32_e32 v69, v69, v70
	v_mul_f32_e32 v70, v94, v123
	v_add_f32_e32 v101, v101, v158
	s_waitcnt vmcnt(14)
	v_fmac_f32_e32 v102, v98, v140
	v_fma_f32 v70, v93, v137, -v70
	v_add_f32_e32 v105, v101, v102
	ds_read_b128 v[101:104], v68 offset:496
	v_add_f32_e32 v69, v69, v70
	v_mul_f32_e32 v70, v96, v124
	v_fma_f32 v70, v95, v138, -v70
	v_add_f32_e32 v69, v69, v70
	v_mul_f32_e32 v70, v98, v139
	s_waitcnt vmcnt(13)
	v_mul_f32_e32 v106, v99, v141
	v_fma_f32 v70, v97, v140, -v70
	s_waitcnt vmcnt(12)
	v_fmac_f32_e32 v106, v100, v142
	v_add_f32_e32 v69, v69, v70
	v_mul_f32_e32 v70, v100, v141
	v_add_f32_e32 v109, v105, v106
	ds_read_b128 v[105:108], v68 offset:512
	s_waitcnt vmcnt(11) lgkmcnt(1)
	v_mul_f32_e32 v110, v101, v143
	v_fma_f32 v70, v99, v142, -v70
	s_waitcnt vmcnt(10)
	v_fmac_f32_e32 v110, v102, v144
	v_add_f32_e32 v69, v69, v70
	v_mul_f32_e32 v70, v102, v143
	v_add_f32_e32 v109, v109, v110
	s_waitcnt vmcnt(9)
	v_mul_f32_e32 v110, v103, v145
	v_fma_f32 v70, v101, v144, -v70
	s_waitcnt vmcnt(8)
	v_fmac_f32_e32 v110, v104, v146
	v_add_f32_e32 v69, v69, v70
	v_mul_f32_e32 v70, v104, v145
	v_add_f32_e32 v155, v109, v110
	ds_read_b64 v[109:110], v68 offset:528
	v_fma_f32 v70, v103, v146, -v70
	v_add_f32_e32 v69, v69, v70
	s_waitcnt vmcnt(7) lgkmcnt(1)
	v_mul_f32_e32 v70, v106, v147
	v_mul_f32_e32 v156, v105, v147
	s_waitcnt vmcnt(6)
	v_fma_f32 v70, v105, v148, -v70
	v_fmac_f32_e32 v156, v106, v148
	v_add_f32_e32 v69, v69, v70
	s_waitcnt vmcnt(5)
	v_mul_f32_e32 v70, v108, v149
	v_add_f32_e32 v155, v155, v156
	v_mul_f32_e32 v156, v107, v149
	s_waitcnt vmcnt(4)
	v_fma_f32 v70, v107, v150, -v70
	v_fmac_f32_e32 v156, v108, v150
	v_add_f32_e32 v69, v69, v70
	s_waitcnt vmcnt(3) lgkmcnt(0)
	v_mul_f32_e32 v70, v110, v151
	v_add_f32_e32 v155, v155, v156
	v_mul_f32_e32 v156, v109, v151
	s_waitcnt vmcnt(2)
	v_fma_f32 v70, v109, v152, -v70
	v_fmac_f32_e32 v156, v110, v152
	v_add_f32_e32 v69, v69, v70
	v_add_f32_e32 v155, v155, v156
	s_waitcnt vmcnt(1)
	v_sub_f32_e32 v69, v153, v69
	s_waitcnt vmcnt(0)
	v_sub_f32_e32 v70, v154, v155
	buffer_store_dword v69, off, s[0:3], 0 offset:88
	buffer_store_dword v70, off, s[0:3], 0 offset:92
	s_and_saveexec_b64 s[4:5], vcc
	s_cbranch_execz .LBB96_191
; %bb.190:
	buffer_load_dword v69, off, s[0:3], 0 offset:80
	buffer_load_dword v70, off, s[0:3], 0 offset:84
	s_waitcnt vmcnt(0)
	ds_write_b64 v67, v[69:70]
	buffer_store_dword v68, off, s[0:3], 0 offset:80
	buffer_store_dword v68, off, s[0:3], 0 offset:84
.LBB96_191:
	s_or_b64 exec, exec, s[4:5]
	s_waitcnt lgkmcnt(0)
	; wave barrier
	buffer_load_dword v113, off, s[0:3], 0 offset:92
	buffer_load_dword v114, off, s[0:3], 0 offset:100
	;; [unrolled: 1-line block ×46, first 2 shown]
	ds_read2_b64 v[69:72], v68 offset0:45 offset1:46
	ds_read2_b64 v[73:76], v68 offset0:47 offset1:48
	;; [unrolled: 1-line block ×8, first 2 shown]
	v_cmp_lt_u32_e32 vcc, 9, v0
	s_waitcnt vmcnt(45) lgkmcnt(7)
	v_mul_f32_e32 v101, v69, v113
	s_waitcnt vmcnt(44)
	v_mul_f32_e32 v102, v71, v114
	s_waitcnt vmcnt(43) lgkmcnt(6)
	v_mul_f32_e32 v103, v73, v115
	s_waitcnt vmcnt(42)
	v_mul_f32_e32 v104, v75, v116
	;; [unrolled: 4-line block ×6, first 2 shown]
	s_waitcnt vmcnt(33) lgkmcnt(1)
	v_mul_f32_e32 v159, v93, v125
	s_waitcnt vmcnt(32)
	v_fmac_f32_e32 v101, v70, v126
	v_mul_f32_e32 v70, v70, v113
	v_fma_f32 v69, v69, v126, -v70
	v_mul_f32_e32 v70, v72, v114
	v_add_f32_e32 v69, 0, v69
	s_waitcnt vmcnt(31)
	v_fma_f32 v70, v71, v127, -v70
	v_add_f32_e32 v69, v69, v70
	v_mul_f32_e32 v70, v74, v115
	s_waitcnt vmcnt(30)
	v_fma_f32 v70, v73, v128, -v70
	v_add_f32_e32 v69, v69, v70
	v_mul_f32_e32 v70, v76, v116
	;; [unrolled: 4-line block ×4, first 2 shown]
	v_fmac_f32_e32 v102, v72, v127
	v_add_f32_e32 v101, 0, v101
	s_waitcnt vmcnt(27)
	v_fma_f32 v70, v79, v131, -v70
	v_fmac_f32_e32 v103, v74, v128
	v_add_f32_e32 v101, v101, v102
	v_add_f32_e32 v69, v69, v70
	v_mul_f32_e32 v70, v82, v119
	v_fmac_f32_e32 v104, v76, v129
	v_add_f32_e32 v101, v101, v103
	s_waitcnt vmcnt(26)
	v_fma_f32 v70, v81, v132, -v70
	v_fmac_f32_e32 v105, v78, v130
	v_add_f32_e32 v101, v101, v104
	v_add_f32_e32 v69, v69, v70
	v_mul_f32_e32 v70, v84, v120
	;; [unrolled: 8-line block ×4, first 2 shown]
	s_waitcnt vmcnt(23)
	v_fmac_f32_e32 v110, v88, v135
	v_add_f32_e32 v101, v101, v109
	v_fma_f32 v70, v87, v135, -v70
	s_waitcnt vmcnt(22)
	v_fmac_f32_e32 v111, v90, v136
	v_add_f32_e32 v101, v101, v110
	v_add_f32_e32 v69, v69, v70
	v_mul_f32_e32 v70, v90, v123
	s_waitcnt vmcnt(21)
	v_fmac_f32_e32 v112, v92, v137
	v_add_f32_e32 v101, v101, v111
	v_fma_f32 v70, v89, v136, -v70
	s_waitcnt vmcnt(20)
	v_fmac_f32_e32 v159, v94, v138
	v_add_f32_e32 v101, v101, v112
	s_waitcnt vmcnt(19)
	v_mul_f32_e32 v102, v95, v139
	v_add_f32_e32 v69, v69, v70
	v_mul_f32_e32 v70, v92, v124
	v_add_f32_e32 v101, v101, v159
	s_waitcnt vmcnt(18)
	v_fmac_f32_e32 v102, v96, v140
	v_fma_f32 v70, v91, v137, -v70
	v_add_f32_e32 v101, v101, v102
	s_waitcnt vmcnt(17) lgkmcnt(0)
	v_mul_f32_e32 v102, v97, v141
	v_add_f32_e32 v69, v69, v70
	v_mul_f32_e32 v70, v94, v125
	s_waitcnt vmcnt(16)
	v_fmac_f32_e32 v102, v98, v142
	v_fma_f32 v70, v93, v138, -v70
	v_add_f32_e32 v105, v101, v102
	ds_read2_b64 v[101:104], v68 offset0:61 offset1:62
	v_add_f32_e32 v69, v69, v70
	v_mul_f32_e32 v70, v96, v139
	v_fma_f32 v70, v95, v140, -v70
	v_add_f32_e32 v69, v69, v70
	v_mul_f32_e32 v70, v98, v141
	s_waitcnt vmcnt(15)
	v_mul_f32_e32 v106, v99, v143
	v_fma_f32 v70, v97, v142, -v70
	s_waitcnt vmcnt(14)
	v_fmac_f32_e32 v106, v100, v144
	v_add_f32_e32 v69, v69, v70
	v_mul_f32_e32 v70, v100, v143
	v_add_f32_e32 v109, v105, v106
	ds_read2_b64 v[105:108], v68 offset0:63 offset1:64
	s_waitcnt vmcnt(13) lgkmcnt(1)
	v_mul_f32_e32 v110, v101, v145
	v_fma_f32 v70, v99, v144, -v70
	s_waitcnt vmcnt(12)
	v_fmac_f32_e32 v110, v102, v146
	v_add_f32_e32 v69, v69, v70
	v_mul_f32_e32 v70, v102, v145
	v_add_f32_e32 v109, v109, v110
	s_waitcnt vmcnt(11)
	v_mul_f32_e32 v110, v103, v147
	v_fma_f32 v70, v101, v146, -v70
	s_waitcnt vmcnt(10)
	v_fmac_f32_e32 v110, v104, v148
	v_add_f32_e32 v69, v69, v70
	v_mul_f32_e32 v70, v104, v147
	v_add_f32_e32 v159, v109, v110
	ds_read2_b64 v[109:112], v68 offset0:65 offset1:66
	v_fma_f32 v70, v103, v148, -v70
	v_add_f32_e32 v69, v69, v70
	s_waitcnt vmcnt(9) lgkmcnt(1)
	v_mul_f32_e32 v70, v106, v149
	v_mul_f32_e32 v160, v105, v149
	s_waitcnt vmcnt(8)
	v_fma_f32 v70, v105, v150, -v70
	v_fmac_f32_e32 v160, v106, v150
	v_add_f32_e32 v69, v69, v70
	s_waitcnt vmcnt(7)
	v_mul_f32_e32 v70, v108, v151
	v_add_f32_e32 v68, v159, v160
	v_mul_f32_e32 v159, v107, v151
	s_waitcnt vmcnt(6)
	v_fma_f32 v70, v107, v152, -v70
	v_fmac_f32_e32 v159, v108, v152
	v_add_f32_e32 v69, v69, v70
	s_waitcnt vmcnt(5) lgkmcnt(0)
	v_mul_f32_e32 v70, v110, v153
	v_add_f32_e32 v68, v68, v159
	v_mul_f32_e32 v159, v109, v153
	s_waitcnt vmcnt(4)
	v_fma_f32 v70, v109, v154, -v70
	v_fmac_f32_e32 v159, v110, v154
	v_add_f32_e32 v69, v69, v70
	s_waitcnt vmcnt(3)
	v_mul_f32_e32 v70, v112, v155
	v_add_f32_e32 v68, v68, v159
	v_mul_f32_e32 v159, v111, v155
	s_waitcnt vmcnt(2)
	v_fma_f32 v70, v111, v156, -v70
	v_fmac_f32_e32 v159, v112, v156
	v_add_f32_e32 v69, v69, v70
	v_add_f32_e32 v68, v68, v159
	s_waitcnt vmcnt(1)
	v_sub_f32_e32 v69, v157, v69
	s_waitcnt vmcnt(0)
	v_sub_f32_e32 v68, v158, v68
	buffer_store_dword v69, off, s[0:3], 0 offset:80
	buffer_store_dword v68, off, s[0:3], 0 offset:84
	s_and_saveexec_b64 s[4:5], vcc
	s_cbranch_execz .LBB96_193
; %bb.192:
	buffer_load_dword v68, off, s[0:3], 0 offset:72
	buffer_load_dword v69, off, s[0:3], 0 offset:76
	v_mov_b32_e32 v70, 0
	buffer_store_dword v70, off, s[0:3], 0 offset:72
	buffer_store_dword v70, off, s[0:3], 0 offset:76
	s_waitcnt vmcnt(2)
	ds_write_b64 v67, v[68:69]
.LBB96_193:
	s_or_b64 exec, exec, s[4:5]
	s_waitcnt lgkmcnt(0)
	; wave barrier
	buffer_load_dword v115, off, s[0:3], 0 offset:84
	buffer_load_dword v116, off, s[0:3], 0 offset:92
	;; [unrolled: 1-line block ×48, first 2 shown]
	v_mov_b32_e32 v68, 0
	ds_read_b128 v[69:72], v68 offset:352
	ds_read_b128 v[73:76], v68 offset:368
	;; [unrolled: 1-line block ×7, first 2 shown]
	v_cmp_lt_u32_e32 vcc, 8, v0
	s_waitcnt vmcnt(47) lgkmcnt(6)
	v_mul_f32_e32 v97, v69, v115
	s_waitcnt vmcnt(46)
	v_mul_f32_e32 v98, v71, v116
	s_waitcnt vmcnt(45) lgkmcnt(5)
	v_mul_f32_e32 v99, v73, v117
	s_waitcnt vmcnt(44)
	v_mul_f32_e32 v100, v75, v118
	;; [unrolled: 4-line block ×6, first 2 shown]
	s_waitcnt vmcnt(35)
	v_fmac_f32_e32 v97, v70, v127
	v_mul_f32_e32 v70, v70, v115
	v_fma_f32 v69, v69, v127, -v70
	v_mul_f32_e32 v70, v72, v116
	v_add_f32_e32 v69, 0, v69
	s_waitcnt vmcnt(34)
	v_fma_f32 v70, v71, v128, -v70
	v_add_f32_e32 v69, v69, v70
	v_mul_f32_e32 v70, v74, v117
	s_waitcnt vmcnt(33)
	v_fma_f32 v70, v73, v129, -v70
	v_fmac_f32_e32 v98, v72, v128
	v_add_f32_e32 v97, 0, v97
	v_add_f32_e32 v69, v69, v70
	v_mul_f32_e32 v70, v76, v118
	v_fmac_f32_e32 v99, v74, v129
	v_add_f32_e32 v97, v97, v98
	s_waitcnt vmcnt(32)
	v_fma_f32 v70, v75, v130, -v70
	v_fmac_f32_e32 v100, v76, v130
	v_add_f32_e32 v97, v97, v99
	v_add_f32_e32 v69, v69, v70
	v_mul_f32_e32 v70, v78, v119
	s_waitcnt vmcnt(31)
	v_fmac_f32_e32 v101, v78, v131
	v_add_f32_e32 v97, v97, v100
	v_fma_f32 v70, v77, v131, -v70
	s_waitcnt vmcnt(30)
	v_fmac_f32_e32 v102, v80, v132
	v_add_f32_e32 v97, v97, v101
	v_add_f32_e32 v69, v69, v70
	v_mul_f32_e32 v70, v80, v120
	s_waitcnt vmcnt(29)
	v_fmac_f32_e32 v103, v82, v133
	v_add_f32_e32 v97, v97, v102
	v_fma_f32 v70, v79, v132, -v70
	s_waitcnt vmcnt(28)
	;; [unrolled: 9-line block ×4, first 2 shown]
	v_fmac_f32_e32 v108, v92, v138
	v_add_f32_e32 v97, v97, v107
	v_add_f32_e32 v69, v69, v70
	v_mul_f32_e32 v70, v86, v123
	v_add_f32_e32 v101, v97, v108
	ds_read_b128 v[97:100], v68 offset:464
	v_fma_f32 v70, v85, v135, -v70
	s_waitcnt vmcnt(23) lgkmcnt(1)
	v_mul_f32_e32 v102, v93, v139
	v_add_f32_e32 v69, v69, v70
	v_mul_f32_e32 v70, v88, v124
	s_waitcnt vmcnt(22)
	v_fmac_f32_e32 v102, v94, v140
	v_fma_f32 v70, v87, v136, -v70
	v_add_f32_e32 v101, v101, v102
	s_waitcnt vmcnt(21)
	v_mul_f32_e32 v102, v95, v141
	v_add_f32_e32 v69, v69, v70
	v_mul_f32_e32 v70, v90, v125
	s_waitcnt vmcnt(20)
	v_fmac_f32_e32 v102, v96, v142
	v_fma_f32 v70, v89, v137, -v70
	v_add_f32_e32 v101, v101, v102
	s_waitcnt vmcnt(19) lgkmcnt(0)
	v_mul_f32_e32 v102, v97, v143
	v_add_f32_e32 v69, v69, v70
	v_mul_f32_e32 v70, v92, v126
	s_waitcnt vmcnt(18)
	v_fmac_f32_e32 v102, v98, v144
	v_fma_f32 v70, v91, v138, -v70
	v_add_f32_e32 v105, v101, v102
	ds_read_b128 v[101:104], v68 offset:480
	v_add_f32_e32 v69, v69, v70
	v_mul_f32_e32 v70, v94, v139
	v_fma_f32 v70, v93, v140, -v70
	s_waitcnt vmcnt(17)
	v_mul_f32_e32 v106, v99, v145
	v_add_f32_e32 v69, v69, v70
	v_mul_f32_e32 v70, v96, v141
	s_waitcnt vmcnt(16)
	v_fmac_f32_e32 v106, v100, v146
	v_fma_f32 v70, v95, v142, -v70
	v_add_f32_e32 v109, v105, v106
	ds_read_b128 v[105:108], v68 offset:496
	v_add_f32_e32 v69, v69, v70
	v_mul_f32_e32 v70, v98, v143
	s_waitcnt vmcnt(15) lgkmcnt(1)
	v_mul_f32_e32 v110, v101, v147
	v_fma_f32 v70, v97, v144, -v70
	s_waitcnt vmcnt(14)
	v_fmac_f32_e32 v110, v102, v148
	v_add_f32_e32 v69, v69, v70
	v_mul_f32_e32 v70, v100, v145
	v_add_f32_e32 v109, v109, v110
	s_waitcnt vmcnt(13)
	v_mul_f32_e32 v110, v103, v149
	v_fma_f32 v70, v99, v146, -v70
	s_waitcnt vmcnt(12)
	v_fmac_f32_e32 v110, v104, v150
	v_add_f32_e32 v69, v69, v70
	v_mul_f32_e32 v70, v102, v147
	v_add_f32_e32 v109, v109, v110
	s_waitcnt vmcnt(11) lgkmcnt(0)
	v_mul_f32_e32 v110, v105, v151
	v_fma_f32 v70, v101, v148, -v70
	s_waitcnt vmcnt(10)
	v_fmac_f32_e32 v110, v106, v152
	v_add_f32_e32 v69, v69, v70
	v_mul_f32_e32 v70, v104, v149
	v_add_f32_e32 v113, v109, v110
	ds_read_b128 v[109:112], v68 offset:512
	v_fma_f32 v70, v103, v150, -v70
	v_add_f32_e32 v69, v69, v70
	v_mul_f32_e32 v70, v106, v151
	s_waitcnt vmcnt(9)
	v_mul_f32_e32 v114, v107, v153
	v_fma_f32 v70, v105, v152, -v70
	s_waitcnt vmcnt(8)
	v_fmac_f32_e32 v114, v108, v154
	v_add_f32_e32 v69, v69, v70
	v_mul_f32_e32 v70, v108, v153
	v_add_f32_e32 v163, v113, v114
	ds_read_b64 v[113:114], v68 offset:528
	v_fma_f32 v70, v107, v154, -v70
	v_add_f32_e32 v69, v69, v70
	s_waitcnt vmcnt(6) lgkmcnt(1)
	v_mul_f32_e32 v70, v110, v156
	v_mul_f32_e32 v164, v109, v156
	v_fma_f32 v70, v109, v155, -v70
	v_fmac_f32_e32 v164, v110, v155
	v_add_f32_e32 v69, v69, v70
	s_waitcnt vmcnt(3)
	v_mul_f32_e32 v70, v112, v159
	v_add_f32_e32 v163, v163, v164
	v_mul_f32_e32 v164, v111, v159
	s_waitcnt vmcnt(2)
	v_fma_f32 v70, v111, v160, -v70
	v_fmac_f32_e32 v164, v112, v160
	v_add_f32_e32 v69, v69, v70
	s_waitcnt vmcnt(0) lgkmcnt(0)
	v_mul_f32_e32 v70, v114, v162
	v_add_f32_e32 v163, v163, v164
	v_mul_f32_e32 v164, v113, v162
	v_fma_f32 v70, v113, v161, -v70
	v_fmac_f32_e32 v164, v114, v161
	v_add_f32_e32 v69, v69, v70
	v_add_f32_e32 v163, v163, v164
	v_sub_f32_e32 v69, v157, v69
	v_sub_f32_e32 v70, v158, v163
	buffer_store_dword v69, off, s[0:3], 0 offset:72
	buffer_store_dword v70, off, s[0:3], 0 offset:76
	s_and_saveexec_b64 s[4:5], vcc
	s_cbranch_execz .LBB96_195
; %bb.194:
	buffer_load_dword v69, off, s[0:3], 0 offset:64
	buffer_load_dword v70, off, s[0:3], 0 offset:68
	s_waitcnt vmcnt(0)
	ds_write_b64 v67, v[69:70]
	buffer_store_dword v68, off, s[0:3], 0 offset:64
	buffer_store_dword v68, off, s[0:3], 0 offset:68
.LBB96_195:
	s_or_b64 exec, exec, s[4:5]
	s_waitcnt lgkmcnt(0)
	; wave barrier
	buffer_load_dword v117, off, s[0:3], 0 offset:76
	buffer_load_dword v118, off, s[0:3], 0 offset:84
	;; [unrolled: 1-line block ×48, first 2 shown]
	ds_read2_b64 v[69:72], v68 offset0:43 offset1:44
	ds_read2_b64 v[73:76], v68 offset0:45 offset1:46
	buffer_load_dword v165, off, s[0:3], 0 offset:256
	buffer_load_dword v166, off, s[0:3], 0 offset:260
	ds_read2_b64 v[77:80], v68 offset0:47 offset1:48
	ds_read2_b64 v[81:84], v68 offset0:49 offset1:50
	;; [unrolled: 1-line block ×5, first 2 shown]
	v_cmp_lt_u32_e32 vcc, 7, v0
	s_waitcnt vmcnt(49) lgkmcnt(6)
	v_mul_f32_e32 v97, v69, v117
	s_waitcnt vmcnt(48)
	v_mul_f32_e32 v98, v71, v118
	s_waitcnt vmcnt(47) lgkmcnt(5)
	v_mul_f32_e32 v99, v73, v119
	s_waitcnt vmcnt(46)
	v_mul_f32_e32 v100, v75, v120
	;; [unrolled: 4-line block ×6, first 2 shown]
	s_waitcnt vmcnt(37)
	v_fmac_f32_e32 v97, v70, v129
	v_mul_f32_e32 v70, v70, v117
	v_fma_f32 v69, v69, v129, -v70
	v_mul_f32_e32 v70, v72, v118
	v_add_f32_e32 v69, 0, v69
	s_waitcnt vmcnt(36)
	v_fma_f32 v70, v71, v130, -v70
	v_add_f32_e32 v69, v69, v70
	v_mul_f32_e32 v70, v74, v119
	s_waitcnt vmcnt(35)
	v_fma_f32 v70, v73, v131, -v70
	v_fmac_f32_e32 v98, v72, v130
	v_add_f32_e32 v97, 0, v97
	v_add_f32_e32 v69, v69, v70
	v_mul_f32_e32 v70, v76, v120
	v_fmac_f32_e32 v99, v74, v131
	v_add_f32_e32 v97, v97, v98
	s_waitcnt vmcnt(34)
	v_fma_f32 v70, v75, v132, -v70
	v_fmac_f32_e32 v100, v76, v132
	v_add_f32_e32 v97, v97, v99
	v_add_f32_e32 v69, v69, v70
	v_mul_f32_e32 v70, v78, v121
	s_waitcnt vmcnt(33)
	v_fmac_f32_e32 v101, v78, v133
	v_add_f32_e32 v97, v97, v100
	v_fma_f32 v70, v77, v133, -v70
	s_waitcnt vmcnt(32)
	v_fmac_f32_e32 v102, v80, v134
	v_add_f32_e32 v97, v97, v101
	v_add_f32_e32 v69, v69, v70
	v_mul_f32_e32 v70, v80, v122
	s_waitcnt vmcnt(31)
	v_fmac_f32_e32 v103, v82, v135
	v_add_f32_e32 v97, v97, v102
	v_fma_f32 v70, v79, v134, -v70
	s_waitcnt vmcnt(30)
	;; [unrolled: 9-line block ×3, first 2 shown]
	v_fmac_f32_e32 v106, v88, v138
	v_add_f32_e32 v97, v97, v105
	v_add_f32_e32 v69, v69, v70
	v_mul_f32_e32 v70, v84, v124
	s_waitcnt vmcnt(27)
	v_fmac_f32_e32 v107, v90, v139
	v_add_f32_e32 v97, v97, v106
	v_fma_f32 v70, v83, v136, -v70
	v_add_f32_e32 v97, v97, v107
	s_waitcnt vmcnt(26)
	v_fmac_f32_e32 v108, v92, v140
	v_add_f32_e32 v69, v69, v70
	v_mul_f32_e32 v70, v86, v125
	v_add_f32_e32 v101, v97, v108
	ds_read2_b64 v[97:100], v68 offset0:57 offset1:58
	v_fma_f32 v70, v85, v137, -v70
	s_waitcnt vmcnt(25) lgkmcnt(1)
	v_mul_f32_e32 v102, v93, v141
	v_add_f32_e32 v69, v69, v70
	v_mul_f32_e32 v70, v88, v126
	s_waitcnt vmcnt(24)
	v_fmac_f32_e32 v102, v94, v142
	v_fma_f32 v70, v87, v138, -v70
	v_add_f32_e32 v101, v101, v102
	s_waitcnt vmcnt(23)
	v_mul_f32_e32 v102, v95, v143
	v_add_f32_e32 v69, v69, v70
	v_mul_f32_e32 v70, v90, v127
	s_waitcnt vmcnt(22)
	v_fmac_f32_e32 v102, v96, v144
	v_fma_f32 v70, v89, v139, -v70
	v_add_f32_e32 v101, v101, v102
	s_waitcnt vmcnt(21) lgkmcnt(0)
	v_mul_f32_e32 v102, v97, v145
	v_add_f32_e32 v69, v69, v70
	v_mul_f32_e32 v70, v92, v128
	s_waitcnt vmcnt(20)
	v_fmac_f32_e32 v102, v98, v146
	v_fma_f32 v70, v91, v140, -v70
	v_add_f32_e32 v105, v101, v102
	ds_read2_b64 v[101:104], v68 offset0:59 offset1:60
	v_add_f32_e32 v69, v69, v70
	v_mul_f32_e32 v70, v94, v141
	v_fma_f32 v70, v93, v142, -v70
	s_waitcnt vmcnt(19)
	v_mul_f32_e32 v106, v99, v147
	v_add_f32_e32 v69, v69, v70
	v_mul_f32_e32 v70, v96, v143
	s_waitcnt vmcnt(18)
	v_fmac_f32_e32 v106, v100, v148
	v_fma_f32 v70, v95, v144, -v70
	v_add_f32_e32 v109, v105, v106
	ds_read2_b64 v[105:108], v68 offset0:61 offset1:62
	v_add_f32_e32 v69, v69, v70
	v_mul_f32_e32 v70, v98, v145
	s_waitcnt vmcnt(17) lgkmcnt(1)
	v_mul_f32_e32 v110, v101, v149
	v_fma_f32 v70, v97, v146, -v70
	s_waitcnt vmcnt(16)
	v_fmac_f32_e32 v110, v102, v150
	v_add_f32_e32 v69, v69, v70
	v_mul_f32_e32 v70, v100, v147
	v_add_f32_e32 v109, v109, v110
	s_waitcnt vmcnt(15)
	v_mul_f32_e32 v110, v103, v151
	v_fma_f32 v70, v99, v148, -v70
	s_waitcnt vmcnt(14)
	v_fmac_f32_e32 v110, v104, v152
	v_add_f32_e32 v69, v69, v70
	v_mul_f32_e32 v70, v102, v149
	v_add_f32_e32 v109, v109, v110
	s_waitcnt vmcnt(13) lgkmcnt(0)
	v_mul_f32_e32 v110, v105, v153
	v_fma_f32 v70, v101, v150, -v70
	s_waitcnt vmcnt(12)
	v_fmac_f32_e32 v110, v106, v154
	v_add_f32_e32 v69, v69, v70
	v_mul_f32_e32 v70, v104, v151
	v_add_f32_e32 v113, v109, v110
	ds_read2_b64 v[109:112], v68 offset0:63 offset1:64
	v_fma_f32 v70, v103, v152, -v70
	v_add_f32_e32 v69, v69, v70
	v_mul_f32_e32 v70, v106, v153
	s_waitcnt vmcnt(11)
	v_mul_f32_e32 v114, v107, v155
	v_fma_f32 v70, v105, v154, -v70
	s_waitcnt vmcnt(10)
	v_fmac_f32_e32 v114, v108, v156
	v_add_f32_e32 v69, v69, v70
	v_mul_f32_e32 v70, v108, v155
	v_add_f32_e32 v167, v113, v114
	ds_read2_b64 v[113:116], v68 offset0:65 offset1:66
	v_fma_f32 v70, v107, v156, -v70
	v_add_f32_e32 v69, v69, v70
	s_waitcnt vmcnt(7) lgkmcnt(1)
	v_mul_f32_e32 v70, v110, v159
	v_mul_f32_e32 v68, v109, v159
	s_waitcnt vmcnt(6)
	v_fma_f32 v70, v109, v160, -v70
	v_fmac_f32_e32 v68, v110, v160
	v_add_f32_e32 v69, v69, v70
	s_waitcnt vmcnt(4)
	v_mul_f32_e32 v70, v112, v162
	v_add_f32_e32 v68, v167, v68
	v_mul_f32_e32 v167, v111, v162
	v_fma_f32 v70, v111, v161, -v70
	v_fmac_f32_e32 v167, v112, v161
	v_add_f32_e32 v69, v69, v70
	s_waitcnt vmcnt(2) lgkmcnt(0)
	v_mul_f32_e32 v70, v114, v164
	v_add_f32_e32 v68, v68, v167
	v_mul_f32_e32 v167, v113, v164
	v_fma_f32 v70, v113, v163, -v70
	v_fmac_f32_e32 v167, v114, v163
	v_add_f32_e32 v69, v69, v70
	s_waitcnt vmcnt(0)
	v_mul_f32_e32 v70, v116, v166
	v_add_f32_e32 v68, v68, v167
	v_mul_f32_e32 v167, v115, v166
	v_fma_f32 v70, v115, v165, -v70
	v_fmac_f32_e32 v167, v116, v165
	v_add_f32_e32 v69, v69, v70
	v_add_f32_e32 v68, v68, v167
	v_sub_f32_e32 v69, v157, v69
	v_sub_f32_e32 v68, v158, v68
	buffer_store_dword v69, off, s[0:3], 0 offset:64
	buffer_store_dword v68, off, s[0:3], 0 offset:68
	s_and_saveexec_b64 s[4:5], vcc
	s_cbranch_execz .LBB96_197
; %bb.196:
	buffer_load_dword v68, off, s[0:3], 0 offset:56
	buffer_load_dword v69, off, s[0:3], 0 offset:60
	v_mov_b32_e32 v70, 0
	buffer_store_dword v70, off, s[0:3], 0 offset:56
	buffer_store_dword v70, off, s[0:3], 0 offset:60
	s_waitcnt vmcnt(2)
	ds_write_b64 v67, v[68:69]
.LBB96_197:
	s_or_b64 exec, exec, s[4:5]
	s_waitcnt lgkmcnt(0)
	; wave barrier
	buffer_load_dword v119, off, s[0:3], 0 offset:68
	buffer_load_dword v120, off, s[0:3], 0 offset:76
	;; [unrolled: 1-line block ×52, first 2 shown]
	v_mov_b32_e32 v68, 0
	ds_read_b128 v[69:72], v68 offset:336
	ds_read_b128 v[73:76], v68 offset:352
	;; [unrolled: 1-line block ×6, first 2 shown]
	v_cmp_lt_u32_e32 vcc, 6, v0
	s_waitcnt vmcnt(51) lgkmcnt(5)
	v_mul_f32_e32 v93, v69, v119
	s_waitcnt vmcnt(50)
	v_mul_f32_e32 v94, v71, v120
	s_waitcnt vmcnt(49) lgkmcnt(4)
	v_mul_f32_e32 v95, v73, v121
	s_waitcnt vmcnt(48)
	v_mul_f32_e32 v96, v75, v122
	;; [unrolled: 4-line block ×5, first 2 shown]
	s_waitcnt vmcnt(41) lgkmcnt(0)
	v_mul_f32_e32 v103, v89, v129
	s_waitcnt vmcnt(40)
	v_fmac_f32_e32 v93, v70, v130
	v_mul_f32_e32 v70, v70, v119
	s_waitcnt vmcnt(39)
	v_fmac_f32_e32 v94, v72, v131
	v_add_f32_e32 v93, 0, v93
	v_fma_f32 v69, v69, v130, -v70
	v_mul_f32_e32 v70, v72, v120
	s_waitcnt vmcnt(38)
	v_fmac_f32_e32 v95, v74, v132
	v_add_f32_e32 v93, v93, v94
	v_add_f32_e32 v69, 0, v69
	v_fma_f32 v70, v71, v131, -v70
	s_waitcnt vmcnt(37)
	v_fmac_f32_e32 v96, v76, v133
	v_add_f32_e32 v93, v93, v95
	v_add_f32_e32 v69, v69, v70
	v_mul_f32_e32 v70, v74, v121
	s_waitcnt vmcnt(36)
	v_fmac_f32_e32 v97, v78, v134
	v_add_f32_e32 v93, v93, v96
	v_fma_f32 v70, v73, v132, -v70
	s_waitcnt vmcnt(35)
	v_fmac_f32_e32 v98, v80, v135
	v_add_f32_e32 v93, v93, v97
	v_add_f32_e32 v69, v69, v70
	v_mul_f32_e32 v70, v76, v122
	s_waitcnt vmcnt(34)
	v_fmac_f32_e32 v99, v82, v136
	;; [unrolled: 9-line block ×3, first 2 shown]
	v_add_f32_e32 v93, v93, v100
	v_fma_f32 v70, v77, v134, -v70
	s_waitcnt vmcnt(31)
	v_fmac_f32_e32 v102, v88, v139
	v_add_f32_e32 v93, v93, v101
	v_add_f32_e32 v69, v69, v70
	v_mul_f32_e32 v70, v80, v124
	v_add_f32_e32 v93, v93, v102
	s_waitcnt vmcnt(30)
	v_fmac_f32_e32 v103, v90, v140
	v_fma_f32 v70, v79, v135, -v70
	v_add_f32_e32 v97, v93, v103
	ds_read_b128 v[93:96], v68 offset:432
	v_add_f32_e32 v69, v69, v70
	v_mul_f32_e32 v70, v82, v125
	v_fma_f32 v70, v81, v136, -v70
	s_waitcnt vmcnt(29)
	v_mul_f32_e32 v98, v91, v141
	v_add_f32_e32 v69, v69, v70
	v_mul_f32_e32 v70, v84, v126
	s_waitcnt vmcnt(28)
	v_fmac_f32_e32 v98, v92, v142
	v_fma_f32 v70, v83, v137, -v70
	v_add_f32_e32 v101, v97, v98
	ds_read_b128 v[97:100], v68 offset:448
	v_add_f32_e32 v69, v69, v70
	v_mul_f32_e32 v70, v86, v127
	s_waitcnt vmcnt(27) lgkmcnt(1)
	v_mul_f32_e32 v102, v93, v143
	v_fma_f32 v70, v85, v138, -v70
	s_waitcnt vmcnt(26)
	v_fmac_f32_e32 v102, v94, v144
	v_add_f32_e32 v69, v69, v70
	v_mul_f32_e32 v70, v88, v128
	v_add_f32_e32 v101, v101, v102
	s_waitcnt vmcnt(25)
	v_mul_f32_e32 v102, v95, v145
	v_fma_f32 v70, v87, v139, -v70
	s_waitcnt vmcnt(24)
	v_fmac_f32_e32 v102, v96, v146
	v_add_f32_e32 v69, v69, v70
	v_mul_f32_e32 v70, v90, v129
	v_add_f32_e32 v101, v101, v102
	s_waitcnt vmcnt(23) lgkmcnt(0)
	v_mul_f32_e32 v102, v97, v147
	v_fma_f32 v70, v89, v140, -v70
	s_waitcnt vmcnt(22)
	v_fmac_f32_e32 v102, v98, v148
	v_add_f32_e32 v69, v69, v70
	v_mul_f32_e32 v70, v92, v141
	v_add_f32_e32 v105, v101, v102
	ds_read_b128 v[101:104], v68 offset:464
	v_fma_f32 v70, v91, v142, -v70
	v_add_f32_e32 v69, v69, v70
	v_mul_f32_e32 v70, v94, v143
	s_waitcnt vmcnt(21)
	v_mul_f32_e32 v106, v99, v149
	v_fma_f32 v70, v93, v144, -v70
	s_waitcnt vmcnt(20)
	v_fmac_f32_e32 v106, v100, v150
	v_add_f32_e32 v69, v69, v70
	v_mul_f32_e32 v70, v96, v145
	v_add_f32_e32 v109, v105, v106
	ds_read_b128 v[105:108], v68 offset:480
	v_fma_f32 v70, v95, v146, -v70
	s_waitcnt vmcnt(19) lgkmcnt(1)
	v_mul_f32_e32 v110, v101, v151
	v_add_f32_e32 v69, v69, v70
	v_mul_f32_e32 v70, v98, v147
	s_waitcnt vmcnt(18)
	v_fmac_f32_e32 v110, v102, v152
	v_fma_f32 v70, v97, v148, -v70
	v_add_f32_e32 v109, v109, v110
	s_waitcnt vmcnt(17)
	v_mul_f32_e32 v110, v103, v153
	v_add_f32_e32 v69, v69, v70
	v_mul_f32_e32 v70, v100, v149
	s_waitcnt vmcnt(16)
	v_fmac_f32_e32 v110, v104, v154
	v_fma_f32 v70, v99, v150, -v70
	v_add_f32_e32 v109, v109, v110
	s_waitcnt vmcnt(14) lgkmcnt(0)
	v_mul_f32_e32 v110, v105, v156
	v_add_f32_e32 v69, v69, v70
	v_mul_f32_e32 v70, v102, v151
	v_fmac_f32_e32 v110, v106, v155
	v_fma_f32 v70, v101, v152, -v70
	v_add_f32_e32 v113, v109, v110
	ds_read_b128 v[109:112], v68 offset:496
	v_add_f32_e32 v69, v69, v70
	v_mul_f32_e32 v70, v104, v153
	v_fma_f32 v70, v103, v154, -v70
	v_add_f32_e32 v69, v69, v70
	v_mul_f32_e32 v70, v106, v156
	s_waitcnt vmcnt(11)
	v_mul_f32_e32 v114, v107, v159
	v_fma_f32 v70, v105, v155, -v70
	s_waitcnt vmcnt(10)
	v_fmac_f32_e32 v114, v108, v160
	v_add_f32_e32 v69, v69, v70
	v_mul_f32_e32 v70, v108, v159
	v_add_f32_e32 v117, v113, v114
	ds_read_b128 v[113:116], v68 offset:512
	s_waitcnt vmcnt(8) lgkmcnt(1)
	v_mul_f32_e32 v118, v109, v162
	v_fma_f32 v70, v107, v160, -v70
	v_fmac_f32_e32 v118, v110, v161
	v_add_f32_e32 v69, v69, v70
	v_mul_f32_e32 v70, v110, v162
	v_add_f32_e32 v117, v117, v118
	s_waitcnt vmcnt(6)
	v_mul_f32_e32 v118, v111, v164
	v_fma_f32 v70, v109, v161, -v70
	v_fmac_f32_e32 v118, v112, v163
	v_add_f32_e32 v69, v69, v70
	v_mul_f32_e32 v70, v112, v164
	v_add_f32_e32 v171, v117, v118
	ds_read_b64 v[117:118], v68 offset:528
	v_fma_f32 v70, v111, v163, -v70
	v_add_f32_e32 v69, v69, v70
	s_waitcnt vmcnt(4) lgkmcnt(1)
	v_mul_f32_e32 v70, v114, v166
	v_mul_f32_e32 v172, v113, v166
	v_fma_f32 v70, v113, v165, -v70
	v_fmac_f32_e32 v172, v114, v165
	v_add_f32_e32 v69, v69, v70
	s_waitcnt vmcnt(2)
	v_mul_f32_e32 v70, v116, v168
	v_add_f32_e32 v171, v171, v172
	v_mul_f32_e32 v172, v115, v168
	v_fma_f32 v70, v115, v167, -v70
	v_fmac_f32_e32 v172, v116, v167
	v_add_f32_e32 v69, v69, v70
	s_waitcnt vmcnt(0) lgkmcnt(0)
	v_mul_f32_e32 v70, v118, v170
	v_add_f32_e32 v171, v171, v172
	v_mul_f32_e32 v172, v117, v170
	v_fma_f32 v70, v117, v169, -v70
	v_fmac_f32_e32 v172, v118, v169
	v_add_f32_e32 v69, v69, v70
	v_add_f32_e32 v171, v171, v172
	v_sub_f32_e32 v69, v157, v69
	v_sub_f32_e32 v70, v158, v171
	buffer_store_dword v69, off, s[0:3], 0 offset:56
	buffer_store_dword v70, off, s[0:3], 0 offset:60
	s_and_saveexec_b64 s[4:5], vcc
	s_cbranch_execz .LBB96_199
; %bb.198:
	buffer_load_dword v69, off, s[0:3], 0 offset:48
	buffer_load_dword v70, off, s[0:3], 0 offset:52
	s_waitcnt vmcnt(0)
	ds_write_b64 v67, v[69:70]
	buffer_store_dword v68, off, s[0:3], 0 offset:48
	buffer_store_dword v68, off, s[0:3], 0 offset:52
.LBB96_199:
	s_or_b64 exec, exec, s[4:5]
	s_waitcnt lgkmcnt(0)
	; wave barrier
	buffer_load_dword v121, off, s[0:3], 0 offset:60
	buffer_load_dword v122, off, s[0:3], 0 offset:68
	;; [unrolled: 1-line block ×42, first 2 shown]
	ds_read2_b64 v[69:72], v68 offset0:41 offset1:42
	ds_read2_b64 v[73:76], v68 offset0:43 offset1:44
	;; [unrolled: 1-line block ×4, first 2 shown]
	buffer_load_dword v163, off, s[0:3], 0 offset:220
	buffer_load_dword v164, off, s[0:3], 0 offset:216
	;; [unrolled: 1-line block ×6, first 2 shown]
	ds_read2_b64 v[85:88], v68 offset0:49 offset1:50
	ds_read2_b64 v[89:92], v68 offset0:51 offset1:52
	buffer_load_dword v169, off, s[0:3], 0 offset:240
	buffer_load_dword v170, off, s[0:3], 0 offset:244
	;; [unrolled: 1-line block ×6, first 2 shown]
	v_cmp_lt_u32_e32 vcc, 5, v0
	s_waitcnt vmcnt(53) lgkmcnt(5)
	v_mul_f32_e32 v93, v69, v121
	s_waitcnt vmcnt(52)
	v_mul_f32_e32 v94, v71, v122
	s_waitcnt vmcnt(51) lgkmcnt(4)
	v_mul_f32_e32 v95, v73, v123
	s_waitcnt vmcnt(50)
	v_mul_f32_e32 v96, v75, v124
	s_waitcnt vmcnt(49) lgkmcnt(3)
	v_mul_f32_e32 v97, v77, v125
	s_waitcnt vmcnt(48)
	v_mul_f32_e32 v98, v79, v126
	s_waitcnt vmcnt(47) lgkmcnt(2)
	v_mul_f32_e32 v99, v81, v127
	s_waitcnt vmcnt(46)
	v_mul_f32_e32 v100, v83, v128
	s_waitcnt vmcnt(45) lgkmcnt(1)
	v_mul_f32_e32 v101, v85, v129
	s_waitcnt vmcnt(44)
	v_mul_f32_e32 v102, v87, v130
	s_waitcnt vmcnt(43)
	v_fmac_f32_e32 v93, v70, v131
	v_mul_f32_e32 v70, v70, v121
	s_waitcnt vmcnt(42)
	v_fmac_f32_e32 v94, v72, v132
	v_add_f32_e32 v93, 0, v93
	v_fma_f32 v69, v69, v131, -v70
	v_mul_f32_e32 v70, v72, v122
	s_waitcnt vmcnt(41)
	v_fmac_f32_e32 v95, v74, v133
	v_add_f32_e32 v93, v93, v94
	v_add_f32_e32 v69, 0, v69
	v_fma_f32 v70, v71, v132, -v70
	s_waitcnt vmcnt(40)
	v_fmac_f32_e32 v96, v76, v134
	v_add_f32_e32 v93, v93, v95
	v_add_f32_e32 v69, v69, v70
	v_mul_f32_e32 v70, v74, v123
	s_waitcnt vmcnt(39)
	v_fmac_f32_e32 v97, v78, v135
	v_add_f32_e32 v93, v93, v96
	v_fma_f32 v70, v73, v133, -v70
	s_waitcnt vmcnt(38)
	v_fmac_f32_e32 v98, v80, v136
	v_add_f32_e32 v93, v93, v97
	v_add_f32_e32 v69, v69, v70
	v_mul_f32_e32 v70, v76, v124
	s_waitcnt vmcnt(37)
	v_fmac_f32_e32 v99, v82, v137
	v_add_f32_e32 v93, v93, v98
	v_fma_f32 v70, v75, v134, -v70
	s_waitcnt vmcnt(36)
	v_fmac_f32_e32 v100, v84, v138
	v_add_f32_e32 v93, v93, v99
	v_add_f32_e32 v69, v69, v70
	v_mul_f32_e32 v70, v78, v125
	s_waitcnt vmcnt(35)
	v_fmac_f32_e32 v101, v86, v139
	v_add_f32_e32 v93, v93, v100
	v_fma_f32 v70, v77, v135, -v70
	s_waitcnt vmcnt(34)
	v_fmac_f32_e32 v102, v88, v140
	v_add_f32_e32 v93, v93, v101
	s_waitcnt vmcnt(33) lgkmcnt(0)
	v_mul_f32_e32 v94, v89, v141
	v_add_f32_e32 v69, v69, v70
	v_mul_f32_e32 v70, v80, v126
	v_add_f32_e32 v93, v93, v102
	s_waitcnt vmcnt(32)
	v_fmac_f32_e32 v94, v90, v142
	v_fma_f32 v70, v79, v136, -v70
	v_add_f32_e32 v97, v93, v94
	ds_read2_b64 v[93:96], v68 offset0:53 offset1:54
	v_add_f32_e32 v69, v69, v70
	v_mul_f32_e32 v70, v82, v127
	v_fma_f32 v70, v81, v137, -v70
	s_waitcnt vmcnt(31)
	v_mul_f32_e32 v98, v91, v143
	v_add_f32_e32 v69, v69, v70
	v_mul_f32_e32 v70, v84, v128
	s_waitcnt vmcnt(30)
	v_fmac_f32_e32 v98, v92, v144
	v_fma_f32 v70, v83, v138, -v70
	v_add_f32_e32 v101, v97, v98
	ds_read2_b64 v[97:100], v68 offset0:55 offset1:56
	v_add_f32_e32 v69, v69, v70
	v_mul_f32_e32 v70, v86, v129
	s_waitcnt vmcnt(29) lgkmcnt(1)
	v_mul_f32_e32 v102, v93, v145
	v_fma_f32 v70, v85, v139, -v70
	s_waitcnt vmcnt(28)
	v_fmac_f32_e32 v102, v94, v146
	v_add_f32_e32 v69, v69, v70
	v_mul_f32_e32 v70, v88, v130
	v_add_f32_e32 v101, v101, v102
	s_waitcnt vmcnt(27)
	v_mul_f32_e32 v102, v95, v147
	v_fma_f32 v70, v87, v140, -v70
	s_waitcnt vmcnt(26)
	v_fmac_f32_e32 v102, v96, v148
	v_add_f32_e32 v69, v69, v70
	v_mul_f32_e32 v70, v90, v141
	v_add_f32_e32 v101, v101, v102
	s_waitcnt vmcnt(25) lgkmcnt(0)
	v_mul_f32_e32 v102, v97, v149
	v_fma_f32 v70, v89, v142, -v70
	s_waitcnt vmcnt(24)
	v_fmac_f32_e32 v102, v98, v150
	v_add_f32_e32 v69, v69, v70
	v_mul_f32_e32 v70, v92, v143
	v_add_f32_e32 v105, v101, v102
	ds_read2_b64 v[101:104], v68 offset0:57 offset1:58
	v_fma_f32 v70, v91, v144, -v70
	v_add_f32_e32 v69, v69, v70
	v_mul_f32_e32 v70, v94, v145
	s_waitcnt vmcnt(23)
	v_mul_f32_e32 v106, v99, v151
	v_fma_f32 v70, v93, v146, -v70
	s_waitcnt vmcnt(22)
	v_fmac_f32_e32 v106, v100, v152
	v_add_f32_e32 v69, v69, v70
	v_mul_f32_e32 v70, v96, v147
	v_add_f32_e32 v109, v105, v106
	ds_read2_b64 v[105:108], v68 offset0:59 offset1:60
	v_fma_f32 v70, v95, v148, -v70
	s_waitcnt vmcnt(21) lgkmcnt(1)
	v_mul_f32_e32 v110, v101, v153
	v_add_f32_e32 v69, v69, v70
	v_mul_f32_e32 v70, v98, v149
	s_waitcnt vmcnt(20)
	v_fmac_f32_e32 v110, v102, v154
	v_fma_f32 v70, v97, v150, -v70
	v_add_f32_e32 v109, v109, v110
	s_waitcnt vmcnt(18)
	v_mul_f32_e32 v110, v103, v156
	v_add_f32_e32 v69, v69, v70
	v_mul_f32_e32 v70, v100, v151
	v_fmac_f32_e32 v110, v104, v155
	v_fma_f32 v70, v99, v152, -v70
	v_add_f32_e32 v109, v109, v110
	s_waitcnt vmcnt(15) lgkmcnt(0)
	v_mul_f32_e32 v110, v105, v159
	v_add_f32_e32 v69, v69, v70
	v_mul_f32_e32 v70, v102, v153
	s_waitcnt vmcnt(14)
	v_fmac_f32_e32 v110, v106, v160
	v_fma_f32 v70, v101, v154, -v70
	v_add_f32_e32 v113, v109, v110
	ds_read2_b64 v[109:112], v68 offset0:61 offset1:62
	v_add_f32_e32 v69, v69, v70
	v_mul_f32_e32 v70, v104, v156
	v_fma_f32 v70, v103, v155, -v70
	v_add_f32_e32 v69, v69, v70
	v_mul_f32_e32 v70, v106, v159
	s_waitcnt vmcnt(12)
	v_mul_f32_e32 v114, v107, v162
	v_fma_f32 v70, v105, v160, -v70
	v_fmac_f32_e32 v114, v108, v161
	v_add_f32_e32 v69, v69, v70
	v_mul_f32_e32 v70, v108, v162
	v_add_f32_e32 v117, v113, v114
	ds_read2_b64 v[113:116], v68 offset0:63 offset1:64
	s_waitcnt vmcnt(11) lgkmcnt(1)
	v_mul_f32_e32 v118, v109, v163
	v_fma_f32 v70, v107, v161, -v70
	s_waitcnt vmcnt(10)
	v_fmac_f32_e32 v118, v110, v164
	v_add_f32_e32 v69, v69, v70
	v_mul_f32_e32 v70, v110, v163
	v_add_f32_e32 v117, v117, v118
	s_waitcnt vmcnt(8)
	v_mul_f32_e32 v118, v111, v166
	v_fma_f32 v70, v109, v164, -v70
	v_fmac_f32_e32 v118, v112, v165
	v_add_f32_e32 v69, v69, v70
	v_mul_f32_e32 v70, v112, v166
	v_add_f32_e32 v175, v117, v118
	ds_read2_b64 v[117:120], v68 offset0:65 offset1:66
	v_fma_f32 v70, v111, v165, -v70
	v_add_f32_e32 v69, v69, v70
	s_waitcnt vmcnt(6) lgkmcnt(1)
	v_mul_f32_e32 v70, v114, v168
	v_mul_f32_e32 v176, v113, v168
	v_fma_f32 v70, v113, v167, -v70
	v_fmac_f32_e32 v176, v114, v167
	v_add_f32_e32 v69, v69, v70
	s_waitcnt vmcnt(4)
	v_mul_f32_e32 v70, v116, v170
	v_add_f32_e32 v68, v175, v176
	v_mul_f32_e32 v175, v115, v170
	v_fma_f32 v70, v115, v169, -v70
	v_fmac_f32_e32 v175, v116, v169
	v_add_f32_e32 v69, v69, v70
	s_waitcnt vmcnt(2) lgkmcnt(0)
	v_mul_f32_e32 v70, v118, v172
	v_add_f32_e32 v68, v68, v175
	v_mul_f32_e32 v175, v117, v172
	v_fma_f32 v70, v117, v171, -v70
	v_fmac_f32_e32 v175, v118, v171
	v_add_f32_e32 v69, v69, v70
	s_waitcnt vmcnt(0)
	v_mul_f32_e32 v70, v120, v174
	v_add_f32_e32 v68, v68, v175
	v_mul_f32_e32 v175, v119, v174
	v_fma_f32 v70, v119, v173, -v70
	v_fmac_f32_e32 v175, v120, v173
	v_add_f32_e32 v69, v69, v70
	v_add_f32_e32 v68, v68, v175
	v_sub_f32_e32 v69, v157, v69
	v_sub_f32_e32 v68, v158, v68
	buffer_store_dword v69, off, s[0:3], 0 offset:48
	buffer_store_dword v68, off, s[0:3], 0 offset:52
	s_and_saveexec_b64 s[4:5], vcc
	s_cbranch_execz .LBB96_201
; %bb.200:
	buffer_load_dword v68, off, s[0:3], 0 offset:40
	buffer_load_dword v69, off, s[0:3], 0 offset:44
	v_mov_b32_e32 v70, 0
	buffer_store_dword v70, off, s[0:3], 0 offset:40
	buffer_store_dword v70, off, s[0:3], 0 offset:44
	s_waitcnt vmcnt(2)
	ds_write_b64 v67, v[68:69]
.LBB96_201:
	s_or_b64 exec, exec, s[4:5]
	s_waitcnt lgkmcnt(0)
	; wave barrier
	buffer_load_dword v123, off, s[0:3], 0 offset:52
	buffer_load_dword v124, off, s[0:3], 0 offset:60
	;; [unrolled: 1-line block ×56, first 2 shown]
	v_mov_b32_e32 v68, 0
	ds_read_b128 v[69:72], v68 offset:320
	ds_read_b128 v[73:76], v68 offset:336
	;; [unrolled: 1-line block ×6, first 2 shown]
	v_cmp_lt_u32_e32 vcc, 4, v0
	s_waitcnt vmcnt(55) lgkmcnt(5)
	v_mul_f32_e32 v93, v69, v123
	s_waitcnt vmcnt(54)
	v_mul_f32_e32 v94, v71, v124
	s_waitcnt vmcnt(53) lgkmcnt(4)
	v_mul_f32_e32 v95, v73, v125
	s_waitcnt vmcnt(52)
	v_mul_f32_e32 v96, v75, v126
	s_waitcnt vmcnt(51) lgkmcnt(3)
	v_mul_f32_e32 v97, v77, v127
	s_waitcnt vmcnt(50)
	v_mul_f32_e32 v98, v79, v128
	s_waitcnt vmcnt(49) lgkmcnt(2)
	v_mul_f32_e32 v99, v81, v129
	s_waitcnt vmcnt(48)
	v_mul_f32_e32 v100, v83, v130
	s_waitcnt vmcnt(47) lgkmcnt(1)
	v_mul_f32_e32 v101, v85, v131
	s_waitcnt vmcnt(46)
	v_fmac_f32_e32 v93, v70, v132
	s_waitcnt vmcnt(45)
	v_fmac_f32_e32 v94, v72, v133
	v_add_f32_e32 v93, 0, v93
	s_waitcnt vmcnt(44)
	v_fmac_f32_e32 v95, v74, v134
	v_add_f32_e32 v93, v93, v94
	;; [unrolled: 3-line block ×3, first 2 shown]
	v_mul_f32_e32 v70, v70, v123
	s_waitcnt vmcnt(42)
	v_fmac_f32_e32 v97, v78, v136
	v_add_f32_e32 v93, v93, v96
	v_fma_f32 v69, v69, v132, -v70
	v_mul_f32_e32 v70, v72, v124
	s_waitcnt vmcnt(41)
	v_fmac_f32_e32 v98, v80, v137
	v_add_f32_e32 v93, v93, v97
	v_add_f32_e32 v69, 0, v69
	v_fma_f32 v70, v71, v133, -v70
	s_waitcnt vmcnt(40)
	v_fmac_f32_e32 v99, v82, v138
	v_add_f32_e32 v93, v93, v98
	v_add_f32_e32 v69, v69, v70
	v_mul_f32_e32 v70, v74, v125
	s_waitcnt vmcnt(39)
	v_fmac_f32_e32 v100, v84, v139
	v_add_f32_e32 v93, v93, v99
	v_fma_f32 v70, v73, v134, -v70
	v_add_f32_e32 v93, v93, v100
	s_waitcnt vmcnt(38)
	v_fmac_f32_e32 v101, v86, v140
	s_waitcnt vmcnt(37)
	v_mul_f32_e32 v94, v87, v141
	v_add_f32_e32 v69, v69, v70
	v_mul_f32_e32 v70, v76, v126
	v_add_f32_e32 v93, v93, v101
	s_waitcnt vmcnt(36)
	v_fmac_f32_e32 v94, v88, v142
	v_fma_f32 v70, v75, v135, -v70
	v_add_f32_e32 v93, v93, v94
	s_waitcnt vmcnt(35) lgkmcnt(0)
	v_mul_f32_e32 v94, v89, v143
	v_add_f32_e32 v69, v69, v70
	v_mul_f32_e32 v70, v78, v127
	s_waitcnt vmcnt(34)
	v_fmac_f32_e32 v94, v90, v144
	v_fma_f32 v70, v77, v136, -v70
	v_add_f32_e32 v97, v93, v94
	ds_read_b128 v[93:96], v68 offset:416
	v_add_f32_e32 v69, v69, v70
	v_mul_f32_e32 v70, v80, v128
	v_fma_f32 v70, v79, v137, -v70
	s_waitcnt vmcnt(33)
	v_mul_f32_e32 v98, v91, v145
	v_add_f32_e32 v69, v69, v70
	v_mul_f32_e32 v70, v82, v129
	s_waitcnt vmcnt(32)
	v_fmac_f32_e32 v98, v92, v146
	v_fma_f32 v70, v81, v138, -v70
	v_add_f32_e32 v101, v97, v98
	ds_read_b128 v[97:100], v68 offset:432
	v_add_f32_e32 v69, v69, v70
	v_mul_f32_e32 v70, v84, v130
	s_waitcnt vmcnt(31) lgkmcnt(1)
	v_mul_f32_e32 v102, v93, v147
	v_fma_f32 v70, v83, v139, -v70
	s_waitcnt vmcnt(30)
	v_fmac_f32_e32 v102, v94, v148
	v_add_f32_e32 v69, v69, v70
	v_mul_f32_e32 v70, v86, v131
	v_add_f32_e32 v101, v101, v102
	s_waitcnt vmcnt(29)
	v_mul_f32_e32 v102, v95, v149
	v_fma_f32 v70, v85, v140, -v70
	s_waitcnt vmcnt(28)
	v_fmac_f32_e32 v102, v96, v150
	v_add_f32_e32 v69, v69, v70
	v_mul_f32_e32 v70, v88, v141
	v_add_f32_e32 v101, v101, v102
	s_waitcnt vmcnt(27) lgkmcnt(0)
	v_mul_f32_e32 v102, v97, v151
	v_fma_f32 v70, v87, v142, -v70
	s_waitcnt vmcnt(26)
	v_fmac_f32_e32 v102, v98, v152
	v_add_f32_e32 v69, v69, v70
	v_mul_f32_e32 v70, v90, v143
	v_add_f32_e32 v105, v101, v102
	ds_read_b128 v[101:104], v68 offset:448
	v_fma_f32 v70, v89, v144, -v70
	v_add_f32_e32 v69, v69, v70
	v_mul_f32_e32 v70, v92, v145
	s_waitcnt vmcnt(24)
	v_mul_f32_e32 v106, v99, v154
	v_fma_f32 v70, v91, v146, -v70
	v_fmac_f32_e32 v106, v100, v153
	v_add_f32_e32 v69, v69, v70
	v_mul_f32_e32 v70, v94, v147
	v_add_f32_e32 v109, v105, v106
	ds_read_b128 v[105:108], v68 offset:464
	v_fma_f32 v70, v93, v148, -v70
	s_waitcnt vmcnt(21) lgkmcnt(1)
	v_mul_f32_e32 v110, v101, v157
	v_add_f32_e32 v69, v69, v70
	v_mul_f32_e32 v70, v96, v149
	s_waitcnt vmcnt(20)
	v_fmac_f32_e32 v110, v102, v158
	v_fma_f32 v70, v95, v150, -v70
	v_add_f32_e32 v109, v109, v110
	s_waitcnt vmcnt(18)
	v_mul_f32_e32 v110, v103, v160
	v_add_f32_e32 v69, v69, v70
	v_mul_f32_e32 v70, v98, v151
	v_fmac_f32_e32 v110, v104, v159
	v_fma_f32 v70, v97, v152, -v70
	v_add_f32_e32 v109, v109, v110
	s_waitcnt vmcnt(16) lgkmcnt(0)
	v_mul_f32_e32 v110, v105, v162
	v_add_f32_e32 v69, v69, v70
	v_mul_f32_e32 v70, v100, v154
	v_fmac_f32_e32 v110, v106, v161
	v_fma_f32 v70, v99, v153, -v70
	v_add_f32_e32 v113, v109, v110
	ds_read_b128 v[109:112], v68 offset:480
	v_add_f32_e32 v69, v69, v70
	v_mul_f32_e32 v70, v102, v157
	v_fma_f32 v70, v101, v158, -v70
	s_waitcnt vmcnt(14)
	v_mul_f32_e32 v114, v107, v164
	v_add_f32_e32 v69, v69, v70
	v_mul_f32_e32 v70, v104, v160
	v_fmac_f32_e32 v114, v108, v163
	v_fma_f32 v70, v103, v159, -v70
	v_add_f32_e32 v117, v113, v114
	ds_read_b128 v[113:116], v68 offset:496
	v_add_f32_e32 v69, v69, v70
	v_mul_f32_e32 v70, v106, v162
	s_waitcnt vmcnt(12) lgkmcnt(1)
	v_mul_f32_e32 v118, v109, v166
	v_fma_f32 v70, v105, v161, -v70
	v_fmac_f32_e32 v118, v110, v165
	v_add_f32_e32 v69, v69, v70
	v_mul_f32_e32 v70, v108, v164
	v_add_f32_e32 v117, v117, v118
	s_waitcnt vmcnt(10)
	v_mul_f32_e32 v118, v111, v168
	v_fma_f32 v70, v107, v163, -v70
	v_fmac_f32_e32 v118, v112, v167
	v_add_f32_e32 v69, v69, v70
	v_mul_f32_e32 v70, v110, v166
	v_add_f32_e32 v117, v117, v118
	s_waitcnt vmcnt(8) lgkmcnt(0)
	v_mul_f32_e32 v118, v113, v170
	v_fma_f32 v70, v109, v165, -v70
	v_fmac_f32_e32 v118, v114, v169
	v_add_f32_e32 v69, v69, v70
	v_mul_f32_e32 v70, v112, v168
	v_add_f32_e32 v121, v117, v118
	ds_read_b128 v[117:120], v68 offset:512
	v_fma_f32 v70, v111, v167, -v70
	v_add_f32_e32 v69, v69, v70
	v_mul_f32_e32 v70, v114, v170
	s_waitcnt vmcnt(6)
	v_mul_f32_e32 v122, v115, v172
	v_fma_f32 v70, v113, v169, -v70
	v_fmac_f32_e32 v122, v116, v171
	v_add_f32_e32 v69, v69, v70
	v_mul_f32_e32 v70, v116, v172
	v_add_f32_e32 v179, v121, v122
	ds_read_b64 v[121:122], v68 offset:528
	v_fma_f32 v70, v115, v171, -v70
	v_add_f32_e32 v69, v69, v70
	s_waitcnt vmcnt(4) lgkmcnt(1)
	v_mul_f32_e32 v70, v118, v174
	v_mul_f32_e32 v180, v117, v174
	v_fma_f32 v70, v117, v173, -v70
	v_fmac_f32_e32 v180, v118, v173
	v_add_f32_e32 v69, v69, v70
	s_waitcnt vmcnt(2)
	v_mul_f32_e32 v70, v120, v176
	v_add_f32_e32 v179, v179, v180
	v_mul_f32_e32 v180, v119, v176
	v_fma_f32 v70, v119, v175, -v70
	v_fmac_f32_e32 v180, v120, v175
	v_add_f32_e32 v69, v69, v70
	s_waitcnt vmcnt(0) lgkmcnt(0)
	v_mul_f32_e32 v70, v122, v178
	v_add_f32_e32 v179, v179, v180
	v_mul_f32_e32 v180, v121, v178
	v_fma_f32 v70, v121, v177, -v70
	v_fmac_f32_e32 v180, v122, v177
	v_add_f32_e32 v69, v69, v70
	v_add_f32_e32 v179, v179, v180
	v_sub_f32_e32 v69, v155, v69
	v_sub_f32_e32 v70, v156, v179
	buffer_store_dword v69, off, s[0:3], 0 offset:40
	buffer_store_dword v70, off, s[0:3], 0 offset:44
	s_and_saveexec_b64 s[4:5], vcc
	s_cbranch_execz .LBB96_203
; %bb.202:
	buffer_load_dword v69, off, s[0:3], 0 offset:32
	buffer_load_dword v70, off, s[0:3], 0 offset:36
	s_waitcnt vmcnt(0)
	ds_write_b64 v67, v[69:70]
	buffer_store_dword v68, off, s[0:3], 0 offset:32
	buffer_store_dword v68, off, s[0:3], 0 offset:36
.LBB96_203:
	s_or_b64 exec, exec, s[4:5]
	s_waitcnt lgkmcnt(0)
	; wave barrier
	buffer_load_dword v125, off, s[0:3], 0 offset:44
	buffer_load_dword v126, off, s[0:3], 0 offset:52
	;; [unrolled: 1-line block ×34, first 2 shown]
	ds_read2_b64 v[69:72], v68 offset0:39 offset1:40
	ds_read2_b64 v[73:76], v68 offset0:41 offset1:42
	buffer_load_dword v159, off, s[0:3], 0 offset:172
	buffer_load_dword v160, off, s[0:3], 0 offset:168
	;; [unrolled: 1-line block ×6, first 2 shown]
	ds_read2_b64 v[77:80], v68 offset0:43 offset1:44
	ds_read2_b64 v[81:84], v68 offset0:45 offset1:46
	;; [unrolled: 1-line block ×4, first 2 shown]
	buffer_load_dword v165, off, s[0:3], 0 offset:196
	buffer_load_dword v166, off, s[0:3], 0 offset:192
	;; [unrolled: 1-line block ×18, first 2 shown]
	v_cmp_lt_u32_e32 vcc, 3, v0
	s_waitcnt vmcnt(57) lgkmcnt(5)
	v_mul_f32_e32 v93, v69, v125
	s_waitcnt vmcnt(56)
	v_mul_f32_e32 v94, v71, v126
	s_waitcnt vmcnt(55) lgkmcnt(4)
	v_mul_f32_e32 v95, v73, v127
	s_waitcnt vmcnt(54)
	v_mul_f32_e32 v96, v75, v128
	s_waitcnt vmcnt(53) lgkmcnt(3)
	v_mul_f32_e32 v97, v77, v129
	s_waitcnt vmcnt(52)
	v_mul_f32_e32 v98, v79, v130
	s_waitcnt vmcnt(51) lgkmcnt(2)
	v_mul_f32_e32 v99, v81, v131
	s_waitcnt vmcnt(50)
	v_mul_f32_e32 v100, v83, v132
	s_waitcnt vmcnt(49)
	v_fmac_f32_e32 v93, v70, v133
	s_waitcnt vmcnt(48)
	v_fmac_f32_e32 v94, v72, v134
	v_add_f32_e32 v93, 0, v93
	s_waitcnt vmcnt(47)
	v_fmac_f32_e32 v95, v74, v135
	v_add_f32_e32 v93, v93, v94
	;; [unrolled: 3-line block ×4, first 2 shown]
	v_mul_f32_e32 v70, v70, v125
	s_waitcnt vmcnt(44)
	v_fmac_f32_e32 v98, v80, v138
	v_add_f32_e32 v93, v93, v97
	v_fma_f32 v69, v69, v133, -v70
	v_mul_f32_e32 v70, v72, v126
	s_waitcnt vmcnt(43)
	v_fmac_f32_e32 v99, v82, v139
	v_add_f32_e32 v93, v93, v98
	v_add_f32_e32 v69, 0, v69
	v_fma_f32 v70, v71, v134, -v70
	s_waitcnt vmcnt(42)
	v_fmac_f32_e32 v100, v84, v140
	v_add_f32_e32 v93, v93, v99
	s_waitcnt vmcnt(41) lgkmcnt(1)
	v_mul_f32_e32 v94, v85, v141
	v_add_f32_e32 v69, v69, v70
	v_mul_f32_e32 v70, v74, v127
	v_add_f32_e32 v93, v93, v100
	s_waitcnt vmcnt(40)
	v_fmac_f32_e32 v94, v86, v142
	v_fma_f32 v70, v73, v135, -v70
	v_add_f32_e32 v93, v93, v94
	s_waitcnt vmcnt(39)
	v_mul_f32_e32 v94, v87, v143
	v_add_f32_e32 v69, v69, v70
	v_mul_f32_e32 v70, v76, v128
	s_waitcnt vmcnt(38)
	v_fmac_f32_e32 v94, v88, v144
	v_fma_f32 v70, v75, v136, -v70
	v_add_f32_e32 v93, v93, v94
	s_waitcnt vmcnt(37) lgkmcnt(0)
	v_mul_f32_e32 v94, v89, v145
	v_add_f32_e32 v69, v69, v70
	v_mul_f32_e32 v70, v78, v129
	s_waitcnt vmcnt(36)
	v_fmac_f32_e32 v94, v90, v146
	v_fma_f32 v70, v77, v137, -v70
	v_add_f32_e32 v97, v93, v94
	ds_read2_b64 v[93:96], v68 offset0:51 offset1:52
	v_add_f32_e32 v69, v69, v70
	v_mul_f32_e32 v70, v80, v130
	v_fma_f32 v70, v79, v138, -v70
	s_waitcnt vmcnt(35)
	v_mul_f32_e32 v98, v91, v147
	v_add_f32_e32 v69, v69, v70
	v_mul_f32_e32 v70, v82, v131
	s_waitcnt vmcnt(34)
	v_fmac_f32_e32 v98, v92, v148
	v_fma_f32 v70, v81, v139, -v70
	v_add_f32_e32 v101, v97, v98
	ds_read2_b64 v[97:100], v68 offset0:53 offset1:54
	v_add_f32_e32 v69, v69, v70
	v_mul_f32_e32 v70, v84, v132
	s_waitcnt vmcnt(33) lgkmcnt(1)
	v_mul_f32_e32 v102, v93, v149
	v_fma_f32 v70, v83, v140, -v70
	s_waitcnt vmcnt(32)
	v_fmac_f32_e32 v102, v94, v150
	v_add_f32_e32 v69, v69, v70
	v_mul_f32_e32 v70, v86, v141
	v_add_f32_e32 v101, v101, v102
	s_waitcnt vmcnt(31)
	v_mul_f32_e32 v102, v95, v151
	v_fma_f32 v70, v85, v142, -v70
	s_waitcnt vmcnt(30)
	v_fmac_f32_e32 v102, v96, v152
	v_add_f32_e32 v69, v69, v70
	v_mul_f32_e32 v70, v88, v143
	v_add_f32_e32 v101, v101, v102
	s_waitcnt vmcnt(29) lgkmcnt(0)
	v_mul_f32_e32 v102, v97, v153
	v_fma_f32 v70, v87, v144, -v70
	s_waitcnt vmcnt(28)
	v_fmac_f32_e32 v102, v98, v154
	v_add_f32_e32 v69, v69, v70
	v_mul_f32_e32 v70, v90, v145
	v_add_f32_e32 v105, v101, v102
	ds_read2_b64 v[101:104], v68 offset0:55 offset1:56
	v_fma_f32 v70, v89, v146, -v70
	v_add_f32_e32 v69, v69, v70
	v_mul_f32_e32 v70, v92, v147
	s_waitcnt vmcnt(25)
	v_mul_f32_e32 v106, v99, v157
	v_fma_f32 v70, v91, v148, -v70
	s_waitcnt vmcnt(24)
	v_fmac_f32_e32 v106, v100, v158
	v_add_f32_e32 v69, v69, v70
	v_mul_f32_e32 v70, v94, v149
	v_add_f32_e32 v109, v105, v106
	ds_read2_b64 v[105:108], v68 offset0:57 offset1:58
	v_fma_f32 v70, v93, v150, -v70
	s_waitcnt vmcnt(23) lgkmcnt(1)
	v_mul_f32_e32 v110, v101, v159
	v_add_f32_e32 v69, v69, v70
	v_mul_f32_e32 v70, v96, v151
	s_waitcnt vmcnt(22)
	v_fmac_f32_e32 v110, v102, v160
	v_fma_f32 v70, v95, v152, -v70
	v_add_f32_e32 v109, v109, v110
	s_waitcnt vmcnt(20)
	v_mul_f32_e32 v110, v103, v162
	v_add_f32_e32 v69, v69, v70
	v_mul_f32_e32 v70, v98, v153
	v_fmac_f32_e32 v110, v104, v161
	v_fma_f32 v70, v97, v154, -v70
	v_add_f32_e32 v109, v109, v110
	s_waitcnt vmcnt(18) lgkmcnt(0)
	v_mul_f32_e32 v110, v105, v164
	v_add_f32_e32 v69, v69, v70
	v_mul_f32_e32 v70, v100, v157
	v_fmac_f32_e32 v110, v106, v163
	v_fma_f32 v70, v99, v158, -v70
	v_add_f32_e32 v113, v109, v110
	ds_read2_b64 v[109:112], v68 offset0:59 offset1:60
	v_add_f32_e32 v69, v69, v70
	v_mul_f32_e32 v70, v102, v159
	v_fma_f32 v70, v101, v160, -v70
	s_waitcnt vmcnt(17)
	v_mul_f32_e32 v114, v107, v165
	v_add_f32_e32 v69, v69, v70
	v_mul_f32_e32 v70, v104, v162
	s_waitcnt vmcnt(16)
	v_fmac_f32_e32 v114, v108, v166
	v_fma_f32 v70, v103, v161, -v70
	v_add_f32_e32 v117, v113, v114
	ds_read2_b64 v[113:116], v68 offset0:61 offset1:62
	v_add_f32_e32 v69, v69, v70
	v_mul_f32_e32 v70, v106, v164
	s_waitcnt vmcnt(14) lgkmcnt(1)
	v_mul_f32_e32 v118, v109, v168
	v_fma_f32 v70, v105, v163, -v70
	v_fmac_f32_e32 v118, v110, v167
	v_add_f32_e32 v69, v69, v70
	v_mul_f32_e32 v70, v108, v165
	v_add_f32_e32 v117, v117, v118
	s_waitcnt vmcnt(12)
	v_mul_f32_e32 v118, v111, v170
	v_fma_f32 v70, v107, v166, -v70
	v_fmac_f32_e32 v118, v112, v169
	v_add_f32_e32 v69, v69, v70
	v_mul_f32_e32 v70, v110, v168
	v_add_f32_e32 v117, v117, v118
	s_waitcnt vmcnt(10) lgkmcnt(0)
	v_mul_f32_e32 v118, v113, v172
	v_fma_f32 v70, v109, v167, -v70
	v_fmac_f32_e32 v118, v114, v171
	v_add_f32_e32 v69, v69, v70
	v_mul_f32_e32 v70, v112, v170
	v_add_f32_e32 v121, v117, v118
	ds_read2_b64 v[117:120], v68 offset0:63 offset1:64
	v_fma_f32 v70, v111, v169, -v70
	v_add_f32_e32 v69, v69, v70
	v_mul_f32_e32 v70, v114, v172
	s_waitcnt vmcnt(8)
	v_mul_f32_e32 v122, v115, v174
	v_fma_f32 v70, v113, v171, -v70
	v_fmac_f32_e32 v122, v116, v173
	v_add_f32_e32 v69, v69, v70
	v_mul_f32_e32 v70, v116, v174
	v_add_f32_e32 v183, v121, v122
	ds_read2_b64 v[121:124], v68 offset0:65 offset1:66
	v_fma_f32 v70, v115, v173, -v70
	v_add_f32_e32 v69, v69, v70
	s_waitcnt vmcnt(6) lgkmcnt(1)
	v_mul_f32_e32 v70, v118, v176
	v_mul_f32_e32 v68, v117, v176
	v_fma_f32 v70, v117, v175, -v70
	v_fmac_f32_e32 v68, v118, v175
	v_add_f32_e32 v69, v69, v70
	s_waitcnt vmcnt(4)
	v_mul_f32_e32 v70, v120, v178
	v_add_f32_e32 v68, v183, v68
	v_mul_f32_e32 v183, v119, v178
	v_fma_f32 v70, v119, v177, -v70
	v_fmac_f32_e32 v183, v120, v177
	v_add_f32_e32 v69, v69, v70
	s_waitcnt vmcnt(2) lgkmcnt(0)
	v_mul_f32_e32 v70, v122, v180
	v_add_f32_e32 v68, v68, v183
	v_mul_f32_e32 v183, v121, v180
	v_fma_f32 v70, v121, v179, -v70
	v_fmac_f32_e32 v183, v122, v179
	v_add_f32_e32 v69, v69, v70
	s_waitcnt vmcnt(0)
	v_mul_f32_e32 v70, v124, v182
	v_add_f32_e32 v68, v68, v183
	v_mul_f32_e32 v183, v123, v182
	v_fma_f32 v70, v123, v181, -v70
	v_fmac_f32_e32 v183, v124, v181
	v_add_f32_e32 v69, v69, v70
	v_add_f32_e32 v68, v68, v183
	v_sub_f32_e32 v69, v155, v69
	v_sub_f32_e32 v68, v156, v68
	buffer_store_dword v69, off, s[0:3], 0 offset:32
	buffer_store_dword v68, off, s[0:3], 0 offset:36
	s_and_saveexec_b64 s[4:5], vcc
	s_cbranch_execz .LBB96_205
; %bb.204:
	buffer_load_dword v68, off, s[0:3], 0 offset:24
	buffer_load_dword v69, off, s[0:3], 0 offset:28
	v_mov_b32_e32 v70, 0
	buffer_store_dword v70, off, s[0:3], 0 offset:24
	buffer_store_dword v70, off, s[0:3], 0 offset:28
	s_waitcnt vmcnt(2)
	ds_write_b64 v67, v[68:69]
.LBB96_205:
	s_or_b64 exec, exec, s[4:5]
	s_waitcnt lgkmcnt(0)
	; wave barrier
	buffer_load_dword v127, off, s[0:3], 0 offset:36
	buffer_load_dword v128, off, s[0:3], 0 offset:44
	;; [unrolled: 1-line block ×60, first 2 shown]
	v_mov_b32_e32 v68, 0
	ds_read_b128 v[69:72], v68 offset:304
	ds_read_b128 v[73:76], v68 offset:320
	;; [unrolled: 1-line block ×5, first 2 shown]
	v_cmp_lt_u32_e32 vcc, 2, v0
	s_waitcnt vmcnt(59) lgkmcnt(4)
	v_mul_f32_e32 v89, v69, v127
	s_waitcnt vmcnt(58)
	v_mul_f32_e32 v90, v71, v128
	s_waitcnt vmcnt(57) lgkmcnt(3)
	v_mul_f32_e32 v91, v73, v129
	s_waitcnt vmcnt(56)
	v_mul_f32_e32 v92, v75, v130
	;; [unrolled: 4-line block ×3, first 2 shown]
	s_waitcnt vmcnt(53) lgkmcnt(1)
	v_mul_f32_e32 v95, v81, v133
	s_waitcnt vmcnt(52)
	v_fmac_f32_e32 v89, v70, v134
	s_waitcnt vmcnt(51)
	v_fmac_f32_e32 v90, v72, v135
	v_add_f32_e32 v89, 0, v89
	s_waitcnt vmcnt(50)
	v_fmac_f32_e32 v91, v74, v136
	v_add_f32_e32 v89, v89, v90
	;; [unrolled: 3-line block ×6, first 2 shown]
	s_waitcnt vmcnt(45)
	v_mul_f32_e32 v90, v83, v141
	v_add_f32_e32 v89, v89, v95
	s_waitcnt vmcnt(44)
	v_fmac_f32_e32 v90, v84, v142
	v_mul_f32_e32 v70, v70, v127
	v_add_f32_e32 v93, v89, v90
	ds_read_b128 v[89:92], v68 offset:384
	v_fma_f32 v69, v69, v134, -v70
	v_mul_f32_e32 v70, v72, v128
	s_waitcnt vmcnt(43) lgkmcnt(1)
	v_mul_f32_e32 v94, v85, v143
	v_add_f32_e32 v69, 0, v69
	v_fma_f32 v70, v71, v135, -v70
	s_waitcnt vmcnt(42)
	v_fmac_f32_e32 v94, v86, v144
	v_add_f32_e32 v69, v69, v70
	v_mul_f32_e32 v70, v74, v129
	v_add_f32_e32 v93, v93, v94
	s_waitcnt vmcnt(41)
	v_mul_f32_e32 v94, v87, v145
	v_fma_f32 v70, v73, v136, -v70
	s_waitcnt vmcnt(40)
	v_fmac_f32_e32 v94, v88, v146
	v_add_f32_e32 v69, v69, v70
	v_mul_f32_e32 v70, v76, v130
	v_add_f32_e32 v93, v93, v94
	s_waitcnt vmcnt(39) lgkmcnt(0)
	v_mul_f32_e32 v94, v89, v147
	v_fma_f32 v70, v75, v137, -v70
	s_waitcnt vmcnt(38)
	v_fmac_f32_e32 v94, v90, v148
	v_add_f32_e32 v69, v69, v70
	v_mul_f32_e32 v70, v78, v131
	v_add_f32_e32 v97, v93, v94
	ds_read_b128 v[93:96], v68 offset:400
	v_fma_f32 v70, v77, v138, -v70
	v_add_f32_e32 v69, v69, v70
	v_mul_f32_e32 v70, v80, v132
	s_waitcnt vmcnt(37)
	v_mul_f32_e32 v98, v91, v149
	v_fma_f32 v70, v79, v139, -v70
	s_waitcnt vmcnt(36)
	v_fmac_f32_e32 v98, v92, v150
	v_add_f32_e32 v69, v69, v70
	v_mul_f32_e32 v70, v82, v133
	v_add_f32_e32 v101, v97, v98
	ds_read_b128 v[97:100], v68 offset:416
	v_fma_f32 v70, v81, v140, -v70
	s_waitcnt vmcnt(34) lgkmcnt(1)
	v_mul_f32_e32 v102, v93, v152
	v_add_f32_e32 v69, v69, v70
	v_mul_f32_e32 v70, v84, v141
	v_fmac_f32_e32 v102, v94, v151
	v_fma_f32 v70, v83, v142, -v70
	v_add_f32_e32 v101, v101, v102
	s_waitcnt vmcnt(31)
	v_mul_f32_e32 v102, v95, v155
	v_add_f32_e32 v69, v69, v70
	v_mul_f32_e32 v70, v86, v143
	s_waitcnt vmcnt(30)
	v_fmac_f32_e32 v102, v96, v156
	v_fma_f32 v70, v85, v144, -v70
	v_add_f32_e32 v101, v101, v102
	s_waitcnt vmcnt(28) lgkmcnt(0)
	v_mul_f32_e32 v102, v97, v158
	v_add_f32_e32 v69, v69, v70
	v_mul_f32_e32 v70, v88, v145
	v_fmac_f32_e32 v102, v98, v157
	v_fma_f32 v70, v87, v146, -v70
	v_add_f32_e32 v105, v101, v102
	ds_read_b128 v[101:104], v68 offset:432
	v_add_f32_e32 v69, v69, v70
	v_mul_f32_e32 v70, v90, v147
	v_fma_f32 v70, v89, v148, -v70
	s_waitcnt vmcnt(26)
	v_mul_f32_e32 v106, v99, v160
	v_add_f32_e32 v69, v69, v70
	v_mul_f32_e32 v70, v92, v149
	v_fmac_f32_e32 v106, v100, v159
	v_fma_f32 v70, v91, v150, -v70
	v_add_f32_e32 v109, v105, v106
	ds_read_b128 v[105:108], v68 offset:448
	v_add_f32_e32 v69, v69, v70
	v_mul_f32_e32 v70, v94, v152
	s_waitcnt vmcnt(24) lgkmcnt(1)
	v_mul_f32_e32 v110, v101, v162
	v_fma_f32 v70, v93, v151, -v70
	v_fmac_f32_e32 v110, v102, v161
	v_add_f32_e32 v69, v69, v70
	v_mul_f32_e32 v70, v96, v155
	v_add_f32_e32 v109, v109, v110
	s_waitcnt vmcnt(22)
	v_mul_f32_e32 v110, v103, v164
	v_fma_f32 v70, v95, v156, -v70
	v_fmac_f32_e32 v110, v104, v163
	v_add_f32_e32 v69, v69, v70
	v_mul_f32_e32 v70, v98, v158
	v_add_f32_e32 v109, v109, v110
	s_waitcnt vmcnt(20) lgkmcnt(0)
	v_mul_f32_e32 v110, v105, v166
	v_fma_f32 v70, v97, v157, -v70
	v_fmac_f32_e32 v110, v106, v165
	v_add_f32_e32 v69, v69, v70
	v_mul_f32_e32 v70, v100, v160
	v_add_f32_e32 v113, v109, v110
	ds_read_b128 v[109:112], v68 offset:464
	v_fma_f32 v70, v99, v159, -v70
	v_add_f32_e32 v69, v69, v70
	v_mul_f32_e32 v70, v102, v162
	s_waitcnt vmcnt(18)
	v_mul_f32_e32 v114, v107, v168
	v_fma_f32 v70, v101, v161, -v70
	v_fmac_f32_e32 v114, v108, v167
	v_add_f32_e32 v69, v69, v70
	v_mul_f32_e32 v70, v104, v164
	v_add_f32_e32 v117, v113, v114
	ds_read_b128 v[113:116], v68 offset:480
	v_fma_f32 v70, v103, v163, -v70
	s_waitcnt vmcnt(16) lgkmcnt(1)
	v_mul_f32_e32 v118, v109, v170
	v_add_f32_e32 v69, v69, v70
	v_mul_f32_e32 v70, v106, v166
	v_fmac_f32_e32 v118, v110, v169
	v_fma_f32 v70, v105, v165, -v70
	v_add_f32_e32 v117, v117, v118
	s_waitcnt vmcnt(14)
	v_mul_f32_e32 v118, v111, v172
	v_add_f32_e32 v69, v69, v70
	v_mul_f32_e32 v70, v108, v168
	v_fmac_f32_e32 v118, v112, v171
	v_fma_f32 v70, v107, v167, -v70
	v_add_f32_e32 v117, v117, v118
	s_waitcnt vmcnt(12) lgkmcnt(0)
	v_mul_f32_e32 v118, v113, v174
	v_add_f32_e32 v69, v69, v70
	v_mul_f32_e32 v70, v110, v170
	v_fmac_f32_e32 v118, v114, v173
	v_fma_f32 v70, v109, v169, -v70
	v_add_f32_e32 v121, v117, v118
	ds_read_b128 v[117:120], v68 offset:496
	v_add_f32_e32 v69, v69, v70
	v_mul_f32_e32 v70, v112, v172
	v_fma_f32 v70, v111, v171, -v70
	v_add_f32_e32 v69, v69, v70
	v_mul_f32_e32 v70, v114, v174
	s_waitcnt vmcnt(10)
	v_mul_f32_e32 v122, v115, v176
	v_fma_f32 v70, v113, v173, -v70
	v_fmac_f32_e32 v122, v116, v175
	v_add_f32_e32 v69, v69, v70
	v_mul_f32_e32 v70, v116, v176
	v_add_f32_e32 v125, v121, v122
	ds_read_b128 v[121:124], v68 offset:512
	s_waitcnt vmcnt(8) lgkmcnt(1)
	v_mul_f32_e32 v126, v117, v178
	v_fma_f32 v70, v115, v175, -v70
	v_fmac_f32_e32 v126, v118, v177
	v_add_f32_e32 v69, v69, v70
	v_mul_f32_e32 v70, v118, v178
	v_add_f32_e32 v125, v125, v126
	s_waitcnt vmcnt(6)
	v_mul_f32_e32 v126, v119, v180
	v_fma_f32 v70, v117, v177, -v70
	v_fmac_f32_e32 v126, v120, v179
	v_add_f32_e32 v69, v69, v70
	v_mul_f32_e32 v70, v120, v180
	v_add_f32_e32 v187, v125, v126
	ds_read_b64 v[125:126], v68 offset:528
	v_fma_f32 v70, v119, v179, -v70
	v_add_f32_e32 v69, v69, v70
	s_waitcnt vmcnt(4) lgkmcnt(1)
	v_mul_f32_e32 v70, v122, v182
	v_mul_f32_e32 v188, v121, v182
	v_fma_f32 v70, v121, v181, -v70
	v_fmac_f32_e32 v188, v122, v181
	v_add_f32_e32 v69, v69, v70
	s_waitcnt vmcnt(2)
	v_mul_f32_e32 v70, v124, v184
	v_add_f32_e32 v187, v187, v188
	v_mul_f32_e32 v188, v123, v184
	v_fma_f32 v70, v123, v183, -v70
	v_fmac_f32_e32 v188, v124, v183
	v_add_f32_e32 v69, v69, v70
	s_waitcnt vmcnt(0) lgkmcnt(0)
	v_mul_f32_e32 v70, v126, v186
	v_add_f32_e32 v187, v187, v188
	v_mul_f32_e32 v188, v125, v186
	v_fma_f32 v70, v125, v185, -v70
	v_fmac_f32_e32 v188, v126, v185
	v_add_f32_e32 v69, v69, v70
	v_add_f32_e32 v187, v187, v188
	v_sub_f32_e32 v69, v153, v69
	v_sub_f32_e32 v70, v154, v187
	buffer_store_dword v69, off, s[0:3], 0 offset:24
	buffer_store_dword v70, off, s[0:3], 0 offset:28
	s_and_saveexec_b64 s[4:5], vcc
	s_cbranch_execz .LBB96_207
; %bb.206:
	buffer_load_dword v69, off, s[0:3], 0 offset:16
	buffer_load_dword v70, off, s[0:3], 0 offset:20
	s_waitcnt vmcnt(0)
	ds_write_b64 v67, v[69:70]
	buffer_store_dword v68, off, s[0:3], 0 offset:16
	buffer_store_dword v68, off, s[0:3], 0 offset:20
.LBB96_207:
	s_or_b64 exec, exec, s[4:5]
	s_waitcnt lgkmcnt(0)
	; wave barrier
	buffer_load_dword v129, off, s[0:3], 0 offset:28
	buffer_load_dword v130, off, s[0:3], 0 offset:36
	;; [unrolled: 1-line block ×32, first 2 shown]
	ds_read2_b64 v[69:72], v68 offset0:37 offset1:38
	ds_read2_b64 v[73:76], v68 offset0:39 offset1:40
	;; [unrolled: 1-line block ×4, first 2 shown]
	buffer_load_dword v161, off, s[0:3], 0 offset:148
	buffer_load_dword v162, off, s[0:3], 0 offset:144
	;; [unrolled: 1-line block ×30, first 2 shown]
	v_cmp_lt_u32_e32 vcc, 1, v0
	s_waitcnt vmcnt(61) lgkmcnt(3)
	v_mul_f32_e32 v85, v69, v129
	s_waitcnt vmcnt(60)
	v_mul_f32_e32 v86, v71, v130
	s_waitcnt vmcnt(59) lgkmcnt(2)
	v_mul_f32_e32 v87, v73, v131
	s_waitcnt vmcnt(58)
	v_mul_f32_e32 v88, v75, v132
	;; [unrolled: 4-line block ×3, first 2 shown]
	s_waitcnt vmcnt(55) lgkmcnt(0)
	v_mul_f32_e32 v91, v81, v135
	s_waitcnt vmcnt(54)
	v_fmac_f32_e32 v85, v70, v136
	s_waitcnt vmcnt(53)
	v_fmac_f32_e32 v86, v72, v137
	v_add_f32_e32 v85, 0, v85
	s_waitcnt vmcnt(52)
	v_fmac_f32_e32 v87, v74, v138
	v_add_f32_e32 v85, v85, v86
	s_waitcnt vmcnt(51)
	v_fmac_f32_e32 v88, v76, v139
	v_add_f32_e32 v85, v85, v87
	s_waitcnt vmcnt(50)
	v_fmac_f32_e32 v89, v78, v140
	v_add_f32_e32 v85, v85, v88
	s_waitcnt vmcnt(49)
	v_fmac_f32_e32 v90, v80, v141
	v_add_f32_e32 v85, v85, v89
	s_waitcnt vmcnt(48)
	v_fmac_f32_e32 v91, v82, v142
	v_add_f32_e32 v85, v85, v90
	v_add_f32_e32 v89, v85, v91
	ds_read2_b64 v[85:88], v68 offset0:45 offset1:46
	s_waitcnt vmcnt(47)
	v_mul_f32_e32 v90, v83, v143
	s_waitcnt vmcnt(46)
	v_fmac_f32_e32 v90, v84, v144
	v_mul_f32_e32 v70, v70, v129
	v_add_f32_e32 v93, v89, v90
	ds_read2_b64 v[89:92], v68 offset0:47 offset1:48
	v_fma_f32 v69, v69, v136, -v70
	v_mul_f32_e32 v70, v72, v130
	s_waitcnt vmcnt(45) lgkmcnt(1)
	v_mul_f32_e32 v94, v85, v145
	v_add_f32_e32 v69, 0, v69
	v_fma_f32 v70, v71, v137, -v70
	s_waitcnt vmcnt(44)
	v_fmac_f32_e32 v94, v86, v146
	v_add_f32_e32 v69, v69, v70
	v_mul_f32_e32 v70, v74, v131
	v_add_f32_e32 v93, v93, v94
	s_waitcnt vmcnt(43)
	v_mul_f32_e32 v94, v87, v147
	v_fma_f32 v70, v73, v138, -v70
	s_waitcnt vmcnt(42)
	v_fmac_f32_e32 v94, v88, v148
	v_add_f32_e32 v69, v69, v70
	v_mul_f32_e32 v70, v76, v132
	v_add_f32_e32 v93, v93, v94
	s_waitcnt vmcnt(41) lgkmcnt(0)
	v_mul_f32_e32 v94, v89, v149
	v_fma_f32 v70, v75, v139, -v70
	s_waitcnt vmcnt(40)
	v_fmac_f32_e32 v94, v90, v150
	v_add_f32_e32 v69, v69, v70
	v_mul_f32_e32 v70, v78, v133
	v_add_f32_e32 v97, v93, v94
	ds_read2_b64 v[93:96], v68 offset0:49 offset1:50
	v_fma_f32 v70, v77, v140, -v70
	v_add_f32_e32 v69, v69, v70
	v_mul_f32_e32 v70, v80, v134
	s_waitcnt vmcnt(39)
	v_mul_f32_e32 v98, v91, v151
	v_fma_f32 v70, v79, v141, -v70
	s_waitcnt vmcnt(38)
	v_fmac_f32_e32 v98, v92, v152
	v_add_f32_e32 v69, v69, v70
	v_mul_f32_e32 v70, v82, v135
	v_add_f32_e32 v101, v97, v98
	ds_read2_b64 v[97:100], v68 offset0:51 offset1:52
	v_fma_f32 v70, v81, v142, -v70
	s_waitcnt vmcnt(35) lgkmcnt(1)
	v_mul_f32_e32 v102, v93, v155
	v_add_f32_e32 v69, v69, v70
	v_mul_f32_e32 v70, v84, v143
	s_waitcnt vmcnt(34)
	v_fmac_f32_e32 v102, v94, v156
	v_fma_f32 v70, v83, v144, -v70
	v_add_f32_e32 v101, v101, v102
	s_waitcnt vmcnt(32)
	v_mul_f32_e32 v102, v95, v158
	v_add_f32_e32 v69, v69, v70
	v_mul_f32_e32 v70, v86, v145
	v_fmac_f32_e32 v102, v96, v157
	v_fma_f32 v70, v85, v146, -v70
	v_add_f32_e32 v101, v101, v102
	s_waitcnt vmcnt(30) lgkmcnt(0)
	v_mul_f32_e32 v102, v97, v160
	v_add_f32_e32 v69, v69, v70
	v_mul_f32_e32 v70, v88, v147
	v_fmac_f32_e32 v102, v98, v159
	v_fma_f32 v70, v87, v148, -v70
	v_add_f32_e32 v105, v101, v102
	ds_read2_b64 v[101:104], v68 offset0:53 offset1:54
	v_add_f32_e32 v69, v69, v70
	v_mul_f32_e32 v70, v90, v149
	v_fma_f32 v70, v89, v150, -v70
	s_waitcnt vmcnt(29)
	v_mul_f32_e32 v106, v99, v161
	v_add_f32_e32 v69, v69, v70
	v_mul_f32_e32 v70, v92, v151
	s_waitcnt vmcnt(28)
	v_fmac_f32_e32 v106, v100, v162
	v_fma_f32 v70, v91, v152, -v70
	v_add_f32_e32 v109, v105, v106
	ds_read2_b64 v[105:108], v68 offset0:55 offset1:56
	v_add_f32_e32 v69, v69, v70
	v_mul_f32_e32 v70, v94, v155
	s_waitcnt vmcnt(26) lgkmcnt(1)
	v_mul_f32_e32 v110, v101, v164
	v_fma_f32 v70, v93, v156, -v70
	v_fmac_f32_e32 v110, v102, v163
	v_add_f32_e32 v69, v69, v70
	v_mul_f32_e32 v70, v96, v158
	v_add_f32_e32 v109, v109, v110
	s_waitcnt vmcnt(24)
	v_mul_f32_e32 v110, v103, v166
	v_fma_f32 v70, v95, v157, -v70
	v_fmac_f32_e32 v110, v104, v165
	v_add_f32_e32 v69, v69, v70
	v_mul_f32_e32 v70, v98, v160
	v_add_f32_e32 v109, v109, v110
	s_waitcnt vmcnt(22) lgkmcnt(0)
	v_mul_f32_e32 v110, v105, v168
	v_fma_f32 v70, v97, v159, -v70
	v_fmac_f32_e32 v110, v106, v167
	v_add_f32_e32 v69, v69, v70
	v_mul_f32_e32 v70, v100, v161
	v_add_f32_e32 v113, v109, v110
	ds_read2_b64 v[109:112], v68 offset0:57 offset1:58
	v_fma_f32 v70, v99, v162, -v70
	v_add_f32_e32 v69, v69, v70
	v_mul_f32_e32 v70, v102, v164
	s_waitcnt vmcnt(20)
	v_mul_f32_e32 v114, v107, v170
	v_fma_f32 v70, v101, v163, -v70
	v_fmac_f32_e32 v114, v108, v169
	v_add_f32_e32 v69, v69, v70
	v_mul_f32_e32 v70, v104, v166
	v_add_f32_e32 v117, v113, v114
	ds_read2_b64 v[113:116], v68 offset0:59 offset1:60
	v_fma_f32 v70, v103, v165, -v70
	s_waitcnt vmcnt(18) lgkmcnt(1)
	v_mul_f32_e32 v118, v109, v172
	v_add_f32_e32 v69, v69, v70
	v_mul_f32_e32 v70, v106, v168
	v_fmac_f32_e32 v118, v110, v171
	v_fma_f32 v70, v105, v167, -v70
	v_add_f32_e32 v117, v117, v118
	s_waitcnt vmcnt(16)
	v_mul_f32_e32 v118, v111, v174
	v_add_f32_e32 v69, v69, v70
	v_mul_f32_e32 v70, v108, v170
	v_fmac_f32_e32 v118, v112, v173
	v_fma_f32 v70, v107, v169, -v70
	v_add_f32_e32 v117, v117, v118
	s_waitcnt vmcnt(14) lgkmcnt(0)
	v_mul_f32_e32 v118, v113, v176
	v_add_f32_e32 v69, v69, v70
	v_mul_f32_e32 v70, v110, v172
	v_fmac_f32_e32 v118, v114, v175
	v_fma_f32 v70, v109, v171, -v70
	v_add_f32_e32 v121, v117, v118
	ds_read2_b64 v[117:120], v68 offset0:61 offset1:62
	v_add_f32_e32 v69, v69, v70
	v_mul_f32_e32 v70, v112, v174
	v_fma_f32 v70, v111, v173, -v70
	v_add_f32_e32 v69, v69, v70
	v_mul_f32_e32 v70, v114, v176
	s_waitcnt vmcnt(12)
	v_mul_f32_e32 v122, v115, v178
	v_fma_f32 v70, v113, v175, -v70
	v_fmac_f32_e32 v122, v116, v177
	v_add_f32_e32 v69, v69, v70
	v_mul_f32_e32 v70, v116, v178
	v_add_f32_e32 v125, v121, v122
	ds_read2_b64 v[121:124], v68 offset0:63 offset1:64
	s_waitcnt vmcnt(10) lgkmcnt(1)
	v_mul_f32_e32 v126, v117, v180
	v_fma_f32 v70, v115, v177, -v70
	v_fmac_f32_e32 v126, v118, v179
	v_add_f32_e32 v69, v69, v70
	v_mul_f32_e32 v70, v118, v180
	v_add_f32_e32 v125, v125, v126
	s_waitcnt vmcnt(8)
	v_mul_f32_e32 v126, v119, v182
	v_fma_f32 v70, v117, v179, -v70
	v_fmac_f32_e32 v126, v120, v181
	v_add_f32_e32 v69, v69, v70
	v_mul_f32_e32 v70, v120, v182
	v_add_f32_e32 v191, v125, v126
	ds_read2_b64 v[125:128], v68 offset0:65 offset1:66
	v_fma_f32 v70, v119, v181, -v70
	v_add_f32_e32 v69, v69, v70
	s_waitcnt vmcnt(6) lgkmcnt(1)
	v_mul_f32_e32 v70, v122, v184
	v_mul_f32_e32 v192, v121, v184
	v_fma_f32 v70, v121, v183, -v70
	v_fmac_f32_e32 v192, v122, v183
	v_add_f32_e32 v69, v69, v70
	s_waitcnt vmcnt(4)
	v_mul_f32_e32 v70, v124, v186
	v_add_f32_e32 v68, v191, v192
	v_mul_f32_e32 v191, v123, v186
	v_fma_f32 v70, v123, v185, -v70
	v_fmac_f32_e32 v191, v124, v185
	v_add_f32_e32 v69, v69, v70
	s_waitcnt vmcnt(2) lgkmcnt(0)
	v_mul_f32_e32 v70, v126, v188
	v_add_f32_e32 v68, v68, v191
	v_mul_f32_e32 v191, v125, v188
	v_fma_f32 v70, v125, v187, -v70
	v_fmac_f32_e32 v191, v126, v187
	v_add_f32_e32 v69, v69, v70
	s_waitcnt vmcnt(0)
	v_mul_f32_e32 v70, v128, v190
	v_add_f32_e32 v68, v68, v191
	v_mul_f32_e32 v191, v127, v190
	v_fma_f32 v70, v127, v189, -v70
	v_fmac_f32_e32 v191, v128, v189
	v_add_f32_e32 v69, v69, v70
	v_add_f32_e32 v68, v68, v191
	v_sub_f32_e32 v69, v153, v69
	v_sub_f32_e32 v68, v154, v68
	buffer_store_dword v69, off, s[0:3], 0 offset:16
	buffer_store_dword v68, off, s[0:3], 0 offset:20
	s_and_saveexec_b64 s[4:5], vcc
	s_cbranch_execz .LBB96_209
; %bb.208:
	buffer_load_dword v68, off, s[0:3], 0 offset:8
	buffer_load_dword v69, off, s[0:3], 0 offset:12
	v_mov_b32_e32 v70, 0
	buffer_store_dword v70, off, s[0:3], 0 offset:8
	buffer_store_dword v70, off, s[0:3], 0 offset:12
	s_waitcnt vmcnt(2)
	ds_write_b64 v67, v[68:69]
.LBB96_209:
	s_or_b64 exec, exec, s[4:5]
	s_waitcnt lgkmcnt(0)
	; wave barrier
	buffer_load_dword v131, off, s[0:3], 0 offset:20
	buffer_load_dword v132, off, s[0:3], 0 offset:28
	;; [unrolled: 1-line block ×56, first 2 shown]
	v_mov_b32_e32 v68, 0
	ds_read_b128 v[69:72], v68 offset:288
	buffer_load_dword v187, off, s[0:3], 0 offset:232
	buffer_load_dword v188, off, s[0:3], 0 offset:236
	;; [unrolled: 1-line block ×4, first 2 shown]
	ds_read_b128 v[73:76], v68 offset:304
	ds_read_b128 v[77:80], v68 offset:320
	;; [unrolled: 1-line block ×3, first 2 shown]
	v_cmp_ne_u32_e32 vcc, 0, v0
	s_waitcnt vmcnt(59) lgkmcnt(3)
	v_mul_f32_e32 v85, v69, v131
	s_waitcnt vmcnt(58)
	v_mul_f32_e32 v86, v71, v132
	s_waitcnt vmcnt(57) lgkmcnt(2)
	v_mul_f32_e32 v87, v73, v133
	s_waitcnt vmcnt(56)
	v_mul_f32_e32 v88, v75, v134
	;; [unrolled: 4-line block ×4, first 2 shown]
	s_waitcnt vmcnt(51)
	v_fmac_f32_e32 v85, v70, v139
	s_waitcnt vmcnt(50)
	v_fmac_f32_e32 v86, v72, v140
	v_add_f32_e32 v85, 0, v85
	s_waitcnt vmcnt(49)
	v_fmac_f32_e32 v87, v74, v141
	v_add_f32_e32 v85, v85, v86
	;; [unrolled: 3-line block ×6, first 2 shown]
	v_add_f32_e32 v89, v85, v91
	ds_read_b128 v[85:88], v68 offset:352
	buffer_load_dword v191, off, s[0:3], 0 offset:252
	buffer_load_dword v192, off, s[0:3], 0 offset:248
	;; [unrolled: 1-line block ×4, first 2 shown]
	s_waitcnt vmcnt(48)
	v_fmac_f32_e32 v92, v84, v146
	v_add_f32_e32 v93, v89, v92
	ds_read_b128 v[89:92], v68 offset:368
	s_waitcnt vmcnt(47) lgkmcnt(1)
	v_mul_f32_e32 v94, v85, v147
	v_mul_f32_e32 v70, v70, v131
	s_waitcnt vmcnt(46)
	v_fmac_f32_e32 v94, v86, v148
	v_fma_f32 v69, v69, v139, -v70
	v_mul_f32_e32 v70, v72, v132
	v_add_f32_e32 v93, v93, v94
	s_waitcnt vmcnt(45)
	v_mul_f32_e32 v94, v87, v149
	v_add_f32_e32 v69, 0, v69
	v_fma_f32 v70, v71, v140, -v70
	s_waitcnt vmcnt(44)
	v_fmac_f32_e32 v94, v88, v150
	v_add_f32_e32 v69, v69, v70
	v_mul_f32_e32 v70, v74, v133
	v_add_f32_e32 v93, v93, v94
	s_waitcnt vmcnt(42) lgkmcnt(0)
	v_mul_f32_e32 v94, v89, v152
	v_fma_f32 v70, v73, v141, -v70
	v_fmac_f32_e32 v94, v90, v151
	v_add_f32_e32 v69, v69, v70
	v_mul_f32_e32 v70, v76, v134
	v_add_f32_e32 v97, v93, v94
	ds_read_b128 v[93:96], v68 offset:384
	v_fma_f32 v70, v75, v142, -v70
	v_add_f32_e32 v69, v69, v70
	v_mul_f32_e32 v70, v78, v135
	s_waitcnt vmcnt(39)
	v_mul_f32_e32 v98, v91, v155
	v_fma_f32 v70, v77, v143, -v70
	s_waitcnt vmcnt(38)
	v_fmac_f32_e32 v98, v92, v156
	v_add_f32_e32 v69, v69, v70
	v_mul_f32_e32 v70, v80, v136
	v_add_f32_e32 v101, v97, v98
	ds_read_b128 v[97:100], v68 offset:400
	v_fma_f32 v70, v79, v144, -v70
	s_waitcnt vmcnt(36) lgkmcnt(1)
	v_mul_f32_e32 v102, v93, v158
	v_add_f32_e32 v69, v69, v70
	v_mul_f32_e32 v70, v82, v137
	v_fmac_f32_e32 v102, v94, v157
	v_fma_f32 v70, v81, v145, -v70
	v_add_f32_e32 v101, v101, v102
	s_waitcnt vmcnt(34)
	v_mul_f32_e32 v102, v95, v160
	v_add_f32_e32 v69, v69, v70
	v_mul_f32_e32 v70, v84, v138
	v_fmac_f32_e32 v102, v96, v159
	v_fma_f32 v70, v83, v146, -v70
	v_add_f32_e32 v101, v101, v102
	s_waitcnt vmcnt(32) lgkmcnt(0)
	v_mul_f32_e32 v102, v97, v162
	v_add_f32_e32 v69, v69, v70
	v_mul_f32_e32 v70, v86, v147
	v_fmac_f32_e32 v102, v98, v161
	v_fma_f32 v70, v85, v148, -v70
	v_add_f32_e32 v105, v101, v102
	ds_read_b128 v[101:104], v68 offset:416
	v_add_f32_e32 v69, v69, v70
	v_mul_f32_e32 v70, v88, v149
	v_fma_f32 v70, v87, v150, -v70
	s_waitcnt vmcnt(30)
	v_mul_f32_e32 v106, v99, v164
	v_add_f32_e32 v69, v69, v70
	v_mul_f32_e32 v70, v90, v152
	v_fmac_f32_e32 v106, v100, v163
	v_fma_f32 v70, v89, v151, -v70
	v_add_f32_e32 v109, v105, v106
	ds_read_b128 v[105:108], v68 offset:432
	v_add_f32_e32 v69, v69, v70
	v_mul_f32_e32 v70, v92, v155
	s_waitcnt vmcnt(28) lgkmcnt(1)
	v_mul_f32_e32 v110, v101, v166
	v_fma_f32 v70, v91, v156, -v70
	v_fmac_f32_e32 v110, v102, v165
	v_add_f32_e32 v69, v69, v70
	v_mul_f32_e32 v70, v94, v158
	v_add_f32_e32 v109, v109, v110
	s_waitcnt vmcnt(26)
	v_mul_f32_e32 v110, v103, v168
	v_fma_f32 v70, v93, v157, -v70
	v_fmac_f32_e32 v110, v104, v167
	v_add_f32_e32 v69, v69, v70
	v_mul_f32_e32 v70, v96, v160
	v_add_f32_e32 v109, v109, v110
	s_waitcnt vmcnt(24) lgkmcnt(0)
	v_mul_f32_e32 v110, v105, v170
	v_fma_f32 v70, v95, v159, -v70
	v_fmac_f32_e32 v110, v106, v169
	v_add_f32_e32 v69, v69, v70
	v_mul_f32_e32 v70, v98, v162
	v_add_f32_e32 v113, v109, v110
	ds_read_b128 v[109:112], v68 offset:448
	v_fma_f32 v70, v97, v161, -v70
	v_add_f32_e32 v69, v69, v70
	v_mul_f32_e32 v70, v100, v164
	s_waitcnt vmcnt(22)
	v_mul_f32_e32 v114, v107, v172
	v_fma_f32 v70, v99, v163, -v70
	v_fmac_f32_e32 v114, v108, v171
	v_add_f32_e32 v69, v69, v70
	v_mul_f32_e32 v70, v102, v166
	v_add_f32_e32 v117, v113, v114
	ds_read_b128 v[113:116], v68 offset:464
	v_fma_f32 v70, v101, v165, -v70
	s_waitcnt vmcnt(20) lgkmcnt(1)
	v_mul_f32_e32 v118, v109, v174
	v_add_f32_e32 v69, v69, v70
	v_mul_f32_e32 v70, v104, v168
	v_fmac_f32_e32 v118, v110, v173
	v_fma_f32 v70, v103, v167, -v70
	v_add_f32_e32 v117, v117, v118
	s_waitcnt vmcnt(18)
	v_mul_f32_e32 v118, v111, v176
	v_add_f32_e32 v69, v69, v70
	v_mul_f32_e32 v70, v106, v170
	v_fmac_f32_e32 v118, v112, v175
	v_fma_f32 v70, v105, v169, -v70
	v_add_f32_e32 v117, v117, v118
	s_waitcnt vmcnt(16) lgkmcnt(0)
	v_mul_f32_e32 v118, v113, v178
	v_add_f32_e32 v69, v69, v70
	v_mul_f32_e32 v70, v108, v172
	v_fmac_f32_e32 v118, v114, v177
	v_fma_f32 v70, v107, v171, -v70
	v_add_f32_e32 v121, v117, v118
	ds_read_b128 v[117:120], v68 offset:480
	v_add_f32_e32 v69, v69, v70
	v_mul_f32_e32 v70, v110, v174
	v_fma_f32 v70, v109, v173, -v70
	s_waitcnt vmcnt(14)
	v_mul_f32_e32 v122, v115, v180
	v_add_f32_e32 v69, v69, v70
	v_mul_f32_e32 v70, v112, v176
	v_fmac_f32_e32 v122, v116, v179
	v_fma_f32 v70, v111, v175, -v70
	v_add_f32_e32 v125, v121, v122
	ds_read_b128 v[121:124], v68 offset:496
	v_add_f32_e32 v69, v69, v70
	v_mul_f32_e32 v70, v114, v178
	s_waitcnt vmcnt(12) lgkmcnt(1)
	v_mul_f32_e32 v126, v117, v182
	v_fma_f32 v70, v113, v177, -v70
	v_fmac_f32_e32 v126, v118, v181
	v_add_f32_e32 v69, v69, v70
	v_mul_f32_e32 v70, v116, v180
	v_add_f32_e32 v125, v125, v126
	s_waitcnt vmcnt(10)
	v_mul_f32_e32 v126, v119, v184
	v_fma_f32 v70, v115, v179, -v70
	v_fmac_f32_e32 v126, v120, v183
	v_add_f32_e32 v69, v69, v70
	v_mul_f32_e32 v70, v118, v182
	v_add_f32_e32 v125, v125, v126
	s_waitcnt vmcnt(8) lgkmcnt(0)
	v_mul_f32_e32 v126, v121, v186
	v_fma_f32 v70, v117, v181, -v70
	v_fmac_f32_e32 v126, v122, v185
	v_add_f32_e32 v69, v69, v70
	v_mul_f32_e32 v70, v120, v184
	v_add_f32_e32 v129, v125, v126
	ds_read_b128 v[125:128], v68 offset:512
	v_fma_f32 v70, v119, v183, -v70
	v_add_f32_e32 v69, v69, v70
	v_mul_f32_e32 v70, v122, v186
	s_waitcnt vmcnt(6)
	v_mul_f32_e32 v130, v123, v188
	v_fma_f32 v70, v121, v185, -v70
	v_fmac_f32_e32 v130, v124, v187
	v_add_f32_e32 v69, v69, v70
	v_mul_f32_e32 v70, v124, v188
	v_add_f32_e32 v195, v129, v130
	ds_read_b64 v[129:130], v68 offset:528
	v_fma_f32 v70, v123, v187, -v70
	v_add_f32_e32 v69, v69, v70
	s_waitcnt vmcnt(4) lgkmcnt(1)
	v_mul_f32_e32 v70, v126, v190
	v_mul_f32_e32 v196, v125, v190
	v_fma_f32 v70, v125, v189, -v70
	v_fmac_f32_e32 v196, v126, v189
	v_add_f32_e32 v69, v69, v70
	s_waitcnt vmcnt(3)
	v_mul_f32_e32 v70, v128, v191
	v_add_f32_e32 v195, v195, v196
	v_mul_f32_e32 v196, v127, v191
	s_waitcnt vmcnt(2)
	v_fma_f32 v70, v127, v192, -v70
	v_fmac_f32_e32 v196, v128, v192
	v_add_f32_e32 v69, v69, v70
	s_waitcnt vmcnt(0) lgkmcnt(0)
	v_mul_f32_e32 v70, v130, v194
	v_add_f32_e32 v195, v195, v196
	v_mul_f32_e32 v196, v129, v194
	v_fma_f32 v70, v129, v193, -v70
	v_fmac_f32_e32 v196, v130, v193
	v_add_f32_e32 v69, v69, v70
	v_add_f32_e32 v195, v195, v196
	v_sub_f32_e32 v69, v153, v69
	v_sub_f32_e32 v70, v154, v195
	buffer_store_dword v69, off, s[0:3], 0 offset:8
	buffer_store_dword v70, off, s[0:3], 0 offset:12
	s_and_saveexec_b64 s[4:5], vcc
	s_cbranch_execz .LBB96_211
; %bb.210:
	buffer_load_dword v69, off, s[0:3], 0
	buffer_load_dword v70, off, s[0:3], 0 offset:4
	s_waitcnt vmcnt(0)
	ds_write_b64 v67, v[69:70]
	buffer_store_dword v68, off, s[0:3], 0
	buffer_store_dword v68, off, s[0:3], 0 offset:4
.LBB96_211:
	s_or_b64 exec, exec, s[4:5]
	s_waitcnt lgkmcnt(0)
	; wave barrier
	buffer_load_dword v0, off, s[0:3], 0 offset:12
	buffer_load_dword v67, off, s[0:3], 0 offset:20
	;; [unrolled: 1-line block ×20, first 2 shown]
	buffer_load_dword v151, off, s[0:3], 0
	buffer_load_dword v152, off, s[0:3], 0 offset:4
	buffer_load_dword v153, off, s[0:3], 0 offset:92
	;; [unrolled: 1-line block ×5, first 2 shown]
	ds_read2_b64 v[69:72], v68 offset0:35 offset1:36
	ds_read2_b64 v[73:76], v68 offset0:37 offset1:38
	;; [unrolled: 1-line block ×4, first 2 shown]
	buffer_load_dword v157, off, s[0:3], 0 offset:108
	buffer_load_dword v158, off, s[0:3], 0 offset:104
	;; [unrolled: 1-line block ×34, first 2 shown]
	s_and_b64 vcc, exec, s[14:15]
	s_waitcnt vmcnt(59) lgkmcnt(3)
	v_mul_f32_e32 v85, v69, v0
	s_waitcnt vmcnt(58)
	v_mul_f32_e32 v86, v71, v67
	s_waitcnt vmcnt(57) lgkmcnt(2)
	v_mul_f32_e32 v87, v73, v133
	s_waitcnt vmcnt(56)
	v_mul_f32_e32 v88, v75, v134
	;; [unrolled: 4-line block ×4, first 2 shown]
	s_waitcnt vmcnt(51)
	v_fmac_f32_e32 v85, v70, v139
	s_waitcnt vmcnt(50)
	v_fmac_f32_e32 v86, v72, v140
	v_add_f32_e32 v85, 0, v85
	s_waitcnt vmcnt(49)
	v_fmac_f32_e32 v87, v74, v141
	v_add_f32_e32 v85, v85, v86
	;; [unrolled: 3-line block ×7, first 2 shown]
	v_add_f32_e32 v93, v85, v92
	ds_read2_b64 v[85:88], v68 offset0:43 offset1:44
	buffer_load_dword v191, off, s[0:3], 0 offset:244
	buffer_load_dword v192, off, s[0:3], 0 offset:240
	;; [unrolled: 1-line block ×4, first 2 shown]
	ds_read2_b64 v[89:92], v68 offset0:45 offset1:46
	buffer_load_dword v195, off, s[0:3], 0 offset:256
	buffer_load_dword v196, off, s[0:3], 0 offset:260
	v_mul_f32_e32 v0, v70, v0
	s_waitcnt vmcnt(49) lgkmcnt(1)
	v_mul_f32_e32 v94, v85, v147
	s_waitcnt vmcnt(48)
	v_fmac_f32_e32 v94, v86, v148
	v_fma_f32 v0, v69, v139, -v0
	v_mul_f32_e32 v67, v72, v67
	v_add_f32_e32 v93, v93, v94
	s_waitcnt vmcnt(46)
	v_mul_f32_e32 v94, v87, v150
	v_add_f32_e32 v0, 0, v0
	v_fma_f32 v67, v71, v140, -v67
	v_fmac_f32_e32 v94, v88, v149
	v_add_f32_e32 v0, v0, v67
	v_mul_f32_e32 v67, v74, v133
	v_add_f32_e32 v93, v93, v94
	s_waitcnt vmcnt(43) lgkmcnt(0)
	v_mul_f32_e32 v94, v89, v153
	v_fma_f32 v67, v73, v141, -v67
	s_waitcnt vmcnt(42)
	v_fmac_f32_e32 v94, v90, v154
	v_add_f32_e32 v0, v0, v67
	v_mul_f32_e32 v67, v76, v134
	v_add_f32_e32 v97, v93, v94
	ds_read2_b64 v[93:96], v68 offset0:47 offset1:48
	v_fma_f32 v67, v75, v142, -v67
	v_add_f32_e32 v0, v0, v67
	v_mul_f32_e32 v67, v78, v135
	s_waitcnt vmcnt(40)
	v_mul_f32_e32 v98, v91, v156
	v_fma_f32 v67, v77, v143, -v67
	v_fmac_f32_e32 v98, v92, v155
	v_add_f32_e32 v0, v0, v67
	v_mul_f32_e32 v67, v80, v136
	v_add_f32_e32 v101, v97, v98
	ds_read2_b64 v[97:100], v68 offset0:49 offset1:50
	v_fma_f32 v67, v79, v144, -v67
	s_waitcnt vmcnt(39) lgkmcnt(1)
	v_mul_f32_e32 v102, v93, v157
	v_add_f32_e32 v0, v0, v67
	v_mul_f32_e32 v67, v82, v137
	s_waitcnt vmcnt(38)
	v_fmac_f32_e32 v102, v94, v158
	v_fma_f32 v67, v81, v145, -v67
	v_add_f32_e32 v101, v101, v102
	s_waitcnt vmcnt(36)
	v_mul_f32_e32 v102, v95, v160
	v_add_f32_e32 v0, v0, v67
	v_mul_f32_e32 v67, v84, v138
	v_fmac_f32_e32 v102, v96, v159
	v_fma_f32 v67, v83, v146, -v67
	v_add_f32_e32 v101, v101, v102
	s_waitcnt vmcnt(34) lgkmcnt(0)
	v_mul_f32_e32 v102, v97, v162
	v_add_f32_e32 v0, v0, v67
	v_mul_f32_e32 v67, v86, v147
	v_fmac_f32_e32 v102, v98, v161
	v_fma_f32 v67, v85, v148, -v67
	v_add_f32_e32 v105, v101, v102
	ds_read2_b64 v[101:104], v68 offset0:51 offset1:52
	v_add_f32_e32 v0, v0, v67
	v_mul_f32_e32 v67, v88, v150
	v_fma_f32 v67, v87, v149, -v67
	s_waitcnt vmcnt(32)
	v_mul_f32_e32 v106, v99, v164
	v_add_f32_e32 v0, v0, v67
	v_mul_f32_e32 v67, v90, v153
	v_fmac_f32_e32 v106, v100, v163
	v_fma_f32 v67, v89, v154, -v67
	v_add_f32_e32 v109, v105, v106
	ds_read2_b64 v[105:108], v68 offset0:53 offset1:54
	v_add_f32_e32 v0, v0, v67
	v_mul_f32_e32 v67, v92, v156
	s_waitcnt vmcnt(30) lgkmcnt(1)
	v_mul_f32_e32 v110, v101, v166
	v_fma_f32 v67, v91, v155, -v67
	v_fmac_f32_e32 v110, v102, v165
	v_add_f32_e32 v0, v0, v67
	v_mul_f32_e32 v67, v94, v157
	v_add_f32_e32 v109, v109, v110
	s_waitcnt vmcnt(28)
	v_mul_f32_e32 v110, v103, v168
	v_fma_f32 v67, v93, v158, -v67
	v_fmac_f32_e32 v110, v104, v167
	v_add_f32_e32 v0, v0, v67
	v_mul_f32_e32 v67, v96, v160
	v_add_f32_e32 v109, v109, v110
	s_waitcnt vmcnt(26) lgkmcnt(0)
	v_mul_f32_e32 v110, v105, v170
	v_fma_f32 v67, v95, v159, -v67
	v_fmac_f32_e32 v110, v106, v169
	v_add_f32_e32 v0, v0, v67
	v_mul_f32_e32 v67, v98, v162
	v_add_f32_e32 v113, v109, v110
	ds_read2_b64 v[109:112], v68 offset0:55 offset1:56
	v_fma_f32 v67, v97, v161, -v67
	v_add_f32_e32 v0, v0, v67
	v_mul_f32_e32 v67, v100, v164
	s_waitcnt vmcnt(24)
	v_mul_f32_e32 v114, v107, v172
	v_fma_f32 v67, v99, v163, -v67
	v_fmac_f32_e32 v114, v108, v171
	v_add_f32_e32 v0, v0, v67
	v_mul_f32_e32 v67, v102, v166
	v_add_f32_e32 v117, v113, v114
	ds_read2_b64 v[113:116], v68 offset0:57 offset1:58
	v_fma_f32 v67, v101, v165, -v67
	s_waitcnt vmcnt(22) lgkmcnt(1)
	v_mul_f32_e32 v118, v109, v174
	v_add_f32_e32 v0, v0, v67
	v_mul_f32_e32 v67, v104, v168
	v_fmac_f32_e32 v118, v110, v173
	v_fma_f32 v67, v103, v167, -v67
	v_add_f32_e32 v117, v117, v118
	s_waitcnt vmcnt(20)
	v_mul_f32_e32 v118, v111, v176
	v_add_f32_e32 v0, v0, v67
	v_mul_f32_e32 v67, v106, v170
	v_fmac_f32_e32 v118, v112, v175
	v_fma_f32 v67, v105, v169, -v67
	v_add_f32_e32 v117, v117, v118
	s_waitcnt vmcnt(18) lgkmcnt(0)
	v_mul_f32_e32 v118, v113, v178
	v_add_f32_e32 v0, v0, v67
	v_mul_f32_e32 v67, v108, v172
	v_fmac_f32_e32 v118, v114, v177
	v_fma_f32 v67, v107, v171, -v67
	v_add_f32_e32 v121, v117, v118
	ds_read2_b64 v[117:120], v68 offset0:59 offset1:60
	v_add_f32_e32 v0, v0, v67
	v_mul_f32_e32 v67, v110, v174
	v_fma_f32 v67, v109, v173, -v67
	s_waitcnt vmcnt(16)
	v_mul_f32_e32 v122, v115, v180
	v_add_f32_e32 v0, v0, v67
	v_mul_f32_e32 v67, v112, v176
	v_fmac_f32_e32 v122, v116, v179
	v_fma_f32 v67, v111, v175, -v67
	v_add_f32_e32 v125, v121, v122
	ds_read2_b64 v[121:124], v68 offset0:61 offset1:62
	v_add_f32_e32 v0, v0, v67
	v_mul_f32_e32 v67, v114, v178
	s_waitcnt vmcnt(14) lgkmcnt(1)
	v_mul_f32_e32 v126, v117, v182
	v_fma_f32 v67, v113, v177, -v67
	v_fmac_f32_e32 v126, v118, v181
	v_add_f32_e32 v0, v0, v67
	v_mul_f32_e32 v67, v116, v180
	v_add_f32_e32 v125, v125, v126
	s_waitcnt vmcnt(12)
	v_mul_f32_e32 v126, v119, v184
	v_fma_f32 v67, v115, v179, -v67
	v_fmac_f32_e32 v126, v120, v183
	v_add_f32_e32 v0, v0, v67
	v_mul_f32_e32 v67, v118, v182
	v_add_f32_e32 v125, v125, v126
	s_waitcnt vmcnt(10) lgkmcnt(0)
	v_mul_f32_e32 v126, v121, v186
	v_fma_f32 v67, v117, v181, -v67
	v_fmac_f32_e32 v126, v122, v185
	v_add_f32_e32 v0, v0, v67
	v_mul_f32_e32 v67, v120, v184
	v_add_f32_e32 v129, v125, v126
	ds_read2_b64 v[125:128], v68 offset0:63 offset1:64
	v_fma_f32 v67, v119, v183, -v67
	v_add_f32_e32 v0, v0, v67
	v_mul_f32_e32 v67, v122, v186
	s_waitcnt vmcnt(8)
	v_mul_f32_e32 v130, v123, v188
	v_fma_f32 v67, v121, v185, -v67
	v_fmac_f32_e32 v130, v124, v187
	v_add_f32_e32 v0, v0, v67
	v_mul_f32_e32 v67, v124, v188
	v_add_f32_e32 v197, v129, v130
	ds_read2_b64 v[129:132], v68 offset0:65 offset1:66
	v_fma_f32 v67, v123, v187, -v67
	v_add_f32_e32 v0, v0, v67
	s_waitcnt vmcnt(6) lgkmcnt(1)
	v_mul_f32_e32 v67, v126, v190
	v_mul_f32_e32 v68, v125, v190
	v_fma_f32 v67, v125, v189, -v67
	v_fmac_f32_e32 v68, v126, v189
	v_add_f32_e32 v0, v0, v67
	s_waitcnt vmcnt(5)
	v_mul_f32_e32 v67, v128, v191
	v_add_f32_e32 v68, v197, v68
	v_mul_f32_e32 v197, v127, v191
	s_waitcnt vmcnt(4)
	v_fma_f32 v67, v127, v192, -v67
	v_fmac_f32_e32 v197, v128, v192
	v_add_f32_e32 v0, v0, v67
	s_waitcnt vmcnt(2) lgkmcnt(0)
	v_mul_f32_e32 v67, v130, v194
	v_add_f32_e32 v68, v68, v197
	v_mul_f32_e32 v197, v129, v194
	v_fma_f32 v67, v129, v193, -v67
	v_fmac_f32_e32 v197, v130, v193
	v_add_f32_e32 v0, v0, v67
	s_waitcnt vmcnt(0)
	v_mul_f32_e32 v67, v132, v196
	v_add_f32_e32 v68, v68, v197
	v_mul_f32_e32 v197, v131, v196
	v_fma_f32 v67, v131, v195, -v67
	v_fmac_f32_e32 v197, v132, v195
	v_add_f32_e32 v0, v0, v67
	v_add_f32_e32 v68, v68, v197
	v_sub_f32_e32 v0, v151, v0
	v_sub_f32_e32 v67, v152, v68
	buffer_store_dword v0, off, s[0:3], 0
	buffer_store_dword v67, off, s[0:3], 0 offset:4
	s_cbranch_vccz .LBB96_276
; %bb.212:
	v_mov_b32_e32 v0, 0
	global_load_dword v67, v0, s[12:13] offset:124
	s_waitcnt vmcnt(0)
	v_add_u32_e32 v67, -1, v67
	v_cmp_ne_u32_e32 vcc, 31, v67
	s_cbranch_vccz .LBB96_214
; %bb.213:
	v_lshlrev_b32_e32 v67, 3, v67
	buffer_load_dword v68, v67, s[0:3], 0 offen
	buffer_load_dword v69, v67, s[0:3], 0 offen offset:4
	buffer_load_dword v70, off, s[0:3], 0 offset:248
	buffer_load_dword v71, off, s[0:3], 0 offset:252
	s_waitcnt vmcnt(3)
	buffer_store_dword v68, off, s[0:3], 0 offset:248
	s_waitcnt vmcnt(3)
	buffer_store_dword v69, off, s[0:3], 0 offset:252
	s_waitcnt vmcnt(3)
	buffer_store_dword v70, v67, s[0:3], 0 offen
	s_waitcnt vmcnt(3)
	buffer_store_dword v71, v67, s[0:3], 0 offen offset:4
.LBB96_214:
	global_load_dword v0, v0, s[12:13] offset:120
	s_waitcnt vmcnt(0)
	v_add_u32_e32 v0, -1, v0
	v_cmp_eq_u32_e32 vcc, 30, v0
	s_cbranch_vccnz .LBB96_216
; %bb.215:
	v_lshlrev_b32_e32 v0, 3, v0
	buffer_load_dword v67, v0, s[0:3], 0 offen
	buffer_load_dword v68, v0, s[0:3], 0 offen offset:4
	buffer_load_dword v69, off, s[0:3], 0 offset:244
	buffer_load_dword v70, off, s[0:3], 0 offset:240
	s_waitcnt vmcnt(3)
	buffer_store_dword v67, off, s[0:3], 0 offset:240
	s_waitcnt vmcnt(3)
	buffer_store_dword v68, off, s[0:3], 0 offset:244
	s_waitcnt vmcnt(3)
	buffer_store_dword v69, v0, s[0:3], 0 offen offset:4
	s_waitcnt vmcnt(3)
	buffer_store_dword v70, v0, s[0:3], 0 offen
.LBB96_216:
	v_mov_b32_e32 v0, 0
	global_load_dword v67, v0, s[12:13] offset:116
	s_waitcnt vmcnt(0)
	v_add_u32_e32 v67, -1, v67
	v_cmp_eq_u32_e32 vcc, 29, v67
	s_cbranch_vccnz .LBB96_218
; %bb.217:
	v_lshlrev_b32_e32 v67, 3, v67
	buffer_load_dword v68, v67, s[0:3], 0 offen
	buffer_load_dword v69, v67, s[0:3], 0 offen offset:4
	buffer_load_dword v70, off, s[0:3], 0 offset:232
	buffer_load_dword v71, off, s[0:3], 0 offset:236
	s_waitcnt vmcnt(3)
	buffer_store_dword v68, off, s[0:3], 0 offset:232
	s_waitcnt vmcnt(3)
	buffer_store_dword v69, off, s[0:3], 0 offset:236
	s_waitcnt vmcnt(3)
	buffer_store_dword v70, v67, s[0:3], 0 offen
	s_waitcnt vmcnt(3)
	buffer_store_dword v71, v67, s[0:3], 0 offen offset:4
.LBB96_218:
	global_load_dword v0, v0, s[12:13] offset:112
	s_waitcnt vmcnt(0)
	v_add_u32_e32 v0, -1, v0
	v_cmp_eq_u32_e32 vcc, 28, v0
	s_cbranch_vccnz .LBB96_220
; %bb.219:
	v_lshlrev_b32_e32 v0, 3, v0
	buffer_load_dword v67, v0, s[0:3], 0 offen
	buffer_load_dword v68, v0, s[0:3], 0 offen offset:4
	buffer_load_dword v69, off, s[0:3], 0 offset:228
	buffer_load_dword v70, off, s[0:3], 0 offset:224
	s_waitcnt vmcnt(3)
	buffer_store_dword v67, off, s[0:3], 0 offset:224
	s_waitcnt vmcnt(3)
	buffer_store_dword v68, off, s[0:3], 0 offset:228
	s_waitcnt vmcnt(3)
	buffer_store_dword v69, v0, s[0:3], 0 offen offset:4
	s_waitcnt vmcnt(3)
	buffer_store_dword v70, v0, s[0:3], 0 offen
.LBB96_220:
	v_mov_b32_e32 v0, 0
	global_load_dword v67, v0, s[12:13] offset:108
	s_waitcnt vmcnt(0)
	v_add_u32_e32 v67, -1, v67
	v_cmp_eq_u32_e32 vcc, 27, v67
	s_cbranch_vccnz .LBB96_222
; %bb.221:
	v_lshlrev_b32_e32 v67, 3, v67
	buffer_load_dword v68, v67, s[0:3], 0 offen
	buffer_load_dword v69, v67, s[0:3], 0 offen offset:4
	buffer_load_dword v70, off, s[0:3], 0 offset:216
	buffer_load_dword v71, off, s[0:3], 0 offset:220
	s_waitcnt vmcnt(3)
	buffer_store_dword v68, off, s[0:3], 0 offset:216
	s_waitcnt vmcnt(3)
	buffer_store_dword v69, off, s[0:3], 0 offset:220
	s_waitcnt vmcnt(3)
	buffer_store_dword v70, v67, s[0:3], 0 offen
	s_waitcnt vmcnt(3)
	buffer_store_dword v71, v67, s[0:3], 0 offen offset:4
.LBB96_222:
	;; [unrolled: 41-line block ×15, first 2 shown]
	global_load_dword v0, v0, s[12:13]
	s_waitcnt vmcnt(0)
	v_add_u32_e32 v0, -1, v0
	v_cmp_eq_u32_e32 vcc, 0, v0
	s_cbranch_vccnz .LBB96_276
; %bb.275:
	v_lshlrev_b32_e32 v0, 3, v0
	buffer_load_dword v67, v0, s[0:3], 0 offen
	buffer_load_dword v68, v0, s[0:3], 0 offen offset:4
	buffer_load_dword v69, off, s[0:3], 0 offset:4
	buffer_load_dword v70, off, s[0:3], 0
	s_waitcnt vmcnt(3)
	buffer_store_dword v67, off, s[0:3], 0
	s_waitcnt vmcnt(3)
	buffer_store_dword v68, off, s[0:3], 0 offset:4
	s_waitcnt vmcnt(3)
	buffer_store_dword v69, v0, s[0:3], 0 offen offset:4
	s_waitcnt vmcnt(3)
	buffer_store_dword v70, v0, s[0:3], 0 offen
.LBB96_276:
	buffer_load_dword v67, off, s[0:3], 0
	buffer_load_dword v68, off, s[0:3], 0 offset:4
	s_waitcnt vmcnt(0)
	flat_store_dwordx2 v[1:2], v[67:68]
	buffer_load_dword v0, off, s[0:3], 0 offset:8
	s_nop 0
	buffer_load_dword v1, off, s[0:3], 0 offset:12
	s_waitcnt vmcnt(0)
	flat_store_dwordx2 v[3:4], v[0:1]
	buffer_load_dword v0, off, s[0:3], 0 offset:16
	s_nop 0
	;; [unrolled: 5-line block ×32, first 2 shown]
	buffer_load_dword v1, off, s[0:3], 0 offset:260
	s_waitcnt vmcnt(0)
	flat_store_dwordx2 v[65:66], v[0:1]
	s_endpgm
	.section	.rodata,"a",@progbits
	.p2align	6, 0x0
	.amdhsa_kernel _ZN9rocsolver6v33100L18getri_kernel_smallILi33E19rocblas_complex_numIfEPKPS3_EEvT1_iilPiilS8_bb
		.amdhsa_group_segment_fixed_size 536
		.amdhsa_private_segment_fixed_size 272
		.amdhsa_kernarg_size 60
		.amdhsa_user_sgpr_count 6
		.amdhsa_user_sgpr_private_segment_buffer 1
		.amdhsa_user_sgpr_dispatch_ptr 0
		.amdhsa_user_sgpr_queue_ptr 0
		.amdhsa_user_sgpr_kernarg_segment_ptr 1
		.amdhsa_user_sgpr_dispatch_id 0
		.amdhsa_user_sgpr_flat_scratch_init 0
		.amdhsa_user_sgpr_private_segment_size 0
		.amdhsa_uses_dynamic_stack 0
		.amdhsa_system_sgpr_private_segment_wavefront_offset 1
		.amdhsa_system_sgpr_workgroup_id_x 1
		.amdhsa_system_sgpr_workgroup_id_y 0
		.amdhsa_system_sgpr_workgroup_id_z 0
		.amdhsa_system_sgpr_workgroup_info 0
		.amdhsa_system_vgpr_workitem_id 0
		.amdhsa_next_free_vgpr 198
		.amdhsa_next_free_sgpr 21
		.amdhsa_reserve_vcc 1
		.amdhsa_reserve_flat_scratch 0
		.amdhsa_float_round_mode_32 0
		.amdhsa_float_round_mode_16_64 0
		.amdhsa_float_denorm_mode_32 3
		.amdhsa_float_denorm_mode_16_64 3
		.amdhsa_dx10_clamp 1
		.amdhsa_ieee_mode 1
		.amdhsa_fp16_overflow 0
		.amdhsa_exception_fp_ieee_invalid_op 0
		.amdhsa_exception_fp_denorm_src 0
		.amdhsa_exception_fp_ieee_div_zero 0
		.amdhsa_exception_fp_ieee_overflow 0
		.amdhsa_exception_fp_ieee_underflow 0
		.amdhsa_exception_fp_ieee_inexact 0
		.amdhsa_exception_int_div_zero 0
	.end_amdhsa_kernel
	.section	.text._ZN9rocsolver6v33100L18getri_kernel_smallILi33E19rocblas_complex_numIfEPKPS3_EEvT1_iilPiilS8_bb,"axG",@progbits,_ZN9rocsolver6v33100L18getri_kernel_smallILi33E19rocblas_complex_numIfEPKPS3_EEvT1_iilPiilS8_bb,comdat
.Lfunc_end96:
	.size	_ZN9rocsolver6v33100L18getri_kernel_smallILi33E19rocblas_complex_numIfEPKPS3_EEvT1_iilPiilS8_bb, .Lfunc_end96-_ZN9rocsolver6v33100L18getri_kernel_smallILi33E19rocblas_complex_numIfEPKPS3_EEvT1_iilPiilS8_bb
                                        ; -- End function
	.set _ZN9rocsolver6v33100L18getri_kernel_smallILi33E19rocblas_complex_numIfEPKPS3_EEvT1_iilPiilS8_bb.num_vgpr, 198
	.set _ZN9rocsolver6v33100L18getri_kernel_smallILi33E19rocblas_complex_numIfEPKPS3_EEvT1_iilPiilS8_bb.num_agpr, 0
	.set _ZN9rocsolver6v33100L18getri_kernel_smallILi33E19rocblas_complex_numIfEPKPS3_EEvT1_iilPiilS8_bb.numbered_sgpr, 21
	.set _ZN9rocsolver6v33100L18getri_kernel_smallILi33E19rocblas_complex_numIfEPKPS3_EEvT1_iilPiilS8_bb.num_named_barrier, 0
	.set _ZN9rocsolver6v33100L18getri_kernel_smallILi33E19rocblas_complex_numIfEPKPS3_EEvT1_iilPiilS8_bb.private_seg_size, 272
	.set _ZN9rocsolver6v33100L18getri_kernel_smallILi33E19rocblas_complex_numIfEPKPS3_EEvT1_iilPiilS8_bb.uses_vcc, 1
	.set _ZN9rocsolver6v33100L18getri_kernel_smallILi33E19rocblas_complex_numIfEPKPS3_EEvT1_iilPiilS8_bb.uses_flat_scratch, 0
	.set _ZN9rocsolver6v33100L18getri_kernel_smallILi33E19rocblas_complex_numIfEPKPS3_EEvT1_iilPiilS8_bb.has_dyn_sized_stack, 0
	.set _ZN9rocsolver6v33100L18getri_kernel_smallILi33E19rocblas_complex_numIfEPKPS3_EEvT1_iilPiilS8_bb.has_recursion, 0
	.set _ZN9rocsolver6v33100L18getri_kernel_smallILi33E19rocblas_complex_numIfEPKPS3_EEvT1_iilPiilS8_bb.has_indirect_call, 0
	.section	.AMDGPU.csdata,"",@progbits
; Kernel info:
; codeLenInByte = 46984
; TotalNumSgprs: 25
; NumVgprs: 198
; ScratchSize: 272
; MemoryBound: 0
; FloatMode: 240
; IeeeMode: 1
; LDSByteSize: 536 bytes/workgroup (compile time only)
; SGPRBlocks: 3
; VGPRBlocks: 49
; NumSGPRsForWavesPerEU: 25
; NumVGPRsForWavesPerEU: 198
; Occupancy: 1
; WaveLimiterHint : 1
; COMPUTE_PGM_RSRC2:SCRATCH_EN: 1
; COMPUTE_PGM_RSRC2:USER_SGPR: 6
; COMPUTE_PGM_RSRC2:TRAP_HANDLER: 0
; COMPUTE_PGM_RSRC2:TGID_X_EN: 1
; COMPUTE_PGM_RSRC2:TGID_Y_EN: 0
; COMPUTE_PGM_RSRC2:TGID_Z_EN: 0
; COMPUTE_PGM_RSRC2:TIDIG_COMP_CNT: 0
	.section	.text._ZN9rocsolver6v33100L18getri_kernel_smallILi34E19rocblas_complex_numIfEPKPS3_EEvT1_iilPiilS8_bb,"axG",@progbits,_ZN9rocsolver6v33100L18getri_kernel_smallILi34E19rocblas_complex_numIfEPKPS3_EEvT1_iilPiilS8_bb,comdat
	.globl	_ZN9rocsolver6v33100L18getri_kernel_smallILi34E19rocblas_complex_numIfEPKPS3_EEvT1_iilPiilS8_bb ; -- Begin function _ZN9rocsolver6v33100L18getri_kernel_smallILi34E19rocblas_complex_numIfEPKPS3_EEvT1_iilPiilS8_bb
	.p2align	8
	.type	_ZN9rocsolver6v33100L18getri_kernel_smallILi34E19rocblas_complex_numIfEPKPS3_EEvT1_iilPiilS8_bb,@function
_ZN9rocsolver6v33100L18getri_kernel_smallILi34E19rocblas_complex_numIfEPKPS3_EEvT1_iilPiilS8_bb: ; @_ZN9rocsolver6v33100L18getri_kernel_smallILi34E19rocblas_complex_numIfEPKPS3_EEvT1_iilPiilS8_bb
; %bb.0:
	s_add_u32 s0, s0, s7
	s_addc_u32 s1, s1, 0
	v_cmp_gt_u32_e32 vcc, 34, v0
	s_and_saveexec_b64 s[8:9], vcc
	s_cbranch_execz .LBB97_150
; %bb.1:
	s_load_dword s18, s[4:5], 0x38
	s_load_dwordx2 s[12:13], s[4:5], 0x0
	s_load_dwordx4 s[8:11], s[4:5], 0x28
	s_waitcnt lgkmcnt(0)
	s_bitcmp1_b32 s18, 8
	s_cselect_b64 s[14:15], -1, 0
	s_ashr_i32 s7, s6, 31
	s_lshl_b64 s[16:17], s[6:7], 3
	s_add_u32 s12, s12, s16
	s_addc_u32 s13, s13, s17
	s_load_dwordx2 s[16:17], s[12:13], 0x0
	s_bfe_u32 s12, s18, 0x10008
	s_cmp_eq_u32 s12, 0
                                        ; implicit-def: $sgpr12_sgpr13
	s_cbranch_scc1 .LBB97_3
; %bb.2:
	s_load_dword s12, s[4:5], 0x20
	s_load_dwordx2 s[18:19], s[4:5], 0x18
	s_mul_i32 s13, s8, s7
	s_mul_hi_u32 s20, s8, s6
	s_add_i32 s20, s20, s13
	s_mul_i32 s9, s9, s6
	s_add_i32 s9, s20, s9
	s_mul_i32 s8, s8, s6
	s_waitcnt lgkmcnt(0)
	s_ashr_i32 s13, s12, 31
	s_lshl_b64 s[8:9], s[8:9], 2
	s_add_u32 s18, s18, s8
	s_addc_u32 s19, s19, s9
	s_lshl_b64 s[8:9], s[12:13], 2
	s_add_u32 s12, s18, s8
	s_addc_u32 s13, s19, s9
.LBB97_3:
	s_load_dwordx2 s[8:9], s[4:5], 0x8
	s_load_dword s18, s[4:5], 0x38
	v_lshlrev_b32_e32 v71, 3, v0
	s_waitcnt lgkmcnt(0)
	s_ashr_i32 s5, s8, 31
	s_mov_b32 s4, s8
	s_lshl_b64 s[4:5], s[4:5], 3
	s_add_u32 s4, s16, s4
	s_addc_u32 s5, s17, s5
	v_mov_b32_e32 v2, s5
	v_add_co_u32_e32 v1, vcc, s4, v71
	v_addc_co_u32_e32 v2, vcc, 0, v2, vcc
	flat_load_dwordx2 v[5:6], v[1:2]
	s_mov_b32 s16, s9
	s_ashr_i32 s17, s9, 31
	s_lshl_b64 s[16:17], s[16:17], 3
	v_mov_b32_e32 v4, s17
	v_add_co_u32_e32 v3, vcc, s16, v1
	v_addc_co_u32_e32 v4, vcc, v2, v4, vcc
	s_add_i32 s8, s9, s9
	v_add_u32_e32 v9, s8, v0
	v_ashrrev_i32_e32 v10, 31, v9
	v_mov_b32_e32 v11, s5
	v_add_u32_e32 v12, s9, v9
	v_ashrrev_i32_e32 v13, 31, v12
	v_mov_b32_e32 v14, s5
	v_mov_b32_e32 v15, s5
	;; [unrolled: 1-line block ×30, first 2 shown]
	s_bitcmp0_b32 s18, 0
	s_waitcnt vmcnt(0) lgkmcnt(0)
	buffer_store_dword v6, off, s[0:3], 0 offset:4
	buffer_store_dword v5, off, s[0:3], 0
	flat_load_dwordx2 v[7:8], v[3:4]
	v_lshlrev_b64 v[5:6], 3, v[9:10]
	s_waitcnt vmcnt(0) lgkmcnt(0)
	buffer_store_dword v8, off, s[0:3], 0 offset:12
	buffer_store_dword v7, off, s[0:3], 0 offset:8
	v_add_co_u32_e32 v5, vcc, s4, v5
	v_addc_co_u32_e32 v6, vcc, v11, v6, vcc
	flat_load_dwordx2 v[10:11], v[5:6]
	v_lshlrev_b64 v[7:8], 3, v[12:13]
	s_waitcnt vmcnt(0) lgkmcnt(0)
	buffer_store_dword v11, off, s[0:3], 0 offset:20
	buffer_store_dword v10, off, s[0:3], 0 offset:16
	v_add_co_u32_e32 v7, vcc, s4, v7
	v_addc_co_u32_e32 v8, vcc, v14, v8, vcc
	flat_load_dwordx2 v[13:14], v[7:8]
	v_add_u32_e32 v11, s9, v12
	v_ashrrev_i32_e32 v12, 31, v11
	v_lshlrev_b64 v[9:10], 3, v[11:12]
	s_waitcnt vmcnt(0) lgkmcnt(0)
	buffer_store_dword v14, off, s[0:3], 0 offset:28
	buffer_store_dword v13, off, s[0:3], 0 offset:24
	v_add_co_u32_e32 v9, vcc, s4, v9
	v_addc_co_u32_e32 v10, vcc, v15, v10, vcc
	flat_load_dwordx2 v[13:14], v[9:10]
	v_add_u32_e32 v15, s9, v11
	v_ashrrev_i32_e32 v16, 31, v15
	v_lshlrev_b64 v[11:12], 3, v[15:16]
	v_add_u32_e32 v18, s9, v15
	v_add_co_u32_e32 v11, vcc, s4, v11
	v_addc_co_u32_e32 v12, vcc, v17, v12, vcc
	v_ashrrev_i32_e32 v19, 31, v18
	s_waitcnt vmcnt(0) lgkmcnt(0)
	buffer_store_dword v14, off, s[0:3], 0 offset:36
	buffer_store_dword v13, off, s[0:3], 0 offset:32
	flat_load_dwordx2 v[16:17], v[11:12]
	v_lshlrev_b64 v[13:14], 3, v[18:19]
	s_waitcnt vmcnt(0) lgkmcnt(0)
	buffer_store_dword v17, off, s[0:3], 0 offset:44
	buffer_store_dword v16, off, s[0:3], 0 offset:40
	v_add_co_u32_e32 v13, vcc, s4, v13
	v_addc_co_u32_e32 v14, vcc, v20, v14, vcc
	flat_load_dwordx2 v[19:20], v[13:14]
	v_add_u32_e32 v17, s9, v18
	v_ashrrev_i32_e32 v18, 31, v17
	v_lshlrev_b64 v[15:16], 3, v[17:18]
	s_waitcnt vmcnt(0) lgkmcnt(0)
	buffer_store_dword v20, off, s[0:3], 0 offset:52
	buffer_store_dword v19, off, s[0:3], 0 offset:48
	v_add_co_u32_e32 v15, vcc, s4, v15
	v_addc_co_u32_e32 v16, vcc, v21, v16, vcc
	flat_load_dwordx2 v[19:20], v[15:16]
	v_add_u32_e32 v21, s9, v17
	v_ashrrev_i32_e32 v22, 31, v21
	v_lshlrev_b64 v[17:18], 3, v[21:22]
	v_add_u32_e32 v24, s9, v21
	v_add_co_u32_e32 v17, vcc, s4, v17
	v_addc_co_u32_e32 v18, vcc, v23, v18, vcc
	v_ashrrev_i32_e32 v25, 31, v24
	s_waitcnt vmcnt(0) lgkmcnt(0)
	buffer_store_dword v20, off, s[0:3], 0 offset:60
	buffer_store_dword v19, off, s[0:3], 0 offset:56
	;; [unrolled: 27-line block ×7, first 2 shown]
	flat_load_dwordx2 v[52:53], v[47:48]
	v_lshlrev_b64 v[49:50], 3, v[54:55]
	s_waitcnt vmcnt(0) lgkmcnt(0)
	buffer_store_dword v53, off, s[0:3], 0 offset:188
	buffer_store_dword v52, off, s[0:3], 0 offset:184
	v_add_co_u32_e32 v49, vcc, s4, v49
	v_addc_co_u32_e32 v50, vcc, v56, v50, vcc
	flat_load_dwordx2 v[55:56], v[49:50]
	v_add_u32_e32 v53, s9, v54
	v_ashrrev_i32_e32 v54, 31, v53
	v_lshlrev_b64 v[51:52], 3, v[53:54]
	s_waitcnt vmcnt(0) lgkmcnt(0)
	buffer_store_dword v56, off, s[0:3], 0 offset:196
	buffer_store_dword v55, off, s[0:3], 0 offset:192
	v_add_co_u32_e32 v51, vcc, s4, v51
	v_addc_co_u32_e32 v52, vcc, v57, v52, vcc
	flat_load_dwordx2 v[55:56], v[51:52]
	v_add_u32_e32 v57, s9, v53
	v_ashrrev_i32_e32 v58, 31, v57
	v_lshlrev_b64 v[53:54], 3, v[57:58]
	v_add_u32_e32 v60, s9, v57
	v_add_co_u32_e32 v53, vcc, s4, v53
	v_addc_co_u32_e32 v54, vcc, v59, v54, vcc
	s_waitcnt vmcnt(0) lgkmcnt(0)
	buffer_store_dword v56, off, s[0:3], 0 offset:204
	buffer_store_dword v55, off, s[0:3], 0 offset:200
	flat_load_dwordx2 v[58:59], v[53:54]
	v_ashrrev_i32_e32 v61, 31, v60
	v_lshlrev_b64 v[55:56], 3, v[60:61]
	s_waitcnt vmcnt(0) lgkmcnt(0)
	buffer_store_dword v59, off, s[0:3], 0 offset:212
	buffer_store_dword v58, off, s[0:3], 0 offset:208
	v_add_co_u32_e32 v55, vcc, s4, v55
	v_addc_co_u32_e32 v56, vcc, v62, v56, vcc
	flat_load_dwordx2 v[61:62], v[55:56]
	v_add_u32_e32 v59, s9, v60
	v_ashrrev_i32_e32 v60, 31, v59
	v_lshlrev_b64 v[57:58], 3, v[59:60]
	s_waitcnt vmcnt(0) lgkmcnt(0)
	buffer_store_dword v62, off, s[0:3], 0 offset:220
	buffer_store_dword v61, off, s[0:3], 0 offset:216
	v_add_co_u32_e32 v57, vcc, s4, v57
	v_addc_co_u32_e32 v58, vcc, v63, v58, vcc
	flat_load_dwordx2 v[61:62], v[57:58]
	v_add_u32_e32 v63, s9, v59
	;; [unrolled: 9-line block ×6, first 2 shown]
	v_ashrrev_i32_e32 v68, 31, v67
	v_lshlrev_b64 v[67:68], 3, v[67:68]
	v_mov_b32_e32 v70, s5
	v_add_co_u32_e32 v67, vcc, s4, v67
	v_addc_co_u32_e32 v68, vcc, v70, v68, vcc
	s_waitcnt vmcnt(0) lgkmcnt(0)
	buffer_store_dword v73, off, s[0:3], 0 offset:260
	buffer_store_dword v72, off, s[0:3], 0 offset:256
	flat_load_dwordx2 v[69:70], v[67:68]
	s_mov_b64 s[8:9], -1
	s_waitcnt vmcnt(0) lgkmcnt(0)
	buffer_store_dword v70, off, s[0:3], 0 offset:268
	buffer_store_dword v69, off, s[0:3], 0 offset:264
	s_cbranch_scc1 .LBB97_148
; %bb.4:
	v_cmp_eq_u32_e64 s[4:5], 0, v0
	s_and_saveexec_b64 s[8:9], s[4:5]
; %bb.5:
	v_mov_b32_e32 v69, 0
	ds_write_b32 v69, v69 offset:544
; %bb.6:
	s_or_b64 exec, exec, s[8:9]
	v_mov_b32_e32 v69, 0
	v_lshl_add_u32 v73, v0, 3, v69
	s_waitcnt lgkmcnt(0)
	; wave barrier
	buffer_load_dword v69, v73, s[0:3], 0 offen
	buffer_load_dword v70, v73, s[0:3], 0 offen offset:4
	s_waitcnt vmcnt(1)
	v_cmp_eq_f32_e32 vcc, 0, v69
	s_waitcnt vmcnt(0)
	v_cmp_eq_f32_e64 s[8:9], 0, v70
	s_and_b64 s[8:9], vcc, s[8:9]
	s_and_saveexec_b64 s[16:17], s[8:9]
	s_cbranch_execz .LBB97_10
; %bb.7:
	v_mov_b32_e32 v69, 0
	ds_read_b32 v72, v69 offset:544
	v_add_u32_e32 v70, 1, v0
	s_waitcnt lgkmcnt(0)
	v_readfirstlane_b32 s8, v72
	s_cmp_eq_u32 s8, 0
	s_cselect_b64 s[18:19], -1, 0
	v_cmp_gt_i32_e32 vcc, s8, v70
	s_or_b64 s[18:19], s[18:19], vcc
	s_and_b64 exec, exec, s[18:19]
	s_cbranch_execz .LBB97_10
; %bb.8:
	s_mov_b64 s[18:19], 0
	v_mov_b32_e32 v72, s8
.LBB97_9:                               ; =>This Inner Loop Header: Depth=1
	ds_cmpst_rtn_b32 v72, v69, v72, v70 offset:544
	s_waitcnt lgkmcnt(0)
	v_cmp_ne_u32_e32 vcc, 0, v72
	v_cmp_le_i32_e64 s[8:9], v72, v70
	s_and_b64 s[8:9], vcc, s[8:9]
	s_and_b64 s[8:9], exec, s[8:9]
	s_or_b64 s[18:19], s[8:9], s[18:19]
	s_andn2_b64 exec, exec, s[18:19]
	s_cbranch_execnz .LBB97_9
.LBB97_10:
	s_or_b64 exec, exec, s[16:17]
	v_mov_b32_e32 v70, 0
	; wave barrier
	ds_read_b32 v69, v70 offset:544
	s_and_saveexec_b64 s[8:9], s[4:5]
	s_cbranch_execz .LBB97_12
; %bb.11:
	s_lshl_b64 s[16:17], s[6:7], 2
	s_add_u32 s16, s10, s16
	s_addc_u32 s17, s11, s17
	s_waitcnt lgkmcnt(0)
	global_store_dword v70, v69, s[16:17]
.LBB97_12:
	s_or_b64 exec, exec, s[8:9]
	s_waitcnt lgkmcnt(0)
	v_cmp_ne_u32_e32 vcc, 0, v69
	s_mov_b64 s[8:9], 0
	s_cbranch_vccnz .LBB97_148
; %bb.13:
	buffer_load_dword v70, v73, s[0:3], 0 offen
	buffer_load_dword v72, v73, s[0:3], 0 offen offset:4
                                        ; implicit-def: $vgpr75
                                        ; implicit-def: $vgpr74
                                        ; implicit-def: $vgpr69
	s_waitcnt vmcnt(0)
	v_cmp_ngt_f32_e64 s[8:9], |v70|, |v72|
	s_and_saveexec_b64 s[16:17], s[8:9]
	s_xor_b64 s[8:9], exec, s[16:17]
	s_cbranch_execz .LBB97_15
; %bb.14:
	v_div_scale_f32 v69, s[16:17], v72, v72, v70
	v_div_scale_f32 v74, vcc, v70, v72, v70
	v_rcp_f32_e32 v75, v69
	v_fma_f32 v76, -v69, v75, 1.0
	v_fmac_f32_e32 v75, v76, v75
	v_mul_f32_e32 v76, v74, v75
	v_fma_f32 v77, -v69, v76, v74
	v_fmac_f32_e32 v76, v77, v75
	v_fma_f32 v69, -v69, v76, v74
	v_div_fmas_f32 v69, v69, v75, v76
	v_div_fixup_f32 v69, v69, v72, v70
	v_fmac_f32_e32 v72, v70, v69
	v_div_scale_f32 v70, s[16:17], v72, v72, 1.0
	v_div_scale_f32 v74, vcc, 1.0, v72, 1.0
	v_rcp_f32_e32 v75, v70
	v_fma_f32 v76, -v70, v75, 1.0
	v_fmac_f32_e32 v75, v76, v75
	v_mul_f32_e32 v76, v74, v75
	v_fma_f32 v77, -v70, v76, v74
	v_fmac_f32_e32 v76, v77, v75
	v_fma_f32 v70, -v70, v76, v74
	v_div_fmas_f32 v70, v70, v75, v76
	v_div_fixup_f32 v70, v70, v72, 1.0
	v_mul_f32_e32 v75, v69, v70
	v_xor_b32_e32 v74, 0x80000000, v70
	v_xor_b32_e32 v69, 0x80000000, v75
                                        ; implicit-def: $vgpr70
                                        ; implicit-def: $vgpr72
.LBB97_15:
	s_andn2_saveexec_b64 s[8:9], s[8:9]
	s_cbranch_execz .LBB97_17
; %bb.16:
	v_div_scale_f32 v69, s[16:17], v70, v70, v72
	v_div_scale_f32 v74, vcc, v72, v70, v72
	v_rcp_f32_e32 v75, v69
	v_fma_f32 v76, -v69, v75, 1.0
	v_fmac_f32_e32 v75, v76, v75
	v_mul_f32_e32 v76, v74, v75
	v_fma_f32 v77, -v69, v76, v74
	v_fmac_f32_e32 v76, v77, v75
	v_fma_f32 v69, -v69, v76, v74
	v_div_fmas_f32 v69, v69, v75, v76
	v_div_fixup_f32 v74, v69, v70, v72
	v_fmac_f32_e32 v70, v72, v74
	v_div_scale_f32 v69, s[16:17], v70, v70, 1.0
	v_div_scale_f32 v72, vcc, 1.0, v70, 1.0
	v_rcp_f32_e32 v75, v69
	v_fma_f32 v76, -v69, v75, 1.0
	v_fmac_f32_e32 v75, v76, v75
	v_mul_f32_e32 v76, v72, v75
	v_fma_f32 v77, -v69, v76, v72
	v_fmac_f32_e32 v76, v77, v75
	v_fma_f32 v69, -v69, v76, v72
	v_div_fmas_f32 v69, v69, v75, v76
	v_div_fixup_f32 v75, v69, v70, 1.0
	v_xor_b32_e32 v69, 0x80000000, v75
	v_mul_f32_e64 v74, v74, -v75
.LBB97_17:
	s_or_b64 exec, exec, s[8:9]
	buffer_store_dword v75, v73, s[0:3], 0 offen
	buffer_store_dword v74, v73, s[0:3], 0 offen offset:4
	buffer_load_dword v76, off, s[0:3], 0 offset:12
	s_nop 0
	buffer_load_dword v75, off, s[0:3], 0 offset:8
	v_xor_b32_e32 v70, 0x80000000, v74
	v_add_u32_e32 v72, 0x110, v71
	s_waitcnt vmcnt(0)
	ds_write2_b64 v71, v[69:70], v[75:76] offset1:34
	s_waitcnt lgkmcnt(0)
	; wave barrier
	s_and_saveexec_b64 s[8:9], s[4:5]
	s_cbranch_execz .LBB97_19
; %bb.18:
	buffer_load_dword v76, v73, s[0:3], 0 offen offset:4
	buffer_load_dword v77, v73, s[0:3], 0 offen
	ds_read_b64 v[69:70], v72
	v_mov_b32_e32 v74, 0
	ds_read_b64 v[74:75], v74 offset:8
	s_waitcnt vmcnt(1) lgkmcnt(1)
	v_mul_f32_e32 v78, v70, v76
	v_mul_f32_e32 v76, v69, v76
	s_waitcnt vmcnt(0)
	v_fmac_f32_e32 v76, v70, v77
	v_fma_f32 v69, v69, v77, -v78
	v_add_f32_e32 v70, 0, v76
	v_add_f32_e32 v69, 0, v69
	s_waitcnt lgkmcnt(0)
	v_mul_f32_e32 v76, v70, v75
	v_mul_f32_e32 v75, v69, v75
	v_fma_f32 v69, v69, v74, -v76
	v_fmac_f32_e32 v75, v70, v74
	buffer_store_dword v69, off, s[0:3], 0 offset:8
	buffer_store_dword v75, off, s[0:3], 0 offset:12
.LBB97_19:
	s_or_b64 exec, exec, s[8:9]
	; wave barrier
	buffer_load_dword v69, off, s[0:3], 0 offset:16
	buffer_load_dword v70, off, s[0:3], 0 offset:20
	v_cmp_gt_u32_e32 vcc, 2, v0
	s_waitcnt vmcnt(0)
	ds_write_b64 v72, v[69:70]
	s_waitcnt lgkmcnt(0)
	; wave barrier
	s_and_saveexec_b64 s[8:9], vcc
	s_cbranch_execz .LBB97_23
; %bb.20:
	buffer_load_dword v74, v73, s[0:3], 0 offen offset:4
	buffer_load_dword v75, v73, s[0:3], 0 offen
	ds_read_b64 v[69:70], v72
	s_waitcnt vmcnt(1) lgkmcnt(0)
	v_mul_f32_e32 v73, v70, v74
	v_mul_f32_e32 v74, v69, v74
	s_waitcnt vmcnt(0)
	v_fma_f32 v69, v69, v75, -v73
	v_fmac_f32_e32 v74, v70, v75
	v_add_f32_e32 v70, 0, v69
	v_add_f32_e32 v69, 0, v74
	s_and_saveexec_b64 s[16:17], s[4:5]
	s_cbranch_execz .LBB97_22
; %bb.21:
	buffer_load_dword v75, off, s[0:3], 0 offset:12
	buffer_load_dword v76, off, s[0:3], 0 offset:8
	v_mov_b32_e32 v73, 0
	ds_read_b64 v[73:74], v73 offset:280
	s_waitcnt vmcnt(1) lgkmcnt(0)
	v_mul_f32_e32 v77, v73, v75
	v_mul_f32_e32 v75, v74, v75
	s_waitcnt vmcnt(0)
	v_fmac_f32_e32 v77, v74, v76
	v_fma_f32 v73, v73, v76, -v75
	v_add_f32_e32 v69, v69, v77
	v_add_f32_e32 v70, v70, v73
.LBB97_22:
	s_or_b64 exec, exec, s[16:17]
	v_mov_b32_e32 v73, 0
	ds_read_b64 v[73:74], v73 offset:16
	s_waitcnt lgkmcnt(0)
	v_mul_f32_e32 v75, v69, v74
	v_mul_f32_e32 v74, v70, v74
	v_fma_f32 v70, v70, v73, -v75
	v_fmac_f32_e32 v74, v69, v73
	buffer_store_dword v70, off, s[0:3], 0 offset:16
	buffer_store_dword v74, off, s[0:3], 0 offset:20
.LBB97_23:
	s_or_b64 exec, exec, s[8:9]
	; wave barrier
	buffer_load_dword v69, off, s[0:3], 0 offset:24
	buffer_load_dword v70, off, s[0:3], 0 offset:28
	v_cmp_gt_u32_e32 vcc, 3, v0
	s_waitcnt vmcnt(0)
	ds_write_b64 v72, v[69:70]
	v_add_u32_e32 v69, -1, v0
	s_waitcnt lgkmcnt(0)
	; wave barrier
	s_and_saveexec_b64 s[4:5], vcc
	s_cbranch_execz .LBB97_27
; %bb.24:
	v_add_u32_e32 v73, -1, v0
	v_add_u32_e32 v74, 0x110, v71
	v_mov_b32_e32 v75, v71
	v_mov_b32_e32 v70, 0
	s_mov_b64 s[8:9], 0
	v_mov_b32_e32 v76, 0
.LBB97_25:                              ; =>This Inner Loop Header: Depth=1
	buffer_load_dword v79, v75, s[0:3], 0 offen offset:4
	buffer_load_dword v80, v75, s[0:3], 0 offen
	ds_read_b64 v[77:78], v74
	v_add_u32_e32 v73, 1, v73
	v_cmp_lt_u32_e32 vcc, 1, v73
	v_add_u32_e32 v74, 8, v74
	v_add_u32_e32 v75, 8, v75
	s_or_b64 s[8:9], vcc, s[8:9]
	s_waitcnt vmcnt(1) lgkmcnt(0)
	v_mul_f32_e32 v81, v78, v79
	v_mul_f32_e32 v79, v77, v79
	s_waitcnt vmcnt(0)
	v_fma_f32 v77, v77, v80, -v81
	v_fmac_f32_e32 v79, v78, v80
	v_add_f32_e32 v76, v76, v77
	v_add_f32_e32 v70, v70, v79
	s_andn2_b64 exec, exec, s[8:9]
	s_cbranch_execnz .LBB97_25
; %bb.26:
	s_or_b64 exec, exec, s[8:9]
	v_mov_b32_e32 v73, 0
	ds_read_b64 v[73:74], v73 offset:24
	s_waitcnt lgkmcnt(0)
	v_mul_f32_e32 v75, v70, v74
	v_mul_f32_e32 v74, v76, v74
	v_fma_f32 v75, v76, v73, -v75
	v_fmac_f32_e32 v74, v70, v73
	buffer_store_dword v75, off, s[0:3], 0 offset:24
	buffer_store_dword v74, off, s[0:3], 0 offset:28
.LBB97_27:
	s_or_b64 exec, exec, s[4:5]
	; wave barrier
	buffer_load_dword v73, off, s[0:3], 0 offset:32
	buffer_load_dword v74, off, s[0:3], 0 offset:36
	v_cmp_gt_u32_e32 vcc, 4, v0
	s_waitcnt vmcnt(0)
	ds_write_b64 v72, v[73:74]
	s_waitcnt lgkmcnt(0)
	; wave barrier
	s_and_saveexec_b64 s[4:5], vcc
	s_cbranch_execz .LBB97_31
; %bb.28:
	v_add_u32_e32 v73, -1, v0
	v_add_u32_e32 v74, 0x110, v71
	v_mov_b32_e32 v75, v71
	v_mov_b32_e32 v70, 0
	s_mov_b64 s[8:9], 0
	v_mov_b32_e32 v76, 0
.LBB97_29:                              ; =>This Inner Loop Header: Depth=1
	buffer_load_dword v79, v75, s[0:3], 0 offen offset:4
	buffer_load_dword v80, v75, s[0:3], 0 offen
	ds_read_b64 v[77:78], v74
	v_add_u32_e32 v73, 1, v73
	v_cmp_lt_u32_e32 vcc, 2, v73
	v_add_u32_e32 v74, 8, v74
	v_add_u32_e32 v75, 8, v75
	s_or_b64 s[8:9], vcc, s[8:9]
	s_waitcnt vmcnt(1) lgkmcnt(0)
	v_mul_f32_e32 v81, v78, v79
	v_mul_f32_e32 v79, v77, v79
	s_waitcnt vmcnt(0)
	v_fma_f32 v77, v77, v80, -v81
	v_fmac_f32_e32 v79, v78, v80
	v_add_f32_e32 v76, v76, v77
	v_add_f32_e32 v70, v70, v79
	s_andn2_b64 exec, exec, s[8:9]
	s_cbranch_execnz .LBB97_29
; %bb.30:
	s_or_b64 exec, exec, s[8:9]
	v_mov_b32_e32 v73, 0
	ds_read_b64 v[73:74], v73 offset:32
	s_waitcnt lgkmcnt(0)
	v_mul_f32_e32 v75, v70, v74
	v_mul_f32_e32 v74, v76, v74
	v_fma_f32 v75, v76, v73, -v75
	v_fmac_f32_e32 v74, v70, v73
	buffer_store_dword v75, off, s[0:3], 0 offset:32
	buffer_store_dword v74, off, s[0:3], 0 offset:36
.LBB97_31:
	s_or_b64 exec, exec, s[4:5]
	; wave barrier
	buffer_load_dword v73, off, s[0:3], 0 offset:40
	buffer_load_dword v74, off, s[0:3], 0 offset:44
	v_cmp_gt_u32_e32 vcc, 5, v0
	s_waitcnt vmcnt(0)
	ds_write_b64 v72, v[73:74]
	s_waitcnt lgkmcnt(0)
	; wave barrier
	s_and_saveexec_b64 s[4:5], vcc
	s_cbranch_execz .LBB97_35
; %bb.32:
	v_add_u32_e32 v73, -1, v0
	v_add_u32_e32 v74, 0x110, v71
	v_mov_b32_e32 v75, v71
	v_mov_b32_e32 v70, 0
	s_mov_b64 s[8:9], 0
	v_mov_b32_e32 v76, 0
.LBB97_33:                              ; =>This Inner Loop Header: Depth=1
	buffer_load_dword v79, v75, s[0:3], 0 offen offset:4
	buffer_load_dword v80, v75, s[0:3], 0 offen
	ds_read_b64 v[77:78], v74
	v_add_u32_e32 v73, 1, v73
	v_cmp_lt_u32_e32 vcc, 3, v73
	v_add_u32_e32 v74, 8, v74
	v_add_u32_e32 v75, 8, v75
	s_or_b64 s[8:9], vcc, s[8:9]
	s_waitcnt vmcnt(1) lgkmcnt(0)
	v_mul_f32_e32 v81, v78, v79
	v_mul_f32_e32 v79, v77, v79
	s_waitcnt vmcnt(0)
	v_fma_f32 v77, v77, v80, -v81
	v_fmac_f32_e32 v79, v78, v80
	v_add_f32_e32 v76, v76, v77
	v_add_f32_e32 v70, v70, v79
	s_andn2_b64 exec, exec, s[8:9]
	s_cbranch_execnz .LBB97_33
; %bb.34:
	s_or_b64 exec, exec, s[8:9]
	v_mov_b32_e32 v73, 0
	ds_read_b64 v[73:74], v73 offset:40
	s_waitcnt lgkmcnt(0)
	v_mul_f32_e32 v75, v70, v74
	v_mul_f32_e32 v74, v76, v74
	v_fma_f32 v75, v76, v73, -v75
	v_fmac_f32_e32 v74, v70, v73
	buffer_store_dword v75, off, s[0:3], 0 offset:40
	buffer_store_dword v74, off, s[0:3], 0 offset:44
.LBB97_35:
	s_or_b64 exec, exec, s[4:5]
	; wave barrier
	buffer_load_dword v73, off, s[0:3], 0 offset:48
	buffer_load_dword v74, off, s[0:3], 0 offset:52
	v_cmp_gt_u32_e32 vcc, 6, v0
	s_waitcnt vmcnt(0)
	ds_write_b64 v72, v[73:74]
	s_waitcnt lgkmcnt(0)
	; wave barrier
	s_and_saveexec_b64 s[4:5], vcc
	s_cbranch_execz .LBB97_39
; %bb.36:
	v_add_u32_e32 v73, -1, v0
	v_add_u32_e32 v74, 0x110, v71
	v_mov_b32_e32 v75, v71
	v_mov_b32_e32 v70, 0
	s_mov_b64 s[8:9], 0
	v_mov_b32_e32 v76, 0
.LBB97_37:                              ; =>This Inner Loop Header: Depth=1
	buffer_load_dword v79, v75, s[0:3], 0 offen offset:4
	buffer_load_dword v80, v75, s[0:3], 0 offen
	ds_read_b64 v[77:78], v74
	v_add_u32_e32 v73, 1, v73
	v_cmp_lt_u32_e32 vcc, 4, v73
	v_add_u32_e32 v74, 8, v74
	v_add_u32_e32 v75, 8, v75
	s_or_b64 s[8:9], vcc, s[8:9]
	s_waitcnt vmcnt(1) lgkmcnt(0)
	v_mul_f32_e32 v81, v78, v79
	v_mul_f32_e32 v79, v77, v79
	s_waitcnt vmcnt(0)
	v_fma_f32 v77, v77, v80, -v81
	v_fmac_f32_e32 v79, v78, v80
	v_add_f32_e32 v76, v76, v77
	v_add_f32_e32 v70, v70, v79
	s_andn2_b64 exec, exec, s[8:9]
	s_cbranch_execnz .LBB97_37
; %bb.38:
	s_or_b64 exec, exec, s[8:9]
	v_mov_b32_e32 v73, 0
	ds_read_b64 v[73:74], v73 offset:48
	s_waitcnt lgkmcnt(0)
	v_mul_f32_e32 v75, v70, v74
	v_mul_f32_e32 v74, v76, v74
	v_fma_f32 v75, v76, v73, -v75
	v_fmac_f32_e32 v74, v70, v73
	buffer_store_dword v75, off, s[0:3], 0 offset:48
	buffer_store_dword v74, off, s[0:3], 0 offset:52
.LBB97_39:
	s_or_b64 exec, exec, s[4:5]
	; wave barrier
	buffer_load_dword v73, off, s[0:3], 0 offset:56
	buffer_load_dword v74, off, s[0:3], 0 offset:60
	v_cmp_gt_u32_e32 vcc, 7, v0
	s_waitcnt vmcnt(0)
	ds_write_b64 v72, v[73:74]
	s_waitcnt lgkmcnt(0)
	; wave barrier
	s_and_saveexec_b64 s[4:5], vcc
	s_cbranch_execz .LBB97_43
; %bb.40:
	v_add_u32_e32 v73, -1, v0
	v_add_u32_e32 v74, 0x110, v71
	v_mov_b32_e32 v75, v71
	v_mov_b32_e32 v70, 0
	s_mov_b64 s[8:9], 0
	v_mov_b32_e32 v76, 0
.LBB97_41:                              ; =>This Inner Loop Header: Depth=1
	buffer_load_dword v79, v75, s[0:3], 0 offen offset:4
	buffer_load_dword v80, v75, s[0:3], 0 offen
	ds_read_b64 v[77:78], v74
	v_add_u32_e32 v73, 1, v73
	v_cmp_lt_u32_e32 vcc, 5, v73
	v_add_u32_e32 v74, 8, v74
	v_add_u32_e32 v75, 8, v75
	s_or_b64 s[8:9], vcc, s[8:9]
	s_waitcnt vmcnt(1) lgkmcnt(0)
	v_mul_f32_e32 v81, v78, v79
	v_mul_f32_e32 v79, v77, v79
	s_waitcnt vmcnt(0)
	v_fma_f32 v77, v77, v80, -v81
	v_fmac_f32_e32 v79, v78, v80
	v_add_f32_e32 v76, v76, v77
	v_add_f32_e32 v70, v70, v79
	s_andn2_b64 exec, exec, s[8:9]
	s_cbranch_execnz .LBB97_41
; %bb.42:
	s_or_b64 exec, exec, s[8:9]
	v_mov_b32_e32 v73, 0
	ds_read_b64 v[73:74], v73 offset:56
	s_waitcnt lgkmcnt(0)
	v_mul_f32_e32 v75, v70, v74
	v_mul_f32_e32 v74, v76, v74
	v_fma_f32 v75, v76, v73, -v75
	v_fmac_f32_e32 v74, v70, v73
	buffer_store_dword v75, off, s[0:3], 0 offset:56
	buffer_store_dword v74, off, s[0:3], 0 offset:60
.LBB97_43:
	s_or_b64 exec, exec, s[4:5]
	; wave barrier
	buffer_load_dword v73, off, s[0:3], 0 offset:64
	buffer_load_dword v74, off, s[0:3], 0 offset:68
	v_cmp_gt_u32_e32 vcc, 8, v0
	s_waitcnt vmcnt(0)
	ds_write_b64 v72, v[73:74]
	s_waitcnt lgkmcnt(0)
	; wave barrier
	s_and_saveexec_b64 s[4:5], vcc
	s_cbranch_execz .LBB97_47
; %bb.44:
	v_add_u32_e32 v73, -1, v0
	v_add_u32_e32 v74, 0x110, v71
	v_mov_b32_e32 v75, v71
	v_mov_b32_e32 v70, 0
	s_mov_b64 s[8:9], 0
	v_mov_b32_e32 v76, 0
.LBB97_45:                              ; =>This Inner Loop Header: Depth=1
	buffer_load_dword v79, v75, s[0:3], 0 offen offset:4
	buffer_load_dword v80, v75, s[0:3], 0 offen
	ds_read_b64 v[77:78], v74
	v_add_u32_e32 v73, 1, v73
	v_cmp_lt_u32_e32 vcc, 6, v73
	v_add_u32_e32 v74, 8, v74
	v_add_u32_e32 v75, 8, v75
	s_or_b64 s[8:9], vcc, s[8:9]
	s_waitcnt vmcnt(1) lgkmcnt(0)
	v_mul_f32_e32 v81, v78, v79
	v_mul_f32_e32 v79, v77, v79
	s_waitcnt vmcnt(0)
	v_fma_f32 v77, v77, v80, -v81
	v_fmac_f32_e32 v79, v78, v80
	v_add_f32_e32 v76, v76, v77
	v_add_f32_e32 v70, v70, v79
	s_andn2_b64 exec, exec, s[8:9]
	s_cbranch_execnz .LBB97_45
; %bb.46:
	s_or_b64 exec, exec, s[8:9]
	v_mov_b32_e32 v73, 0
	ds_read_b64 v[73:74], v73 offset:64
	s_waitcnt lgkmcnt(0)
	v_mul_f32_e32 v75, v70, v74
	v_mul_f32_e32 v74, v76, v74
	v_fma_f32 v75, v76, v73, -v75
	v_fmac_f32_e32 v74, v70, v73
	buffer_store_dword v75, off, s[0:3], 0 offset:64
	buffer_store_dword v74, off, s[0:3], 0 offset:68
.LBB97_47:
	s_or_b64 exec, exec, s[4:5]
	; wave barrier
	buffer_load_dword v73, off, s[0:3], 0 offset:72
	buffer_load_dword v74, off, s[0:3], 0 offset:76
	v_cmp_gt_u32_e32 vcc, 9, v0
	s_waitcnt vmcnt(0)
	ds_write_b64 v72, v[73:74]
	s_waitcnt lgkmcnt(0)
	; wave barrier
	s_and_saveexec_b64 s[4:5], vcc
	s_cbranch_execz .LBB97_51
; %bb.48:
	v_add_u32_e32 v73, -1, v0
	v_add_u32_e32 v74, 0x110, v71
	v_mov_b32_e32 v75, v71
	v_mov_b32_e32 v70, 0
	s_mov_b64 s[8:9], 0
	v_mov_b32_e32 v76, 0
.LBB97_49:                              ; =>This Inner Loop Header: Depth=1
	buffer_load_dword v79, v75, s[0:3], 0 offen offset:4
	buffer_load_dword v80, v75, s[0:3], 0 offen
	ds_read_b64 v[77:78], v74
	v_add_u32_e32 v73, 1, v73
	v_cmp_lt_u32_e32 vcc, 7, v73
	v_add_u32_e32 v74, 8, v74
	v_add_u32_e32 v75, 8, v75
	s_or_b64 s[8:9], vcc, s[8:9]
	s_waitcnt vmcnt(1) lgkmcnt(0)
	v_mul_f32_e32 v81, v78, v79
	v_mul_f32_e32 v79, v77, v79
	s_waitcnt vmcnt(0)
	v_fma_f32 v77, v77, v80, -v81
	v_fmac_f32_e32 v79, v78, v80
	v_add_f32_e32 v76, v76, v77
	v_add_f32_e32 v70, v70, v79
	s_andn2_b64 exec, exec, s[8:9]
	s_cbranch_execnz .LBB97_49
; %bb.50:
	s_or_b64 exec, exec, s[8:9]
	v_mov_b32_e32 v73, 0
	ds_read_b64 v[73:74], v73 offset:72
	s_waitcnt lgkmcnt(0)
	v_mul_f32_e32 v75, v70, v74
	v_mul_f32_e32 v74, v76, v74
	v_fma_f32 v75, v76, v73, -v75
	v_fmac_f32_e32 v74, v70, v73
	buffer_store_dword v75, off, s[0:3], 0 offset:72
	buffer_store_dword v74, off, s[0:3], 0 offset:76
.LBB97_51:
	s_or_b64 exec, exec, s[4:5]
	; wave barrier
	buffer_load_dword v73, off, s[0:3], 0 offset:80
	buffer_load_dword v74, off, s[0:3], 0 offset:84
	v_cmp_gt_u32_e32 vcc, 10, v0
	s_waitcnt vmcnt(0)
	ds_write_b64 v72, v[73:74]
	s_waitcnt lgkmcnt(0)
	; wave barrier
	s_and_saveexec_b64 s[4:5], vcc
	s_cbranch_execz .LBB97_55
; %bb.52:
	v_add_u32_e32 v73, -1, v0
	v_add_u32_e32 v74, 0x110, v71
	v_mov_b32_e32 v75, v71
	v_mov_b32_e32 v70, 0
	s_mov_b64 s[8:9], 0
	v_mov_b32_e32 v76, 0
.LBB97_53:                              ; =>This Inner Loop Header: Depth=1
	buffer_load_dword v79, v75, s[0:3], 0 offen offset:4
	buffer_load_dword v80, v75, s[0:3], 0 offen
	ds_read_b64 v[77:78], v74
	v_add_u32_e32 v73, 1, v73
	v_cmp_lt_u32_e32 vcc, 8, v73
	v_add_u32_e32 v74, 8, v74
	v_add_u32_e32 v75, 8, v75
	s_or_b64 s[8:9], vcc, s[8:9]
	s_waitcnt vmcnt(1) lgkmcnt(0)
	v_mul_f32_e32 v81, v78, v79
	v_mul_f32_e32 v79, v77, v79
	s_waitcnt vmcnt(0)
	v_fma_f32 v77, v77, v80, -v81
	v_fmac_f32_e32 v79, v78, v80
	v_add_f32_e32 v76, v76, v77
	v_add_f32_e32 v70, v70, v79
	s_andn2_b64 exec, exec, s[8:9]
	s_cbranch_execnz .LBB97_53
; %bb.54:
	s_or_b64 exec, exec, s[8:9]
	v_mov_b32_e32 v73, 0
	ds_read_b64 v[73:74], v73 offset:80
	s_waitcnt lgkmcnt(0)
	v_mul_f32_e32 v75, v70, v74
	v_mul_f32_e32 v74, v76, v74
	v_fma_f32 v75, v76, v73, -v75
	v_fmac_f32_e32 v74, v70, v73
	buffer_store_dword v75, off, s[0:3], 0 offset:80
	buffer_store_dword v74, off, s[0:3], 0 offset:84
.LBB97_55:
	s_or_b64 exec, exec, s[4:5]
	; wave barrier
	buffer_load_dword v73, off, s[0:3], 0 offset:88
	buffer_load_dword v74, off, s[0:3], 0 offset:92
	v_cmp_gt_u32_e32 vcc, 11, v0
	s_waitcnt vmcnt(0)
	ds_write_b64 v72, v[73:74]
	s_waitcnt lgkmcnt(0)
	; wave barrier
	s_and_saveexec_b64 s[4:5], vcc
	s_cbranch_execz .LBB97_59
; %bb.56:
	v_add_u32_e32 v73, -1, v0
	v_add_u32_e32 v74, 0x110, v71
	v_mov_b32_e32 v75, v71
	v_mov_b32_e32 v70, 0
	s_mov_b64 s[8:9], 0
	v_mov_b32_e32 v76, 0
.LBB97_57:                              ; =>This Inner Loop Header: Depth=1
	buffer_load_dword v79, v75, s[0:3], 0 offen offset:4
	buffer_load_dword v80, v75, s[0:3], 0 offen
	ds_read_b64 v[77:78], v74
	v_add_u32_e32 v73, 1, v73
	v_cmp_lt_u32_e32 vcc, 9, v73
	v_add_u32_e32 v74, 8, v74
	v_add_u32_e32 v75, 8, v75
	s_or_b64 s[8:9], vcc, s[8:9]
	s_waitcnt vmcnt(1) lgkmcnt(0)
	v_mul_f32_e32 v81, v78, v79
	v_mul_f32_e32 v79, v77, v79
	s_waitcnt vmcnt(0)
	v_fma_f32 v77, v77, v80, -v81
	v_fmac_f32_e32 v79, v78, v80
	v_add_f32_e32 v76, v76, v77
	v_add_f32_e32 v70, v70, v79
	s_andn2_b64 exec, exec, s[8:9]
	s_cbranch_execnz .LBB97_57
; %bb.58:
	s_or_b64 exec, exec, s[8:9]
	v_mov_b32_e32 v73, 0
	ds_read_b64 v[73:74], v73 offset:88
	s_waitcnt lgkmcnt(0)
	v_mul_f32_e32 v75, v70, v74
	v_mul_f32_e32 v74, v76, v74
	v_fma_f32 v75, v76, v73, -v75
	v_fmac_f32_e32 v74, v70, v73
	buffer_store_dword v75, off, s[0:3], 0 offset:88
	buffer_store_dword v74, off, s[0:3], 0 offset:92
.LBB97_59:
	s_or_b64 exec, exec, s[4:5]
	; wave barrier
	buffer_load_dword v73, off, s[0:3], 0 offset:96
	buffer_load_dword v74, off, s[0:3], 0 offset:100
	v_cmp_gt_u32_e32 vcc, 12, v0
	s_waitcnt vmcnt(0)
	ds_write_b64 v72, v[73:74]
	s_waitcnt lgkmcnt(0)
	; wave barrier
	s_and_saveexec_b64 s[4:5], vcc
	s_cbranch_execz .LBB97_63
; %bb.60:
	v_add_u32_e32 v73, -1, v0
	v_add_u32_e32 v74, 0x110, v71
	v_mov_b32_e32 v75, v71
	v_mov_b32_e32 v70, 0
	s_mov_b64 s[8:9], 0
	v_mov_b32_e32 v76, 0
.LBB97_61:                              ; =>This Inner Loop Header: Depth=1
	buffer_load_dword v79, v75, s[0:3], 0 offen offset:4
	buffer_load_dword v80, v75, s[0:3], 0 offen
	ds_read_b64 v[77:78], v74
	v_add_u32_e32 v73, 1, v73
	v_cmp_lt_u32_e32 vcc, 10, v73
	v_add_u32_e32 v74, 8, v74
	v_add_u32_e32 v75, 8, v75
	s_or_b64 s[8:9], vcc, s[8:9]
	s_waitcnt vmcnt(1) lgkmcnt(0)
	v_mul_f32_e32 v81, v78, v79
	v_mul_f32_e32 v79, v77, v79
	s_waitcnt vmcnt(0)
	v_fma_f32 v77, v77, v80, -v81
	v_fmac_f32_e32 v79, v78, v80
	v_add_f32_e32 v76, v76, v77
	v_add_f32_e32 v70, v70, v79
	s_andn2_b64 exec, exec, s[8:9]
	s_cbranch_execnz .LBB97_61
; %bb.62:
	s_or_b64 exec, exec, s[8:9]
	v_mov_b32_e32 v73, 0
	ds_read_b64 v[73:74], v73 offset:96
	s_waitcnt lgkmcnt(0)
	v_mul_f32_e32 v75, v70, v74
	v_mul_f32_e32 v74, v76, v74
	v_fma_f32 v75, v76, v73, -v75
	v_fmac_f32_e32 v74, v70, v73
	buffer_store_dword v75, off, s[0:3], 0 offset:96
	buffer_store_dword v74, off, s[0:3], 0 offset:100
.LBB97_63:
	s_or_b64 exec, exec, s[4:5]
	; wave barrier
	buffer_load_dword v73, off, s[0:3], 0 offset:104
	buffer_load_dword v74, off, s[0:3], 0 offset:108
	v_cmp_gt_u32_e32 vcc, 13, v0
	s_waitcnt vmcnt(0)
	ds_write_b64 v72, v[73:74]
	s_waitcnt lgkmcnt(0)
	; wave barrier
	s_and_saveexec_b64 s[4:5], vcc
	s_cbranch_execz .LBB97_67
; %bb.64:
	v_add_u32_e32 v73, -1, v0
	v_add_u32_e32 v74, 0x110, v71
	v_mov_b32_e32 v75, v71
	v_mov_b32_e32 v70, 0
	s_mov_b64 s[8:9], 0
	v_mov_b32_e32 v76, 0
.LBB97_65:                              ; =>This Inner Loop Header: Depth=1
	buffer_load_dword v79, v75, s[0:3], 0 offen offset:4
	buffer_load_dword v80, v75, s[0:3], 0 offen
	ds_read_b64 v[77:78], v74
	v_add_u32_e32 v73, 1, v73
	v_cmp_lt_u32_e32 vcc, 11, v73
	v_add_u32_e32 v74, 8, v74
	v_add_u32_e32 v75, 8, v75
	s_or_b64 s[8:9], vcc, s[8:9]
	s_waitcnt vmcnt(1) lgkmcnt(0)
	v_mul_f32_e32 v81, v78, v79
	v_mul_f32_e32 v79, v77, v79
	s_waitcnt vmcnt(0)
	v_fma_f32 v77, v77, v80, -v81
	v_fmac_f32_e32 v79, v78, v80
	v_add_f32_e32 v76, v76, v77
	v_add_f32_e32 v70, v70, v79
	s_andn2_b64 exec, exec, s[8:9]
	s_cbranch_execnz .LBB97_65
; %bb.66:
	s_or_b64 exec, exec, s[8:9]
	v_mov_b32_e32 v73, 0
	ds_read_b64 v[73:74], v73 offset:104
	s_waitcnt lgkmcnt(0)
	v_mul_f32_e32 v75, v70, v74
	v_mul_f32_e32 v74, v76, v74
	v_fma_f32 v75, v76, v73, -v75
	v_fmac_f32_e32 v74, v70, v73
	buffer_store_dword v75, off, s[0:3], 0 offset:104
	buffer_store_dword v74, off, s[0:3], 0 offset:108
.LBB97_67:
	s_or_b64 exec, exec, s[4:5]
	; wave barrier
	buffer_load_dword v73, off, s[0:3], 0 offset:112
	buffer_load_dword v74, off, s[0:3], 0 offset:116
	v_cmp_gt_u32_e32 vcc, 14, v0
	s_waitcnt vmcnt(0)
	ds_write_b64 v72, v[73:74]
	s_waitcnt lgkmcnt(0)
	; wave barrier
	s_and_saveexec_b64 s[4:5], vcc
	s_cbranch_execz .LBB97_71
; %bb.68:
	v_add_u32_e32 v73, -1, v0
	v_add_u32_e32 v74, 0x110, v71
	v_mov_b32_e32 v75, v71
	v_mov_b32_e32 v70, 0
	s_mov_b64 s[8:9], 0
	v_mov_b32_e32 v76, 0
.LBB97_69:                              ; =>This Inner Loop Header: Depth=1
	buffer_load_dword v79, v75, s[0:3], 0 offen offset:4
	buffer_load_dword v80, v75, s[0:3], 0 offen
	ds_read_b64 v[77:78], v74
	v_add_u32_e32 v73, 1, v73
	v_cmp_lt_u32_e32 vcc, 12, v73
	v_add_u32_e32 v74, 8, v74
	v_add_u32_e32 v75, 8, v75
	s_or_b64 s[8:9], vcc, s[8:9]
	s_waitcnt vmcnt(1) lgkmcnt(0)
	v_mul_f32_e32 v81, v78, v79
	v_mul_f32_e32 v79, v77, v79
	s_waitcnt vmcnt(0)
	v_fma_f32 v77, v77, v80, -v81
	v_fmac_f32_e32 v79, v78, v80
	v_add_f32_e32 v76, v76, v77
	v_add_f32_e32 v70, v70, v79
	s_andn2_b64 exec, exec, s[8:9]
	s_cbranch_execnz .LBB97_69
; %bb.70:
	s_or_b64 exec, exec, s[8:9]
	v_mov_b32_e32 v73, 0
	ds_read_b64 v[73:74], v73 offset:112
	s_waitcnt lgkmcnt(0)
	v_mul_f32_e32 v75, v70, v74
	v_mul_f32_e32 v74, v76, v74
	v_fma_f32 v75, v76, v73, -v75
	v_fmac_f32_e32 v74, v70, v73
	buffer_store_dword v75, off, s[0:3], 0 offset:112
	buffer_store_dword v74, off, s[0:3], 0 offset:116
.LBB97_71:
	s_or_b64 exec, exec, s[4:5]
	; wave barrier
	buffer_load_dword v73, off, s[0:3], 0 offset:120
	buffer_load_dword v74, off, s[0:3], 0 offset:124
	v_cmp_gt_u32_e32 vcc, 15, v0
	s_waitcnt vmcnt(0)
	ds_write_b64 v72, v[73:74]
	s_waitcnt lgkmcnt(0)
	; wave barrier
	s_and_saveexec_b64 s[4:5], vcc
	s_cbranch_execz .LBB97_75
; %bb.72:
	v_add_u32_e32 v73, -1, v0
	v_add_u32_e32 v74, 0x110, v71
	v_mov_b32_e32 v75, v71
	v_mov_b32_e32 v70, 0
	s_mov_b64 s[8:9], 0
	v_mov_b32_e32 v76, 0
.LBB97_73:                              ; =>This Inner Loop Header: Depth=1
	buffer_load_dword v79, v75, s[0:3], 0 offen offset:4
	buffer_load_dword v80, v75, s[0:3], 0 offen
	ds_read_b64 v[77:78], v74
	v_add_u32_e32 v73, 1, v73
	v_cmp_lt_u32_e32 vcc, 13, v73
	v_add_u32_e32 v74, 8, v74
	v_add_u32_e32 v75, 8, v75
	s_or_b64 s[8:9], vcc, s[8:9]
	s_waitcnt vmcnt(1) lgkmcnt(0)
	v_mul_f32_e32 v81, v78, v79
	v_mul_f32_e32 v79, v77, v79
	s_waitcnt vmcnt(0)
	v_fma_f32 v77, v77, v80, -v81
	v_fmac_f32_e32 v79, v78, v80
	v_add_f32_e32 v76, v76, v77
	v_add_f32_e32 v70, v70, v79
	s_andn2_b64 exec, exec, s[8:9]
	s_cbranch_execnz .LBB97_73
; %bb.74:
	s_or_b64 exec, exec, s[8:9]
	v_mov_b32_e32 v73, 0
	ds_read_b64 v[73:74], v73 offset:120
	s_waitcnt lgkmcnt(0)
	v_mul_f32_e32 v75, v70, v74
	v_mul_f32_e32 v74, v76, v74
	v_fma_f32 v75, v76, v73, -v75
	v_fmac_f32_e32 v74, v70, v73
	buffer_store_dword v75, off, s[0:3], 0 offset:120
	buffer_store_dword v74, off, s[0:3], 0 offset:124
.LBB97_75:
	s_or_b64 exec, exec, s[4:5]
	; wave barrier
	buffer_load_dword v73, off, s[0:3], 0 offset:128
	buffer_load_dword v74, off, s[0:3], 0 offset:132
	v_cmp_gt_u32_e32 vcc, 16, v0
	s_waitcnt vmcnt(0)
	ds_write_b64 v72, v[73:74]
	s_waitcnt lgkmcnt(0)
	; wave barrier
	s_and_saveexec_b64 s[4:5], vcc
	s_cbranch_execz .LBB97_79
; %bb.76:
	v_add_u32_e32 v73, -1, v0
	v_add_u32_e32 v74, 0x110, v71
	v_mov_b32_e32 v75, v71
	v_mov_b32_e32 v70, 0
	s_mov_b64 s[8:9], 0
	v_mov_b32_e32 v76, 0
.LBB97_77:                              ; =>This Inner Loop Header: Depth=1
	buffer_load_dword v79, v75, s[0:3], 0 offen offset:4
	buffer_load_dword v80, v75, s[0:3], 0 offen
	ds_read_b64 v[77:78], v74
	v_add_u32_e32 v73, 1, v73
	v_cmp_lt_u32_e32 vcc, 14, v73
	v_add_u32_e32 v74, 8, v74
	v_add_u32_e32 v75, 8, v75
	s_or_b64 s[8:9], vcc, s[8:9]
	s_waitcnt vmcnt(1) lgkmcnt(0)
	v_mul_f32_e32 v81, v78, v79
	v_mul_f32_e32 v79, v77, v79
	s_waitcnt vmcnt(0)
	v_fma_f32 v77, v77, v80, -v81
	v_fmac_f32_e32 v79, v78, v80
	v_add_f32_e32 v76, v76, v77
	v_add_f32_e32 v70, v70, v79
	s_andn2_b64 exec, exec, s[8:9]
	s_cbranch_execnz .LBB97_77
; %bb.78:
	s_or_b64 exec, exec, s[8:9]
	v_mov_b32_e32 v73, 0
	ds_read_b64 v[73:74], v73 offset:128
	s_waitcnt lgkmcnt(0)
	v_mul_f32_e32 v75, v70, v74
	v_mul_f32_e32 v74, v76, v74
	v_fma_f32 v75, v76, v73, -v75
	v_fmac_f32_e32 v74, v70, v73
	buffer_store_dword v75, off, s[0:3], 0 offset:128
	buffer_store_dword v74, off, s[0:3], 0 offset:132
.LBB97_79:
	s_or_b64 exec, exec, s[4:5]
	; wave barrier
	buffer_load_dword v73, off, s[0:3], 0 offset:136
	buffer_load_dword v74, off, s[0:3], 0 offset:140
	v_cmp_gt_u32_e32 vcc, 17, v0
	s_waitcnt vmcnt(0)
	ds_write_b64 v72, v[73:74]
	s_waitcnt lgkmcnt(0)
	; wave barrier
	s_and_saveexec_b64 s[4:5], vcc
	s_cbranch_execz .LBB97_83
; %bb.80:
	v_add_u32_e32 v73, -1, v0
	v_add_u32_e32 v74, 0x110, v71
	v_mov_b32_e32 v75, v71
	v_mov_b32_e32 v70, 0
	s_mov_b64 s[8:9], 0
	v_mov_b32_e32 v76, 0
.LBB97_81:                              ; =>This Inner Loop Header: Depth=1
	buffer_load_dword v79, v75, s[0:3], 0 offen offset:4
	buffer_load_dword v80, v75, s[0:3], 0 offen
	ds_read_b64 v[77:78], v74
	v_add_u32_e32 v73, 1, v73
	v_cmp_lt_u32_e32 vcc, 15, v73
	v_add_u32_e32 v74, 8, v74
	v_add_u32_e32 v75, 8, v75
	s_or_b64 s[8:9], vcc, s[8:9]
	s_waitcnt vmcnt(1) lgkmcnt(0)
	v_mul_f32_e32 v81, v78, v79
	v_mul_f32_e32 v79, v77, v79
	s_waitcnt vmcnt(0)
	v_fma_f32 v77, v77, v80, -v81
	v_fmac_f32_e32 v79, v78, v80
	v_add_f32_e32 v76, v76, v77
	v_add_f32_e32 v70, v70, v79
	s_andn2_b64 exec, exec, s[8:9]
	s_cbranch_execnz .LBB97_81
; %bb.82:
	s_or_b64 exec, exec, s[8:9]
	v_mov_b32_e32 v73, 0
	ds_read_b64 v[73:74], v73 offset:136
	s_waitcnt lgkmcnt(0)
	v_mul_f32_e32 v75, v70, v74
	v_mul_f32_e32 v74, v76, v74
	v_fma_f32 v75, v76, v73, -v75
	v_fmac_f32_e32 v74, v70, v73
	buffer_store_dword v75, off, s[0:3], 0 offset:136
	buffer_store_dword v74, off, s[0:3], 0 offset:140
.LBB97_83:
	s_or_b64 exec, exec, s[4:5]
	; wave barrier
	buffer_load_dword v73, off, s[0:3], 0 offset:144
	buffer_load_dword v74, off, s[0:3], 0 offset:148
	v_cmp_gt_u32_e32 vcc, 18, v0
	s_waitcnt vmcnt(0)
	ds_write_b64 v72, v[73:74]
	s_waitcnt lgkmcnt(0)
	; wave barrier
	s_and_saveexec_b64 s[4:5], vcc
	s_cbranch_execz .LBB97_87
; %bb.84:
	v_add_u32_e32 v73, -1, v0
	v_add_u32_e32 v74, 0x110, v71
	v_mov_b32_e32 v75, v71
	v_mov_b32_e32 v70, 0
	s_mov_b64 s[8:9], 0
	v_mov_b32_e32 v76, 0
.LBB97_85:                              ; =>This Inner Loop Header: Depth=1
	buffer_load_dword v79, v75, s[0:3], 0 offen offset:4
	buffer_load_dword v80, v75, s[0:3], 0 offen
	ds_read_b64 v[77:78], v74
	v_add_u32_e32 v73, 1, v73
	v_cmp_lt_u32_e32 vcc, 16, v73
	v_add_u32_e32 v74, 8, v74
	v_add_u32_e32 v75, 8, v75
	s_or_b64 s[8:9], vcc, s[8:9]
	s_waitcnt vmcnt(1) lgkmcnt(0)
	v_mul_f32_e32 v81, v78, v79
	v_mul_f32_e32 v79, v77, v79
	s_waitcnt vmcnt(0)
	v_fma_f32 v77, v77, v80, -v81
	v_fmac_f32_e32 v79, v78, v80
	v_add_f32_e32 v76, v76, v77
	v_add_f32_e32 v70, v70, v79
	s_andn2_b64 exec, exec, s[8:9]
	s_cbranch_execnz .LBB97_85
; %bb.86:
	s_or_b64 exec, exec, s[8:9]
	v_mov_b32_e32 v73, 0
	ds_read_b64 v[73:74], v73 offset:144
	s_waitcnt lgkmcnt(0)
	v_mul_f32_e32 v75, v70, v74
	v_mul_f32_e32 v74, v76, v74
	v_fma_f32 v75, v76, v73, -v75
	v_fmac_f32_e32 v74, v70, v73
	buffer_store_dword v75, off, s[0:3], 0 offset:144
	buffer_store_dword v74, off, s[0:3], 0 offset:148
.LBB97_87:
	s_or_b64 exec, exec, s[4:5]
	; wave barrier
	buffer_load_dword v73, off, s[0:3], 0 offset:152
	buffer_load_dword v74, off, s[0:3], 0 offset:156
	v_cmp_gt_u32_e32 vcc, 19, v0
	s_waitcnt vmcnt(0)
	ds_write_b64 v72, v[73:74]
	s_waitcnt lgkmcnt(0)
	; wave barrier
	s_and_saveexec_b64 s[4:5], vcc
	s_cbranch_execz .LBB97_91
; %bb.88:
	v_add_u32_e32 v73, -1, v0
	v_add_u32_e32 v74, 0x110, v71
	v_mov_b32_e32 v75, v71
	v_mov_b32_e32 v70, 0
	s_mov_b64 s[8:9], 0
	v_mov_b32_e32 v76, 0
.LBB97_89:                              ; =>This Inner Loop Header: Depth=1
	buffer_load_dword v79, v75, s[0:3], 0 offen offset:4
	buffer_load_dword v80, v75, s[0:3], 0 offen
	ds_read_b64 v[77:78], v74
	v_add_u32_e32 v73, 1, v73
	v_cmp_lt_u32_e32 vcc, 17, v73
	v_add_u32_e32 v74, 8, v74
	v_add_u32_e32 v75, 8, v75
	s_or_b64 s[8:9], vcc, s[8:9]
	s_waitcnt vmcnt(1) lgkmcnt(0)
	v_mul_f32_e32 v81, v78, v79
	v_mul_f32_e32 v79, v77, v79
	s_waitcnt vmcnt(0)
	v_fma_f32 v77, v77, v80, -v81
	v_fmac_f32_e32 v79, v78, v80
	v_add_f32_e32 v76, v76, v77
	v_add_f32_e32 v70, v70, v79
	s_andn2_b64 exec, exec, s[8:9]
	s_cbranch_execnz .LBB97_89
; %bb.90:
	s_or_b64 exec, exec, s[8:9]
	v_mov_b32_e32 v73, 0
	ds_read_b64 v[73:74], v73 offset:152
	s_waitcnt lgkmcnt(0)
	v_mul_f32_e32 v75, v70, v74
	v_mul_f32_e32 v74, v76, v74
	v_fma_f32 v75, v76, v73, -v75
	v_fmac_f32_e32 v74, v70, v73
	buffer_store_dword v75, off, s[0:3], 0 offset:152
	buffer_store_dword v74, off, s[0:3], 0 offset:156
.LBB97_91:
	s_or_b64 exec, exec, s[4:5]
	; wave barrier
	buffer_load_dword v73, off, s[0:3], 0 offset:160
	buffer_load_dword v74, off, s[0:3], 0 offset:164
	v_cmp_gt_u32_e32 vcc, 20, v0
	s_waitcnt vmcnt(0)
	ds_write_b64 v72, v[73:74]
	s_waitcnt lgkmcnt(0)
	; wave barrier
	s_and_saveexec_b64 s[4:5], vcc
	s_cbranch_execz .LBB97_95
; %bb.92:
	v_add_u32_e32 v73, -1, v0
	v_add_u32_e32 v74, 0x110, v71
	v_mov_b32_e32 v75, v71
	v_mov_b32_e32 v70, 0
	s_mov_b64 s[8:9], 0
	v_mov_b32_e32 v76, 0
.LBB97_93:                              ; =>This Inner Loop Header: Depth=1
	buffer_load_dword v79, v75, s[0:3], 0 offen offset:4
	buffer_load_dword v80, v75, s[0:3], 0 offen
	ds_read_b64 v[77:78], v74
	v_add_u32_e32 v73, 1, v73
	v_cmp_lt_u32_e32 vcc, 18, v73
	v_add_u32_e32 v74, 8, v74
	v_add_u32_e32 v75, 8, v75
	s_or_b64 s[8:9], vcc, s[8:9]
	s_waitcnt vmcnt(1) lgkmcnt(0)
	v_mul_f32_e32 v81, v78, v79
	v_mul_f32_e32 v79, v77, v79
	s_waitcnt vmcnt(0)
	v_fma_f32 v77, v77, v80, -v81
	v_fmac_f32_e32 v79, v78, v80
	v_add_f32_e32 v76, v76, v77
	v_add_f32_e32 v70, v70, v79
	s_andn2_b64 exec, exec, s[8:9]
	s_cbranch_execnz .LBB97_93
; %bb.94:
	s_or_b64 exec, exec, s[8:9]
	v_mov_b32_e32 v73, 0
	ds_read_b64 v[73:74], v73 offset:160
	s_waitcnt lgkmcnt(0)
	v_mul_f32_e32 v75, v70, v74
	v_mul_f32_e32 v74, v76, v74
	v_fma_f32 v75, v76, v73, -v75
	v_fmac_f32_e32 v74, v70, v73
	buffer_store_dword v75, off, s[0:3], 0 offset:160
	buffer_store_dword v74, off, s[0:3], 0 offset:164
.LBB97_95:
	s_or_b64 exec, exec, s[4:5]
	; wave barrier
	buffer_load_dword v73, off, s[0:3], 0 offset:168
	buffer_load_dword v74, off, s[0:3], 0 offset:172
	v_cmp_gt_u32_e32 vcc, 21, v0
	s_waitcnt vmcnt(0)
	ds_write_b64 v72, v[73:74]
	s_waitcnt lgkmcnt(0)
	; wave barrier
	s_and_saveexec_b64 s[4:5], vcc
	s_cbranch_execz .LBB97_99
; %bb.96:
	v_add_u32_e32 v73, -1, v0
	v_add_u32_e32 v74, 0x110, v71
	v_mov_b32_e32 v75, v71
	v_mov_b32_e32 v70, 0
	s_mov_b64 s[8:9], 0
	v_mov_b32_e32 v76, 0
.LBB97_97:                              ; =>This Inner Loop Header: Depth=1
	buffer_load_dword v79, v75, s[0:3], 0 offen offset:4
	buffer_load_dword v80, v75, s[0:3], 0 offen
	ds_read_b64 v[77:78], v74
	v_add_u32_e32 v73, 1, v73
	v_cmp_lt_u32_e32 vcc, 19, v73
	v_add_u32_e32 v74, 8, v74
	v_add_u32_e32 v75, 8, v75
	s_or_b64 s[8:9], vcc, s[8:9]
	s_waitcnt vmcnt(1) lgkmcnt(0)
	v_mul_f32_e32 v81, v78, v79
	v_mul_f32_e32 v79, v77, v79
	s_waitcnt vmcnt(0)
	v_fma_f32 v77, v77, v80, -v81
	v_fmac_f32_e32 v79, v78, v80
	v_add_f32_e32 v76, v76, v77
	v_add_f32_e32 v70, v70, v79
	s_andn2_b64 exec, exec, s[8:9]
	s_cbranch_execnz .LBB97_97
; %bb.98:
	s_or_b64 exec, exec, s[8:9]
	v_mov_b32_e32 v73, 0
	ds_read_b64 v[73:74], v73 offset:168
	s_waitcnt lgkmcnt(0)
	v_mul_f32_e32 v75, v70, v74
	v_mul_f32_e32 v74, v76, v74
	v_fma_f32 v75, v76, v73, -v75
	v_fmac_f32_e32 v74, v70, v73
	buffer_store_dword v75, off, s[0:3], 0 offset:168
	buffer_store_dword v74, off, s[0:3], 0 offset:172
.LBB97_99:
	s_or_b64 exec, exec, s[4:5]
	; wave barrier
	buffer_load_dword v73, off, s[0:3], 0 offset:176
	buffer_load_dword v74, off, s[0:3], 0 offset:180
	v_cmp_gt_u32_e32 vcc, 22, v0
	s_waitcnt vmcnt(0)
	ds_write_b64 v72, v[73:74]
	s_waitcnt lgkmcnt(0)
	; wave barrier
	s_and_saveexec_b64 s[4:5], vcc
	s_cbranch_execz .LBB97_103
; %bb.100:
	v_add_u32_e32 v73, -1, v0
	v_add_u32_e32 v74, 0x110, v71
	v_mov_b32_e32 v75, v71
	v_mov_b32_e32 v70, 0
	s_mov_b64 s[8:9], 0
	v_mov_b32_e32 v76, 0
.LBB97_101:                             ; =>This Inner Loop Header: Depth=1
	buffer_load_dword v79, v75, s[0:3], 0 offen offset:4
	buffer_load_dword v80, v75, s[0:3], 0 offen
	ds_read_b64 v[77:78], v74
	v_add_u32_e32 v73, 1, v73
	v_cmp_lt_u32_e32 vcc, 20, v73
	v_add_u32_e32 v74, 8, v74
	v_add_u32_e32 v75, 8, v75
	s_or_b64 s[8:9], vcc, s[8:9]
	s_waitcnt vmcnt(1) lgkmcnt(0)
	v_mul_f32_e32 v81, v78, v79
	v_mul_f32_e32 v79, v77, v79
	s_waitcnt vmcnt(0)
	v_fma_f32 v77, v77, v80, -v81
	v_fmac_f32_e32 v79, v78, v80
	v_add_f32_e32 v76, v76, v77
	v_add_f32_e32 v70, v70, v79
	s_andn2_b64 exec, exec, s[8:9]
	s_cbranch_execnz .LBB97_101
; %bb.102:
	s_or_b64 exec, exec, s[8:9]
	v_mov_b32_e32 v73, 0
	ds_read_b64 v[73:74], v73 offset:176
	s_waitcnt lgkmcnt(0)
	v_mul_f32_e32 v75, v70, v74
	v_mul_f32_e32 v74, v76, v74
	v_fma_f32 v75, v76, v73, -v75
	v_fmac_f32_e32 v74, v70, v73
	buffer_store_dword v75, off, s[0:3], 0 offset:176
	buffer_store_dword v74, off, s[0:3], 0 offset:180
.LBB97_103:
	s_or_b64 exec, exec, s[4:5]
	; wave barrier
	buffer_load_dword v73, off, s[0:3], 0 offset:184
	buffer_load_dword v74, off, s[0:3], 0 offset:188
	v_cmp_gt_u32_e32 vcc, 23, v0
	s_waitcnt vmcnt(0)
	ds_write_b64 v72, v[73:74]
	s_waitcnt lgkmcnt(0)
	; wave barrier
	s_and_saveexec_b64 s[4:5], vcc
	s_cbranch_execz .LBB97_107
; %bb.104:
	v_add_u32_e32 v73, -1, v0
	v_add_u32_e32 v74, 0x110, v71
	v_mov_b32_e32 v75, v71
	v_mov_b32_e32 v70, 0
	s_mov_b64 s[8:9], 0
	v_mov_b32_e32 v76, 0
.LBB97_105:                             ; =>This Inner Loop Header: Depth=1
	buffer_load_dword v79, v75, s[0:3], 0 offen offset:4
	buffer_load_dword v80, v75, s[0:3], 0 offen
	ds_read_b64 v[77:78], v74
	v_add_u32_e32 v73, 1, v73
	v_cmp_lt_u32_e32 vcc, 21, v73
	v_add_u32_e32 v74, 8, v74
	v_add_u32_e32 v75, 8, v75
	s_or_b64 s[8:9], vcc, s[8:9]
	s_waitcnt vmcnt(1) lgkmcnt(0)
	v_mul_f32_e32 v81, v78, v79
	v_mul_f32_e32 v79, v77, v79
	s_waitcnt vmcnt(0)
	v_fma_f32 v77, v77, v80, -v81
	v_fmac_f32_e32 v79, v78, v80
	v_add_f32_e32 v76, v76, v77
	v_add_f32_e32 v70, v70, v79
	s_andn2_b64 exec, exec, s[8:9]
	s_cbranch_execnz .LBB97_105
; %bb.106:
	s_or_b64 exec, exec, s[8:9]
	v_mov_b32_e32 v73, 0
	ds_read_b64 v[73:74], v73 offset:184
	s_waitcnt lgkmcnt(0)
	v_mul_f32_e32 v75, v70, v74
	v_mul_f32_e32 v74, v76, v74
	v_fma_f32 v75, v76, v73, -v75
	v_fmac_f32_e32 v74, v70, v73
	buffer_store_dword v75, off, s[0:3], 0 offset:184
	buffer_store_dword v74, off, s[0:3], 0 offset:188
.LBB97_107:
	s_or_b64 exec, exec, s[4:5]
	; wave barrier
	buffer_load_dword v73, off, s[0:3], 0 offset:192
	buffer_load_dword v74, off, s[0:3], 0 offset:196
	v_cmp_gt_u32_e32 vcc, 24, v0
	s_waitcnt vmcnt(0)
	ds_write_b64 v72, v[73:74]
	;; [unrolled: 49-line block ×10, first 2 shown]
	s_waitcnt lgkmcnt(0)
	; wave barrier
	s_and_saveexec_b64 s[4:5], vcc
	s_cbranch_execz .LBB97_143
; %bb.140:
	v_add_u32_e32 v73, -1, v0
	v_add_u32_e32 v74, 0x110, v71
	v_mov_b32_e32 v75, v71
	v_mov_b32_e32 v70, 0
	s_mov_b64 s[8:9], 0
	v_mov_b32_e32 v76, 0
.LBB97_141:                             ; =>This Inner Loop Header: Depth=1
	buffer_load_dword v79, v75, s[0:3], 0 offen offset:4
	buffer_load_dword v80, v75, s[0:3], 0 offen
	ds_read_b64 v[77:78], v74
	v_add_u32_e32 v73, 1, v73
	v_cmp_lt_u32_e32 vcc, 30, v73
	v_add_u32_e32 v74, 8, v74
	v_add_u32_e32 v75, 8, v75
	s_or_b64 s[8:9], vcc, s[8:9]
	s_waitcnt vmcnt(1) lgkmcnt(0)
	v_mul_f32_e32 v81, v78, v79
	v_mul_f32_e32 v79, v77, v79
	s_waitcnt vmcnt(0)
	v_fma_f32 v77, v77, v80, -v81
	v_fmac_f32_e32 v79, v78, v80
	v_add_f32_e32 v76, v76, v77
	v_add_f32_e32 v70, v70, v79
	s_andn2_b64 exec, exec, s[8:9]
	s_cbranch_execnz .LBB97_141
; %bb.142:
	s_or_b64 exec, exec, s[8:9]
	v_mov_b32_e32 v73, 0
	ds_read_b64 v[73:74], v73 offset:256
	s_waitcnt lgkmcnt(0)
	v_mul_f32_e32 v75, v70, v74
	v_mul_f32_e32 v74, v76, v74
	v_fma_f32 v75, v76, v73, -v75
	v_fmac_f32_e32 v74, v70, v73
	buffer_store_dword v75, off, s[0:3], 0 offset:256
	buffer_store_dword v74, off, s[0:3], 0 offset:260
.LBB97_143:
	s_or_b64 exec, exec, s[4:5]
	; wave barrier
	buffer_load_dword v73, off, s[0:3], 0 offset:264
	buffer_load_dword v74, off, s[0:3], 0 offset:268
	v_cmp_ne_u32_e32 vcc, 33, v0
	s_waitcnt vmcnt(0)
	ds_write_b64 v72, v[73:74]
	s_waitcnt lgkmcnt(0)
	; wave barrier
	s_and_saveexec_b64 s[4:5], vcc
	s_cbranch_execz .LBB97_147
; %bb.144:
	v_add_u32_e32 v72, 0x110, v71
	v_mov_b32_e32 v70, 0
	s_mov_b64 s[8:9], 0
	v_mov_b32_e32 v73, 0
.LBB97_145:                             ; =>This Inner Loop Header: Depth=1
	buffer_load_dword v76, v71, s[0:3], 0 offen offset:4
	buffer_load_dword v77, v71, s[0:3], 0 offen
	ds_read_b64 v[74:75], v72
	v_add_u32_e32 v69, 1, v69
	v_cmp_lt_u32_e32 vcc, 31, v69
	v_add_u32_e32 v72, 8, v72
	v_add_u32_e32 v71, 8, v71
	s_or_b64 s[8:9], vcc, s[8:9]
	s_waitcnt vmcnt(1) lgkmcnt(0)
	v_mul_f32_e32 v78, v75, v76
	v_mul_f32_e32 v76, v74, v76
	s_waitcnt vmcnt(0)
	v_fma_f32 v74, v74, v77, -v78
	v_fmac_f32_e32 v76, v75, v77
	v_add_f32_e32 v73, v73, v74
	v_add_f32_e32 v70, v70, v76
	s_andn2_b64 exec, exec, s[8:9]
	s_cbranch_execnz .LBB97_145
; %bb.146:
	s_or_b64 exec, exec, s[8:9]
	v_mov_b32_e32 v69, 0
	ds_read_b64 v[71:72], v69 offset:264
	s_waitcnt lgkmcnt(0)
	v_mul_f32_e32 v69, v70, v72
	v_mul_f32_e32 v72, v73, v72
	v_fma_f32 v69, v73, v71, -v69
	v_fmac_f32_e32 v72, v70, v71
	buffer_store_dword v69, off, s[0:3], 0 offset:264
	buffer_store_dword v72, off, s[0:3], 0 offset:268
.LBB97_147:
	s_or_b64 exec, exec, s[4:5]
	s_mov_b64 s[8:9], -1
	; wave barrier
.LBB97_148:
	s_and_b64 vcc, exec, s[8:9]
	s_cbranch_vccz .LBB97_150
; %bb.149:
	s_lshl_b64 s[4:5], s[6:7], 2
	s_add_u32 s4, s10, s4
	s_addc_u32 s5, s11, s5
	v_mov_b32_e32 v69, 0
	global_load_dword v69, v69, s[4:5]
	s_waitcnt vmcnt(0)
	v_cmp_ne_u32_e32 vcc, 0, v69
	s_cbranch_vccz .LBB97_151
.LBB97_150:
	s_endpgm
.LBB97_151:
	v_mov_b32_e32 v69, 0x110
	v_lshl_add_u32 v69, v0, 3, v69
	v_cmp_eq_u32_e32 vcc, 33, v0
	s_and_saveexec_b64 s[4:5], vcc
	s_cbranch_execz .LBB97_153
; %bb.152:
	buffer_load_dword v70, off, s[0:3], 0 offset:256
	buffer_load_dword v71, off, s[0:3], 0 offset:260
	v_mov_b32_e32 v72, 0
	buffer_store_dword v72, off, s[0:3], 0 offset:256
	buffer_store_dword v72, off, s[0:3], 0 offset:260
	s_waitcnt vmcnt(2)
	ds_write_b64 v69, v[70:71]
.LBB97_153:
	s_or_b64 exec, exec, s[4:5]
	s_waitcnt lgkmcnt(0)
	; wave barrier
	buffer_load_dword v73, off, s[0:3], 0 offset:268
	buffer_load_dword v74, off, s[0:3], 0 offset:264
	;; [unrolled: 1-line block ×4, first 2 shown]
	v_mov_b32_e32 v70, 0
	ds_read_b64 v[71:72], v70 offset:536
	v_cmp_lt_u32_e32 vcc, 31, v0
	s_waitcnt vmcnt(3) lgkmcnt(0)
	v_mul_f32_e32 v77, v71, v73
	v_mul_f32_e32 v73, v72, v73
	s_waitcnt vmcnt(2)
	v_fma_f32 v71, v71, v74, -v73
	v_fmac_f32_e32 v77, v72, v74
	v_add_f32_e32 v71, 0, v71
	v_add_f32_e32 v72, 0, v77
	s_waitcnt vmcnt(1)
	v_sub_f32_e32 v71, v75, v71
	s_waitcnt vmcnt(0)
	v_sub_f32_e32 v72, v76, v72
	buffer_store_dword v71, off, s[0:3], 0 offset:256
	buffer_store_dword v72, off, s[0:3], 0 offset:260
	s_and_saveexec_b64 s[4:5], vcc
	s_cbranch_execz .LBB97_155
; %bb.154:
	buffer_load_dword v71, off, s[0:3], 0 offset:248
	buffer_load_dword v72, off, s[0:3], 0 offset:252
	s_waitcnt vmcnt(0)
	ds_write_b64 v69, v[71:72]
	buffer_store_dword v70, off, s[0:3], 0 offset:248
	buffer_store_dword v70, off, s[0:3], 0 offset:252
.LBB97_155:
	s_or_b64 exec, exec, s[4:5]
	s_waitcnt lgkmcnt(0)
	; wave barrier
	buffer_load_dword v74, off, s[0:3], 0 offset:260
	buffer_load_dword v75, off, s[0:3], 0 offset:268
	;; [unrolled: 1-line block ×6, first 2 shown]
	ds_read_b128 v[70:73], v70 offset:528
	v_cmp_lt_u32_e32 vcc, 30, v0
	s_waitcnt vmcnt(5) lgkmcnt(0)
	v_mul_f32_e32 v80, v70, v74
	v_mul_f32_e32 v74, v71, v74
	s_waitcnt vmcnt(4)
	v_mul_f32_e32 v81, v72, v75
	v_mul_f32_e32 v75, v73, v75
	s_waitcnt vmcnt(3)
	v_fma_f32 v70, v70, v76, -v74
	v_fmac_f32_e32 v80, v71, v76
	s_waitcnt vmcnt(2)
	v_fma_f32 v71, v72, v77, -v75
	v_add_f32_e32 v70, 0, v70
	v_fmac_f32_e32 v81, v73, v77
	v_add_f32_e32 v72, 0, v80
	v_add_f32_e32 v70, v70, v71
	;; [unrolled: 1-line block ×3, first 2 shown]
	s_waitcnt vmcnt(1)
	v_sub_f32_e32 v70, v78, v70
	s_waitcnt vmcnt(0)
	v_sub_f32_e32 v71, v79, v72
	buffer_store_dword v70, off, s[0:3], 0 offset:248
	buffer_store_dword v71, off, s[0:3], 0 offset:252
	s_and_saveexec_b64 s[4:5], vcc
	s_cbranch_execz .LBB97_157
; %bb.156:
	buffer_load_dword v70, off, s[0:3], 0 offset:240
	buffer_load_dword v71, off, s[0:3], 0 offset:244
	v_mov_b32_e32 v72, 0
	buffer_store_dword v72, off, s[0:3], 0 offset:240
	buffer_store_dword v72, off, s[0:3], 0 offset:244
	s_waitcnt vmcnt(2)
	ds_write_b64 v69, v[70:71]
.LBB97_157:
	s_or_b64 exec, exec, s[4:5]
	s_waitcnt lgkmcnt(0)
	; wave barrier
	buffer_load_dword v77, off, s[0:3], 0 offset:252
	buffer_load_dword v78, off, s[0:3], 0 offset:260
	;; [unrolled: 1-line block ×8, first 2 shown]
	v_mov_b32_e32 v70, 0
	ds_read2_b64 v[71:74], v70 offset0:65 offset1:66
	ds_read_b64 v[75:76], v70 offset:536
	v_cmp_lt_u32_e32 vcc, 29, v0
	s_waitcnt vmcnt(7) lgkmcnt(1)
	v_mul_f32_e32 v85, v71, v77
	v_mul_f32_e32 v77, v72, v77
	s_waitcnt vmcnt(6)
	v_mul_f32_e32 v86, v73, v78
	v_mul_f32_e32 v78, v74, v78
	s_waitcnt vmcnt(4)
	v_fma_f32 v71, v71, v80, -v77
	s_waitcnt lgkmcnt(0)
	v_mul_f32_e32 v87, v75, v79
	v_mul_f32_e32 v79, v76, v79
	v_fmac_f32_e32 v85, v72, v80
	s_waitcnt vmcnt(3)
	v_fma_f32 v72, v73, v81, -v78
	v_add_f32_e32 v71, 0, v71
	v_fmac_f32_e32 v86, v74, v81
	s_waitcnt vmcnt(2)
	v_fma_f32 v73, v75, v82, -v79
	v_add_f32_e32 v74, 0, v85
	v_add_f32_e32 v71, v71, v72
	v_fmac_f32_e32 v87, v76, v82
	v_add_f32_e32 v74, v74, v86
	v_add_f32_e32 v71, v71, v73
	;; [unrolled: 1-line block ×3, first 2 shown]
	s_waitcnt vmcnt(1)
	v_sub_f32_e32 v71, v83, v71
	s_waitcnt vmcnt(0)
	v_sub_f32_e32 v72, v84, v72
	buffer_store_dword v71, off, s[0:3], 0 offset:240
	buffer_store_dword v72, off, s[0:3], 0 offset:244
	s_and_saveexec_b64 s[4:5], vcc
	s_cbranch_execz .LBB97_159
; %bb.158:
	buffer_load_dword v71, off, s[0:3], 0 offset:232
	buffer_load_dword v72, off, s[0:3], 0 offset:236
	s_waitcnt vmcnt(0)
	ds_write_b64 v69, v[71:72]
	buffer_store_dword v70, off, s[0:3], 0 offset:232
	buffer_store_dword v70, off, s[0:3], 0 offset:236
.LBB97_159:
	s_or_b64 exec, exec, s[4:5]
	s_waitcnt lgkmcnt(0)
	; wave barrier
	buffer_load_dword v79, off, s[0:3], 0 offset:244
	buffer_load_dword v80, off, s[0:3], 0 offset:252
	;; [unrolled: 1-line block ×10, first 2 shown]
	ds_read_b128 v[71:74], v70 offset:512
	ds_read_b128 v[75:78], v70 offset:528
	v_cmp_lt_u32_e32 vcc, 28, v0
	s_waitcnt vmcnt(9) lgkmcnt(1)
	v_mul_f32_e32 v70, v71, v79
	v_mul_f32_e32 v79, v72, v79
	s_waitcnt vmcnt(8)
	v_mul_f32_e32 v89, v73, v80
	v_mul_f32_e32 v80, v74, v80
	s_waitcnt vmcnt(5)
	v_fma_f32 v71, v71, v83, -v79
	s_waitcnt lgkmcnt(0)
	v_mul_f32_e32 v90, v75, v81
	v_mul_f32_e32 v81, v76, v81
	v_fmac_f32_e32 v70, v72, v83
	s_waitcnt vmcnt(4)
	v_fma_f32 v72, v73, v84, -v80
	v_add_f32_e32 v71, 0, v71
	v_mul_f32_e32 v91, v77, v82
	v_mul_f32_e32 v82, v78, v82
	v_fmac_f32_e32 v89, v74, v84
	s_waitcnt vmcnt(3)
	v_fma_f32 v73, v75, v85, -v81
	v_add_f32_e32 v70, 0, v70
	v_add_f32_e32 v71, v71, v72
	v_fmac_f32_e32 v90, v76, v85
	s_waitcnt vmcnt(2)
	v_fma_f32 v74, v77, v86, -v82
	v_add_f32_e32 v70, v70, v89
	v_add_f32_e32 v71, v71, v73
	v_fmac_f32_e32 v91, v78, v86
	v_add_f32_e32 v70, v70, v90
	v_add_f32_e32 v71, v71, v74
	;; [unrolled: 1-line block ×3, first 2 shown]
	s_waitcnt vmcnt(1)
	v_sub_f32_e32 v71, v87, v71
	s_waitcnt vmcnt(0)
	v_sub_f32_e32 v70, v88, v70
	buffer_store_dword v71, off, s[0:3], 0 offset:232
	buffer_store_dword v70, off, s[0:3], 0 offset:236
	s_and_saveexec_b64 s[4:5], vcc
	s_cbranch_execz .LBB97_161
; %bb.160:
	buffer_load_dword v70, off, s[0:3], 0 offset:224
	buffer_load_dword v71, off, s[0:3], 0 offset:228
	v_mov_b32_e32 v72, 0
	buffer_store_dword v72, off, s[0:3], 0 offset:224
	buffer_store_dword v72, off, s[0:3], 0 offset:228
	s_waitcnt vmcnt(2)
	ds_write_b64 v69, v[70:71]
.LBB97_161:
	s_or_b64 exec, exec, s[4:5]
	s_waitcnt lgkmcnt(0)
	; wave barrier
	buffer_load_dword v81, off, s[0:3], 0 offset:236
	buffer_load_dword v82, off, s[0:3], 0 offset:244
	;; [unrolled: 1-line block ×12, first 2 shown]
	v_mov_b32_e32 v70, 0
	ds_read2_b64 v[71:74], v70 offset0:63 offset1:64
	ds_read2_b64 v[75:78], v70 offset0:65 offset1:66
	ds_read_b64 v[79:80], v70 offset:536
	v_cmp_lt_u32_e32 vcc, 27, v0
	s_waitcnt vmcnt(11) lgkmcnt(2)
	v_mul_f32_e32 v93, v71, v81
	v_mul_f32_e32 v81, v72, v81
	s_waitcnt vmcnt(10)
	v_mul_f32_e32 v94, v73, v82
	v_mul_f32_e32 v82, v74, v82
	s_waitcnt vmcnt(9) lgkmcnt(1)
	v_mul_f32_e32 v95, v75, v83
	s_waitcnt vmcnt(6)
	v_fma_f32 v71, v71, v86, -v81
	v_mul_f32_e32 v83, v76, v83
	v_fmac_f32_e32 v93, v72, v86
	s_waitcnt vmcnt(5)
	v_fma_f32 v72, v73, v87, -v82
	v_add_f32_e32 v71, 0, v71
	v_mul_f32_e32 v96, v77, v84
	v_mul_f32_e32 v84, v78, v84
	v_fmac_f32_e32 v94, v74, v87
	s_waitcnt vmcnt(4)
	v_fmac_f32_e32 v95, v76, v88
	v_fma_f32 v73, v75, v88, -v83
	v_add_f32_e32 v76, 0, v93
	v_add_f32_e32 v71, v71, v72
	s_waitcnt lgkmcnt(0)
	v_mul_f32_e32 v97, v79, v85
	v_mul_f32_e32 v85, v80, v85
	s_waitcnt vmcnt(3)
	v_fma_f32 v74, v77, v89, -v84
	v_add_f32_e32 v76, v76, v94
	v_add_f32_e32 v71, v71, v73
	v_fmac_f32_e32 v96, v78, v89
	s_waitcnt vmcnt(2)
	v_fma_f32 v75, v79, v90, -v85
	v_add_f32_e32 v72, v76, v95
	v_add_f32_e32 v71, v71, v74
	v_fmac_f32_e32 v97, v80, v90
	v_add_f32_e32 v72, v72, v96
	v_add_f32_e32 v71, v71, v75
	;; [unrolled: 1-line block ×3, first 2 shown]
	s_waitcnt vmcnt(1)
	v_sub_f32_e32 v71, v91, v71
	s_waitcnt vmcnt(0)
	v_sub_f32_e32 v72, v92, v72
	buffer_store_dword v71, off, s[0:3], 0 offset:224
	buffer_store_dword v72, off, s[0:3], 0 offset:228
	s_and_saveexec_b64 s[4:5], vcc
	s_cbranch_execz .LBB97_163
; %bb.162:
	buffer_load_dword v71, off, s[0:3], 0 offset:216
	buffer_load_dword v72, off, s[0:3], 0 offset:220
	s_waitcnt vmcnt(0)
	ds_write_b64 v69, v[71:72]
	buffer_store_dword v70, off, s[0:3], 0 offset:216
	buffer_store_dword v70, off, s[0:3], 0 offset:220
.LBB97_163:
	s_or_b64 exec, exec, s[4:5]
	s_waitcnt lgkmcnt(0)
	; wave barrier
	buffer_load_dword v83, off, s[0:3], 0 offset:228
	buffer_load_dword v84, off, s[0:3], 0 offset:236
	;; [unrolled: 1-line block ×14, first 2 shown]
	ds_read_b128 v[71:74], v70 offset:496
	ds_read_b128 v[75:78], v70 offset:512
	ds_read_b128 v[79:82], v70 offset:528
	v_cmp_lt_u32_e32 vcc, 26, v0
	s_waitcnt vmcnt(13) lgkmcnt(2)
	v_mul_f32_e32 v70, v71, v83
	v_mul_f32_e32 v83, v72, v83
	s_waitcnt vmcnt(12)
	v_mul_f32_e32 v97, v73, v84
	v_mul_f32_e32 v84, v74, v84
	s_waitcnt vmcnt(11) lgkmcnt(1)
	v_mul_f32_e32 v98, v75, v85
	v_mul_f32_e32 v85, v76, v85
	s_waitcnt vmcnt(7)
	v_fma_f32 v71, v71, v89, -v83
	v_fmac_f32_e32 v70, v72, v89
	s_waitcnt vmcnt(6)
	v_fma_f32 v72, v73, v90, -v84
	v_add_f32_e32 v71, 0, v71
	v_mul_f32_e32 v99, v77, v86
	v_mul_f32_e32 v86, v78, v86
	v_fmac_f32_e32 v97, v74, v90
	s_waitcnt vmcnt(5)
	v_fma_f32 v73, v75, v91, -v85
	v_add_f32_e32 v70, 0, v70
	v_add_f32_e32 v71, v71, v72
	s_waitcnt lgkmcnt(0)
	v_mul_f32_e32 v100, v79, v87
	v_mul_f32_e32 v87, v80, v87
	v_fmac_f32_e32 v98, v76, v91
	s_waitcnt vmcnt(4)
	v_fma_f32 v74, v77, v92, -v86
	v_add_f32_e32 v70, v70, v97
	v_add_f32_e32 v71, v71, v73
	v_mul_f32_e32 v101, v81, v88
	v_mul_f32_e32 v88, v82, v88
	v_fmac_f32_e32 v99, v78, v92
	s_waitcnt vmcnt(3)
	v_fma_f32 v75, v79, v93, -v87
	v_add_f32_e32 v70, v70, v98
	v_add_f32_e32 v71, v71, v74
	v_fmac_f32_e32 v100, v80, v93
	s_waitcnt vmcnt(2)
	v_fma_f32 v76, v81, v94, -v88
	v_add_f32_e32 v70, v70, v99
	v_add_f32_e32 v71, v71, v75
	v_fmac_f32_e32 v101, v82, v94
	v_add_f32_e32 v70, v70, v100
	v_add_f32_e32 v71, v71, v76
	;; [unrolled: 1-line block ×3, first 2 shown]
	s_waitcnt vmcnt(1)
	v_sub_f32_e32 v71, v95, v71
	s_waitcnt vmcnt(0)
	v_sub_f32_e32 v70, v96, v70
	buffer_store_dword v71, off, s[0:3], 0 offset:216
	buffer_store_dword v70, off, s[0:3], 0 offset:220
	s_and_saveexec_b64 s[4:5], vcc
	s_cbranch_execz .LBB97_165
; %bb.164:
	buffer_load_dword v70, off, s[0:3], 0 offset:208
	buffer_load_dword v71, off, s[0:3], 0 offset:212
	v_mov_b32_e32 v72, 0
	buffer_store_dword v72, off, s[0:3], 0 offset:208
	buffer_store_dword v72, off, s[0:3], 0 offset:212
	s_waitcnt vmcnt(2)
	ds_write_b64 v69, v[70:71]
.LBB97_165:
	s_or_b64 exec, exec, s[4:5]
	s_waitcnt lgkmcnt(0)
	; wave barrier
	buffer_load_dword v85, off, s[0:3], 0 offset:220
	buffer_load_dword v86, off, s[0:3], 0 offset:228
	;; [unrolled: 1-line block ×16, first 2 shown]
	v_mov_b32_e32 v70, 0
	ds_read2_b64 v[71:74], v70 offset0:61 offset1:62
	ds_read2_b64 v[75:78], v70 offset0:63 offset1:64
	ds_read2_b64 v[79:82], v70 offset0:65 offset1:66
	ds_read_b64 v[83:84], v70 offset:536
	v_cmp_lt_u32_e32 vcc, 25, v0
	s_waitcnt vmcnt(15) lgkmcnt(3)
	v_mul_f32_e32 v101, v71, v85
	v_mul_f32_e32 v85, v72, v85
	s_waitcnt vmcnt(14)
	v_mul_f32_e32 v102, v73, v86
	v_mul_f32_e32 v86, v74, v86
	s_waitcnt vmcnt(13) lgkmcnt(2)
	v_mul_f32_e32 v103, v75, v87
	s_waitcnt vmcnt(12)
	v_mul_f32_e32 v104, v77, v88
	v_mul_f32_e32 v87, v76, v87
	s_waitcnt vmcnt(8)
	v_fma_f32 v71, v71, v92, -v85
	v_fmac_f32_e32 v101, v72, v92
	s_waitcnt vmcnt(7)
	v_fma_f32 v72, v73, v93, -v86
	v_add_f32_e32 v71, 0, v71
	v_mul_f32_e32 v88, v78, v88
	v_fmac_f32_e32 v102, v74, v93
	s_waitcnt vmcnt(5)
	v_fmac_f32_e32 v104, v78, v95
	v_fma_f32 v73, v75, v94, -v87
	v_add_f32_e32 v78, 0, v101
	v_add_f32_e32 v71, v71, v72
	s_waitcnt lgkmcnt(1)
	v_mul_f32_e32 v105, v79, v89
	v_mul_f32_e32 v89, v80, v89
	v_fmac_f32_e32 v103, v76, v94
	v_fma_f32 v74, v77, v95, -v88
	v_add_f32_e32 v78, v78, v102
	v_add_f32_e32 v71, v71, v73
	v_mul_f32_e32 v106, v81, v90
	v_mul_f32_e32 v90, v82, v90
	s_waitcnt vmcnt(4)
	v_fma_f32 v75, v79, v96, -v89
	v_add_f32_e32 v72, v78, v103
	v_add_f32_e32 v71, v71, v74
	s_waitcnt lgkmcnt(0)
	v_mul_f32_e32 v107, v83, v91
	v_mul_f32_e32 v91, v84, v91
	v_fmac_f32_e32 v105, v80, v96
	s_waitcnt vmcnt(3)
	v_fma_f32 v76, v81, v97, -v90
	v_add_f32_e32 v72, v72, v104
	v_add_f32_e32 v71, v71, v75
	v_fmac_f32_e32 v106, v82, v97
	s_waitcnt vmcnt(2)
	v_fma_f32 v77, v83, v98, -v91
	v_add_f32_e32 v72, v72, v105
	v_add_f32_e32 v71, v71, v76
	v_fmac_f32_e32 v107, v84, v98
	v_add_f32_e32 v72, v72, v106
	v_add_f32_e32 v71, v71, v77
	;; [unrolled: 1-line block ×3, first 2 shown]
	s_waitcnt vmcnt(1)
	v_sub_f32_e32 v71, v99, v71
	s_waitcnt vmcnt(0)
	v_sub_f32_e32 v72, v100, v72
	buffer_store_dword v71, off, s[0:3], 0 offset:208
	buffer_store_dword v72, off, s[0:3], 0 offset:212
	s_and_saveexec_b64 s[4:5], vcc
	s_cbranch_execz .LBB97_167
; %bb.166:
	buffer_load_dword v71, off, s[0:3], 0 offset:200
	buffer_load_dword v72, off, s[0:3], 0 offset:204
	s_waitcnt vmcnt(0)
	ds_write_b64 v69, v[71:72]
	buffer_store_dword v70, off, s[0:3], 0 offset:200
	buffer_store_dword v70, off, s[0:3], 0 offset:204
.LBB97_167:
	s_or_b64 exec, exec, s[4:5]
	s_waitcnt lgkmcnt(0)
	; wave barrier
	buffer_load_dword v87, off, s[0:3], 0 offset:212
	buffer_load_dword v88, off, s[0:3], 0 offset:220
	;; [unrolled: 1-line block ×18, first 2 shown]
	ds_read_b128 v[71:74], v70 offset:480
	ds_read_b128 v[75:78], v70 offset:496
	;; [unrolled: 1-line block ×4, first 2 shown]
	v_cmp_lt_u32_e32 vcc, 24, v0
	s_waitcnt vmcnt(17) lgkmcnt(3)
	v_mul_f32_e32 v70, v71, v87
	v_mul_f32_e32 v87, v72, v87
	s_waitcnt vmcnt(16)
	v_mul_f32_e32 v105, v73, v88
	v_mul_f32_e32 v88, v74, v88
	s_waitcnt vmcnt(15) lgkmcnt(2)
	v_mul_f32_e32 v106, v75, v89
	v_mul_f32_e32 v89, v76, v89
	s_waitcnt vmcnt(14)
	v_mul_f32_e32 v107, v77, v90
	v_mul_f32_e32 v90, v78, v90
	s_waitcnt vmcnt(9)
	v_fma_f32 v71, v71, v95, -v87
	v_fmac_f32_e32 v70, v72, v95
	s_waitcnt vmcnt(8)
	v_fma_f32 v72, v73, v96, -v88
	v_add_f32_e32 v71, 0, v71
	v_fmac_f32_e32 v105, v74, v96
	s_waitcnt vmcnt(7)
	v_fma_f32 v73, v75, v97, -v89
	v_add_f32_e32 v70, 0, v70
	v_add_f32_e32 v71, v71, v72
	s_waitcnt lgkmcnt(1)
	v_mul_f32_e32 v108, v79, v91
	v_mul_f32_e32 v91, v80, v91
	v_fmac_f32_e32 v106, v76, v97
	s_waitcnt vmcnt(6)
	v_fma_f32 v74, v77, v98, -v90
	v_add_f32_e32 v70, v70, v105
	v_add_f32_e32 v71, v71, v73
	v_mul_f32_e32 v109, v81, v92
	v_mul_f32_e32 v92, v82, v92
	v_fmac_f32_e32 v107, v78, v98
	s_waitcnt vmcnt(5)
	v_fma_f32 v75, v79, v99, -v91
	v_add_f32_e32 v70, v70, v106
	v_add_f32_e32 v71, v71, v74
	s_waitcnt lgkmcnt(0)
	v_mul_f32_e32 v110, v83, v93
	v_mul_f32_e32 v93, v84, v93
	v_fmac_f32_e32 v108, v80, v99
	s_waitcnt vmcnt(4)
	v_fma_f32 v76, v81, v100, -v92
	v_add_f32_e32 v70, v70, v107
	v_add_f32_e32 v71, v71, v75
	v_mul_f32_e32 v111, v85, v94
	v_mul_f32_e32 v94, v86, v94
	v_fmac_f32_e32 v109, v82, v100
	s_waitcnt vmcnt(3)
	v_fma_f32 v77, v83, v101, -v93
	v_add_f32_e32 v70, v70, v108
	v_add_f32_e32 v71, v71, v76
	v_fmac_f32_e32 v110, v84, v101
	s_waitcnt vmcnt(2)
	v_fma_f32 v78, v85, v102, -v94
	v_add_f32_e32 v70, v70, v109
	v_add_f32_e32 v71, v71, v77
	v_fmac_f32_e32 v111, v86, v102
	v_add_f32_e32 v70, v70, v110
	v_add_f32_e32 v71, v71, v78
	;; [unrolled: 1-line block ×3, first 2 shown]
	s_waitcnt vmcnt(1)
	v_sub_f32_e32 v71, v103, v71
	s_waitcnt vmcnt(0)
	v_sub_f32_e32 v70, v104, v70
	buffer_store_dword v71, off, s[0:3], 0 offset:200
	buffer_store_dword v70, off, s[0:3], 0 offset:204
	s_and_saveexec_b64 s[4:5], vcc
	s_cbranch_execz .LBB97_169
; %bb.168:
	buffer_load_dword v70, off, s[0:3], 0 offset:192
	buffer_load_dword v71, off, s[0:3], 0 offset:196
	v_mov_b32_e32 v72, 0
	buffer_store_dword v72, off, s[0:3], 0 offset:192
	buffer_store_dword v72, off, s[0:3], 0 offset:196
	s_waitcnt vmcnt(2)
	ds_write_b64 v69, v[70:71]
.LBB97_169:
	s_or_b64 exec, exec, s[4:5]
	s_waitcnt lgkmcnt(0)
	; wave barrier
	buffer_load_dword v89, off, s[0:3], 0 offset:204
	buffer_load_dword v90, off, s[0:3], 0 offset:212
	;; [unrolled: 1-line block ×20, first 2 shown]
	v_mov_b32_e32 v70, 0
	ds_read2_b64 v[71:74], v70 offset0:59 offset1:60
	ds_read2_b64 v[75:78], v70 offset0:61 offset1:62
	;; [unrolled: 1-line block ×4, first 2 shown]
	ds_read_b64 v[87:88], v70 offset:536
	v_cmp_lt_u32_e32 vcc, 23, v0
	s_waitcnt vmcnt(19) lgkmcnt(4)
	v_mul_f32_e32 v109, v71, v89
	v_mul_f32_e32 v89, v72, v89
	s_waitcnt vmcnt(18)
	v_mul_f32_e32 v110, v73, v90
	v_mul_f32_e32 v90, v74, v90
	s_waitcnt vmcnt(17) lgkmcnt(3)
	v_mul_f32_e32 v111, v75, v91
	s_waitcnt vmcnt(15) lgkmcnt(2)
	v_mul_f32_e32 v113, v79, v93
	v_mul_f32_e32 v91, v76, v91
	;; [unrolled: 1-line block ×4, first 2 shown]
	s_waitcnt vmcnt(10)
	v_fma_f32 v71, v71, v98, -v89
	v_fmac_f32_e32 v109, v72, v98
	s_waitcnt vmcnt(9)
	v_fma_f32 v72, v73, v99, -v90
	v_add_f32_e32 v71, 0, v71
	v_mul_f32_e32 v93, v80, v93
	v_fmac_f32_e32 v110, v74, v99
	s_waitcnt vmcnt(6)
	v_fmac_f32_e32 v113, v80, v102
	v_fma_f32 v73, v75, v100, -v91
	v_add_f32_e32 v80, 0, v109
	v_add_f32_e32 v71, v71, v72
	v_fmac_f32_e32 v111, v76, v100
	v_fma_f32 v74, v77, v101, -v92
	v_add_f32_e32 v80, v80, v110
	v_add_f32_e32 v71, v71, v73
	v_mul_f32_e32 v114, v81, v94
	v_mul_f32_e32 v94, v82, v94
	v_fmac_f32_e32 v112, v78, v101
	v_fma_f32 v75, v79, v102, -v93
	v_add_f32_e32 v72, v80, v111
	v_add_f32_e32 v71, v71, v74
	s_waitcnt lgkmcnt(1)
	v_mul_f32_e32 v115, v83, v95
	v_mul_f32_e32 v95, v84, v95
	s_waitcnt vmcnt(5)
	v_fma_f32 v76, v81, v103, -v94
	v_add_f32_e32 v72, v72, v112
	v_add_f32_e32 v71, v71, v75
	v_mul_f32_e32 v116, v85, v96
	v_mul_f32_e32 v96, v86, v96
	v_fmac_f32_e32 v114, v82, v103
	s_waitcnt vmcnt(4)
	v_fma_f32 v77, v83, v104, -v95
	v_add_f32_e32 v72, v72, v113
	v_add_f32_e32 v71, v71, v76
	s_waitcnt lgkmcnt(0)
	v_mul_f32_e32 v117, v87, v97
	v_mul_f32_e32 v97, v88, v97
	v_fmac_f32_e32 v115, v84, v104
	s_waitcnt vmcnt(3)
	v_fma_f32 v78, v85, v105, -v96
	v_add_f32_e32 v72, v72, v114
	v_add_f32_e32 v71, v71, v77
	v_fmac_f32_e32 v116, v86, v105
	s_waitcnt vmcnt(2)
	v_fma_f32 v79, v87, v106, -v97
	v_add_f32_e32 v72, v72, v115
	v_add_f32_e32 v71, v71, v78
	v_fmac_f32_e32 v117, v88, v106
	v_add_f32_e32 v72, v72, v116
	v_add_f32_e32 v71, v71, v79
	;; [unrolled: 1-line block ×3, first 2 shown]
	s_waitcnt vmcnt(1)
	v_sub_f32_e32 v71, v107, v71
	s_waitcnt vmcnt(0)
	v_sub_f32_e32 v72, v108, v72
	buffer_store_dword v71, off, s[0:3], 0 offset:192
	buffer_store_dword v72, off, s[0:3], 0 offset:196
	s_and_saveexec_b64 s[4:5], vcc
	s_cbranch_execz .LBB97_171
; %bb.170:
	buffer_load_dword v71, off, s[0:3], 0 offset:184
	buffer_load_dword v72, off, s[0:3], 0 offset:188
	s_waitcnt vmcnt(0)
	ds_write_b64 v69, v[71:72]
	buffer_store_dword v70, off, s[0:3], 0 offset:184
	buffer_store_dword v70, off, s[0:3], 0 offset:188
.LBB97_171:
	s_or_b64 exec, exec, s[4:5]
	s_waitcnt lgkmcnt(0)
	; wave barrier
	buffer_load_dword v91, off, s[0:3], 0 offset:196
	buffer_load_dword v92, off, s[0:3], 0 offset:204
	;; [unrolled: 1-line block ×22, first 2 shown]
	ds_read_b128 v[71:74], v70 offset:464
	ds_read_b128 v[75:78], v70 offset:480
	;; [unrolled: 1-line block ×5, first 2 shown]
	v_cmp_lt_u32_e32 vcc, 22, v0
	s_waitcnt vmcnt(21) lgkmcnt(4)
	v_mul_f32_e32 v70, v71, v91
	v_mul_f32_e32 v91, v72, v91
	s_waitcnt vmcnt(20)
	v_mul_f32_e32 v113, v73, v92
	v_mul_f32_e32 v92, v74, v92
	s_waitcnt vmcnt(19) lgkmcnt(3)
	v_mul_f32_e32 v114, v75, v93
	v_mul_f32_e32 v93, v76, v93
	s_waitcnt vmcnt(18)
	v_mul_f32_e32 v115, v77, v94
	v_mul_f32_e32 v94, v78, v94
	s_waitcnt vmcnt(17) lgkmcnt(2)
	v_mul_f32_e32 v116, v79, v95
	v_mul_f32_e32 v95, v80, v95
	s_waitcnt vmcnt(11)
	v_fma_f32 v71, v71, v101, -v91
	v_fmac_f32_e32 v70, v72, v101
	s_waitcnt vmcnt(10)
	v_fma_f32 v72, v73, v102, -v92
	v_add_f32_e32 v71, 0, v71
	v_fmac_f32_e32 v113, v74, v102
	s_waitcnt vmcnt(9)
	v_fma_f32 v73, v75, v103, -v93
	v_add_f32_e32 v70, 0, v70
	v_add_f32_e32 v71, v71, v72
	v_fmac_f32_e32 v114, v76, v103
	s_waitcnt vmcnt(8)
	v_fma_f32 v74, v77, v104, -v94
	v_add_f32_e32 v70, v70, v113
	v_add_f32_e32 v71, v71, v73
	v_mul_f32_e32 v117, v81, v96
	v_mul_f32_e32 v96, v82, v96
	v_fmac_f32_e32 v115, v78, v104
	s_waitcnt vmcnt(7)
	v_fma_f32 v75, v79, v105, -v95
	v_add_f32_e32 v70, v70, v114
	v_add_f32_e32 v71, v71, v74
	s_waitcnt lgkmcnt(1)
	v_mul_f32_e32 v118, v83, v97
	v_mul_f32_e32 v97, v84, v97
	v_fmac_f32_e32 v116, v80, v105
	s_waitcnt vmcnt(6)
	v_fma_f32 v76, v81, v106, -v96
	v_add_f32_e32 v70, v70, v115
	v_add_f32_e32 v71, v71, v75
	v_mul_f32_e32 v119, v85, v98
	v_mul_f32_e32 v98, v86, v98
	v_fmac_f32_e32 v117, v82, v106
	s_waitcnt vmcnt(5)
	v_fma_f32 v77, v83, v107, -v97
	v_add_f32_e32 v70, v70, v116
	v_add_f32_e32 v71, v71, v76
	s_waitcnt lgkmcnt(0)
	v_mul_f32_e32 v120, v87, v99
	v_mul_f32_e32 v99, v88, v99
	v_fmac_f32_e32 v118, v84, v107
	s_waitcnt vmcnt(4)
	v_fma_f32 v78, v85, v108, -v98
	v_add_f32_e32 v70, v70, v117
	v_add_f32_e32 v71, v71, v77
	v_mul_f32_e32 v121, v89, v100
	v_mul_f32_e32 v100, v90, v100
	v_fmac_f32_e32 v119, v86, v108
	s_waitcnt vmcnt(3)
	v_fma_f32 v79, v87, v109, -v99
	v_add_f32_e32 v70, v70, v118
	v_add_f32_e32 v71, v71, v78
	v_fmac_f32_e32 v120, v88, v109
	s_waitcnt vmcnt(2)
	v_fma_f32 v80, v89, v110, -v100
	v_add_f32_e32 v70, v70, v119
	v_add_f32_e32 v71, v71, v79
	v_fmac_f32_e32 v121, v90, v110
	v_add_f32_e32 v70, v70, v120
	v_add_f32_e32 v71, v71, v80
	;; [unrolled: 1-line block ×3, first 2 shown]
	s_waitcnt vmcnt(1)
	v_sub_f32_e32 v71, v111, v71
	s_waitcnt vmcnt(0)
	v_sub_f32_e32 v70, v112, v70
	buffer_store_dword v71, off, s[0:3], 0 offset:184
	buffer_store_dword v70, off, s[0:3], 0 offset:188
	s_and_saveexec_b64 s[4:5], vcc
	s_cbranch_execz .LBB97_173
; %bb.172:
	buffer_load_dword v70, off, s[0:3], 0 offset:176
	buffer_load_dword v71, off, s[0:3], 0 offset:180
	v_mov_b32_e32 v72, 0
	buffer_store_dword v72, off, s[0:3], 0 offset:176
	buffer_store_dword v72, off, s[0:3], 0 offset:180
	s_waitcnt vmcnt(2)
	ds_write_b64 v69, v[70:71]
.LBB97_173:
	s_or_b64 exec, exec, s[4:5]
	v_mov_b32_e32 v70, 0
	s_waitcnt lgkmcnt(0)
	; wave barrier
	ds_read2_b64 v[71:74], v70 offset0:57 offset1:58
	buffer_load_dword v93, off, s[0:3], 0 offset:176
	buffer_load_dword v94, off, s[0:3], 0 offset:180
	;; [unrolled: 1-line block ×16, first 2 shown]
	v_cmp_lt_u32_e32 vcc, 21, v0
	s_waitcnt vmcnt(12) lgkmcnt(0)
	v_mul_f32_e32 v75, v71, v96
	v_fmac_f32_e32 v75, v72, v95
	s_waitcnt vmcnt(10)
	v_mul_f32_e32 v76, v73, v98
	v_add_f32_e32 v75, 0, v75
	v_fmac_f32_e32 v76, v74, v97
	v_add_f32_e32 v79, v75, v76
	ds_read2_b64 v[75:78], v70 offset0:59 offset1:60
	v_mul_f32_e32 v72, v72, v96
	v_fma_f32 v71, v71, v95, -v72
	v_mul_f32_e32 v72, v74, v98
	v_add_f32_e32 v71, 0, v71
	s_waitcnt vmcnt(8) lgkmcnt(0)
	v_mul_f32_e32 v80, v75, v100
	v_fmac_f32_e32 v80, v76, v99
	v_add_f32_e32 v79, v79, v80
	s_waitcnt vmcnt(6)
	v_mul_f32_e32 v80, v77, v102
	v_fmac_f32_e32 v80, v78, v101
	v_add_f32_e32 v83, v79, v80
	ds_read2_b64 v[79:82], v70 offset0:61 offset1:62
	v_fma_f32 v72, v73, v97, -v72
	v_add_f32_e32 v71, v71, v72
	v_mul_f32_e32 v72, v76, v100
	v_fma_f32 v72, v75, v99, -v72
	s_waitcnt vmcnt(4) lgkmcnt(0)
	v_mul_f32_e32 v84, v79, v104
	v_fmac_f32_e32 v84, v80, v103
	v_add_f32_e32 v83, v83, v84
	s_waitcnt vmcnt(2)
	v_mul_f32_e32 v84, v81, v106
	v_fmac_f32_e32 v84, v82, v105
	v_add_f32_e32 v87, v83, v84
	ds_read2_b64 v[83:86], v70 offset0:63 offset1:64
	buffer_load_dword v109, off, s[0:3], 0 offset:240
	buffer_load_dword v110, off, s[0:3], 0 offset:244
	v_add_f32_e32 v71, v71, v72
	v_mul_f32_e32 v72, v78, v102
	v_fma_f32 v72, v77, v101, -v72
	s_waitcnt vmcnt(2) lgkmcnt(0)
	v_mul_f32_e32 v88, v83, v108
	v_fmac_f32_e32 v88, v84, v107
	v_add_f32_e32 v87, v87, v88
	v_add_f32_e32 v71, v71, v72
	v_mul_f32_e32 v72, v80, v104
	v_fma_f32 v72, v79, v103, -v72
	v_add_f32_e32 v71, v71, v72
	v_mul_f32_e32 v72, v82, v106
	v_fma_f32 v72, v81, v105, -v72
	;; [unrolled: 3-line block ×3, first 2 shown]
	v_add_f32_e32 v71, v71, v72
	s_waitcnt vmcnt(0)
	v_mul_f32_e32 v88, v85, v110
	v_fmac_f32_e32 v88, v86, v109
	v_add_f32_e32 v91, v87, v88
	ds_read2_b64 v[87:90], v70 offset0:65 offset1:66
	buffer_load_dword v111, off, s[0:3], 0 offset:248
	buffer_load_dword v112, off, s[0:3], 0 offset:252
	;; [unrolled: 1-line block ×4, first 2 shown]
	v_mul_f32_e32 v72, v86, v110
	v_fma_f32 v72, v85, v109, -v72
	v_add_f32_e32 v71, v71, v72
	s_waitcnt vmcnt(2) lgkmcnt(0)
	v_mul_f32_e32 v92, v87, v112
	v_fmac_f32_e32 v92, v88, v111
	v_add_f32_e32 v91, v91, v92
	s_waitcnt vmcnt(0)
	v_mul_f32_e32 v92, v89, v114
	v_fmac_f32_e32 v92, v90, v113
	v_add_f32_e32 v115, v91, v92
	ds_read_b64 v[91:92], v70 offset:536
	buffer_load_dword v116, off, s[0:3], 0 offset:264
	buffer_load_dword v117, off, s[0:3], 0 offset:268
	v_mul_f32_e32 v72, v88, v112
	v_fma_f32 v72, v87, v111, -v72
	v_add_f32_e32 v71, v71, v72
	v_mul_f32_e32 v72, v90, v114
	v_fma_f32 v72, v89, v113, -v72
	v_add_f32_e32 v71, v71, v72
	s_waitcnt vmcnt(0) lgkmcnt(0)
	v_mul_f32_e32 v72, v92, v117
	v_mul_f32_e32 v118, v91, v117
	v_fma_f32 v72, v91, v116, -v72
	v_fmac_f32_e32 v118, v92, v116
	v_add_f32_e32 v71, v71, v72
	v_add_f32_e32 v115, v115, v118
	v_sub_f32_e32 v71, v93, v71
	v_sub_f32_e32 v72, v94, v115
	buffer_store_dword v71, off, s[0:3], 0 offset:176
	buffer_store_dword v72, off, s[0:3], 0 offset:180
	s_and_saveexec_b64 s[4:5], vcc
	s_cbranch_execz .LBB97_175
; %bb.174:
	buffer_load_dword v71, off, s[0:3], 0 offset:168
	buffer_load_dword v72, off, s[0:3], 0 offset:172
	s_waitcnt vmcnt(0)
	ds_write_b64 v69, v[71:72]
	buffer_store_dword v70, off, s[0:3], 0 offset:168
	buffer_store_dword v70, off, s[0:3], 0 offset:172
.LBB97_175:
	s_or_b64 exec, exec, s[4:5]
	s_waitcnt lgkmcnt(0)
	; wave barrier
	ds_read_b128 v[71:74], v70 offset:448
	ds_read_b128 v[75:78], v70 offset:464
	;; [unrolled: 1-line block ×4, first 2 shown]
	buffer_load_dword v95, off, s[0:3], 0 offset:168
	buffer_load_dword v96, off, s[0:3], 0 offset:172
	;; [unrolled: 1-line block ×18, first 2 shown]
	v_cmp_lt_u32_e32 vcc, 20, v0
	s_waitcnt vmcnt(14) lgkmcnt(3)
	v_mul_f32_e32 v87, v71, v98
	v_fmac_f32_e32 v87, v72, v97
	s_waitcnt vmcnt(12)
	v_mul_f32_e32 v88, v73, v100
	v_add_f32_e32 v87, 0, v87
	v_fmac_f32_e32 v88, v74, v99
	v_add_f32_e32 v87, v87, v88
	s_waitcnt vmcnt(10) lgkmcnt(2)
	v_mul_f32_e32 v88, v75, v102
	v_fmac_f32_e32 v88, v76, v101
	v_add_f32_e32 v87, v87, v88
	s_waitcnt vmcnt(8)
	v_mul_f32_e32 v88, v77, v104
	v_fmac_f32_e32 v88, v78, v103
	v_add_f32_e32 v87, v87, v88
	s_waitcnt vmcnt(6) lgkmcnt(1)
	v_mul_f32_e32 v88, v79, v106
	v_fmac_f32_e32 v88, v80, v105
	v_add_f32_e32 v87, v87, v88
	s_waitcnt vmcnt(4)
	v_mul_f32_e32 v88, v81, v108
	;; [unrolled: 8-line block ×3, first 2 shown]
	v_fmac_f32_e32 v88, v86, v111
	v_add_f32_e32 v91, v87, v88
	ds_read_b128 v[87:90], v70 offset:512
	buffer_load_dword v113, off, s[0:3], 0 offset:240
	buffer_load_dword v114, off, s[0:3], 0 offset:244
	;; [unrolled: 1-line block ×4, first 2 shown]
	v_mul_f32_e32 v72, v72, v98
	v_fma_f32 v71, v71, v97, -v72
	v_mul_f32_e32 v72, v74, v100
	v_add_f32_e32 v71, 0, v71
	v_fma_f32 v72, v73, v99, -v72
	v_add_f32_e32 v71, v71, v72
	v_mul_f32_e32 v72, v76, v102
	v_fma_f32 v72, v75, v101, -v72
	v_add_f32_e32 v71, v71, v72
	v_mul_f32_e32 v72, v78, v104
	;; [unrolled: 3-line block ×6, first 2 shown]
	v_fma_f32 v72, v85, v111, -v72
	v_add_f32_e32 v71, v71, v72
	s_waitcnt vmcnt(2) lgkmcnt(0)
	v_mul_f32_e32 v92, v87, v114
	v_fmac_f32_e32 v92, v88, v113
	v_add_f32_e32 v91, v91, v92
	s_waitcnt vmcnt(0)
	v_mul_f32_e32 v92, v89, v116
	v_fmac_f32_e32 v92, v90, v115
	v_add_f32_e32 v117, v91, v92
	ds_read_b128 v[91:94], v70 offset:528
	buffer_load_dword v70, off, s[0:3], 0 offset:256
	buffer_load_dword v118, off, s[0:3], 0 offset:260
	v_mul_f32_e32 v72, v88, v114
	v_fma_f32 v72, v87, v113, -v72
	v_add_f32_e32 v71, v71, v72
	v_mul_f32_e32 v72, v90, v116
	v_fma_f32 v72, v89, v115, -v72
	v_add_f32_e32 v71, v71, v72
	s_waitcnt vmcnt(0) lgkmcnt(0)
	v_mul_f32_e32 v119, v91, v118
	v_fmac_f32_e32 v119, v92, v70
	v_add_f32_e32 v117, v117, v119
	buffer_load_dword v119, off, s[0:3], 0 offset:264
	buffer_load_dword v120, off, s[0:3], 0 offset:268
	v_mul_f32_e32 v72, v92, v118
	v_fma_f32 v70, v91, v70, -v72
	v_add_f32_e32 v70, v71, v70
	s_waitcnt vmcnt(0)
	v_mul_f32_e32 v71, v94, v120
	v_mul_f32_e32 v121, v93, v120
	v_fma_f32 v71, v93, v119, -v71
	v_fmac_f32_e32 v121, v94, v119
	v_add_f32_e32 v70, v70, v71
	v_add_f32_e32 v117, v117, v121
	v_sub_f32_e32 v70, v95, v70
	v_sub_f32_e32 v71, v96, v117
	buffer_store_dword v70, off, s[0:3], 0 offset:168
	buffer_store_dword v71, off, s[0:3], 0 offset:172
	s_and_saveexec_b64 s[4:5], vcc
	s_cbranch_execz .LBB97_177
; %bb.176:
	buffer_load_dword v70, off, s[0:3], 0 offset:160
	buffer_load_dword v71, off, s[0:3], 0 offset:164
	v_mov_b32_e32 v72, 0
	buffer_store_dword v72, off, s[0:3], 0 offset:160
	buffer_store_dword v72, off, s[0:3], 0 offset:164
	s_waitcnt vmcnt(2)
	ds_write_b64 v69, v[70:71]
.LBB97_177:
	s_or_b64 exec, exec, s[4:5]
	v_mov_b32_e32 v70, 0
	s_waitcnt lgkmcnt(0)
	; wave barrier
	ds_read2_b64 v[71:74], v70 offset0:55 offset1:56
	buffer_load_dword v97, off, s[0:3], 0 offset:160
	buffer_load_dword v98, off, s[0:3], 0 offset:164
	;; [unrolled: 1-line block ×16, first 2 shown]
	v_cmp_lt_u32_e32 vcc, 19, v0
	s_waitcnt vmcnt(12) lgkmcnt(0)
	v_mul_f32_e32 v75, v71, v100
	v_fmac_f32_e32 v75, v72, v99
	s_waitcnt vmcnt(10)
	v_mul_f32_e32 v76, v73, v102
	v_add_f32_e32 v75, 0, v75
	v_fmac_f32_e32 v76, v74, v101
	v_add_f32_e32 v79, v75, v76
	ds_read2_b64 v[75:78], v70 offset0:57 offset1:58
	v_mul_f32_e32 v72, v72, v100
	v_fma_f32 v71, v71, v99, -v72
	v_mul_f32_e32 v72, v74, v102
	v_add_f32_e32 v71, 0, v71
	s_waitcnt vmcnt(8) lgkmcnt(0)
	v_mul_f32_e32 v80, v75, v104
	v_fmac_f32_e32 v80, v76, v103
	v_add_f32_e32 v79, v79, v80
	s_waitcnt vmcnt(6)
	v_mul_f32_e32 v80, v77, v106
	v_fmac_f32_e32 v80, v78, v105
	v_add_f32_e32 v83, v79, v80
	ds_read2_b64 v[79:82], v70 offset0:59 offset1:60
	v_fma_f32 v72, v73, v101, -v72
	v_add_f32_e32 v71, v71, v72
	v_mul_f32_e32 v72, v76, v104
	v_fma_f32 v72, v75, v103, -v72
	s_waitcnt vmcnt(4) lgkmcnt(0)
	v_mul_f32_e32 v84, v79, v108
	v_fmac_f32_e32 v84, v80, v107
	v_add_f32_e32 v83, v83, v84
	s_waitcnt vmcnt(2)
	v_mul_f32_e32 v84, v81, v110
	v_fmac_f32_e32 v84, v82, v109
	v_add_f32_e32 v87, v83, v84
	ds_read2_b64 v[83:86], v70 offset0:61 offset1:62
	buffer_load_dword v113, off, s[0:3], 0 offset:224
	buffer_load_dword v114, off, s[0:3], 0 offset:228
	v_add_f32_e32 v71, v71, v72
	v_mul_f32_e32 v72, v78, v106
	v_fma_f32 v72, v77, v105, -v72
	s_waitcnt vmcnt(2) lgkmcnt(0)
	v_mul_f32_e32 v88, v83, v112
	v_fmac_f32_e32 v88, v84, v111
	v_add_f32_e32 v87, v87, v88
	v_add_f32_e32 v71, v71, v72
	v_mul_f32_e32 v72, v80, v108
	v_fma_f32 v72, v79, v107, -v72
	v_add_f32_e32 v71, v71, v72
	v_mul_f32_e32 v72, v82, v110
	v_fma_f32 v72, v81, v109, -v72
	;; [unrolled: 3-line block ×3, first 2 shown]
	v_add_f32_e32 v71, v71, v72
	s_waitcnt vmcnt(0)
	v_mul_f32_e32 v88, v85, v114
	v_fmac_f32_e32 v88, v86, v113
	v_add_f32_e32 v91, v87, v88
	ds_read2_b64 v[87:90], v70 offset0:63 offset1:64
	buffer_load_dword v115, off, s[0:3], 0 offset:232
	buffer_load_dword v116, off, s[0:3], 0 offset:236
	;; [unrolled: 1-line block ×4, first 2 shown]
	v_mul_f32_e32 v72, v86, v114
	v_fma_f32 v72, v85, v113, -v72
	v_add_f32_e32 v71, v71, v72
	s_waitcnt vmcnt(2) lgkmcnt(0)
	v_mul_f32_e32 v92, v87, v116
	v_fmac_f32_e32 v92, v88, v115
	v_add_f32_e32 v91, v91, v92
	s_waitcnt vmcnt(0)
	v_mul_f32_e32 v92, v89, v118
	v_fmac_f32_e32 v92, v90, v117
	v_add_f32_e32 v95, v91, v92
	ds_read2_b64 v[91:94], v70 offset0:65 offset1:66
	buffer_load_dword v119, off, s[0:3], 0 offset:248
	buffer_load_dword v120, off, s[0:3], 0 offset:252
	;; [unrolled: 1-line block ×4, first 2 shown]
	v_mul_f32_e32 v72, v88, v116
	v_fma_f32 v72, v87, v115, -v72
	v_add_f32_e32 v71, v71, v72
	v_mul_f32_e32 v72, v90, v118
	v_fma_f32 v72, v89, v117, -v72
	v_add_f32_e32 v71, v71, v72
	s_waitcnt vmcnt(2) lgkmcnt(0)
	v_mul_f32_e32 v96, v91, v120
	v_fmac_f32_e32 v96, v92, v119
	v_add_f32_e32 v95, v95, v96
	s_waitcnt vmcnt(0)
	v_mul_f32_e32 v96, v93, v122
	v_fmac_f32_e32 v96, v94, v121
	v_add_f32_e32 v123, v95, v96
	ds_read_b64 v[95:96], v70 offset:536
	buffer_load_dword v124, off, s[0:3], 0 offset:264
	buffer_load_dword v125, off, s[0:3], 0 offset:268
	v_mul_f32_e32 v72, v92, v120
	v_fma_f32 v72, v91, v119, -v72
	v_add_f32_e32 v71, v71, v72
	v_mul_f32_e32 v72, v94, v122
	v_fma_f32 v72, v93, v121, -v72
	v_add_f32_e32 v71, v71, v72
	s_waitcnt vmcnt(0) lgkmcnt(0)
	v_mul_f32_e32 v72, v96, v125
	v_mul_f32_e32 v126, v95, v125
	v_fma_f32 v72, v95, v124, -v72
	v_fmac_f32_e32 v126, v96, v124
	v_add_f32_e32 v71, v71, v72
	v_add_f32_e32 v123, v123, v126
	v_sub_f32_e32 v71, v97, v71
	v_sub_f32_e32 v72, v98, v123
	buffer_store_dword v71, off, s[0:3], 0 offset:160
	buffer_store_dword v72, off, s[0:3], 0 offset:164
	s_and_saveexec_b64 s[4:5], vcc
	s_cbranch_execz .LBB97_179
; %bb.178:
	buffer_load_dword v71, off, s[0:3], 0 offset:152
	buffer_load_dword v72, off, s[0:3], 0 offset:156
	s_waitcnt vmcnt(0)
	ds_write_b64 v69, v[71:72]
	buffer_store_dword v70, off, s[0:3], 0 offset:152
	buffer_store_dword v70, off, s[0:3], 0 offset:156
.LBB97_179:
	s_or_b64 exec, exec, s[4:5]
	s_waitcnt lgkmcnt(0)
	; wave barrier
	buffer_load_dword v99, off, s[0:3], 0 offset:164
	buffer_load_dword v100, off, s[0:3], 0 offset:172
	;; [unrolled: 1-line block ×30, first 2 shown]
	ds_read_b128 v[71:74], v70 offset:432
	ds_read_b128 v[75:78], v70 offset:448
	ds_read_b128 v[79:82], v70 offset:464
	ds_read_b128 v[83:86], v70 offset:480
	ds_read_b128 v[87:90], v70 offset:496
	ds_read_b128 v[91:94], v70 offset:512
	ds_read_b128 v[95:98], v70 offset:528
	v_cmp_lt_u32_e32 vcc, 18, v0
	s_waitcnt vmcnt(29) lgkmcnt(6)
	v_mul_f32_e32 v70, v71, v99
	v_mul_f32_e32 v99, v72, v99
	s_waitcnt vmcnt(28)
	v_mul_f32_e32 v129, v73, v100
	v_mul_f32_e32 v100, v74, v100
	s_waitcnt vmcnt(27) lgkmcnt(5)
	v_mul_f32_e32 v130, v75, v101
	v_mul_f32_e32 v101, v76, v101
	s_waitcnt vmcnt(26)
	v_mul_f32_e32 v131, v77, v102
	v_mul_f32_e32 v102, v78, v102
	s_waitcnt vmcnt(25) lgkmcnt(4)
	v_mul_f32_e32 v132, v79, v103
	v_mul_f32_e32 v103, v80, v103
	s_waitcnt vmcnt(24)
	v_mul_f32_e32 v133, v81, v104
	s_waitcnt vmcnt(23) lgkmcnt(3)
	v_mul_f32_e32 v134, v83, v105
	s_waitcnt vmcnt(22)
	v_mul_f32_e32 v135, v85, v106
	s_waitcnt vmcnt(21) lgkmcnt(2)
	v_mul_f32_e32 v136, v87, v107
	s_waitcnt vmcnt(15)
	v_fma_f32 v71, v71, v113, -v99
	v_fmac_f32_e32 v70, v72, v113
	s_waitcnt vmcnt(14)
	v_fma_f32 v72, v73, v114, -v100
	v_add_f32_e32 v71, 0, v71
	s_waitcnt vmcnt(13)
	v_fma_f32 v73, v75, v115, -v101
	v_add_f32_e32 v71, v71, v72
	v_fmac_f32_e32 v129, v74, v114
	s_waitcnt vmcnt(12)
	v_fma_f32 v74, v77, v116, -v102
	v_add_f32_e32 v71, v71, v73
	s_waitcnt vmcnt(11)
	v_fma_f32 v75, v79, v117, -v103
	v_add_f32_e32 v71, v71, v74
	v_mul_f32_e32 v72, v82, v104
	v_add_f32_e32 v71, v71, v75
	s_waitcnt vmcnt(10)
	v_fma_f32 v72, v81, v118, -v72
	v_add_f32_e32 v71, v71, v72
	v_mul_f32_e32 v72, v84, v105
	s_waitcnt vmcnt(9)
	v_fma_f32 v72, v83, v119, -v72
	v_add_f32_e32 v71, v71, v72
	v_mul_f32_e32 v72, v86, v106
	s_waitcnt vmcnt(8)
	v_fma_f32 v72, v85, v120, -v72
	v_add_f32_e32 v70, 0, v70
	v_add_f32_e32 v71, v71, v72
	v_mul_f32_e32 v72, v88, v107
	v_fmac_f32_e32 v130, v76, v115
	v_add_f32_e32 v70, v70, v129
	s_waitcnt vmcnt(7)
	v_fma_f32 v72, v87, v121, -v72
	v_fmac_f32_e32 v131, v78, v116
	v_add_f32_e32 v70, v70, v130
	v_add_f32_e32 v71, v71, v72
	v_mul_f32_e32 v72, v90, v108
	v_fmac_f32_e32 v132, v80, v117
	v_add_f32_e32 v70, v70, v131
	s_waitcnt vmcnt(6)
	v_fma_f32 v72, v89, v122, -v72
	v_fmac_f32_e32 v133, v82, v118
	v_add_f32_e32 v70, v70, v132
	v_add_f32_e32 v71, v71, v72
	s_waitcnt lgkmcnt(1)
	v_mul_f32_e32 v72, v92, v109
	v_fmac_f32_e32 v134, v84, v119
	v_add_f32_e32 v70, v70, v133
	s_waitcnt vmcnt(5)
	v_fma_f32 v72, v91, v123, -v72
	v_fmac_f32_e32 v135, v86, v120
	v_add_f32_e32 v70, v70, v134
	v_add_f32_e32 v71, v71, v72
	v_mul_f32_e32 v72, v94, v110
	v_mul_f32_e32 v137, v89, v108
	v_fmac_f32_e32 v136, v88, v121
	v_add_f32_e32 v70, v70, v135
	s_waitcnt vmcnt(4)
	v_fma_f32 v72, v93, v124, -v72
	v_mul_f32_e32 v138, v91, v109
	v_fmac_f32_e32 v137, v90, v122
	v_add_f32_e32 v70, v70, v136
	v_add_f32_e32 v71, v71, v72
	s_waitcnt lgkmcnt(0)
	v_mul_f32_e32 v72, v96, v111
	v_mul_f32_e32 v139, v93, v110
	v_fmac_f32_e32 v138, v92, v123
	v_add_f32_e32 v70, v70, v137
	s_waitcnt vmcnt(3)
	v_fma_f32 v72, v95, v125, -v72
	v_mul_f32_e32 v140, v95, v111
	v_fmac_f32_e32 v139, v94, v124
	v_add_f32_e32 v70, v70, v138
	v_add_f32_e32 v71, v71, v72
	v_mul_f32_e32 v72, v98, v112
	v_mul_f32_e32 v141, v97, v112
	v_fmac_f32_e32 v140, v96, v125
	v_add_f32_e32 v70, v70, v139
	s_waitcnt vmcnt(2)
	v_fma_f32 v72, v97, v126, -v72
	v_fmac_f32_e32 v141, v98, v126
	v_add_f32_e32 v70, v70, v140
	v_add_f32_e32 v71, v71, v72
	;; [unrolled: 1-line block ×3, first 2 shown]
	s_waitcnt vmcnt(1)
	v_sub_f32_e32 v71, v127, v71
	s_waitcnt vmcnt(0)
	v_sub_f32_e32 v70, v128, v70
	buffer_store_dword v71, off, s[0:3], 0 offset:152
	buffer_store_dword v70, off, s[0:3], 0 offset:156
	s_and_saveexec_b64 s[4:5], vcc
	s_cbranch_execz .LBB97_181
; %bb.180:
	buffer_load_dword v70, off, s[0:3], 0 offset:144
	buffer_load_dword v71, off, s[0:3], 0 offset:148
	v_mov_b32_e32 v72, 0
	buffer_store_dword v72, off, s[0:3], 0 offset:144
	buffer_store_dword v72, off, s[0:3], 0 offset:148
	s_waitcnt vmcnt(2)
	ds_write_b64 v69, v[70:71]
.LBB97_181:
	s_or_b64 exec, exec, s[4:5]
	s_waitcnt lgkmcnt(0)
	; wave barrier
	buffer_load_dword v101, off, s[0:3], 0 offset:156
	buffer_load_dword v102, off, s[0:3], 0 offset:164
	;; [unrolled: 1-line block ×32, first 2 shown]
	v_mov_b32_e32 v70, 0
	ds_read2_b64 v[71:74], v70 offset0:53 offset1:54
	ds_read2_b64 v[75:78], v70 offset0:55 offset1:56
	;; [unrolled: 1-line block ×7, first 2 shown]
	ds_read_b64 v[99:100], v70 offset:536
	v_cmp_lt_u32_e32 vcc, 17, v0
	s_waitcnt vmcnt(31) lgkmcnt(7)
	v_mul_f32_e32 v133, v71, v101
	v_mul_f32_e32 v101, v72, v101
	s_waitcnt vmcnt(30)
	v_mul_f32_e32 v134, v73, v102
	v_mul_f32_e32 v102, v74, v102
	s_waitcnt vmcnt(29) lgkmcnt(6)
	v_mul_f32_e32 v135, v75, v103
	v_mul_f32_e32 v103, v76, v103
	s_waitcnt vmcnt(28)
	v_mul_f32_e32 v136, v77, v104
	s_waitcnt vmcnt(27) lgkmcnt(5)
	v_mul_f32_e32 v137, v79, v105
	s_waitcnt vmcnt(26)
	v_mul_f32_e32 v138, v81, v106
	s_waitcnt vmcnt(25) lgkmcnt(4)
	;; [unrolled: 4-line block ×4, first 2 shown]
	v_mul_f32_e32 v143, v91, v111
	s_waitcnt vmcnt(20)
	v_mul_f32_e32 v144, v93, v112
	s_waitcnt vmcnt(16)
	v_fma_f32 v71, v71, v116, -v101
	v_fmac_f32_e32 v133, v72, v116
	s_waitcnt vmcnt(15)
	v_fma_f32 v72, v73, v117, -v102
	v_add_f32_e32 v71, 0, v71
	s_waitcnt vmcnt(14)
	v_fma_f32 v73, v75, v118, -v103
	v_add_f32_e32 v71, v71, v72
	v_add_f32_e32 v71, v71, v73
	v_mul_f32_e32 v73, v78, v104
	s_waitcnt vmcnt(13)
	v_fma_f32 v73, v77, v119, -v73
	v_add_f32_e32 v71, v71, v73
	v_mul_f32_e32 v73, v80, v105
	s_waitcnt vmcnt(12)
	v_fma_f32 v73, v79, v120, -v73
	;; [unrolled: 4-line block ×5, first 2 shown]
	v_add_f32_e32 v71, v71, v73
	v_mul_f32_e32 v73, v88, v109
	v_fmac_f32_e32 v134, v74, v117
	v_add_f32_e32 v74, 0, v133
	s_waitcnt vmcnt(8)
	v_fma_f32 v73, v87, v124, -v73
	v_fmac_f32_e32 v135, v76, v118
	v_add_f32_e32 v74, v74, v134
	v_add_f32_e32 v71, v71, v73
	v_mul_f32_e32 v73, v90, v110
	v_fmac_f32_e32 v136, v78, v119
	v_add_f32_e32 v72, v74, v135
	s_waitcnt vmcnt(7)
	v_fma_f32 v73, v89, v125, -v73
	v_fmac_f32_e32 v137, v80, v120
	v_add_f32_e32 v72, v72, v136
	;; [unrolled: 8-line block ×4, first 2 shown]
	v_add_f32_e32 v71, v71, v73
	s_waitcnt lgkmcnt(1)
	v_mul_f32_e32 v73, v96, v113
	v_fmac_f32_e32 v142, v90, v125
	v_add_f32_e32 v72, v72, v141
	s_waitcnt vmcnt(4)
	v_fma_f32 v73, v95, v128, -v73
	v_fmac_f32_e32 v143, v92, v126
	v_add_f32_e32 v72, v72, v142
	v_add_f32_e32 v71, v71, v73
	v_mul_f32_e32 v73, v98, v114
	v_mul_f32_e32 v145, v95, v113
	v_fmac_f32_e32 v144, v94, v127
	v_add_f32_e32 v72, v72, v143
	s_waitcnt vmcnt(3)
	v_fma_f32 v73, v97, v129, -v73
	v_mul_f32_e32 v146, v97, v114
	v_fmac_f32_e32 v145, v96, v128
	v_add_f32_e32 v72, v72, v144
	v_add_f32_e32 v71, v71, v73
	s_waitcnt lgkmcnt(0)
	v_mul_f32_e32 v73, v100, v115
	v_mul_f32_e32 v147, v99, v115
	v_fmac_f32_e32 v146, v98, v129
	v_add_f32_e32 v72, v72, v145
	s_waitcnt vmcnt(2)
	v_fma_f32 v73, v99, v130, -v73
	v_fmac_f32_e32 v147, v100, v130
	v_add_f32_e32 v72, v72, v146
	v_add_f32_e32 v71, v71, v73
	;; [unrolled: 1-line block ×3, first 2 shown]
	s_waitcnt vmcnt(1)
	v_sub_f32_e32 v71, v131, v71
	s_waitcnt vmcnt(0)
	v_sub_f32_e32 v72, v132, v72
	buffer_store_dword v71, off, s[0:3], 0 offset:144
	buffer_store_dword v72, off, s[0:3], 0 offset:148
	s_and_saveexec_b64 s[4:5], vcc
	s_cbranch_execz .LBB97_183
; %bb.182:
	buffer_load_dword v71, off, s[0:3], 0 offset:136
	buffer_load_dword v72, off, s[0:3], 0 offset:140
	s_waitcnt vmcnt(0)
	ds_write_b64 v69, v[71:72]
	buffer_store_dword v70, off, s[0:3], 0 offset:136
	buffer_store_dword v70, off, s[0:3], 0 offset:140
.LBB97_183:
	s_or_b64 exec, exec, s[4:5]
	s_waitcnt lgkmcnt(0)
	; wave barrier
	buffer_load_dword v103, off, s[0:3], 0 offset:148
	buffer_load_dword v104, off, s[0:3], 0 offset:156
	;; [unrolled: 1-line block ×34, first 2 shown]
	ds_read_b128 v[71:74], v70 offset:416
	ds_read_b128 v[75:78], v70 offset:432
	;; [unrolled: 1-line block ×8, first 2 shown]
	v_cmp_lt_u32_e32 vcc, 16, v0
	s_waitcnt vmcnt(33) lgkmcnt(7)
	v_mul_f32_e32 v70, v71, v103
	v_mul_f32_e32 v103, v72, v103
	s_waitcnt vmcnt(32)
	v_mul_f32_e32 v137, v73, v104
	v_mul_f32_e32 v104, v74, v104
	s_waitcnt vmcnt(31) lgkmcnt(6)
	v_mul_f32_e32 v138, v75, v105
	s_waitcnt vmcnt(30)
	v_mul_f32_e32 v139, v77, v106
	s_waitcnt vmcnt(29) lgkmcnt(5)
	v_mul_f32_e32 v140, v79, v107
	s_waitcnt vmcnt(28)
	;; [unrolled: 4-line block ×6, first 2 shown]
	v_mul_f32_e32 v149, v97, v116
	s_waitcnt vmcnt(17)
	v_fma_f32 v71, v71, v119, -v103
	v_fmac_f32_e32 v70, v72, v119
	s_waitcnt vmcnt(16)
	v_fma_f32 v72, v73, v120, -v104
	v_add_f32_e32 v71, 0, v71
	v_add_f32_e32 v71, v71, v72
	v_mul_f32_e32 v72, v76, v105
	s_waitcnt vmcnt(15)
	v_fma_f32 v72, v75, v121, -v72
	v_add_f32_e32 v71, v71, v72
	v_mul_f32_e32 v72, v78, v106
	s_waitcnt vmcnt(14)
	v_fma_f32 v72, v77, v122, -v72
	;; [unrolled: 4-line block ×7, first 2 shown]
	v_fmac_f32_e32 v137, v74, v120
	v_add_f32_e32 v70, 0, v70
	v_add_f32_e32 v71, v71, v72
	v_mul_f32_e32 v72, v90, v112
	v_fmac_f32_e32 v138, v76, v121
	v_add_f32_e32 v70, v70, v137
	s_waitcnt vmcnt(8)
	v_fma_f32 v72, v89, v128, -v72
	v_fmac_f32_e32 v139, v78, v122
	v_add_f32_e32 v70, v70, v138
	v_add_f32_e32 v71, v71, v72
	v_mul_f32_e32 v72, v92, v113
	v_fmac_f32_e32 v140, v80, v123
	v_add_f32_e32 v70, v70, v139
	s_waitcnt vmcnt(7)
	v_fma_f32 v72, v91, v129, -v72
	;; [unrolled: 8-line block ×5, first 2 shown]
	v_fmac_f32_e32 v147, v94, v130
	v_add_f32_e32 v70, v70, v146
	v_add_f32_e32 v71, v71, v72
	s_waitcnt lgkmcnt(0)
	v_mul_f32_e32 v72, v100, v117
	v_fmac_f32_e32 v148, v96, v131
	v_add_f32_e32 v70, v70, v147
	s_waitcnt vmcnt(3)
	v_fma_f32 v72, v99, v133, -v72
	v_mul_f32_e32 v150, v99, v117
	v_fmac_f32_e32 v149, v98, v132
	v_add_f32_e32 v70, v70, v148
	v_add_f32_e32 v71, v71, v72
	v_mul_f32_e32 v72, v102, v118
	v_mul_f32_e32 v151, v101, v118
	v_fmac_f32_e32 v150, v100, v133
	v_add_f32_e32 v70, v70, v149
	s_waitcnt vmcnt(2)
	v_fma_f32 v72, v101, v134, -v72
	v_fmac_f32_e32 v151, v102, v134
	v_add_f32_e32 v70, v70, v150
	v_add_f32_e32 v71, v71, v72
	;; [unrolled: 1-line block ×3, first 2 shown]
	s_waitcnt vmcnt(1)
	v_sub_f32_e32 v71, v135, v71
	s_waitcnt vmcnt(0)
	v_sub_f32_e32 v70, v136, v70
	buffer_store_dword v71, off, s[0:3], 0 offset:136
	buffer_store_dword v70, off, s[0:3], 0 offset:140
	s_and_saveexec_b64 s[4:5], vcc
	s_cbranch_execz .LBB97_185
; %bb.184:
	buffer_load_dword v70, off, s[0:3], 0 offset:128
	buffer_load_dword v71, off, s[0:3], 0 offset:132
	v_mov_b32_e32 v72, 0
	buffer_store_dword v72, off, s[0:3], 0 offset:128
	buffer_store_dword v72, off, s[0:3], 0 offset:132
	s_waitcnt vmcnt(2)
	ds_write_b64 v69, v[70:71]
.LBB97_185:
	s_or_b64 exec, exec, s[4:5]
	s_waitcnt lgkmcnt(0)
	; wave barrier
	buffer_load_dword v105, off, s[0:3], 0 offset:140
	buffer_load_dword v106, off, s[0:3], 0 offset:148
	;; [unrolled: 1-line block ×36, first 2 shown]
	v_mov_b32_e32 v70, 0
	ds_read2_b64 v[71:74], v70 offset0:51 offset1:52
	ds_read2_b64 v[75:78], v70 offset0:53 offset1:54
	;; [unrolled: 1-line block ×8, first 2 shown]
	ds_read_b64 v[103:104], v70 offset:536
	v_cmp_lt_u32_e32 vcc, 15, v0
	s_waitcnt vmcnt(35) lgkmcnt(8)
	v_mul_f32_e32 v141, v71, v105
	s_waitcnt vmcnt(34)
	v_mul_f32_e32 v142, v73, v106
	s_waitcnt vmcnt(33) lgkmcnt(7)
	v_mul_f32_e32 v143, v75, v107
	s_waitcnt vmcnt(32)
	v_mul_f32_e32 v144, v77, v108
	;; [unrolled: 4-line block ×8, first 2 shown]
	s_waitcnt vmcnt(19) lgkmcnt(0)
	v_mul_f32_e32 v157, v103, v121
	s_waitcnt vmcnt(18)
	v_fmac_f32_e32 v141, v72, v122
	v_mul_f32_e32 v72, v72, v105
	v_fma_f32 v71, v71, v122, -v72
	v_mul_f32_e32 v72, v74, v106
	v_add_f32_e32 v71, 0, v71
	s_waitcnt vmcnt(17)
	v_fma_f32 v72, v73, v123, -v72
	v_add_f32_e32 v71, v71, v72
	v_mul_f32_e32 v72, v76, v107
	s_waitcnt vmcnt(16)
	v_fma_f32 v72, v75, v124, -v72
	v_add_f32_e32 v71, v71, v72
	v_mul_f32_e32 v72, v78, v108
	;; [unrolled: 4-line block ×8, first 2 shown]
	v_fmac_f32_e32 v142, v74, v123
	v_add_f32_e32 v141, 0, v141
	s_waitcnt vmcnt(9)
	v_fma_f32 v72, v89, v131, -v72
	v_fmac_f32_e32 v143, v76, v124
	v_add_f32_e32 v141, v141, v142
	v_add_f32_e32 v71, v71, v72
	v_mul_f32_e32 v72, v92, v115
	v_fmac_f32_e32 v144, v78, v125
	v_add_f32_e32 v141, v141, v143
	s_waitcnt vmcnt(8)
	v_fma_f32 v72, v91, v132, -v72
	v_fmac_f32_e32 v145, v80, v126
	v_add_f32_e32 v141, v141, v144
	v_add_f32_e32 v71, v71, v72
	v_mul_f32_e32 v72, v94, v116
	;; [unrolled: 8-line block ×7, first 2 shown]
	v_fmac_f32_e32 v156, v102, v137
	v_add_f32_e32 v141, v141, v155
	s_waitcnt vmcnt(2)
	v_fma_f32 v72, v103, v138, -v72
	v_fmac_f32_e32 v157, v104, v138
	v_add_f32_e32 v141, v141, v156
	v_add_f32_e32 v71, v71, v72
	;; [unrolled: 1-line block ×3, first 2 shown]
	s_waitcnt vmcnt(1)
	v_sub_f32_e32 v71, v139, v71
	s_waitcnt vmcnt(0)
	v_sub_f32_e32 v72, v140, v141
	buffer_store_dword v71, off, s[0:3], 0 offset:128
	buffer_store_dword v72, off, s[0:3], 0 offset:132
	s_and_saveexec_b64 s[4:5], vcc
	s_cbranch_execz .LBB97_187
; %bb.186:
	buffer_load_dword v71, off, s[0:3], 0 offset:120
	buffer_load_dword v72, off, s[0:3], 0 offset:124
	s_waitcnt vmcnt(0)
	ds_write_b64 v69, v[71:72]
	buffer_store_dword v70, off, s[0:3], 0 offset:120
	buffer_store_dword v70, off, s[0:3], 0 offset:124
.LBB97_187:
	s_or_b64 exec, exec, s[4:5]
	s_waitcnt lgkmcnt(0)
	; wave barrier
	buffer_load_dword v107, off, s[0:3], 0 offset:132
	buffer_load_dword v108, off, s[0:3], 0 offset:140
	;; [unrolled: 1-line block ×38, first 2 shown]
	ds_read_b128 v[71:74], v70 offset:400
	ds_read_b128 v[75:78], v70 offset:416
	;; [unrolled: 1-line block ×9, first 2 shown]
	v_cmp_lt_u32_e32 vcc, 14, v0
	s_waitcnt vmcnt(37) lgkmcnt(8)
	v_mul_f32_e32 v70, v71, v107
	s_waitcnt vmcnt(36)
	v_mul_f32_e32 v145, v73, v108
	s_waitcnt vmcnt(35) lgkmcnt(7)
	v_mul_f32_e32 v146, v75, v109
	s_waitcnt vmcnt(34)
	v_mul_f32_e32 v147, v77, v110
	;; [unrolled: 4-line block ×8, first 2 shown]
	s_waitcnt vmcnt(21) lgkmcnt(0)
	v_mul_f32_e32 v160, v103, v123
	s_waitcnt vmcnt(20)
	v_fmac_f32_e32 v70, v72, v124
	v_mul_f32_e32 v72, v72, v107
	v_fma_f32 v71, v71, v124, -v72
	v_mul_f32_e32 v72, v74, v108
	v_add_f32_e32 v71, 0, v71
	s_waitcnt vmcnt(19)
	v_fma_f32 v72, v73, v125, -v72
	v_add_f32_e32 v71, v71, v72
	v_mul_f32_e32 v72, v76, v109
	s_waitcnt vmcnt(18)
	v_fma_f32 v72, v75, v126, -v72
	v_add_f32_e32 v71, v71, v72
	v_mul_f32_e32 v72, v78, v110
	s_waitcnt vmcnt(17)
	v_fma_f32 v72, v77, v127, -v72
	v_add_f32_e32 v71, v71, v72
	v_mul_f32_e32 v72, v80, v111
	s_waitcnt vmcnt(16)
	v_fma_f32 v72, v79, v128, -v72
	v_add_f32_e32 v71, v71, v72
	v_mul_f32_e32 v72, v82, v112
	s_waitcnt vmcnt(15)
	v_fma_f32 v72, v81, v129, -v72
	v_add_f32_e32 v71, v71, v72
	v_mul_f32_e32 v72, v84, v113
	s_waitcnt vmcnt(14)
	v_fma_f32 v72, v83, v130, -v72
	v_add_f32_e32 v71, v71, v72
	v_mul_f32_e32 v72, v86, v114
	s_waitcnt vmcnt(13)
	v_fma_f32 v72, v85, v131, -v72
	v_add_f32_e32 v71, v71, v72
	v_mul_f32_e32 v72, v88, v115
	s_waitcnt vmcnt(12)
	v_fma_f32 v72, v87, v132, -v72
	v_add_f32_e32 v71, v71, v72
	v_mul_f32_e32 v72, v90, v116
	s_waitcnt vmcnt(11)
	v_fma_f32 v72, v89, v133, -v72
	v_fmac_f32_e32 v145, v74, v125
	v_add_f32_e32 v70, 0, v70
	v_add_f32_e32 v71, v71, v72
	v_mul_f32_e32 v72, v92, v117
	v_fmac_f32_e32 v146, v76, v126
	v_add_f32_e32 v70, v70, v145
	s_waitcnt vmcnt(10)
	v_fma_f32 v72, v91, v134, -v72
	v_fmac_f32_e32 v147, v78, v127
	v_add_f32_e32 v70, v70, v146
	v_add_f32_e32 v71, v71, v72
	v_mul_f32_e32 v72, v94, v118
	v_fmac_f32_e32 v148, v80, v128
	v_add_f32_e32 v70, v70, v147
	;; [unrolled: 8-line block ×7, first 2 shown]
	s_waitcnt vmcnt(4)
	v_fma_f32 v72, v103, v140, -v72
	v_fmac_f32_e32 v159, v102, v139
	v_add_f32_e32 v70, v70, v158
	v_add_f32_e32 v71, v71, v72
	s_waitcnt vmcnt(3)
	v_mul_f32_e32 v72, v106, v141
	v_add_f32_e32 v70, v70, v159
	v_fmac_f32_e32 v160, v104, v140
	v_mul_f32_e32 v145, v105, v141
	s_waitcnt vmcnt(2)
	v_fma_f32 v72, v105, v142, -v72
	v_add_f32_e32 v70, v70, v160
	v_fmac_f32_e32 v145, v106, v142
	v_add_f32_e32 v71, v71, v72
	v_add_f32_e32 v70, v70, v145
	s_waitcnt vmcnt(1)
	v_sub_f32_e32 v71, v143, v71
	s_waitcnt vmcnt(0)
	v_sub_f32_e32 v70, v144, v70
	buffer_store_dword v71, off, s[0:3], 0 offset:120
	buffer_store_dword v70, off, s[0:3], 0 offset:124
	s_and_saveexec_b64 s[4:5], vcc
	s_cbranch_execz .LBB97_189
; %bb.188:
	buffer_load_dword v70, off, s[0:3], 0 offset:112
	buffer_load_dword v71, off, s[0:3], 0 offset:116
	v_mov_b32_e32 v72, 0
	buffer_store_dword v72, off, s[0:3], 0 offset:112
	buffer_store_dword v72, off, s[0:3], 0 offset:116
	s_waitcnt vmcnt(2)
	ds_write_b64 v69, v[70:71]
.LBB97_189:
	s_or_b64 exec, exec, s[4:5]
	s_waitcnt lgkmcnt(0)
	; wave barrier
	buffer_load_dword v109, off, s[0:3], 0 offset:124
	buffer_load_dword v110, off, s[0:3], 0 offset:132
	;; [unrolled: 1-line block ×40, first 2 shown]
	v_mov_b32_e32 v70, 0
	ds_read2_b64 v[71:74], v70 offset0:49 offset1:50
	ds_read2_b64 v[75:78], v70 offset0:51 offset1:52
	;; [unrolled: 1-line block ×9, first 2 shown]
	v_cmp_lt_u32_e32 vcc, 13, v0
	s_waitcnt vmcnt(39) lgkmcnt(8)
	v_mul_f32_e32 v107, v71, v109
	s_waitcnt vmcnt(38)
	v_mul_f32_e32 v108, v73, v110
	s_waitcnt vmcnt(37) lgkmcnt(7)
	v_mul_f32_e32 v149, v75, v111
	s_waitcnt vmcnt(36)
	v_mul_f32_e32 v150, v77, v112
	s_waitcnt vmcnt(35) lgkmcnt(6)
	v_mul_f32_e32 v151, v79, v113
	s_waitcnt vmcnt(34)
	v_mul_f32_e32 v152, v81, v114
	s_waitcnt vmcnt(33) lgkmcnt(5)
	v_mul_f32_e32 v153, v83, v115
	s_waitcnt vmcnt(32)
	v_mul_f32_e32 v154, v85, v116
	s_waitcnt vmcnt(31) lgkmcnt(4)
	v_mul_f32_e32 v155, v87, v117
	s_waitcnt vmcnt(30)
	v_mul_f32_e32 v156, v89, v118
	s_waitcnt vmcnt(29) lgkmcnt(3)
	v_mul_f32_e32 v157, v91, v119
	s_waitcnt vmcnt(28)
	v_mul_f32_e32 v158, v93, v120
	s_waitcnt vmcnt(27) lgkmcnt(2)
	v_mul_f32_e32 v159, v95, v121
	s_waitcnt vmcnt(26)
	v_mul_f32_e32 v160, v97, v122
	s_waitcnt vmcnt(25) lgkmcnt(1)
	v_mul_f32_e32 v161, v99, v123
	s_waitcnt vmcnt(24)
	v_fmac_f32_e32 v107, v72, v124
	v_mul_f32_e32 v72, v72, v109
	v_fma_f32 v71, v71, v124, -v72
	v_mul_f32_e32 v72, v74, v110
	v_add_f32_e32 v71, 0, v71
	s_waitcnt vmcnt(23)
	v_fma_f32 v72, v73, v125, -v72
	v_add_f32_e32 v71, v71, v72
	v_mul_f32_e32 v72, v76, v111
	s_waitcnt vmcnt(22)
	v_fma_f32 v72, v75, v126, -v72
	v_add_f32_e32 v71, v71, v72
	v_mul_f32_e32 v72, v78, v112
	;; [unrolled: 4-line block ×6, first 2 shown]
	s_waitcnt vmcnt(17)
	v_fma_f32 v72, v85, v131, -v72
	v_fmac_f32_e32 v108, v74, v125
	v_add_f32_e32 v107, 0, v107
	v_add_f32_e32 v71, v71, v72
	v_mul_f32_e32 v72, v88, v117
	v_fmac_f32_e32 v149, v76, v126
	v_add_f32_e32 v107, v107, v108
	s_waitcnt vmcnt(16)
	v_fma_f32 v72, v87, v132, -v72
	v_fmac_f32_e32 v150, v78, v127
	v_add_f32_e32 v107, v107, v149
	v_add_f32_e32 v71, v71, v72
	v_mul_f32_e32 v72, v90, v118
	v_fmac_f32_e32 v151, v80, v128
	v_add_f32_e32 v107, v107, v150
	;; [unrolled: 8-line block ×6, first 2 shown]
	s_waitcnt vmcnt(11)
	v_fma_f32 v72, v97, v137, -v72
	v_fmac_f32_e32 v160, v98, v137
	v_add_f32_e32 v107, v107, v159
	v_add_f32_e32 v71, v71, v72
	v_mul_f32_e32 v72, v100, v123
	s_waitcnt vmcnt(10)
	v_fmac_f32_e32 v161, v100, v138
	v_add_f32_e32 v107, v107, v160
	s_waitcnt vmcnt(9)
	v_mul_f32_e32 v108, v101, v139
	v_fma_f32 v72, v99, v138, -v72
	v_add_f32_e32 v107, v107, v161
	s_waitcnt vmcnt(8)
	v_fmac_f32_e32 v108, v102, v140
	v_add_f32_e32 v71, v71, v72
	v_mul_f32_e32 v72, v102, v139
	v_add_f32_e32 v149, v107, v108
	ds_read_b64 v[107:108], v70 offset:536
	v_fma_f32 v72, v101, v140, -v72
	v_add_f32_e32 v71, v71, v72
	s_waitcnt vmcnt(7) lgkmcnt(1)
	v_mul_f32_e32 v72, v104, v141
	v_mul_f32_e32 v150, v103, v141
	s_waitcnt vmcnt(6)
	v_fma_f32 v72, v103, v142, -v72
	v_fmac_f32_e32 v150, v104, v142
	v_add_f32_e32 v71, v71, v72
	s_waitcnt vmcnt(5)
	v_mul_f32_e32 v72, v106, v143
	v_add_f32_e32 v149, v149, v150
	v_mul_f32_e32 v150, v105, v143
	s_waitcnt vmcnt(4)
	v_fma_f32 v72, v105, v144, -v72
	v_fmac_f32_e32 v150, v106, v144
	v_add_f32_e32 v71, v71, v72
	s_waitcnt vmcnt(3) lgkmcnt(0)
	v_mul_f32_e32 v72, v108, v145
	v_add_f32_e32 v149, v149, v150
	v_mul_f32_e32 v150, v107, v145
	s_waitcnt vmcnt(2)
	v_fma_f32 v72, v107, v146, -v72
	v_fmac_f32_e32 v150, v108, v146
	v_add_f32_e32 v71, v71, v72
	v_add_f32_e32 v149, v149, v150
	s_waitcnt vmcnt(1)
	v_sub_f32_e32 v71, v147, v71
	s_waitcnt vmcnt(0)
	v_sub_f32_e32 v72, v148, v149
	buffer_store_dword v71, off, s[0:3], 0 offset:112
	buffer_store_dword v72, off, s[0:3], 0 offset:116
	s_and_saveexec_b64 s[4:5], vcc
	s_cbranch_execz .LBB97_191
; %bb.190:
	buffer_load_dword v71, off, s[0:3], 0 offset:104
	buffer_load_dword v72, off, s[0:3], 0 offset:108
	s_waitcnt vmcnt(0)
	ds_write_b64 v69, v[71:72]
	buffer_store_dword v70, off, s[0:3], 0 offset:104
	buffer_store_dword v70, off, s[0:3], 0 offset:108
.LBB97_191:
	s_or_b64 exec, exec, s[4:5]
	s_waitcnt lgkmcnt(0)
	; wave barrier
	buffer_load_dword v111, off, s[0:3], 0 offset:116
	buffer_load_dword v112, off, s[0:3], 0 offset:124
	;; [unrolled: 1-line block ×42, first 2 shown]
	ds_read_b128 v[71:74], v70 offset:384
	ds_read_b128 v[75:78], v70 offset:400
	;; [unrolled: 1-line block ×8, first 2 shown]
	v_cmp_lt_u32_e32 vcc, 12, v0
	s_waitcnt vmcnt(41) lgkmcnt(7)
	v_mul_f32_e32 v103, v71, v111
	s_waitcnt vmcnt(40)
	v_mul_f32_e32 v104, v73, v112
	s_waitcnt vmcnt(39) lgkmcnt(6)
	v_mul_f32_e32 v105, v75, v113
	s_waitcnt vmcnt(38)
	v_mul_f32_e32 v106, v77, v114
	s_waitcnt vmcnt(37) lgkmcnt(5)
	v_mul_f32_e32 v107, v79, v115
	s_waitcnt vmcnt(36)
	v_mul_f32_e32 v108, v81, v116
	s_waitcnt vmcnt(35) lgkmcnt(4)
	v_mul_f32_e32 v109, v83, v117
	s_waitcnt vmcnt(34)
	v_mul_f32_e32 v110, v85, v118
	s_waitcnt vmcnt(33) lgkmcnt(3)
	v_mul_f32_e32 v153, v87, v119
	s_waitcnt vmcnt(32)
	v_mul_f32_e32 v154, v89, v120
	s_waitcnt vmcnt(31) lgkmcnt(2)
	v_mul_f32_e32 v155, v91, v121
	s_waitcnt vmcnt(30)
	v_mul_f32_e32 v156, v93, v122
	s_waitcnt vmcnt(29) lgkmcnt(1)
	v_mul_f32_e32 v157, v95, v123
	s_waitcnt vmcnt(28)
	v_mul_f32_e32 v158, v97, v124
	s_waitcnt vmcnt(27) lgkmcnt(0)
	v_mul_f32_e32 v159, v99, v125
	s_waitcnt vmcnt(26)
	v_fmac_f32_e32 v103, v72, v126
	v_mul_f32_e32 v72, v72, v111
	v_fma_f32 v71, v71, v126, -v72
	v_mul_f32_e32 v72, v74, v112
	v_add_f32_e32 v71, 0, v71
	s_waitcnt vmcnt(25)
	v_fma_f32 v72, v73, v127, -v72
	v_add_f32_e32 v71, v71, v72
	v_mul_f32_e32 v72, v76, v113
	s_waitcnt vmcnt(24)
	v_fma_f32 v72, v75, v128, -v72
	v_add_f32_e32 v71, v71, v72
	v_mul_f32_e32 v72, v78, v114
	;; [unrolled: 4-line block ×5, first 2 shown]
	v_fmac_f32_e32 v104, v74, v127
	v_add_f32_e32 v103, 0, v103
	s_waitcnt vmcnt(20)
	v_fma_f32 v72, v83, v132, -v72
	v_fmac_f32_e32 v105, v76, v128
	v_add_f32_e32 v103, v103, v104
	v_add_f32_e32 v71, v71, v72
	v_mul_f32_e32 v72, v86, v118
	v_fmac_f32_e32 v106, v78, v129
	v_add_f32_e32 v103, v103, v105
	s_waitcnt vmcnt(19)
	v_fma_f32 v72, v85, v133, -v72
	v_fmac_f32_e32 v107, v80, v130
	v_add_f32_e32 v103, v103, v106
	v_add_f32_e32 v71, v71, v72
	v_mul_f32_e32 v72, v88, v119
	v_fmac_f32_e32 v108, v82, v131
	v_add_f32_e32 v103, v103, v107
	s_waitcnt vmcnt(18)
	v_fma_f32 v72, v87, v134, -v72
	v_fmac_f32_e32 v109, v84, v132
	v_add_f32_e32 v103, v103, v108
	v_add_f32_e32 v71, v71, v72
	v_mul_f32_e32 v72, v90, v120
	v_fmac_f32_e32 v110, v86, v133
	v_add_f32_e32 v103, v103, v109
	s_waitcnt vmcnt(17)
	v_fma_f32 v72, v89, v135, -v72
	v_fmac_f32_e32 v153, v88, v134
	v_add_f32_e32 v103, v103, v110
	v_add_f32_e32 v71, v71, v72
	v_mul_f32_e32 v72, v92, v121
	v_fmac_f32_e32 v154, v90, v135
	v_add_f32_e32 v103, v103, v153
	s_waitcnt vmcnt(16)
	v_fma_f32 v72, v91, v136, -v72
	v_fmac_f32_e32 v155, v92, v136
	v_add_f32_e32 v103, v103, v154
	v_add_f32_e32 v71, v71, v72
	v_mul_f32_e32 v72, v94, v122
	s_waitcnt vmcnt(15)
	v_fmac_f32_e32 v156, v94, v137
	v_add_f32_e32 v103, v103, v155
	v_fma_f32 v72, v93, v137, -v72
	s_waitcnt vmcnt(14)
	v_fmac_f32_e32 v157, v96, v138
	v_add_f32_e32 v103, v103, v156
	v_add_f32_e32 v71, v71, v72
	v_mul_f32_e32 v72, v96, v123
	s_waitcnt vmcnt(13)
	v_fmac_f32_e32 v158, v98, v139
	v_add_f32_e32 v103, v103, v157
	v_fma_f32 v72, v95, v138, -v72
	s_waitcnt vmcnt(12)
	v_fmac_f32_e32 v159, v100, v140
	v_add_f32_e32 v103, v103, v158
	v_add_f32_e32 v71, v71, v72
	v_mul_f32_e32 v72, v98, v124
	v_add_f32_e32 v107, v103, v159
	ds_read_b128 v[103:106], v70 offset:512
	v_fma_f32 v72, v97, v139, -v72
	v_add_f32_e32 v71, v71, v72
	v_mul_f32_e32 v72, v100, v125
	s_waitcnt vmcnt(11)
	v_mul_f32_e32 v108, v101, v141
	v_fma_f32 v72, v99, v140, -v72
	s_waitcnt vmcnt(10)
	v_fmac_f32_e32 v108, v102, v142
	v_add_f32_e32 v71, v71, v72
	v_mul_f32_e32 v72, v102, v141
	v_add_f32_e32 v153, v107, v108
	ds_read_b128 v[107:110], v70 offset:528
	v_fma_f32 v72, v101, v142, -v72
	v_add_f32_e32 v71, v71, v72
	s_waitcnt vmcnt(9) lgkmcnt(1)
	v_mul_f32_e32 v72, v104, v143
	v_mul_f32_e32 v70, v103, v143
	s_waitcnt vmcnt(8)
	v_fma_f32 v72, v103, v144, -v72
	v_fmac_f32_e32 v70, v104, v144
	v_add_f32_e32 v71, v71, v72
	s_waitcnt vmcnt(7)
	v_mul_f32_e32 v72, v106, v145
	v_add_f32_e32 v70, v153, v70
	v_mul_f32_e32 v153, v105, v145
	s_waitcnt vmcnt(6)
	v_fma_f32 v72, v105, v146, -v72
	v_fmac_f32_e32 v153, v106, v146
	v_add_f32_e32 v71, v71, v72
	s_waitcnt vmcnt(5) lgkmcnt(0)
	v_mul_f32_e32 v72, v108, v147
	v_add_f32_e32 v70, v70, v153
	v_mul_f32_e32 v153, v107, v147
	s_waitcnt vmcnt(4)
	v_fma_f32 v72, v107, v148, -v72
	v_fmac_f32_e32 v153, v108, v148
	v_add_f32_e32 v71, v71, v72
	s_waitcnt vmcnt(3)
	v_mul_f32_e32 v72, v110, v149
	v_add_f32_e32 v70, v70, v153
	v_mul_f32_e32 v153, v109, v149
	s_waitcnt vmcnt(2)
	v_fma_f32 v72, v109, v150, -v72
	v_fmac_f32_e32 v153, v110, v150
	v_add_f32_e32 v71, v71, v72
	v_add_f32_e32 v70, v70, v153
	s_waitcnt vmcnt(1)
	v_sub_f32_e32 v71, v151, v71
	s_waitcnt vmcnt(0)
	v_sub_f32_e32 v70, v152, v70
	buffer_store_dword v71, off, s[0:3], 0 offset:104
	buffer_store_dword v70, off, s[0:3], 0 offset:108
	s_and_saveexec_b64 s[4:5], vcc
	s_cbranch_execz .LBB97_193
; %bb.192:
	buffer_load_dword v70, off, s[0:3], 0 offset:96
	buffer_load_dword v71, off, s[0:3], 0 offset:100
	v_mov_b32_e32 v72, 0
	buffer_store_dword v72, off, s[0:3], 0 offset:96
	buffer_store_dword v72, off, s[0:3], 0 offset:100
	s_waitcnt vmcnt(2)
	ds_write_b64 v69, v[70:71]
.LBB97_193:
	s_or_b64 exec, exec, s[4:5]
	s_waitcnt lgkmcnt(0)
	; wave barrier
	buffer_load_dword v113, off, s[0:3], 0 offset:108
	buffer_load_dword v114, off, s[0:3], 0 offset:116
	;; [unrolled: 1-line block ×44, first 2 shown]
	v_mov_b32_e32 v70, 0
	ds_read2_b64 v[71:74], v70 offset0:47 offset1:48
	ds_read2_b64 v[75:78], v70 offset0:49 offset1:50
	;; [unrolled: 1-line block ×8, first 2 shown]
	v_cmp_lt_u32_e32 vcc, 11, v0
	s_waitcnt vmcnt(43) lgkmcnt(7)
	v_mul_f32_e32 v103, v71, v113
	s_waitcnt vmcnt(42)
	v_mul_f32_e32 v104, v73, v114
	s_waitcnt vmcnt(41) lgkmcnt(6)
	v_mul_f32_e32 v105, v75, v115
	s_waitcnt vmcnt(40)
	v_mul_f32_e32 v106, v77, v116
	;; [unrolled: 4-line block ×7, first 2 shown]
	s_waitcnt vmcnt(29)
	v_fmac_f32_e32 v103, v72, v127
	v_mul_f32_e32 v72, v72, v113
	v_fma_f32 v71, v71, v127, -v72
	v_mul_f32_e32 v72, v74, v114
	v_add_f32_e32 v71, 0, v71
	s_waitcnt vmcnt(28)
	v_fma_f32 v72, v73, v128, -v72
	v_add_f32_e32 v71, v71, v72
	v_mul_f32_e32 v72, v76, v115
	s_waitcnt vmcnt(27)
	v_fma_f32 v72, v75, v129, -v72
	v_add_f32_e32 v71, v71, v72
	v_mul_f32_e32 v72, v78, v116
	;; [unrolled: 4-line block ×4, first 2 shown]
	s_waitcnt vmcnt(24)
	v_fma_f32 v72, v81, v132, -v72
	v_fmac_f32_e32 v104, v74, v128
	v_add_f32_e32 v103, 0, v103
	v_add_f32_e32 v71, v71, v72
	v_mul_f32_e32 v72, v84, v119
	v_fmac_f32_e32 v105, v76, v129
	v_add_f32_e32 v103, v103, v104
	s_waitcnt vmcnt(23)
	v_fma_f32 v72, v83, v133, -v72
	v_fmac_f32_e32 v106, v78, v130
	v_add_f32_e32 v103, v103, v105
	v_add_f32_e32 v71, v71, v72
	v_mul_f32_e32 v72, v86, v120
	v_fmac_f32_e32 v107, v80, v131
	v_add_f32_e32 v103, v103, v106
	;; [unrolled: 8-line block ×4, first 2 shown]
	s_waitcnt vmcnt(20)
	v_fma_f32 v72, v89, v136, -v72
	v_fmac_f32_e32 v112, v90, v136
	v_add_f32_e32 v103, v103, v111
	v_add_f32_e32 v71, v71, v72
	v_mul_f32_e32 v72, v92, v123
	s_waitcnt vmcnt(19)
	v_fmac_f32_e32 v157, v92, v137
	v_add_f32_e32 v103, v103, v112
	v_fma_f32 v72, v91, v137, -v72
	s_waitcnt vmcnt(18)
	v_fmac_f32_e32 v158, v94, v138
	v_add_f32_e32 v103, v103, v157
	v_add_f32_e32 v71, v71, v72
	v_mul_f32_e32 v72, v94, v124
	s_waitcnt vmcnt(17)
	v_fmac_f32_e32 v159, v96, v139
	v_add_f32_e32 v103, v103, v158
	v_fma_f32 v72, v93, v138, -v72
	v_add_f32_e32 v103, v103, v159
	s_waitcnt vmcnt(16)
	v_fmac_f32_e32 v160, v98, v140
	s_waitcnt vmcnt(15) lgkmcnt(0)
	v_mul_f32_e32 v104, v99, v141
	v_add_f32_e32 v71, v71, v72
	v_mul_f32_e32 v72, v96, v125
	v_add_f32_e32 v103, v103, v160
	s_waitcnt vmcnt(14)
	v_fmac_f32_e32 v104, v100, v142
	v_fma_f32 v72, v95, v139, -v72
	v_add_f32_e32 v107, v103, v104
	ds_read2_b64 v[103:106], v70 offset0:63 offset1:64
	v_add_f32_e32 v71, v71, v72
	v_mul_f32_e32 v72, v98, v126
	v_fma_f32 v72, v97, v140, -v72
	v_add_f32_e32 v71, v71, v72
	v_mul_f32_e32 v72, v100, v141
	s_waitcnt vmcnt(13)
	v_mul_f32_e32 v108, v101, v143
	v_fma_f32 v72, v99, v142, -v72
	s_waitcnt vmcnt(12)
	v_fmac_f32_e32 v108, v102, v144
	v_add_f32_e32 v71, v71, v72
	v_mul_f32_e32 v72, v102, v143
	v_add_f32_e32 v111, v107, v108
	ds_read2_b64 v[107:110], v70 offset0:65 offset1:66
	s_waitcnt vmcnt(11) lgkmcnt(1)
	v_mul_f32_e32 v112, v103, v145
	v_fma_f32 v72, v101, v144, -v72
	s_waitcnt vmcnt(10)
	v_fmac_f32_e32 v112, v104, v146
	v_add_f32_e32 v71, v71, v72
	v_mul_f32_e32 v72, v104, v145
	v_add_f32_e32 v111, v111, v112
	s_waitcnt vmcnt(9)
	v_mul_f32_e32 v112, v105, v147
	v_fma_f32 v72, v103, v146, -v72
	s_waitcnt vmcnt(8)
	v_fmac_f32_e32 v112, v106, v148
	v_add_f32_e32 v71, v71, v72
	v_mul_f32_e32 v72, v106, v147
	v_add_f32_e32 v157, v111, v112
	ds_read_b64 v[111:112], v70 offset:536
	v_fma_f32 v72, v105, v148, -v72
	v_add_f32_e32 v71, v71, v72
	s_waitcnt vmcnt(7) lgkmcnt(1)
	v_mul_f32_e32 v72, v108, v149
	v_mul_f32_e32 v158, v107, v149
	s_waitcnt vmcnt(6)
	v_fma_f32 v72, v107, v150, -v72
	v_fmac_f32_e32 v158, v108, v150
	v_add_f32_e32 v71, v71, v72
	s_waitcnt vmcnt(5)
	v_mul_f32_e32 v72, v110, v151
	v_add_f32_e32 v157, v157, v158
	v_mul_f32_e32 v158, v109, v151
	s_waitcnt vmcnt(4)
	v_fma_f32 v72, v109, v152, -v72
	v_fmac_f32_e32 v158, v110, v152
	v_add_f32_e32 v71, v71, v72
	s_waitcnt vmcnt(3) lgkmcnt(0)
	v_mul_f32_e32 v72, v112, v153
	v_add_f32_e32 v157, v157, v158
	v_mul_f32_e32 v158, v111, v153
	s_waitcnt vmcnt(2)
	v_fma_f32 v72, v111, v154, -v72
	v_fmac_f32_e32 v158, v112, v154
	v_add_f32_e32 v71, v71, v72
	v_add_f32_e32 v157, v157, v158
	s_waitcnt vmcnt(1)
	v_sub_f32_e32 v71, v155, v71
	s_waitcnt vmcnt(0)
	v_sub_f32_e32 v72, v156, v157
	buffer_store_dword v71, off, s[0:3], 0 offset:96
	buffer_store_dword v72, off, s[0:3], 0 offset:100
	s_and_saveexec_b64 s[4:5], vcc
	s_cbranch_execz .LBB97_195
; %bb.194:
	buffer_load_dword v71, off, s[0:3], 0 offset:88
	buffer_load_dword v72, off, s[0:3], 0 offset:92
	s_waitcnt vmcnt(0)
	ds_write_b64 v69, v[71:72]
	buffer_store_dword v70, off, s[0:3], 0 offset:88
	buffer_store_dword v70, off, s[0:3], 0 offset:92
.LBB97_195:
	s_or_b64 exec, exec, s[4:5]
	s_waitcnt lgkmcnt(0)
	; wave barrier
	buffer_load_dword v115, off, s[0:3], 0 offset:100
	buffer_load_dword v116, off, s[0:3], 0 offset:108
	;; [unrolled: 1-line block ×46, first 2 shown]
	ds_read_b128 v[71:74], v70 offset:368
	ds_read_b128 v[75:78], v70 offset:384
	;; [unrolled: 1-line block ×8, first 2 shown]
	v_cmp_lt_u32_e32 vcc, 10, v0
	s_waitcnt vmcnt(45) lgkmcnt(7)
	v_mul_f32_e32 v103, v71, v115
	s_waitcnt vmcnt(44)
	v_mul_f32_e32 v104, v73, v116
	s_waitcnt vmcnt(43) lgkmcnt(6)
	v_mul_f32_e32 v105, v75, v117
	s_waitcnt vmcnt(42)
	v_mul_f32_e32 v106, v77, v118
	;; [unrolled: 4-line block ×6, first 2 shown]
	s_waitcnt vmcnt(33) lgkmcnt(1)
	v_mul_f32_e32 v161, v95, v127
	s_waitcnt vmcnt(32)
	v_fmac_f32_e32 v103, v72, v128
	v_mul_f32_e32 v72, v72, v115
	v_fma_f32 v71, v71, v128, -v72
	v_mul_f32_e32 v72, v74, v116
	v_add_f32_e32 v71, 0, v71
	s_waitcnt vmcnt(31)
	v_fma_f32 v72, v73, v129, -v72
	v_add_f32_e32 v71, v71, v72
	v_mul_f32_e32 v72, v76, v117
	s_waitcnt vmcnt(30)
	v_fma_f32 v72, v75, v130, -v72
	v_add_f32_e32 v71, v71, v72
	v_mul_f32_e32 v72, v78, v118
	;; [unrolled: 4-line block ×4, first 2 shown]
	v_fmac_f32_e32 v104, v74, v129
	v_add_f32_e32 v103, 0, v103
	s_waitcnt vmcnt(27)
	v_fma_f32 v72, v81, v133, -v72
	v_fmac_f32_e32 v105, v76, v130
	v_add_f32_e32 v103, v103, v104
	v_add_f32_e32 v71, v71, v72
	v_mul_f32_e32 v72, v84, v121
	v_fmac_f32_e32 v106, v78, v131
	v_add_f32_e32 v103, v103, v105
	s_waitcnt vmcnt(26)
	v_fma_f32 v72, v83, v134, -v72
	v_fmac_f32_e32 v107, v80, v132
	v_add_f32_e32 v103, v103, v106
	v_add_f32_e32 v71, v71, v72
	v_mul_f32_e32 v72, v86, v122
	;; [unrolled: 8-line block ×4, first 2 shown]
	s_waitcnt vmcnt(23)
	v_fmac_f32_e32 v112, v90, v137
	v_add_f32_e32 v103, v103, v111
	v_fma_f32 v72, v89, v137, -v72
	s_waitcnt vmcnt(22)
	v_fmac_f32_e32 v113, v92, v138
	v_add_f32_e32 v103, v103, v112
	v_add_f32_e32 v71, v71, v72
	v_mul_f32_e32 v72, v92, v125
	s_waitcnt vmcnt(21)
	v_fmac_f32_e32 v114, v94, v139
	v_add_f32_e32 v103, v103, v113
	v_fma_f32 v72, v91, v138, -v72
	s_waitcnt vmcnt(20)
	v_fmac_f32_e32 v161, v96, v140
	v_add_f32_e32 v103, v103, v114
	s_waitcnt vmcnt(19)
	v_mul_f32_e32 v104, v97, v141
	v_add_f32_e32 v71, v71, v72
	v_mul_f32_e32 v72, v94, v126
	v_add_f32_e32 v103, v103, v161
	s_waitcnt vmcnt(18)
	v_fmac_f32_e32 v104, v98, v142
	v_fma_f32 v72, v93, v139, -v72
	v_add_f32_e32 v103, v103, v104
	s_waitcnt vmcnt(17) lgkmcnt(0)
	v_mul_f32_e32 v104, v99, v143
	v_add_f32_e32 v71, v71, v72
	v_mul_f32_e32 v72, v96, v127
	s_waitcnt vmcnt(16)
	v_fmac_f32_e32 v104, v100, v144
	v_fma_f32 v72, v95, v140, -v72
	v_add_f32_e32 v107, v103, v104
	ds_read_b128 v[103:106], v70 offset:496
	v_add_f32_e32 v71, v71, v72
	v_mul_f32_e32 v72, v98, v141
	v_fma_f32 v72, v97, v142, -v72
	v_add_f32_e32 v71, v71, v72
	v_mul_f32_e32 v72, v100, v143
	s_waitcnt vmcnt(15)
	v_mul_f32_e32 v108, v101, v145
	v_fma_f32 v72, v99, v144, -v72
	s_waitcnt vmcnt(14)
	v_fmac_f32_e32 v108, v102, v146
	v_add_f32_e32 v71, v71, v72
	v_mul_f32_e32 v72, v102, v145
	v_add_f32_e32 v111, v107, v108
	ds_read_b128 v[107:110], v70 offset:512
	s_waitcnt vmcnt(13) lgkmcnt(1)
	v_mul_f32_e32 v112, v103, v147
	v_fma_f32 v72, v101, v146, -v72
	s_waitcnt vmcnt(12)
	v_fmac_f32_e32 v112, v104, v148
	v_add_f32_e32 v71, v71, v72
	v_mul_f32_e32 v72, v104, v147
	v_add_f32_e32 v111, v111, v112
	s_waitcnt vmcnt(11)
	v_mul_f32_e32 v112, v105, v149
	v_fma_f32 v72, v103, v148, -v72
	s_waitcnt vmcnt(10)
	v_fmac_f32_e32 v112, v106, v150
	v_add_f32_e32 v71, v71, v72
	v_mul_f32_e32 v72, v106, v149
	v_add_f32_e32 v161, v111, v112
	ds_read_b128 v[111:114], v70 offset:528
	v_fma_f32 v72, v105, v150, -v72
	v_add_f32_e32 v71, v71, v72
	s_waitcnt vmcnt(9) lgkmcnt(1)
	v_mul_f32_e32 v72, v108, v151
	v_mul_f32_e32 v162, v107, v151
	s_waitcnt vmcnt(8)
	v_fma_f32 v72, v107, v152, -v72
	v_fmac_f32_e32 v162, v108, v152
	v_add_f32_e32 v71, v71, v72
	s_waitcnt vmcnt(7)
	v_mul_f32_e32 v72, v110, v153
	v_add_f32_e32 v70, v161, v162
	v_mul_f32_e32 v161, v109, v153
	s_waitcnt vmcnt(6)
	v_fma_f32 v72, v109, v154, -v72
	v_fmac_f32_e32 v161, v110, v154
	v_add_f32_e32 v71, v71, v72
	s_waitcnt vmcnt(5) lgkmcnt(0)
	v_mul_f32_e32 v72, v112, v155
	v_add_f32_e32 v70, v70, v161
	v_mul_f32_e32 v161, v111, v155
	s_waitcnt vmcnt(4)
	v_fma_f32 v72, v111, v156, -v72
	v_fmac_f32_e32 v161, v112, v156
	v_add_f32_e32 v71, v71, v72
	s_waitcnt vmcnt(3)
	v_mul_f32_e32 v72, v114, v157
	v_add_f32_e32 v70, v70, v161
	v_mul_f32_e32 v161, v113, v157
	s_waitcnt vmcnt(2)
	v_fma_f32 v72, v113, v158, -v72
	v_fmac_f32_e32 v161, v114, v158
	v_add_f32_e32 v71, v71, v72
	v_add_f32_e32 v70, v70, v161
	s_waitcnt vmcnt(1)
	v_sub_f32_e32 v71, v159, v71
	s_waitcnt vmcnt(0)
	v_sub_f32_e32 v70, v160, v70
	buffer_store_dword v71, off, s[0:3], 0 offset:88
	buffer_store_dword v70, off, s[0:3], 0 offset:92
	s_and_saveexec_b64 s[4:5], vcc
	s_cbranch_execz .LBB97_197
; %bb.196:
	buffer_load_dword v70, off, s[0:3], 0 offset:80
	buffer_load_dword v71, off, s[0:3], 0 offset:84
	v_mov_b32_e32 v72, 0
	buffer_store_dword v72, off, s[0:3], 0 offset:80
	buffer_store_dword v72, off, s[0:3], 0 offset:84
	s_waitcnt vmcnt(2)
	ds_write_b64 v69, v[70:71]
.LBB97_197:
	s_or_b64 exec, exec, s[4:5]
	s_waitcnt lgkmcnt(0)
	; wave barrier
	buffer_load_dword v117, off, s[0:3], 0 offset:92
	buffer_load_dword v118, off, s[0:3], 0 offset:100
	;; [unrolled: 1-line block ×48, first 2 shown]
	v_mov_b32_e32 v70, 0
	ds_read2_b64 v[71:74], v70 offset0:45 offset1:46
	ds_read2_b64 v[75:78], v70 offset0:47 offset1:48
	;; [unrolled: 1-line block ×7, first 2 shown]
	v_cmp_lt_u32_e32 vcc, 9, v0
	s_waitcnt vmcnt(47) lgkmcnt(6)
	v_mul_f32_e32 v99, v71, v117
	s_waitcnt vmcnt(46)
	v_mul_f32_e32 v100, v73, v118
	s_waitcnt vmcnt(45) lgkmcnt(5)
	v_mul_f32_e32 v101, v75, v119
	s_waitcnt vmcnt(44)
	v_mul_f32_e32 v102, v77, v120
	;; [unrolled: 4-line block ×6, first 2 shown]
	s_waitcnt vmcnt(35)
	v_fmac_f32_e32 v99, v72, v129
	v_mul_f32_e32 v72, v72, v117
	v_fma_f32 v71, v71, v129, -v72
	v_mul_f32_e32 v72, v74, v118
	v_add_f32_e32 v71, 0, v71
	s_waitcnt vmcnt(34)
	v_fma_f32 v72, v73, v130, -v72
	v_add_f32_e32 v71, v71, v72
	v_mul_f32_e32 v72, v76, v119
	s_waitcnt vmcnt(33)
	v_fma_f32 v72, v75, v131, -v72
	v_fmac_f32_e32 v100, v74, v130
	v_add_f32_e32 v99, 0, v99
	v_add_f32_e32 v71, v71, v72
	v_mul_f32_e32 v72, v78, v120
	v_fmac_f32_e32 v101, v76, v131
	v_add_f32_e32 v99, v99, v100
	s_waitcnt vmcnt(32)
	v_fma_f32 v72, v77, v132, -v72
	v_fmac_f32_e32 v102, v78, v132
	v_add_f32_e32 v99, v99, v101
	v_add_f32_e32 v71, v71, v72
	v_mul_f32_e32 v72, v80, v121
	s_waitcnt vmcnt(31)
	v_fmac_f32_e32 v103, v80, v133
	v_add_f32_e32 v99, v99, v102
	v_fma_f32 v72, v79, v133, -v72
	s_waitcnt vmcnt(30)
	v_fmac_f32_e32 v104, v82, v134
	v_add_f32_e32 v99, v99, v103
	v_add_f32_e32 v71, v71, v72
	v_mul_f32_e32 v72, v82, v122
	s_waitcnt vmcnt(29)
	v_fmac_f32_e32 v105, v84, v135
	v_add_f32_e32 v99, v99, v104
	v_fma_f32 v72, v81, v134, -v72
	s_waitcnt vmcnt(28)
	;; [unrolled: 9-line block ×4, first 2 shown]
	v_fmac_f32_e32 v110, v94, v140
	v_add_f32_e32 v99, v99, v109
	v_add_f32_e32 v71, v71, v72
	v_mul_f32_e32 v72, v88, v125
	v_add_f32_e32 v103, v99, v110
	ds_read2_b64 v[99:102], v70 offset0:59 offset1:60
	v_fma_f32 v72, v87, v137, -v72
	s_waitcnt vmcnt(23) lgkmcnt(1)
	v_mul_f32_e32 v104, v95, v141
	v_add_f32_e32 v71, v71, v72
	v_mul_f32_e32 v72, v90, v126
	s_waitcnt vmcnt(22)
	v_fmac_f32_e32 v104, v96, v142
	v_fma_f32 v72, v89, v138, -v72
	v_add_f32_e32 v103, v103, v104
	s_waitcnt vmcnt(21)
	v_mul_f32_e32 v104, v97, v143
	v_add_f32_e32 v71, v71, v72
	v_mul_f32_e32 v72, v92, v127
	s_waitcnt vmcnt(20)
	v_fmac_f32_e32 v104, v98, v144
	v_fma_f32 v72, v91, v139, -v72
	v_add_f32_e32 v103, v103, v104
	s_waitcnt vmcnt(19) lgkmcnt(0)
	v_mul_f32_e32 v104, v99, v145
	v_add_f32_e32 v71, v71, v72
	v_mul_f32_e32 v72, v94, v128
	s_waitcnt vmcnt(18)
	v_fmac_f32_e32 v104, v100, v146
	v_fma_f32 v72, v93, v140, -v72
	v_add_f32_e32 v107, v103, v104
	ds_read2_b64 v[103:106], v70 offset0:61 offset1:62
	v_add_f32_e32 v71, v71, v72
	v_mul_f32_e32 v72, v96, v141
	v_fma_f32 v72, v95, v142, -v72
	s_waitcnt vmcnt(17)
	v_mul_f32_e32 v108, v101, v147
	v_add_f32_e32 v71, v71, v72
	v_mul_f32_e32 v72, v98, v143
	s_waitcnt vmcnt(16)
	v_fmac_f32_e32 v108, v102, v148
	v_fma_f32 v72, v97, v144, -v72
	v_add_f32_e32 v111, v107, v108
	ds_read2_b64 v[107:110], v70 offset0:63 offset1:64
	v_add_f32_e32 v71, v71, v72
	v_mul_f32_e32 v72, v100, v145
	s_waitcnt vmcnt(15) lgkmcnt(1)
	v_mul_f32_e32 v112, v103, v149
	v_fma_f32 v72, v99, v146, -v72
	s_waitcnt vmcnt(14)
	v_fmac_f32_e32 v112, v104, v150
	v_add_f32_e32 v71, v71, v72
	v_mul_f32_e32 v72, v102, v147
	v_add_f32_e32 v111, v111, v112
	s_waitcnt vmcnt(13)
	v_mul_f32_e32 v112, v105, v151
	v_fma_f32 v72, v101, v148, -v72
	s_waitcnt vmcnt(12)
	v_fmac_f32_e32 v112, v106, v152
	v_add_f32_e32 v71, v71, v72
	v_mul_f32_e32 v72, v104, v149
	v_add_f32_e32 v111, v111, v112
	s_waitcnt vmcnt(11) lgkmcnt(0)
	v_mul_f32_e32 v112, v107, v153
	v_fma_f32 v72, v103, v150, -v72
	s_waitcnt vmcnt(10)
	v_fmac_f32_e32 v112, v108, v154
	v_add_f32_e32 v71, v71, v72
	v_mul_f32_e32 v72, v106, v151
	v_add_f32_e32 v115, v111, v112
	ds_read2_b64 v[111:114], v70 offset0:65 offset1:66
	v_fma_f32 v72, v105, v152, -v72
	v_add_f32_e32 v71, v71, v72
	v_mul_f32_e32 v72, v108, v153
	s_waitcnt vmcnt(9)
	v_mul_f32_e32 v116, v109, v155
	v_fma_f32 v72, v107, v154, -v72
	s_waitcnt vmcnt(8)
	v_fmac_f32_e32 v116, v110, v156
	v_add_f32_e32 v71, v71, v72
	v_mul_f32_e32 v72, v110, v155
	v_add_f32_e32 v165, v115, v116
	ds_read_b64 v[115:116], v70 offset:536
	v_fma_f32 v72, v109, v156, -v72
	v_add_f32_e32 v71, v71, v72
	s_waitcnt vmcnt(6) lgkmcnt(1)
	v_mul_f32_e32 v72, v112, v158
	v_mul_f32_e32 v166, v111, v158
	v_fma_f32 v72, v111, v157, -v72
	v_fmac_f32_e32 v166, v112, v157
	v_add_f32_e32 v71, v71, v72
	s_waitcnt vmcnt(3)
	v_mul_f32_e32 v72, v114, v161
	v_add_f32_e32 v165, v165, v166
	v_mul_f32_e32 v166, v113, v161
	s_waitcnt vmcnt(2)
	v_fma_f32 v72, v113, v162, -v72
	v_fmac_f32_e32 v166, v114, v162
	v_add_f32_e32 v71, v71, v72
	s_waitcnt vmcnt(0) lgkmcnt(0)
	v_mul_f32_e32 v72, v116, v164
	v_add_f32_e32 v165, v165, v166
	v_mul_f32_e32 v166, v115, v164
	v_fma_f32 v72, v115, v163, -v72
	v_fmac_f32_e32 v166, v116, v163
	v_add_f32_e32 v71, v71, v72
	v_add_f32_e32 v165, v165, v166
	v_sub_f32_e32 v71, v159, v71
	v_sub_f32_e32 v72, v160, v165
	buffer_store_dword v71, off, s[0:3], 0 offset:80
	buffer_store_dword v72, off, s[0:3], 0 offset:84
	s_and_saveexec_b64 s[4:5], vcc
	s_cbranch_execz .LBB97_199
; %bb.198:
	buffer_load_dword v71, off, s[0:3], 0 offset:72
	buffer_load_dword v72, off, s[0:3], 0 offset:76
	s_waitcnt vmcnt(0)
	ds_write_b64 v69, v[71:72]
	buffer_store_dword v70, off, s[0:3], 0 offset:72
	buffer_store_dword v70, off, s[0:3], 0 offset:76
.LBB97_199:
	s_or_b64 exec, exec, s[4:5]
	s_waitcnt lgkmcnt(0)
	; wave barrier
	buffer_load_dword v119, off, s[0:3], 0 offset:84
	buffer_load_dword v120, off, s[0:3], 0 offset:92
	;; [unrolled: 1-line block ×48, first 2 shown]
	ds_read_b128 v[71:74], v70 offset:352
	ds_read_b128 v[75:78], v70 offset:368
	buffer_load_dword v167, off, s[0:3], 0 offset:264
	buffer_load_dword v168, off, s[0:3], 0 offset:268
	ds_read_b128 v[79:82], v70 offset:384
	ds_read_b128 v[83:86], v70 offset:400
	;; [unrolled: 1-line block ×5, first 2 shown]
	v_cmp_lt_u32_e32 vcc, 8, v0
	s_waitcnt vmcnt(49) lgkmcnt(6)
	v_mul_f32_e32 v99, v71, v119
	s_waitcnt vmcnt(48)
	v_mul_f32_e32 v100, v73, v120
	s_waitcnt vmcnt(47) lgkmcnt(5)
	v_mul_f32_e32 v101, v75, v121
	s_waitcnt vmcnt(46)
	v_mul_f32_e32 v102, v77, v122
	s_waitcnt vmcnt(45) lgkmcnt(4)
	v_mul_f32_e32 v103, v79, v123
	s_waitcnt vmcnt(44)
	v_mul_f32_e32 v104, v81, v124
	s_waitcnt vmcnt(43) lgkmcnt(3)
	v_mul_f32_e32 v105, v83, v125
	s_waitcnt vmcnt(42)
	v_mul_f32_e32 v106, v85, v126
	s_waitcnt vmcnt(41) lgkmcnt(2)
	v_mul_f32_e32 v107, v87, v127
	s_waitcnt vmcnt(40)
	v_mul_f32_e32 v108, v89, v128
	s_waitcnt vmcnt(39) lgkmcnt(1)
	v_mul_f32_e32 v109, v91, v129
	s_waitcnt vmcnt(38)
	v_mul_f32_e32 v110, v93, v130
	s_waitcnt vmcnt(37)
	v_fmac_f32_e32 v99, v72, v131
	v_mul_f32_e32 v72, v72, v119
	v_fma_f32 v71, v71, v131, -v72
	v_mul_f32_e32 v72, v74, v120
	v_add_f32_e32 v71, 0, v71
	s_waitcnt vmcnt(36)
	v_fma_f32 v72, v73, v132, -v72
	v_add_f32_e32 v71, v71, v72
	v_mul_f32_e32 v72, v76, v121
	s_waitcnt vmcnt(35)
	v_fma_f32 v72, v75, v133, -v72
	v_fmac_f32_e32 v100, v74, v132
	v_add_f32_e32 v99, 0, v99
	v_add_f32_e32 v71, v71, v72
	v_mul_f32_e32 v72, v78, v122
	v_fmac_f32_e32 v101, v76, v133
	v_add_f32_e32 v99, v99, v100
	s_waitcnt vmcnt(34)
	v_fma_f32 v72, v77, v134, -v72
	v_fmac_f32_e32 v102, v78, v134
	v_add_f32_e32 v99, v99, v101
	v_add_f32_e32 v71, v71, v72
	v_mul_f32_e32 v72, v80, v123
	s_waitcnt vmcnt(33)
	v_fmac_f32_e32 v103, v80, v135
	v_add_f32_e32 v99, v99, v102
	v_fma_f32 v72, v79, v135, -v72
	s_waitcnt vmcnt(32)
	v_fmac_f32_e32 v104, v82, v136
	v_add_f32_e32 v99, v99, v103
	v_add_f32_e32 v71, v71, v72
	v_mul_f32_e32 v72, v82, v124
	s_waitcnt vmcnt(31)
	v_fmac_f32_e32 v105, v84, v137
	v_add_f32_e32 v99, v99, v104
	v_fma_f32 v72, v81, v136, -v72
	s_waitcnt vmcnt(30)
	;; [unrolled: 9-line block ×3, first 2 shown]
	v_fmac_f32_e32 v108, v90, v140
	v_add_f32_e32 v99, v99, v107
	v_add_f32_e32 v71, v71, v72
	v_mul_f32_e32 v72, v86, v126
	s_waitcnt vmcnt(27)
	v_fmac_f32_e32 v109, v92, v141
	v_add_f32_e32 v99, v99, v108
	v_fma_f32 v72, v85, v138, -v72
	v_add_f32_e32 v99, v99, v109
	s_waitcnt vmcnt(26)
	v_fmac_f32_e32 v110, v94, v142
	v_add_f32_e32 v71, v71, v72
	v_mul_f32_e32 v72, v88, v127
	v_add_f32_e32 v103, v99, v110
	ds_read_b128 v[99:102], v70 offset:464
	v_fma_f32 v72, v87, v139, -v72
	s_waitcnt vmcnt(25) lgkmcnt(1)
	v_mul_f32_e32 v104, v95, v143
	v_add_f32_e32 v71, v71, v72
	v_mul_f32_e32 v72, v90, v128
	s_waitcnt vmcnt(24)
	v_fmac_f32_e32 v104, v96, v144
	v_fma_f32 v72, v89, v140, -v72
	v_add_f32_e32 v103, v103, v104
	s_waitcnt vmcnt(23)
	v_mul_f32_e32 v104, v97, v145
	v_add_f32_e32 v71, v71, v72
	v_mul_f32_e32 v72, v92, v129
	s_waitcnt vmcnt(22)
	v_fmac_f32_e32 v104, v98, v146
	v_fma_f32 v72, v91, v141, -v72
	v_add_f32_e32 v103, v103, v104
	s_waitcnt vmcnt(21) lgkmcnt(0)
	v_mul_f32_e32 v104, v99, v147
	v_add_f32_e32 v71, v71, v72
	v_mul_f32_e32 v72, v94, v130
	s_waitcnt vmcnt(20)
	v_fmac_f32_e32 v104, v100, v148
	v_fma_f32 v72, v93, v142, -v72
	v_add_f32_e32 v107, v103, v104
	ds_read_b128 v[103:106], v70 offset:480
	v_add_f32_e32 v71, v71, v72
	v_mul_f32_e32 v72, v96, v143
	v_fma_f32 v72, v95, v144, -v72
	s_waitcnt vmcnt(19)
	v_mul_f32_e32 v108, v101, v149
	v_add_f32_e32 v71, v71, v72
	v_mul_f32_e32 v72, v98, v145
	s_waitcnt vmcnt(18)
	v_fmac_f32_e32 v108, v102, v150
	v_fma_f32 v72, v97, v146, -v72
	v_add_f32_e32 v111, v107, v108
	ds_read_b128 v[107:110], v70 offset:496
	v_add_f32_e32 v71, v71, v72
	v_mul_f32_e32 v72, v100, v147
	s_waitcnt vmcnt(17) lgkmcnt(1)
	v_mul_f32_e32 v112, v103, v151
	v_fma_f32 v72, v99, v148, -v72
	s_waitcnt vmcnt(16)
	v_fmac_f32_e32 v112, v104, v152
	v_add_f32_e32 v71, v71, v72
	v_mul_f32_e32 v72, v102, v149
	v_add_f32_e32 v111, v111, v112
	s_waitcnt vmcnt(15)
	v_mul_f32_e32 v112, v105, v153
	v_fma_f32 v72, v101, v150, -v72
	s_waitcnt vmcnt(14)
	v_fmac_f32_e32 v112, v106, v154
	v_add_f32_e32 v71, v71, v72
	v_mul_f32_e32 v72, v104, v151
	v_add_f32_e32 v111, v111, v112
	s_waitcnt vmcnt(13) lgkmcnt(0)
	v_mul_f32_e32 v112, v107, v155
	v_fma_f32 v72, v103, v152, -v72
	s_waitcnt vmcnt(12)
	v_fmac_f32_e32 v112, v108, v156
	v_add_f32_e32 v71, v71, v72
	v_mul_f32_e32 v72, v106, v153
	v_add_f32_e32 v115, v111, v112
	ds_read_b128 v[111:114], v70 offset:512
	v_fma_f32 v72, v105, v154, -v72
	v_add_f32_e32 v71, v71, v72
	v_mul_f32_e32 v72, v108, v155
	s_waitcnt vmcnt(11)
	v_mul_f32_e32 v116, v109, v157
	v_fma_f32 v72, v107, v156, -v72
	s_waitcnt vmcnt(10)
	v_fmac_f32_e32 v116, v110, v158
	v_add_f32_e32 v71, v71, v72
	v_mul_f32_e32 v72, v110, v157
	v_add_f32_e32 v169, v115, v116
	ds_read_b128 v[115:118], v70 offset:528
	v_fma_f32 v72, v109, v158, -v72
	v_add_f32_e32 v71, v71, v72
	s_waitcnt vmcnt(7) lgkmcnt(1)
	v_mul_f32_e32 v72, v112, v161
	v_mul_f32_e32 v70, v111, v161
	s_waitcnt vmcnt(6)
	v_fma_f32 v72, v111, v162, -v72
	v_fmac_f32_e32 v70, v112, v162
	v_add_f32_e32 v71, v71, v72
	s_waitcnt vmcnt(4)
	v_mul_f32_e32 v72, v114, v164
	v_add_f32_e32 v70, v169, v70
	v_mul_f32_e32 v169, v113, v164
	v_fma_f32 v72, v113, v163, -v72
	v_fmac_f32_e32 v169, v114, v163
	v_add_f32_e32 v71, v71, v72
	s_waitcnt vmcnt(2) lgkmcnt(0)
	v_mul_f32_e32 v72, v116, v166
	v_add_f32_e32 v70, v70, v169
	v_mul_f32_e32 v169, v115, v166
	v_fma_f32 v72, v115, v165, -v72
	v_fmac_f32_e32 v169, v116, v165
	v_add_f32_e32 v71, v71, v72
	s_waitcnt vmcnt(0)
	v_mul_f32_e32 v72, v118, v168
	v_add_f32_e32 v70, v70, v169
	v_mul_f32_e32 v169, v117, v168
	v_fma_f32 v72, v117, v167, -v72
	v_fmac_f32_e32 v169, v118, v167
	v_add_f32_e32 v71, v71, v72
	v_add_f32_e32 v70, v70, v169
	v_sub_f32_e32 v71, v159, v71
	v_sub_f32_e32 v70, v160, v70
	buffer_store_dword v71, off, s[0:3], 0 offset:72
	buffer_store_dword v70, off, s[0:3], 0 offset:76
	s_and_saveexec_b64 s[4:5], vcc
	s_cbranch_execz .LBB97_201
; %bb.200:
	buffer_load_dword v70, off, s[0:3], 0 offset:64
	buffer_load_dword v71, off, s[0:3], 0 offset:68
	v_mov_b32_e32 v72, 0
	buffer_store_dword v72, off, s[0:3], 0 offset:64
	buffer_store_dword v72, off, s[0:3], 0 offset:68
	s_waitcnt vmcnt(2)
	ds_write_b64 v69, v[70:71]
.LBB97_201:
	s_or_b64 exec, exec, s[4:5]
	s_waitcnt lgkmcnt(0)
	; wave barrier
	buffer_load_dword v121, off, s[0:3], 0 offset:76
	buffer_load_dword v122, off, s[0:3], 0 offset:84
	;; [unrolled: 1-line block ×52, first 2 shown]
	v_mov_b32_e32 v70, 0
	ds_read2_b64 v[71:74], v70 offset0:43 offset1:44
	ds_read2_b64 v[75:78], v70 offset0:45 offset1:46
	;; [unrolled: 1-line block ×6, first 2 shown]
	v_cmp_lt_u32_e32 vcc, 7, v0
	s_waitcnt vmcnt(51) lgkmcnt(5)
	v_mul_f32_e32 v95, v71, v121
	s_waitcnt vmcnt(50)
	v_mul_f32_e32 v96, v73, v122
	s_waitcnt vmcnt(49) lgkmcnt(4)
	v_mul_f32_e32 v97, v75, v123
	s_waitcnt vmcnt(48)
	v_mul_f32_e32 v98, v77, v124
	;; [unrolled: 4-line block ×5, first 2 shown]
	s_waitcnt vmcnt(41) lgkmcnt(0)
	v_mul_f32_e32 v105, v91, v131
	s_waitcnt vmcnt(40)
	v_fmac_f32_e32 v95, v72, v132
	v_mul_f32_e32 v72, v72, v121
	s_waitcnt vmcnt(39)
	v_fmac_f32_e32 v96, v74, v133
	v_add_f32_e32 v95, 0, v95
	v_fma_f32 v71, v71, v132, -v72
	v_mul_f32_e32 v72, v74, v122
	s_waitcnt vmcnt(38)
	v_fmac_f32_e32 v97, v76, v134
	v_add_f32_e32 v95, v95, v96
	v_add_f32_e32 v71, 0, v71
	v_fma_f32 v72, v73, v133, -v72
	s_waitcnt vmcnt(37)
	v_fmac_f32_e32 v98, v78, v135
	v_add_f32_e32 v95, v95, v97
	v_add_f32_e32 v71, v71, v72
	v_mul_f32_e32 v72, v76, v123
	s_waitcnt vmcnt(36)
	v_fmac_f32_e32 v99, v80, v136
	v_add_f32_e32 v95, v95, v98
	v_fma_f32 v72, v75, v134, -v72
	s_waitcnt vmcnt(35)
	v_fmac_f32_e32 v100, v82, v137
	v_add_f32_e32 v95, v95, v99
	v_add_f32_e32 v71, v71, v72
	v_mul_f32_e32 v72, v78, v124
	s_waitcnt vmcnt(34)
	v_fmac_f32_e32 v101, v84, v138
	;; [unrolled: 9-line block ×3, first 2 shown]
	v_add_f32_e32 v95, v95, v102
	v_fma_f32 v72, v79, v136, -v72
	s_waitcnt vmcnt(31)
	v_fmac_f32_e32 v104, v90, v141
	v_add_f32_e32 v95, v95, v103
	v_add_f32_e32 v71, v71, v72
	v_mul_f32_e32 v72, v82, v126
	v_add_f32_e32 v95, v95, v104
	s_waitcnt vmcnt(30)
	v_fmac_f32_e32 v105, v92, v142
	v_fma_f32 v72, v81, v137, -v72
	v_add_f32_e32 v99, v95, v105
	ds_read2_b64 v[95:98], v70 offset0:55 offset1:56
	v_add_f32_e32 v71, v71, v72
	v_mul_f32_e32 v72, v84, v127
	v_fma_f32 v72, v83, v138, -v72
	s_waitcnt vmcnt(29)
	v_mul_f32_e32 v100, v93, v143
	v_add_f32_e32 v71, v71, v72
	v_mul_f32_e32 v72, v86, v128
	s_waitcnt vmcnt(28)
	v_fmac_f32_e32 v100, v94, v144
	v_fma_f32 v72, v85, v139, -v72
	v_add_f32_e32 v103, v99, v100
	ds_read2_b64 v[99:102], v70 offset0:57 offset1:58
	v_add_f32_e32 v71, v71, v72
	v_mul_f32_e32 v72, v88, v129
	s_waitcnt vmcnt(27) lgkmcnt(1)
	v_mul_f32_e32 v104, v95, v145
	v_fma_f32 v72, v87, v140, -v72
	s_waitcnt vmcnt(26)
	v_fmac_f32_e32 v104, v96, v146
	v_add_f32_e32 v71, v71, v72
	v_mul_f32_e32 v72, v90, v130
	v_add_f32_e32 v103, v103, v104
	s_waitcnt vmcnt(25)
	v_mul_f32_e32 v104, v97, v147
	v_fma_f32 v72, v89, v141, -v72
	s_waitcnt vmcnt(24)
	v_fmac_f32_e32 v104, v98, v148
	v_add_f32_e32 v71, v71, v72
	v_mul_f32_e32 v72, v92, v131
	v_add_f32_e32 v103, v103, v104
	s_waitcnt vmcnt(23) lgkmcnt(0)
	v_mul_f32_e32 v104, v99, v149
	v_fma_f32 v72, v91, v142, -v72
	s_waitcnt vmcnt(22)
	v_fmac_f32_e32 v104, v100, v150
	v_add_f32_e32 v71, v71, v72
	v_mul_f32_e32 v72, v94, v143
	v_add_f32_e32 v107, v103, v104
	ds_read2_b64 v[103:106], v70 offset0:59 offset1:60
	v_fma_f32 v72, v93, v144, -v72
	v_add_f32_e32 v71, v71, v72
	v_mul_f32_e32 v72, v96, v145
	s_waitcnt vmcnt(21)
	v_mul_f32_e32 v108, v101, v151
	v_fma_f32 v72, v95, v146, -v72
	s_waitcnt vmcnt(20)
	v_fmac_f32_e32 v108, v102, v152
	v_add_f32_e32 v71, v71, v72
	v_mul_f32_e32 v72, v98, v147
	v_add_f32_e32 v111, v107, v108
	ds_read2_b64 v[107:110], v70 offset0:61 offset1:62
	v_fma_f32 v72, v97, v148, -v72
	s_waitcnt vmcnt(19) lgkmcnt(1)
	v_mul_f32_e32 v112, v103, v153
	v_add_f32_e32 v71, v71, v72
	v_mul_f32_e32 v72, v100, v149
	s_waitcnt vmcnt(18)
	v_fmac_f32_e32 v112, v104, v154
	v_fma_f32 v72, v99, v150, -v72
	v_add_f32_e32 v111, v111, v112
	s_waitcnt vmcnt(17)
	v_mul_f32_e32 v112, v105, v155
	v_add_f32_e32 v71, v71, v72
	v_mul_f32_e32 v72, v102, v151
	s_waitcnt vmcnt(16)
	v_fmac_f32_e32 v112, v106, v156
	v_fma_f32 v72, v101, v152, -v72
	v_add_f32_e32 v111, v111, v112
	s_waitcnt vmcnt(14) lgkmcnt(0)
	v_mul_f32_e32 v112, v107, v158
	v_add_f32_e32 v71, v71, v72
	v_mul_f32_e32 v72, v104, v153
	v_fmac_f32_e32 v112, v108, v157
	v_fma_f32 v72, v103, v154, -v72
	v_add_f32_e32 v115, v111, v112
	ds_read2_b64 v[111:114], v70 offset0:63 offset1:64
	v_add_f32_e32 v71, v71, v72
	v_mul_f32_e32 v72, v106, v155
	v_fma_f32 v72, v105, v156, -v72
	v_add_f32_e32 v71, v71, v72
	v_mul_f32_e32 v72, v108, v158
	s_waitcnt vmcnt(11)
	v_mul_f32_e32 v116, v109, v161
	v_fma_f32 v72, v107, v157, -v72
	s_waitcnt vmcnt(10)
	v_fmac_f32_e32 v116, v110, v162
	v_add_f32_e32 v71, v71, v72
	v_mul_f32_e32 v72, v110, v161
	v_add_f32_e32 v119, v115, v116
	ds_read2_b64 v[115:118], v70 offset0:65 offset1:66
	s_waitcnt vmcnt(8) lgkmcnt(1)
	v_mul_f32_e32 v120, v111, v164
	v_fma_f32 v72, v109, v162, -v72
	v_fmac_f32_e32 v120, v112, v163
	v_add_f32_e32 v71, v71, v72
	v_mul_f32_e32 v72, v112, v164
	v_add_f32_e32 v119, v119, v120
	s_waitcnt vmcnt(6)
	v_mul_f32_e32 v120, v113, v166
	v_fma_f32 v72, v111, v163, -v72
	v_fmac_f32_e32 v120, v114, v165
	v_add_f32_e32 v71, v71, v72
	v_mul_f32_e32 v72, v114, v166
	v_add_f32_e32 v173, v119, v120
	ds_read_b64 v[119:120], v70 offset:536
	v_fma_f32 v72, v113, v165, -v72
	v_add_f32_e32 v71, v71, v72
	s_waitcnt vmcnt(4) lgkmcnt(1)
	v_mul_f32_e32 v72, v116, v168
	v_mul_f32_e32 v174, v115, v168
	v_fma_f32 v72, v115, v167, -v72
	v_fmac_f32_e32 v174, v116, v167
	v_add_f32_e32 v71, v71, v72
	s_waitcnt vmcnt(2)
	v_mul_f32_e32 v72, v118, v170
	v_add_f32_e32 v173, v173, v174
	v_mul_f32_e32 v174, v117, v170
	v_fma_f32 v72, v117, v169, -v72
	v_fmac_f32_e32 v174, v118, v169
	v_add_f32_e32 v71, v71, v72
	s_waitcnt vmcnt(0) lgkmcnt(0)
	v_mul_f32_e32 v72, v120, v172
	v_add_f32_e32 v173, v173, v174
	v_mul_f32_e32 v174, v119, v172
	v_fma_f32 v72, v119, v171, -v72
	v_fmac_f32_e32 v174, v120, v171
	v_add_f32_e32 v71, v71, v72
	v_add_f32_e32 v173, v173, v174
	v_sub_f32_e32 v71, v159, v71
	v_sub_f32_e32 v72, v160, v173
	buffer_store_dword v71, off, s[0:3], 0 offset:64
	buffer_store_dword v72, off, s[0:3], 0 offset:68
	s_and_saveexec_b64 s[4:5], vcc
	s_cbranch_execz .LBB97_203
; %bb.202:
	buffer_load_dword v71, off, s[0:3], 0 offset:56
	buffer_load_dword v72, off, s[0:3], 0 offset:60
	s_waitcnt vmcnt(0)
	ds_write_b64 v69, v[71:72]
	buffer_store_dword v70, off, s[0:3], 0 offset:56
	buffer_store_dword v70, off, s[0:3], 0 offset:60
.LBB97_203:
	s_or_b64 exec, exec, s[4:5]
	s_waitcnt lgkmcnt(0)
	; wave barrier
	buffer_load_dword v123, off, s[0:3], 0 offset:68
	buffer_load_dword v124, off, s[0:3], 0 offset:76
	;; [unrolled: 1-line block ×42, first 2 shown]
	ds_read_b128 v[71:74], v70 offset:336
	ds_read_b128 v[75:78], v70 offset:352
	;; [unrolled: 1-line block ×4, first 2 shown]
	buffer_load_dword v165, off, s[0:3], 0 offset:228
	buffer_load_dword v166, off, s[0:3], 0 offset:224
	;; [unrolled: 1-line block ×6, first 2 shown]
	ds_read_b128 v[87:90], v70 offset:400
	ds_read_b128 v[91:94], v70 offset:416
	buffer_load_dword v171, off, s[0:3], 0 offset:248
	buffer_load_dword v172, off, s[0:3], 0 offset:252
	;; [unrolled: 1-line block ×6, first 2 shown]
	v_cmp_lt_u32_e32 vcc, 6, v0
	s_waitcnt vmcnt(53) lgkmcnt(5)
	v_mul_f32_e32 v95, v71, v123
	s_waitcnt vmcnt(52)
	v_mul_f32_e32 v96, v73, v124
	s_waitcnt vmcnt(51) lgkmcnt(4)
	v_mul_f32_e32 v97, v75, v125
	s_waitcnt vmcnt(50)
	v_mul_f32_e32 v98, v77, v126
	;; [unrolled: 4-line block ×5, first 2 shown]
	s_waitcnt vmcnt(43)
	v_fmac_f32_e32 v95, v72, v133
	v_mul_f32_e32 v72, v72, v123
	s_waitcnt vmcnt(42)
	v_fmac_f32_e32 v96, v74, v134
	v_add_f32_e32 v95, 0, v95
	v_fma_f32 v71, v71, v133, -v72
	v_mul_f32_e32 v72, v74, v124
	s_waitcnt vmcnt(41)
	v_fmac_f32_e32 v97, v76, v135
	v_add_f32_e32 v95, v95, v96
	v_add_f32_e32 v71, 0, v71
	v_fma_f32 v72, v73, v134, -v72
	s_waitcnt vmcnt(40)
	v_fmac_f32_e32 v98, v78, v136
	v_add_f32_e32 v95, v95, v97
	v_add_f32_e32 v71, v71, v72
	v_mul_f32_e32 v72, v76, v125
	s_waitcnt vmcnt(39)
	v_fmac_f32_e32 v99, v80, v137
	v_add_f32_e32 v95, v95, v98
	v_fma_f32 v72, v75, v135, -v72
	s_waitcnt vmcnt(38)
	v_fmac_f32_e32 v100, v82, v138
	v_add_f32_e32 v95, v95, v99
	v_add_f32_e32 v71, v71, v72
	v_mul_f32_e32 v72, v78, v126
	s_waitcnt vmcnt(37)
	v_fmac_f32_e32 v101, v84, v139
	v_add_f32_e32 v95, v95, v100
	v_fma_f32 v72, v77, v136, -v72
	s_waitcnt vmcnt(36)
	v_fmac_f32_e32 v102, v86, v140
	v_add_f32_e32 v95, v95, v101
	v_add_f32_e32 v71, v71, v72
	v_mul_f32_e32 v72, v80, v127
	s_waitcnt vmcnt(35)
	v_fmac_f32_e32 v103, v88, v141
	v_add_f32_e32 v95, v95, v102
	v_fma_f32 v72, v79, v137, -v72
	s_waitcnt vmcnt(34)
	v_fmac_f32_e32 v104, v90, v142
	v_add_f32_e32 v95, v95, v103
	s_waitcnt vmcnt(33) lgkmcnt(0)
	v_mul_f32_e32 v96, v91, v143
	v_add_f32_e32 v71, v71, v72
	v_mul_f32_e32 v72, v82, v128
	v_add_f32_e32 v95, v95, v104
	s_waitcnt vmcnt(32)
	v_fmac_f32_e32 v96, v92, v144
	v_fma_f32 v72, v81, v138, -v72
	v_add_f32_e32 v99, v95, v96
	ds_read_b128 v[95:98], v70 offset:432
	v_add_f32_e32 v71, v71, v72
	v_mul_f32_e32 v72, v84, v129
	v_fma_f32 v72, v83, v139, -v72
	s_waitcnt vmcnt(31)
	v_mul_f32_e32 v100, v93, v145
	v_add_f32_e32 v71, v71, v72
	v_mul_f32_e32 v72, v86, v130
	s_waitcnt vmcnt(30)
	v_fmac_f32_e32 v100, v94, v146
	v_fma_f32 v72, v85, v140, -v72
	v_add_f32_e32 v103, v99, v100
	ds_read_b128 v[99:102], v70 offset:448
	v_add_f32_e32 v71, v71, v72
	v_mul_f32_e32 v72, v88, v131
	s_waitcnt vmcnt(29) lgkmcnt(1)
	v_mul_f32_e32 v104, v95, v147
	v_fma_f32 v72, v87, v141, -v72
	s_waitcnt vmcnt(28)
	v_fmac_f32_e32 v104, v96, v148
	v_add_f32_e32 v71, v71, v72
	v_mul_f32_e32 v72, v90, v132
	v_add_f32_e32 v103, v103, v104
	s_waitcnt vmcnt(27)
	v_mul_f32_e32 v104, v97, v149
	v_fma_f32 v72, v89, v142, -v72
	s_waitcnt vmcnt(26)
	v_fmac_f32_e32 v104, v98, v150
	v_add_f32_e32 v71, v71, v72
	v_mul_f32_e32 v72, v92, v143
	v_add_f32_e32 v103, v103, v104
	s_waitcnt vmcnt(25) lgkmcnt(0)
	v_mul_f32_e32 v104, v99, v151
	v_fma_f32 v72, v91, v144, -v72
	s_waitcnt vmcnt(24)
	v_fmac_f32_e32 v104, v100, v152
	v_add_f32_e32 v71, v71, v72
	v_mul_f32_e32 v72, v94, v145
	v_add_f32_e32 v107, v103, v104
	ds_read_b128 v[103:106], v70 offset:464
	v_fma_f32 v72, v93, v146, -v72
	v_add_f32_e32 v71, v71, v72
	v_mul_f32_e32 v72, v96, v147
	s_waitcnt vmcnt(23)
	v_mul_f32_e32 v108, v101, v153
	v_fma_f32 v72, v95, v148, -v72
	s_waitcnt vmcnt(22)
	v_fmac_f32_e32 v108, v102, v154
	v_add_f32_e32 v71, v71, v72
	v_mul_f32_e32 v72, v98, v149
	v_add_f32_e32 v111, v107, v108
	ds_read_b128 v[107:110], v70 offset:480
	v_fma_f32 v72, v97, v150, -v72
	s_waitcnt vmcnt(21) lgkmcnt(1)
	v_mul_f32_e32 v112, v103, v155
	v_add_f32_e32 v71, v71, v72
	v_mul_f32_e32 v72, v100, v151
	s_waitcnt vmcnt(20)
	v_fmac_f32_e32 v112, v104, v156
	v_fma_f32 v72, v99, v152, -v72
	v_add_f32_e32 v111, v111, v112
	s_waitcnt vmcnt(18)
	v_mul_f32_e32 v112, v105, v158
	v_add_f32_e32 v71, v71, v72
	v_mul_f32_e32 v72, v102, v153
	v_fmac_f32_e32 v112, v106, v157
	v_fma_f32 v72, v101, v154, -v72
	v_add_f32_e32 v111, v111, v112
	s_waitcnt vmcnt(15) lgkmcnt(0)
	v_mul_f32_e32 v112, v107, v161
	v_add_f32_e32 v71, v71, v72
	v_mul_f32_e32 v72, v104, v155
	s_waitcnt vmcnt(14)
	v_fmac_f32_e32 v112, v108, v162
	v_fma_f32 v72, v103, v156, -v72
	v_add_f32_e32 v115, v111, v112
	ds_read_b128 v[111:114], v70 offset:496
	v_add_f32_e32 v71, v71, v72
	v_mul_f32_e32 v72, v106, v158
	v_fma_f32 v72, v105, v157, -v72
	v_add_f32_e32 v71, v71, v72
	v_mul_f32_e32 v72, v108, v161
	s_waitcnt vmcnt(12)
	v_mul_f32_e32 v116, v109, v164
	v_fma_f32 v72, v107, v162, -v72
	v_fmac_f32_e32 v116, v110, v163
	v_add_f32_e32 v71, v71, v72
	v_mul_f32_e32 v72, v110, v164
	v_add_f32_e32 v119, v115, v116
	ds_read_b128 v[115:118], v70 offset:512
	s_waitcnt vmcnt(11) lgkmcnt(1)
	v_mul_f32_e32 v120, v111, v165
	v_fma_f32 v72, v109, v163, -v72
	s_waitcnt vmcnt(10)
	v_fmac_f32_e32 v120, v112, v166
	v_add_f32_e32 v71, v71, v72
	v_mul_f32_e32 v72, v112, v165
	v_add_f32_e32 v119, v119, v120
	s_waitcnt vmcnt(8)
	v_mul_f32_e32 v120, v113, v168
	v_fma_f32 v72, v111, v166, -v72
	v_fmac_f32_e32 v120, v114, v167
	v_add_f32_e32 v71, v71, v72
	v_mul_f32_e32 v72, v114, v168
	v_add_f32_e32 v177, v119, v120
	ds_read_b128 v[119:122], v70 offset:528
	v_fma_f32 v72, v113, v167, -v72
	v_add_f32_e32 v71, v71, v72
	s_waitcnt vmcnt(6) lgkmcnt(1)
	v_mul_f32_e32 v72, v116, v170
	v_mul_f32_e32 v178, v115, v170
	v_fma_f32 v72, v115, v169, -v72
	v_fmac_f32_e32 v178, v116, v169
	v_add_f32_e32 v71, v71, v72
	s_waitcnt vmcnt(4)
	v_mul_f32_e32 v72, v118, v172
	v_add_f32_e32 v70, v177, v178
	v_mul_f32_e32 v177, v117, v172
	v_fma_f32 v72, v117, v171, -v72
	v_fmac_f32_e32 v177, v118, v171
	v_add_f32_e32 v71, v71, v72
	s_waitcnt vmcnt(2) lgkmcnt(0)
	v_mul_f32_e32 v72, v120, v174
	v_add_f32_e32 v70, v70, v177
	v_mul_f32_e32 v177, v119, v174
	v_fma_f32 v72, v119, v173, -v72
	v_fmac_f32_e32 v177, v120, v173
	v_add_f32_e32 v71, v71, v72
	s_waitcnt vmcnt(0)
	v_mul_f32_e32 v72, v122, v176
	v_add_f32_e32 v70, v70, v177
	v_mul_f32_e32 v177, v121, v176
	v_fma_f32 v72, v121, v175, -v72
	v_fmac_f32_e32 v177, v122, v175
	v_add_f32_e32 v71, v71, v72
	v_add_f32_e32 v70, v70, v177
	v_sub_f32_e32 v71, v159, v71
	v_sub_f32_e32 v70, v160, v70
	buffer_store_dword v71, off, s[0:3], 0 offset:56
	buffer_store_dword v70, off, s[0:3], 0 offset:60
	s_and_saveexec_b64 s[4:5], vcc
	s_cbranch_execz .LBB97_205
; %bb.204:
	buffer_load_dword v70, off, s[0:3], 0 offset:48
	buffer_load_dword v71, off, s[0:3], 0 offset:52
	v_mov_b32_e32 v72, 0
	buffer_store_dword v72, off, s[0:3], 0 offset:48
	buffer_store_dword v72, off, s[0:3], 0 offset:52
	s_waitcnt vmcnt(2)
	ds_write_b64 v69, v[70:71]
.LBB97_205:
	s_or_b64 exec, exec, s[4:5]
	s_waitcnt lgkmcnt(0)
	; wave barrier
	buffer_load_dword v125, off, s[0:3], 0 offset:60
	buffer_load_dword v126, off, s[0:3], 0 offset:68
	buffer_load_dword v127, off, s[0:3], 0 offset:76
	buffer_load_dword v128, off, s[0:3], 0 offset:84
	buffer_load_dword v129, off, s[0:3], 0 offset:92
	buffer_load_dword v130, off, s[0:3], 0 offset:100
	buffer_load_dword v131, off, s[0:3], 0 offset:108
	buffer_load_dword v132, off, s[0:3], 0 offset:116
	buffer_load_dword v133, off, s[0:3], 0 offset:124
	buffer_load_dword v134, off, s[0:3], 0 offset:56
	buffer_load_dword v135, off, s[0:3], 0 offset:64
	buffer_load_dword v136, off, s[0:3], 0 offset:72
	buffer_load_dword v137, off, s[0:3], 0 offset:80
	buffer_load_dword v138, off, s[0:3], 0 offset:88
	buffer_load_dword v139, off, s[0:3], 0 offset:96
	buffer_load_dword v140, off, s[0:3], 0 offset:104
	buffer_load_dword v141, off, s[0:3], 0 offset:112
	buffer_load_dword v142, off, s[0:3], 0 offset:120
	buffer_load_dword v143, off, s[0:3], 0 offset:132
	buffer_load_dword v144, off, s[0:3], 0 offset:128
	buffer_load_dword v145, off, s[0:3], 0 offset:140
	buffer_load_dword v146, off, s[0:3], 0 offset:136
	buffer_load_dword v147, off, s[0:3], 0 offset:148
	buffer_load_dword v148, off, s[0:3], 0 offset:144
	buffer_load_dword v149, off, s[0:3], 0 offset:156
	buffer_load_dword v150, off, s[0:3], 0 offset:152
	buffer_load_dword v151, off, s[0:3], 0 offset:164
	buffer_load_dword v152, off, s[0:3], 0 offset:160
	buffer_load_dword v153, off, s[0:3], 0 offset:172
	buffer_load_dword v154, off, s[0:3], 0 offset:168
	buffer_load_dword v155, off, s[0:3], 0 offset:176
	buffer_load_dword v156, off, s[0:3], 0 offset:180
	buffer_load_dword v157, off, s[0:3], 0 offset:48
	buffer_load_dword v158, off, s[0:3], 0 offset:52
	buffer_load_dword v159, off, s[0:3], 0 offset:188
	buffer_load_dword v160, off, s[0:3], 0 offset:184
	buffer_load_dword v161, off, s[0:3], 0 offset:192
	buffer_load_dword v162, off, s[0:3], 0 offset:196
	buffer_load_dword v163, off, s[0:3], 0 offset:200
	buffer_load_dword v164, off, s[0:3], 0 offset:204
	buffer_load_dword v165, off, s[0:3], 0 offset:208
	buffer_load_dword v166, off, s[0:3], 0 offset:212
	buffer_load_dword v167, off, s[0:3], 0 offset:216
	buffer_load_dword v168, off, s[0:3], 0 offset:220
	buffer_load_dword v169, off, s[0:3], 0 offset:224
	buffer_load_dword v170, off, s[0:3], 0 offset:228
	buffer_load_dword v171, off, s[0:3], 0 offset:232
	buffer_load_dword v172, off, s[0:3], 0 offset:236
	buffer_load_dword v173, off, s[0:3], 0 offset:240
	buffer_load_dword v174, off, s[0:3], 0 offset:244
	buffer_load_dword v175, off, s[0:3], 0 offset:248
	buffer_load_dword v176, off, s[0:3], 0 offset:252
	buffer_load_dword v177, off, s[0:3], 0 offset:256
	buffer_load_dword v178, off, s[0:3], 0 offset:260
	buffer_load_dword v179, off, s[0:3], 0 offset:264
	buffer_load_dword v180, off, s[0:3], 0 offset:268
	v_mov_b32_e32 v70, 0
	ds_read2_b64 v[71:74], v70 offset0:41 offset1:42
	ds_read2_b64 v[75:78], v70 offset0:43 offset1:44
	;; [unrolled: 1-line block ×6, first 2 shown]
	v_cmp_lt_u32_e32 vcc, 5, v0
	s_waitcnt vmcnt(55) lgkmcnt(5)
	v_mul_f32_e32 v95, v71, v125
	s_waitcnt vmcnt(54)
	v_mul_f32_e32 v96, v73, v126
	s_waitcnt vmcnt(53) lgkmcnt(4)
	v_mul_f32_e32 v97, v75, v127
	s_waitcnt vmcnt(52)
	v_mul_f32_e32 v98, v77, v128
	;; [unrolled: 4-line block ×4, first 2 shown]
	s_waitcnt vmcnt(47) lgkmcnt(1)
	v_mul_f32_e32 v103, v87, v133
	s_waitcnt vmcnt(46)
	v_fmac_f32_e32 v95, v72, v134
	s_waitcnt vmcnt(45)
	v_fmac_f32_e32 v96, v74, v135
	v_add_f32_e32 v95, 0, v95
	s_waitcnt vmcnt(44)
	v_fmac_f32_e32 v97, v76, v136
	v_add_f32_e32 v95, v95, v96
	;; [unrolled: 3-line block ×3, first 2 shown]
	v_mul_f32_e32 v72, v72, v125
	s_waitcnt vmcnt(42)
	v_fmac_f32_e32 v99, v80, v138
	v_add_f32_e32 v95, v95, v98
	v_fma_f32 v71, v71, v134, -v72
	v_mul_f32_e32 v72, v74, v126
	s_waitcnt vmcnt(41)
	v_fmac_f32_e32 v100, v82, v139
	v_add_f32_e32 v95, v95, v99
	v_add_f32_e32 v71, 0, v71
	v_fma_f32 v72, v73, v135, -v72
	s_waitcnt vmcnt(40)
	v_fmac_f32_e32 v101, v84, v140
	v_add_f32_e32 v95, v95, v100
	v_add_f32_e32 v71, v71, v72
	v_mul_f32_e32 v72, v76, v127
	s_waitcnt vmcnt(39)
	v_fmac_f32_e32 v102, v86, v141
	v_add_f32_e32 v95, v95, v101
	v_fma_f32 v72, v75, v136, -v72
	v_add_f32_e32 v95, v95, v102
	s_waitcnt vmcnt(38)
	v_fmac_f32_e32 v103, v88, v142
	s_waitcnt vmcnt(37)
	v_mul_f32_e32 v96, v89, v143
	v_add_f32_e32 v71, v71, v72
	v_mul_f32_e32 v72, v78, v128
	v_add_f32_e32 v95, v95, v103
	s_waitcnt vmcnt(36)
	v_fmac_f32_e32 v96, v90, v144
	v_fma_f32 v72, v77, v137, -v72
	v_add_f32_e32 v95, v95, v96
	s_waitcnt vmcnt(35) lgkmcnt(0)
	v_mul_f32_e32 v96, v91, v145
	v_add_f32_e32 v71, v71, v72
	v_mul_f32_e32 v72, v80, v129
	s_waitcnt vmcnt(34)
	v_fmac_f32_e32 v96, v92, v146
	v_fma_f32 v72, v79, v138, -v72
	v_add_f32_e32 v99, v95, v96
	ds_read2_b64 v[95:98], v70 offset0:53 offset1:54
	v_add_f32_e32 v71, v71, v72
	v_mul_f32_e32 v72, v82, v130
	v_fma_f32 v72, v81, v139, -v72
	s_waitcnt vmcnt(33)
	v_mul_f32_e32 v100, v93, v147
	v_add_f32_e32 v71, v71, v72
	v_mul_f32_e32 v72, v84, v131
	s_waitcnt vmcnt(32)
	v_fmac_f32_e32 v100, v94, v148
	v_fma_f32 v72, v83, v140, -v72
	v_add_f32_e32 v103, v99, v100
	ds_read2_b64 v[99:102], v70 offset0:55 offset1:56
	v_add_f32_e32 v71, v71, v72
	v_mul_f32_e32 v72, v86, v132
	s_waitcnt vmcnt(31) lgkmcnt(1)
	v_mul_f32_e32 v104, v95, v149
	v_fma_f32 v72, v85, v141, -v72
	s_waitcnt vmcnt(30)
	v_fmac_f32_e32 v104, v96, v150
	v_add_f32_e32 v71, v71, v72
	v_mul_f32_e32 v72, v88, v133
	v_add_f32_e32 v103, v103, v104
	s_waitcnt vmcnt(29)
	v_mul_f32_e32 v104, v97, v151
	v_fma_f32 v72, v87, v142, -v72
	s_waitcnt vmcnt(28)
	v_fmac_f32_e32 v104, v98, v152
	v_add_f32_e32 v71, v71, v72
	v_mul_f32_e32 v72, v90, v143
	v_add_f32_e32 v103, v103, v104
	s_waitcnt vmcnt(27) lgkmcnt(0)
	v_mul_f32_e32 v104, v99, v153
	v_fma_f32 v72, v89, v144, -v72
	s_waitcnt vmcnt(26)
	v_fmac_f32_e32 v104, v100, v154
	v_add_f32_e32 v71, v71, v72
	v_mul_f32_e32 v72, v92, v145
	v_add_f32_e32 v107, v103, v104
	ds_read2_b64 v[103:106], v70 offset0:57 offset1:58
	v_fma_f32 v72, v91, v146, -v72
	v_add_f32_e32 v71, v71, v72
	v_mul_f32_e32 v72, v94, v147
	s_waitcnt vmcnt(24)
	v_mul_f32_e32 v108, v101, v156
	v_fma_f32 v72, v93, v148, -v72
	v_fmac_f32_e32 v108, v102, v155
	v_add_f32_e32 v71, v71, v72
	v_mul_f32_e32 v72, v96, v149
	v_add_f32_e32 v111, v107, v108
	ds_read2_b64 v[107:110], v70 offset0:59 offset1:60
	v_fma_f32 v72, v95, v150, -v72
	s_waitcnt vmcnt(21) lgkmcnt(1)
	v_mul_f32_e32 v112, v103, v159
	v_add_f32_e32 v71, v71, v72
	v_mul_f32_e32 v72, v98, v151
	s_waitcnt vmcnt(20)
	v_fmac_f32_e32 v112, v104, v160
	v_fma_f32 v72, v97, v152, -v72
	v_add_f32_e32 v111, v111, v112
	s_waitcnt vmcnt(18)
	v_mul_f32_e32 v112, v105, v162
	v_add_f32_e32 v71, v71, v72
	v_mul_f32_e32 v72, v100, v153
	v_fmac_f32_e32 v112, v106, v161
	v_fma_f32 v72, v99, v154, -v72
	v_add_f32_e32 v111, v111, v112
	s_waitcnt vmcnt(16) lgkmcnt(0)
	v_mul_f32_e32 v112, v107, v164
	v_add_f32_e32 v71, v71, v72
	v_mul_f32_e32 v72, v102, v156
	v_fmac_f32_e32 v112, v108, v163
	v_fma_f32 v72, v101, v155, -v72
	v_add_f32_e32 v115, v111, v112
	ds_read2_b64 v[111:114], v70 offset0:61 offset1:62
	v_add_f32_e32 v71, v71, v72
	v_mul_f32_e32 v72, v104, v159
	v_fma_f32 v72, v103, v160, -v72
	s_waitcnt vmcnt(14)
	v_mul_f32_e32 v116, v109, v166
	v_add_f32_e32 v71, v71, v72
	v_mul_f32_e32 v72, v106, v162
	v_fmac_f32_e32 v116, v110, v165
	v_fma_f32 v72, v105, v161, -v72
	v_add_f32_e32 v119, v115, v116
	ds_read2_b64 v[115:118], v70 offset0:63 offset1:64
	v_add_f32_e32 v71, v71, v72
	v_mul_f32_e32 v72, v108, v164
	s_waitcnt vmcnt(12) lgkmcnt(1)
	v_mul_f32_e32 v120, v111, v168
	v_fma_f32 v72, v107, v163, -v72
	v_fmac_f32_e32 v120, v112, v167
	v_add_f32_e32 v71, v71, v72
	v_mul_f32_e32 v72, v110, v166
	v_add_f32_e32 v119, v119, v120
	s_waitcnt vmcnt(10)
	v_mul_f32_e32 v120, v113, v170
	v_fma_f32 v72, v109, v165, -v72
	v_fmac_f32_e32 v120, v114, v169
	v_add_f32_e32 v71, v71, v72
	v_mul_f32_e32 v72, v112, v168
	v_add_f32_e32 v119, v119, v120
	s_waitcnt vmcnt(8) lgkmcnt(0)
	v_mul_f32_e32 v120, v115, v172
	v_fma_f32 v72, v111, v167, -v72
	v_fmac_f32_e32 v120, v116, v171
	v_add_f32_e32 v71, v71, v72
	v_mul_f32_e32 v72, v114, v170
	v_add_f32_e32 v123, v119, v120
	ds_read2_b64 v[119:122], v70 offset0:65 offset1:66
	v_fma_f32 v72, v113, v169, -v72
	v_add_f32_e32 v71, v71, v72
	v_mul_f32_e32 v72, v116, v172
	s_waitcnt vmcnt(6)
	v_mul_f32_e32 v124, v117, v174
	v_fma_f32 v72, v115, v171, -v72
	v_fmac_f32_e32 v124, v118, v173
	v_add_f32_e32 v71, v71, v72
	v_mul_f32_e32 v72, v118, v174
	v_add_f32_e32 v181, v123, v124
	ds_read_b64 v[123:124], v70 offset:536
	v_fma_f32 v72, v117, v173, -v72
	v_add_f32_e32 v71, v71, v72
	s_waitcnt vmcnt(4) lgkmcnt(1)
	v_mul_f32_e32 v72, v120, v176
	v_mul_f32_e32 v182, v119, v176
	v_fma_f32 v72, v119, v175, -v72
	v_fmac_f32_e32 v182, v120, v175
	v_add_f32_e32 v71, v71, v72
	s_waitcnt vmcnt(2)
	v_mul_f32_e32 v72, v122, v178
	v_add_f32_e32 v181, v181, v182
	v_mul_f32_e32 v182, v121, v178
	v_fma_f32 v72, v121, v177, -v72
	v_fmac_f32_e32 v182, v122, v177
	v_add_f32_e32 v71, v71, v72
	s_waitcnt vmcnt(0) lgkmcnt(0)
	v_mul_f32_e32 v72, v124, v180
	v_add_f32_e32 v181, v181, v182
	v_mul_f32_e32 v182, v123, v180
	v_fma_f32 v72, v123, v179, -v72
	v_fmac_f32_e32 v182, v124, v179
	v_add_f32_e32 v71, v71, v72
	v_add_f32_e32 v181, v181, v182
	v_sub_f32_e32 v71, v157, v71
	v_sub_f32_e32 v72, v158, v181
	buffer_store_dword v71, off, s[0:3], 0 offset:48
	buffer_store_dword v72, off, s[0:3], 0 offset:52
	s_and_saveexec_b64 s[4:5], vcc
	s_cbranch_execz .LBB97_207
; %bb.206:
	buffer_load_dword v71, off, s[0:3], 0 offset:40
	buffer_load_dword v72, off, s[0:3], 0 offset:44
	s_waitcnt vmcnt(0)
	ds_write_b64 v69, v[71:72]
	buffer_store_dword v70, off, s[0:3], 0 offset:40
	buffer_store_dword v70, off, s[0:3], 0 offset:44
.LBB97_207:
	s_or_b64 exec, exec, s[4:5]
	s_waitcnt lgkmcnt(0)
	; wave barrier
	buffer_load_dword v127, off, s[0:3], 0 offset:52
	buffer_load_dword v128, off, s[0:3], 0 offset:60
	;; [unrolled: 1-line block ×34, first 2 shown]
	ds_read_b128 v[71:74], v70 offset:320
	ds_read_b128 v[75:78], v70 offset:336
	buffer_load_dword v161, off, s[0:3], 0 offset:180
	buffer_load_dword v162, off, s[0:3], 0 offset:176
	;; [unrolled: 1-line block ×6, first 2 shown]
	ds_read_b128 v[79:82], v70 offset:352
	ds_read_b128 v[83:86], v70 offset:368
	;; [unrolled: 1-line block ×4, first 2 shown]
	buffer_load_dword v167, off, s[0:3], 0 offset:204
	buffer_load_dword v168, off, s[0:3], 0 offset:200
	;; [unrolled: 1-line block ×18, first 2 shown]
	v_cmp_lt_u32_e32 vcc, 4, v0
	s_waitcnt vmcnt(57) lgkmcnt(5)
	v_mul_f32_e32 v95, v71, v127
	s_waitcnt vmcnt(56)
	v_mul_f32_e32 v96, v73, v128
	s_waitcnt vmcnt(55) lgkmcnt(4)
	v_mul_f32_e32 v97, v75, v129
	s_waitcnt vmcnt(54)
	v_mul_f32_e32 v98, v77, v130
	;; [unrolled: 4-line block ×4, first 2 shown]
	s_waitcnt vmcnt(49)
	v_fmac_f32_e32 v95, v72, v135
	s_waitcnt vmcnt(48)
	v_fmac_f32_e32 v96, v74, v136
	v_add_f32_e32 v95, 0, v95
	s_waitcnt vmcnt(47)
	v_fmac_f32_e32 v97, v76, v137
	v_add_f32_e32 v95, v95, v96
	;; [unrolled: 3-line block ×4, first 2 shown]
	v_mul_f32_e32 v72, v72, v127
	s_waitcnt vmcnt(44)
	v_fmac_f32_e32 v100, v82, v140
	v_add_f32_e32 v95, v95, v99
	v_fma_f32 v71, v71, v135, -v72
	v_mul_f32_e32 v72, v74, v128
	s_waitcnt vmcnt(43)
	v_fmac_f32_e32 v101, v84, v141
	v_add_f32_e32 v95, v95, v100
	v_add_f32_e32 v71, 0, v71
	v_fma_f32 v72, v73, v136, -v72
	s_waitcnt vmcnt(42)
	v_fmac_f32_e32 v102, v86, v142
	v_add_f32_e32 v95, v95, v101
	s_waitcnt vmcnt(41) lgkmcnt(1)
	v_mul_f32_e32 v96, v87, v143
	v_add_f32_e32 v71, v71, v72
	v_mul_f32_e32 v72, v76, v129
	v_add_f32_e32 v95, v95, v102
	s_waitcnt vmcnt(40)
	v_fmac_f32_e32 v96, v88, v144
	v_fma_f32 v72, v75, v137, -v72
	v_add_f32_e32 v95, v95, v96
	s_waitcnt vmcnt(39)
	v_mul_f32_e32 v96, v89, v145
	v_add_f32_e32 v71, v71, v72
	v_mul_f32_e32 v72, v78, v130
	s_waitcnt vmcnt(38)
	v_fmac_f32_e32 v96, v90, v146
	v_fma_f32 v72, v77, v138, -v72
	v_add_f32_e32 v95, v95, v96
	s_waitcnt vmcnt(37) lgkmcnt(0)
	v_mul_f32_e32 v96, v91, v147
	v_add_f32_e32 v71, v71, v72
	v_mul_f32_e32 v72, v80, v131
	s_waitcnt vmcnt(36)
	v_fmac_f32_e32 v96, v92, v148
	v_fma_f32 v72, v79, v139, -v72
	v_add_f32_e32 v99, v95, v96
	ds_read_b128 v[95:98], v70 offset:416
	v_add_f32_e32 v71, v71, v72
	v_mul_f32_e32 v72, v82, v132
	v_fma_f32 v72, v81, v140, -v72
	s_waitcnt vmcnt(35)
	v_mul_f32_e32 v100, v93, v149
	v_add_f32_e32 v71, v71, v72
	v_mul_f32_e32 v72, v84, v133
	s_waitcnt vmcnt(34)
	v_fmac_f32_e32 v100, v94, v150
	v_fma_f32 v72, v83, v141, -v72
	v_add_f32_e32 v103, v99, v100
	ds_read_b128 v[99:102], v70 offset:432
	v_add_f32_e32 v71, v71, v72
	v_mul_f32_e32 v72, v86, v134
	s_waitcnt vmcnt(33) lgkmcnt(1)
	v_mul_f32_e32 v104, v95, v151
	v_fma_f32 v72, v85, v142, -v72
	s_waitcnt vmcnt(32)
	v_fmac_f32_e32 v104, v96, v152
	v_add_f32_e32 v71, v71, v72
	v_mul_f32_e32 v72, v88, v143
	v_add_f32_e32 v103, v103, v104
	s_waitcnt vmcnt(31)
	v_mul_f32_e32 v104, v97, v153
	v_fma_f32 v72, v87, v144, -v72
	s_waitcnt vmcnt(30)
	v_fmac_f32_e32 v104, v98, v154
	v_add_f32_e32 v71, v71, v72
	v_mul_f32_e32 v72, v90, v145
	v_add_f32_e32 v103, v103, v104
	s_waitcnt vmcnt(29) lgkmcnt(0)
	v_mul_f32_e32 v104, v99, v155
	v_fma_f32 v72, v89, v146, -v72
	s_waitcnt vmcnt(28)
	v_fmac_f32_e32 v104, v100, v156
	v_add_f32_e32 v71, v71, v72
	v_mul_f32_e32 v72, v92, v147
	v_add_f32_e32 v107, v103, v104
	ds_read_b128 v[103:106], v70 offset:448
	v_fma_f32 v72, v91, v148, -v72
	v_add_f32_e32 v71, v71, v72
	v_mul_f32_e32 v72, v94, v149
	s_waitcnt vmcnt(25)
	v_mul_f32_e32 v108, v101, v159
	v_fma_f32 v72, v93, v150, -v72
	s_waitcnt vmcnt(24)
	v_fmac_f32_e32 v108, v102, v160
	v_add_f32_e32 v71, v71, v72
	v_mul_f32_e32 v72, v96, v151
	v_add_f32_e32 v111, v107, v108
	ds_read_b128 v[107:110], v70 offset:464
	v_fma_f32 v72, v95, v152, -v72
	s_waitcnt vmcnt(23) lgkmcnt(1)
	v_mul_f32_e32 v112, v103, v161
	v_add_f32_e32 v71, v71, v72
	v_mul_f32_e32 v72, v98, v153
	s_waitcnt vmcnt(22)
	v_fmac_f32_e32 v112, v104, v162
	v_fma_f32 v72, v97, v154, -v72
	v_add_f32_e32 v111, v111, v112
	s_waitcnt vmcnt(20)
	v_mul_f32_e32 v112, v105, v164
	v_add_f32_e32 v71, v71, v72
	v_mul_f32_e32 v72, v100, v155
	v_fmac_f32_e32 v112, v106, v163
	v_fma_f32 v72, v99, v156, -v72
	v_add_f32_e32 v111, v111, v112
	s_waitcnt vmcnt(18) lgkmcnt(0)
	v_mul_f32_e32 v112, v107, v166
	v_add_f32_e32 v71, v71, v72
	v_mul_f32_e32 v72, v102, v159
	v_fmac_f32_e32 v112, v108, v165
	v_fma_f32 v72, v101, v160, -v72
	v_add_f32_e32 v115, v111, v112
	ds_read_b128 v[111:114], v70 offset:480
	v_add_f32_e32 v71, v71, v72
	v_mul_f32_e32 v72, v104, v161
	v_fma_f32 v72, v103, v162, -v72
	s_waitcnt vmcnt(17)
	v_mul_f32_e32 v116, v109, v167
	v_add_f32_e32 v71, v71, v72
	v_mul_f32_e32 v72, v106, v164
	s_waitcnt vmcnt(16)
	v_fmac_f32_e32 v116, v110, v168
	v_fma_f32 v72, v105, v163, -v72
	v_add_f32_e32 v119, v115, v116
	ds_read_b128 v[115:118], v70 offset:496
	v_add_f32_e32 v71, v71, v72
	v_mul_f32_e32 v72, v108, v166
	s_waitcnt vmcnt(14) lgkmcnt(1)
	v_mul_f32_e32 v120, v111, v170
	v_fma_f32 v72, v107, v165, -v72
	v_fmac_f32_e32 v120, v112, v169
	v_add_f32_e32 v71, v71, v72
	v_mul_f32_e32 v72, v110, v167
	v_add_f32_e32 v119, v119, v120
	s_waitcnt vmcnt(12)
	v_mul_f32_e32 v120, v113, v172
	v_fma_f32 v72, v109, v168, -v72
	v_fmac_f32_e32 v120, v114, v171
	v_add_f32_e32 v71, v71, v72
	v_mul_f32_e32 v72, v112, v170
	v_add_f32_e32 v119, v119, v120
	s_waitcnt vmcnt(10) lgkmcnt(0)
	v_mul_f32_e32 v120, v115, v174
	v_fma_f32 v72, v111, v169, -v72
	v_fmac_f32_e32 v120, v116, v173
	v_add_f32_e32 v71, v71, v72
	v_mul_f32_e32 v72, v114, v172
	v_add_f32_e32 v123, v119, v120
	ds_read_b128 v[119:122], v70 offset:512
	v_fma_f32 v72, v113, v171, -v72
	v_add_f32_e32 v71, v71, v72
	v_mul_f32_e32 v72, v116, v174
	s_waitcnt vmcnt(8)
	v_mul_f32_e32 v124, v117, v176
	v_fma_f32 v72, v115, v173, -v72
	v_fmac_f32_e32 v124, v118, v175
	v_add_f32_e32 v71, v71, v72
	v_mul_f32_e32 v72, v118, v176
	v_add_f32_e32 v185, v123, v124
	ds_read_b128 v[123:126], v70 offset:528
	v_fma_f32 v72, v117, v175, -v72
	v_add_f32_e32 v71, v71, v72
	s_waitcnt vmcnt(6) lgkmcnt(1)
	v_mul_f32_e32 v72, v120, v178
	v_mul_f32_e32 v70, v119, v178
	v_fma_f32 v72, v119, v177, -v72
	v_fmac_f32_e32 v70, v120, v177
	v_add_f32_e32 v71, v71, v72
	s_waitcnt vmcnt(4)
	v_mul_f32_e32 v72, v122, v180
	v_add_f32_e32 v70, v185, v70
	v_mul_f32_e32 v185, v121, v180
	v_fma_f32 v72, v121, v179, -v72
	v_fmac_f32_e32 v185, v122, v179
	v_add_f32_e32 v71, v71, v72
	s_waitcnt vmcnt(2) lgkmcnt(0)
	v_mul_f32_e32 v72, v124, v182
	v_add_f32_e32 v70, v70, v185
	v_mul_f32_e32 v185, v123, v182
	v_fma_f32 v72, v123, v181, -v72
	v_fmac_f32_e32 v185, v124, v181
	v_add_f32_e32 v71, v71, v72
	s_waitcnt vmcnt(0)
	v_mul_f32_e32 v72, v126, v184
	v_add_f32_e32 v70, v70, v185
	v_mul_f32_e32 v185, v125, v184
	v_fma_f32 v72, v125, v183, -v72
	v_fmac_f32_e32 v185, v126, v183
	v_add_f32_e32 v71, v71, v72
	v_add_f32_e32 v70, v70, v185
	v_sub_f32_e32 v71, v157, v71
	v_sub_f32_e32 v70, v158, v70
	buffer_store_dword v71, off, s[0:3], 0 offset:40
	buffer_store_dword v70, off, s[0:3], 0 offset:44
	s_and_saveexec_b64 s[4:5], vcc
	s_cbranch_execz .LBB97_209
; %bb.208:
	buffer_load_dword v70, off, s[0:3], 0 offset:32
	buffer_load_dword v71, off, s[0:3], 0 offset:36
	v_mov_b32_e32 v72, 0
	buffer_store_dword v72, off, s[0:3], 0 offset:32
	buffer_store_dword v72, off, s[0:3], 0 offset:36
	s_waitcnt vmcnt(2)
	ds_write_b64 v69, v[70:71]
.LBB97_209:
	s_or_b64 exec, exec, s[4:5]
	s_waitcnt lgkmcnt(0)
	; wave barrier
	buffer_load_dword v129, off, s[0:3], 0 offset:44
	buffer_load_dword v130, off, s[0:3], 0 offset:52
	;; [unrolled: 1-line block ×60, first 2 shown]
	v_mov_b32_e32 v70, 0
	ds_read2_b64 v[71:74], v70 offset0:39 offset1:40
	ds_read2_b64 v[75:78], v70 offset0:41 offset1:42
	;; [unrolled: 1-line block ×5, first 2 shown]
	v_cmp_lt_u32_e32 vcc, 3, v0
	s_waitcnt vmcnt(59) lgkmcnt(4)
	v_mul_f32_e32 v91, v71, v129
	s_waitcnt vmcnt(58)
	v_mul_f32_e32 v92, v73, v130
	s_waitcnt vmcnt(57) lgkmcnt(3)
	v_mul_f32_e32 v93, v75, v131
	s_waitcnt vmcnt(56)
	v_mul_f32_e32 v94, v77, v132
	;; [unrolled: 4-line block ×3, first 2 shown]
	s_waitcnt vmcnt(53) lgkmcnt(1)
	v_mul_f32_e32 v97, v83, v135
	s_waitcnt vmcnt(52)
	v_fmac_f32_e32 v91, v72, v136
	s_waitcnt vmcnt(51)
	v_fmac_f32_e32 v92, v74, v137
	v_add_f32_e32 v91, 0, v91
	s_waitcnt vmcnt(50)
	v_fmac_f32_e32 v93, v76, v138
	v_add_f32_e32 v91, v91, v92
	;; [unrolled: 3-line block ×6, first 2 shown]
	s_waitcnt vmcnt(45)
	v_mul_f32_e32 v92, v85, v143
	v_add_f32_e32 v91, v91, v97
	s_waitcnt vmcnt(44)
	v_fmac_f32_e32 v92, v86, v144
	v_mul_f32_e32 v72, v72, v129
	v_add_f32_e32 v95, v91, v92
	ds_read2_b64 v[91:94], v70 offset0:49 offset1:50
	v_fma_f32 v71, v71, v136, -v72
	v_mul_f32_e32 v72, v74, v130
	s_waitcnt vmcnt(43) lgkmcnt(1)
	v_mul_f32_e32 v96, v87, v145
	v_add_f32_e32 v71, 0, v71
	v_fma_f32 v72, v73, v137, -v72
	s_waitcnt vmcnt(42)
	v_fmac_f32_e32 v96, v88, v146
	v_add_f32_e32 v71, v71, v72
	v_mul_f32_e32 v72, v76, v131
	v_add_f32_e32 v95, v95, v96
	s_waitcnt vmcnt(41)
	v_mul_f32_e32 v96, v89, v147
	v_fma_f32 v72, v75, v138, -v72
	s_waitcnt vmcnt(40)
	v_fmac_f32_e32 v96, v90, v148
	v_add_f32_e32 v71, v71, v72
	v_mul_f32_e32 v72, v78, v132
	v_add_f32_e32 v95, v95, v96
	s_waitcnt vmcnt(39) lgkmcnt(0)
	v_mul_f32_e32 v96, v91, v149
	v_fma_f32 v72, v77, v139, -v72
	s_waitcnt vmcnt(38)
	v_fmac_f32_e32 v96, v92, v150
	v_add_f32_e32 v71, v71, v72
	v_mul_f32_e32 v72, v80, v133
	v_add_f32_e32 v99, v95, v96
	ds_read2_b64 v[95:98], v70 offset0:51 offset1:52
	v_fma_f32 v72, v79, v140, -v72
	v_add_f32_e32 v71, v71, v72
	v_mul_f32_e32 v72, v82, v134
	s_waitcnt vmcnt(37)
	v_mul_f32_e32 v100, v93, v151
	v_fma_f32 v72, v81, v141, -v72
	s_waitcnt vmcnt(36)
	v_fmac_f32_e32 v100, v94, v152
	v_add_f32_e32 v71, v71, v72
	v_mul_f32_e32 v72, v84, v135
	v_add_f32_e32 v103, v99, v100
	ds_read2_b64 v[99:102], v70 offset0:53 offset1:54
	v_fma_f32 v72, v83, v142, -v72
	s_waitcnt vmcnt(34) lgkmcnt(1)
	v_mul_f32_e32 v104, v95, v154
	v_add_f32_e32 v71, v71, v72
	v_mul_f32_e32 v72, v86, v143
	v_fmac_f32_e32 v104, v96, v153
	v_fma_f32 v72, v85, v144, -v72
	v_add_f32_e32 v103, v103, v104
	s_waitcnt vmcnt(31)
	v_mul_f32_e32 v104, v97, v157
	v_add_f32_e32 v71, v71, v72
	v_mul_f32_e32 v72, v88, v145
	s_waitcnt vmcnt(30)
	v_fmac_f32_e32 v104, v98, v158
	v_fma_f32 v72, v87, v146, -v72
	v_add_f32_e32 v103, v103, v104
	s_waitcnt vmcnt(28) lgkmcnt(0)
	v_mul_f32_e32 v104, v99, v160
	v_add_f32_e32 v71, v71, v72
	v_mul_f32_e32 v72, v90, v147
	v_fmac_f32_e32 v104, v100, v159
	v_fma_f32 v72, v89, v148, -v72
	v_add_f32_e32 v107, v103, v104
	ds_read2_b64 v[103:106], v70 offset0:55 offset1:56
	v_add_f32_e32 v71, v71, v72
	v_mul_f32_e32 v72, v92, v149
	v_fma_f32 v72, v91, v150, -v72
	s_waitcnt vmcnt(26)
	v_mul_f32_e32 v108, v101, v162
	v_add_f32_e32 v71, v71, v72
	v_mul_f32_e32 v72, v94, v151
	v_fmac_f32_e32 v108, v102, v161
	v_fma_f32 v72, v93, v152, -v72
	v_add_f32_e32 v111, v107, v108
	ds_read2_b64 v[107:110], v70 offset0:57 offset1:58
	v_add_f32_e32 v71, v71, v72
	v_mul_f32_e32 v72, v96, v154
	s_waitcnt vmcnt(24) lgkmcnt(1)
	v_mul_f32_e32 v112, v103, v164
	v_fma_f32 v72, v95, v153, -v72
	v_fmac_f32_e32 v112, v104, v163
	v_add_f32_e32 v71, v71, v72
	v_mul_f32_e32 v72, v98, v157
	v_add_f32_e32 v111, v111, v112
	s_waitcnt vmcnt(22)
	v_mul_f32_e32 v112, v105, v166
	v_fma_f32 v72, v97, v158, -v72
	v_fmac_f32_e32 v112, v106, v165
	v_add_f32_e32 v71, v71, v72
	v_mul_f32_e32 v72, v100, v160
	v_add_f32_e32 v111, v111, v112
	s_waitcnt vmcnt(20) lgkmcnt(0)
	v_mul_f32_e32 v112, v107, v168
	v_fma_f32 v72, v99, v159, -v72
	v_fmac_f32_e32 v112, v108, v167
	v_add_f32_e32 v71, v71, v72
	v_mul_f32_e32 v72, v102, v162
	v_add_f32_e32 v115, v111, v112
	ds_read2_b64 v[111:114], v70 offset0:59 offset1:60
	v_fma_f32 v72, v101, v161, -v72
	v_add_f32_e32 v71, v71, v72
	v_mul_f32_e32 v72, v104, v164
	s_waitcnt vmcnt(18)
	v_mul_f32_e32 v116, v109, v170
	v_fma_f32 v72, v103, v163, -v72
	v_fmac_f32_e32 v116, v110, v169
	v_add_f32_e32 v71, v71, v72
	v_mul_f32_e32 v72, v106, v166
	v_add_f32_e32 v119, v115, v116
	ds_read2_b64 v[115:118], v70 offset0:61 offset1:62
	v_fma_f32 v72, v105, v165, -v72
	s_waitcnt vmcnt(16) lgkmcnt(1)
	v_mul_f32_e32 v120, v111, v172
	v_add_f32_e32 v71, v71, v72
	v_mul_f32_e32 v72, v108, v168
	v_fmac_f32_e32 v120, v112, v171
	v_fma_f32 v72, v107, v167, -v72
	v_add_f32_e32 v119, v119, v120
	s_waitcnt vmcnt(14)
	v_mul_f32_e32 v120, v113, v174
	v_add_f32_e32 v71, v71, v72
	v_mul_f32_e32 v72, v110, v170
	v_fmac_f32_e32 v120, v114, v173
	v_fma_f32 v72, v109, v169, -v72
	v_add_f32_e32 v119, v119, v120
	s_waitcnt vmcnt(12) lgkmcnt(0)
	v_mul_f32_e32 v120, v115, v176
	v_add_f32_e32 v71, v71, v72
	v_mul_f32_e32 v72, v112, v172
	v_fmac_f32_e32 v120, v116, v175
	v_fma_f32 v72, v111, v171, -v72
	v_add_f32_e32 v123, v119, v120
	ds_read2_b64 v[119:122], v70 offset0:63 offset1:64
	v_add_f32_e32 v71, v71, v72
	v_mul_f32_e32 v72, v114, v174
	v_fma_f32 v72, v113, v173, -v72
	v_add_f32_e32 v71, v71, v72
	v_mul_f32_e32 v72, v116, v176
	s_waitcnt vmcnt(10)
	v_mul_f32_e32 v124, v117, v178
	v_fma_f32 v72, v115, v175, -v72
	v_fmac_f32_e32 v124, v118, v177
	v_add_f32_e32 v71, v71, v72
	v_mul_f32_e32 v72, v118, v178
	v_add_f32_e32 v127, v123, v124
	ds_read2_b64 v[123:126], v70 offset0:65 offset1:66
	s_waitcnt vmcnt(8) lgkmcnt(1)
	v_mul_f32_e32 v128, v119, v180
	v_fma_f32 v72, v117, v177, -v72
	v_fmac_f32_e32 v128, v120, v179
	v_add_f32_e32 v71, v71, v72
	v_mul_f32_e32 v72, v120, v180
	v_add_f32_e32 v127, v127, v128
	s_waitcnt vmcnt(6)
	v_mul_f32_e32 v128, v121, v182
	v_fma_f32 v72, v119, v179, -v72
	v_fmac_f32_e32 v128, v122, v181
	v_add_f32_e32 v71, v71, v72
	v_mul_f32_e32 v72, v122, v182
	v_add_f32_e32 v189, v127, v128
	ds_read_b64 v[127:128], v70 offset:536
	v_fma_f32 v72, v121, v181, -v72
	v_add_f32_e32 v71, v71, v72
	s_waitcnt vmcnt(4) lgkmcnt(1)
	v_mul_f32_e32 v72, v124, v184
	v_mul_f32_e32 v190, v123, v184
	v_fma_f32 v72, v123, v183, -v72
	v_fmac_f32_e32 v190, v124, v183
	v_add_f32_e32 v71, v71, v72
	s_waitcnt vmcnt(2)
	v_mul_f32_e32 v72, v126, v186
	v_add_f32_e32 v189, v189, v190
	v_mul_f32_e32 v190, v125, v186
	v_fma_f32 v72, v125, v185, -v72
	v_fmac_f32_e32 v190, v126, v185
	v_add_f32_e32 v71, v71, v72
	s_waitcnt vmcnt(0) lgkmcnt(0)
	v_mul_f32_e32 v72, v128, v188
	v_add_f32_e32 v189, v189, v190
	v_mul_f32_e32 v190, v127, v188
	v_fma_f32 v72, v127, v187, -v72
	v_fmac_f32_e32 v190, v128, v187
	v_add_f32_e32 v71, v71, v72
	v_add_f32_e32 v189, v189, v190
	v_sub_f32_e32 v71, v155, v71
	v_sub_f32_e32 v72, v156, v189
	buffer_store_dword v71, off, s[0:3], 0 offset:32
	buffer_store_dword v72, off, s[0:3], 0 offset:36
	s_and_saveexec_b64 s[4:5], vcc
	s_cbranch_execz .LBB97_211
; %bb.210:
	buffer_load_dword v71, off, s[0:3], 0 offset:24
	buffer_load_dword v72, off, s[0:3], 0 offset:28
	s_waitcnt vmcnt(0)
	ds_write_b64 v69, v[71:72]
	buffer_store_dword v70, off, s[0:3], 0 offset:24
	buffer_store_dword v70, off, s[0:3], 0 offset:28
.LBB97_211:
	s_or_b64 exec, exec, s[4:5]
	s_waitcnt lgkmcnt(0)
	; wave barrier
	buffer_load_dword v131, off, s[0:3], 0 offset:36
	buffer_load_dword v132, off, s[0:3], 0 offset:44
	;; [unrolled: 1-line block ×32, first 2 shown]
	ds_read_b128 v[71:74], v70 offset:304
	ds_read_b128 v[75:78], v70 offset:320
	;; [unrolled: 1-line block ×4, first 2 shown]
	buffer_load_dword v163, off, s[0:3], 0 offset:156
	buffer_load_dword v164, off, s[0:3], 0 offset:152
	;; [unrolled: 1-line block ×30, first 2 shown]
	v_cmp_lt_u32_e32 vcc, 2, v0
	s_waitcnt vmcnt(61) lgkmcnt(3)
	v_mul_f32_e32 v87, v71, v131
	s_waitcnt vmcnt(60)
	v_mul_f32_e32 v88, v73, v132
	s_waitcnt vmcnt(59) lgkmcnt(2)
	v_mul_f32_e32 v89, v75, v133
	s_waitcnt vmcnt(58)
	v_mul_f32_e32 v90, v77, v134
	;; [unrolled: 4-line block ×3, first 2 shown]
	s_waitcnt vmcnt(55) lgkmcnt(0)
	v_mul_f32_e32 v93, v83, v137
	s_waitcnt vmcnt(54)
	v_fmac_f32_e32 v87, v72, v138
	s_waitcnt vmcnt(53)
	v_fmac_f32_e32 v88, v74, v139
	v_add_f32_e32 v87, 0, v87
	s_waitcnt vmcnt(52)
	v_fmac_f32_e32 v89, v76, v140
	v_add_f32_e32 v87, v87, v88
	;; [unrolled: 3-line block ×6, first 2 shown]
	v_add_f32_e32 v91, v87, v93
	ds_read_b128 v[87:90], v70 offset:368
	s_waitcnt vmcnt(47)
	v_mul_f32_e32 v92, v85, v145
	s_waitcnt vmcnt(46)
	v_fmac_f32_e32 v92, v86, v146
	v_mul_f32_e32 v72, v72, v131
	v_add_f32_e32 v95, v91, v92
	ds_read_b128 v[91:94], v70 offset:384
	v_fma_f32 v71, v71, v138, -v72
	v_mul_f32_e32 v72, v74, v132
	s_waitcnt vmcnt(45) lgkmcnt(1)
	v_mul_f32_e32 v96, v87, v147
	v_add_f32_e32 v71, 0, v71
	v_fma_f32 v72, v73, v139, -v72
	s_waitcnt vmcnt(44)
	v_fmac_f32_e32 v96, v88, v148
	v_add_f32_e32 v71, v71, v72
	v_mul_f32_e32 v72, v76, v133
	v_add_f32_e32 v95, v95, v96
	s_waitcnt vmcnt(43)
	v_mul_f32_e32 v96, v89, v149
	v_fma_f32 v72, v75, v140, -v72
	s_waitcnt vmcnt(42)
	v_fmac_f32_e32 v96, v90, v150
	v_add_f32_e32 v71, v71, v72
	v_mul_f32_e32 v72, v78, v134
	v_add_f32_e32 v95, v95, v96
	s_waitcnt vmcnt(41) lgkmcnt(0)
	v_mul_f32_e32 v96, v91, v151
	v_fma_f32 v72, v77, v141, -v72
	s_waitcnt vmcnt(40)
	v_fmac_f32_e32 v96, v92, v152
	v_add_f32_e32 v71, v71, v72
	v_mul_f32_e32 v72, v80, v135
	v_add_f32_e32 v99, v95, v96
	ds_read_b128 v[95:98], v70 offset:400
	v_fma_f32 v72, v79, v142, -v72
	v_add_f32_e32 v71, v71, v72
	v_mul_f32_e32 v72, v82, v136
	s_waitcnt vmcnt(39)
	v_mul_f32_e32 v100, v93, v153
	v_fma_f32 v72, v81, v143, -v72
	s_waitcnt vmcnt(38)
	v_fmac_f32_e32 v100, v94, v154
	v_add_f32_e32 v71, v71, v72
	v_mul_f32_e32 v72, v84, v137
	v_add_f32_e32 v103, v99, v100
	ds_read_b128 v[99:102], v70 offset:416
	v_fma_f32 v72, v83, v144, -v72
	s_waitcnt vmcnt(35) lgkmcnt(1)
	v_mul_f32_e32 v104, v95, v157
	v_add_f32_e32 v71, v71, v72
	v_mul_f32_e32 v72, v86, v145
	s_waitcnt vmcnt(34)
	v_fmac_f32_e32 v104, v96, v158
	v_fma_f32 v72, v85, v146, -v72
	v_add_f32_e32 v103, v103, v104
	s_waitcnt vmcnt(32)
	v_mul_f32_e32 v104, v97, v160
	v_add_f32_e32 v71, v71, v72
	v_mul_f32_e32 v72, v88, v147
	v_fmac_f32_e32 v104, v98, v159
	v_fma_f32 v72, v87, v148, -v72
	v_add_f32_e32 v103, v103, v104
	s_waitcnt vmcnt(30) lgkmcnt(0)
	v_mul_f32_e32 v104, v99, v162
	v_add_f32_e32 v71, v71, v72
	v_mul_f32_e32 v72, v90, v149
	v_fmac_f32_e32 v104, v100, v161
	v_fma_f32 v72, v89, v150, -v72
	v_add_f32_e32 v107, v103, v104
	ds_read_b128 v[103:106], v70 offset:432
	v_add_f32_e32 v71, v71, v72
	v_mul_f32_e32 v72, v92, v151
	v_fma_f32 v72, v91, v152, -v72
	s_waitcnt vmcnt(29)
	v_mul_f32_e32 v108, v101, v163
	v_add_f32_e32 v71, v71, v72
	v_mul_f32_e32 v72, v94, v153
	s_waitcnt vmcnt(28)
	v_fmac_f32_e32 v108, v102, v164
	v_fma_f32 v72, v93, v154, -v72
	v_add_f32_e32 v111, v107, v108
	ds_read_b128 v[107:110], v70 offset:448
	v_add_f32_e32 v71, v71, v72
	v_mul_f32_e32 v72, v96, v157
	s_waitcnt vmcnt(26) lgkmcnt(1)
	v_mul_f32_e32 v112, v103, v166
	v_fma_f32 v72, v95, v158, -v72
	v_fmac_f32_e32 v112, v104, v165
	v_add_f32_e32 v71, v71, v72
	v_mul_f32_e32 v72, v98, v160
	v_add_f32_e32 v111, v111, v112
	s_waitcnt vmcnt(24)
	v_mul_f32_e32 v112, v105, v168
	v_fma_f32 v72, v97, v159, -v72
	v_fmac_f32_e32 v112, v106, v167
	v_add_f32_e32 v71, v71, v72
	v_mul_f32_e32 v72, v100, v162
	v_add_f32_e32 v111, v111, v112
	s_waitcnt vmcnt(22) lgkmcnt(0)
	v_mul_f32_e32 v112, v107, v170
	v_fma_f32 v72, v99, v161, -v72
	v_fmac_f32_e32 v112, v108, v169
	v_add_f32_e32 v71, v71, v72
	v_mul_f32_e32 v72, v102, v163
	v_add_f32_e32 v115, v111, v112
	ds_read_b128 v[111:114], v70 offset:464
	v_fma_f32 v72, v101, v164, -v72
	v_add_f32_e32 v71, v71, v72
	v_mul_f32_e32 v72, v104, v166
	s_waitcnt vmcnt(20)
	v_mul_f32_e32 v116, v109, v172
	v_fma_f32 v72, v103, v165, -v72
	v_fmac_f32_e32 v116, v110, v171
	v_add_f32_e32 v71, v71, v72
	v_mul_f32_e32 v72, v106, v168
	v_add_f32_e32 v119, v115, v116
	ds_read_b128 v[115:118], v70 offset:480
	v_fma_f32 v72, v105, v167, -v72
	s_waitcnt vmcnt(18) lgkmcnt(1)
	v_mul_f32_e32 v120, v111, v174
	v_add_f32_e32 v71, v71, v72
	v_mul_f32_e32 v72, v108, v170
	v_fmac_f32_e32 v120, v112, v173
	v_fma_f32 v72, v107, v169, -v72
	v_add_f32_e32 v119, v119, v120
	s_waitcnt vmcnt(16)
	v_mul_f32_e32 v120, v113, v176
	v_add_f32_e32 v71, v71, v72
	v_mul_f32_e32 v72, v110, v172
	v_fmac_f32_e32 v120, v114, v175
	v_fma_f32 v72, v109, v171, -v72
	v_add_f32_e32 v119, v119, v120
	s_waitcnt vmcnt(14) lgkmcnt(0)
	v_mul_f32_e32 v120, v115, v178
	v_add_f32_e32 v71, v71, v72
	v_mul_f32_e32 v72, v112, v174
	v_fmac_f32_e32 v120, v116, v177
	v_fma_f32 v72, v111, v173, -v72
	v_add_f32_e32 v123, v119, v120
	ds_read_b128 v[119:122], v70 offset:496
	v_add_f32_e32 v71, v71, v72
	v_mul_f32_e32 v72, v114, v176
	v_fma_f32 v72, v113, v175, -v72
	v_add_f32_e32 v71, v71, v72
	v_mul_f32_e32 v72, v116, v178
	s_waitcnt vmcnt(12)
	v_mul_f32_e32 v124, v117, v180
	v_fma_f32 v72, v115, v177, -v72
	v_fmac_f32_e32 v124, v118, v179
	v_add_f32_e32 v71, v71, v72
	v_mul_f32_e32 v72, v118, v180
	v_add_f32_e32 v127, v123, v124
	ds_read_b128 v[123:126], v70 offset:512
	s_waitcnt vmcnt(10) lgkmcnt(1)
	v_mul_f32_e32 v128, v119, v182
	v_fma_f32 v72, v117, v179, -v72
	v_fmac_f32_e32 v128, v120, v181
	v_add_f32_e32 v71, v71, v72
	v_mul_f32_e32 v72, v120, v182
	v_add_f32_e32 v127, v127, v128
	s_waitcnt vmcnt(8)
	v_mul_f32_e32 v128, v121, v184
	v_fma_f32 v72, v119, v181, -v72
	v_fmac_f32_e32 v128, v122, v183
	v_add_f32_e32 v71, v71, v72
	v_mul_f32_e32 v72, v122, v184
	v_add_f32_e32 v193, v127, v128
	ds_read_b128 v[127:130], v70 offset:528
	v_fma_f32 v72, v121, v183, -v72
	v_add_f32_e32 v71, v71, v72
	s_waitcnt vmcnt(6) lgkmcnt(1)
	v_mul_f32_e32 v72, v124, v186
	v_mul_f32_e32 v194, v123, v186
	v_fma_f32 v72, v123, v185, -v72
	v_fmac_f32_e32 v194, v124, v185
	v_add_f32_e32 v71, v71, v72
	s_waitcnt vmcnt(4)
	v_mul_f32_e32 v72, v126, v188
	v_add_f32_e32 v70, v193, v194
	v_mul_f32_e32 v193, v125, v188
	v_fma_f32 v72, v125, v187, -v72
	v_fmac_f32_e32 v193, v126, v187
	v_add_f32_e32 v71, v71, v72
	s_waitcnt vmcnt(2) lgkmcnt(0)
	v_mul_f32_e32 v72, v128, v190
	v_add_f32_e32 v70, v70, v193
	v_mul_f32_e32 v193, v127, v190
	v_fma_f32 v72, v127, v189, -v72
	v_fmac_f32_e32 v193, v128, v189
	v_add_f32_e32 v71, v71, v72
	s_waitcnt vmcnt(0)
	v_mul_f32_e32 v72, v130, v192
	v_add_f32_e32 v70, v70, v193
	v_mul_f32_e32 v193, v129, v192
	v_fma_f32 v72, v129, v191, -v72
	v_fmac_f32_e32 v193, v130, v191
	v_add_f32_e32 v71, v71, v72
	v_add_f32_e32 v70, v70, v193
	v_sub_f32_e32 v71, v155, v71
	v_sub_f32_e32 v70, v156, v70
	buffer_store_dword v71, off, s[0:3], 0 offset:24
	buffer_store_dword v70, off, s[0:3], 0 offset:28
	s_and_saveexec_b64 s[4:5], vcc
	s_cbranch_execz .LBB97_213
; %bb.212:
	buffer_load_dword v70, off, s[0:3], 0 offset:16
	buffer_load_dword v71, off, s[0:3], 0 offset:20
	v_mov_b32_e32 v72, 0
	buffer_store_dword v72, off, s[0:3], 0 offset:16
	buffer_store_dword v72, off, s[0:3], 0 offset:20
	s_waitcnt vmcnt(2)
	ds_write_b64 v69, v[70:71]
.LBB97_213:
	s_or_b64 exec, exec, s[4:5]
	s_waitcnt lgkmcnt(0)
	; wave barrier
	buffer_load_dword v133, off, s[0:3], 0 offset:28
	buffer_load_dword v134, off, s[0:3], 0 offset:36
	;; [unrolled: 1-line block ×56, first 2 shown]
	v_mov_b32_e32 v70, 0
	ds_read2_b64 v[71:74], v70 offset0:37 offset1:38
	buffer_load_dword v189, off, s[0:3], 0 offset:240
	buffer_load_dword v190, off, s[0:3], 0 offset:244
	buffer_load_dword v191, off, s[0:3], 0 offset:248
	buffer_load_dword v192, off, s[0:3], 0 offset:252
	ds_read2_b64 v[75:78], v70 offset0:39 offset1:40
	ds_read2_b64 v[79:82], v70 offset0:41 offset1:42
	;; [unrolled: 1-line block ×3, first 2 shown]
	v_cmp_lt_u32_e32 vcc, 1, v0
	s_waitcnt vmcnt(59) lgkmcnt(3)
	v_mul_f32_e32 v87, v71, v133
	s_waitcnt vmcnt(58)
	v_mul_f32_e32 v88, v73, v134
	s_waitcnt vmcnt(57) lgkmcnt(2)
	v_mul_f32_e32 v89, v75, v135
	s_waitcnt vmcnt(56)
	v_mul_f32_e32 v90, v77, v136
	;; [unrolled: 4-line block ×4, first 2 shown]
	s_waitcnt vmcnt(51)
	v_fmac_f32_e32 v87, v72, v141
	s_waitcnt vmcnt(50)
	v_fmac_f32_e32 v88, v74, v142
	v_add_f32_e32 v87, 0, v87
	s_waitcnt vmcnt(49)
	v_fmac_f32_e32 v89, v76, v143
	v_add_f32_e32 v87, v87, v88
	s_waitcnt vmcnt(48)
	v_fmac_f32_e32 v90, v78, v144
	v_add_f32_e32 v87, v87, v89
	s_waitcnt vmcnt(47)
	v_fmac_f32_e32 v91, v80, v145
	v_add_f32_e32 v87, v87, v90
	s_waitcnt vmcnt(46)
	v_fmac_f32_e32 v92, v82, v146
	v_add_f32_e32 v87, v87, v91
	s_waitcnt vmcnt(45)
	v_fmac_f32_e32 v93, v84, v147
	v_add_f32_e32 v87, v87, v92
	v_add_f32_e32 v91, v87, v93
	ds_read2_b64 v[87:90], v70 offset0:45 offset1:46
	buffer_load_dword v193, off, s[0:3], 0 offset:260
	buffer_load_dword v194, off, s[0:3], 0 offset:256
	;; [unrolled: 1-line block ×4, first 2 shown]
	s_waitcnt vmcnt(48)
	v_fmac_f32_e32 v94, v86, v148
	v_add_f32_e32 v95, v91, v94
	ds_read2_b64 v[91:94], v70 offset0:47 offset1:48
	s_waitcnt vmcnt(47) lgkmcnt(1)
	v_mul_f32_e32 v96, v87, v149
	v_mul_f32_e32 v72, v72, v133
	s_waitcnt vmcnt(46)
	v_fmac_f32_e32 v96, v88, v150
	v_fma_f32 v71, v71, v141, -v72
	v_mul_f32_e32 v72, v74, v134
	v_add_f32_e32 v95, v95, v96
	s_waitcnt vmcnt(45)
	v_mul_f32_e32 v96, v89, v151
	v_add_f32_e32 v71, 0, v71
	v_fma_f32 v72, v73, v142, -v72
	s_waitcnt vmcnt(44)
	v_fmac_f32_e32 v96, v90, v152
	v_add_f32_e32 v71, v71, v72
	v_mul_f32_e32 v72, v76, v135
	v_add_f32_e32 v95, v95, v96
	s_waitcnt vmcnt(42) lgkmcnt(0)
	v_mul_f32_e32 v96, v91, v154
	v_fma_f32 v72, v75, v143, -v72
	v_fmac_f32_e32 v96, v92, v153
	v_add_f32_e32 v71, v71, v72
	v_mul_f32_e32 v72, v78, v136
	v_add_f32_e32 v99, v95, v96
	ds_read2_b64 v[95:98], v70 offset0:49 offset1:50
	v_fma_f32 v72, v77, v144, -v72
	v_add_f32_e32 v71, v71, v72
	v_mul_f32_e32 v72, v80, v137
	s_waitcnt vmcnt(39)
	v_mul_f32_e32 v100, v93, v157
	v_fma_f32 v72, v79, v145, -v72
	s_waitcnt vmcnt(38)
	v_fmac_f32_e32 v100, v94, v158
	v_add_f32_e32 v71, v71, v72
	v_mul_f32_e32 v72, v82, v138
	v_add_f32_e32 v103, v99, v100
	ds_read2_b64 v[99:102], v70 offset0:51 offset1:52
	v_fma_f32 v72, v81, v146, -v72
	s_waitcnt vmcnt(36) lgkmcnt(1)
	v_mul_f32_e32 v104, v95, v160
	v_add_f32_e32 v71, v71, v72
	v_mul_f32_e32 v72, v84, v139
	v_fmac_f32_e32 v104, v96, v159
	v_fma_f32 v72, v83, v147, -v72
	v_add_f32_e32 v103, v103, v104
	s_waitcnt vmcnt(34)
	v_mul_f32_e32 v104, v97, v162
	v_add_f32_e32 v71, v71, v72
	v_mul_f32_e32 v72, v86, v140
	v_fmac_f32_e32 v104, v98, v161
	v_fma_f32 v72, v85, v148, -v72
	v_add_f32_e32 v103, v103, v104
	s_waitcnt vmcnt(32) lgkmcnt(0)
	v_mul_f32_e32 v104, v99, v164
	v_add_f32_e32 v71, v71, v72
	v_mul_f32_e32 v72, v88, v149
	v_fmac_f32_e32 v104, v100, v163
	v_fma_f32 v72, v87, v150, -v72
	v_add_f32_e32 v107, v103, v104
	ds_read2_b64 v[103:106], v70 offset0:53 offset1:54
	v_add_f32_e32 v71, v71, v72
	v_mul_f32_e32 v72, v90, v151
	v_fma_f32 v72, v89, v152, -v72
	s_waitcnt vmcnt(30)
	v_mul_f32_e32 v108, v101, v166
	v_add_f32_e32 v71, v71, v72
	v_mul_f32_e32 v72, v92, v154
	v_fmac_f32_e32 v108, v102, v165
	v_fma_f32 v72, v91, v153, -v72
	v_add_f32_e32 v111, v107, v108
	ds_read2_b64 v[107:110], v70 offset0:55 offset1:56
	v_add_f32_e32 v71, v71, v72
	v_mul_f32_e32 v72, v94, v157
	s_waitcnt vmcnt(28) lgkmcnt(1)
	v_mul_f32_e32 v112, v103, v168
	v_fma_f32 v72, v93, v158, -v72
	v_fmac_f32_e32 v112, v104, v167
	v_add_f32_e32 v71, v71, v72
	v_mul_f32_e32 v72, v96, v160
	v_add_f32_e32 v111, v111, v112
	s_waitcnt vmcnt(26)
	v_mul_f32_e32 v112, v105, v170
	v_fma_f32 v72, v95, v159, -v72
	v_fmac_f32_e32 v112, v106, v169
	v_add_f32_e32 v71, v71, v72
	v_mul_f32_e32 v72, v98, v162
	v_add_f32_e32 v111, v111, v112
	s_waitcnt vmcnt(24) lgkmcnt(0)
	v_mul_f32_e32 v112, v107, v172
	v_fma_f32 v72, v97, v161, -v72
	v_fmac_f32_e32 v112, v108, v171
	v_add_f32_e32 v71, v71, v72
	v_mul_f32_e32 v72, v100, v164
	v_add_f32_e32 v115, v111, v112
	ds_read2_b64 v[111:114], v70 offset0:57 offset1:58
	v_fma_f32 v72, v99, v163, -v72
	v_add_f32_e32 v71, v71, v72
	v_mul_f32_e32 v72, v102, v166
	s_waitcnt vmcnt(22)
	v_mul_f32_e32 v116, v109, v174
	v_fma_f32 v72, v101, v165, -v72
	v_fmac_f32_e32 v116, v110, v173
	v_add_f32_e32 v71, v71, v72
	v_mul_f32_e32 v72, v104, v168
	v_add_f32_e32 v119, v115, v116
	ds_read2_b64 v[115:118], v70 offset0:59 offset1:60
	v_fma_f32 v72, v103, v167, -v72
	s_waitcnt vmcnt(20) lgkmcnt(1)
	v_mul_f32_e32 v120, v111, v176
	v_add_f32_e32 v71, v71, v72
	v_mul_f32_e32 v72, v106, v170
	v_fmac_f32_e32 v120, v112, v175
	v_fma_f32 v72, v105, v169, -v72
	v_add_f32_e32 v119, v119, v120
	s_waitcnt vmcnt(18)
	v_mul_f32_e32 v120, v113, v178
	v_add_f32_e32 v71, v71, v72
	v_mul_f32_e32 v72, v108, v172
	v_fmac_f32_e32 v120, v114, v177
	v_fma_f32 v72, v107, v171, -v72
	v_add_f32_e32 v119, v119, v120
	s_waitcnt vmcnt(16) lgkmcnt(0)
	v_mul_f32_e32 v120, v115, v180
	v_add_f32_e32 v71, v71, v72
	v_mul_f32_e32 v72, v110, v174
	v_fmac_f32_e32 v120, v116, v179
	v_fma_f32 v72, v109, v173, -v72
	v_add_f32_e32 v123, v119, v120
	ds_read2_b64 v[119:122], v70 offset0:61 offset1:62
	v_add_f32_e32 v71, v71, v72
	v_mul_f32_e32 v72, v112, v176
	v_fma_f32 v72, v111, v175, -v72
	s_waitcnt vmcnt(14)
	v_mul_f32_e32 v124, v117, v182
	v_add_f32_e32 v71, v71, v72
	v_mul_f32_e32 v72, v114, v178
	v_fmac_f32_e32 v124, v118, v181
	v_fma_f32 v72, v113, v177, -v72
	v_add_f32_e32 v127, v123, v124
	ds_read2_b64 v[123:126], v70 offset0:63 offset1:64
	v_add_f32_e32 v71, v71, v72
	v_mul_f32_e32 v72, v116, v180
	s_waitcnt vmcnt(12) lgkmcnt(1)
	v_mul_f32_e32 v128, v119, v184
	v_fma_f32 v72, v115, v179, -v72
	v_fmac_f32_e32 v128, v120, v183
	v_add_f32_e32 v71, v71, v72
	v_mul_f32_e32 v72, v118, v182
	v_add_f32_e32 v127, v127, v128
	s_waitcnt vmcnt(10)
	v_mul_f32_e32 v128, v121, v186
	v_fma_f32 v72, v117, v181, -v72
	v_fmac_f32_e32 v128, v122, v185
	v_add_f32_e32 v71, v71, v72
	v_mul_f32_e32 v72, v120, v184
	v_add_f32_e32 v127, v127, v128
	s_waitcnt vmcnt(8) lgkmcnt(0)
	v_mul_f32_e32 v128, v123, v188
	v_fma_f32 v72, v119, v183, -v72
	v_fmac_f32_e32 v128, v124, v187
	v_add_f32_e32 v71, v71, v72
	v_mul_f32_e32 v72, v122, v186
	v_add_f32_e32 v131, v127, v128
	ds_read2_b64 v[127:130], v70 offset0:65 offset1:66
	v_fma_f32 v72, v121, v185, -v72
	v_add_f32_e32 v71, v71, v72
	v_mul_f32_e32 v72, v124, v188
	s_waitcnt vmcnt(6)
	v_mul_f32_e32 v132, v125, v190
	v_fma_f32 v72, v123, v187, -v72
	v_fmac_f32_e32 v132, v126, v189
	v_add_f32_e32 v71, v71, v72
	v_mul_f32_e32 v72, v126, v190
	v_add_f32_e32 v197, v131, v132
	ds_read_b64 v[131:132], v70 offset:536
	v_fma_f32 v72, v125, v189, -v72
	v_add_f32_e32 v71, v71, v72
	s_waitcnt vmcnt(4) lgkmcnt(1)
	v_mul_f32_e32 v72, v128, v192
	v_mul_f32_e32 v198, v127, v192
	v_fma_f32 v72, v127, v191, -v72
	v_fmac_f32_e32 v198, v128, v191
	v_add_f32_e32 v71, v71, v72
	s_waitcnt vmcnt(3)
	v_mul_f32_e32 v72, v130, v193
	v_add_f32_e32 v197, v197, v198
	v_mul_f32_e32 v198, v129, v193
	s_waitcnt vmcnt(2)
	v_fma_f32 v72, v129, v194, -v72
	v_fmac_f32_e32 v198, v130, v194
	v_add_f32_e32 v71, v71, v72
	s_waitcnt vmcnt(0) lgkmcnt(0)
	v_mul_f32_e32 v72, v132, v196
	v_add_f32_e32 v197, v197, v198
	v_mul_f32_e32 v198, v131, v196
	v_fma_f32 v72, v131, v195, -v72
	v_fmac_f32_e32 v198, v132, v195
	v_add_f32_e32 v71, v71, v72
	v_add_f32_e32 v197, v197, v198
	v_sub_f32_e32 v71, v155, v71
	v_sub_f32_e32 v72, v156, v197
	buffer_store_dword v71, off, s[0:3], 0 offset:16
	buffer_store_dword v72, off, s[0:3], 0 offset:20
	s_and_saveexec_b64 s[4:5], vcc
	s_cbranch_execz .LBB97_215
; %bb.214:
	buffer_load_dword v71, off, s[0:3], 0 offset:8
	buffer_load_dword v72, off, s[0:3], 0 offset:12
	s_waitcnt vmcnt(0)
	ds_write_b64 v69, v[71:72]
	buffer_store_dword v70, off, s[0:3], 0 offset:8
	buffer_store_dword v70, off, s[0:3], 0 offset:12
.LBB97_215:
	s_or_b64 exec, exec, s[4:5]
	s_waitcnt lgkmcnt(0)
	; wave barrier
	buffer_load_dword v135, off, s[0:3], 0 offset:20
	buffer_load_dword v136, off, s[0:3], 0 offset:28
	;; [unrolled: 1-line block ×26, first 2 shown]
	ds_read_b128 v[71:74], v70 offset:288
	ds_read_b128 v[75:78], v70 offset:304
	;; [unrolled: 1-line block ×4, first 2 shown]
	buffer_load_dword v161, off, s[0:3], 0 offset:116
	buffer_load_dword v162, off, s[0:3], 0 offset:112
	;; [unrolled: 1-line block ×34, first 2 shown]
	v_cmp_ne_u32_e32 vcc, 0, v0
	s_waitcnt vmcnt(59) lgkmcnt(3)
	v_mul_f32_e32 v87, v71, v135
	s_waitcnt vmcnt(58)
	v_mul_f32_e32 v88, v73, v136
	s_waitcnt vmcnt(57) lgkmcnt(2)
	v_mul_f32_e32 v89, v75, v137
	s_waitcnt vmcnt(56)
	v_mul_f32_e32 v90, v77, v138
	s_waitcnt vmcnt(55) lgkmcnt(1)
	v_mul_f32_e32 v91, v79, v139
	s_waitcnt vmcnt(54)
	v_mul_f32_e32 v92, v81, v140
	s_waitcnt vmcnt(53) lgkmcnt(0)
	v_mul_f32_e32 v93, v83, v141
	s_waitcnt vmcnt(52)
	v_mul_f32_e32 v94, v85, v142
	s_waitcnt vmcnt(51)
	v_fmac_f32_e32 v87, v72, v143
	s_waitcnt vmcnt(50)
	v_fmac_f32_e32 v88, v74, v144
	v_add_f32_e32 v87, 0, v87
	s_waitcnt vmcnt(49)
	v_fmac_f32_e32 v89, v76, v145
	v_add_f32_e32 v87, v87, v88
	;; [unrolled: 3-line block ×7, first 2 shown]
	v_add_f32_e32 v95, v87, v94
	ds_read_b128 v[87:90], v70 offset:352
	buffer_load_dword v195, off, s[0:3], 0 offset:252
	buffer_load_dword v196, off, s[0:3], 0 offset:248
	;; [unrolled: 1-line block ×4, first 2 shown]
	ds_read_b128 v[91:94], v70 offset:368
	buffer_load_dword v199, off, s[0:3], 0 offset:264
	buffer_load_dword v200, off, s[0:3], 0 offset:268
	v_mul_f32_e32 v72, v72, v135
	s_waitcnt vmcnt(49) lgkmcnt(1)
	v_mul_f32_e32 v96, v87, v151
	s_waitcnt vmcnt(48)
	v_fmac_f32_e32 v96, v88, v152
	v_fma_f32 v71, v71, v143, -v72
	v_mul_f32_e32 v72, v74, v136
	v_add_f32_e32 v95, v95, v96
	s_waitcnt vmcnt(46)
	v_mul_f32_e32 v96, v89, v154
	v_add_f32_e32 v71, 0, v71
	v_fma_f32 v72, v73, v144, -v72
	v_fmac_f32_e32 v96, v90, v153
	v_add_f32_e32 v71, v71, v72
	v_mul_f32_e32 v72, v76, v137
	v_add_f32_e32 v95, v95, v96
	s_waitcnt vmcnt(43) lgkmcnt(0)
	v_mul_f32_e32 v96, v91, v157
	v_fma_f32 v72, v75, v145, -v72
	s_waitcnt vmcnt(42)
	v_fmac_f32_e32 v96, v92, v158
	v_add_f32_e32 v71, v71, v72
	v_mul_f32_e32 v72, v78, v138
	v_add_f32_e32 v99, v95, v96
	ds_read_b128 v[95:98], v70 offset:384
	v_fma_f32 v72, v77, v146, -v72
	v_add_f32_e32 v71, v71, v72
	v_mul_f32_e32 v72, v80, v139
	s_waitcnt vmcnt(40)
	v_mul_f32_e32 v100, v93, v160
	v_fma_f32 v72, v79, v147, -v72
	v_fmac_f32_e32 v100, v94, v159
	v_add_f32_e32 v71, v71, v72
	v_mul_f32_e32 v72, v82, v140
	v_add_f32_e32 v103, v99, v100
	ds_read_b128 v[99:102], v70 offset:400
	v_fma_f32 v72, v81, v148, -v72
	s_waitcnt vmcnt(39) lgkmcnt(1)
	v_mul_f32_e32 v104, v95, v161
	v_add_f32_e32 v71, v71, v72
	v_mul_f32_e32 v72, v84, v141
	s_waitcnt vmcnt(38)
	v_fmac_f32_e32 v104, v96, v162
	v_fma_f32 v72, v83, v149, -v72
	v_add_f32_e32 v103, v103, v104
	s_waitcnt vmcnt(36)
	v_mul_f32_e32 v104, v97, v164
	v_add_f32_e32 v71, v71, v72
	v_mul_f32_e32 v72, v86, v142
	v_fmac_f32_e32 v104, v98, v163
	v_fma_f32 v72, v85, v150, -v72
	v_add_f32_e32 v103, v103, v104
	s_waitcnt vmcnt(34) lgkmcnt(0)
	v_mul_f32_e32 v104, v99, v166
	v_add_f32_e32 v71, v71, v72
	v_mul_f32_e32 v72, v88, v151
	v_fmac_f32_e32 v104, v100, v165
	v_fma_f32 v72, v87, v152, -v72
	v_add_f32_e32 v107, v103, v104
	ds_read_b128 v[103:106], v70 offset:416
	v_add_f32_e32 v71, v71, v72
	v_mul_f32_e32 v72, v90, v154
	v_fma_f32 v72, v89, v153, -v72
	s_waitcnt vmcnt(32)
	v_mul_f32_e32 v108, v101, v168
	v_add_f32_e32 v71, v71, v72
	v_mul_f32_e32 v72, v92, v157
	v_fmac_f32_e32 v108, v102, v167
	v_fma_f32 v72, v91, v158, -v72
	v_add_f32_e32 v111, v107, v108
	ds_read_b128 v[107:110], v70 offset:432
	v_add_f32_e32 v71, v71, v72
	v_mul_f32_e32 v72, v94, v160
	s_waitcnt vmcnt(30) lgkmcnt(1)
	v_mul_f32_e32 v112, v103, v170
	v_fma_f32 v72, v93, v159, -v72
	v_fmac_f32_e32 v112, v104, v169
	v_add_f32_e32 v71, v71, v72
	v_mul_f32_e32 v72, v96, v161
	v_add_f32_e32 v111, v111, v112
	s_waitcnt vmcnt(28)
	v_mul_f32_e32 v112, v105, v172
	v_fma_f32 v72, v95, v162, -v72
	v_fmac_f32_e32 v112, v106, v171
	v_add_f32_e32 v71, v71, v72
	v_mul_f32_e32 v72, v98, v164
	v_add_f32_e32 v111, v111, v112
	s_waitcnt vmcnt(26) lgkmcnt(0)
	v_mul_f32_e32 v112, v107, v174
	v_fma_f32 v72, v97, v163, -v72
	v_fmac_f32_e32 v112, v108, v173
	v_add_f32_e32 v71, v71, v72
	v_mul_f32_e32 v72, v100, v166
	v_add_f32_e32 v115, v111, v112
	ds_read_b128 v[111:114], v70 offset:448
	v_fma_f32 v72, v99, v165, -v72
	v_add_f32_e32 v71, v71, v72
	v_mul_f32_e32 v72, v102, v168
	s_waitcnt vmcnt(24)
	v_mul_f32_e32 v116, v109, v176
	v_fma_f32 v72, v101, v167, -v72
	v_fmac_f32_e32 v116, v110, v175
	v_add_f32_e32 v71, v71, v72
	v_mul_f32_e32 v72, v104, v170
	v_add_f32_e32 v119, v115, v116
	ds_read_b128 v[115:118], v70 offset:464
	v_fma_f32 v72, v103, v169, -v72
	s_waitcnt vmcnt(22) lgkmcnt(1)
	v_mul_f32_e32 v120, v111, v178
	v_add_f32_e32 v71, v71, v72
	v_mul_f32_e32 v72, v106, v172
	v_fmac_f32_e32 v120, v112, v177
	v_fma_f32 v72, v105, v171, -v72
	v_add_f32_e32 v119, v119, v120
	s_waitcnt vmcnt(20)
	v_mul_f32_e32 v120, v113, v180
	v_add_f32_e32 v71, v71, v72
	v_mul_f32_e32 v72, v108, v174
	v_fmac_f32_e32 v120, v114, v179
	v_fma_f32 v72, v107, v173, -v72
	v_add_f32_e32 v119, v119, v120
	s_waitcnt vmcnt(18) lgkmcnt(0)
	v_mul_f32_e32 v120, v115, v182
	v_add_f32_e32 v71, v71, v72
	v_mul_f32_e32 v72, v110, v176
	v_fmac_f32_e32 v120, v116, v181
	v_fma_f32 v72, v109, v175, -v72
	v_add_f32_e32 v123, v119, v120
	ds_read_b128 v[119:122], v70 offset:480
	v_add_f32_e32 v71, v71, v72
	v_mul_f32_e32 v72, v112, v178
	v_fma_f32 v72, v111, v177, -v72
	s_waitcnt vmcnt(16)
	v_mul_f32_e32 v124, v117, v184
	v_add_f32_e32 v71, v71, v72
	v_mul_f32_e32 v72, v114, v180
	v_fmac_f32_e32 v124, v118, v183
	v_fma_f32 v72, v113, v179, -v72
	v_add_f32_e32 v127, v123, v124
	ds_read_b128 v[123:126], v70 offset:496
	v_add_f32_e32 v71, v71, v72
	v_mul_f32_e32 v72, v116, v182
	s_waitcnt vmcnt(14) lgkmcnt(1)
	v_mul_f32_e32 v128, v119, v186
	v_fma_f32 v72, v115, v181, -v72
	v_fmac_f32_e32 v128, v120, v185
	v_add_f32_e32 v71, v71, v72
	v_mul_f32_e32 v72, v118, v184
	v_add_f32_e32 v127, v127, v128
	s_waitcnt vmcnt(12)
	v_mul_f32_e32 v128, v121, v188
	v_fma_f32 v72, v117, v183, -v72
	v_fmac_f32_e32 v128, v122, v187
	v_add_f32_e32 v71, v71, v72
	v_mul_f32_e32 v72, v120, v186
	v_add_f32_e32 v127, v127, v128
	s_waitcnt vmcnt(10) lgkmcnt(0)
	v_mul_f32_e32 v128, v123, v190
	v_fma_f32 v72, v119, v185, -v72
	v_fmac_f32_e32 v128, v124, v189
	v_add_f32_e32 v71, v71, v72
	v_mul_f32_e32 v72, v122, v188
	v_add_f32_e32 v131, v127, v128
	ds_read_b128 v[127:130], v70 offset:512
	v_fma_f32 v72, v121, v187, -v72
	v_add_f32_e32 v71, v71, v72
	v_mul_f32_e32 v72, v124, v190
	s_waitcnt vmcnt(8)
	v_mul_f32_e32 v132, v125, v192
	v_fma_f32 v72, v123, v189, -v72
	v_fmac_f32_e32 v132, v126, v191
	v_add_f32_e32 v71, v71, v72
	v_mul_f32_e32 v72, v126, v192
	v_add_f32_e32 v201, v131, v132
	ds_read_b128 v[131:134], v70 offset:528
	v_fma_f32 v72, v125, v191, -v72
	v_add_f32_e32 v71, v71, v72
	s_waitcnt vmcnt(6) lgkmcnt(1)
	v_mul_f32_e32 v72, v128, v194
	v_mul_f32_e32 v70, v127, v194
	v_fma_f32 v72, v127, v193, -v72
	v_fmac_f32_e32 v70, v128, v193
	v_add_f32_e32 v71, v71, v72
	s_waitcnt vmcnt(5)
	v_mul_f32_e32 v72, v130, v195
	v_add_f32_e32 v70, v201, v70
	v_mul_f32_e32 v201, v129, v195
	s_waitcnt vmcnt(4)
	v_fma_f32 v72, v129, v196, -v72
	v_fmac_f32_e32 v201, v130, v196
	v_add_f32_e32 v71, v71, v72
	s_waitcnt vmcnt(2) lgkmcnt(0)
	v_mul_f32_e32 v72, v132, v198
	v_add_f32_e32 v70, v70, v201
	v_mul_f32_e32 v201, v131, v198
	v_fma_f32 v72, v131, v197, -v72
	v_fmac_f32_e32 v201, v132, v197
	v_add_f32_e32 v71, v71, v72
	s_waitcnt vmcnt(0)
	v_mul_f32_e32 v72, v134, v200
	v_add_f32_e32 v70, v70, v201
	v_mul_f32_e32 v201, v133, v200
	v_fma_f32 v72, v133, v199, -v72
	v_fmac_f32_e32 v201, v134, v199
	v_add_f32_e32 v71, v71, v72
	v_add_f32_e32 v70, v70, v201
	v_sub_f32_e32 v71, v155, v71
	v_sub_f32_e32 v70, v156, v70
	buffer_store_dword v71, off, s[0:3], 0 offset:8
	buffer_store_dword v70, off, s[0:3], 0 offset:12
	s_and_saveexec_b64 s[4:5], vcc
	s_cbranch_execz .LBB97_217
; %bb.216:
	buffer_load_dword v70, off, s[0:3], 0
	buffer_load_dword v71, off, s[0:3], 0 offset:4
	v_mov_b32_e32 v0, 0
	buffer_store_dword v0, off, s[0:3], 0
	buffer_store_dword v0, off, s[0:3], 0 offset:4
	s_waitcnt vmcnt(2)
	ds_write_b64 v69, v[70:71]
.LBB97_217:
	s_or_b64 exec, exec, s[4:5]
	s_waitcnt lgkmcnt(0)
	; wave barrier
	buffer_load_dword v135, off, s[0:3], 0 offset:12
	buffer_load_dword v136, off, s[0:3], 0 offset:20
	;; [unrolled: 1-line block ×19, first 2 shown]
	buffer_load_dword v154, off, s[0:3], 0
	buffer_load_dword v155, off, s[0:3], 0 offset:4
	buffer_load_dword v156, off, s[0:3], 0 offset:80
	;; [unrolled: 1-line block ×38, first 2 shown]
	v_mov_b32_e32 v0, 0
	ds_read2_b64 v[69:72], v0 offset0:35 offset1:36
	ds_read2_b64 v[73:76], v0 offset0:37 offset1:38
	;; [unrolled: 1-line block ×5, first 2 shown]
	buffer_load_dword v193, off, s[0:3], 0 offset:232
	buffer_load_dword v194, off, s[0:3], 0 offset:236
	s_and_b64 vcc, exec, s[14:15]
	s_waitcnt vmcnt(59) lgkmcnt(4)
	v_mul_f32_e32 v89, v69, v135
	s_waitcnt vmcnt(58)
	v_mul_f32_e32 v90, v71, v136
	s_waitcnt vmcnt(57) lgkmcnt(3)
	v_mul_f32_e32 v91, v73, v137
	s_waitcnt vmcnt(56)
	v_mul_f32_e32 v92, v75, v138
	s_waitcnt vmcnt(55) lgkmcnt(2)
	v_mul_f32_e32 v93, v77, v139
	s_waitcnt vmcnt(54)
	v_mul_f32_e32 v94, v79, v140
	s_waitcnt vmcnt(53) lgkmcnt(1)
	v_mul_f32_e32 v95, v81, v141
	s_waitcnt vmcnt(52)
	v_mul_f32_e32 v96, v83, v142
	s_waitcnt vmcnt(51)
	v_fmac_f32_e32 v89, v70, v143
	s_waitcnt vmcnt(50)
	v_fmac_f32_e32 v90, v72, v144
	v_add_f32_e32 v89, 0, v89
	s_waitcnt vmcnt(49)
	v_fmac_f32_e32 v91, v74, v145
	v_add_f32_e32 v89, v89, v90
	;; [unrolled: 3-line block ×7, first 2 shown]
	v_add_f32_e32 v93, v89, v96
	ds_read2_b64 v[89:92], v0 offset0:45 offset1:46
	buffer_load_dword v195, off, s[0:3], 0 offset:244
	buffer_load_dword v196, off, s[0:3], 0 offset:240
	;; [unrolled: 1-line block ×8, first 2 shown]
	s_waitcnt vmcnt(51) lgkmcnt(1)
	v_mul_f32_e32 v94, v85, v151
	s_waitcnt vmcnt(50)
	v_fmac_f32_e32 v94, v86, v152
	v_mul_f32_e32 v70, v70, v135
	v_add_f32_e32 v93, v93, v94
	s_waitcnt vmcnt(49)
	v_mul_f32_e32 v94, v87, v153
	v_fma_f32 v69, v69, v143, -v70
	v_mul_f32_e32 v70, v72, v136
	s_waitcnt vmcnt(46)
	v_fmac_f32_e32 v94, v88, v156
	v_add_f32_e32 v69, 0, v69
	v_fma_f32 v70, v71, v144, -v70
	v_add_f32_e32 v93, v93, v94
	s_waitcnt vmcnt(44) lgkmcnt(0)
	v_mul_f32_e32 v94, v89, v158
	v_add_f32_e32 v69, v69, v70
	v_mul_f32_e32 v70, v74, v137
	v_fmac_f32_e32 v94, v90, v157
	v_fma_f32 v70, v73, v145, -v70
	v_add_f32_e32 v97, v93, v94
	ds_read2_b64 v[93:96], v0 offset0:47 offset1:48
	v_add_f32_e32 v69, v69, v70
	v_mul_f32_e32 v70, v76, v138
	v_fma_f32 v70, v75, v146, -v70
	s_waitcnt vmcnt(42)
	v_mul_f32_e32 v98, v91, v160
	v_add_f32_e32 v69, v69, v70
	v_mul_f32_e32 v70, v78, v139
	v_fmac_f32_e32 v98, v92, v159
	v_fma_f32 v70, v77, v147, -v70
	v_add_f32_e32 v101, v97, v98
	ds_read2_b64 v[97:100], v0 offset0:49 offset1:50
	v_add_f32_e32 v69, v69, v70
	v_mul_f32_e32 v70, v80, v140
	s_waitcnt vmcnt(40) lgkmcnt(1)
	v_mul_f32_e32 v102, v93, v162
	v_fma_f32 v70, v79, v148, -v70
	v_fmac_f32_e32 v102, v94, v161
	v_add_f32_e32 v69, v69, v70
	v_mul_f32_e32 v70, v82, v141
	v_add_f32_e32 v101, v101, v102
	s_waitcnt vmcnt(38)
	v_mul_f32_e32 v102, v95, v164
	v_fma_f32 v70, v81, v149, -v70
	v_fmac_f32_e32 v102, v96, v163
	v_add_f32_e32 v69, v69, v70
	v_mul_f32_e32 v70, v84, v142
	v_add_f32_e32 v101, v101, v102
	s_waitcnt vmcnt(36) lgkmcnt(0)
	v_mul_f32_e32 v102, v97, v166
	v_fma_f32 v70, v83, v150, -v70
	v_fmac_f32_e32 v102, v98, v165
	v_add_f32_e32 v69, v69, v70
	v_mul_f32_e32 v70, v86, v151
	v_add_f32_e32 v105, v101, v102
	ds_read2_b64 v[101:104], v0 offset0:51 offset1:52
	v_fma_f32 v70, v85, v152, -v70
	v_add_f32_e32 v69, v69, v70
	v_mul_f32_e32 v70, v88, v153
	s_waitcnt vmcnt(34)
	v_mul_f32_e32 v106, v99, v168
	v_fma_f32 v70, v87, v156, -v70
	v_fmac_f32_e32 v106, v100, v167
	v_add_f32_e32 v69, v69, v70
	v_mul_f32_e32 v70, v90, v158
	v_add_f32_e32 v109, v105, v106
	ds_read2_b64 v[105:108], v0 offset0:53 offset1:54
	v_fma_f32 v70, v89, v157, -v70
	s_waitcnt vmcnt(32) lgkmcnt(1)
	v_mul_f32_e32 v110, v101, v170
	v_add_f32_e32 v69, v69, v70
	v_mul_f32_e32 v70, v92, v160
	v_fmac_f32_e32 v110, v102, v169
	v_fma_f32 v70, v91, v159, -v70
	v_add_f32_e32 v109, v109, v110
	s_waitcnt vmcnt(30)
	v_mul_f32_e32 v110, v103, v172
	v_add_f32_e32 v69, v69, v70
	v_mul_f32_e32 v70, v94, v162
	v_fmac_f32_e32 v110, v104, v171
	v_fma_f32 v70, v93, v161, -v70
	v_add_f32_e32 v109, v109, v110
	s_waitcnt vmcnt(28) lgkmcnt(0)
	v_mul_f32_e32 v110, v105, v174
	v_add_f32_e32 v69, v69, v70
	v_mul_f32_e32 v70, v96, v164
	v_fmac_f32_e32 v110, v106, v173
	v_fma_f32 v70, v95, v163, -v70
	v_add_f32_e32 v113, v109, v110
	ds_read2_b64 v[109:112], v0 offset0:55 offset1:56
	v_add_f32_e32 v69, v69, v70
	v_mul_f32_e32 v70, v98, v166
	v_fma_f32 v70, v97, v165, -v70
	s_waitcnt vmcnt(26)
	v_mul_f32_e32 v114, v107, v176
	v_add_f32_e32 v69, v69, v70
	v_mul_f32_e32 v70, v100, v168
	v_fmac_f32_e32 v114, v108, v175
	v_fma_f32 v70, v99, v167, -v70
	v_add_f32_e32 v117, v113, v114
	ds_read2_b64 v[113:116], v0 offset0:57 offset1:58
	v_add_f32_e32 v69, v69, v70
	v_mul_f32_e32 v70, v102, v170
	s_waitcnt vmcnt(24) lgkmcnt(1)
	v_mul_f32_e32 v118, v109, v178
	v_fma_f32 v70, v101, v169, -v70
	v_fmac_f32_e32 v118, v110, v177
	v_add_f32_e32 v69, v69, v70
	v_mul_f32_e32 v70, v104, v172
	v_add_f32_e32 v117, v117, v118
	s_waitcnt vmcnt(22)
	v_mul_f32_e32 v118, v111, v180
	v_fma_f32 v70, v103, v171, -v70
	v_fmac_f32_e32 v118, v112, v179
	v_add_f32_e32 v69, v69, v70
	v_mul_f32_e32 v70, v106, v174
	v_add_f32_e32 v117, v117, v118
	s_waitcnt vmcnt(20) lgkmcnt(0)
	v_mul_f32_e32 v118, v113, v182
	v_fma_f32 v70, v105, v173, -v70
	v_fmac_f32_e32 v118, v114, v181
	v_add_f32_e32 v69, v69, v70
	v_mul_f32_e32 v70, v108, v176
	v_add_f32_e32 v121, v117, v118
	ds_read2_b64 v[117:120], v0 offset0:59 offset1:60
	v_fma_f32 v70, v107, v175, -v70
	v_add_f32_e32 v69, v69, v70
	v_mul_f32_e32 v70, v110, v178
	s_waitcnt vmcnt(18)
	v_mul_f32_e32 v122, v115, v184
	v_fma_f32 v70, v109, v177, -v70
	v_fmac_f32_e32 v122, v116, v183
	v_add_f32_e32 v69, v69, v70
	v_mul_f32_e32 v70, v112, v180
	v_add_f32_e32 v125, v121, v122
	ds_read2_b64 v[121:124], v0 offset0:61 offset1:62
	v_fma_f32 v70, v111, v179, -v70
	s_waitcnt vmcnt(16) lgkmcnt(1)
	v_mul_f32_e32 v126, v117, v186
	v_add_f32_e32 v69, v69, v70
	v_mul_f32_e32 v70, v114, v182
	v_fmac_f32_e32 v126, v118, v185
	v_fma_f32 v70, v113, v181, -v70
	v_add_f32_e32 v125, v125, v126
	s_waitcnt vmcnt(14)
	v_mul_f32_e32 v126, v119, v188
	v_add_f32_e32 v69, v69, v70
	v_mul_f32_e32 v70, v116, v184
	v_fmac_f32_e32 v126, v120, v187
	v_fma_f32 v70, v115, v183, -v70
	v_add_f32_e32 v125, v125, v126
	s_waitcnt vmcnt(12) lgkmcnt(0)
	v_mul_f32_e32 v126, v121, v190
	v_add_f32_e32 v69, v69, v70
	v_mul_f32_e32 v70, v118, v186
	v_fmac_f32_e32 v126, v122, v189
	v_fma_f32 v70, v117, v185, -v70
	v_add_f32_e32 v129, v125, v126
	ds_read2_b64 v[125:128], v0 offset0:63 offset1:64
	v_add_f32_e32 v69, v69, v70
	v_mul_f32_e32 v70, v120, v188
	v_fma_f32 v70, v119, v187, -v70
	v_add_f32_e32 v69, v69, v70
	v_mul_f32_e32 v70, v122, v190
	s_waitcnt vmcnt(10)
	v_mul_f32_e32 v130, v123, v192
	v_fma_f32 v70, v121, v189, -v70
	v_fmac_f32_e32 v130, v124, v191
	v_add_f32_e32 v69, v69, v70
	v_mul_f32_e32 v70, v124, v192
	v_add_f32_e32 v133, v129, v130
	ds_read2_b64 v[129:132], v0 offset0:65 offset1:66
	s_waitcnt vmcnt(8) lgkmcnt(1)
	v_mul_f32_e32 v134, v125, v194
	v_fma_f32 v70, v123, v191, -v70
	v_fmac_f32_e32 v134, v126, v193
	v_add_f32_e32 v69, v69, v70
	v_mul_f32_e32 v70, v126, v194
	v_add_f32_e32 v133, v133, v134
	s_waitcnt vmcnt(7)
	v_mul_f32_e32 v134, v127, v195
	v_fma_f32 v70, v125, v193, -v70
	s_waitcnt vmcnt(6)
	v_fmac_f32_e32 v134, v128, v196
	v_add_f32_e32 v69, v69, v70
	v_mul_f32_e32 v70, v128, v195
	v_add_f32_e32 v203, v133, v134
	ds_read_b64 v[133:134], v0 offset:536
	v_fma_f32 v70, v127, v196, -v70
	v_add_f32_e32 v69, v69, v70
	s_waitcnt vmcnt(4) lgkmcnt(1)
	v_mul_f32_e32 v70, v130, v198
	v_mul_f32_e32 v204, v129, v198
	v_fma_f32 v70, v129, v197, -v70
	v_fmac_f32_e32 v204, v130, v197
	v_add_f32_e32 v69, v69, v70
	s_waitcnt vmcnt(3)
	v_mul_f32_e32 v70, v132, v199
	v_add_f32_e32 v203, v203, v204
	v_mul_f32_e32 v204, v131, v199
	s_waitcnt vmcnt(2)
	v_fma_f32 v70, v131, v200, -v70
	v_fmac_f32_e32 v204, v132, v200
	v_add_f32_e32 v69, v69, v70
	s_waitcnt vmcnt(0) lgkmcnt(0)
	v_mul_f32_e32 v70, v134, v202
	v_add_f32_e32 v203, v203, v204
	v_mul_f32_e32 v204, v133, v202
	v_fma_f32 v70, v133, v201, -v70
	v_fmac_f32_e32 v204, v134, v201
	v_add_f32_e32 v69, v69, v70
	v_add_f32_e32 v203, v203, v204
	v_sub_f32_e32 v69, v154, v69
	v_sub_f32_e32 v70, v155, v203
	buffer_store_dword v69, off, s[0:3], 0
	buffer_store_dword v70, off, s[0:3], 0 offset:4
	s_cbranch_vccz .LBB97_284
; %bb.218:
	global_load_dword v0, v0, s[12:13] offset:128
	s_waitcnt vmcnt(0)
	v_add_u32_e32 v0, -1, v0
	v_cmp_ne_u32_e32 vcc, 32, v0
	s_cbranch_vccz .LBB97_220
; %bb.219:
	v_lshlrev_b32_e32 v0, 3, v0
	buffer_load_dword v69, v0, s[0:3], 0 offen
	buffer_load_dword v70, v0, s[0:3], 0 offen offset:4
	buffer_load_dword v71, off, s[0:3], 0 offset:260
	buffer_load_dword v72, off, s[0:3], 0 offset:256
	s_waitcnt vmcnt(3)
	buffer_store_dword v69, off, s[0:3], 0 offset:256
	s_waitcnt vmcnt(3)
	buffer_store_dword v70, off, s[0:3], 0 offset:260
	s_waitcnt vmcnt(3)
	buffer_store_dword v71, v0, s[0:3], 0 offen offset:4
	s_waitcnt vmcnt(3)
	buffer_store_dword v72, v0, s[0:3], 0 offen
.LBB97_220:
	v_mov_b32_e32 v0, 0
	global_load_dword v69, v0, s[12:13] offset:124
	s_waitcnt vmcnt(0)
	v_add_u32_e32 v69, -1, v69
	v_cmp_eq_u32_e32 vcc, 31, v69
	s_cbranch_vccnz .LBB97_222
; %bb.221:
	v_lshlrev_b32_e32 v69, 3, v69
	buffer_load_dword v70, v69, s[0:3], 0 offen
	buffer_load_dword v71, v69, s[0:3], 0 offen offset:4
	buffer_load_dword v72, off, s[0:3], 0 offset:248
	buffer_load_dword v73, off, s[0:3], 0 offset:252
	s_waitcnt vmcnt(3)
	buffer_store_dword v70, off, s[0:3], 0 offset:248
	s_waitcnt vmcnt(3)
	buffer_store_dword v71, off, s[0:3], 0 offset:252
	s_waitcnt vmcnt(3)
	buffer_store_dword v72, v69, s[0:3], 0 offen
	s_waitcnt vmcnt(3)
	buffer_store_dword v73, v69, s[0:3], 0 offen offset:4
.LBB97_222:
	global_load_dword v0, v0, s[12:13] offset:120
	s_waitcnt vmcnt(0)
	v_add_u32_e32 v0, -1, v0
	v_cmp_eq_u32_e32 vcc, 30, v0
	s_cbranch_vccnz .LBB97_224
; %bb.223:
	v_lshlrev_b32_e32 v0, 3, v0
	buffer_load_dword v69, v0, s[0:3], 0 offen
	buffer_load_dword v70, v0, s[0:3], 0 offen offset:4
	buffer_load_dword v71, off, s[0:3], 0 offset:244
	buffer_load_dword v72, off, s[0:3], 0 offset:240
	s_waitcnt vmcnt(3)
	buffer_store_dword v69, off, s[0:3], 0 offset:240
	s_waitcnt vmcnt(3)
	buffer_store_dword v70, off, s[0:3], 0 offset:244
	s_waitcnt vmcnt(3)
	buffer_store_dword v71, v0, s[0:3], 0 offen offset:4
	s_waitcnt vmcnt(3)
	buffer_store_dword v72, v0, s[0:3], 0 offen
.LBB97_224:
	v_mov_b32_e32 v0, 0
	global_load_dword v69, v0, s[12:13] offset:116
	s_waitcnt vmcnt(0)
	v_add_u32_e32 v69, -1, v69
	v_cmp_eq_u32_e32 vcc, 29, v69
	s_cbranch_vccnz .LBB97_226
; %bb.225:
	v_lshlrev_b32_e32 v69, 3, v69
	buffer_load_dword v70, v69, s[0:3], 0 offen
	buffer_load_dword v71, v69, s[0:3], 0 offen offset:4
	buffer_load_dword v72, off, s[0:3], 0 offset:232
	buffer_load_dword v73, off, s[0:3], 0 offset:236
	s_waitcnt vmcnt(3)
	buffer_store_dword v70, off, s[0:3], 0 offset:232
	s_waitcnt vmcnt(3)
	buffer_store_dword v71, off, s[0:3], 0 offset:236
	s_waitcnt vmcnt(3)
	buffer_store_dword v72, v69, s[0:3], 0 offen
	s_waitcnt vmcnt(3)
	buffer_store_dword v73, v69, s[0:3], 0 offen offset:4
.LBB97_226:
	global_load_dword v0, v0, s[12:13] offset:112
	s_waitcnt vmcnt(0)
	v_add_u32_e32 v0, -1, v0
	v_cmp_eq_u32_e32 vcc, 28, v0
	s_cbranch_vccnz .LBB97_228
; %bb.227:
	v_lshlrev_b32_e32 v0, 3, v0
	buffer_load_dword v69, v0, s[0:3], 0 offen
	buffer_load_dword v70, v0, s[0:3], 0 offen offset:4
	buffer_load_dword v71, off, s[0:3], 0 offset:228
	buffer_load_dword v72, off, s[0:3], 0 offset:224
	s_waitcnt vmcnt(3)
	buffer_store_dword v69, off, s[0:3], 0 offset:224
	s_waitcnt vmcnt(3)
	buffer_store_dword v70, off, s[0:3], 0 offset:228
	s_waitcnt vmcnt(3)
	buffer_store_dword v71, v0, s[0:3], 0 offen offset:4
	s_waitcnt vmcnt(3)
	buffer_store_dword v72, v0, s[0:3], 0 offen
.LBB97_228:
	;; [unrolled: 41-line block ×15, first 2 shown]
	v_mov_b32_e32 v0, 0
	global_load_dword v69, v0, s[12:13] offset:4
	s_waitcnt vmcnt(0)
	v_add_u32_e32 v69, -1, v69
	v_cmp_eq_u32_e32 vcc, 1, v69
	s_cbranch_vccnz .LBB97_282
; %bb.281:
	v_lshlrev_b32_e32 v69, 3, v69
	buffer_load_dword v70, v69, s[0:3], 0 offen
	buffer_load_dword v71, v69, s[0:3], 0 offen offset:4
	buffer_load_dword v72, off, s[0:3], 0 offset:8
	buffer_load_dword v73, off, s[0:3], 0 offset:12
	s_waitcnt vmcnt(3)
	buffer_store_dword v70, off, s[0:3], 0 offset:8
	s_waitcnt vmcnt(3)
	buffer_store_dword v71, off, s[0:3], 0 offset:12
	s_waitcnt vmcnt(3)
	buffer_store_dword v72, v69, s[0:3], 0 offen
	s_waitcnt vmcnt(3)
	buffer_store_dword v73, v69, s[0:3], 0 offen offset:4
.LBB97_282:
	global_load_dword v0, v0, s[12:13]
	s_waitcnt vmcnt(0)
	v_add_u32_e32 v0, -1, v0
	v_cmp_eq_u32_e32 vcc, 0, v0
	s_cbranch_vccnz .LBB97_284
; %bb.283:
	v_lshlrev_b32_e32 v0, 3, v0
	buffer_load_dword v69, v0, s[0:3], 0 offen
	buffer_load_dword v70, v0, s[0:3], 0 offen offset:4
	buffer_load_dword v71, off, s[0:3], 0 offset:4
	buffer_load_dword v72, off, s[0:3], 0
	s_waitcnt vmcnt(3)
	buffer_store_dword v69, off, s[0:3], 0
	s_waitcnt vmcnt(3)
	buffer_store_dword v70, off, s[0:3], 0 offset:4
	s_waitcnt vmcnt(3)
	buffer_store_dword v71, v0, s[0:3], 0 offen offset:4
	s_waitcnt vmcnt(3)
	buffer_store_dword v72, v0, s[0:3], 0 offen
.LBB97_284:
	buffer_load_dword v69, off, s[0:3], 0
	buffer_load_dword v70, off, s[0:3], 0 offset:4
	s_waitcnt vmcnt(0)
	flat_store_dwordx2 v[1:2], v[69:70]
	buffer_load_dword v0, off, s[0:3], 0 offset:8
	s_nop 0
	buffer_load_dword v1, off, s[0:3], 0 offset:12
	s_waitcnt vmcnt(0)
	flat_store_dwordx2 v[3:4], v[0:1]
	buffer_load_dword v0, off, s[0:3], 0 offset:16
	s_nop 0
	;; [unrolled: 5-line block ×33, first 2 shown]
	buffer_load_dword v1, off, s[0:3], 0 offset:268
	s_waitcnt vmcnt(0)
	flat_store_dwordx2 v[67:68], v[0:1]
	s_endpgm
	.section	.rodata,"a",@progbits
	.p2align	6, 0x0
	.amdhsa_kernel _ZN9rocsolver6v33100L18getri_kernel_smallILi34E19rocblas_complex_numIfEPKPS3_EEvT1_iilPiilS8_bb
		.amdhsa_group_segment_fixed_size 548
		.amdhsa_private_segment_fixed_size 288
		.amdhsa_kernarg_size 60
		.amdhsa_user_sgpr_count 6
		.amdhsa_user_sgpr_private_segment_buffer 1
		.amdhsa_user_sgpr_dispatch_ptr 0
		.amdhsa_user_sgpr_queue_ptr 0
		.amdhsa_user_sgpr_kernarg_segment_ptr 1
		.amdhsa_user_sgpr_dispatch_id 0
		.amdhsa_user_sgpr_flat_scratch_init 0
		.amdhsa_user_sgpr_private_segment_size 0
		.amdhsa_uses_dynamic_stack 0
		.amdhsa_system_sgpr_private_segment_wavefront_offset 1
		.amdhsa_system_sgpr_workgroup_id_x 1
		.amdhsa_system_sgpr_workgroup_id_y 0
		.amdhsa_system_sgpr_workgroup_id_z 0
		.amdhsa_system_sgpr_workgroup_info 0
		.amdhsa_system_vgpr_workitem_id 0
		.amdhsa_next_free_vgpr 205
		.amdhsa_next_free_sgpr 21
		.amdhsa_reserve_vcc 1
		.amdhsa_reserve_flat_scratch 0
		.amdhsa_float_round_mode_32 0
		.amdhsa_float_round_mode_16_64 0
		.amdhsa_float_denorm_mode_32 3
		.amdhsa_float_denorm_mode_16_64 3
		.amdhsa_dx10_clamp 1
		.amdhsa_ieee_mode 1
		.amdhsa_fp16_overflow 0
		.amdhsa_exception_fp_ieee_invalid_op 0
		.amdhsa_exception_fp_denorm_src 0
		.amdhsa_exception_fp_ieee_div_zero 0
		.amdhsa_exception_fp_ieee_overflow 0
		.amdhsa_exception_fp_ieee_underflow 0
		.amdhsa_exception_fp_ieee_inexact 0
		.amdhsa_exception_int_div_zero 0
	.end_amdhsa_kernel
	.section	.text._ZN9rocsolver6v33100L18getri_kernel_smallILi34E19rocblas_complex_numIfEPKPS3_EEvT1_iilPiilS8_bb,"axG",@progbits,_ZN9rocsolver6v33100L18getri_kernel_smallILi34E19rocblas_complex_numIfEPKPS3_EEvT1_iilPiilS8_bb,comdat
.Lfunc_end97:
	.size	_ZN9rocsolver6v33100L18getri_kernel_smallILi34E19rocblas_complex_numIfEPKPS3_EEvT1_iilPiilS8_bb, .Lfunc_end97-_ZN9rocsolver6v33100L18getri_kernel_smallILi34E19rocblas_complex_numIfEPKPS3_EEvT1_iilPiilS8_bb
                                        ; -- End function
	.set _ZN9rocsolver6v33100L18getri_kernel_smallILi34E19rocblas_complex_numIfEPKPS3_EEvT1_iilPiilS8_bb.num_vgpr, 205
	.set _ZN9rocsolver6v33100L18getri_kernel_smallILi34E19rocblas_complex_numIfEPKPS3_EEvT1_iilPiilS8_bb.num_agpr, 0
	.set _ZN9rocsolver6v33100L18getri_kernel_smallILi34E19rocblas_complex_numIfEPKPS3_EEvT1_iilPiilS8_bb.numbered_sgpr, 21
	.set _ZN9rocsolver6v33100L18getri_kernel_smallILi34E19rocblas_complex_numIfEPKPS3_EEvT1_iilPiilS8_bb.num_named_barrier, 0
	.set _ZN9rocsolver6v33100L18getri_kernel_smallILi34E19rocblas_complex_numIfEPKPS3_EEvT1_iilPiilS8_bb.private_seg_size, 288
	.set _ZN9rocsolver6v33100L18getri_kernel_smallILi34E19rocblas_complex_numIfEPKPS3_EEvT1_iilPiilS8_bb.uses_vcc, 1
	.set _ZN9rocsolver6v33100L18getri_kernel_smallILi34E19rocblas_complex_numIfEPKPS3_EEvT1_iilPiilS8_bb.uses_flat_scratch, 0
	.set _ZN9rocsolver6v33100L18getri_kernel_smallILi34E19rocblas_complex_numIfEPKPS3_EEvT1_iilPiilS8_bb.has_dyn_sized_stack, 0
	.set _ZN9rocsolver6v33100L18getri_kernel_smallILi34E19rocblas_complex_numIfEPKPS3_EEvT1_iilPiilS8_bb.has_recursion, 0
	.set _ZN9rocsolver6v33100L18getri_kernel_smallILi34E19rocblas_complex_numIfEPKPS3_EEvT1_iilPiilS8_bb.has_indirect_call, 0
	.section	.AMDGPU.csdata,"",@progbits
; Kernel info:
; codeLenInByte = 49244
; TotalNumSgprs: 25
; NumVgprs: 205
; ScratchSize: 288
; MemoryBound: 0
; FloatMode: 240
; IeeeMode: 1
; LDSByteSize: 548 bytes/workgroup (compile time only)
; SGPRBlocks: 3
; VGPRBlocks: 51
; NumSGPRsForWavesPerEU: 25
; NumVGPRsForWavesPerEU: 205
; Occupancy: 1
; WaveLimiterHint : 1
; COMPUTE_PGM_RSRC2:SCRATCH_EN: 1
; COMPUTE_PGM_RSRC2:USER_SGPR: 6
; COMPUTE_PGM_RSRC2:TRAP_HANDLER: 0
; COMPUTE_PGM_RSRC2:TGID_X_EN: 1
; COMPUTE_PGM_RSRC2:TGID_Y_EN: 0
; COMPUTE_PGM_RSRC2:TGID_Z_EN: 0
; COMPUTE_PGM_RSRC2:TIDIG_COMP_CNT: 0
	.section	.text._ZN9rocsolver6v33100L18getri_kernel_smallILi35E19rocblas_complex_numIfEPKPS3_EEvT1_iilPiilS8_bb,"axG",@progbits,_ZN9rocsolver6v33100L18getri_kernel_smallILi35E19rocblas_complex_numIfEPKPS3_EEvT1_iilPiilS8_bb,comdat
	.globl	_ZN9rocsolver6v33100L18getri_kernel_smallILi35E19rocblas_complex_numIfEPKPS3_EEvT1_iilPiilS8_bb ; -- Begin function _ZN9rocsolver6v33100L18getri_kernel_smallILi35E19rocblas_complex_numIfEPKPS3_EEvT1_iilPiilS8_bb
	.p2align	8
	.type	_ZN9rocsolver6v33100L18getri_kernel_smallILi35E19rocblas_complex_numIfEPKPS3_EEvT1_iilPiilS8_bb,@function
_ZN9rocsolver6v33100L18getri_kernel_smallILi35E19rocblas_complex_numIfEPKPS3_EEvT1_iilPiilS8_bb: ; @_ZN9rocsolver6v33100L18getri_kernel_smallILi35E19rocblas_complex_numIfEPKPS3_EEvT1_iilPiilS8_bb
; %bb.0:
	s_add_u32 s0, s0, s7
	s_addc_u32 s1, s1, 0
	v_cmp_gt_u32_e32 vcc, 35, v0
	s_and_saveexec_b64 s[8:9], vcc
	s_cbranch_execz .LBB98_154
; %bb.1:
	s_load_dword s18, s[4:5], 0x38
	s_load_dwordx2 s[12:13], s[4:5], 0x0
	s_load_dwordx4 s[8:11], s[4:5], 0x28
	s_waitcnt lgkmcnt(0)
	s_bitcmp1_b32 s18, 8
	s_cselect_b64 s[14:15], -1, 0
	s_ashr_i32 s7, s6, 31
	s_lshl_b64 s[16:17], s[6:7], 3
	s_add_u32 s12, s12, s16
	s_addc_u32 s13, s13, s17
	s_load_dwordx2 s[16:17], s[12:13], 0x0
	s_bfe_u32 s12, s18, 0x10008
	s_cmp_eq_u32 s12, 0
                                        ; implicit-def: $sgpr12_sgpr13
	s_cbranch_scc1 .LBB98_3
; %bb.2:
	s_load_dword s12, s[4:5], 0x20
	s_load_dwordx2 s[18:19], s[4:5], 0x18
	s_mul_i32 s13, s8, s7
	s_mul_hi_u32 s20, s8, s6
	s_add_i32 s20, s20, s13
	s_mul_i32 s9, s9, s6
	s_add_i32 s9, s20, s9
	s_mul_i32 s8, s8, s6
	s_waitcnt lgkmcnt(0)
	s_ashr_i32 s13, s12, 31
	s_lshl_b64 s[8:9], s[8:9], 2
	s_add_u32 s18, s18, s8
	s_addc_u32 s19, s19, s9
	s_lshl_b64 s[8:9], s[12:13], 2
	s_add_u32 s12, s18, s8
	s_addc_u32 s13, s19, s9
.LBB98_3:
	s_load_dwordx2 s[8:9], s[4:5], 0x8
	s_load_dword s18, s[4:5], 0x38
	v_lshlrev_b32_e32 v73, 3, v0
	s_waitcnt lgkmcnt(0)
	s_ashr_i32 s5, s8, 31
	s_mov_b32 s4, s8
	s_lshl_b64 s[4:5], s[4:5], 3
	s_add_u32 s4, s16, s4
	s_addc_u32 s5, s17, s5
	v_mov_b32_e32 v2, s5
	v_add_co_u32_e32 v1, vcc, s4, v73
	v_addc_co_u32_e32 v2, vcc, 0, v2, vcc
	flat_load_dwordx2 v[5:6], v[1:2]
	s_mov_b32 s16, s9
	s_ashr_i32 s17, s9, 31
	s_lshl_b64 s[16:17], s[16:17], 3
	v_mov_b32_e32 v4, s17
	v_add_co_u32_e32 v3, vcc, s16, v1
	v_addc_co_u32_e32 v4, vcc, v2, v4, vcc
	s_add_i32 s8, s9, s9
	v_add_u32_e32 v9, s8, v0
	v_ashrrev_i32_e32 v10, 31, v9
	v_mov_b32_e32 v11, s5
	v_add_u32_e32 v12, s9, v9
	v_ashrrev_i32_e32 v13, 31, v12
	v_mov_b32_e32 v14, s5
	v_mov_b32_e32 v15, s5
	;; [unrolled: 1-line block ×31, first 2 shown]
	s_bitcmp0_b32 s18, 0
	s_waitcnt vmcnt(0) lgkmcnt(0)
	buffer_store_dword v6, off, s[0:3], 0 offset:4
	buffer_store_dword v5, off, s[0:3], 0
	flat_load_dwordx2 v[7:8], v[3:4]
	v_lshlrev_b64 v[5:6], 3, v[9:10]
	s_waitcnt vmcnt(0) lgkmcnt(0)
	buffer_store_dword v8, off, s[0:3], 0 offset:12
	buffer_store_dword v7, off, s[0:3], 0 offset:8
	v_add_co_u32_e32 v5, vcc, s4, v5
	v_addc_co_u32_e32 v6, vcc, v11, v6, vcc
	flat_load_dwordx2 v[10:11], v[5:6]
	v_lshlrev_b64 v[7:8], 3, v[12:13]
	s_waitcnt vmcnt(0) lgkmcnt(0)
	buffer_store_dword v11, off, s[0:3], 0 offset:20
	buffer_store_dword v10, off, s[0:3], 0 offset:16
	v_add_co_u32_e32 v7, vcc, s4, v7
	v_addc_co_u32_e32 v8, vcc, v14, v8, vcc
	flat_load_dwordx2 v[13:14], v[7:8]
	v_add_u32_e32 v11, s9, v12
	v_ashrrev_i32_e32 v12, 31, v11
	v_lshlrev_b64 v[9:10], 3, v[11:12]
	s_waitcnt vmcnt(0) lgkmcnt(0)
	buffer_store_dword v14, off, s[0:3], 0 offset:28
	buffer_store_dword v13, off, s[0:3], 0 offset:24
	v_add_co_u32_e32 v9, vcc, s4, v9
	v_addc_co_u32_e32 v10, vcc, v15, v10, vcc
	flat_load_dwordx2 v[13:14], v[9:10]
	v_add_u32_e32 v15, s9, v11
	v_ashrrev_i32_e32 v16, 31, v15
	v_lshlrev_b64 v[11:12], 3, v[15:16]
	v_add_u32_e32 v18, s9, v15
	v_add_co_u32_e32 v11, vcc, s4, v11
	v_addc_co_u32_e32 v12, vcc, v17, v12, vcc
	v_ashrrev_i32_e32 v19, 31, v18
	s_waitcnt vmcnt(0) lgkmcnt(0)
	buffer_store_dword v14, off, s[0:3], 0 offset:36
	buffer_store_dword v13, off, s[0:3], 0 offset:32
	flat_load_dwordx2 v[16:17], v[11:12]
	v_lshlrev_b64 v[13:14], 3, v[18:19]
	s_waitcnt vmcnt(0) lgkmcnt(0)
	buffer_store_dword v17, off, s[0:3], 0 offset:44
	buffer_store_dword v16, off, s[0:3], 0 offset:40
	v_add_co_u32_e32 v13, vcc, s4, v13
	v_addc_co_u32_e32 v14, vcc, v20, v14, vcc
	flat_load_dwordx2 v[19:20], v[13:14]
	v_add_u32_e32 v17, s9, v18
	v_ashrrev_i32_e32 v18, 31, v17
	v_lshlrev_b64 v[15:16], 3, v[17:18]
	s_waitcnt vmcnt(0) lgkmcnt(0)
	buffer_store_dword v20, off, s[0:3], 0 offset:52
	buffer_store_dword v19, off, s[0:3], 0 offset:48
	v_add_co_u32_e32 v15, vcc, s4, v15
	v_addc_co_u32_e32 v16, vcc, v21, v16, vcc
	flat_load_dwordx2 v[19:20], v[15:16]
	v_add_u32_e32 v21, s9, v17
	v_ashrrev_i32_e32 v22, 31, v21
	v_lshlrev_b64 v[17:18], 3, v[21:22]
	v_add_u32_e32 v24, s9, v21
	v_add_co_u32_e32 v17, vcc, s4, v17
	v_addc_co_u32_e32 v18, vcc, v23, v18, vcc
	v_ashrrev_i32_e32 v25, 31, v24
	s_waitcnt vmcnt(0) lgkmcnt(0)
	buffer_store_dword v20, off, s[0:3], 0 offset:60
	buffer_store_dword v19, off, s[0:3], 0 offset:56
	;; [unrolled: 27-line block ×7, first 2 shown]
	flat_load_dwordx2 v[52:53], v[47:48]
	v_lshlrev_b64 v[49:50], 3, v[54:55]
	s_waitcnt vmcnt(0) lgkmcnt(0)
	buffer_store_dword v53, off, s[0:3], 0 offset:188
	buffer_store_dword v52, off, s[0:3], 0 offset:184
	v_add_co_u32_e32 v49, vcc, s4, v49
	v_addc_co_u32_e32 v50, vcc, v56, v50, vcc
	flat_load_dwordx2 v[55:56], v[49:50]
	v_add_u32_e32 v53, s9, v54
	v_ashrrev_i32_e32 v54, 31, v53
	v_lshlrev_b64 v[51:52], 3, v[53:54]
	s_waitcnt vmcnt(0) lgkmcnt(0)
	buffer_store_dword v56, off, s[0:3], 0 offset:196
	buffer_store_dword v55, off, s[0:3], 0 offset:192
	v_add_co_u32_e32 v51, vcc, s4, v51
	v_addc_co_u32_e32 v52, vcc, v57, v52, vcc
	flat_load_dwordx2 v[55:56], v[51:52]
	v_add_u32_e32 v57, s9, v53
	v_ashrrev_i32_e32 v58, 31, v57
	v_lshlrev_b64 v[53:54], 3, v[57:58]
	v_add_u32_e32 v60, s9, v57
	v_add_co_u32_e32 v53, vcc, s4, v53
	v_addc_co_u32_e32 v54, vcc, v59, v54, vcc
	s_waitcnt vmcnt(0) lgkmcnt(0)
	buffer_store_dword v56, off, s[0:3], 0 offset:204
	buffer_store_dword v55, off, s[0:3], 0 offset:200
	flat_load_dwordx2 v[58:59], v[53:54]
	v_ashrrev_i32_e32 v61, 31, v60
	v_lshlrev_b64 v[55:56], 3, v[60:61]
	s_waitcnt vmcnt(0) lgkmcnt(0)
	buffer_store_dword v59, off, s[0:3], 0 offset:212
	buffer_store_dword v58, off, s[0:3], 0 offset:208
	v_add_co_u32_e32 v55, vcc, s4, v55
	v_addc_co_u32_e32 v56, vcc, v62, v56, vcc
	flat_load_dwordx2 v[61:62], v[55:56]
	v_add_u32_e32 v59, s9, v60
	v_ashrrev_i32_e32 v60, 31, v59
	v_lshlrev_b64 v[57:58], 3, v[59:60]
	s_waitcnt vmcnt(0) lgkmcnt(0)
	buffer_store_dword v62, off, s[0:3], 0 offset:220
	buffer_store_dword v61, off, s[0:3], 0 offset:216
	v_add_co_u32_e32 v57, vcc, s4, v57
	v_addc_co_u32_e32 v58, vcc, v63, v58, vcc
	flat_load_dwordx2 v[61:62], v[57:58]
	v_add_u32_e32 v63, s9, v59
	;; [unrolled: 9-line block ×7, first 2 shown]
	v_ashrrev_i32_e32 v70, 31, v69
	v_lshlrev_b64 v[69:70], 3, v[69:70]
	v_mov_b32_e32 v75, s5
	v_add_co_u32_e32 v69, vcc, s4, v69
	v_addc_co_u32_e32 v70, vcc, v75, v70, vcc
	s_waitcnt vmcnt(0) lgkmcnt(0)
	buffer_store_dword v72, off, s[0:3], 0 offset:268
	buffer_store_dword v71, off, s[0:3], 0 offset:264
	flat_load_dwordx2 v[71:72], v[69:70]
	s_mov_b64 s[8:9], -1
	s_waitcnt vmcnt(0) lgkmcnt(0)
	buffer_store_dword v72, off, s[0:3], 0 offset:276
	buffer_store_dword v71, off, s[0:3], 0 offset:272
	s_cbranch_scc1 .LBB98_152
; %bb.4:
	v_cmp_eq_u32_e64 s[4:5], 0, v0
	s_and_saveexec_b64 s[8:9], s[4:5]
; %bb.5:
	v_mov_b32_e32 v71, 0
	ds_write_b32 v71, v71 offset:280
; %bb.6:
	s_or_b64 exec, exec, s[8:9]
	v_mov_b32_e32 v71, 0
	v_lshl_add_u32 v75, v0, 3, v71
	s_waitcnt lgkmcnt(0)
	; wave barrier
	buffer_load_dword v71, v75, s[0:3], 0 offen
	buffer_load_dword v72, v75, s[0:3], 0 offen offset:4
	s_waitcnt vmcnt(1)
	v_cmp_eq_f32_e32 vcc, 0, v71
	s_waitcnt vmcnt(0)
	v_cmp_eq_f32_e64 s[8:9], 0, v72
	s_and_b64 s[8:9], vcc, s[8:9]
	s_and_saveexec_b64 s[16:17], s[8:9]
	s_cbranch_execz .LBB98_10
; %bb.7:
	v_mov_b32_e32 v71, 0
	ds_read_b32 v74, v71 offset:280
	v_add_u32_e32 v72, 1, v0
	s_waitcnt lgkmcnt(0)
	v_readfirstlane_b32 s8, v74
	s_cmp_eq_u32 s8, 0
	s_cselect_b64 s[18:19], -1, 0
	v_cmp_gt_i32_e32 vcc, s8, v72
	s_or_b64 s[18:19], s[18:19], vcc
	s_and_b64 exec, exec, s[18:19]
	s_cbranch_execz .LBB98_10
; %bb.8:
	s_mov_b64 s[18:19], 0
	v_mov_b32_e32 v74, s8
.LBB98_9:                               ; =>This Inner Loop Header: Depth=1
	ds_cmpst_rtn_b32 v74, v71, v74, v72 offset:280
	s_waitcnt lgkmcnt(0)
	v_cmp_ne_u32_e32 vcc, 0, v74
	v_cmp_le_i32_e64 s[8:9], v74, v72
	s_and_b64 s[8:9], vcc, s[8:9]
	s_and_b64 s[8:9], exec, s[8:9]
	s_or_b64 s[18:19], s[8:9], s[18:19]
	s_andn2_b64 exec, exec, s[18:19]
	s_cbranch_execnz .LBB98_9
.LBB98_10:
	s_or_b64 exec, exec, s[16:17]
	v_mov_b32_e32 v72, 0
	; wave barrier
	ds_read_b32 v71, v72 offset:280
	s_and_saveexec_b64 s[8:9], s[4:5]
	s_cbranch_execz .LBB98_12
; %bb.11:
	s_lshl_b64 s[16:17], s[6:7], 2
	s_add_u32 s16, s10, s16
	s_addc_u32 s17, s11, s17
	s_waitcnt lgkmcnt(0)
	global_store_dword v72, v71, s[16:17]
.LBB98_12:
	s_or_b64 exec, exec, s[8:9]
	s_waitcnt lgkmcnt(0)
	v_cmp_ne_u32_e32 vcc, 0, v71
	s_mov_b64 s[8:9], 0
	s_cbranch_vccnz .LBB98_152
; %bb.13:
	buffer_load_dword v72, v75, s[0:3], 0 offen
	buffer_load_dword v74, v75, s[0:3], 0 offen offset:4
                                        ; implicit-def: $vgpr77
                                        ; implicit-def: $vgpr76
                                        ; implicit-def: $vgpr71
	s_waitcnt vmcnt(0)
	v_cmp_ngt_f32_e64 s[8:9], |v72|, |v74|
	s_and_saveexec_b64 s[16:17], s[8:9]
	s_xor_b64 s[8:9], exec, s[16:17]
	s_cbranch_execz .LBB98_15
; %bb.14:
	v_div_scale_f32 v71, s[16:17], v74, v74, v72
	v_div_scale_f32 v76, vcc, v72, v74, v72
	v_rcp_f32_e32 v77, v71
	v_fma_f32 v78, -v71, v77, 1.0
	v_fmac_f32_e32 v77, v78, v77
	v_mul_f32_e32 v78, v76, v77
	v_fma_f32 v79, -v71, v78, v76
	v_fmac_f32_e32 v78, v79, v77
	v_fma_f32 v71, -v71, v78, v76
	v_div_fmas_f32 v71, v71, v77, v78
	v_div_fixup_f32 v71, v71, v74, v72
	v_fmac_f32_e32 v74, v72, v71
	v_div_scale_f32 v72, s[16:17], v74, v74, 1.0
	v_div_scale_f32 v76, vcc, 1.0, v74, 1.0
	v_rcp_f32_e32 v77, v72
	v_fma_f32 v78, -v72, v77, 1.0
	v_fmac_f32_e32 v77, v78, v77
	v_mul_f32_e32 v78, v76, v77
	v_fma_f32 v79, -v72, v78, v76
	v_fmac_f32_e32 v78, v79, v77
	v_fma_f32 v72, -v72, v78, v76
	v_div_fmas_f32 v72, v72, v77, v78
	v_div_fixup_f32 v72, v72, v74, 1.0
	v_mul_f32_e32 v77, v71, v72
	v_xor_b32_e32 v76, 0x80000000, v72
	v_xor_b32_e32 v71, 0x80000000, v77
                                        ; implicit-def: $vgpr72
                                        ; implicit-def: $vgpr74
.LBB98_15:
	s_andn2_saveexec_b64 s[8:9], s[8:9]
	s_cbranch_execz .LBB98_17
; %bb.16:
	v_div_scale_f32 v71, s[16:17], v72, v72, v74
	v_div_scale_f32 v76, vcc, v74, v72, v74
	v_rcp_f32_e32 v77, v71
	v_fma_f32 v78, -v71, v77, 1.0
	v_fmac_f32_e32 v77, v78, v77
	v_mul_f32_e32 v78, v76, v77
	v_fma_f32 v79, -v71, v78, v76
	v_fmac_f32_e32 v78, v79, v77
	v_fma_f32 v71, -v71, v78, v76
	v_div_fmas_f32 v71, v71, v77, v78
	v_div_fixup_f32 v76, v71, v72, v74
	v_fmac_f32_e32 v72, v74, v76
	v_div_scale_f32 v71, s[16:17], v72, v72, 1.0
	v_div_scale_f32 v74, vcc, 1.0, v72, 1.0
	v_rcp_f32_e32 v77, v71
	v_fma_f32 v78, -v71, v77, 1.0
	v_fmac_f32_e32 v77, v78, v77
	v_mul_f32_e32 v78, v74, v77
	v_fma_f32 v79, -v71, v78, v74
	v_fmac_f32_e32 v78, v79, v77
	v_fma_f32 v71, -v71, v78, v74
	v_div_fmas_f32 v71, v71, v77, v78
	v_div_fixup_f32 v77, v71, v72, 1.0
	v_xor_b32_e32 v71, 0x80000000, v77
	v_mul_f32_e64 v76, v76, -v77
.LBB98_17:
	s_or_b64 exec, exec, s[8:9]
	buffer_store_dword v77, v75, s[0:3], 0 offen
	buffer_store_dword v76, v75, s[0:3], 0 offen offset:4
	buffer_load_dword v78, off, s[0:3], 0 offset:12
	s_nop 0
	buffer_load_dword v77, off, s[0:3], 0 offset:8
	v_xor_b32_e32 v72, 0x80000000, v76
	v_add_u32_e32 v74, 0x120, v73
	s_waitcnt vmcnt(0)
	ds_write2_b64 v73, v[71:72], v[77:78] offset1:36
	s_waitcnt lgkmcnt(0)
	; wave barrier
	s_and_saveexec_b64 s[8:9], s[4:5]
	s_cbranch_execz .LBB98_19
; %bb.18:
	buffer_load_dword v78, v75, s[0:3], 0 offen offset:4
	buffer_load_dword v79, v75, s[0:3], 0 offen
	ds_read_b64 v[71:72], v74
	v_mov_b32_e32 v76, 0
	ds_read_b64 v[76:77], v76 offset:8
	s_waitcnt vmcnt(1) lgkmcnt(1)
	v_mul_f32_e32 v80, v72, v78
	v_mul_f32_e32 v78, v71, v78
	s_waitcnt vmcnt(0)
	v_fmac_f32_e32 v78, v72, v79
	v_fma_f32 v71, v71, v79, -v80
	v_add_f32_e32 v72, 0, v78
	v_add_f32_e32 v71, 0, v71
	s_waitcnt lgkmcnt(0)
	v_mul_f32_e32 v78, v72, v77
	v_mul_f32_e32 v77, v71, v77
	v_fma_f32 v71, v71, v76, -v78
	v_fmac_f32_e32 v77, v72, v76
	buffer_store_dword v71, off, s[0:3], 0 offset:8
	buffer_store_dword v77, off, s[0:3], 0 offset:12
.LBB98_19:
	s_or_b64 exec, exec, s[8:9]
	; wave barrier
	buffer_load_dword v71, off, s[0:3], 0 offset:16
	buffer_load_dword v72, off, s[0:3], 0 offset:20
	v_cmp_gt_u32_e32 vcc, 2, v0
	s_waitcnt vmcnt(0)
	ds_write_b64 v74, v[71:72]
	s_waitcnt lgkmcnt(0)
	; wave barrier
	s_and_saveexec_b64 s[8:9], vcc
	s_cbranch_execz .LBB98_23
; %bb.20:
	buffer_load_dword v76, v75, s[0:3], 0 offen offset:4
	buffer_load_dword v77, v75, s[0:3], 0 offen
	ds_read_b64 v[71:72], v74
	s_waitcnt vmcnt(1) lgkmcnt(0)
	v_mul_f32_e32 v75, v72, v76
	v_mul_f32_e32 v76, v71, v76
	s_waitcnt vmcnt(0)
	v_fma_f32 v71, v71, v77, -v75
	v_fmac_f32_e32 v76, v72, v77
	v_add_f32_e32 v72, 0, v71
	v_add_f32_e32 v71, 0, v76
	s_and_saveexec_b64 s[16:17], s[4:5]
	s_cbranch_execz .LBB98_22
; %bb.21:
	buffer_load_dword v77, off, s[0:3], 0 offset:12
	buffer_load_dword v78, off, s[0:3], 0 offset:8
	v_mov_b32_e32 v75, 0
	ds_read_b64 v[75:76], v75 offset:296
	s_waitcnt vmcnt(1) lgkmcnt(0)
	v_mul_f32_e32 v79, v75, v77
	v_mul_f32_e32 v77, v76, v77
	s_waitcnt vmcnt(0)
	v_fmac_f32_e32 v79, v76, v78
	v_fma_f32 v75, v75, v78, -v77
	v_add_f32_e32 v71, v71, v79
	v_add_f32_e32 v72, v72, v75
.LBB98_22:
	s_or_b64 exec, exec, s[16:17]
	v_mov_b32_e32 v75, 0
	ds_read_b64 v[75:76], v75 offset:16
	s_waitcnt lgkmcnt(0)
	v_mul_f32_e32 v77, v71, v76
	v_mul_f32_e32 v76, v72, v76
	v_fma_f32 v72, v72, v75, -v77
	v_fmac_f32_e32 v76, v71, v75
	buffer_store_dword v72, off, s[0:3], 0 offset:16
	buffer_store_dword v76, off, s[0:3], 0 offset:20
.LBB98_23:
	s_or_b64 exec, exec, s[8:9]
	; wave barrier
	buffer_load_dword v71, off, s[0:3], 0 offset:24
	buffer_load_dword v72, off, s[0:3], 0 offset:28
	v_cmp_gt_u32_e32 vcc, 3, v0
	s_waitcnt vmcnt(0)
	ds_write_b64 v74, v[71:72]
	v_add_u32_e32 v71, -1, v0
	s_waitcnt lgkmcnt(0)
	; wave barrier
	s_and_saveexec_b64 s[4:5], vcc
	s_cbranch_execz .LBB98_27
; %bb.24:
	v_add_u32_e32 v75, -1, v0
	v_add_u32_e32 v76, 0x120, v73
	v_mov_b32_e32 v77, v73
	v_mov_b32_e32 v72, 0
	s_mov_b64 s[8:9], 0
	v_mov_b32_e32 v78, 0
.LBB98_25:                              ; =>This Inner Loop Header: Depth=1
	buffer_load_dword v81, v77, s[0:3], 0 offen offset:4
	buffer_load_dword v82, v77, s[0:3], 0 offen
	ds_read_b64 v[79:80], v76
	v_add_u32_e32 v75, 1, v75
	v_cmp_lt_u32_e32 vcc, 1, v75
	v_add_u32_e32 v76, 8, v76
	v_add_u32_e32 v77, 8, v77
	s_or_b64 s[8:9], vcc, s[8:9]
	s_waitcnt vmcnt(1) lgkmcnt(0)
	v_mul_f32_e32 v83, v80, v81
	v_mul_f32_e32 v81, v79, v81
	s_waitcnt vmcnt(0)
	v_fma_f32 v79, v79, v82, -v83
	v_fmac_f32_e32 v81, v80, v82
	v_add_f32_e32 v78, v78, v79
	v_add_f32_e32 v72, v72, v81
	s_andn2_b64 exec, exec, s[8:9]
	s_cbranch_execnz .LBB98_25
; %bb.26:
	s_or_b64 exec, exec, s[8:9]
	v_mov_b32_e32 v75, 0
	ds_read_b64 v[75:76], v75 offset:24
	s_waitcnt lgkmcnt(0)
	v_mul_f32_e32 v77, v72, v76
	v_mul_f32_e32 v76, v78, v76
	v_fma_f32 v77, v78, v75, -v77
	v_fmac_f32_e32 v76, v72, v75
	buffer_store_dword v77, off, s[0:3], 0 offset:24
	buffer_store_dword v76, off, s[0:3], 0 offset:28
.LBB98_27:
	s_or_b64 exec, exec, s[4:5]
	; wave barrier
	buffer_load_dword v75, off, s[0:3], 0 offset:32
	buffer_load_dword v76, off, s[0:3], 0 offset:36
	v_cmp_gt_u32_e32 vcc, 4, v0
	s_waitcnt vmcnt(0)
	ds_write_b64 v74, v[75:76]
	s_waitcnt lgkmcnt(0)
	; wave barrier
	s_and_saveexec_b64 s[4:5], vcc
	s_cbranch_execz .LBB98_31
; %bb.28:
	v_add_u32_e32 v75, -1, v0
	v_add_u32_e32 v76, 0x120, v73
	v_mov_b32_e32 v77, v73
	v_mov_b32_e32 v72, 0
	s_mov_b64 s[8:9], 0
	v_mov_b32_e32 v78, 0
.LBB98_29:                              ; =>This Inner Loop Header: Depth=1
	buffer_load_dword v81, v77, s[0:3], 0 offen offset:4
	buffer_load_dword v82, v77, s[0:3], 0 offen
	ds_read_b64 v[79:80], v76
	v_add_u32_e32 v75, 1, v75
	v_cmp_lt_u32_e32 vcc, 2, v75
	v_add_u32_e32 v76, 8, v76
	v_add_u32_e32 v77, 8, v77
	s_or_b64 s[8:9], vcc, s[8:9]
	s_waitcnt vmcnt(1) lgkmcnt(0)
	v_mul_f32_e32 v83, v80, v81
	v_mul_f32_e32 v81, v79, v81
	s_waitcnt vmcnt(0)
	v_fma_f32 v79, v79, v82, -v83
	v_fmac_f32_e32 v81, v80, v82
	v_add_f32_e32 v78, v78, v79
	v_add_f32_e32 v72, v72, v81
	s_andn2_b64 exec, exec, s[8:9]
	s_cbranch_execnz .LBB98_29
; %bb.30:
	s_or_b64 exec, exec, s[8:9]
	v_mov_b32_e32 v75, 0
	ds_read_b64 v[75:76], v75 offset:32
	s_waitcnt lgkmcnt(0)
	v_mul_f32_e32 v77, v72, v76
	v_mul_f32_e32 v76, v78, v76
	v_fma_f32 v77, v78, v75, -v77
	v_fmac_f32_e32 v76, v72, v75
	buffer_store_dword v77, off, s[0:3], 0 offset:32
	buffer_store_dword v76, off, s[0:3], 0 offset:36
.LBB98_31:
	s_or_b64 exec, exec, s[4:5]
	; wave barrier
	buffer_load_dword v75, off, s[0:3], 0 offset:40
	buffer_load_dword v76, off, s[0:3], 0 offset:44
	v_cmp_gt_u32_e32 vcc, 5, v0
	s_waitcnt vmcnt(0)
	ds_write_b64 v74, v[75:76]
	;; [unrolled: 49-line block ×19, first 2 shown]
	s_waitcnt lgkmcnt(0)
	; wave barrier
	s_and_saveexec_b64 s[4:5], vcc
	s_cbranch_execz .LBB98_103
; %bb.100:
	v_add_u32_e32 v75, -1, v0
	v_add_u32_e32 v76, 0x120, v73
	v_mov_b32_e32 v77, v73
	v_mov_b32_e32 v72, 0
	s_mov_b64 s[8:9], 0
	v_mov_b32_e32 v78, 0
.LBB98_101:                             ; =>This Inner Loop Header: Depth=1
	buffer_load_dword v81, v77, s[0:3], 0 offen offset:4
	buffer_load_dword v82, v77, s[0:3], 0 offen
	ds_read_b64 v[79:80], v76
	v_add_u32_e32 v75, 1, v75
	v_cmp_lt_u32_e32 vcc, 20, v75
	v_add_u32_e32 v76, 8, v76
	v_add_u32_e32 v77, 8, v77
	s_or_b64 s[8:9], vcc, s[8:9]
	s_waitcnt vmcnt(1) lgkmcnt(0)
	v_mul_f32_e32 v83, v80, v81
	v_mul_f32_e32 v81, v79, v81
	s_waitcnt vmcnt(0)
	v_fma_f32 v79, v79, v82, -v83
	v_fmac_f32_e32 v81, v80, v82
	v_add_f32_e32 v78, v78, v79
	v_add_f32_e32 v72, v72, v81
	s_andn2_b64 exec, exec, s[8:9]
	s_cbranch_execnz .LBB98_101
; %bb.102:
	s_or_b64 exec, exec, s[8:9]
	v_mov_b32_e32 v75, 0
	ds_read_b64 v[75:76], v75 offset:176
	s_waitcnt lgkmcnt(0)
	v_mul_f32_e32 v77, v72, v76
	v_mul_f32_e32 v76, v78, v76
	v_fma_f32 v77, v78, v75, -v77
	v_fmac_f32_e32 v76, v72, v75
	buffer_store_dword v77, off, s[0:3], 0 offset:176
	buffer_store_dword v76, off, s[0:3], 0 offset:180
.LBB98_103:
	s_or_b64 exec, exec, s[4:5]
	; wave barrier
	buffer_load_dword v75, off, s[0:3], 0 offset:184
	buffer_load_dword v76, off, s[0:3], 0 offset:188
	v_cmp_gt_u32_e32 vcc, 23, v0
	s_waitcnt vmcnt(0)
	ds_write_b64 v74, v[75:76]
	s_waitcnt lgkmcnt(0)
	; wave barrier
	s_and_saveexec_b64 s[4:5], vcc
	s_cbranch_execz .LBB98_107
; %bb.104:
	v_add_u32_e32 v75, -1, v0
	v_add_u32_e32 v76, 0x120, v73
	v_mov_b32_e32 v77, v73
	v_mov_b32_e32 v72, 0
	s_mov_b64 s[8:9], 0
	v_mov_b32_e32 v78, 0
.LBB98_105:                             ; =>This Inner Loop Header: Depth=1
	buffer_load_dword v81, v77, s[0:3], 0 offen offset:4
	buffer_load_dword v82, v77, s[0:3], 0 offen
	ds_read_b64 v[79:80], v76
	v_add_u32_e32 v75, 1, v75
	v_cmp_lt_u32_e32 vcc, 21, v75
	v_add_u32_e32 v76, 8, v76
	v_add_u32_e32 v77, 8, v77
	s_or_b64 s[8:9], vcc, s[8:9]
	s_waitcnt vmcnt(1) lgkmcnt(0)
	v_mul_f32_e32 v83, v80, v81
	v_mul_f32_e32 v81, v79, v81
	s_waitcnt vmcnt(0)
	v_fma_f32 v79, v79, v82, -v83
	v_fmac_f32_e32 v81, v80, v82
	v_add_f32_e32 v78, v78, v79
	v_add_f32_e32 v72, v72, v81
	s_andn2_b64 exec, exec, s[8:9]
	s_cbranch_execnz .LBB98_105
; %bb.106:
	s_or_b64 exec, exec, s[8:9]
	v_mov_b32_e32 v75, 0
	ds_read_b64 v[75:76], v75 offset:184
	s_waitcnt lgkmcnt(0)
	v_mul_f32_e32 v77, v72, v76
	v_mul_f32_e32 v76, v78, v76
	v_fma_f32 v77, v78, v75, -v77
	v_fmac_f32_e32 v76, v72, v75
	buffer_store_dword v77, off, s[0:3], 0 offset:184
	buffer_store_dword v76, off, s[0:3], 0 offset:188
.LBB98_107:
	s_or_b64 exec, exec, s[4:5]
	; wave barrier
	buffer_load_dword v75, off, s[0:3], 0 offset:192
	buffer_load_dword v76, off, s[0:3], 0 offset:196
	v_cmp_gt_u32_e32 vcc, 24, v0
	s_waitcnt vmcnt(0)
	ds_write_b64 v74, v[75:76]
	;; [unrolled: 49-line block ×11, first 2 shown]
	s_waitcnt lgkmcnt(0)
	; wave barrier
	s_and_saveexec_b64 s[4:5], vcc
	s_cbranch_execz .LBB98_147
; %bb.144:
	v_add_u32_e32 v75, -1, v0
	v_add_u32_e32 v76, 0x120, v73
	v_mov_b32_e32 v77, v73
	v_mov_b32_e32 v72, 0
	s_mov_b64 s[8:9], 0
	v_mov_b32_e32 v78, 0
.LBB98_145:                             ; =>This Inner Loop Header: Depth=1
	buffer_load_dword v81, v77, s[0:3], 0 offen offset:4
	buffer_load_dword v82, v77, s[0:3], 0 offen
	ds_read_b64 v[79:80], v76
	v_add_u32_e32 v75, 1, v75
	v_cmp_lt_u32_e32 vcc, 31, v75
	v_add_u32_e32 v76, 8, v76
	v_add_u32_e32 v77, 8, v77
	s_or_b64 s[8:9], vcc, s[8:9]
	s_waitcnt vmcnt(1) lgkmcnt(0)
	v_mul_f32_e32 v83, v80, v81
	v_mul_f32_e32 v81, v79, v81
	s_waitcnt vmcnt(0)
	v_fma_f32 v79, v79, v82, -v83
	v_fmac_f32_e32 v81, v80, v82
	v_add_f32_e32 v78, v78, v79
	v_add_f32_e32 v72, v72, v81
	s_andn2_b64 exec, exec, s[8:9]
	s_cbranch_execnz .LBB98_145
; %bb.146:
	s_or_b64 exec, exec, s[8:9]
	v_mov_b32_e32 v75, 0
	ds_read_b64 v[75:76], v75 offset:264
	s_waitcnt lgkmcnt(0)
	v_mul_f32_e32 v77, v72, v76
	v_mul_f32_e32 v76, v78, v76
	v_fma_f32 v77, v78, v75, -v77
	v_fmac_f32_e32 v76, v72, v75
	buffer_store_dword v77, off, s[0:3], 0 offset:264
	buffer_store_dword v76, off, s[0:3], 0 offset:268
.LBB98_147:
	s_or_b64 exec, exec, s[4:5]
	; wave barrier
	buffer_load_dword v75, off, s[0:3], 0 offset:272
	buffer_load_dword v76, off, s[0:3], 0 offset:276
	v_cmp_ne_u32_e32 vcc, 34, v0
	s_waitcnt vmcnt(0)
	ds_write_b64 v74, v[75:76]
	s_waitcnt lgkmcnt(0)
	; wave barrier
	s_and_saveexec_b64 s[4:5], vcc
	s_cbranch_execz .LBB98_151
; %bb.148:
	v_add_u32_e32 v74, 0x120, v73
	v_mov_b32_e32 v72, 0
	s_mov_b64 s[8:9], 0
	v_mov_b32_e32 v75, 0
.LBB98_149:                             ; =>This Inner Loop Header: Depth=1
	buffer_load_dword v78, v73, s[0:3], 0 offen offset:4
	buffer_load_dword v79, v73, s[0:3], 0 offen
	ds_read_b64 v[76:77], v74
	v_add_u32_e32 v71, 1, v71
	v_cmp_lt_u32_e32 vcc, 32, v71
	v_add_u32_e32 v74, 8, v74
	v_add_u32_e32 v73, 8, v73
	s_or_b64 s[8:9], vcc, s[8:9]
	s_waitcnt vmcnt(1) lgkmcnt(0)
	v_mul_f32_e32 v80, v77, v78
	v_mul_f32_e32 v78, v76, v78
	s_waitcnt vmcnt(0)
	v_fma_f32 v76, v76, v79, -v80
	v_fmac_f32_e32 v78, v77, v79
	v_add_f32_e32 v75, v75, v76
	v_add_f32_e32 v72, v72, v78
	s_andn2_b64 exec, exec, s[8:9]
	s_cbranch_execnz .LBB98_149
; %bb.150:
	s_or_b64 exec, exec, s[8:9]
	v_mov_b32_e32 v71, 0
	ds_read_b64 v[73:74], v71 offset:272
	s_waitcnt lgkmcnt(0)
	v_mul_f32_e32 v71, v72, v74
	v_mul_f32_e32 v74, v75, v74
	v_fma_f32 v71, v75, v73, -v71
	v_fmac_f32_e32 v74, v72, v73
	buffer_store_dword v71, off, s[0:3], 0 offset:272
	buffer_store_dword v74, off, s[0:3], 0 offset:276
.LBB98_151:
	s_or_b64 exec, exec, s[4:5]
	s_mov_b64 s[8:9], -1
	; wave barrier
.LBB98_152:
	s_and_b64 vcc, exec, s[8:9]
	s_cbranch_vccz .LBB98_154
; %bb.153:
	s_lshl_b64 s[4:5], s[6:7], 2
	s_add_u32 s4, s10, s4
	s_addc_u32 s5, s11, s5
	v_mov_b32_e32 v71, 0
	global_load_dword v71, v71, s[4:5]
	s_waitcnt vmcnt(0)
	v_cmp_ne_u32_e32 vcc, 0, v71
	s_cbranch_vccz .LBB98_155
.LBB98_154:
	s_endpgm
.LBB98_155:
	v_mov_b32_e32 v71, 0x120
	v_lshl_add_u32 v71, v0, 3, v71
	v_cmp_eq_u32_e32 vcc, 34, v0
	s_and_saveexec_b64 s[4:5], vcc
	s_cbranch_execz .LBB98_157
; %bb.156:
	buffer_load_dword v72, off, s[0:3], 0 offset:264
	buffer_load_dword v73, off, s[0:3], 0 offset:268
	v_mov_b32_e32 v74, 0
	buffer_store_dword v74, off, s[0:3], 0 offset:264
	buffer_store_dword v74, off, s[0:3], 0 offset:268
	s_waitcnt vmcnt(2)
	ds_write_b64 v71, v[72:73]
.LBB98_157:
	s_or_b64 exec, exec, s[4:5]
	s_waitcnt lgkmcnt(0)
	; wave barrier
	buffer_load_dword v75, off, s[0:3], 0 offset:276
	buffer_load_dword v76, off, s[0:3], 0 offset:272
	;; [unrolled: 1-line block ×4, first 2 shown]
	v_mov_b32_e32 v72, 0
	ds_read_b64 v[73:74], v72 offset:560
	v_cmp_lt_u32_e32 vcc, 32, v0
	s_waitcnt vmcnt(3) lgkmcnt(0)
	v_mul_f32_e32 v79, v73, v75
	v_mul_f32_e32 v75, v74, v75
	s_waitcnt vmcnt(2)
	v_fma_f32 v73, v73, v76, -v75
	v_fmac_f32_e32 v79, v74, v76
	v_add_f32_e32 v73, 0, v73
	v_add_f32_e32 v74, 0, v79
	s_waitcnt vmcnt(1)
	v_sub_f32_e32 v73, v77, v73
	s_waitcnt vmcnt(0)
	v_sub_f32_e32 v74, v78, v74
	buffer_store_dword v73, off, s[0:3], 0 offset:264
	buffer_store_dword v74, off, s[0:3], 0 offset:268
	s_and_saveexec_b64 s[4:5], vcc
	s_cbranch_execz .LBB98_159
; %bb.158:
	buffer_load_dword v73, off, s[0:3], 0 offset:256
	buffer_load_dword v74, off, s[0:3], 0 offset:260
	s_waitcnt vmcnt(0)
	ds_write_b64 v71, v[73:74]
	buffer_store_dword v72, off, s[0:3], 0 offset:256
	buffer_store_dword v72, off, s[0:3], 0 offset:260
.LBB98_159:
	s_or_b64 exec, exec, s[4:5]
	s_waitcnt lgkmcnt(0)
	; wave barrier
	buffer_load_dword v76, off, s[0:3], 0 offset:268
	buffer_load_dword v77, off, s[0:3], 0 offset:276
	;; [unrolled: 1-line block ×6, first 2 shown]
	ds_read2_b64 v[72:75], v72 offset0:69 offset1:70
	v_cmp_lt_u32_e32 vcc, 31, v0
	s_waitcnt vmcnt(5) lgkmcnt(0)
	v_mul_f32_e32 v82, v72, v76
	v_mul_f32_e32 v76, v73, v76
	s_waitcnt vmcnt(4)
	v_mul_f32_e32 v83, v74, v77
	v_mul_f32_e32 v77, v75, v77
	s_waitcnt vmcnt(3)
	v_fma_f32 v72, v72, v78, -v76
	v_fmac_f32_e32 v82, v73, v78
	s_waitcnt vmcnt(2)
	v_fma_f32 v73, v74, v79, -v77
	v_add_f32_e32 v72, 0, v72
	v_fmac_f32_e32 v83, v75, v79
	v_add_f32_e32 v74, 0, v82
	v_add_f32_e32 v72, v72, v73
	;; [unrolled: 1-line block ×3, first 2 shown]
	s_waitcnt vmcnt(1)
	v_sub_f32_e32 v72, v80, v72
	s_waitcnt vmcnt(0)
	v_sub_f32_e32 v73, v81, v74
	buffer_store_dword v72, off, s[0:3], 0 offset:256
	buffer_store_dword v73, off, s[0:3], 0 offset:260
	s_and_saveexec_b64 s[4:5], vcc
	s_cbranch_execz .LBB98_161
; %bb.160:
	buffer_load_dword v72, off, s[0:3], 0 offset:248
	buffer_load_dword v73, off, s[0:3], 0 offset:252
	v_mov_b32_e32 v74, 0
	buffer_store_dword v74, off, s[0:3], 0 offset:248
	buffer_store_dword v74, off, s[0:3], 0 offset:252
	s_waitcnt vmcnt(2)
	ds_write_b64 v71, v[72:73]
.LBB98_161:
	s_or_b64 exec, exec, s[4:5]
	s_waitcnt lgkmcnt(0)
	; wave barrier
	buffer_load_dword v79, off, s[0:3], 0 offset:260
	buffer_load_dword v80, off, s[0:3], 0 offset:268
	;; [unrolled: 1-line block ×8, first 2 shown]
	v_mov_b32_e32 v72, 0
	ds_read_b128 v[73:76], v72 offset:544
	ds_read_b64 v[77:78], v72 offset:560
	v_cmp_lt_u32_e32 vcc, 30, v0
	s_waitcnt vmcnt(7) lgkmcnt(1)
	v_mul_f32_e32 v87, v73, v79
	v_mul_f32_e32 v79, v74, v79
	s_waitcnt vmcnt(6)
	v_mul_f32_e32 v88, v75, v80
	v_mul_f32_e32 v80, v76, v80
	s_waitcnt vmcnt(4)
	v_fma_f32 v73, v73, v82, -v79
	s_waitcnt lgkmcnt(0)
	v_mul_f32_e32 v89, v77, v81
	v_mul_f32_e32 v81, v78, v81
	v_fmac_f32_e32 v87, v74, v82
	s_waitcnt vmcnt(3)
	v_fma_f32 v74, v75, v83, -v80
	v_add_f32_e32 v73, 0, v73
	v_fmac_f32_e32 v88, v76, v83
	s_waitcnt vmcnt(2)
	v_fma_f32 v75, v77, v84, -v81
	v_add_f32_e32 v76, 0, v87
	v_add_f32_e32 v73, v73, v74
	v_fmac_f32_e32 v89, v78, v84
	v_add_f32_e32 v76, v76, v88
	v_add_f32_e32 v73, v73, v75
	;; [unrolled: 1-line block ×3, first 2 shown]
	s_waitcnt vmcnt(1)
	v_sub_f32_e32 v73, v85, v73
	s_waitcnt vmcnt(0)
	v_sub_f32_e32 v74, v86, v74
	buffer_store_dword v73, off, s[0:3], 0 offset:248
	buffer_store_dword v74, off, s[0:3], 0 offset:252
	s_and_saveexec_b64 s[4:5], vcc
	s_cbranch_execz .LBB98_163
; %bb.162:
	buffer_load_dword v73, off, s[0:3], 0 offset:240
	buffer_load_dword v74, off, s[0:3], 0 offset:244
	s_waitcnt vmcnt(0)
	ds_write_b64 v71, v[73:74]
	buffer_store_dword v72, off, s[0:3], 0 offset:240
	buffer_store_dword v72, off, s[0:3], 0 offset:244
.LBB98_163:
	s_or_b64 exec, exec, s[4:5]
	s_waitcnt lgkmcnt(0)
	; wave barrier
	buffer_load_dword v81, off, s[0:3], 0 offset:252
	buffer_load_dword v82, off, s[0:3], 0 offset:260
	;; [unrolled: 1-line block ×10, first 2 shown]
	ds_read2_b64 v[73:76], v72 offset0:67 offset1:68
	ds_read2_b64 v[77:80], v72 offset0:69 offset1:70
	v_cmp_lt_u32_e32 vcc, 29, v0
	s_waitcnt vmcnt(9) lgkmcnt(1)
	v_mul_f32_e32 v72, v73, v81
	v_mul_f32_e32 v81, v74, v81
	s_waitcnt vmcnt(8)
	v_mul_f32_e32 v91, v75, v82
	v_mul_f32_e32 v82, v76, v82
	s_waitcnt vmcnt(5)
	v_fma_f32 v73, v73, v85, -v81
	s_waitcnt lgkmcnt(0)
	v_mul_f32_e32 v92, v77, v83
	v_mul_f32_e32 v83, v78, v83
	v_fmac_f32_e32 v72, v74, v85
	s_waitcnt vmcnt(4)
	v_fma_f32 v74, v75, v86, -v82
	v_add_f32_e32 v73, 0, v73
	v_mul_f32_e32 v93, v79, v84
	v_mul_f32_e32 v84, v80, v84
	v_fmac_f32_e32 v91, v76, v86
	s_waitcnt vmcnt(3)
	v_fma_f32 v75, v77, v87, -v83
	v_add_f32_e32 v72, 0, v72
	v_add_f32_e32 v73, v73, v74
	v_fmac_f32_e32 v92, v78, v87
	s_waitcnt vmcnt(2)
	v_fma_f32 v76, v79, v88, -v84
	v_add_f32_e32 v72, v72, v91
	v_add_f32_e32 v73, v73, v75
	v_fmac_f32_e32 v93, v80, v88
	v_add_f32_e32 v72, v72, v92
	v_add_f32_e32 v73, v73, v76
	v_add_f32_e32 v72, v72, v93
	s_waitcnt vmcnt(1)
	v_sub_f32_e32 v73, v89, v73
	s_waitcnt vmcnt(0)
	v_sub_f32_e32 v72, v90, v72
	buffer_store_dword v73, off, s[0:3], 0 offset:240
	buffer_store_dword v72, off, s[0:3], 0 offset:244
	s_and_saveexec_b64 s[4:5], vcc
	s_cbranch_execz .LBB98_165
; %bb.164:
	buffer_load_dword v72, off, s[0:3], 0 offset:232
	buffer_load_dword v73, off, s[0:3], 0 offset:236
	v_mov_b32_e32 v74, 0
	buffer_store_dword v74, off, s[0:3], 0 offset:232
	buffer_store_dword v74, off, s[0:3], 0 offset:236
	s_waitcnt vmcnt(2)
	ds_write_b64 v71, v[72:73]
.LBB98_165:
	s_or_b64 exec, exec, s[4:5]
	s_waitcnt lgkmcnt(0)
	; wave barrier
	buffer_load_dword v83, off, s[0:3], 0 offset:244
	buffer_load_dword v84, off, s[0:3], 0 offset:252
	buffer_load_dword v85, off, s[0:3], 0 offset:260
	buffer_load_dword v86, off, s[0:3], 0 offset:268
	buffer_load_dword v87, off, s[0:3], 0 offset:276
	buffer_load_dword v88, off, s[0:3], 0 offset:240
	buffer_load_dword v89, off, s[0:3], 0 offset:248
	buffer_load_dword v90, off, s[0:3], 0 offset:256
	buffer_load_dword v91, off, s[0:3], 0 offset:264
	buffer_load_dword v92, off, s[0:3], 0 offset:272
	buffer_load_dword v93, off, s[0:3], 0 offset:232
	buffer_load_dword v94, off, s[0:3], 0 offset:236
	v_mov_b32_e32 v72, 0
	ds_read_b128 v[73:76], v72 offset:528
	ds_read_b128 v[77:80], v72 offset:544
	ds_read_b64 v[81:82], v72 offset:560
	v_cmp_lt_u32_e32 vcc, 28, v0
	s_waitcnt vmcnt(11) lgkmcnt(2)
	v_mul_f32_e32 v95, v73, v83
	v_mul_f32_e32 v83, v74, v83
	s_waitcnt vmcnt(10)
	v_mul_f32_e32 v96, v75, v84
	v_mul_f32_e32 v84, v76, v84
	s_waitcnt vmcnt(9) lgkmcnt(1)
	v_mul_f32_e32 v97, v77, v85
	s_waitcnt vmcnt(6)
	v_fma_f32 v73, v73, v88, -v83
	v_mul_f32_e32 v85, v78, v85
	v_fmac_f32_e32 v95, v74, v88
	s_waitcnt vmcnt(5)
	v_fma_f32 v74, v75, v89, -v84
	v_add_f32_e32 v73, 0, v73
	v_mul_f32_e32 v98, v79, v86
	v_mul_f32_e32 v86, v80, v86
	v_fmac_f32_e32 v96, v76, v89
	s_waitcnt vmcnt(4)
	v_fmac_f32_e32 v97, v78, v90
	v_fma_f32 v75, v77, v90, -v85
	v_add_f32_e32 v78, 0, v95
	v_add_f32_e32 v73, v73, v74
	s_waitcnt lgkmcnt(0)
	v_mul_f32_e32 v99, v81, v87
	v_mul_f32_e32 v87, v82, v87
	s_waitcnt vmcnt(3)
	v_fma_f32 v76, v79, v91, -v86
	v_add_f32_e32 v78, v78, v96
	v_add_f32_e32 v73, v73, v75
	v_fmac_f32_e32 v98, v80, v91
	s_waitcnt vmcnt(2)
	v_fma_f32 v77, v81, v92, -v87
	v_add_f32_e32 v74, v78, v97
	v_add_f32_e32 v73, v73, v76
	v_fmac_f32_e32 v99, v82, v92
	v_add_f32_e32 v74, v74, v98
	v_add_f32_e32 v73, v73, v77
	v_add_f32_e32 v74, v74, v99
	s_waitcnt vmcnt(1)
	v_sub_f32_e32 v73, v93, v73
	s_waitcnt vmcnt(0)
	v_sub_f32_e32 v74, v94, v74
	buffer_store_dword v73, off, s[0:3], 0 offset:232
	buffer_store_dword v74, off, s[0:3], 0 offset:236
	s_and_saveexec_b64 s[4:5], vcc
	s_cbranch_execz .LBB98_167
; %bb.166:
	buffer_load_dword v73, off, s[0:3], 0 offset:224
	buffer_load_dword v74, off, s[0:3], 0 offset:228
	s_waitcnt vmcnt(0)
	ds_write_b64 v71, v[73:74]
	buffer_store_dword v72, off, s[0:3], 0 offset:224
	buffer_store_dword v72, off, s[0:3], 0 offset:228
.LBB98_167:
	s_or_b64 exec, exec, s[4:5]
	s_waitcnt lgkmcnt(0)
	; wave barrier
	buffer_load_dword v85, off, s[0:3], 0 offset:236
	buffer_load_dword v86, off, s[0:3], 0 offset:244
	;; [unrolled: 1-line block ×14, first 2 shown]
	ds_read2_b64 v[73:76], v72 offset0:65 offset1:66
	ds_read2_b64 v[77:80], v72 offset0:67 offset1:68
	;; [unrolled: 1-line block ×3, first 2 shown]
	v_cmp_lt_u32_e32 vcc, 27, v0
	s_waitcnt vmcnt(13) lgkmcnt(2)
	v_mul_f32_e32 v72, v73, v85
	v_mul_f32_e32 v85, v74, v85
	s_waitcnt vmcnt(12)
	v_mul_f32_e32 v99, v75, v86
	v_mul_f32_e32 v86, v76, v86
	s_waitcnt vmcnt(11) lgkmcnt(1)
	v_mul_f32_e32 v100, v77, v87
	v_mul_f32_e32 v87, v78, v87
	s_waitcnt vmcnt(7)
	v_fma_f32 v73, v73, v91, -v85
	v_fmac_f32_e32 v72, v74, v91
	s_waitcnt vmcnt(6)
	v_fma_f32 v74, v75, v92, -v86
	v_add_f32_e32 v73, 0, v73
	v_mul_f32_e32 v101, v79, v88
	v_mul_f32_e32 v88, v80, v88
	v_fmac_f32_e32 v99, v76, v92
	s_waitcnt vmcnt(5)
	v_fma_f32 v75, v77, v93, -v87
	v_add_f32_e32 v72, 0, v72
	v_add_f32_e32 v73, v73, v74
	s_waitcnt lgkmcnt(0)
	v_mul_f32_e32 v102, v81, v89
	v_mul_f32_e32 v89, v82, v89
	v_fmac_f32_e32 v100, v78, v93
	s_waitcnt vmcnt(4)
	v_fma_f32 v76, v79, v94, -v88
	v_add_f32_e32 v72, v72, v99
	v_add_f32_e32 v73, v73, v75
	v_mul_f32_e32 v103, v83, v90
	v_mul_f32_e32 v90, v84, v90
	v_fmac_f32_e32 v101, v80, v94
	s_waitcnt vmcnt(3)
	v_fma_f32 v77, v81, v95, -v89
	v_add_f32_e32 v72, v72, v100
	v_add_f32_e32 v73, v73, v76
	v_fmac_f32_e32 v102, v82, v95
	s_waitcnt vmcnt(2)
	v_fma_f32 v78, v83, v96, -v90
	v_add_f32_e32 v72, v72, v101
	v_add_f32_e32 v73, v73, v77
	v_fmac_f32_e32 v103, v84, v96
	v_add_f32_e32 v72, v72, v102
	v_add_f32_e32 v73, v73, v78
	;; [unrolled: 1-line block ×3, first 2 shown]
	s_waitcnt vmcnt(1)
	v_sub_f32_e32 v73, v97, v73
	s_waitcnt vmcnt(0)
	v_sub_f32_e32 v72, v98, v72
	buffer_store_dword v73, off, s[0:3], 0 offset:224
	buffer_store_dword v72, off, s[0:3], 0 offset:228
	s_and_saveexec_b64 s[4:5], vcc
	s_cbranch_execz .LBB98_169
; %bb.168:
	buffer_load_dword v72, off, s[0:3], 0 offset:216
	buffer_load_dword v73, off, s[0:3], 0 offset:220
	v_mov_b32_e32 v74, 0
	buffer_store_dword v74, off, s[0:3], 0 offset:216
	buffer_store_dword v74, off, s[0:3], 0 offset:220
	s_waitcnt vmcnt(2)
	ds_write_b64 v71, v[72:73]
.LBB98_169:
	s_or_b64 exec, exec, s[4:5]
	s_waitcnt lgkmcnt(0)
	; wave barrier
	buffer_load_dword v87, off, s[0:3], 0 offset:228
	buffer_load_dword v88, off, s[0:3], 0 offset:236
	;; [unrolled: 1-line block ×16, first 2 shown]
	v_mov_b32_e32 v72, 0
	ds_read_b128 v[73:76], v72 offset:512
	ds_read_b128 v[77:80], v72 offset:528
	;; [unrolled: 1-line block ×3, first 2 shown]
	ds_read_b64 v[85:86], v72 offset:560
	v_cmp_lt_u32_e32 vcc, 26, v0
	s_waitcnt vmcnt(15) lgkmcnt(3)
	v_mul_f32_e32 v103, v73, v87
	v_mul_f32_e32 v87, v74, v87
	s_waitcnt vmcnt(14)
	v_mul_f32_e32 v104, v75, v88
	v_mul_f32_e32 v88, v76, v88
	s_waitcnt vmcnt(13) lgkmcnt(2)
	v_mul_f32_e32 v105, v77, v89
	s_waitcnt vmcnt(12)
	v_mul_f32_e32 v106, v79, v90
	v_mul_f32_e32 v89, v78, v89
	s_waitcnt vmcnt(8)
	v_fma_f32 v73, v73, v94, -v87
	v_fmac_f32_e32 v103, v74, v94
	s_waitcnt vmcnt(7)
	v_fma_f32 v74, v75, v95, -v88
	v_add_f32_e32 v73, 0, v73
	v_mul_f32_e32 v90, v80, v90
	v_fmac_f32_e32 v104, v76, v95
	s_waitcnt vmcnt(5)
	v_fmac_f32_e32 v106, v80, v97
	v_fma_f32 v75, v77, v96, -v89
	v_add_f32_e32 v80, 0, v103
	v_add_f32_e32 v73, v73, v74
	s_waitcnt lgkmcnt(1)
	v_mul_f32_e32 v107, v81, v91
	v_mul_f32_e32 v91, v82, v91
	v_fmac_f32_e32 v105, v78, v96
	v_fma_f32 v76, v79, v97, -v90
	v_add_f32_e32 v80, v80, v104
	v_add_f32_e32 v73, v73, v75
	v_mul_f32_e32 v108, v83, v92
	v_mul_f32_e32 v92, v84, v92
	s_waitcnt vmcnt(4)
	v_fma_f32 v77, v81, v98, -v91
	v_add_f32_e32 v74, v80, v105
	v_add_f32_e32 v73, v73, v76
	s_waitcnt lgkmcnt(0)
	v_mul_f32_e32 v109, v85, v93
	v_mul_f32_e32 v93, v86, v93
	v_fmac_f32_e32 v107, v82, v98
	s_waitcnt vmcnt(3)
	v_fma_f32 v78, v83, v99, -v92
	v_add_f32_e32 v74, v74, v106
	v_add_f32_e32 v73, v73, v77
	v_fmac_f32_e32 v108, v84, v99
	s_waitcnt vmcnt(2)
	v_fma_f32 v79, v85, v100, -v93
	v_add_f32_e32 v74, v74, v107
	v_add_f32_e32 v73, v73, v78
	v_fmac_f32_e32 v109, v86, v100
	v_add_f32_e32 v74, v74, v108
	v_add_f32_e32 v73, v73, v79
	;; [unrolled: 1-line block ×3, first 2 shown]
	s_waitcnt vmcnt(1)
	v_sub_f32_e32 v73, v101, v73
	s_waitcnt vmcnt(0)
	v_sub_f32_e32 v74, v102, v74
	buffer_store_dword v73, off, s[0:3], 0 offset:216
	buffer_store_dword v74, off, s[0:3], 0 offset:220
	s_and_saveexec_b64 s[4:5], vcc
	s_cbranch_execz .LBB98_171
; %bb.170:
	buffer_load_dword v73, off, s[0:3], 0 offset:208
	buffer_load_dword v74, off, s[0:3], 0 offset:212
	s_waitcnt vmcnt(0)
	ds_write_b64 v71, v[73:74]
	buffer_store_dword v72, off, s[0:3], 0 offset:208
	buffer_store_dword v72, off, s[0:3], 0 offset:212
.LBB98_171:
	s_or_b64 exec, exec, s[4:5]
	s_waitcnt lgkmcnt(0)
	; wave barrier
	buffer_load_dword v89, off, s[0:3], 0 offset:220
	buffer_load_dword v90, off, s[0:3], 0 offset:228
	buffer_load_dword v91, off, s[0:3], 0 offset:236
	buffer_load_dword v92, off, s[0:3], 0 offset:244
	buffer_load_dword v93, off, s[0:3], 0 offset:252
	buffer_load_dword v94, off, s[0:3], 0 offset:260
	buffer_load_dword v95, off, s[0:3], 0 offset:268
	buffer_load_dword v96, off, s[0:3], 0 offset:276
	buffer_load_dword v97, off, s[0:3], 0 offset:216
	buffer_load_dword v98, off, s[0:3], 0 offset:224
	buffer_load_dword v99, off, s[0:3], 0 offset:232
	buffer_load_dword v100, off, s[0:3], 0 offset:240
	buffer_load_dword v101, off, s[0:3], 0 offset:248
	buffer_load_dword v102, off, s[0:3], 0 offset:256
	buffer_load_dword v103, off, s[0:3], 0 offset:264
	buffer_load_dword v104, off, s[0:3], 0 offset:272
	buffer_load_dword v105, off, s[0:3], 0 offset:208
	buffer_load_dword v106, off, s[0:3], 0 offset:212
	ds_read2_b64 v[73:76], v72 offset0:63 offset1:64
	ds_read2_b64 v[77:80], v72 offset0:65 offset1:66
	ds_read2_b64 v[81:84], v72 offset0:67 offset1:68
	ds_read2_b64 v[85:88], v72 offset0:69 offset1:70
	v_cmp_lt_u32_e32 vcc, 25, v0
	s_waitcnt vmcnt(17) lgkmcnt(3)
	v_mul_f32_e32 v72, v73, v89
	v_mul_f32_e32 v89, v74, v89
	s_waitcnt vmcnt(16)
	v_mul_f32_e32 v107, v75, v90
	v_mul_f32_e32 v90, v76, v90
	s_waitcnt vmcnt(15) lgkmcnt(2)
	v_mul_f32_e32 v108, v77, v91
	v_mul_f32_e32 v91, v78, v91
	s_waitcnt vmcnt(14)
	v_mul_f32_e32 v109, v79, v92
	v_mul_f32_e32 v92, v80, v92
	s_waitcnt vmcnt(9)
	v_fma_f32 v73, v73, v97, -v89
	v_fmac_f32_e32 v72, v74, v97
	s_waitcnt vmcnt(8)
	v_fma_f32 v74, v75, v98, -v90
	v_add_f32_e32 v73, 0, v73
	v_fmac_f32_e32 v107, v76, v98
	s_waitcnt vmcnt(7)
	v_fma_f32 v75, v77, v99, -v91
	v_add_f32_e32 v72, 0, v72
	v_add_f32_e32 v73, v73, v74
	s_waitcnt lgkmcnt(1)
	v_mul_f32_e32 v110, v81, v93
	v_mul_f32_e32 v93, v82, v93
	v_fmac_f32_e32 v108, v78, v99
	s_waitcnt vmcnt(6)
	v_fma_f32 v76, v79, v100, -v92
	v_add_f32_e32 v72, v72, v107
	v_add_f32_e32 v73, v73, v75
	v_mul_f32_e32 v111, v83, v94
	v_mul_f32_e32 v94, v84, v94
	v_fmac_f32_e32 v109, v80, v100
	s_waitcnt vmcnt(5)
	v_fma_f32 v77, v81, v101, -v93
	v_add_f32_e32 v72, v72, v108
	v_add_f32_e32 v73, v73, v76
	s_waitcnt lgkmcnt(0)
	v_mul_f32_e32 v112, v85, v95
	v_mul_f32_e32 v95, v86, v95
	v_fmac_f32_e32 v110, v82, v101
	s_waitcnt vmcnt(4)
	v_fma_f32 v78, v83, v102, -v94
	v_add_f32_e32 v72, v72, v109
	v_add_f32_e32 v73, v73, v77
	v_mul_f32_e32 v113, v87, v96
	v_mul_f32_e32 v96, v88, v96
	v_fmac_f32_e32 v111, v84, v102
	s_waitcnt vmcnt(3)
	v_fma_f32 v79, v85, v103, -v95
	v_add_f32_e32 v72, v72, v110
	v_add_f32_e32 v73, v73, v78
	v_fmac_f32_e32 v112, v86, v103
	s_waitcnt vmcnt(2)
	v_fma_f32 v80, v87, v104, -v96
	v_add_f32_e32 v72, v72, v111
	v_add_f32_e32 v73, v73, v79
	v_fmac_f32_e32 v113, v88, v104
	v_add_f32_e32 v72, v72, v112
	v_add_f32_e32 v73, v73, v80
	;; [unrolled: 1-line block ×3, first 2 shown]
	s_waitcnt vmcnt(1)
	v_sub_f32_e32 v73, v105, v73
	s_waitcnt vmcnt(0)
	v_sub_f32_e32 v72, v106, v72
	buffer_store_dword v73, off, s[0:3], 0 offset:208
	buffer_store_dword v72, off, s[0:3], 0 offset:212
	s_and_saveexec_b64 s[4:5], vcc
	s_cbranch_execz .LBB98_173
; %bb.172:
	buffer_load_dword v72, off, s[0:3], 0 offset:200
	buffer_load_dword v73, off, s[0:3], 0 offset:204
	v_mov_b32_e32 v74, 0
	buffer_store_dword v74, off, s[0:3], 0 offset:200
	buffer_store_dword v74, off, s[0:3], 0 offset:204
	s_waitcnt vmcnt(2)
	ds_write_b64 v71, v[72:73]
.LBB98_173:
	s_or_b64 exec, exec, s[4:5]
	s_waitcnt lgkmcnt(0)
	; wave barrier
	buffer_load_dword v91, off, s[0:3], 0 offset:212
	buffer_load_dword v92, off, s[0:3], 0 offset:220
	;; [unrolled: 1-line block ×20, first 2 shown]
	v_mov_b32_e32 v72, 0
	ds_read_b128 v[73:76], v72 offset:496
	ds_read_b128 v[77:80], v72 offset:512
	;; [unrolled: 1-line block ×4, first 2 shown]
	ds_read_b64 v[89:90], v72 offset:560
	v_cmp_lt_u32_e32 vcc, 24, v0
	s_waitcnt vmcnt(19) lgkmcnt(4)
	v_mul_f32_e32 v111, v73, v91
	v_mul_f32_e32 v91, v74, v91
	s_waitcnt vmcnt(18)
	v_mul_f32_e32 v112, v75, v92
	v_mul_f32_e32 v92, v76, v92
	s_waitcnt vmcnt(17) lgkmcnt(3)
	v_mul_f32_e32 v113, v77, v93
	s_waitcnt vmcnt(15) lgkmcnt(2)
	v_mul_f32_e32 v115, v81, v95
	v_mul_f32_e32 v93, v78, v93
	v_mul_f32_e32 v114, v79, v94
	v_mul_f32_e32 v94, v80, v94
	s_waitcnt vmcnt(10)
	v_fma_f32 v73, v73, v100, -v91
	v_fmac_f32_e32 v111, v74, v100
	s_waitcnt vmcnt(9)
	v_fma_f32 v74, v75, v101, -v92
	v_add_f32_e32 v73, 0, v73
	v_mul_f32_e32 v95, v82, v95
	v_fmac_f32_e32 v112, v76, v101
	s_waitcnt vmcnt(6)
	v_fmac_f32_e32 v115, v82, v104
	v_fma_f32 v75, v77, v102, -v93
	v_add_f32_e32 v82, 0, v111
	v_add_f32_e32 v73, v73, v74
	v_fmac_f32_e32 v113, v78, v102
	v_fma_f32 v76, v79, v103, -v94
	v_add_f32_e32 v82, v82, v112
	v_add_f32_e32 v73, v73, v75
	v_mul_f32_e32 v116, v83, v96
	v_mul_f32_e32 v96, v84, v96
	v_fmac_f32_e32 v114, v80, v103
	v_fma_f32 v77, v81, v104, -v95
	v_add_f32_e32 v74, v82, v113
	v_add_f32_e32 v73, v73, v76
	s_waitcnt lgkmcnt(1)
	v_mul_f32_e32 v117, v85, v97
	v_mul_f32_e32 v97, v86, v97
	s_waitcnt vmcnt(5)
	v_fma_f32 v78, v83, v105, -v96
	v_add_f32_e32 v74, v74, v114
	v_add_f32_e32 v73, v73, v77
	v_mul_f32_e32 v118, v87, v98
	v_mul_f32_e32 v98, v88, v98
	v_fmac_f32_e32 v116, v84, v105
	s_waitcnt vmcnt(4)
	v_fma_f32 v79, v85, v106, -v97
	v_add_f32_e32 v74, v74, v115
	v_add_f32_e32 v73, v73, v78
	s_waitcnt lgkmcnt(0)
	v_mul_f32_e32 v119, v89, v99
	v_mul_f32_e32 v99, v90, v99
	v_fmac_f32_e32 v117, v86, v106
	s_waitcnt vmcnt(3)
	v_fma_f32 v80, v87, v107, -v98
	v_add_f32_e32 v74, v74, v116
	v_add_f32_e32 v73, v73, v79
	v_fmac_f32_e32 v118, v88, v107
	s_waitcnt vmcnt(2)
	v_fma_f32 v81, v89, v108, -v99
	v_add_f32_e32 v74, v74, v117
	v_add_f32_e32 v73, v73, v80
	v_fmac_f32_e32 v119, v90, v108
	v_add_f32_e32 v74, v74, v118
	v_add_f32_e32 v73, v73, v81
	;; [unrolled: 1-line block ×3, first 2 shown]
	s_waitcnt vmcnt(1)
	v_sub_f32_e32 v73, v109, v73
	s_waitcnt vmcnt(0)
	v_sub_f32_e32 v74, v110, v74
	buffer_store_dword v73, off, s[0:3], 0 offset:200
	buffer_store_dword v74, off, s[0:3], 0 offset:204
	s_and_saveexec_b64 s[4:5], vcc
	s_cbranch_execz .LBB98_175
; %bb.174:
	buffer_load_dword v73, off, s[0:3], 0 offset:192
	buffer_load_dword v74, off, s[0:3], 0 offset:196
	s_waitcnt vmcnt(0)
	ds_write_b64 v71, v[73:74]
	buffer_store_dword v72, off, s[0:3], 0 offset:192
	buffer_store_dword v72, off, s[0:3], 0 offset:196
.LBB98_175:
	s_or_b64 exec, exec, s[4:5]
	s_waitcnt lgkmcnt(0)
	; wave barrier
	buffer_load_dword v93, off, s[0:3], 0 offset:204
	buffer_load_dword v94, off, s[0:3], 0 offset:212
	;; [unrolled: 1-line block ×22, first 2 shown]
	ds_read2_b64 v[73:76], v72 offset0:61 offset1:62
	ds_read2_b64 v[77:80], v72 offset0:63 offset1:64
	;; [unrolled: 1-line block ×5, first 2 shown]
	v_cmp_lt_u32_e32 vcc, 23, v0
	s_waitcnt vmcnt(21) lgkmcnt(4)
	v_mul_f32_e32 v72, v73, v93
	v_mul_f32_e32 v93, v74, v93
	s_waitcnt vmcnt(20)
	v_mul_f32_e32 v115, v75, v94
	v_mul_f32_e32 v94, v76, v94
	s_waitcnt vmcnt(19) lgkmcnt(3)
	v_mul_f32_e32 v116, v77, v95
	v_mul_f32_e32 v95, v78, v95
	s_waitcnt vmcnt(18)
	v_mul_f32_e32 v117, v79, v96
	v_mul_f32_e32 v96, v80, v96
	s_waitcnt vmcnt(17) lgkmcnt(2)
	v_mul_f32_e32 v118, v81, v97
	v_mul_f32_e32 v97, v82, v97
	s_waitcnt vmcnt(11)
	v_fma_f32 v73, v73, v103, -v93
	v_fmac_f32_e32 v72, v74, v103
	s_waitcnt vmcnt(10)
	v_fma_f32 v74, v75, v104, -v94
	v_add_f32_e32 v73, 0, v73
	v_fmac_f32_e32 v115, v76, v104
	s_waitcnt vmcnt(9)
	v_fma_f32 v75, v77, v105, -v95
	v_add_f32_e32 v72, 0, v72
	v_add_f32_e32 v73, v73, v74
	v_fmac_f32_e32 v116, v78, v105
	s_waitcnt vmcnt(8)
	v_fma_f32 v76, v79, v106, -v96
	v_add_f32_e32 v72, v72, v115
	v_add_f32_e32 v73, v73, v75
	v_mul_f32_e32 v119, v83, v98
	v_mul_f32_e32 v98, v84, v98
	v_fmac_f32_e32 v117, v80, v106
	s_waitcnt vmcnt(7)
	v_fma_f32 v77, v81, v107, -v97
	v_add_f32_e32 v72, v72, v116
	v_add_f32_e32 v73, v73, v76
	s_waitcnt lgkmcnt(1)
	v_mul_f32_e32 v120, v85, v99
	v_mul_f32_e32 v99, v86, v99
	v_fmac_f32_e32 v118, v82, v107
	s_waitcnt vmcnt(6)
	v_fma_f32 v78, v83, v108, -v98
	v_add_f32_e32 v72, v72, v117
	v_add_f32_e32 v73, v73, v77
	v_mul_f32_e32 v121, v87, v100
	v_mul_f32_e32 v100, v88, v100
	v_fmac_f32_e32 v119, v84, v108
	s_waitcnt vmcnt(5)
	v_fma_f32 v79, v85, v109, -v99
	v_add_f32_e32 v72, v72, v118
	v_add_f32_e32 v73, v73, v78
	s_waitcnt lgkmcnt(0)
	v_mul_f32_e32 v122, v89, v101
	v_mul_f32_e32 v101, v90, v101
	v_fmac_f32_e32 v120, v86, v109
	s_waitcnt vmcnt(4)
	v_fma_f32 v80, v87, v110, -v100
	v_add_f32_e32 v72, v72, v119
	v_add_f32_e32 v73, v73, v79
	v_mul_f32_e32 v123, v91, v102
	v_mul_f32_e32 v102, v92, v102
	v_fmac_f32_e32 v121, v88, v110
	s_waitcnt vmcnt(3)
	v_fma_f32 v81, v89, v111, -v101
	v_add_f32_e32 v72, v72, v120
	v_add_f32_e32 v73, v73, v80
	v_fmac_f32_e32 v122, v90, v111
	s_waitcnt vmcnt(2)
	v_fma_f32 v82, v91, v112, -v102
	v_add_f32_e32 v72, v72, v121
	v_add_f32_e32 v73, v73, v81
	v_fmac_f32_e32 v123, v92, v112
	v_add_f32_e32 v72, v72, v122
	v_add_f32_e32 v73, v73, v82
	;; [unrolled: 1-line block ×3, first 2 shown]
	s_waitcnt vmcnt(1)
	v_sub_f32_e32 v73, v113, v73
	s_waitcnt vmcnt(0)
	v_sub_f32_e32 v72, v114, v72
	buffer_store_dword v73, off, s[0:3], 0 offset:192
	buffer_store_dword v72, off, s[0:3], 0 offset:196
	s_and_saveexec_b64 s[4:5], vcc
	s_cbranch_execz .LBB98_177
; %bb.176:
	buffer_load_dword v72, off, s[0:3], 0 offset:184
	buffer_load_dword v73, off, s[0:3], 0 offset:188
	v_mov_b32_e32 v74, 0
	buffer_store_dword v74, off, s[0:3], 0 offset:184
	buffer_store_dword v74, off, s[0:3], 0 offset:188
	s_waitcnt vmcnt(2)
	ds_write_b64 v71, v[72:73]
.LBB98_177:
	s_or_b64 exec, exec, s[4:5]
	v_mov_b32_e32 v72, 0
	s_waitcnt lgkmcnt(0)
	; wave barrier
	ds_read_b128 v[73:76], v72 offset:480
	ds_read_b128 v[77:80], v72 offset:496
	;; [unrolled: 1-line block ×4, first 2 shown]
	buffer_load_dword v95, off, s[0:3], 0 offset:184
	buffer_load_dword v96, off, s[0:3], 0 offset:188
	;; [unrolled: 1-line block ×18, first 2 shown]
	v_cmp_lt_u32_e32 vcc, 22, v0
	s_waitcnt vmcnt(14) lgkmcnt(3)
	v_mul_f32_e32 v89, v73, v98
	v_fmac_f32_e32 v89, v74, v97
	s_waitcnt vmcnt(12)
	v_mul_f32_e32 v90, v75, v100
	v_add_f32_e32 v89, 0, v89
	v_fmac_f32_e32 v90, v76, v99
	v_add_f32_e32 v89, v89, v90
	s_waitcnt vmcnt(10) lgkmcnt(2)
	v_mul_f32_e32 v90, v77, v102
	v_fmac_f32_e32 v90, v78, v101
	v_add_f32_e32 v89, v89, v90
	s_waitcnt vmcnt(8)
	v_mul_f32_e32 v90, v79, v104
	v_fmac_f32_e32 v90, v80, v103
	v_add_f32_e32 v89, v89, v90
	s_waitcnt vmcnt(6) lgkmcnt(1)
	v_mul_f32_e32 v90, v81, v106
	v_fmac_f32_e32 v90, v82, v105
	v_add_f32_e32 v89, v89, v90
	s_waitcnt vmcnt(4)
	v_mul_f32_e32 v90, v83, v108
	;; [unrolled: 8-line block ×3, first 2 shown]
	v_fmac_f32_e32 v90, v88, v111
	v_add_f32_e32 v93, v89, v90
	ds_read_b128 v[89:92], v72 offset:544
	buffer_load_dword v113, off, s[0:3], 0 offset:256
	buffer_load_dword v114, off, s[0:3], 0 offset:260
	;; [unrolled: 1-line block ×4, first 2 shown]
	v_mul_f32_e32 v74, v74, v98
	v_fma_f32 v73, v73, v97, -v74
	v_mul_f32_e32 v74, v76, v100
	v_add_f32_e32 v73, 0, v73
	v_fma_f32 v74, v75, v99, -v74
	v_add_f32_e32 v73, v73, v74
	v_mul_f32_e32 v74, v78, v102
	v_fma_f32 v74, v77, v101, -v74
	v_add_f32_e32 v73, v73, v74
	v_mul_f32_e32 v74, v80, v104
	;; [unrolled: 3-line block ×6, first 2 shown]
	v_fma_f32 v74, v87, v111, -v74
	v_add_f32_e32 v73, v73, v74
	s_waitcnt vmcnt(2) lgkmcnt(0)
	v_mul_f32_e32 v94, v89, v114
	v_fmac_f32_e32 v94, v90, v113
	v_add_f32_e32 v93, v93, v94
	s_waitcnt vmcnt(0)
	v_mul_f32_e32 v94, v91, v116
	v_fmac_f32_e32 v94, v92, v115
	v_add_f32_e32 v117, v93, v94
	ds_read_b64 v[93:94], v72 offset:560
	buffer_load_dword v118, off, s[0:3], 0 offset:272
	buffer_load_dword v119, off, s[0:3], 0 offset:276
	v_mul_f32_e32 v74, v90, v114
	v_fma_f32 v74, v89, v113, -v74
	v_add_f32_e32 v73, v73, v74
	v_mul_f32_e32 v74, v92, v116
	v_fma_f32 v74, v91, v115, -v74
	v_add_f32_e32 v73, v73, v74
	s_waitcnt vmcnt(0) lgkmcnt(0)
	v_mul_f32_e32 v74, v94, v119
	v_mul_f32_e32 v120, v93, v119
	v_fma_f32 v74, v93, v118, -v74
	v_fmac_f32_e32 v120, v94, v118
	v_add_f32_e32 v73, v73, v74
	v_add_f32_e32 v117, v117, v120
	v_sub_f32_e32 v73, v95, v73
	v_sub_f32_e32 v74, v96, v117
	buffer_store_dword v73, off, s[0:3], 0 offset:184
	buffer_store_dword v74, off, s[0:3], 0 offset:188
	s_and_saveexec_b64 s[4:5], vcc
	s_cbranch_execz .LBB98_179
; %bb.178:
	buffer_load_dword v73, off, s[0:3], 0 offset:176
	buffer_load_dword v74, off, s[0:3], 0 offset:180
	s_waitcnt vmcnt(0)
	ds_write_b64 v71, v[73:74]
	buffer_store_dword v72, off, s[0:3], 0 offset:176
	buffer_store_dword v72, off, s[0:3], 0 offset:180
.LBB98_179:
	s_or_b64 exec, exec, s[4:5]
	s_waitcnt lgkmcnt(0)
	; wave barrier
	ds_read2_b64 v[73:76], v72 offset0:59 offset1:60
	buffer_load_dword v97, off, s[0:3], 0 offset:176
	buffer_load_dword v98, off, s[0:3], 0 offset:180
	buffer_load_dword v99, off, s[0:3], 0 offset:184
	buffer_load_dword v100, off, s[0:3], 0 offset:188
	buffer_load_dword v101, off, s[0:3], 0 offset:192
	buffer_load_dword v102, off, s[0:3], 0 offset:196
	buffer_load_dword v103, off, s[0:3], 0 offset:200
	buffer_load_dword v104, off, s[0:3], 0 offset:204
	buffer_load_dword v105, off, s[0:3], 0 offset:208
	buffer_load_dword v106, off, s[0:3], 0 offset:212
	buffer_load_dword v107, off, s[0:3], 0 offset:216
	buffer_load_dword v108, off, s[0:3], 0 offset:220
	buffer_load_dword v109, off, s[0:3], 0 offset:224
	buffer_load_dword v110, off, s[0:3], 0 offset:228
	buffer_load_dword v111, off, s[0:3], 0 offset:232
	buffer_load_dword v112, off, s[0:3], 0 offset:236
	v_cmp_lt_u32_e32 vcc, 21, v0
	s_waitcnt vmcnt(12) lgkmcnt(0)
	v_mul_f32_e32 v77, v73, v100
	v_fmac_f32_e32 v77, v74, v99
	s_waitcnt vmcnt(10)
	v_mul_f32_e32 v78, v75, v102
	v_add_f32_e32 v77, 0, v77
	v_fmac_f32_e32 v78, v76, v101
	v_add_f32_e32 v81, v77, v78
	ds_read2_b64 v[77:80], v72 offset0:61 offset1:62
	v_mul_f32_e32 v74, v74, v100
	v_fma_f32 v73, v73, v99, -v74
	v_mul_f32_e32 v74, v76, v102
	v_add_f32_e32 v73, 0, v73
	s_waitcnt vmcnt(8) lgkmcnt(0)
	v_mul_f32_e32 v82, v77, v104
	v_fmac_f32_e32 v82, v78, v103
	v_add_f32_e32 v81, v81, v82
	s_waitcnt vmcnt(6)
	v_mul_f32_e32 v82, v79, v106
	v_fmac_f32_e32 v82, v80, v105
	v_add_f32_e32 v85, v81, v82
	ds_read2_b64 v[81:84], v72 offset0:63 offset1:64
	v_fma_f32 v74, v75, v101, -v74
	v_add_f32_e32 v73, v73, v74
	v_mul_f32_e32 v74, v78, v104
	v_fma_f32 v74, v77, v103, -v74
	s_waitcnt vmcnt(4) lgkmcnt(0)
	v_mul_f32_e32 v86, v81, v108
	v_fmac_f32_e32 v86, v82, v107
	v_add_f32_e32 v85, v85, v86
	s_waitcnt vmcnt(2)
	v_mul_f32_e32 v86, v83, v110
	v_fmac_f32_e32 v86, v84, v109
	v_add_f32_e32 v89, v85, v86
	ds_read2_b64 v[85:88], v72 offset0:65 offset1:66
	buffer_load_dword v113, off, s[0:3], 0 offset:240
	buffer_load_dword v114, off, s[0:3], 0 offset:244
	v_add_f32_e32 v73, v73, v74
	v_mul_f32_e32 v74, v80, v106
	v_fma_f32 v74, v79, v105, -v74
	s_waitcnt vmcnt(2) lgkmcnt(0)
	v_mul_f32_e32 v90, v85, v112
	v_fmac_f32_e32 v90, v86, v111
	v_add_f32_e32 v89, v89, v90
	v_add_f32_e32 v73, v73, v74
	v_mul_f32_e32 v74, v82, v108
	v_fma_f32 v74, v81, v107, -v74
	v_add_f32_e32 v73, v73, v74
	v_mul_f32_e32 v74, v84, v110
	v_fma_f32 v74, v83, v109, -v74
	;; [unrolled: 3-line block ×3, first 2 shown]
	v_add_f32_e32 v73, v73, v74
	s_waitcnt vmcnt(0)
	v_mul_f32_e32 v90, v87, v114
	v_fmac_f32_e32 v90, v88, v113
	v_add_f32_e32 v93, v89, v90
	ds_read2_b64 v[89:92], v72 offset0:67 offset1:68
	buffer_load_dword v115, off, s[0:3], 0 offset:248
	buffer_load_dword v116, off, s[0:3], 0 offset:252
	;; [unrolled: 1-line block ×4, first 2 shown]
	v_mul_f32_e32 v74, v88, v114
	v_fma_f32 v74, v87, v113, -v74
	v_add_f32_e32 v73, v73, v74
	s_waitcnt vmcnt(2) lgkmcnt(0)
	v_mul_f32_e32 v94, v89, v116
	v_fmac_f32_e32 v94, v90, v115
	v_add_f32_e32 v93, v93, v94
	s_waitcnt vmcnt(0)
	v_mul_f32_e32 v94, v91, v118
	v_fmac_f32_e32 v94, v92, v117
	v_add_f32_e32 v119, v93, v94
	ds_read2_b64 v[93:96], v72 offset0:69 offset1:70
	buffer_load_dword v72, off, s[0:3], 0 offset:264
	buffer_load_dword v120, off, s[0:3], 0 offset:268
	v_mul_f32_e32 v74, v90, v116
	v_fma_f32 v74, v89, v115, -v74
	v_add_f32_e32 v73, v73, v74
	v_mul_f32_e32 v74, v92, v118
	v_fma_f32 v74, v91, v117, -v74
	v_add_f32_e32 v73, v73, v74
	s_waitcnt vmcnt(0) lgkmcnt(0)
	v_mul_f32_e32 v121, v93, v120
	v_fmac_f32_e32 v121, v94, v72
	v_add_f32_e32 v119, v119, v121
	buffer_load_dword v121, off, s[0:3], 0 offset:272
	buffer_load_dword v122, off, s[0:3], 0 offset:276
	v_mul_f32_e32 v74, v94, v120
	v_fma_f32 v72, v93, v72, -v74
	v_add_f32_e32 v72, v73, v72
	s_waitcnt vmcnt(0)
	v_mul_f32_e32 v73, v96, v122
	v_mul_f32_e32 v123, v95, v122
	v_fma_f32 v73, v95, v121, -v73
	v_fmac_f32_e32 v123, v96, v121
	v_add_f32_e32 v72, v72, v73
	v_add_f32_e32 v119, v119, v123
	v_sub_f32_e32 v72, v97, v72
	v_sub_f32_e32 v73, v98, v119
	buffer_store_dword v72, off, s[0:3], 0 offset:176
	buffer_store_dword v73, off, s[0:3], 0 offset:180
	s_and_saveexec_b64 s[4:5], vcc
	s_cbranch_execz .LBB98_181
; %bb.180:
	buffer_load_dword v72, off, s[0:3], 0 offset:168
	buffer_load_dword v73, off, s[0:3], 0 offset:172
	v_mov_b32_e32 v74, 0
	buffer_store_dword v74, off, s[0:3], 0 offset:168
	buffer_store_dword v74, off, s[0:3], 0 offset:172
	s_waitcnt vmcnt(2)
	ds_write_b64 v71, v[72:73]
.LBB98_181:
	s_or_b64 exec, exec, s[4:5]
	s_waitcnt lgkmcnt(0)
	; wave barrier
	buffer_load_dword v99, off, s[0:3], 0 offset:180
	buffer_load_dword v100, off, s[0:3], 0 offset:188
	;; [unrolled: 1-line block ×28, first 2 shown]
	v_mov_b32_e32 v72, 0
	ds_read_b128 v[73:76], v72 offset:464
	ds_read_b128 v[77:80], v72 offset:480
	;; [unrolled: 1-line block ×6, first 2 shown]
	ds_read_b64 v[97:98], v72 offset:560
	v_cmp_lt_u32_e32 vcc, 20, v0
	s_waitcnt vmcnt(27) lgkmcnt(6)
	v_mul_f32_e32 v127, v73, v99
	v_mul_f32_e32 v99, v74, v99
	s_waitcnt vmcnt(26)
	v_mul_f32_e32 v128, v75, v100
	v_mul_f32_e32 v100, v76, v100
	s_waitcnt vmcnt(25) lgkmcnt(5)
	v_mul_f32_e32 v129, v77, v101
	v_mul_f32_e32 v101, v78, v101
	s_waitcnt vmcnt(24)
	v_mul_f32_e32 v130, v79, v102
	v_mul_f32_e32 v102, v80, v102
	;; [unrolled: 6-line block ×3, first 2 shown]
	s_waitcnt vmcnt(21) lgkmcnt(3)
	v_mul_f32_e32 v133, v85, v105
	s_waitcnt vmcnt(14)
	v_fma_f32 v73, v73, v112, -v99
	v_fmac_f32_e32 v127, v74, v112
	s_waitcnt vmcnt(13)
	v_fma_f32 v74, v75, v113, -v100
	v_add_f32_e32 v73, 0, v73
	s_waitcnt vmcnt(12)
	v_fma_f32 v75, v77, v114, -v101
	v_add_f32_e32 v73, v73, v74
	v_fmac_f32_e32 v128, v76, v113
	s_waitcnt vmcnt(11)
	v_fma_f32 v76, v79, v115, -v102
	v_add_f32_e32 v73, v73, v75
	s_waitcnt vmcnt(10)
	v_fma_f32 v77, v81, v116, -v103
	v_add_f32_e32 v73, v73, v76
	v_fmac_f32_e32 v129, v78, v114
	s_waitcnt vmcnt(9)
	v_fma_f32 v78, v83, v117, -v104
	v_add_f32_e32 v73, v73, v77
	v_mul_f32_e32 v75, v86, v105
	v_add_f32_e32 v73, v73, v78
	s_waitcnt vmcnt(8)
	v_fma_f32 v75, v85, v118, -v75
	v_add_f32_e32 v73, v73, v75
	v_mul_f32_e32 v75, v88, v106
	v_add_f32_e32 v79, 0, v127
	s_waitcnt vmcnt(7)
	v_fma_f32 v75, v87, v119, -v75
	v_add_f32_e32 v79, v79, v128
	v_add_f32_e32 v73, v73, v75
	s_waitcnt lgkmcnt(2)
	v_mul_f32_e32 v75, v90, v107
	v_fmac_f32_e32 v130, v80, v115
	v_add_f32_e32 v74, v79, v129
	s_waitcnt vmcnt(6)
	v_fma_f32 v75, v89, v120, -v75
	v_fmac_f32_e32 v131, v82, v116
	v_add_f32_e32 v74, v74, v130
	v_add_f32_e32 v73, v73, v75
	v_mul_f32_e32 v75, v92, v108
	v_fmac_f32_e32 v132, v84, v117
	v_add_f32_e32 v74, v74, v131
	s_waitcnt vmcnt(5)
	v_fma_f32 v75, v91, v121, -v75
	v_mul_f32_e32 v134, v87, v106
	v_fmac_f32_e32 v133, v86, v118
	v_add_f32_e32 v74, v74, v132
	v_add_f32_e32 v73, v73, v75
	s_waitcnt lgkmcnt(1)
	v_mul_f32_e32 v75, v94, v109
	v_mul_f32_e32 v135, v89, v107
	v_fmac_f32_e32 v134, v88, v119
	v_add_f32_e32 v74, v74, v133
	s_waitcnt vmcnt(4)
	v_fma_f32 v75, v93, v122, -v75
	v_mul_f32_e32 v136, v91, v108
	v_fmac_f32_e32 v135, v90, v120
	v_add_f32_e32 v74, v74, v134
	v_add_f32_e32 v73, v73, v75
	v_mul_f32_e32 v75, v96, v110
	v_mul_f32_e32 v137, v93, v109
	v_fmac_f32_e32 v136, v92, v121
	v_add_f32_e32 v74, v74, v135
	s_waitcnt vmcnt(3)
	v_fma_f32 v75, v95, v123, -v75
	v_mul_f32_e32 v138, v95, v110
	v_fmac_f32_e32 v137, v94, v122
	v_add_f32_e32 v74, v74, v136
	v_add_f32_e32 v73, v73, v75
	s_waitcnt lgkmcnt(0)
	v_mul_f32_e32 v75, v98, v111
	v_mul_f32_e32 v139, v97, v111
	v_fmac_f32_e32 v138, v96, v123
	v_add_f32_e32 v74, v74, v137
	s_waitcnt vmcnt(2)
	v_fma_f32 v75, v97, v124, -v75
	v_fmac_f32_e32 v139, v98, v124
	v_add_f32_e32 v74, v74, v138
	v_add_f32_e32 v73, v73, v75
	;; [unrolled: 1-line block ×3, first 2 shown]
	s_waitcnt vmcnt(1)
	v_sub_f32_e32 v73, v125, v73
	s_waitcnt vmcnt(0)
	v_sub_f32_e32 v74, v126, v74
	buffer_store_dword v73, off, s[0:3], 0 offset:168
	buffer_store_dword v74, off, s[0:3], 0 offset:172
	s_and_saveexec_b64 s[4:5], vcc
	s_cbranch_execz .LBB98_183
; %bb.182:
	buffer_load_dword v73, off, s[0:3], 0 offset:160
	buffer_load_dword v74, off, s[0:3], 0 offset:164
	s_waitcnt vmcnt(0)
	ds_write_b64 v71, v[73:74]
	buffer_store_dword v72, off, s[0:3], 0 offset:160
	buffer_store_dword v72, off, s[0:3], 0 offset:164
.LBB98_183:
	s_or_b64 exec, exec, s[4:5]
	s_waitcnt lgkmcnt(0)
	; wave barrier
	buffer_load_dword v101, off, s[0:3], 0 offset:172
	buffer_load_dword v102, off, s[0:3], 0 offset:180
	;; [unrolled: 1-line block ×30, first 2 shown]
	ds_read2_b64 v[73:76], v72 offset0:57 offset1:58
	ds_read2_b64 v[77:80], v72 offset0:59 offset1:60
	;; [unrolled: 1-line block ×7, first 2 shown]
	v_cmp_lt_u32_e32 vcc, 19, v0
	s_waitcnt vmcnt(29) lgkmcnt(6)
	v_mul_f32_e32 v72, v73, v101
	v_mul_f32_e32 v101, v74, v101
	s_waitcnt vmcnt(28)
	v_mul_f32_e32 v131, v75, v102
	v_mul_f32_e32 v102, v76, v102
	s_waitcnt vmcnt(27) lgkmcnt(5)
	v_mul_f32_e32 v132, v77, v103
	v_mul_f32_e32 v103, v78, v103
	s_waitcnt vmcnt(26)
	v_mul_f32_e32 v133, v79, v104
	v_mul_f32_e32 v104, v80, v104
	s_waitcnt vmcnt(25) lgkmcnt(4)
	v_mul_f32_e32 v134, v81, v105
	v_mul_f32_e32 v105, v82, v105
	s_waitcnt vmcnt(24)
	v_mul_f32_e32 v135, v83, v106
	s_waitcnt vmcnt(23) lgkmcnt(3)
	v_mul_f32_e32 v136, v85, v107
	s_waitcnt vmcnt(22)
	v_mul_f32_e32 v137, v87, v108
	s_waitcnt vmcnt(21) lgkmcnt(2)
	v_mul_f32_e32 v138, v89, v109
	s_waitcnt vmcnt(15)
	v_fma_f32 v73, v73, v115, -v101
	v_fmac_f32_e32 v72, v74, v115
	s_waitcnt vmcnt(14)
	v_fma_f32 v74, v75, v116, -v102
	v_add_f32_e32 v73, 0, v73
	s_waitcnt vmcnt(13)
	v_fma_f32 v75, v77, v117, -v103
	v_add_f32_e32 v73, v73, v74
	v_fmac_f32_e32 v131, v76, v116
	s_waitcnt vmcnt(12)
	v_fma_f32 v76, v79, v118, -v104
	v_add_f32_e32 v73, v73, v75
	s_waitcnt vmcnt(11)
	v_fma_f32 v77, v81, v119, -v105
	v_add_f32_e32 v73, v73, v76
	v_mul_f32_e32 v74, v84, v106
	v_add_f32_e32 v73, v73, v77
	s_waitcnt vmcnt(10)
	v_fma_f32 v74, v83, v120, -v74
	v_add_f32_e32 v73, v73, v74
	v_mul_f32_e32 v74, v86, v107
	s_waitcnt vmcnt(9)
	v_fma_f32 v74, v85, v121, -v74
	v_add_f32_e32 v73, v73, v74
	v_mul_f32_e32 v74, v88, v108
	s_waitcnt vmcnt(8)
	v_fma_f32 v74, v87, v122, -v74
	v_add_f32_e32 v72, 0, v72
	v_add_f32_e32 v73, v73, v74
	v_mul_f32_e32 v74, v90, v109
	v_fmac_f32_e32 v132, v78, v117
	v_add_f32_e32 v72, v72, v131
	s_waitcnt vmcnt(7)
	v_fma_f32 v74, v89, v123, -v74
	v_fmac_f32_e32 v133, v80, v118
	v_add_f32_e32 v72, v72, v132
	v_add_f32_e32 v73, v73, v74
	v_mul_f32_e32 v74, v92, v110
	v_fmac_f32_e32 v134, v82, v119
	v_add_f32_e32 v72, v72, v133
	s_waitcnt vmcnt(6)
	v_fma_f32 v74, v91, v124, -v74
	v_fmac_f32_e32 v135, v84, v120
	v_add_f32_e32 v72, v72, v134
	v_add_f32_e32 v73, v73, v74
	s_waitcnt lgkmcnt(1)
	v_mul_f32_e32 v74, v94, v111
	v_fmac_f32_e32 v136, v86, v121
	v_add_f32_e32 v72, v72, v135
	s_waitcnt vmcnt(5)
	v_fma_f32 v74, v93, v125, -v74
	v_fmac_f32_e32 v137, v88, v122
	v_add_f32_e32 v72, v72, v136
	v_add_f32_e32 v73, v73, v74
	v_mul_f32_e32 v74, v96, v112
	v_mul_f32_e32 v139, v91, v110
	v_fmac_f32_e32 v138, v90, v123
	v_add_f32_e32 v72, v72, v137
	s_waitcnt vmcnt(4)
	v_fma_f32 v74, v95, v126, -v74
	v_mul_f32_e32 v140, v93, v111
	v_fmac_f32_e32 v139, v92, v124
	v_add_f32_e32 v72, v72, v138
	v_add_f32_e32 v73, v73, v74
	s_waitcnt lgkmcnt(0)
	v_mul_f32_e32 v74, v98, v113
	v_mul_f32_e32 v141, v95, v112
	v_fmac_f32_e32 v140, v94, v125
	v_add_f32_e32 v72, v72, v139
	s_waitcnt vmcnt(3)
	v_fma_f32 v74, v97, v127, -v74
	v_mul_f32_e32 v142, v97, v113
	v_fmac_f32_e32 v141, v96, v126
	v_add_f32_e32 v72, v72, v140
	v_add_f32_e32 v73, v73, v74
	v_mul_f32_e32 v74, v100, v114
	v_mul_f32_e32 v143, v99, v114
	v_fmac_f32_e32 v142, v98, v127
	v_add_f32_e32 v72, v72, v141
	s_waitcnt vmcnt(2)
	v_fma_f32 v74, v99, v128, -v74
	v_fmac_f32_e32 v143, v100, v128
	v_add_f32_e32 v72, v72, v142
	v_add_f32_e32 v73, v73, v74
	;; [unrolled: 1-line block ×3, first 2 shown]
	s_waitcnt vmcnt(1)
	v_sub_f32_e32 v73, v129, v73
	s_waitcnt vmcnt(0)
	v_sub_f32_e32 v72, v130, v72
	buffer_store_dword v73, off, s[0:3], 0 offset:160
	buffer_store_dword v72, off, s[0:3], 0 offset:164
	s_and_saveexec_b64 s[4:5], vcc
	s_cbranch_execz .LBB98_185
; %bb.184:
	buffer_load_dword v72, off, s[0:3], 0 offset:152
	buffer_load_dword v73, off, s[0:3], 0 offset:156
	v_mov_b32_e32 v74, 0
	buffer_store_dword v74, off, s[0:3], 0 offset:152
	buffer_store_dword v74, off, s[0:3], 0 offset:156
	s_waitcnt vmcnt(2)
	ds_write_b64 v71, v[72:73]
.LBB98_185:
	s_or_b64 exec, exec, s[4:5]
	s_waitcnt lgkmcnt(0)
	; wave barrier
	buffer_load_dword v103, off, s[0:3], 0 offset:164
	buffer_load_dword v104, off, s[0:3], 0 offset:172
	;; [unrolled: 1-line block ×32, first 2 shown]
	v_mov_b32_e32 v72, 0
	ds_read_b128 v[73:76], v72 offset:448
	ds_read_b128 v[77:80], v72 offset:464
	;; [unrolled: 1-line block ×7, first 2 shown]
	ds_read_b64 v[101:102], v72 offset:560
	v_cmp_lt_u32_e32 vcc, 18, v0
	s_waitcnt vmcnt(31) lgkmcnt(7)
	v_mul_f32_e32 v135, v73, v103
	v_mul_f32_e32 v103, v74, v103
	s_waitcnt vmcnt(30)
	v_mul_f32_e32 v136, v75, v104
	v_mul_f32_e32 v104, v76, v104
	s_waitcnt vmcnt(29) lgkmcnt(6)
	v_mul_f32_e32 v137, v77, v105
	v_mul_f32_e32 v105, v78, v105
	s_waitcnt vmcnt(28)
	v_mul_f32_e32 v138, v79, v106
	s_waitcnt vmcnt(27) lgkmcnt(5)
	v_mul_f32_e32 v139, v81, v107
	s_waitcnt vmcnt(26)
	v_mul_f32_e32 v140, v83, v108
	s_waitcnt vmcnt(25) lgkmcnt(4)
	;; [unrolled: 4-line block ×4, first 2 shown]
	v_mul_f32_e32 v145, v93, v113
	s_waitcnt vmcnt(20)
	v_mul_f32_e32 v146, v95, v114
	s_waitcnt vmcnt(16)
	v_fma_f32 v73, v73, v118, -v103
	v_fmac_f32_e32 v135, v74, v118
	s_waitcnt vmcnt(15)
	v_fma_f32 v74, v75, v119, -v104
	v_add_f32_e32 v73, 0, v73
	s_waitcnt vmcnt(14)
	v_fma_f32 v75, v77, v120, -v105
	v_add_f32_e32 v73, v73, v74
	v_add_f32_e32 v73, v73, v75
	v_mul_f32_e32 v75, v80, v106
	s_waitcnt vmcnt(13)
	v_fma_f32 v75, v79, v121, -v75
	v_add_f32_e32 v73, v73, v75
	v_mul_f32_e32 v75, v82, v107
	s_waitcnt vmcnt(12)
	v_fma_f32 v75, v81, v122, -v75
	;; [unrolled: 4-line block ×5, first 2 shown]
	v_add_f32_e32 v73, v73, v75
	v_mul_f32_e32 v75, v90, v111
	v_fmac_f32_e32 v136, v76, v119
	v_add_f32_e32 v76, 0, v135
	s_waitcnt vmcnt(8)
	v_fma_f32 v75, v89, v126, -v75
	v_fmac_f32_e32 v137, v78, v120
	v_add_f32_e32 v76, v76, v136
	v_add_f32_e32 v73, v73, v75
	v_mul_f32_e32 v75, v92, v112
	v_fmac_f32_e32 v138, v80, v121
	v_add_f32_e32 v74, v76, v137
	s_waitcnt vmcnt(7)
	v_fma_f32 v75, v91, v127, -v75
	v_fmac_f32_e32 v139, v82, v122
	v_add_f32_e32 v74, v74, v138
	;; [unrolled: 8-line block ×4, first 2 shown]
	v_add_f32_e32 v73, v73, v75
	s_waitcnt lgkmcnt(1)
	v_mul_f32_e32 v75, v98, v115
	v_fmac_f32_e32 v144, v92, v127
	v_add_f32_e32 v74, v74, v143
	s_waitcnt vmcnt(4)
	v_fma_f32 v75, v97, v130, -v75
	v_fmac_f32_e32 v145, v94, v128
	v_add_f32_e32 v74, v74, v144
	v_add_f32_e32 v73, v73, v75
	v_mul_f32_e32 v75, v100, v116
	v_mul_f32_e32 v147, v97, v115
	v_fmac_f32_e32 v146, v96, v129
	v_add_f32_e32 v74, v74, v145
	s_waitcnt vmcnt(3)
	v_fma_f32 v75, v99, v131, -v75
	v_mul_f32_e32 v148, v99, v116
	v_fmac_f32_e32 v147, v98, v130
	v_add_f32_e32 v74, v74, v146
	v_add_f32_e32 v73, v73, v75
	s_waitcnt lgkmcnt(0)
	v_mul_f32_e32 v75, v102, v117
	v_mul_f32_e32 v149, v101, v117
	v_fmac_f32_e32 v148, v100, v131
	v_add_f32_e32 v74, v74, v147
	s_waitcnt vmcnt(2)
	v_fma_f32 v75, v101, v132, -v75
	v_fmac_f32_e32 v149, v102, v132
	v_add_f32_e32 v74, v74, v148
	v_add_f32_e32 v73, v73, v75
	;; [unrolled: 1-line block ×3, first 2 shown]
	s_waitcnt vmcnt(1)
	v_sub_f32_e32 v73, v133, v73
	s_waitcnt vmcnt(0)
	v_sub_f32_e32 v74, v134, v74
	buffer_store_dword v73, off, s[0:3], 0 offset:152
	buffer_store_dword v74, off, s[0:3], 0 offset:156
	s_and_saveexec_b64 s[4:5], vcc
	s_cbranch_execz .LBB98_187
; %bb.186:
	buffer_load_dword v73, off, s[0:3], 0 offset:144
	buffer_load_dword v74, off, s[0:3], 0 offset:148
	s_waitcnt vmcnt(0)
	ds_write_b64 v71, v[73:74]
	buffer_store_dword v72, off, s[0:3], 0 offset:144
	buffer_store_dword v72, off, s[0:3], 0 offset:148
.LBB98_187:
	s_or_b64 exec, exec, s[4:5]
	s_waitcnt lgkmcnt(0)
	; wave barrier
	buffer_load_dword v105, off, s[0:3], 0 offset:156
	buffer_load_dword v106, off, s[0:3], 0 offset:164
	;; [unrolled: 1-line block ×34, first 2 shown]
	ds_read2_b64 v[73:76], v72 offset0:55 offset1:56
	ds_read2_b64 v[77:80], v72 offset0:57 offset1:58
	;; [unrolled: 1-line block ×8, first 2 shown]
	v_cmp_lt_u32_e32 vcc, 17, v0
	s_waitcnt vmcnt(33) lgkmcnt(7)
	v_mul_f32_e32 v72, v73, v105
	v_mul_f32_e32 v105, v74, v105
	s_waitcnt vmcnt(32)
	v_mul_f32_e32 v139, v75, v106
	v_mul_f32_e32 v106, v76, v106
	s_waitcnt vmcnt(31) lgkmcnt(6)
	v_mul_f32_e32 v140, v77, v107
	s_waitcnt vmcnt(30)
	v_mul_f32_e32 v141, v79, v108
	s_waitcnt vmcnt(29) lgkmcnt(5)
	v_mul_f32_e32 v142, v81, v109
	s_waitcnt vmcnt(28)
	;; [unrolled: 4-line block ×6, first 2 shown]
	v_mul_f32_e32 v151, v99, v118
	s_waitcnt vmcnt(17)
	v_fma_f32 v73, v73, v121, -v105
	v_fmac_f32_e32 v72, v74, v121
	s_waitcnt vmcnt(16)
	v_fma_f32 v74, v75, v122, -v106
	v_add_f32_e32 v73, 0, v73
	v_add_f32_e32 v73, v73, v74
	v_mul_f32_e32 v74, v78, v107
	s_waitcnt vmcnt(15)
	v_fma_f32 v74, v77, v123, -v74
	v_add_f32_e32 v73, v73, v74
	v_mul_f32_e32 v74, v80, v108
	s_waitcnt vmcnt(14)
	v_fma_f32 v74, v79, v124, -v74
	;; [unrolled: 4-line block ×7, first 2 shown]
	v_fmac_f32_e32 v139, v76, v122
	v_add_f32_e32 v72, 0, v72
	v_add_f32_e32 v73, v73, v74
	v_mul_f32_e32 v74, v92, v114
	v_fmac_f32_e32 v140, v78, v123
	v_add_f32_e32 v72, v72, v139
	s_waitcnt vmcnt(8)
	v_fma_f32 v74, v91, v130, -v74
	v_fmac_f32_e32 v141, v80, v124
	v_add_f32_e32 v72, v72, v140
	v_add_f32_e32 v73, v73, v74
	v_mul_f32_e32 v74, v94, v115
	v_fmac_f32_e32 v142, v82, v125
	v_add_f32_e32 v72, v72, v141
	s_waitcnt vmcnt(7)
	v_fma_f32 v74, v93, v131, -v74
	;; [unrolled: 8-line block ×5, first 2 shown]
	v_fmac_f32_e32 v149, v96, v132
	v_add_f32_e32 v72, v72, v148
	v_add_f32_e32 v73, v73, v74
	s_waitcnt lgkmcnt(0)
	v_mul_f32_e32 v74, v102, v119
	v_fmac_f32_e32 v150, v98, v133
	v_add_f32_e32 v72, v72, v149
	s_waitcnt vmcnt(3)
	v_fma_f32 v74, v101, v135, -v74
	v_mul_f32_e32 v152, v101, v119
	v_fmac_f32_e32 v151, v100, v134
	v_add_f32_e32 v72, v72, v150
	v_add_f32_e32 v73, v73, v74
	v_mul_f32_e32 v74, v104, v120
	v_mul_f32_e32 v153, v103, v120
	v_fmac_f32_e32 v152, v102, v135
	v_add_f32_e32 v72, v72, v151
	s_waitcnt vmcnt(2)
	v_fma_f32 v74, v103, v136, -v74
	v_fmac_f32_e32 v153, v104, v136
	v_add_f32_e32 v72, v72, v152
	v_add_f32_e32 v73, v73, v74
	;; [unrolled: 1-line block ×3, first 2 shown]
	s_waitcnt vmcnt(1)
	v_sub_f32_e32 v73, v137, v73
	s_waitcnt vmcnt(0)
	v_sub_f32_e32 v72, v138, v72
	buffer_store_dword v73, off, s[0:3], 0 offset:144
	buffer_store_dword v72, off, s[0:3], 0 offset:148
	s_and_saveexec_b64 s[4:5], vcc
	s_cbranch_execz .LBB98_189
; %bb.188:
	buffer_load_dword v72, off, s[0:3], 0 offset:136
	buffer_load_dword v73, off, s[0:3], 0 offset:140
	v_mov_b32_e32 v74, 0
	buffer_store_dword v74, off, s[0:3], 0 offset:136
	buffer_store_dword v74, off, s[0:3], 0 offset:140
	s_waitcnt vmcnt(2)
	ds_write_b64 v71, v[72:73]
.LBB98_189:
	s_or_b64 exec, exec, s[4:5]
	s_waitcnt lgkmcnt(0)
	; wave barrier
	buffer_load_dword v107, off, s[0:3], 0 offset:148
	buffer_load_dword v108, off, s[0:3], 0 offset:156
	;; [unrolled: 1-line block ×36, first 2 shown]
	v_mov_b32_e32 v72, 0
	ds_read_b128 v[73:76], v72 offset:432
	ds_read_b128 v[77:80], v72 offset:448
	;; [unrolled: 1-line block ×8, first 2 shown]
	ds_read_b64 v[105:106], v72 offset:560
	v_cmp_lt_u32_e32 vcc, 16, v0
	s_waitcnt vmcnt(35) lgkmcnt(8)
	v_mul_f32_e32 v143, v73, v107
	s_waitcnt vmcnt(34)
	v_mul_f32_e32 v144, v75, v108
	s_waitcnt vmcnt(33) lgkmcnt(7)
	v_mul_f32_e32 v145, v77, v109
	s_waitcnt vmcnt(32)
	v_mul_f32_e32 v146, v79, v110
	;; [unrolled: 4-line block ×8, first 2 shown]
	s_waitcnt vmcnt(19) lgkmcnt(0)
	v_mul_f32_e32 v159, v105, v123
	s_waitcnt vmcnt(18)
	v_fmac_f32_e32 v143, v74, v124
	v_mul_f32_e32 v74, v74, v107
	v_fma_f32 v73, v73, v124, -v74
	v_mul_f32_e32 v74, v76, v108
	v_add_f32_e32 v73, 0, v73
	s_waitcnt vmcnt(17)
	v_fma_f32 v74, v75, v125, -v74
	v_add_f32_e32 v73, v73, v74
	v_mul_f32_e32 v74, v78, v109
	s_waitcnt vmcnt(16)
	v_fma_f32 v74, v77, v126, -v74
	v_add_f32_e32 v73, v73, v74
	v_mul_f32_e32 v74, v80, v110
	;; [unrolled: 4-line block ×8, first 2 shown]
	v_fmac_f32_e32 v144, v76, v125
	v_add_f32_e32 v143, 0, v143
	s_waitcnt vmcnt(9)
	v_fma_f32 v74, v91, v133, -v74
	v_fmac_f32_e32 v145, v78, v126
	v_add_f32_e32 v143, v143, v144
	v_add_f32_e32 v73, v73, v74
	v_mul_f32_e32 v74, v94, v117
	v_fmac_f32_e32 v146, v80, v127
	v_add_f32_e32 v143, v143, v145
	s_waitcnt vmcnt(8)
	v_fma_f32 v74, v93, v134, -v74
	v_fmac_f32_e32 v147, v82, v128
	v_add_f32_e32 v143, v143, v146
	v_add_f32_e32 v73, v73, v74
	v_mul_f32_e32 v74, v96, v118
	;; [unrolled: 8-line block ×7, first 2 shown]
	v_fmac_f32_e32 v158, v104, v139
	v_add_f32_e32 v143, v143, v157
	s_waitcnt vmcnt(2)
	v_fma_f32 v74, v105, v140, -v74
	v_fmac_f32_e32 v159, v106, v140
	v_add_f32_e32 v143, v143, v158
	v_add_f32_e32 v73, v73, v74
	;; [unrolled: 1-line block ×3, first 2 shown]
	s_waitcnt vmcnt(1)
	v_sub_f32_e32 v73, v141, v73
	s_waitcnt vmcnt(0)
	v_sub_f32_e32 v74, v142, v143
	buffer_store_dword v73, off, s[0:3], 0 offset:136
	buffer_store_dword v74, off, s[0:3], 0 offset:140
	s_and_saveexec_b64 s[4:5], vcc
	s_cbranch_execz .LBB98_191
; %bb.190:
	buffer_load_dword v73, off, s[0:3], 0 offset:128
	buffer_load_dword v74, off, s[0:3], 0 offset:132
	s_waitcnt vmcnt(0)
	ds_write_b64 v71, v[73:74]
	buffer_store_dword v72, off, s[0:3], 0 offset:128
	buffer_store_dword v72, off, s[0:3], 0 offset:132
.LBB98_191:
	s_or_b64 exec, exec, s[4:5]
	s_waitcnt lgkmcnt(0)
	; wave barrier
	buffer_load_dword v109, off, s[0:3], 0 offset:140
	buffer_load_dword v110, off, s[0:3], 0 offset:148
	;; [unrolled: 1-line block ×38, first 2 shown]
	ds_read2_b64 v[73:76], v72 offset0:53 offset1:54
	ds_read2_b64 v[77:80], v72 offset0:55 offset1:56
	;; [unrolled: 1-line block ×9, first 2 shown]
	v_cmp_lt_u32_e32 vcc, 15, v0
	s_waitcnt vmcnt(37) lgkmcnt(8)
	v_mul_f32_e32 v72, v73, v109
	s_waitcnt vmcnt(36)
	v_mul_f32_e32 v147, v75, v110
	s_waitcnt vmcnt(35) lgkmcnt(7)
	v_mul_f32_e32 v148, v77, v111
	s_waitcnt vmcnt(34)
	v_mul_f32_e32 v149, v79, v112
	;; [unrolled: 4-line block ×8, first 2 shown]
	s_waitcnt vmcnt(21) lgkmcnt(0)
	v_mul_f32_e32 v162, v105, v125
	s_waitcnt vmcnt(20)
	v_fmac_f32_e32 v72, v74, v126
	v_mul_f32_e32 v74, v74, v109
	v_fma_f32 v73, v73, v126, -v74
	v_mul_f32_e32 v74, v76, v110
	v_add_f32_e32 v73, 0, v73
	s_waitcnt vmcnt(19)
	v_fma_f32 v74, v75, v127, -v74
	v_add_f32_e32 v73, v73, v74
	v_mul_f32_e32 v74, v78, v111
	s_waitcnt vmcnt(18)
	v_fma_f32 v74, v77, v128, -v74
	v_add_f32_e32 v73, v73, v74
	v_mul_f32_e32 v74, v80, v112
	;; [unrolled: 4-line block ×8, first 2 shown]
	s_waitcnt vmcnt(11)
	v_fma_f32 v74, v91, v135, -v74
	v_fmac_f32_e32 v147, v76, v127
	v_add_f32_e32 v72, 0, v72
	v_add_f32_e32 v73, v73, v74
	v_mul_f32_e32 v74, v94, v119
	v_fmac_f32_e32 v148, v78, v128
	v_add_f32_e32 v72, v72, v147
	s_waitcnt vmcnt(10)
	v_fma_f32 v74, v93, v136, -v74
	v_fmac_f32_e32 v149, v80, v129
	v_add_f32_e32 v72, v72, v148
	v_add_f32_e32 v73, v73, v74
	v_mul_f32_e32 v74, v96, v120
	v_fmac_f32_e32 v150, v82, v130
	v_add_f32_e32 v72, v72, v149
	s_waitcnt vmcnt(9)
	v_fma_f32 v74, v95, v137, -v74
	v_fmac_f32_e32 v151, v84, v131
	v_add_f32_e32 v72, v72, v150
	v_add_f32_e32 v73, v73, v74
	v_mul_f32_e32 v74, v98, v121
	v_fmac_f32_e32 v152, v86, v132
	v_add_f32_e32 v72, v72, v151
	s_waitcnt vmcnt(8)
	v_fma_f32 v74, v97, v138, -v74
	v_fmac_f32_e32 v153, v88, v133
	v_add_f32_e32 v72, v72, v152
	v_add_f32_e32 v73, v73, v74
	v_mul_f32_e32 v74, v100, v122
	v_fmac_f32_e32 v154, v90, v134
	v_add_f32_e32 v72, v72, v153
	s_waitcnt vmcnt(7)
	v_fma_f32 v74, v99, v139, -v74
	v_fmac_f32_e32 v155, v92, v135
	v_add_f32_e32 v72, v72, v154
	v_add_f32_e32 v73, v73, v74
	v_mul_f32_e32 v74, v102, v123
	v_fmac_f32_e32 v156, v94, v136
	v_add_f32_e32 v72, v72, v155
	s_waitcnt vmcnt(6)
	v_fma_f32 v74, v101, v140, -v74
	v_fmac_f32_e32 v157, v96, v137
	v_add_f32_e32 v72, v72, v156
	v_add_f32_e32 v73, v73, v74
	v_mul_f32_e32 v74, v104, v124
	v_fmac_f32_e32 v158, v98, v138
	v_add_f32_e32 v72, v72, v157
	s_waitcnt vmcnt(5)
	v_fma_f32 v74, v103, v141, -v74
	v_fmac_f32_e32 v159, v100, v139
	v_add_f32_e32 v72, v72, v158
	v_add_f32_e32 v73, v73, v74
	v_mul_f32_e32 v74, v106, v125
	v_fmac_f32_e32 v160, v102, v140
	v_add_f32_e32 v72, v72, v159
	s_waitcnt vmcnt(4)
	v_fma_f32 v74, v105, v142, -v74
	v_fmac_f32_e32 v161, v104, v141
	v_add_f32_e32 v72, v72, v160
	v_add_f32_e32 v73, v73, v74
	s_waitcnt vmcnt(3)
	v_mul_f32_e32 v74, v108, v143
	v_add_f32_e32 v72, v72, v161
	v_fmac_f32_e32 v162, v106, v142
	v_mul_f32_e32 v147, v107, v143
	s_waitcnt vmcnt(2)
	v_fma_f32 v74, v107, v144, -v74
	v_add_f32_e32 v72, v72, v162
	v_fmac_f32_e32 v147, v108, v144
	v_add_f32_e32 v73, v73, v74
	v_add_f32_e32 v72, v72, v147
	s_waitcnt vmcnt(1)
	v_sub_f32_e32 v73, v145, v73
	s_waitcnt vmcnt(0)
	v_sub_f32_e32 v72, v146, v72
	buffer_store_dword v73, off, s[0:3], 0 offset:128
	buffer_store_dword v72, off, s[0:3], 0 offset:132
	s_and_saveexec_b64 s[4:5], vcc
	s_cbranch_execz .LBB98_193
; %bb.192:
	buffer_load_dword v72, off, s[0:3], 0 offset:120
	buffer_load_dword v73, off, s[0:3], 0 offset:124
	v_mov_b32_e32 v74, 0
	buffer_store_dword v74, off, s[0:3], 0 offset:120
	buffer_store_dword v74, off, s[0:3], 0 offset:124
	s_waitcnt vmcnt(2)
	ds_write_b64 v71, v[72:73]
.LBB98_193:
	s_or_b64 exec, exec, s[4:5]
	s_waitcnt lgkmcnt(0)
	; wave barrier
	buffer_load_dword v111, off, s[0:3], 0 offset:132
	buffer_load_dword v112, off, s[0:3], 0 offset:140
	;; [unrolled: 1-line block ×40, first 2 shown]
	v_mov_b32_e32 v72, 0
	ds_read_b128 v[73:76], v72 offset:416
	ds_read_b128 v[77:80], v72 offset:432
	;; [unrolled: 1-line block ×9, first 2 shown]
	v_cmp_lt_u32_e32 vcc, 14, v0
	s_waitcnt vmcnt(39) lgkmcnt(8)
	v_mul_f32_e32 v109, v73, v111
	s_waitcnt vmcnt(38)
	v_mul_f32_e32 v110, v75, v112
	s_waitcnt vmcnt(37) lgkmcnt(7)
	v_mul_f32_e32 v151, v77, v113
	s_waitcnt vmcnt(36)
	v_mul_f32_e32 v152, v79, v114
	;; [unrolled: 4-line block ×7, first 2 shown]
	s_waitcnt vmcnt(25) lgkmcnt(1)
	v_mul_f32_e32 v163, v101, v125
	s_waitcnt vmcnt(24)
	v_fmac_f32_e32 v109, v74, v126
	v_mul_f32_e32 v74, v74, v111
	v_fma_f32 v73, v73, v126, -v74
	v_mul_f32_e32 v74, v76, v112
	v_add_f32_e32 v73, 0, v73
	s_waitcnt vmcnt(23)
	v_fma_f32 v74, v75, v127, -v74
	v_add_f32_e32 v73, v73, v74
	v_mul_f32_e32 v74, v78, v113
	s_waitcnt vmcnt(22)
	v_fma_f32 v74, v77, v128, -v74
	v_add_f32_e32 v73, v73, v74
	v_mul_f32_e32 v74, v80, v114
	;; [unrolled: 4-line block ×6, first 2 shown]
	s_waitcnt vmcnt(17)
	v_fma_f32 v74, v87, v133, -v74
	v_fmac_f32_e32 v110, v76, v127
	v_add_f32_e32 v109, 0, v109
	v_add_f32_e32 v73, v73, v74
	v_mul_f32_e32 v74, v90, v119
	v_fmac_f32_e32 v151, v78, v128
	v_add_f32_e32 v109, v109, v110
	s_waitcnt vmcnt(16)
	v_fma_f32 v74, v89, v134, -v74
	v_fmac_f32_e32 v152, v80, v129
	v_add_f32_e32 v109, v109, v151
	v_add_f32_e32 v73, v73, v74
	v_mul_f32_e32 v74, v92, v120
	v_fmac_f32_e32 v153, v82, v130
	v_add_f32_e32 v109, v109, v152
	;; [unrolled: 8-line block ×6, first 2 shown]
	s_waitcnt vmcnt(11)
	v_fma_f32 v74, v99, v139, -v74
	v_fmac_f32_e32 v162, v100, v139
	v_add_f32_e32 v109, v109, v161
	v_add_f32_e32 v73, v73, v74
	v_mul_f32_e32 v74, v102, v125
	s_waitcnt vmcnt(10)
	v_fmac_f32_e32 v163, v102, v140
	v_add_f32_e32 v109, v109, v162
	s_waitcnt vmcnt(9)
	v_mul_f32_e32 v110, v103, v141
	v_fma_f32 v74, v101, v140, -v74
	v_add_f32_e32 v109, v109, v163
	s_waitcnt vmcnt(8)
	v_fmac_f32_e32 v110, v104, v142
	v_add_f32_e32 v73, v73, v74
	v_mul_f32_e32 v74, v104, v141
	v_add_f32_e32 v151, v109, v110
	ds_read_b64 v[109:110], v72 offset:560
	v_fma_f32 v74, v103, v142, -v74
	v_add_f32_e32 v73, v73, v74
	s_waitcnt vmcnt(7) lgkmcnt(1)
	v_mul_f32_e32 v74, v106, v143
	v_mul_f32_e32 v152, v105, v143
	s_waitcnt vmcnt(6)
	v_fma_f32 v74, v105, v144, -v74
	v_fmac_f32_e32 v152, v106, v144
	v_add_f32_e32 v73, v73, v74
	s_waitcnt vmcnt(5)
	v_mul_f32_e32 v74, v108, v145
	v_add_f32_e32 v151, v151, v152
	v_mul_f32_e32 v152, v107, v145
	s_waitcnt vmcnt(4)
	v_fma_f32 v74, v107, v146, -v74
	v_fmac_f32_e32 v152, v108, v146
	v_add_f32_e32 v73, v73, v74
	s_waitcnt vmcnt(3) lgkmcnt(0)
	v_mul_f32_e32 v74, v110, v147
	v_add_f32_e32 v151, v151, v152
	v_mul_f32_e32 v152, v109, v147
	s_waitcnt vmcnt(2)
	v_fma_f32 v74, v109, v148, -v74
	v_fmac_f32_e32 v152, v110, v148
	v_add_f32_e32 v73, v73, v74
	v_add_f32_e32 v151, v151, v152
	s_waitcnt vmcnt(1)
	v_sub_f32_e32 v73, v149, v73
	s_waitcnt vmcnt(0)
	v_sub_f32_e32 v74, v150, v151
	buffer_store_dword v73, off, s[0:3], 0 offset:120
	buffer_store_dword v74, off, s[0:3], 0 offset:124
	s_and_saveexec_b64 s[4:5], vcc
	s_cbranch_execz .LBB98_195
; %bb.194:
	buffer_load_dword v73, off, s[0:3], 0 offset:112
	buffer_load_dword v74, off, s[0:3], 0 offset:116
	s_waitcnt vmcnt(0)
	ds_write_b64 v71, v[73:74]
	buffer_store_dword v72, off, s[0:3], 0 offset:112
	buffer_store_dword v72, off, s[0:3], 0 offset:116
.LBB98_195:
	s_or_b64 exec, exec, s[4:5]
	s_waitcnt lgkmcnt(0)
	; wave barrier
	buffer_load_dword v113, off, s[0:3], 0 offset:124
	buffer_load_dword v114, off, s[0:3], 0 offset:132
	;; [unrolled: 1-line block ×42, first 2 shown]
	ds_read2_b64 v[73:76], v72 offset0:51 offset1:52
	ds_read2_b64 v[77:80], v72 offset0:53 offset1:54
	;; [unrolled: 1-line block ×8, first 2 shown]
	v_cmp_lt_u32_e32 vcc, 13, v0
	s_waitcnt vmcnt(41) lgkmcnt(7)
	v_mul_f32_e32 v105, v73, v113
	s_waitcnt vmcnt(40)
	v_mul_f32_e32 v106, v75, v114
	s_waitcnt vmcnt(39) lgkmcnt(6)
	v_mul_f32_e32 v107, v77, v115
	s_waitcnt vmcnt(38)
	v_mul_f32_e32 v108, v79, v116
	;; [unrolled: 4-line block ×7, first 2 shown]
	s_waitcnt vmcnt(27) lgkmcnt(0)
	v_mul_f32_e32 v161, v101, v127
	s_waitcnt vmcnt(26)
	v_fmac_f32_e32 v105, v74, v128
	v_mul_f32_e32 v74, v74, v113
	v_fma_f32 v73, v73, v128, -v74
	v_mul_f32_e32 v74, v76, v114
	v_add_f32_e32 v73, 0, v73
	s_waitcnt vmcnt(25)
	v_fma_f32 v74, v75, v129, -v74
	v_add_f32_e32 v73, v73, v74
	v_mul_f32_e32 v74, v78, v115
	s_waitcnt vmcnt(24)
	v_fma_f32 v74, v77, v130, -v74
	v_add_f32_e32 v73, v73, v74
	v_mul_f32_e32 v74, v80, v116
	;; [unrolled: 4-line block ×5, first 2 shown]
	v_fmac_f32_e32 v106, v76, v129
	v_add_f32_e32 v105, 0, v105
	s_waitcnt vmcnt(20)
	v_fma_f32 v74, v85, v134, -v74
	v_fmac_f32_e32 v107, v78, v130
	v_add_f32_e32 v105, v105, v106
	v_add_f32_e32 v73, v73, v74
	v_mul_f32_e32 v74, v88, v120
	v_fmac_f32_e32 v108, v80, v131
	v_add_f32_e32 v105, v105, v107
	s_waitcnt vmcnt(19)
	v_fma_f32 v74, v87, v135, -v74
	v_fmac_f32_e32 v109, v82, v132
	v_add_f32_e32 v105, v105, v108
	v_add_f32_e32 v73, v73, v74
	v_mul_f32_e32 v74, v90, v121
	;; [unrolled: 8-line block ×5, first 2 shown]
	s_waitcnt vmcnt(15)
	v_fmac_f32_e32 v158, v96, v139
	v_add_f32_e32 v105, v105, v157
	v_fma_f32 v74, v95, v139, -v74
	s_waitcnt vmcnt(14)
	v_fmac_f32_e32 v159, v98, v140
	v_add_f32_e32 v105, v105, v158
	v_add_f32_e32 v73, v73, v74
	v_mul_f32_e32 v74, v98, v125
	s_waitcnt vmcnt(13)
	v_fmac_f32_e32 v160, v100, v141
	v_add_f32_e32 v105, v105, v159
	v_fma_f32 v74, v97, v140, -v74
	s_waitcnt vmcnt(12)
	v_fmac_f32_e32 v161, v102, v142
	v_add_f32_e32 v105, v105, v160
	v_add_f32_e32 v73, v73, v74
	v_mul_f32_e32 v74, v100, v126
	v_add_f32_e32 v109, v105, v161
	ds_read2_b64 v[105:108], v72 offset0:67 offset1:68
	v_fma_f32 v74, v99, v141, -v74
	v_add_f32_e32 v73, v73, v74
	v_mul_f32_e32 v74, v102, v127
	s_waitcnt vmcnt(11)
	v_mul_f32_e32 v110, v103, v143
	v_fma_f32 v74, v101, v142, -v74
	s_waitcnt vmcnt(10)
	v_fmac_f32_e32 v110, v104, v144
	v_add_f32_e32 v73, v73, v74
	v_mul_f32_e32 v74, v104, v143
	v_add_f32_e32 v155, v109, v110
	ds_read2_b64 v[109:112], v72 offset0:69 offset1:70
	v_fma_f32 v74, v103, v144, -v74
	v_add_f32_e32 v73, v73, v74
	s_waitcnt vmcnt(9) lgkmcnt(1)
	v_mul_f32_e32 v74, v106, v145
	v_mul_f32_e32 v72, v105, v145
	s_waitcnt vmcnt(8)
	v_fma_f32 v74, v105, v146, -v74
	v_fmac_f32_e32 v72, v106, v146
	v_add_f32_e32 v73, v73, v74
	s_waitcnt vmcnt(7)
	v_mul_f32_e32 v74, v108, v147
	v_add_f32_e32 v72, v155, v72
	v_mul_f32_e32 v155, v107, v147
	s_waitcnt vmcnt(6)
	v_fma_f32 v74, v107, v148, -v74
	v_fmac_f32_e32 v155, v108, v148
	v_add_f32_e32 v73, v73, v74
	s_waitcnt vmcnt(5) lgkmcnt(0)
	v_mul_f32_e32 v74, v110, v149
	v_add_f32_e32 v72, v72, v155
	v_mul_f32_e32 v155, v109, v149
	s_waitcnt vmcnt(4)
	v_fma_f32 v74, v109, v150, -v74
	v_fmac_f32_e32 v155, v110, v150
	v_add_f32_e32 v73, v73, v74
	s_waitcnt vmcnt(3)
	v_mul_f32_e32 v74, v112, v151
	v_add_f32_e32 v72, v72, v155
	v_mul_f32_e32 v155, v111, v151
	s_waitcnt vmcnt(2)
	v_fma_f32 v74, v111, v152, -v74
	v_fmac_f32_e32 v155, v112, v152
	v_add_f32_e32 v73, v73, v74
	v_add_f32_e32 v72, v72, v155
	s_waitcnt vmcnt(1)
	v_sub_f32_e32 v73, v153, v73
	s_waitcnt vmcnt(0)
	v_sub_f32_e32 v72, v154, v72
	buffer_store_dword v73, off, s[0:3], 0 offset:112
	buffer_store_dword v72, off, s[0:3], 0 offset:116
	s_and_saveexec_b64 s[4:5], vcc
	s_cbranch_execz .LBB98_197
; %bb.196:
	buffer_load_dword v72, off, s[0:3], 0 offset:104
	buffer_load_dword v73, off, s[0:3], 0 offset:108
	v_mov_b32_e32 v74, 0
	buffer_store_dword v74, off, s[0:3], 0 offset:104
	buffer_store_dword v74, off, s[0:3], 0 offset:108
	s_waitcnt vmcnt(2)
	ds_write_b64 v71, v[72:73]
.LBB98_197:
	s_or_b64 exec, exec, s[4:5]
	s_waitcnt lgkmcnt(0)
	; wave barrier
	buffer_load_dword v115, off, s[0:3], 0 offset:116
	buffer_load_dword v116, off, s[0:3], 0 offset:124
	;; [unrolled: 1-line block ×44, first 2 shown]
	v_mov_b32_e32 v72, 0
	ds_read_b128 v[73:76], v72 offset:400
	ds_read_b128 v[77:80], v72 offset:416
	;; [unrolled: 1-line block ×8, first 2 shown]
	v_cmp_lt_u32_e32 vcc, 12, v0
	s_waitcnt vmcnt(43) lgkmcnt(7)
	v_mul_f32_e32 v105, v73, v115
	s_waitcnt vmcnt(42)
	v_mul_f32_e32 v106, v75, v116
	s_waitcnt vmcnt(41) lgkmcnt(6)
	v_mul_f32_e32 v107, v77, v117
	s_waitcnt vmcnt(40)
	v_mul_f32_e32 v108, v79, v118
	;; [unrolled: 4-line block ×7, first 2 shown]
	s_waitcnt vmcnt(29)
	v_fmac_f32_e32 v105, v74, v129
	v_mul_f32_e32 v74, v74, v115
	v_fma_f32 v73, v73, v129, -v74
	v_mul_f32_e32 v74, v76, v116
	v_add_f32_e32 v73, 0, v73
	s_waitcnt vmcnt(28)
	v_fma_f32 v74, v75, v130, -v74
	v_add_f32_e32 v73, v73, v74
	v_mul_f32_e32 v74, v78, v117
	s_waitcnt vmcnt(27)
	v_fma_f32 v74, v77, v131, -v74
	v_add_f32_e32 v73, v73, v74
	v_mul_f32_e32 v74, v80, v118
	;; [unrolled: 4-line block ×4, first 2 shown]
	s_waitcnt vmcnt(24)
	v_fma_f32 v74, v83, v134, -v74
	v_fmac_f32_e32 v106, v76, v130
	v_add_f32_e32 v105, 0, v105
	v_add_f32_e32 v73, v73, v74
	v_mul_f32_e32 v74, v86, v121
	v_fmac_f32_e32 v107, v78, v131
	v_add_f32_e32 v105, v105, v106
	s_waitcnt vmcnt(23)
	v_fma_f32 v74, v85, v135, -v74
	v_fmac_f32_e32 v108, v80, v132
	v_add_f32_e32 v105, v105, v107
	v_add_f32_e32 v73, v73, v74
	v_mul_f32_e32 v74, v88, v122
	v_fmac_f32_e32 v109, v82, v133
	v_add_f32_e32 v105, v105, v108
	;; [unrolled: 8-line block ×4, first 2 shown]
	s_waitcnt vmcnt(20)
	v_fma_f32 v74, v91, v138, -v74
	v_fmac_f32_e32 v114, v92, v138
	v_add_f32_e32 v105, v105, v113
	v_add_f32_e32 v73, v73, v74
	v_mul_f32_e32 v74, v94, v125
	s_waitcnt vmcnt(19)
	v_fmac_f32_e32 v159, v94, v139
	v_add_f32_e32 v105, v105, v114
	v_fma_f32 v74, v93, v139, -v74
	s_waitcnt vmcnt(18)
	v_fmac_f32_e32 v160, v96, v140
	v_add_f32_e32 v105, v105, v159
	v_add_f32_e32 v73, v73, v74
	v_mul_f32_e32 v74, v96, v126
	s_waitcnt vmcnt(17)
	v_fmac_f32_e32 v161, v98, v141
	v_add_f32_e32 v105, v105, v160
	v_fma_f32 v74, v95, v140, -v74
	v_add_f32_e32 v105, v105, v161
	s_waitcnt vmcnt(16)
	v_fmac_f32_e32 v162, v100, v142
	s_waitcnt vmcnt(15) lgkmcnt(0)
	v_mul_f32_e32 v106, v101, v143
	v_add_f32_e32 v73, v73, v74
	v_mul_f32_e32 v74, v98, v127
	v_add_f32_e32 v105, v105, v162
	s_waitcnt vmcnt(14)
	v_fmac_f32_e32 v106, v102, v144
	v_fma_f32 v74, v97, v141, -v74
	v_add_f32_e32 v109, v105, v106
	ds_read_b128 v[105:108], v72 offset:528
	v_add_f32_e32 v73, v73, v74
	v_mul_f32_e32 v74, v100, v128
	v_fma_f32 v74, v99, v142, -v74
	v_add_f32_e32 v73, v73, v74
	v_mul_f32_e32 v74, v102, v143
	s_waitcnt vmcnt(13)
	v_mul_f32_e32 v110, v103, v145
	v_fma_f32 v74, v101, v144, -v74
	s_waitcnt vmcnt(12)
	v_fmac_f32_e32 v110, v104, v146
	v_add_f32_e32 v73, v73, v74
	v_mul_f32_e32 v74, v104, v145
	v_add_f32_e32 v113, v109, v110
	ds_read_b128 v[109:112], v72 offset:544
	s_waitcnt vmcnt(11) lgkmcnt(1)
	v_mul_f32_e32 v114, v105, v147
	v_fma_f32 v74, v103, v146, -v74
	s_waitcnt vmcnt(10)
	v_fmac_f32_e32 v114, v106, v148
	v_add_f32_e32 v73, v73, v74
	v_mul_f32_e32 v74, v106, v147
	v_add_f32_e32 v113, v113, v114
	s_waitcnt vmcnt(9)
	v_mul_f32_e32 v114, v107, v149
	v_fma_f32 v74, v105, v148, -v74
	s_waitcnt vmcnt(8)
	v_fmac_f32_e32 v114, v108, v150
	v_add_f32_e32 v73, v73, v74
	v_mul_f32_e32 v74, v108, v149
	v_add_f32_e32 v159, v113, v114
	ds_read_b64 v[113:114], v72 offset:560
	v_fma_f32 v74, v107, v150, -v74
	v_add_f32_e32 v73, v73, v74
	s_waitcnt vmcnt(7) lgkmcnt(1)
	v_mul_f32_e32 v74, v110, v151
	v_mul_f32_e32 v160, v109, v151
	s_waitcnt vmcnt(6)
	v_fma_f32 v74, v109, v152, -v74
	v_fmac_f32_e32 v160, v110, v152
	v_add_f32_e32 v73, v73, v74
	s_waitcnt vmcnt(5)
	v_mul_f32_e32 v74, v112, v153
	v_add_f32_e32 v159, v159, v160
	v_mul_f32_e32 v160, v111, v153
	s_waitcnt vmcnt(4)
	v_fma_f32 v74, v111, v154, -v74
	v_fmac_f32_e32 v160, v112, v154
	v_add_f32_e32 v73, v73, v74
	s_waitcnt vmcnt(3) lgkmcnt(0)
	v_mul_f32_e32 v74, v114, v155
	v_add_f32_e32 v159, v159, v160
	v_mul_f32_e32 v160, v113, v155
	s_waitcnt vmcnt(2)
	v_fma_f32 v74, v113, v156, -v74
	v_fmac_f32_e32 v160, v114, v156
	v_add_f32_e32 v73, v73, v74
	v_add_f32_e32 v159, v159, v160
	s_waitcnt vmcnt(1)
	v_sub_f32_e32 v73, v157, v73
	s_waitcnt vmcnt(0)
	v_sub_f32_e32 v74, v158, v159
	buffer_store_dword v73, off, s[0:3], 0 offset:104
	buffer_store_dword v74, off, s[0:3], 0 offset:108
	s_and_saveexec_b64 s[4:5], vcc
	s_cbranch_execz .LBB98_199
; %bb.198:
	buffer_load_dword v73, off, s[0:3], 0 offset:96
	buffer_load_dword v74, off, s[0:3], 0 offset:100
	s_waitcnt vmcnt(0)
	ds_write_b64 v71, v[73:74]
	buffer_store_dword v72, off, s[0:3], 0 offset:96
	buffer_store_dword v72, off, s[0:3], 0 offset:100
.LBB98_199:
	s_or_b64 exec, exec, s[4:5]
	s_waitcnt lgkmcnt(0)
	; wave barrier
	buffer_load_dword v117, off, s[0:3], 0 offset:108
	buffer_load_dword v118, off, s[0:3], 0 offset:116
	;; [unrolled: 1-line block ×46, first 2 shown]
	ds_read2_b64 v[73:76], v72 offset0:49 offset1:50
	ds_read2_b64 v[77:80], v72 offset0:51 offset1:52
	;; [unrolled: 1-line block ×8, first 2 shown]
	v_cmp_lt_u32_e32 vcc, 11, v0
	s_waitcnt vmcnt(45) lgkmcnt(7)
	v_mul_f32_e32 v105, v73, v117
	s_waitcnt vmcnt(44)
	v_mul_f32_e32 v106, v75, v118
	s_waitcnt vmcnt(43) lgkmcnt(6)
	v_mul_f32_e32 v107, v77, v119
	s_waitcnt vmcnt(42)
	v_mul_f32_e32 v108, v79, v120
	;; [unrolled: 4-line block ×6, first 2 shown]
	s_waitcnt vmcnt(33) lgkmcnt(1)
	v_mul_f32_e32 v163, v97, v129
	s_waitcnt vmcnt(32)
	v_fmac_f32_e32 v105, v74, v130
	v_mul_f32_e32 v74, v74, v117
	v_fma_f32 v73, v73, v130, -v74
	v_mul_f32_e32 v74, v76, v118
	v_add_f32_e32 v73, 0, v73
	s_waitcnt vmcnt(31)
	v_fma_f32 v74, v75, v131, -v74
	v_add_f32_e32 v73, v73, v74
	v_mul_f32_e32 v74, v78, v119
	s_waitcnt vmcnt(30)
	v_fma_f32 v74, v77, v132, -v74
	v_add_f32_e32 v73, v73, v74
	v_mul_f32_e32 v74, v80, v120
	;; [unrolled: 4-line block ×4, first 2 shown]
	v_fmac_f32_e32 v106, v76, v131
	v_add_f32_e32 v105, 0, v105
	s_waitcnt vmcnt(27)
	v_fma_f32 v74, v83, v135, -v74
	v_fmac_f32_e32 v107, v78, v132
	v_add_f32_e32 v105, v105, v106
	v_add_f32_e32 v73, v73, v74
	v_mul_f32_e32 v74, v86, v123
	v_fmac_f32_e32 v108, v80, v133
	v_add_f32_e32 v105, v105, v107
	s_waitcnt vmcnt(26)
	v_fma_f32 v74, v85, v136, -v74
	v_fmac_f32_e32 v109, v82, v134
	v_add_f32_e32 v105, v105, v108
	v_add_f32_e32 v73, v73, v74
	v_mul_f32_e32 v74, v88, v124
	v_fmac_f32_e32 v110, v84, v135
	v_add_f32_e32 v105, v105, v109
	s_waitcnt vmcnt(25)
	v_fma_f32 v74, v87, v137, -v74
	v_fmac_f32_e32 v111, v86, v136
	v_add_f32_e32 v105, v105, v110
	v_add_f32_e32 v73, v73, v74
	v_mul_f32_e32 v74, v90, v125
	v_fmac_f32_e32 v112, v88, v137
	v_add_f32_e32 v105, v105, v111
	s_waitcnt vmcnt(24)
	v_fma_f32 v74, v89, v138, -v74
	v_fmac_f32_e32 v113, v90, v138
	v_add_f32_e32 v105, v105, v112
	v_add_f32_e32 v73, v73, v74
	v_mul_f32_e32 v74, v92, v126
	s_waitcnt vmcnt(23)
	v_fmac_f32_e32 v114, v92, v139
	v_add_f32_e32 v105, v105, v113
	v_fma_f32 v74, v91, v139, -v74
	s_waitcnt vmcnt(22)
	v_fmac_f32_e32 v115, v94, v140
	v_add_f32_e32 v105, v105, v114
	v_add_f32_e32 v73, v73, v74
	v_mul_f32_e32 v74, v94, v127
	s_waitcnt vmcnt(21)
	v_fmac_f32_e32 v116, v96, v141
	v_add_f32_e32 v105, v105, v115
	v_fma_f32 v74, v93, v140, -v74
	s_waitcnt vmcnt(20)
	v_fmac_f32_e32 v163, v98, v142
	v_add_f32_e32 v105, v105, v116
	s_waitcnt vmcnt(19)
	v_mul_f32_e32 v106, v99, v143
	v_add_f32_e32 v73, v73, v74
	v_mul_f32_e32 v74, v96, v128
	v_add_f32_e32 v105, v105, v163
	s_waitcnt vmcnt(18)
	v_fmac_f32_e32 v106, v100, v144
	v_fma_f32 v74, v95, v141, -v74
	v_add_f32_e32 v105, v105, v106
	s_waitcnt vmcnt(17) lgkmcnt(0)
	v_mul_f32_e32 v106, v101, v145
	v_add_f32_e32 v73, v73, v74
	v_mul_f32_e32 v74, v98, v129
	s_waitcnt vmcnt(16)
	v_fmac_f32_e32 v106, v102, v146
	v_fma_f32 v74, v97, v142, -v74
	v_add_f32_e32 v109, v105, v106
	ds_read2_b64 v[105:108], v72 offset0:65 offset1:66
	v_add_f32_e32 v73, v73, v74
	v_mul_f32_e32 v74, v100, v143
	v_fma_f32 v74, v99, v144, -v74
	v_add_f32_e32 v73, v73, v74
	v_mul_f32_e32 v74, v102, v145
	s_waitcnt vmcnt(15)
	v_mul_f32_e32 v110, v103, v147
	v_fma_f32 v74, v101, v146, -v74
	s_waitcnt vmcnt(14)
	v_fmac_f32_e32 v110, v104, v148
	v_add_f32_e32 v73, v73, v74
	v_mul_f32_e32 v74, v104, v147
	v_add_f32_e32 v113, v109, v110
	ds_read2_b64 v[109:112], v72 offset0:67 offset1:68
	s_waitcnt vmcnt(13) lgkmcnt(1)
	v_mul_f32_e32 v114, v105, v149
	v_fma_f32 v74, v103, v148, -v74
	s_waitcnt vmcnt(12)
	v_fmac_f32_e32 v114, v106, v150
	v_add_f32_e32 v73, v73, v74
	v_mul_f32_e32 v74, v106, v149
	v_add_f32_e32 v113, v113, v114
	s_waitcnt vmcnt(11)
	v_mul_f32_e32 v114, v107, v151
	v_fma_f32 v74, v105, v150, -v74
	s_waitcnt vmcnt(10)
	v_fmac_f32_e32 v114, v108, v152
	v_add_f32_e32 v73, v73, v74
	v_mul_f32_e32 v74, v108, v151
	v_add_f32_e32 v163, v113, v114
	ds_read2_b64 v[113:116], v72 offset0:69 offset1:70
	v_fma_f32 v74, v107, v152, -v74
	v_add_f32_e32 v73, v73, v74
	s_waitcnt vmcnt(9) lgkmcnt(1)
	v_mul_f32_e32 v74, v110, v153
	v_mul_f32_e32 v164, v109, v153
	s_waitcnt vmcnt(8)
	v_fma_f32 v74, v109, v154, -v74
	v_fmac_f32_e32 v164, v110, v154
	v_add_f32_e32 v73, v73, v74
	s_waitcnt vmcnt(7)
	v_mul_f32_e32 v74, v112, v155
	v_add_f32_e32 v72, v163, v164
	v_mul_f32_e32 v163, v111, v155
	s_waitcnt vmcnt(6)
	v_fma_f32 v74, v111, v156, -v74
	v_fmac_f32_e32 v163, v112, v156
	v_add_f32_e32 v73, v73, v74
	s_waitcnt vmcnt(5) lgkmcnt(0)
	v_mul_f32_e32 v74, v114, v157
	v_add_f32_e32 v72, v72, v163
	v_mul_f32_e32 v163, v113, v157
	s_waitcnt vmcnt(4)
	v_fma_f32 v74, v113, v158, -v74
	v_fmac_f32_e32 v163, v114, v158
	v_add_f32_e32 v73, v73, v74
	s_waitcnt vmcnt(3)
	v_mul_f32_e32 v74, v116, v159
	v_add_f32_e32 v72, v72, v163
	v_mul_f32_e32 v163, v115, v159
	s_waitcnt vmcnt(2)
	v_fma_f32 v74, v115, v160, -v74
	v_fmac_f32_e32 v163, v116, v160
	v_add_f32_e32 v73, v73, v74
	v_add_f32_e32 v72, v72, v163
	s_waitcnt vmcnt(1)
	v_sub_f32_e32 v73, v161, v73
	s_waitcnt vmcnt(0)
	v_sub_f32_e32 v72, v162, v72
	buffer_store_dword v73, off, s[0:3], 0 offset:96
	buffer_store_dword v72, off, s[0:3], 0 offset:100
	s_and_saveexec_b64 s[4:5], vcc
	s_cbranch_execz .LBB98_201
; %bb.200:
	buffer_load_dword v72, off, s[0:3], 0 offset:88
	buffer_load_dword v73, off, s[0:3], 0 offset:92
	v_mov_b32_e32 v74, 0
	buffer_store_dword v74, off, s[0:3], 0 offset:88
	buffer_store_dword v74, off, s[0:3], 0 offset:92
	s_waitcnt vmcnt(2)
	ds_write_b64 v71, v[72:73]
.LBB98_201:
	s_or_b64 exec, exec, s[4:5]
	s_waitcnt lgkmcnt(0)
	; wave barrier
	buffer_load_dword v119, off, s[0:3], 0 offset:100
	buffer_load_dword v120, off, s[0:3], 0 offset:108
	;; [unrolled: 1-line block ×48, first 2 shown]
	v_mov_b32_e32 v72, 0
	ds_read_b128 v[73:76], v72 offset:384
	ds_read_b128 v[77:80], v72 offset:400
	;; [unrolled: 1-line block ×7, first 2 shown]
	v_cmp_lt_u32_e32 vcc, 10, v0
	s_waitcnt vmcnt(47) lgkmcnt(6)
	v_mul_f32_e32 v101, v73, v119
	s_waitcnt vmcnt(46)
	v_mul_f32_e32 v102, v75, v120
	s_waitcnt vmcnt(45) lgkmcnt(5)
	v_mul_f32_e32 v103, v77, v121
	s_waitcnt vmcnt(44)
	v_mul_f32_e32 v104, v79, v122
	;; [unrolled: 4-line block ×6, first 2 shown]
	s_waitcnt vmcnt(35)
	v_fmac_f32_e32 v101, v74, v131
	v_mul_f32_e32 v74, v74, v119
	v_fma_f32 v73, v73, v131, -v74
	v_mul_f32_e32 v74, v76, v120
	v_add_f32_e32 v73, 0, v73
	s_waitcnt vmcnt(34)
	v_fma_f32 v74, v75, v132, -v74
	v_add_f32_e32 v73, v73, v74
	v_mul_f32_e32 v74, v78, v121
	s_waitcnt vmcnt(33)
	v_fma_f32 v74, v77, v133, -v74
	v_fmac_f32_e32 v102, v76, v132
	v_add_f32_e32 v101, 0, v101
	v_add_f32_e32 v73, v73, v74
	v_mul_f32_e32 v74, v80, v122
	v_fmac_f32_e32 v103, v78, v133
	v_add_f32_e32 v101, v101, v102
	s_waitcnt vmcnt(32)
	v_fma_f32 v74, v79, v134, -v74
	v_fmac_f32_e32 v104, v80, v134
	v_add_f32_e32 v101, v101, v103
	v_add_f32_e32 v73, v73, v74
	v_mul_f32_e32 v74, v82, v123
	s_waitcnt vmcnt(31)
	v_fmac_f32_e32 v105, v82, v135
	v_add_f32_e32 v101, v101, v104
	v_fma_f32 v74, v81, v135, -v74
	s_waitcnt vmcnt(30)
	v_fmac_f32_e32 v106, v84, v136
	v_add_f32_e32 v101, v101, v105
	v_add_f32_e32 v73, v73, v74
	v_mul_f32_e32 v74, v84, v124
	s_waitcnt vmcnt(29)
	v_fmac_f32_e32 v107, v86, v137
	v_add_f32_e32 v101, v101, v106
	v_fma_f32 v74, v83, v136, -v74
	s_waitcnt vmcnt(28)
	;; [unrolled: 9-line block ×4, first 2 shown]
	v_fmac_f32_e32 v112, v96, v142
	v_add_f32_e32 v101, v101, v111
	v_add_f32_e32 v73, v73, v74
	v_mul_f32_e32 v74, v90, v127
	v_add_f32_e32 v105, v101, v112
	ds_read_b128 v[101:104], v72 offset:496
	v_fma_f32 v74, v89, v139, -v74
	s_waitcnt vmcnt(23) lgkmcnt(1)
	v_mul_f32_e32 v106, v97, v143
	v_add_f32_e32 v73, v73, v74
	v_mul_f32_e32 v74, v92, v128
	s_waitcnt vmcnt(22)
	v_fmac_f32_e32 v106, v98, v144
	v_fma_f32 v74, v91, v140, -v74
	v_add_f32_e32 v105, v105, v106
	s_waitcnt vmcnt(21)
	v_mul_f32_e32 v106, v99, v145
	v_add_f32_e32 v73, v73, v74
	v_mul_f32_e32 v74, v94, v129
	s_waitcnt vmcnt(20)
	v_fmac_f32_e32 v106, v100, v146
	v_fma_f32 v74, v93, v141, -v74
	v_add_f32_e32 v105, v105, v106
	s_waitcnt vmcnt(19) lgkmcnt(0)
	v_mul_f32_e32 v106, v101, v147
	v_add_f32_e32 v73, v73, v74
	v_mul_f32_e32 v74, v96, v130
	s_waitcnt vmcnt(18)
	v_fmac_f32_e32 v106, v102, v148
	v_fma_f32 v74, v95, v142, -v74
	v_add_f32_e32 v109, v105, v106
	ds_read_b128 v[105:108], v72 offset:512
	v_add_f32_e32 v73, v73, v74
	v_mul_f32_e32 v74, v98, v143
	v_fma_f32 v74, v97, v144, -v74
	s_waitcnt vmcnt(17)
	v_mul_f32_e32 v110, v103, v149
	v_add_f32_e32 v73, v73, v74
	v_mul_f32_e32 v74, v100, v145
	s_waitcnt vmcnt(16)
	v_fmac_f32_e32 v110, v104, v150
	v_fma_f32 v74, v99, v146, -v74
	v_add_f32_e32 v113, v109, v110
	ds_read_b128 v[109:112], v72 offset:528
	v_add_f32_e32 v73, v73, v74
	v_mul_f32_e32 v74, v102, v147
	s_waitcnt vmcnt(15) lgkmcnt(1)
	v_mul_f32_e32 v114, v105, v151
	v_fma_f32 v74, v101, v148, -v74
	s_waitcnt vmcnt(14)
	v_fmac_f32_e32 v114, v106, v152
	v_add_f32_e32 v73, v73, v74
	v_mul_f32_e32 v74, v104, v149
	v_add_f32_e32 v113, v113, v114
	s_waitcnt vmcnt(13)
	v_mul_f32_e32 v114, v107, v153
	v_fma_f32 v74, v103, v150, -v74
	s_waitcnt vmcnt(12)
	v_fmac_f32_e32 v114, v108, v154
	v_add_f32_e32 v73, v73, v74
	v_mul_f32_e32 v74, v106, v151
	v_add_f32_e32 v113, v113, v114
	s_waitcnt vmcnt(11) lgkmcnt(0)
	v_mul_f32_e32 v114, v109, v155
	v_fma_f32 v74, v105, v152, -v74
	s_waitcnt vmcnt(10)
	v_fmac_f32_e32 v114, v110, v156
	v_add_f32_e32 v73, v73, v74
	v_mul_f32_e32 v74, v108, v153
	v_add_f32_e32 v117, v113, v114
	ds_read_b128 v[113:116], v72 offset:544
	v_fma_f32 v74, v107, v154, -v74
	v_add_f32_e32 v73, v73, v74
	v_mul_f32_e32 v74, v110, v155
	s_waitcnt vmcnt(9)
	v_mul_f32_e32 v118, v111, v157
	v_fma_f32 v74, v109, v156, -v74
	s_waitcnt vmcnt(8)
	v_fmac_f32_e32 v118, v112, v158
	v_add_f32_e32 v73, v73, v74
	v_mul_f32_e32 v74, v112, v157
	v_add_f32_e32 v167, v117, v118
	ds_read_b64 v[117:118], v72 offset:560
	v_fma_f32 v74, v111, v158, -v74
	v_add_f32_e32 v73, v73, v74
	s_waitcnt vmcnt(6) lgkmcnt(1)
	v_mul_f32_e32 v74, v114, v160
	v_mul_f32_e32 v168, v113, v160
	v_fma_f32 v74, v113, v159, -v74
	v_fmac_f32_e32 v168, v114, v159
	v_add_f32_e32 v73, v73, v74
	s_waitcnt vmcnt(3)
	v_mul_f32_e32 v74, v116, v163
	v_add_f32_e32 v167, v167, v168
	v_mul_f32_e32 v168, v115, v163
	s_waitcnt vmcnt(2)
	v_fma_f32 v74, v115, v164, -v74
	v_fmac_f32_e32 v168, v116, v164
	v_add_f32_e32 v73, v73, v74
	s_waitcnt vmcnt(0) lgkmcnt(0)
	v_mul_f32_e32 v74, v118, v166
	v_add_f32_e32 v167, v167, v168
	v_mul_f32_e32 v168, v117, v166
	v_fma_f32 v74, v117, v165, -v74
	v_fmac_f32_e32 v168, v118, v165
	v_add_f32_e32 v73, v73, v74
	v_add_f32_e32 v167, v167, v168
	v_sub_f32_e32 v73, v161, v73
	v_sub_f32_e32 v74, v162, v167
	buffer_store_dword v73, off, s[0:3], 0 offset:88
	buffer_store_dword v74, off, s[0:3], 0 offset:92
	s_and_saveexec_b64 s[4:5], vcc
	s_cbranch_execz .LBB98_203
; %bb.202:
	buffer_load_dword v73, off, s[0:3], 0 offset:80
	buffer_load_dword v74, off, s[0:3], 0 offset:84
	s_waitcnt vmcnt(0)
	ds_write_b64 v71, v[73:74]
	buffer_store_dword v72, off, s[0:3], 0 offset:80
	buffer_store_dword v72, off, s[0:3], 0 offset:84
.LBB98_203:
	s_or_b64 exec, exec, s[4:5]
	s_waitcnt lgkmcnt(0)
	; wave barrier
	buffer_load_dword v121, off, s[0:3], 0 offset:92
	buffer_load_dword v122, off, s[0:3], 0 offset:100
	;; [unrolled: 1-line block ×48, first 2 shown]
	ds_read2_b64 v[73:76], v72 offset0:47 offset1:48
	ds_read2_b64 v[77:80], v72 offset0:49 offset1:50
	buffer_load_dword v169, off, s[0:3], 0 offset:272
	buffer_load_dword v170, off, s[0:3], 0 offset:276
	ds_read2_b64 v[81:84], v72 offset0:51 offset1:52
	ds_read2_b64 v[85:88], v72 offset0:53 offset1:54
	;; [unrolled: 1-line block ×5, first 2 shown]
	v_cmp_lt_u32_e32 vcc, 9, v0
	s_waitcnt vmcnt(49) lgkmcnt(6)
	v_mul_f32_e32 v101, v73, v121
	s_waitcnt vmcnt(48)
	v_mul_f32_e32 v102, v75, v122
	s_waitcnt vmcnt(47) lgkmcnt(5)
	v_mul_f32_e32 v103, v77, v123
	s_waitcnt vmcnt(46)
	v_mul_f32_e32 v104, v79, v124
	;; [unrolled: 4-line block ×6, first 2 shown]
	s_waitcnt vmcnt(37)
	v_fmac_f32_e32 v101, v74, v133
	v_mul_f32_e32 v74, v74, v121
	v_fma_f32 v73, v73, v133, -v74
	v_mul_f32_e32 v74, v76, v122
	v_add_f32_e32 v73, 0, v73
	s_waitcnt vmcnt(36)
	v_fma_f32 v74, v75, v134, -v74
	v_add_f32_e32 v73, v73, v74
	v_mul_f32_e32 v74, v78, v123
	s_waitcnt vmcnt(35)
	v_fma_f32 v74, v77, v135, -v74
	v_fmac_f32_e32 v102, v76, v134
	v_add_f32_e32 v101, 0, v101
	v_add_f32_e32 v73, v73, v74
	v_mul_f32_e32 v74, v80, v124
	v_fmac_f32_e32 v103, v78, v135
	v_add_f32_e32 v101, v101, v102
	s_waitcnt vmcnt(34)
	v_fma_f32 v74, v79, v136, -v74
	v_fmac_f32_e32 v104, v80, v136
	v_add_f32_e32 v101, v101, v103
	v_add_f32_e32 v73, v73, v74
	v_mul_f32_e32 v74, v82, v125
	s_waitcnt vmcnt(33)
	v_fmac_f32_e32 v105, v82, v137
	v_add_f32_e32 v101, v101, v104
	v_fma_f32 v74, v81, v137, -v74
	s_waitcnt vmcnt(32)
	v_fmac_f32_e32 v106, v84, v138
	v_add_f32_e32 v101, v101, v105
	v_add_f32_e32 v73, v73, v74
	v_mul_f32_e32 v74, v84, v126
	s_waitcnt vmcnt(31)
	v_fmac_f32_e32 v107, v86, v139
	v_add_f32_e32 v101, v101, v106
	v_fma_f32 v74, v83, v138, -v74
	s_waitcnt vmcnt(30)
	;; [unrolled: 9-line block ×3, first 2 shown]
	v_fmac_f32_e32 v110, v92, v142
	v_add_f32_e32 v101, v101, v109
	v_add_f32_e32 v73, v73, v74
	v_mul_f32_e32 v74, v88, v128
	s_waitcnt vmcnt(27)
	v_fmac_f32_e32 v111, v94, v143
	v_add_f32_e32 v101, v101, v110
	v_fma_f32 v74, v87, v140, -v74
	v_add_f32_e32 v101, v101, v111
	s_waitcnt vmcnt(26)
	v_fmac_f32_e32 v112, v96, v144
	v_add_f32_e32 v73, v73, v74
	v_mul_f32_e32 v74, v90, v129
	v_add_f32_e32 v105, v101, v112
	ds_read2_b64 v[101:104], v72 offset0:61 offset1:62
	v_fma_f32 v74, v89, v141, -v74
	s_waitcnt vmcnt(25) lgkmcnt(1)
	v_mul_f32_e32 v106, v97, v145
	v_add_f32_e32 v73, v73, v74
	v_mul_f32_e32 v74, v92, v130
	s_waitcnt vmcnt(24)
	v_fmac_f32_e32 v106, v98, v146
	v_fma_f32 v74, v91, v142, -v74
	v_add_f32_e32 v105, v105, v106
	s_waitcnt vmcnt(23)
	v_mul_f32_e32 v106, v99, v147
	v_add_f32_e32 v73, v73, v74
	v_mul_f32_e32 v74, v94, v131
	s_waitcnt vmcnt(22)
	v_fmac_f32_e32 v106, v100, v148
	v_fma_f32 v74, v93, v143, -v74
	v_add_f32_e32 v105, v105, v106
	s_waitcnt vmcnt(21) lgkmcnt(0)
	v_mul_f32_e32 v106, v101, v149
	v_add_f32_e32 v73, v73, v74
	v_mul_f32_e32 v74, v96, v132
	s_waitcnt vmcnt(20)
	v_fmac_f32_e32 v106, v102, v150
	v_fma_f32 v74, v95, v144, -v74
	v_add_f32_e32 v109, v105, v106
	ds_read2_b64 v[105:108], v72 offset0:63 offset1:64
	v_add_f32_e32 v73, v73, v74
	v_mul_f32_e32 v74, v98, v145
	v_fma_f32 v74, v97, v146, -v74
	s_waitcnt vmcnt(19)
	v_mul_f32_e32 v110, v103, v151
	v_add_f32_e32 v73, v73, v74
	v_mul_f32_e32 v74, v100, v147
	s_waitcnt vmcnt(18)
	v_fmac_f32_e32 v110, v104, v152
	v_fma_f32 v74, v99, v148, -v74
	v_add_f32_e32 v113, v109, v110
	ds_read2_b64 v[109:112], v72 offset0:65 offset1:66
	v_add_f32_e32 v73, v73, v74
	v_mul_f32_e32 v74, v102, v149
	s_waitcnt vmcnt(17) lgkmcnt(1)
	v_mul_f32_e32 v114, v105, v153
	v_fma_f32 v74, v101, v150, -v74
	s_waitcnt vmcnt(16)
	v_fmac_f32_e32 v114, v106, v154
	v_add_f32_e32 v73, v73, v74
	v_mul_f32_e32 v74, v104, v151
	v_add_f32_e32 v113, v113, v114
	s_waitcnt vmcnt(15)
	v_mul_f32_e32 v114, v107, v155
	v_fma_f32 v74, v103, v152, -v74
	s_waitcnt vmcnt(14)
	v_fmac_f32_e32 v114, v108, v156
	v_add_f32_e32 v73, v73, v74
	v_mul_f32_e32 v74, v106, v153
	v_add_f32_e32 v113, v113, v114
	s_waitcnt vmcnt(13) lgkmcnt(0)
	v_mul_f32_e32 v114, v109, v157
	v_fma_f32 v74, v105, v154, -v74
	s_waitcnt vmcnt(12)
	v_fmac_f32_e32 v114, v110, v158
	v_add_f32_e32 v73, v73, v74
	v_mul_f32_e32 v74, v108, v155
	v_add_f32_e32 v117, v113, v114
	ds_read2_b64 v[113:116], v72 offset0:67 offset1:68
	v_fma_f32 v74, v107, v156, -v74
	v_add_f32_e32 v73, v73, v74
	v_mul_f32_e32 v74, v110, v157
	s_waitcnt vmcnt(11)
	v_mul_f32_e32 v118, v111, v159
	v_fma_f32 v74, v109, v158, -v74
	s_waitcnt vmcnt(10)
	v_fmac_f32_e32 v118, v112, v160
	v_add_f32_e32 v73, v73, v74
	v_mul_f32_e32 v74, v112, v159
	v_add_f32_e32 v171, v117, v118
	ds_read2_b64 v[117:120], v72 offset0:69 offset1:70
	v_fma_f32 v74, v111, v160, -v74
	v_add_f32_e32 v73, v73, v74
	s_waitcnt vmcnt(7) lgkmcnt(1)
	v_mul_f32_e32 v74, v114, v163
	v_mul_f32_e32 v72, v113, v163
	s_waitcnt vmcnt(6)
	v_fma_f32 v74, v113, v164, -v74
	v_fmac_f32_e32 v72, v114, v164
	v_add_f32_e32 v73, v73, v74
	s_waitcnt vmcnt(4)
	v_mul_f32_e32 v74, v116, v166
	v_add_f32_e32 v72, v171, v72
	v_mul_f32_e32 v171, v115, v166
	v_fma_f32 v74, v115, v165, -v74
	v_fmac_f32_e32 v171, v116, v165
	v_add_f32_e32 v73, v73, v74
	s_waitcnt vmcnt(2) lgkmcnt(0)
	v_mul_f32_e32 v74, v118, v168
	v_add_f32_e32 v72, v72, v171
	v_mul_f32_e32 v171, v117, v168
	v_fma_f32 v74, v117, v167, -v74
	v_fmac_f32_e32 v171, v118, v167
	v_add_f32_e32 v73, v73, v74
	s_waitcnt vmcnt(0)
	v_mul_f32_e32 v74, v120, v170
	v_add_f32_e32 v72, v72, v171
	v_mul_f32_e32 v171, v119, v170
	v_fma_f32 v74, v119, v169, -v74
	v_fmac_f32_e32 v171, v120, v169
	v_add_f32_e32 v73, v73, v74
	v_add_f32_e32 v72, v72, v171
	v_sub_f32_e32 v73, v161, v73
	v_sub_f32_e32 v72, v162, v72
	buffer_store_dword v73, off, s[0:3], 0 offset:80
	buffer_store_dword v72, off, s[0:3], 0 offset:84
	s_and_saveexec_b64 s[4:5], vcc
	s_cbranch_execz .LBB98_205
; %bb.204:
	buffer_load_dword v72, off, s[0:3], 0 offset:72
	buffer_load_dword v73, off, s[0:3], 0 offset:76
	v_mov_b32_e32 v74, 0
	buffer_store_dword v74, off, s[0:3], 0 offset:72
	buffer_store_dword v74, off, s[0:3], 0 offset:76
	s_waitcnt vmcnt(2)
	ds_write_b64 v71, v[72:73]
.LBB98_205:
	s_or_b64 exec, exec, s[4:5]
	s_waitcnt lgkmcnt(0)
	; wave barrier
	buffer_load_dword v123, off, s[0:3], 0 offset:84
	buffer_load_dword v124, off, s[0:3], 0 offset:92
	;; [unrolled: 1-line block ×52, first 2 shown]
	v_mov_b32_e32 v72, 0
	ds_read_b128 v[73:76], v72 offset:368
	ds_read_b128 v[77:80], v72 offset:384
	;; [unrolled: 1-line block ×6, first 2 shown]
	v_cmp_lt_u32_e32 vcc, 8, v0
	s_waitcnt vmcnt(51) lgkmcnt(5)
	v_mul_f32_e32 v97, v73, v123
	s_waitcnt vmcnt(50)
	v_mul_f32_e32 v98, v75, v124
	s_waitcnt vmcnt(49) lgkmcnt(4)
	v_mul_f32_e32 v99, v77, v125
	s_waitcnt vmcnt(48)
	v_mul_f32_e32 v100, v79, v126
	;; [unrolled: 4-line block ×5, first 2 shown]
	s_waitcnt vmcnt(41) lgkmcnt(0)
	v_mul_f32_e32 v107, v93, v133
	s_waitcnt vmcnt(40)
	v_fmac_f32_e32 v97, v74, v134
	v_mul_f32_e32 v74, v74, v123
	s_waitcnt vmcnt(39)
	v_fmac_f32_e32 v98, v76, v135
	v_add_f32_e32 v97, 0, v97
	v_fma_f32 v73, v73, v134, -v74
	v_mul_f32_e32 v74, v76, v124
	s_waitcnt vmcnt(38)
	v_fmac_f32_e32 v99, v78, v136
	v_add_f32_e32 v97, v97, v98
	v_add_f32_e32 v73, 0, v73
	v_fma_f32 v74, v75, v135, -v74
	s_waitcnt vmcnt(37)
	v_fmac_f32_e32 v100, v80, v137
	v_add_f32_e32 v97, v97, v99
	v_add_f32_e32 v73, v73, v74
	v_mul_f32_e32 v74, v78, v125
	s_waitcnt vmcnt(36)
	v_fmac_f32_e32 v101, v82, v138
	v_add_f32_e32 v97, v97, v100
	v_fma_f32 v74, v77, v136, -v74
	s_waitcnt vmcnt(35)
	v_fmac_f32_e32 v102, v84, v139
	v_add_f32_e32 v97, v97, v101
	v_add_f32_e32 v73, v73, v74
	v_mul_f32_e32 v74, v80, v126
	s_waitcnt vmcnt(34)
	v_fmac_f32_e32 v103, v86, v140
	v_add_f32_e32 v97, v97, v102
	v_fma_f32 v74, v79, v137, -v74
	s_waitcnt vmcnt(33)
	v_fmac_f32_e32 v104, v88, v141
	v_add_f32_e32 v97, v97, v103
	v_add_f32_e32 v73, v73, v74
	v_mul_f32_e32 v74, v82, v127
	s_waitcnt vmcnt(32)
	v_fmac_f32_e32 v105, v90, v142
	v_add_f32_e32 v97, v97, v104
	v_fma_f32 v74, v81, v138, -v74
	s_waitcnt vmcnt(31)
	v_fmac_f32_e32 v106, v92, v143
	v_add_f32_e32 v97, v97, v105
	v_add_f32_e32 v73, v73, v74
	v_mul_f32_e32 v74, v84, v128
	v_add_f32_e32 v97, v97, v106
	s_waitcnt vmcnt(30)
	v_fmac_f32_e32 v107, v94, v144
	v_fma_f32 v74, v83, v139, -v74
	v_add_f32_e32 v101, v97, v107
	ds_read_b128 v[97:100], v72 offset:464
	v_add_f32_e32 v73, v73, v74
	v_mul_f32_e32 v74, v86, v129
	v_fma_f32 v74, v85, v140, -v74
	s_waitcnt vmcnt(29)
	v_mul_f32_e32 v102, v95, v145
	v_add_f32_e32 v73, v73, v74
	v_mul_f32_e32 v74, v88, v130
	s_waitcnt vmcnt(28)
	v_fmac_f32_e32 v102, v96, v146
	v_fma_f32 v74, v87, v141, -v74
	v_add_f32_e32 v105, v101, v102
	ds_read_b128 v[101:104], v72 offset:480
	v_add_f32_e32 v73, v73, v74
	v_mul_f32_e32 v74, v90, v131
	s_waitcnt vmcnt(27) lgkmcnt(1)
	v_mul_f32_e32 v106, v97, v147
	v_fma_f32 v74, v89, v142, -v74
	s_waitcnt vmcnt(26)
	v_fmac_f32_e32 v106, v98, v148
	v_add_f32_e32 v73, v73, v74
	v_mul_f32_e32 v74, v92, v132
	v_add_f32_e32 v105, v105, v106
	s_waitcnt vmcnt(25)
	v_mul_f32_e32 v106, v99, v149
	v_fma_f32 v74, v91, v143, -v74
	s_waitcnt vmcnt(24)
	v_fmac_f32_e32 v106, v100, v150
	v_add_f32_e32 v73, v73, v74
	v_mul_f32_e32 v74, v94, v133
	v_add_f32_e32 v105, v105, v106
	s_waitcnt vmcnt(23) lgkmcnt(0)
	v_mul_f32_e32 v106, v101, v151
	v_fma_f32 v74, v93, v144, -v74
	s_waitcnt vmcnt(22)
	v_fmac_f32_e32 v106, v102, v152
	v_add_f32_e32 v73, v73, v74
	v_mul_f32_e32 v74, v96, v145
	v_add_f32_e32 v109, v105, v106
	ds_read_b128 v[105:108], v72 offset:496
	v_fma_f32 v74, v95, v146, -v74
	v_add_f32_e32 v73, v73, v74
	v_mul_f32_e32 v74, v98, v147
	s_waitcnt vmcnt(21)
	v_mul_f32_e32 v110, v103, v153
	v_fma_f32 v74, v97, v148, -v74
	s_waitcnt vmcnt(20)
	v_fmac_f32_e32 v110, v104, v154
	v_add_f32_e32 v73, v73, v74
	v_mul_f32_e32 v74, v100, v149
	v_add_f32_e32 v113, v109, v110
	ds_read_b128 v[109:112], v72 offset:512
	v_fma_f32 v74, v99, v150, -v74
	s_waitcnt vmcnt(19) lgkmcnt(1)
	v_mul_f32_e32 v114, v105, v155
	v_add_f32_e32 v73, v73, v74
	v_mul_f32_e32 v74, v102, v151
	s_waitcnt vmcnt(18)
	v_fmac_f32_e32 v114, v106, v156
	v_fma_f32 v74, v101, v152, -v74
	v_add_f32_e32 v113, v113, v114
	s_waitcnt vmcnt(17)
	v_mul_f32_e32 v114, v107, v157
	v_add_f32_e32 v73, v73, v74
	v_mul_f32_e32 v74, v104, v153
	s_waitcnt vmcnt(16)
	v_fmac_f32_e32 v114, v108, v158
	v_fma_f32 v74, v103, v154, -v74
	v_add_f32_e32 v113, v113, v114
	s_waitcnt vmcnt(14) lgkmcnt(0)
	v_mul_f32_e32 v114, v109, v160
	v_add_f32_e32 v73, v73, v74
	v_mul_f32_e32 v74, v106, v155
	v_fmac_f32_e32 v114, v110, v159
	v_fma_f32 v74, v105, v156, -v74
	v_add_f32_e32 v117, v113, v114
	ds_read_b128 v[113:116], v72 offset:528
	v_add_f32_e32 v73, v73, v74
	v_mul_f32_e32 v74, v108, v157
	v_fma_f32 v74, v107, v158, -v74
	v_add_f32_e32 v73, v73, v74
	v_mul_f32_e32 v74, v110, v160
	s_waitcnt vmcnt(11)
	v_mul_f32_e32 v118, v111, v163
	v_fma_f32 v74, v109, v159, -v74
	s_waitcnt vmcnt(10)
	v_fmac_f32_e32 v118, v112, v164
	v_add_f32_e32 v73, v73, v74
	v_mul_f32_e32 v74, v112, v163
	v_add_f32_e32 v121, v117, v118
	ds_read_b128 v[117:120], v72 offset:544
	s_waitcnt vmcnt(8) lgkmcnt(1)
	v_mul_f32_e32 v122, v113, v166
	v_fma_f32 v74, v111, v164, -v74
	v_fmac_f32_e32 v122, v114, v165
	v_add_f32_e32 v73, v73, v74
	v_mul_f32_e32 v74, v114, v166
	v_add_f32_e32 v121, v121, v122
	s_waitcnt vmcnt(6)
	v_mul_f32_e32 v122, v115, v168
	v_fma_f32 v74, v113, v165, -v74
	v_fmac_f32_e32 v122, v116, v167
	v_add_f32_e32 v73, v73, v74
	v_mul_f32_e32 v74, v116, v168
	v_add_f32_e32 v175, v121, v122
	ds_read_b64 v[121:122], v72 offset:560
	v_fma_f32 v74, v115, v167, -v74
	v_add_f32_e32 v73, v73, v74
	s_waitcnt vmcnt(4) lgkmcnt(1)
	v_mul_f32_e32 v74, v118, v170
	v_mul_f32_e32 v176, v117, v170
	v_fma_f32 v74, v117, v169, -v74
	v_fmac_f32_e32 v176, v118, v169
	v_add_f32_e32 v73, v73, v74
	s_waitcnt vmcnt(2)
	v_mul_f32_e32 v74, v120, v172
	v_add_f32_e32 v175, v175, v176
	v_mul_f32_e32 v176, v119, v172
	v_fma_f32 v74, v119, v171, -v74
	v_fmac_f32_e32 v176, v120, v171
	v_add_f32_e32 v73, v73, v74
	s_waitcnt vmcnt(0) lgkmcnt(0)
	v_mul_f32_e32 v74, v122, v174
	v_add_f32_e32 v175, v175, v176
	v_mul_f32_e32 v176, v121, v174
	v_fma_f32 v74, v121, v173, -v74
	v_fmac_f32_e32 v176, v122, v173
	v_add_f32_e32 v73, v73, v74
	v_add_f32_e32 v175, v175, v176
	v_sub_f32_e32 v73, v161, v73
	v_sub_f32_e32 v74, v162, v175
	buffer_store_dword v73, off, s[0:3], 0 offset:72
	buffer_store_dword v74, off, s[0:3], 0 offset:76
	s_and_saveexec_b64 s[4:5], vcc
	s_cbranch_execz .LBB98_207
; %bb.206:
	buffer_load_dword v73, off, s[0:3], 0 offset:64
	buffer_load_dword v74, off, s[0:3], 0 offset:68
	s_waitcnt vmcnt(0)
	ds_write_b64 v71, v[73:74]
	buffer_store_dword v72, off, s[0:3], 0 offset:64
	buffer_store_dword v72, off, s[0:3], 0 offset:68
.LBB98_207:
	s_or_b64 exec, exec, s[4:5]
	s_waitcnt lgkmcnt(0)
	; wave barrier
	buffer_load_dword v125, off, s[0:3], 0 offset:76
	buffer_load_dword v126, off, s[0:3], 0 offset:84
	;; [unrolled: 1-line block ×42, first 2 shown]
	ds_read2_b64 v[73:76], v72 offset0:45 offset1:46
	ds_read2_b64 v[77:80], v72 offset0:47 offset1:48
	;; [unrolled: 1-line block ×4, first 2 shown]
	buffer_load_dword v167, off, s[0:3], 0 offset:236
	buffer_load_dword v168, off, s[0:3], 0 offset:232
	;; [unrolled: 1-line block ×6, first 2 shown]
	ds_read2_b64 v[89:92], v72 offset0:53 offset1:54
	ds_read2_b64 v[93:96], v72 offset0:55 offset1:56
	buffer_load_dword v173, off, s[0:3], 0 offset:256
	buffer_load_dword v174, off, s[0:3], 0 offset:260
	;; [unrolled: 1-line block ×6, first 2 shown]
	v_cmp_lt_u32_e32 vcc, 7, v0
	s_waitcnt vmcnt(53) lgkmcnt(5)
	v_mul_f32_e32 v97, v73, v125
	s_waitcnt vmcnt(52)
	v_mul_f32_e32 v98, v75, v126
	s_waitcnt vmcnt(51) lgkmcnt(4)
	v_mul_f32_e32 v99, v77, v127
	s_waitcnt vmcnt(50)
	v_mul_f32_e32 v100, v79, v128
	;; [unrolled: 4-line block ×5, first 2 shown]
	s_waitcnt vmcnt(43)
	v_fmac_f32_e32 v97, v74, v135
	v_mul_f32_e32 v74, v74, v125
	s_waitcnt vmcnt(42)
	v_fmac_f32_e32 v98, v76, v136
	v_add_f32_e32 v97, 0, v97
	v_fma_f32 v73, v73, v135, -v74
	v_mul_f32_e32 v74, v76, v126
	s_waitcnt vmcnt(41)
	v_fmac_f32_e32 v99, v78, v137
	v_add_f32_e32 v97, v97, v98
	v_add_f32_e32 v73, 0, v73
	v_fma_f32 v74, v75, v136, -v74
	s_waitcnt vmcnt(40)
	v_fmac_f32_e32 v100, v80, v138
	v_add_f32_e32 v97, v97, v99
	v_add_f32_e32 v73, v73, v74
	v_mul_f32_e32 v74, v78, v127
	s_waitcnt vmcnt(39)
	v_fmac_f32_e32 v101, v82, v139
	v_add_f32_e32 v97, v97, v100
	v_fma_f32 v74, v77, v137, -v74
	s_waitcnt vmcnt(38)
	v_fmac_f32_e32 v102, v84, v140
	v_add_f32_e32 v97, v97, v101
	v_add_f32_e32 v73, v73, v74
	v_mul_f32_e32 v74, v80, v128
	s_waitcnt vmcnt(37)
	v_fmac_f32_e32 v103, v86, v141
	;; [unrolled: 9-line block ×3, first 2 shown]
	v_add_f32_e32 v97, v97, v104
	v_fma_f32 v74, v81, v139, -v74
	s_waitcnt vmcnt(34)
	v_fmac_f32_e32 v106, v92, v144
	v_add_f32_e32 v97, v97, v105
	s_waitcnt vmcnt(33) lgkmcnt(0)
	v_mul_f32_e32 v98, v93, v145
	v_add_f32_e32 v73, v73, v74
	v_mul_f32_e32 v74, v84, v130
	v_add_f32_e32 v97, v97, v106
	s_waitcnt vmcnt(32)
	v_fmac_f32_e32 v98, v94, v146
	v_fma_f32 v74, v83, v140, -v74
	v_add_f32_e32 v101, v97, v98
	ds_read2_b64 v[97:100], v72 offset0:57 offset1:58
	v_add_f32_e32 v73, v73, v74
	v_mul_f32_e32 v74, v86, v131
	v_fma_f32 v74, v85, v141, -v74
	s_waitcnt vmcnt(31)
	v_mul_f32_e32 v102, v95, v147
	v_add_f32_e32 v73, v73, v74
	v_mul_f32_e32 v74, v88, v132
	s_waitcnt vmcnt(30)
	v_fmac_f32_e32 v102, v96, v148
	v_fma_f32 v74, v87, v142, -v74
	v_add_f32_e32 v105, v101, v102
	ds_read2_b64 v[101:104], v72 offset0:59 offset1:60
	v_add_f32_e32 v73, v73, v74
	v_mul_f32_e32 v74, v90, v133
	s_waitcnt vmcnt(29) lgkmcnt(1)
	v_mul_f32_e32 v106, v97, v149
	v_fma_f32 v74, v89, v143, -v74
	s_waitcnt vmcnt(28)
	v_fmac_f32_e32 v106, v98, v150
	v_add_f32_e32 v73, v73, v74
	v_mul_f32_e32 v74, v92, v134
	v_add_f32_e32 v105, v105, v106
	s_waitcnt vmcnt(27)
	v_mul_f32_e32 v106, v99, v151
	v_fma_f32 v74, v91, v144, -v74
	s_waitcnt vmcnt(26)
	v_fmac_f32_e32 v106, v100, v152
	v_add_f32_e32 v73, v73, v74
	v_mul_f32_e32 v74, v94, v145
	v_add_f32_e32 v105, v105, v106
	s_waitcnt vmcnt(25) lgkmcnt(0)
	v_mul_f32_e32 v106, v101, v153
	v_fma_f32 v74, v93, v146, -v74
	s_waitcnt vmcnt(24)
	v_fmac_f32_e32 v106, v102, v154
	v_add_f32_e32 v73, v73, v74
	v_mul_f32_e32 v74, v96, v147
	v_add_f32_e32 v109, v105, v106
	ds_read2_b64 v[105:108], v72 offset0:61 offset1:62
	v_fma_f32 v74, v95, v148, -v74
	v_add_f32_e32 v73, v73, v74
	v_mul_f32_e32 v74, v98, v149
	s_waitcnt vmcnt(23)
	v_mul_f32_e32 v110, v103, v155
	v_fma_f32 v74, v97, v150, -v74
	s_waitcnt vmcnt(22)
	v_fmac_f32_e32 v110, v104, v156
	v_add_f32_e32 v73, v73, v74
	v_mul_f32_e32 v74, v100, v151
	v_add_f32_e32 v113, v109, v110
	ds_read2_b64 v[109:112], v72 offset0:63 offset1:64
	v_fma_f32 v74, v99, v152, -v74
	s_waitcnt vmcnt(21) lgkmcnt(1)
	v_mul_f32_e32 v114, v105, v157
	v_add_f32_e32 v73, v73, v74
	v_mul_f32_e32 v74, v102, v153
	s_waitcnt vmcnt(20)
	v_fmac_f32_e32 v114, v106, v158
	v_fma_f32 v74, v101, v154, -v74
	v_add_f32_e32 v113, v113, v114
	s_waitcnt vmcnt(18)
	v_mul_f32_e32 v114, v107, v160
	v_add_f32_e32 v73, v73, v74
	v_mul_f32_e32 v74, v104, v155
	v_fmac_f32_e32 v114, v108, v159
	v_fma_f32 v74, v103, v156, -v74
	v_add_f32_e32 v113, v113, v114
	s_waitcnt vmcnt(15) lgkmcnt(0)
	v_mul_f32_e32 v114, v109, v163
	v_add_f32_e32 v73, v73, v74
	v_mul_f32_e32 v74, v106, v157
	s_waitcnt vmcnt(14)
	v_fmac_f32_e32 v114, v110, v164
	v_fma_f32 v74, v105, v158, -v74
	v_add_f32_e32 v117, v113, v114
	ds_read2_b64 v[113:116], v72 offset0:65 offset1:66
	v_add_f32_e32 v73, v73, v74
	v_mul_f32_e32 v74, v108, v160
	v_fma_f32 v74, v107, v159, -v74
	v_add_f32_e32 v73, v73, v74
	v_mul_f32_e32 v74, v110, v163
	s_waitcnt vmcnt(12)
	v_mul_f32_e32 v118, v111, v166
	v_fma_f32 v74, v109, v164, -v74
	v_fmac_f32_e32 v118, v112, v165
	v_add_f32_e32 v73, v73, v74
	v_mul_f32_e32 v74, v112, v166
	v_add_f32_e32 v121, v117, v118
	ds_read2_b64 v[117:120], v72 offset0:67 offset1:68
	s_waitcnt vmcnt(11) lgkmcnt(1)
	v_mul_f32_e32 v122, v113, v167
	v_fma_f32 v74, v111, v165, -v74
	s_waitcnt vmcnt(10)
	v_fmac_f32_e32 v122, v114, v168
	v_add_f32_e32 v73, v73, v74
	v_mul_f32_e32 v74, v114, v167
	v_add_f32_e32 v121, v121, v122
	s_waitcnt vmcnt(8)
	v_mul_f32_e32 v122, v115, v170
	v_fma_f32 v74, v113, v168, -v74
	v_fmac_f32_e32 v122, v116, v169
	v_add_f32_e32 v73, v73, v74
	v_mul_f32_e32 v74, v116, v170
	v_add_f32_e32 v179, v121, v122
	ds_read2_b64 v[121:124], v72 offset0:69 offset1:70
	v_fma_f32 v74, v115, v169, -v74
	v_add_f32_e32 v73, v73, v74
	s_waitcnt vmcnt(6) lgkmcnt(1)
	v_mul_f32_e32 v74, v118, v172
	v_mul_f32_e32 v180, v117, v172
	v_fma_f32 v74, v117, v171, -v74
	v_fmac_f32_e32 v180, v118, v171
	v_add_f32_e32 v73, v73, v74
	s_waitcnt vmcnt(4)
	v_mul_f32_e32 v74, v120, v174
	v_add_f32_e32 v72, v179, v180
	v_mul_f32_e32 v179, v119, v174
	v_fma_f32 v74, v119, v173, -v74
	v_fmac_f32_e32 v179, v120, v173
	v_add_f32_e32 v73, v73, v74
	s_waitcnt vmcnt(2) lgkmcnt(0)
	v_mul_f32_e32 v74, v122, v176
	v_add_f32_e32 v72, v72, v179
	v_mul_f32_e32 v179, v121, v176
	v_fma_f32 v74, v121, v175, -v74
	v_fmac_f32_e32 v179, v122, v175
	v_add_f32_e32 v73, v73, v74
	s_waitcnt vmcnt(0)
	v_mul_f32_e32 v74, v124, v178
	v_add_f32_e32 v72, v72, v179
	v_mul_f32_e32 v179, v123, v178
	v_fma_f32 v74, v123, v177, -v74
	v_fmac_f32_e32 v179, v124, v177
	v_add_f32_e32 v73, v73, v74
	v_add_f32_e32 v72, v72, v179
	v_sub_f32_e32 v73, v161, v73
	v_sub_f32_e32 v72, v162, v72
	buffer_store_dword v73, off, s[0:3], 0 offset:64
	buffer_store_dword v72, off, s[0:3], 0 offset:68
	s_and_saveexec_b64 s[4:5], vcc
	s_cbranch_execz .LBB98_209
; %bb.208:
	buffer_load_dword v72, off, s[0:3], 0 offset:56
	buffer_load_dword v73, off, s[0:3], 0 offset:60
	v_mov_b32_e32 v74, 0
	buffer_store_dword v74, off, s[0:3], 0 offset:56
	buffer_store_dword v74, off, s[0:3], 0 offset:60
	s_waitcnt vmcnt(2)
	ds_write_b64 v71, v[72:73]
.LBB98_209:
	s_or_b64 exec, exec, s[4:5]
	s_waitcnt lgkmcnt(0)
	; wave barrier
	buffer_load_dword v127, off, s[0:3], 0 offset:68
	buffer_load_dword v128, off, s[0:3], 0 offset:76
	;; [unrolled: 1-line block ×56, first 2 shown]
	v_mov_b32_e32 v72, 0
	ds_read_b128 v[73:76], v72 offset:352
	ds_read_b128 v[77:80], v72 offset:368
	;; [unrolled: 1-line block ×6, first 2 shown]
	v_cmp_lt_u32_e32 vcc, 6, v0
	s_waitcnt vmcnt(55) lgkmcnt(5)
	v_mul_f32_e32 v97, v73, v127
	s_waitcnt vmcnt(54)
	v_mul_f32_e32 v98, v75, v128
	s_waitcnt vmcnt(53) lgkmcnt(4)
	v_mul_f32_e32 v99, v77, v129
	s_waitcnt vmcnt(52)
	v_mul_f32_e32 v100, v79, v130
	;; [unrolled: 4-line block ×4, first 2 shown]
	s_waitcnt vmcnt(47) lgkmcnt(1)
	v_mul_f32_e32 v105, v89, v135
	s_waitcnt vmcnt(46)
	v_fmac_f32_e32 v97, v74, v136
	s_waitcnt vmcnt(45)
	v_fmac_f32_e32 v98, v76, v137
	v_add_f32_e32 v97, 0, v97
	s_waitcnt vmcnt(44)
	v_fmac_f32_e32 v99, v78, v138
	v_add_f32_e32 v97, v97, v98
	;; [unrolled: 3-line block ×3, first 2 shown]
	v_mul_f32_e32 v74, v74, v127
	s_waitcnt vmcnt(42)
	v_fmac_f32_e32 v101, v82, v140
	v_add_f32_e32 v97, v97, v100
	v_fma_f32 v73, v73, v136, -v74
	v_mul_f32_e32 v74, v76, v128
	s_waitcnt vmcnt(41)
	v_fmac_f32_e32 v102, v84, v141
	v_add_f32_e32 v97, v97, v101
	v_add_f32_e32 v73, 0, v73
	v_fma_f32 v74, v75, v137, -v74
	s_waitcnt vmcnt(40)
	v_fmac_f32_e32 v103, v86, v142
	v_add_f32_e32 v97, v97, v102
	v_add_f32_e32 v73, v73, v74
	v_mul_f32_e32 v74, v78, v129
	s_waitcnt vmcnt(39)
	v_fmac_f32_e32 v104, v88, v143
	v_add_f32_e32 v97, v97, v103
	v_fma_f32 v74, v77, v138, -v74
	v_add_f32_e32 v97, v97, v104
	s_waitcnt vmcnt(38)
	v_fmac_f32_e32 v105, v90, v144
	s_waitcnt vmcnt(37)
	v_mul_f32_e32 v98, v91, v145
	v_add_f32_e32 v73, v73, v74
	v_mul_f32_e32 v74, v80, v130
	v_add_f32_e32 v97, v97, v105
	s_waitcnt vmcnt(36)
	v_fmac_f32_e32 v98, v92, v146
	v_fma_f32 v74, v79, v139, -v74
	v_add_f32_e32 v97, v97, v98
	s_waitcnt vmcnt(35) lgkmcnt(0)
	v_mul_f32_e32 v98, v93, v147
	v_add_f32_e32 v73, v73, v74
	v_mul_f32_e32 v74, v82, v131
	s_waitcnt vmcnt(34)
	v_fmac_f32_e32 v98, v94, v148
	v_fma_f32 v74, v81, v140, -v74
	v_add_f32_e32 v101, v97, v98
	ds_read_b128 v[97:100], v72 offset:448
	v_add_f32_e32 v73, v73, v74
	v_mul_f32_e32 v74, v84, v132
	v_fma_f32 v74, v83, v141, -v74
	s_waitcnt vmcnt(33)
	v_mul_f32_e32 v102, v95, v149
	v_add_f32_e32 v73, v73, v74
	v_mul_f32_e32 v74, v86, v133
	s_waitcnt vmcnt(32)
	v_fmac_f32_e32 v102, v96, v150
	v_fma_f32 v74, v85, v142, -v74
	v_add_f32_e32 v105, v101, v102
	ds_read_b128 v[101:104], v72 offset:464
	v_add_f32_e32 v73, v73, v74
	v_mul_f32_e32 v74, v88, v134
	s_waitcnt vmcnt(31) lgkmcnt(1)
	v_mul_f32_e32 v106, v97, v151
	v_fma_f32 v74, v87, v143, -v74
	s_waitcnt vmcnt(30)
	v_fmac_f32_e32 v106, v98, v152
	v_add_f32_e32 v73, v73, v74
	v_mul_f32_e32 v74, v90, v135
	v_add_f32_e32 v105, v105, v106
	s_waitcnt vmcnt(29)
	v_mul_f32_e32 v106, v99, v153
	v_fma_f32 v74, v89, v144, -v74
	s_waitcnt vmcnt(28)
	v_fmac_f32_e32 v106, v100, v154
	v_add_f32_e32 v73, v73, v74
	v_mul_f32_e32 v74, v92, v145
	v_add_f32_e32 v105, v105, v106
	s_waitcnt vmcnt(27) lgkmcnt(0)
	v_mul_f32_e32 v106, v101, v155
	v_fma_f32 v74, v91, v146, -v74
	s_waitcnt vmcnt(26)
	v_fmac_f32_e32 v106, v102, v156
	v_add_f32_e32 v73, v73, v74
	v_mul_f32_e32 v74, v94, v147
	v_add_f32_e32 v109, v105, v106
	ds_read_b128 v[105:108], v72 offset:480
	v_fma_f32 v74, v93, v148, -v74
	v_add_f32_e32 v73, v73, v74
	v_mul_f32_e32 v74, v96, v149
	s_waitcnt vmcnt(24)
	v_mul_f32_e32 v110, v103, v158
	v_fma_f32 v74, v95, v150, -v74
	v_fmac_f32_e32 v110, v104, v157
	v_add_f32_e32 v73, v73, v74
	v_mul_f32_e32 v74, v98, v151
	v_add_f32_e32 v113, v109, v110
	ds_read_b128 v[109:112], v72 offset:496
	v_fma_f32 v74, v97, v152, -v74
	s_waitcnt vmcnt(21) lgkmcnt(1)
	v_mul_f32_e32 v114, v105, v161
	v_add_f32_e32 v73, v73, v74
	v_mul_f32_e32 v74, v100, v153
	s_waitcnt vmcnt(20)
	v_fmac_f32_e32 v114, v106, v162
	v_fma_f32 v74, v99, v154, -v74
	v_add_f32_e32 v113, v113, v114
	s_waitcnt vmcnt(18)
	v_mul_f32_e32 v114, v107, v164
	v_add_f32_e32 v73, v73, v74
	v_mul_f32_e32 v74, v102, v155
	v_fmac_f32_e32 v114, v108, v163
	v_fma_f32 v74, v101, v156, -v74
	v_add_f32_e32 v113, v113, v114
	s_waitcnt vmcnt(16) lgkmcnt(0)
	v_mul_f32_e32 v114, v109, v166
	v_add_f32_e32 v73, v73, v74
	v_mul_f32_e32 v74, v104, v158
	v_fmac_f32_e32 v114, v110, v165
	v_fma_f32 v74, v103, v157, -v74
	v_add_f32_e32 v117, v113, v114
	ds_read_b128 v[113:116], v72 offset:512
	v_add_f32_e32 v73, v73, v74
	v_mul_f32_e32 v74, v106, v161
	v_fma_f32 v74, v105, v162, -v74
	s_waitcnt vmcnt(14)
	v_mul_f32_e32 v118, v111, v168
	v_add_f32_e32 v73, v73, v74
	v_mul_f32_e32 v74, v108, v164
	v_fmac_f32_e32 v118, v112, v167
	v_fma_f32 v74, v107, v163, -v74
	v_add_f32_e32 v121, v117, v118
	ds_read_b128 v[117:120], v72 offset:528
	v_add_f32_e32 v73, v73, v74
	v_mul_f32_e32 v74, v110, v166
	s_waitcnt vmcnt(12) lgkmcnt(1)
	v_mul_f32_e32 v122, v113, v170
	v_fma_f32 v74, v109, v165, -v74
	v_fmac_f32_e32 v122, v114, v169
	v_add_f32_e32 v73, v73, v74
	v_mul_f32_e32 v74, v112, v168
	v_add_f32_e32 v121, v121, v122
	s_waitcnt vmcnt(10)
	v_mul_f32_e32 v122, v115, v172
	v_fma_f32 v74, v111, v167, -v74
	v_fmac_f32_e32 v122, v116, v171
	v_add_f32_e32 v73, v73, v74
	v_mul_f32_e32 v74, v114, v170
	v_add_f32_e32 v121, v121, v122
	s_waitcnt vmcnt(8) lgkmcnt(0)
	v_mul_f32_e32 v122, v117, v174
	v_fma_f32 v74, v113, v169, -v74
	v_fmac_f32_e32 v122, v118, v173
	v_add_f32_e32 v73, v73, v74
	v_mul_f32_e32 v74, v116, v172
	v_add_f32_e32 v125, v121, v122
	ds_read_b128 v[121:124], v72 offset:544
	v_fma_f32 v74, v115, v171, -v74
	v_add_f32_e32 v73, v73, v74
	v_mul_f32_e32 v74, v118, v174
	s_waitcnt vmcnt(6)
	v_mul_f32_e32 v126, v119, v176
	v_fma_f32 v74, v117, v173, -v74
	v_fmac_f32_e32 v126, v120, v175
	v_add_f32_e32 v73, v73, v74
	v_mul_f32_e32 v74, v120, v176
	v_add_f32_e32 v183, v125, v126
	ds_read_b64 v[125:126], v72 offset:560
	v_fma_f32 v74, v119, v175, -v74
	v_add_f32_e32 v73, v73, v74
	s_waitcnt vmcnt(4) lgkmcnt(1)
	v_mul_f32_e32 v74, v122, v178
	v_mul_f32_e32 v184, v121, v178
	v_fma_f32 v74, v121, v177, -v74
	v_fmac_f32_e32 v184, v122, v177
	v_add_f32_e32 v73, v73, v74
	s_waitcnt vmcnt(2)
	v_mul_f32_e32 v74, v124, v180
	v_add_f32_e32 v183, v183, v184
	v_mul_f32_e32 v184, v123, v180
	v_fma_f32 v74, v123, v179, -v74
	v_fmac_f32_e32 v184, v124, v179
	v_add_f32_e32 v73, v73, v74
	s_waitcnt vmcnt(0) lgkmcnt(0)
	v_mul_f32_e32 v74, v126, v182
	v_add_f32_e32 v183, v183, v184
	v_mul_f32_e32 v184, v125, v182
	v_fma_f32 v74, v125, v181, -v74
	v_fmac_f32_e32 v184, v126, v181
	v_add_f32_e32 v73, v73, v74
	v_add_f32_e32 v183, v183, v184
	v_sub_f32_e32 v73, v159, v73
	v_sub_f32_e32 v74, v160, v183
	buffer_store_dword v73, off, s[0:3], 0 offset:56
	buffer_store_dword v74, off, s[0:3], 0 offset:60
	s_and_saveexec_b64 s[4:5], vcc
	s_cbranch_execz .LBB98_211
; %bb.210:
	buffer_load_dword v73, off, s[0:3], 0 offset:48
	buffer_load_dword v74, off, s[0:3], 0 offset:52
	s_waitcnt vmcnt(0)
	ds_write_b64 v71, v[73:74]
	buffer_store_dword v72, off, s[0:3], 0 offset:48
	buffer_store_dword v72, off, s[0:3], 0 offset:52
.LBB98_211:
	s_or_b64 exec, exec, s[4:5]
	s_waitcnt lgkmcnt(0)
	; wave barrier
	buffer_load_dword v129, off, s[0:3], 0 offset:60
	buffer_load_dword v130, off, s[0:3], 0 offset:68
	;; [unrolled: 1-line block ×34, first 2 shown]
	ds_read2_b64 v[73:76], v72 offset0:43 offset1:44
	ds_read2_b64 v[77:80], v72 offset0:45 offset1:46
	buffer_load_dword v163, off, s[0:3], 0 offset:188
	buffer_load_dword v164, off, s[0:3], 0 offset:184
	;; [unrolled: 1-line block ×6, first 2 shown]
	ds_read2_b64 v[81:84], v72 offset0:47 offset1:48
	ds_read2_b64 v[85:88], v72 offset0:49 offset1:50
	ds_read2_b64 v[89:92], v72 offset0:51 offset1:52
	ds_read2_b64 v[93:96], v72 offset0:53 offset1:54
	buffer_load_dword v169, off, s[0:3], 0 offset:212
	buffer_load_dword v170, off, s[0:3], 0 offset:208
	;; [unrolled: 1-line block ×18, first 2 shown]
	v_cmp_lt_u32_e32 vcc, 5, v0
	s_waitcnt vmcnt(57) lgkmcnt(5)
	v_mul_f32_e32 v97, v73, v129
	s_waitcnt vmcnt(56)
	v_mul_f32_e32 v98, v75, v130
	s_waitcnt vmcnt(55) lgkmcnt(4)
	v_mul_f32_e32 v99, v77, v131
	s_waitcnt vmcnt(54)
	v_mul_f32_e32 v100, v79, v132
	;; [unrolled: 4-line block ×4, first 2 shown]
	s_waitcnt vmcnt(49)
	v_fmac_f32_e32 v97, v74, v137
	s_waitcnt vmcnt(48)
	v_fmac_f32_e32 v98, v76, v138
	v_add_f32_e32 v97, 0, v97
	s_waitcnt vmcnt(47)
	v_fmac_f32_e32 v99, v78, v139
	v_add_f32_e32 v97, v97, v98
	;; [unrolled: 3-line block ×4, first 2 shown]
	v_mul_f32_e32 v74, v74, v129
	s_waitcnt vmcnt(44)
	v_fmac_f32_e32 v102, v84, v142
	v_add_f32_e32 v97, v97, v101
	v_fma_f32 v73, v73, v137, -v74
	v_mul_f32_e32 v74, v76, v130
	s_waitcnt vmcnt(43)
	v_fmac_f32_e32 v103, v86, v143
	v_add_f32_e32 v97, v97, v102
	v_add_f32_e32 v73, 0, v73
	v_fma_f32 v74, v75, v138, -v74
	s_waitcnt vmcnt(42)
	v_fmac_f32_e32 v104, v88, v144
	v_add_f32_e32 v97, v97, v103
	s_waitcnt vmcnt(41) lgkmcnt(1)
	v_mul_f32_e32 v98, v89, v145
	v_add_f32_e32 v73, v73, v74
	v_mul_f32_e32 v74, v78, v131
	v_add_f32_e32 v97, v97, v104
	s_waitcnt vmcnt(40)
	v_fmac_f32_e32 v98, v90, v146
	v_fma_f32 v74, v77, v139, -v74
	v_add_f32_e32 v97, v97, v98
	s_waitcnt vmcnt(39)
	v_mul_f32_e32 v98, v91, v147
	v_add_f32_e32 v73, v73, v74
	v_mul_f32_e32 v74, v80, v132
	s_waitcnt vmcnt(38)
	v_fmac_f32_e32 v98, v92, v148
	v_fma_f32 v74, v79, v140, -v74
	v_add_f32_e32 v97, v97, v98
	s_waitcnt vmcnt(37) lgkmcnt(0)
	v_mul_f32_e32 v98, v93, v149
	v_add_f32_e32 v73, v73, v74
	v_mul_f32_e32 v74, v82, v133
	s_waitcnt vmcnt(36)
	v_fmac_f32_e32 v98, v94, v150
	v_fma_f32 v74, v81, v141, -v74
	v_add_f32_e32 v101, v97, v98
	ds_read2_b64 v[97:100], v72 offset0:55 offset1:56
	v_add_f32_e32 v73, v73, v74
	v_mul_f32_e32 v74, v84, v134
	v_fma_f32 v74, v83, v142, -v74
	s_waitcnt vmcnt(35)
	v_mul_f32_e32 v102, v95, v151
	v_add_f32_e32 v73, v73, v74
	v_mul_f32_e32 v74, v86, v135
	s_waitcnt vmcnt(34)
	v_fmac_f32_e32 v102, v96, v152
	v_fma_f32 v74, v85, v143, -v74
	v_add_f32_e32 v105, v101, v102
	ds_read2_b64 v[101:104], v72 offset0:57 offset1:58
	v_add_f32_e32 v73, v73, v74
	v_mul_f32_e32 v74, v88, v136
	s_waitcnt vmcnt(33) lgkmcnt(1)
	v_mul_f32_e32 v106, v97, v153
	v_fma_f32 v74, v87, v144, -v74
	s_waitcnt vmcnt(32)
	v_fmac_f32_e32 v106, v98, v154
	v_add_f32_e32 v73, v73, v74
	v_mul_f32_e32 v74, v90, v145
	v_add_f32_e32 v105, v105, v106
	s_waitcnt vmcnt(31)
	v_mul_f32_e32 v106, v99, v155
	v_fma_f32 v74, v89, v146, -v74
	s_waitcnt vmcnt(30)
	v_fmac_f32_e32 v106, v100, v156
	v_add_f32_e32 v73, v73, v74
	v_mul_f32_e32 v74, v92, v147
	v_add_f32_e32 v105, v105, v106
	s_waitcnt vmcnt(29) lgkmcnt(0)
	v_mul_f32_e32 v106, v101, v157
	v_fma_f32 v74, v91, v148, -v74
	s_waitcnt vmcnt(28)
	v_fmac_f32_e32 v106, v102, v158
	v_add_f32_e32 v73, v73, v74
	v_mul_f32_e32 v74, v94, v149
	v_add_f32_e32 v109, v105, v106
	ds_read2_b64 v[105:108], v72 offset0:59 offset1:60
	v_fma_f32 v74, v93, v150, -v74
	v_add_f32_e32 v73, v73, v74
	v_mul_f32_e32 v74, v96, v151
	s_waitcnt vmcnt(25)
	v_mul_f32_e32 v110, v103, v161
	v_fma_f32 v74, v95, v152, -v74
	s_waitcnt vmcnt(24)
	v_fmac_f32_e32 v110, v104, v162
	v_add_f32_e32 v73, v73, v74
	v_mul_f32_e32 v74, v98, v153
	v_add_f32_e32 v113, v109, v110
	ds_read2_b64 v[109:112], v72 offset0:61 offset1:62
	v_fma_f32 v74, v97, v154, -v74
	s_waitcnt vmcnt(23) lgkmcnt(1)
	v_mul_f32_e32 v114, v105, v163
	v_add_f32_e32 v73, v73, v74
	v_mul_f32_e32 v74, v100, v155
	s_waitcnt vmcnt(22)
	v_fmac_f32_e32 v114, v106, v164
	v_fma_f32 v74, v99, v156, -v74
	v_add_f32_e32 v113, v113, v114
	s_waitcnt vmcnt(20)
	v_mul_f32_e32 v114, v107, v166
	v_add_f32_e32 v73, v73, v74
	v_mul_f32_e32 v74, v102, v157
	v_fmac_f32_e32 v114, v108, v165
	v_fma_f32 v74, v101, v158, -v74
	v_add_f32_e32 v113, v113, v114
	s_waitcnt vmcnt(18) lgkmcnt(0)
	v_mul_f32_e32 v114, v109, v168
	v_add_f32_e32 v73, v73, v74
	v_mul_f32_e32 v74, v104, v161
	v_fmac_f32_e32 v114, v110, v167
	v_fma_f32 v74, v103, v162, -v74
	v_add_f32_e32 v117, v113, v114
	ds_read2_b64 v[113:116], v72 offset0:63 offset1:64
	v_add_f32_e32 v73, v73, v74
	v_mul_f32_e32 v74, v106, v163
	v_fma_f32 v74, v105, v164, -v74
	s_waitcnt vmcnt(17)
	v_mul_f32_e32 v118, v111, v169
	v_add_f32_e32 v73, v73, v74
	v_mul_f32_e32 v74, v108, v166
	s_waitcnt vmcnt(16)
	v_fmac_f32_e32 v118, v112, v170
	v_fma_f32 v74, v107, v165, -v74
	v_add_f32_e32 v121, v117, v118
	ds_read2_b64 v[117:120], v72 offset0:65 offset1:66
	v_add_f32_e32 v73, v73, v74
	v_mul_f32_e32 v74, v110, v168
	s_waitcnt vmcnt(14) lgkmcnt(1)
	v_mul_f32_e32 v122, v113, v172
	v_fma_f32 v74, v109, v167, -v74
	v_fmac_f32_e32 v122, v114, v171
	v_add_f32_e32 v73, v73, v74
	v_mul_f32_e32 v74, v112, v169
	v_add_f32_e32 v121, v121, v122
	s_waitcnt vmcnt(12)
	v_mul_f32_e32 v122, v115, v174
	v_fma_f32 v74, v111, v170, -v74
	v_fmac_f32_e32 v122, v116, v173
	v_add_f32_e32 v73, v73, v74
	v_mul_f32_e32 v74, v114, v172
	v_add_f32_e32 v121, v121, v122
	s_waitcnt vmcnt(10) lgkmcnt(0)
	v_mul_f32_e32 v122, v117, v176
	v_fma_f32 v74, v113, v171, -v74
	v_fmac_f32_e32 v122, v118, v175
	v_add_f32_e32 v73, v73, v74
	v_mul_f32_e32 v74, v116, v174
	v_add_f32_e32 v125, v121, v122
	ds_read2_b64 v[121:124], v72 offset0:67 offset1:68
	v_fma_f32 v74, v115, v173, -v74
	v_add_f32_e32 v73, v73, v74
	v_mul_f32_e32 v74, v118, v176
	s_waitcnt vmcnt(8)
	v_mul_f32_e32 v126, v119, v178
	v_fma_f32 v74, v117, v175, -v74
	v_fmac_f32_e32 v126, v120, v177
	v_add_f32_e32 v73, v73, v74
	v_mul_f32_e32 v74, v120, v178
	v_add_f32_e32 v187, v125, v126
	ds_read2_b64 v[125:128], v72 offset0:69 offset1:70
	v_fma_f32 v74, v119, v177, -v74
	v_add_f32_e32 v73, v73, v74
	s_waitcnt vmcnt(6) lgkmcnt(1)
	v_mul_f32_e32 v74, v122, v180
	v_mul_f32_e32 v72, v121, v180
	v_fma_f32 v74, v121, v179, -v74
	v_fmac_f32_e32 v72, v122, v179
	v_add_f32_e32 v73, v73, v74
	s_waitcnt vmcnt(4)
	v_mul_f32_e32 v74, v124, v182
	v_add_f32_e32 v72, v187, v72
	v_mul_f32_e32 v187, v123, v182
	v_fma_f32 v74, v123, v181, -v74
	v_fmac_f32_e32 v187, v124, v181
	v_add_f32_e32 v73, v73, v74
	s_waitcnt vmcnt(2) lgkmcnt(0)
	v_mul_f32_e32 v74, v126, v184
	v_add_f32_e32 v72, v72, v187
	v_mul_f32_e32 v187, v125, v184
	v_fma_f32 v74, v125, v183, -v74
	v_fmac_f32_e32 v187, v126, v183
	v_add_f32_e32 v73, v73, v74
	s_waitcnt vmcnt(0)
	v_mul_f32_e32 v74, v128, v186
	v_add_f32_e32 v72, v72, v187
	v_mul_f32_e32 v187, v127, v186
	v_fma_f32 v74, v127, v185, -v74
	v_fmac_f32_e32 v187, v128, v185
	v_add_f32_e32 v73, v73, v74
	v_add_f32_e32 v72, v72, v187
	v_sub_f32_e32 v73, v159, v73
	v_sub_f32_e32 v72, v160, v72
	buffer_store_dword v73, off, s[0:3], 0 offset:48
	buffer_store_dword v72, off, s[0:3], 0 offset:52
	s_and_saveexec_b64 s[4:5], vcc
	s_cbranch_execz .LBB98_213
; %bb.212:
	buffer_load_dword v72, off, s[0:3], 0 offset:40
	buffer_load_dword v73, off, s[0:3], 0 offset:44
	v_mov_b32_e32 v74, 0
	buffer_store_dword v74, off, s[0:3], 0 offset:40
	buffer_store_dword v74, off, s[0:3], 0 offset:44
	s_waitcnt vmcnt(2)
	ds_write_b64 v71, v[72:73]
.LBB98_213:
	s_or_b64 exec, exec, s[4:5]
	s_waitcnt lgkmcnt(0)
	; wave barrier
	buffer_load_dword v131, off, s[0:3], 0 offset:52
	buffer_load_dword v132, off, s[0:3], 0 offset:60
	;; [unrolled: 1-line block ×60, first 2 shown]
	v_mov_b32_e32 v72, 0
	ds_read_b128 v[73:76], v72 offset:336
	ds_read_b128 v[77:80], v72 offset:352
	ds_read_b128 v[81:84], v72 offset:368
	ds_read_b128 v[85:88], v72 offset:384
	ds_read_b128 v[89:92], v72 offset:400
	v_cmp_lt_u32_e32 vcc, 4, v0
	s_waitcnt vmcnt(59) lgkmcnt(4)
	v_mul_f32_e32 v93, v73, v131
	s_waitcnt vmcnt(58)
	v_mul_f32_e32 v94, v75, v132
	s_waitcnt vmcnt(57) lgkmcnt(3)
	v_mul_f32_e32 v95, v77, v133
	s_waitcnt vmcnt(56)
	v_mul_f32_e32 v96, v79, v134
	;; [unrolled: 4-line block ×3, first 2 shown]
	s_waitcnt vmcnt(53) lgkmcnt(1)
	v_mul_f32_e32 v99, v85, v137
	s_waitcnt vmcnt(52)
	v_fmac_f32_e32 v93, v74, v138
	s_waitcnt vmcnt(51)
	v_fmac_f32_e32 v94, v76, v139
	v_add_f32_e32 v93, 0, v93
	s_waitcnt vmcnt(50)
	v_fmac_f32_e32 v95, v78, v140
	v_add_f32_e32 v93, v93, v94
	;; [unrolled: 3-line block ×6, first 2 shown]
	s_waitcnt vmcnt(45)
	v_mul_f32_e32 v94, v87, v145
	v_add_f32_e32 v93, v93, v99
	s_waitcnt vmcnt(44)
	v_fmac_f32_e32 v94, v88, v146
	v_mul_f32_e32 v74, v74, v131
	v_add_f32_e32 v97, v93, v94
	ds_read_b128 v[93:96], v72 offset:416
	v_fma_f32 v73, v73, v138, -v74
	v_mul_f32_e32 v74, v76, v132
	s_waitcnt vmcnt(43) lgkmcnt(1)
	v_mul_f32_e32 v98, v89, v147
	v_add_f32_e32 v73, 0, v73
	v_fma_f32 v74, v75, v139, -v74
	s_waitcnt vmcnt(42)
	v_fmac_f32_e32 v98, v90, v148
	v_add_f32_e32 v73, v73, v74
	v_mul_f32_e32 v74, v78, v133
	v_add_f32_e32 v97, v97, v98
	s_waitcnt vmcnt(41)
	v_mul_f32_e32 v98, v91, v149
	v_fma_f32 v74, v77, v140, -v74
	s_waitcnt vmcnt(40)
	v_fmac_f32_e32 v98, v92, v150
	v_add_f32_e32 v73, v73, v74
	v_mul_f32_e32 v74, v80, v134
	v_add_f32_e32 v97, v97, v98
	s_waitcnt vmcnt(39) lgkmcnt(0)
	v_mul_f32_e32 v98, v93, v151
	v_fma_f32 v74, v79, v141, -v74
	s_waitcnt vmcnt(38)
	v_fmac_f32_e32 v98, v94, v152
	v_add_f32_e32 v73, v73, v74
	v_mul_f32_e32 v74, v82, v135
	v_add_f32_e32 v101, v97, v98
	ds_read_b128 v[97:100], v72 offset:432
	v_fma_f32 v74, v81, v142, -v74
	v_add_f32_e32 v73, v73, v74
	v_mul_f32_e32 v74, v84, v136
	s_waitcnt vmcnt(37)
	v_mul_f32_e32 v102, v95, v153
	v_fma_f32 v74, v83, v143, -v74
	s_waitcnt vmcnt(36)
	v_fmac_f32_e32 v102, v96, v154
	v_add_f32_e32 v73, v73, v74
	v_mul_f32_e32 v74, v86, v137
	v_add_f32_e32 v105, v101, v102
	ds_read_b128 v[101:104], v72 offset:448
	v_fma_f32 v74, v85, v144, -v74
	s_waitcnt vmcnt(34) lgkmcnt(1)
	v_mul_f32_e32 v106, v97, v156
	v_add_f32_e32 v73, v73, v74
	v_mul_f32_e32 v74, v88, v145
	v_fmac_f32_e32 v106, v98, v155
	v_fma_f32 v74, v87, v146, -v74
	v_add_f32_e32 v105, v105, v106
	s_waitcnt vmcnt(31)
	v_mul_f32_e32 v106, v99, v159
	v_add_f32_e32 v73, v73, v74
	v_mul_f32_e32 v74, v90, v147
	s_waitcnt vmcnt(30)
	v_fmac_f32_e32 v106, v100, v160
	v_fma_f32 v74, v89, v148, -v74
	v_add_f32_e32 v105, v105, v106
	s_waitcnt vmcnt(28) lgkmcnt(0)
	v_mul_f32_e32 v106, v101, v162
	v_add_f32_e32 v73, v73, v74
	v_mul_f32_e32 v74, v92, v149
	v_fmac_f32_e32 v106, v102, v161
	v_fma_f32 v74, v91, v150, -v74
	v_add_f32_e32 v109, v105, v106
	ds_read_b128 v[105:108], v72 offset:464
	v_add_f32_e32 v73, v73, v74
	v_mul_f32_e32 v74, v94, v151
	v_fma_f32 v74, v93, v152, -v74
	s_waitcnt vmcnt(26)
	v_mul_f32_e32 v110, v103, v164
	v_add_f32_e32 v73, v73, v74
	v_mul_f32_e32 v74, v96, v153
	v_fmac_f32_e32 v110, v104, v163
	v_fma_f32 v74, v95, v154, -v74
	v_add_f32_e32 v113, v109, v110
	ds_read_b128 v[109:112], v72 offset:480
	v_add_f32_e32 v73, v73, v74
	v_mul_f32_e32 v74, v98, v156
	s_waitcnt vmcnt(24) lgkmcnt(1)
	v_mul_f32_e32 v114, v105, v166
	v_fma_f32 v74, v97, v155, -v74
	v_fmac_f32_e32 v114, v106, v165
	v_add_f32_e32 v73, v73, v74
	v_mul_f32_e32 v74, v100, v159
	v_add_f32_e32 v113, v113, v114
	s_waitcnt vmcnt(22)
	v_mul_f32_e32 v114, v107, v168
	v_fma_f32 v74, v99, v160, -v74
	v_fmac_f32_e32 v114, v108, v167
	v_add_f32_e32 v73, v73, v74
	v_mul_f32_e32 v74, v102, v162
	v_add_f32_e32 v113, v113, v114
	s_waitcnt vmcnt(20) lgkmcnt(0)
	v_mul_f32_e32 v114, v109, v170
	v_fma_f32 v74, v101, v161, -v74
	v_fmac_f32_e32 v114, v110, v169
	v_add_f32_e32 v73, v73, v74
	v_mul_f32_e32 v74, v104, v164
	v_add_f32_e32 v117, v113, v114
	ds_read_b128 v[113:116], v72 offset:496
	v_fma_f32 v74, v103, v163, -v74
	v_add_f32_e32 v73, v73, v74
	v_mul_f32_e32 v74, v106, v166
	s_waitcnt vmcnt(18)
	v_mul_f32_e32 v118, v111, v172
	v_fma_f32 v74, v105, v165, -v74
	v_fmac_f32_e32 v118, v112, v171
	v_add_f32_e32 v73, v73, v74
	v_mul_f32_e32 v74, v108, v168
	v_add_f32_e32 v121, v117, v118
	ds_read_b128 v[117:120], v72 offset:512
	v_fma_f32 v74, v107, v167, -v74
	s_waitcnt vmcnt(16) lgkmcnt(1)
	v_mul_f32_e32 v122, v113, v174
	v_add_f32_e32 v73, v73, v74
	v_mul_f32_e32 v74, v110, v170
	v_fmac_f32_e32 v122, v114, v173
	v_fma_f32 v74, v109, v169, -v74
	v_add_f32_e32 v121, v121, v122
	s_waitcnt vmcnt(14)
	v_mul_f32_e32 v122, v115, v176
	v_add_f32_e32 v73, v73, v74
	v_mul_f32_e32 v74, v112, v172
	v_fmac_f32_e32 v122, v116, v175
	v_fma_f32 v74, v111, v171, -v74
	v_add_f32_e32 v121, v121, v122
	s_waitcnt vmcnt(12) lgkmcnt(0)
	v_mul_f32_e32 v122, v117, v178
	v_add_f32_e32 v73, v73, v74
	v_mul_f32_e32 v74, v114, v174
	v_fmac_f32_e32 v122, v118, v177
	v_fma_f32 v74, v113, v173, -v74
	v_add_f32_e32 v125, v121, v122
	ds_read_b128 v[121:124], v72 offset:528
	v_add_f32_e32 v73, v73, v74
	v_mul_f32_e32 v74, v116, v176
	v_fma_f32 v74, v115, v175, -v74
	v_add_f32_e32 v73, v73, v74
	v_mul_f32_e32 v74, v118, v178
	s_waitcnt vmcnt(10)
	v_mul_f32_e32 v126, v119, v180
	v_fma_f32 v74, v117, v177, -v74
	v_fmac_f32_e32 v126, v120, v179
	v_add_f32_e32 v73, v73, v74
	v_mul_f32_e32 v74, v120, v180
	v_add_f32_e32 v129, v125, v126
	ds_read_b128 v[125:128], v72 offset:544
	s_waitcnt vmcnt(8) lgkmcnt(1)
	v_mul_f32_e32 v130, v121, v182
	v_fma_f32 v74, v119, v179, -v74
	v_fmac_f32_e32 v130, v122, v181
	v_add_f32_e32 v73, v73, v74
	v_mul_f32_e32 v74, v122, v182
	v_add_f32_e32 v129, v129, v130
	s_waitcnt vmcnt(6)
	v_mul_f32_e32 v130, v123, v184
	v_fma_f32 v74, v121, v181, -v74
	v_fmac_f32_e32 v130, v124, v183
	v_add_f32_e32 v73, v73, v74
	v_mul_f32_e32 v74, v124, v184
	v_add_f32_e32 v191, v129, v130
	ds_read_b64 v[129:130], v72 offset:560
	v_fma_f32 v74, v123, v183, -v74
	v_add_f32_e32 v73, v73, v74
	s_waitcnt vmcnt(4) lgkmcnt(1)
	v_mul_f32_e32 v74, v126, v186
	v_mul_f32_e32 v192, v125, v186
	v_fma_f32 v74, v125, v185, -v74
	v_fmac_f32_e32 v192, v126, v185
	v_add_f32_e32 v73, v73, v74
	s_waitcnt vmcnt(2)
	v_mul_f32_e32 v74, v128, v188
	v_add_f32_e32 v191, v191, v192
	v_mul_f32_e32 v192, v127, v188
	v_fma_f32 v74, v127, v187, -v74
	v_fmac_f32_e32 v192, v128, v187
	v_add_f32_e32 v73, v73, v74
	s_waitcnt vmcnt(0) lgkmcnt(0)
	v_mul_f32_e32 v74, v130, v190
	v_add_f32_e32 v191, v191, v192
	v_mul_f32_e32 v192, v129, v190
	v_fma_f32 v74, v129, v189, -v74
	v_fmac_f32_e32 v192, v130, v189
	v_add_f32_e32 v73, v73, v74
	v_add_f32_e32 v191, v191, v192
	v_sub_f32_e32 v73, v157, v73
	v_sub_f32_e32 v74, v158, v191
	buffer_store_dword v73, off, s[0:3], 0 offset:40
	buffer_store_dword v74, off, s[0:3], 0 offset:44
	s_and_saveexec_b64 s[4:5], vcc
	s_cbranch_execz .LBB98_215
; %bb.214:
	buffer_load_dword v73, off, s[0:3], 0 offset:32
	buffer_load_dword v74, off, s[0:3], 0 offset:36
	s_waitcnt vmcnt(0)
	ds_write_b64 v71, v[73:74]
	buffer_store_dword v72, off, s[0:3], 0 offset:32
	buffer_store_dword v72, off, s[0:3], 0 offset:36
.LBB98_215:
	s_or_b64 exec, exec, s[4:5]
	s_waitcnt lgkmcnt(0)
	; wave barrier
	buffer_load_dword v133, off, s[0:3], 0 offset:44
	buffer_load_dword v134, off, s[0:3], 0 offset:52
	;; [unrolled: 1-line block ×32, first 2 shown]
	ds_read2_b64 v[73:76], v72 offset0:41 offset1:42
	ds_read2_b64 v[77:80], v72 offset0:43 offset1:44
	;; [unrolled: 1-line block ×4, first 2 shown]
	buffer_load_dword v165, off, s[0:3], 0 offset:164
	buffer_load_dword v166, off, s[0:3], 0 offset:160
	buffer_load_dword v167, off, s[0:3], 0 offset:168
	buffer_load_dword v168, off, s[0:3], 0 offset:172
	buffer_load_dword v169, off, s[0:3], 0 offset:176
	buffer_load_dword v170, off, s[0:3], 0 offset:180
	buffer_load_dword v171, off, s[0:3], 0 offset:184
	buffer_load_dword v172, off, s[0:3], 0 offset:188
	buffer_load_dword v173, off, s[0:3], 0 offset:192
	buffer_load_dword v174, off, s[0:3], 0 offset:196
	buffer_load_dword v175, off, s[0:3], 0 offset:200
	buffer_load_dword v176, off, s[0:3], 0 offset:204
	buffer_load_dword v177, off, s[0:3], 0 offset:208
	buffer_load_dword v178, off, s[0:3], 0 offset:212
	buffer_load_dword v179, off, s[0:3], 0 offset:216
	buffer_load_dword v180, off, s[0:3], 0 offset:220
	buffer_load_dword v181, off, s[0:3], 0 offset:224
	buffer_load_dword v182, off, s[0:3], 0 offset:228
	buffer_load_dword v183, off, s[0:3], 0 offset:232
	buffer_load_dword v184, off, s[0:3], 0 offset:236
	buffer_load_dword v185, off, s[0:3], 0 offset:240
	buffer_load_dword v186, off, s[0:3], 0 offset:244
	buffer_load_dword v187, off, s[0:3], 0 offset:248
	buffer_load_dword v188, off, s[0:3], 0 offset:252
	buffer_load_dword v189, off, s[0:3], 0 offset:256
	buffer_load_dword v190, off, s[0:3], 0 offset:260
	buffer_load_dword v191, off, s[0:3], 0 offset:264
	buffer_load_dword v192, off, s[0:3], 0 offset:268
	buffer_load_dword v193, off, s[0:3], 0 offset:272
	buffer_load_dword v194, off, s[0:3], 0 offset:276
	v_cmp_lt_u32_e32 vcc, 3, v0
	s_waitcnt vmcnt(61) lgkmcnt(3)
	v_mul_f32_e32 v89, v73, v133
	s_waitcnt vmcnt(60)
	v_mul_f32_e32 v90, v75, v134
	s_waitcnt vmcnt(59) lgkmcnt(2)
	v_mul_f32_e32 v91, v77, v135
	s_waitcnt vmcnt(58)
	v_mul_f32_e32 v92, v79, v136
	;; [unrolled: 4-line block ×3, first 2 shown]
	s_waitcnt vmcnt(55) lgkmcnt(0)
	v_mul_f32_e32 v95, v85, v139
	s_waitcnt vmcnt(54)
	v_fmac_f32_e32 v89, v74, v140
	s_waitcnt vmcnt(53)
	v_fmac_f32_e32 v90, v76, v141
	v_add_f32_e32 v89, 0, v89
	s_waitcnt vmcnt(52)
	v_fmac_f32_e32 v91, v78, v142
	v_add_f32_e32 v89, v89, v90
	;; [unrolled: 3-line block ×6, first 2 shown]
	v_add_f32_e32 v93, v89, v95
	ds_read2_b64 v[89:92], v72 offset0:49 offset1:50
	s_waitcnt vmcnt(47)
	v_mul_f32_e32 v94, v87, v147
	s_waitcnt vmcnt(46)
	v_fmac_f32_e32 v94, v88, v148
	v_mul_f32_e32 v74, v74, v133
	v_add_f32_e32 v97, v93, v94
	ds_read2_b64 v[93:96], v72 offset0:51 offset1:52
	v_fma_f32 v73, v73, v140, -v74
	v_mul_f32_e32 v74, v76, v134
	s_waitcnt vmcnt(45) lgkmcnt(1)
	v_mul_f32_e32 v98, v89, v149
	v_add_f32_e32 v73, 0, v73
	v_fma_f32 v74, v75, v141, -v74
	s_waitcnt vmcnt(44)
	v_fmac_f32_e32 v98, v90, v150
	v_add_f32_e32 v73, v73, v74
	v_mul_f32_e32 v74, v78, v135
	v_add_f32_e32 v97, v97, v98
	s_waitcnt vmcnt(43)
	v_mul_f32_e32 v98, v91, v151
	v_fma_f32 v74, v77, v142, -v74
	s_waitcnt vmcnt(42)
	v_fmac_f32_e32 v98, v92, v152
	v_add_f32_e32 v73, v73, v74
	v_mul_f32_e32 v74, v80, v136
	v_add_f32_e32 v97, v97, v98
	s_waitcnt vmcnt(41) lgkmcnt(0)
	v_mul_f32_e32 v98, v93, v153
	v_fma_f32 v74, v79, v143, -v74
	s_waitcnt vmcnt(40)
	v_fmac_f32_e32 v98, v94, v154
	v_add_f32_e32 v73, v73, v74
	v_mul_f32_e32 v74, v82, v137
	v_add_f32_e32 v101, v97, v98
	ds_read2_b64 v[97:100], v72 offset0:53 offset1:54
	v_fma_f32 v74, v81, v144, -v74
	v_add_f32_e32 v73, v73, v74
	v_mul_f32_e32 v74, v84, v138
	s_waitcnt vmcnt(39)
	v_mul_f32_e32 v102, v95, v155
	v_fma_f32 v74, v83, v145, -v74
	s_waitcnt vmcnt(38)
	v_fmac_f32_e32 v102, v96, v156
	v_add_f32_e32 v73, v73, v74
	v_mul_f32_e32 v74, v86, v139
	v_add_f32_e32 v105, v101, v102
	ds_read2_b64 v[101:104], v72 offset0:55 offset1:56
	v_fma_f32 v74, v85, v146, -v74
	s_waitcnt vmcnt(35) lgkmcnt(1)
	v_mul_f32_e32 v106, v97, v159
	v_add_f32_e32 v73, v73, v74
	v_mul_f32_e32 v74, v88, v147
	s_waitcnt vmcnt(34)
	v_fmac_f32_e32 v106, v98, v160
	v_fma_f32 v74, v87, v148, -v74
	v_add_f32_e32 v105, v105, v106
	s_waitcnt vmcnt(32)
	v_mul_f32_e32 v106, v99, v162
	v_add_f32_e32 v73, v73, v74
	v_mul_f32_e32 v74, v90, v149
	v_fmac_f32_e32 v106, v100, v161
	v_fma_f32 v74, v89, v150, -v74
	v_add_f32_e32 v105, v105, v106
	s_waitcnt vmcnt(30) lgkmcnt(0)
	v_mul_f32_e32 v106, v101, v164
	v_add_f32_e32 v73, v73, v74
	v_mul_f32_e32 v74, v92, v151
	v_fmac_f32_e32 v106, v102, v163
	v_fma_f32 v74, v91, v152, -v74
	v_add_f32_e32 v109, v105, v106
	ds_read2_b64 v[105:108], v72 offset0:57 offset1:58
	v_add_f32_e32 v73, v73, v74
	v_mul_f32_e32 v74, v94, v153
	v_fma_f32 v74, v93, v154, -v74
	s_waitcnt vmcnt(29)
	v_mul_f32_e32 v110, v103, v165
	v_add_f32_e32 v73, v73, v74
	v_mul_f32_e32 v74, v96, v155
	s_waitcnt vmcnt(28)
	v_fmac_f32_e32 v110, v104, v166
	v_fma_f32 v74, v95, v156, -v74
	v_add_f32_e32 v113, v109, v110
	ds_read2_b64 v[109:112], v72 offset0:59 offset1:60
	v_add_f32_e32 v73, v73, v74
	v_mul_f32_e32 v74, v98, v159
	s_waitcnt vmcnt(26) lgkmcnt(1)
	v_mul_f32_e32 v114, v105, v168
	v_fma_f32 v74, v97, v160, -v74
	v_fmac_f32_e32 v114, v106, v167
	v_add_f32_e32 v73, v73, v74
	v_mul_f32_e32 v74, v100, v162
	v_add_f32_e32 v113, v113, v114
	s_waitcnt vmcnt(24)
	v_mul_f32_e32 v114, v107, v170
	v_fma_f32 v74, v99, v161, -v74
	v_fmac_f32_e32 v114, v108, v169
	v_add_f32_e32 v73, v73, v74
	v_mul_f32_e32 v74, v102, v164
	v_add_f32_e32 v113, v113, v114
	s_waitcnt vmcnt(22) lgkmcnt(0)
	v_mul_f32_e32 v114, v109, v172
	v_fma_f32 v74, v101, v163, -v74
	v_fmac_f32_e32 v114, v110, v171
	v_add_f32_e32 v73, v73, v74
	v_mul_f32_e32 v74, v104, v165
	v_add_f32_e32 v117, v113, v114
	ds_read2_b64 v[113:116], v72 offset0:61 offset1:62
	v_fma_f32 v74, v103, v166, -v74
	v_add_f32_e32 v73, v73, v74
	v_mul_f32_e32 v74, v106, v168
	s_waitcnt vmcnt(20)
	v_mul_f32_e32 v118, v111, v174
	v_fma_f32 v74, v105, v167, -v74
	v_fmac_f32_e32 v118, v112, v173
	v_add_f32_e32 v73, v73, v74
	v_mul_f32_e32 v74, v108, v170
	v_add_f32_e32 v121, v117, v118
	ds_read2_b64 v[117:120], v72 offset0:63 offset1:64
	v_fma_f32 v74, v107, v169, -v74
	s_waitcnt vmcnt(18) lgkmcnt(1)
	v_mul_f32_e32 v122, v113, v176
	v_add_f32_e32 v73, v73, v74
	v_mul_f32_e32 v74, v110, v172
	v_fmac_f32_e32 v122, v114, v175
	v_fma_f32 v74, v109, v171, -v74
	v_add_f32_e32 v121, v121, v122
	s_waitcnt vmcnt(16)
	v_mul_f32_e32 v122, v115, v178
	v_add_f32_e32 v73, v73, v74
	v_mul_f32_e32 v74, v112, v174
	v_fmac_f32_e32 v122, v116, v177
	v_fma_f32 v74, v111, v173, -v74
	v_add_f32_e32 v121, v121, v122
	s_waitcnt vmcnt(14) lgkmcnt(0)
	v_mul_f32_e32 v122, v117, v180
	v_add_f32_e32 v73, v73, v74
	v_mul_f32_e32 v74, v114, v176
	v_fmac_f32_e32 v122, v118, v179
	v_fma_f32 v74, v113, v175, -v74
	v_add_f32_e32 v125, v121, v122
	ds_read2_b64 v[121:124], v72 offset0:65 offset1:66
	v_add_f32_e32 v73, v73, v74
	v_mul_f32_e32 v74, v116, v178
	v_fma_f32 v74, v115, v177, -v74
	v_add_f32_e32 v73, v73, v74
	v_mul_f32_e32 v74, v118, v180
	s_waitcnt vmcnt(12)
	v_mul_f32_e32 v126, v119, v182
	v_fma_f32 v74, v117, v179, -v74
	v_fmac_f32_e32 v126, v120, v181
	v_add_f32_e32 v73, v73, v74
	v_mul_f32_e32 v74, v120, v182
	v_add_f32_e32 v129, v125, v126
	ds_read2_b64 v[125:128], v72 offset0:67 offset1:68
	s_waitcnt vmcnt(10) lgkmcnt(1)
	v_mul_f32_e32 v130, v121, v184
	v_fma_f32 v74, v119, v181, -v74
	v_fmac_f32_e32 v130, v122, v183
	v_add_f32_e32 v73, v73, v74
	v_mul_f32_e32 v74, v122, v184
	v_add_f32_e32 v129, v129, v130
	s_waitcnt vmcnt(8)
	v_mul_f32_e32 v130, v123, v186
	v_fma_f32 v74, v121, v183, -v74
	v_fmac_f32_e32 v130, v124, v185
	v_add_f32_e32 v73, v73, v74
	v_mul_f32_e32 v74, v124, v186
	v_add_f32_e32 v195, v129, v130
	ds_read2_b64 v[129:132], v72 offset0:69 offset1:70
	v_fma_f32 v74, v123, v185, -v74
	v_add_f32_e32 v73, v73, v74
	s_waitcnt vmcnt(6) lgkmcnt(1)
	v_mul_f32_e32 v74, v126, v188
	v_mul_f32_e32 v196, v125, v188
	v_fma_f32 v74, v125, v187, -v74
	v_fmac_f32_e32 v196, v126, v187
	v_add_f32_e32 v73, v73, v74
	s_waitcnt vmcnt(4)
	v_mul_f32_e32 v74, v128, v190
	v_add_f32_e32 v72, v195, v196
	v_mul_f32_e32 v195, v127, v190
	v_fma_f32 v74, v127, v189, -v74
	v_fmac_f32_e32 v195, v128, v189
	v_add_f32_e32 v73, v73, v74
	s_waitcnt vmcnt(2) lgkmcnt(0)
	v_mul_f32_e32 v74, v130, v192
	v_add_f32_e32 v72, v72, v195
	v_mul_f32_e32 v195, v129, v192
	v_fma_f32 v74, v129, v191, -v74
	v_fmac_f32_e32 v195, v130, v191
	v_add_f32_e32 v73, v73, v74
	s_waitcnt vmcnt(0)
	v_mul_f32_e32 v74, v132, v194
	v_add_f32_e32 v72, v72, v195
	v_mul_f32_e32 v195, v131, v194
	v_fma_f32 v74, v131, v193, -v74
	v_fmac_f32_e32 v195, v132, v193
	v_add_f32_e32 v73, v73, v74
	v_add_f32_e32 v72, v72, v195
	v_sub_f32_e32 v73, v157, v73
	v_sub_f32_e32 v72, v158, v72
	buffer_store_dword v73, off, s[0:3], 0 offset:32
	buffer_store_dword v72, off, s[0:3], 0 offset:36
	s_and_saveexec_b64 s[4:5], vcc
	s_cbranch_execz .LBB98_217
; %bb.216:
	buffer_load_dword v72, off, s[0:3], 0 offset:24
	buffer_load_dword v73, off, s[0:3], 0 offset:28
	v_mov_b32_e32 v74, 0
	buffer_store_dword v74, off, s[0:3], 0 offset:24
	buffer_store_dword v74, off, s[0:3], 0 offset:28
	s_waitcnt vmcnt(2)
	ds_write_b64 v71, v[72:73]
.LBB98_217:
	s_or_b64 exec, exec, s[4:5]
	s_waitcnt lgkmcnt(0)
	; wave barrier
	buffer_load_dword v135, off, s[0:3], 0 offset:36
	buffer_load_dword v136, off, s[0:3], 0 offset:44
	;; [unrolled: 1-line block ×56, first 2 shown]
	v_mov_b32_e32 v72, 0
	ds_read_b128 v[73:76], v72 offset:320
	buffer_load_dword v191, off, s[0:3], 0 offset:248
	buffer_load_dword v192, off, s[0:3], 0 offset:252
	;; [unrolled: 1-line block ×4, first 2 shown]
	ds_read_b128 v[77:80], v72 offset:336
	ds_read_b128 v[81:84], v72 offset:352
	;; [unrolled: 1-line block ×3, first 2 shown]
	v_cmp_lt_u32_e32 vcc, 2, v0
	s_waitcnt vmcnt(59) lgkmcnt(3)
	v_mul_f32_e32 v89, v73, v135
	s_waitcnt vmcnt(58)
	v_mul_f32_e32 v90, v75, v136
	s_waitcnt vmcnt(57) lgkmcnt(2)
	v_mul_f32_e32 v91, v77, v137
	s_waitcnt vmcnt(56)
	v_mul_f32_e32 v92, v79, v138
	;; [unrolled: 4-line block ×4, first 2 shown]
	s_waitcnt vmcnt(51)
	v_fmac_f32_e32 v89, v74, v143
	s_waitcnt vmcnt(50)
	v_fmac_f32_e32 v90, v76, v144
	v_add_f32_e32 v89, 0, v89
	s_waitcnt vmcnt(49)
	v_fmac_f32_e32 v91, v78, v145
	v_add_f32_e32 v89, v89, v90
	;; [unrolled: 3-line block ×6, first 2 shown]
	v_add_f32_e32 v93, v89, v95
	ds_read_b128 v[89:92], v72 offset:384
	buffer_load_dword v195, off, s[0:3], 0 offset:268
	buffer_load_dword v196, off, s[0:3], 0 offset:264
	;; [unrolled: 1-line block ×4, first 2 shown]
	s_waitcnt vmcnt(48)
	v_fmac_f32_e32 v96, v88, v150
	v_add_f32_e32 v97, v93, v96
	ds_read_b128 v[93:96], v72 offset:400
	s_waitcnt vmcnt(47) lgkmcnt(1)
	v_mul_f32_e32 v98, v89, v151
	v_mul_f32_e32 v74, v74, v135
	s_waitcnt vmcnt(46)
	v_fmac_f32_e32 v98, v90, v152
	v_fma_f32 v73, v73, v143, -v74
	v_mul_f32_e32 v74, v76, v136
	v_add_f32_e32 v97, v97, v98
	s_waitcnt vmcnt(45)
	v_mul_f32_e32 v98, v91, v153
	v_add_f32_e32 v73, 0, v73
	v_fma_f32 v74, v75, v144, -v74
	s_waitcnt vmcnt(44)
	v_fmac_f32_e32 v98, v92, v154
	v_add_f32_e32 v73, v73, v74
	v_mul_f32_e32 v74, v78, v137
	v_add_f32_e32 v97, v97, v98
	s_waitcnt vmcnt(42) lgkmcnt(0)
	v_mul_f32_e32 v98, v93, v156
	v_fma_f32 v74, v77, v145, -v74
	v_fmac_f32_e32 v98, v94, v155
	v_add_f32_e32 v73, v73, v74
	v_mul_f32_e32 v74, v80, v138
	v_add_f32_e32 v101, v97, v98
	ds_read_b128 v[97:100], v72 offset:416
	v_fma_f32 v74, v79, v146, -v74
	v_add_f32_e32 v73, v73, v74
	v_mul_f32_e32 v74, v82, v139
	s_waitcnt vmcnt(39)
	v_mul_f32_e32 v102, v95, v159
	v_fma_f32 v74, v81, v147, -v74
	s_waitcnt vmcnt(38)
	v_fmac_f32_e32 v102, v96, v160
	v_add_f32_e32 v73, v73, v74
	v_mul_f32_e32 v74, v84, v140
	v_add_f32_e32 v105, v101, v102
	ds_read_b128 v[101:104], v72 offset:432
	v_fma_f32 v74, v83, v148, -v74
	s_waitcnt vmcnt(36) lgkmcnt(1)
	v_mul_f32_e32 v106, v97, v162
	v_add_f32_e32 v73, v73, v74
	v_mul_f32_e32 v74, v86, v141
	v_fmac_f32_e32 v106, v98, v161
	v_fma_f32 v74, v85, v149, -v74
	v_add_f32_e32 v105, v105, v106
	s_waitcnt vmcnt(34)
	v_mul_f32_e32 v106, v99, v164
	v_add_f32_e32 v73, v73, v74
	v_mul_f32_e32 v74, v88, v142
	v_fmac_f32_e32 v106, v100, v163
	v_fma_f32 v74, v87, v150, -v74
	v_add_f32_e32 v105, v105, v106
	s_waitcnt vmcnt(32) lgkmcnt(0)
	v_mul_f32_e32 v106, v101, v166
	v_add_f32_e32 v73, v73, v74
	v_mul_f32_e32 v74, v90, v151
	v_fmac_f32_e32 v106, v102, v165
	v_fma_f32 v74, v89, v152, -v74
	v_add_f32_e32 v109, v105, v106
	ds_read_b128 v[105:108], v72 offset:448
	v_add_f32_e32 v73, v73, v74
	v_mul_f32_e32 v74, v92, v153
	v_fma_f32 v74, v91, v154, -v74
	s_waitcnt vmcnt(30)
	v_mul_f32_e32 v110, v103, v168
	v_add_f32_e32 v73, v73, v74
	v_mul_f32_e32 v74, v94, v156
	v_fmac_f32_e32 v110, v104, v167
	v_fma_f32 v74, v93, v155, -v74
	v_add_f32_e32 v113, v109, v110
	ds_read_b128 v[109:112], v72 offset:464
	v_add_f32_e32 v73, v73, v74
	v_mul_f32_e32 v74, v96, v159
	s_waitcnt vmcnt(28) lgkmcnt(1)
	v_mul_f32_e32 v114, v105, v170
	v_fma_f32 v74, v95, v160, -v74
	v_fmac_f32_e32 v114, v106, v169
	v_add_f32_e32 v73, v73, v74
	v_mul_f32_e32 v74, v98, v162
	v_add_f32_e32 v113, v113, v114
	s_waitcnt vmcnt(26)
	v_mul_f32_e32 v114, v107, v172
	v_fma_f32 v74, v97, v161, -v74
	v_fmac_f32_e32 v114, v108, v171
	v_add_f32_e32 v73, v73, v74
	v_mul_f32_e32 v74, v100, v164
	v_add_f32_e32 v113, v113, v114
	s_waitcnt vmcnt(24) lgkmcnt(0)
	v_mul_f32_e32 v114, v109, v174
	v_fma_f32 v74, v99, v163, -v74
	v_fmac_f32_e32 v114, v110, v173
	v_add_f32_e32 v73, v73, v74
	v_mul_f32_e32 v74, v102, v166
	v_add_f32_e32 v117, v113, v114
	ds_read_b128 v[113:116], v72 offset:480
	v_fma_f32 v74, v101, v165, -v74
	v_add_f32_e32 v73, v73, v74
	v_mul_f32_e32 v74, v104, v168
	s_waitcnt vmcnt(22)
	v_mul_f32_e32 v118, v111, v176
	v_fma_f32 v74, v103, v167, -v74
	v_fmac_f32_e32 v118, v112, v175
	v_add_f32_e32 v73, v73, v74
	v_mul_f32_e32 v74, v106, v170
	v_add_f32_e32 v121, v117, v118
	ds_read_b128 v[117:120], v72 offset:496
	v_fma_f32 v74, v105, v169, -v74
	s_waitcnt vmcnt(20) lgkmcnt(1)
	v_mul_f32_e32 v122, v113, v178
	v_add_f32_e32 v73, v73, v74
	v_mul_f32_e32 v74, v108, v172
	v_fmac_f32_e32 v122, v114, v177
	v_fma_f32 v74, v107, v171, -v74
	v_add_f32_e32 v121, v121, v122
	s_waitcnt vmcnt(18)
	v_mul_f32_e32 v122, v115, v180
	v_add_f32_e32 v73, v73, v74
	v_mul_f32_e32 v74, v110, v174
	v_fmac_f32_e32 v122, v116, v179
	v_fma_f32 v74, v109, v173, -v74
	v_add_f32_e32 v121, v121, v122
	s_waitcnt vmcnt(16) lgkmcnt(0)
	v_mul_f32_e32 v122, v117, v182
	v_add_f32_e32 v73, v73, v74
	v_mul_f32_e32 v74, v112, v176
	v_fmac_f32_e32 v122, v118, v181
	v_fma_f32 v74, v111, v175, -v74
	v_add_f32_e32 v125, v121, v122
	ds_read_b128 v[121:124], v72 offset:512
	v_add_f32_e32 v73, v73, v74
	v_mul_f32_e32 v74, v114, v178
	v_fma_f32 v74, v113, v177, -v74
	s_waitcnt vmcnt(14)
	v_mul_f32_e32 v126, v119, v184
	v_add_f32_e32 v73, v73, v74
	v_mul_f32_e32 v74, v116, v180
	v_fmac_f32_e32 v126, v120, v183
	v_fma_f32 v74, v115, v179, -v74
	v_add_f32_e32 v129, v125, v126
	ds_read_b128 v[125:128], v72 offset:528
	v_add_f32_e32 v73, v73, v74
	v_mul_f32_e32 v74, v118, v182
	s_waitcnt vmcnt(12) lgkmcnt(1)
	v_mul_f32_e32 v130, v121, v186
	v_fma_f32 v74, v117, v181, -v74
	v_fmac_f32_e32 v130, v122, v185
	v_add_f32_e32 v73, v73, v74
	v_mul_f32_e32 v74, v120, v184
	v_add_f32_e32 v129, v129, v130
	s_waitcnt vmcnt(10)
	v_mul_f32_e32 v130, v123, v188
	v_fma_f32 v74, v119, v183, -v74
	v_fmac_f32_e32 v130, v124, v187
	v_add_f32_e32 v73, v73, v74
	v_mul_f32_e32 v74, v122, v186
	v_add_f32_e32 v129, v129, v130
	s_waitcnt vmcnt(8) lgkmcnt(0)
	v_mul_f32_e32 v130, v125, v190
	v_fma_f32 v74, v121, v185, -v74
	v_fmac_f32_e32 v130, v126, v189
	v_add_f32_e32 v73, v73, v74
	v_mul_f32_e32 v74, v124, v188
	v_add_f32_e32 v133, v129, v130
	ds_read_b128 v[129:132], v72 offset:544
	v_fma_f32 v74, v123, v187, -v74
	v_add_f32_e32 v73, v73, v74
	v_mul_f32_e32 v74, v126, v190
	s_waitcnt vmcnt(6)
	v_mul_f32_e32 v134, v127, v192
	v_fma_f32 v74, v125, v189, -v74
	v_fmac_f32_e32 v134, v128, v191
	v_add_f32_e32 v73, v73, v74
	v_mul_f32_e32 v74, v128, v192
	v_add_f32_e32 v199, v133, v134
	ds_read_b64 v[133:134], v72 offset:560
	v_fma_f32 v74, v127, v191, -v74
	v_add_f32_e32 v73, v73, v74
	s_waitcnt vmcnt(4) lgkmcnt(1)
	v_mul_f32_e32 v74, v130, v194
	v_mul_f32_e32 v200, v129, v194
	v_fma_f32 v74, v129, v193, -v74
	v_fmac_f32_e32 v200, v130, v193
	v_add_f32_e32 v73, v73, v74
	s_waitcnt vmcnt(3)
	v_mul_f32_e32 v74, v132, v195
	v_add_f32_e32 v199, v199, v200
	v_mul_f32_e32 v200, v131, v195
	s_waitcnt vmcnt(2)
	v_fma_f32 v74, v131, v196, -v74
	v_fmac_f32_e32 v200, v132, v196
	v_add_f32_e32 v73, v73, v74
	s_waitcnt vmcnt(0) lgkmcnt(0)
	v_mul_f32_e32 v74, v134, v198
	v_add_f32_e32 v199, v199, v200
	v_mul_f32_e32 v200, v133, v198
	v_fma_f32 v74, v133, v197, -v74
	v_fmac_f32_e32 v200, v134, v197
	v_add_f32_e32 v73, v73, v74
	v_add_f32_e32 v199, v199, v200
	v_sub_f32_e32 v73, v157, v73
	v_sub_f32_e32 v74, v158, v199
	buffer_store_dword v73, off, s[0:3], 0 offset:24
	buffer_store_dword v74, off, s[0:3], 0 offset:28
	s_and_saveexec_b64 s[4:5], vcc
	s_cbranch_execz .LBB98_219
; %bb.218:
	buffer_load_dword v73, off, s[0:3], 0 offset:16
	buffer_load_dword v74, off, s[0:3], 0 offset:20
	s_waitcnt vmcnt(0)
	ds_write_b64 v71, v[73:74]
	buffer_store_dword v72, off, s[0:3], 0 offset:16
	buffer_store_dword v72, off, s[0:3], 0 offset:20
.LBB98_219:
	s_or_b64 exec, exec, s[4:5]
	s_waitcnt lgkmcnt(0)
	; wave barrier
	buffer_load_dword v137, off, s[0:3], 0 offset:28
	buffer_load_dword v138, off, s[0:3], 0 offset:36
	;; [unrolled: 1-line block ×26, first 2 shown]
	ds_read2_b64 v[73:76], v72 offset0:39 offset1:40
	ds_read2_b64 v[77:80], v72 offset0:41 offset1:42
	ds_read2_b64 v[81:84], v72 offset0:43 offset1:44
	ds_read2_b64 v[85:88], v72 offset0:45 offset1:46
	buffer_load_dword v163, off, s[0:3], 0 offset:124
	buffer_load_dword v164, off, s[0:3], 0 offset:120
	;; [unrolled: 1-line block ×34, first 2 shown]
	v_cmp_lt_u32_e32 vcc, 1, v0
	s_waitcnt vmcnt(59) lgkmcnt(3)
	v_mul_f32_e32 v89, v73, v137
	s_waitcnt vmcnt(58)
	v_mul_f32_e32 v90, v75, v138
	s_waitcnt vmcnt(57) lgkmcnt(2)
	v_mul_f32_e32 v91, v77, v139
	s_waitcnt vmcnt(56)
	v_mul_f32_e32 v92, v79, v140
	;; [unrolled: 4-line block ×4, first 2 shown]
	s_waitcnt vmcnt(51)
	v_fmac_f32_e32 v89, v74, v145
	s_waitcnt vmcnt(50)
	v_fmac_f32_e32 v90, v76, v146
	v_add_f32_e32 v89, 0, v89
	s_waitcnt vmcnt(49)
	v_fmac_f32_e32 v91, v78, v147
	v_add_f32_e32 v89, v89, v90
	;; [unrolled: 3-line block ×7, first 2 shown]
	v_add_f32_e32 v97, v89, v96
	ds_read2_b64 v[89:92], v72 offset0:47 offset1:48
	buffer_load_dword v197, off, s[0:3], 0 offset:260
	buffer_load_dword v198, off, s[0:3], 0 offset:256
	;; [unrolled: 1-line block ×4, first 2 shown]
	ds_read2_b64 v[93:96], v72 offset0:49 offset1:50
	buffer_load_dword v201, off, s[0:3], 0 offset:272
	buffer_load_dword v202, off, s[0:3], 0 offset:276
	v_mul_f32_e32 v74, v74, v137
	s_waitcnt vmcnt(49) lgkmcnt(1)
	v_mul_f32_e32 v98, v89, v153
	s_waitcnt vmcnt(48)
	v_fmac_f32_e32 v98, v90, v154
	v_fma_f32 v73, v73, v145, -v74
	v_mul_f32_e32 v74, v76, v138
	v_add_f32_e32 v97, v97, v98
	s_waitcnt vmcnt(46)
	v_mul_f32_e32 v98, v91, v156
	v_add_f32_e32 v73, 0, v73
	v_fma_f32 v74, v75, v146, -v74
	v_fmac_f32_e32 v98, v92, v155
	v_add_f32_e32 v73, v73, v74
	v_mul_f32_e32 v74, v78, v139
	v_add_f32_e32 v97, v97, v98
	s_waitcnt vmcnt(43) lgkmcnt(0)
	v_mul_f32_e32 v98, v93, v159
	v_fma_f32 v74, v77, v147, -v74
	s_waitcnt vmcnt(42)
	v_fmac_f32_e32 v98, v94, v160
	v_add_f32_e32 v73, v73, v74
	v_mul_f32_e32 v74, v80, v140
	v_add_f32_e32 v101, v97, v98
	ds_read2_b64 v[97:100], v72 offset0:51 offset1:52
	v_fma_f32 v74, v79, v148, -v74
	v_add_f32_e32 v73, v73, v74
	v_mul_f32_e32 v74, v82, v141
	s_waitcnt vmcnt(40)
	v_mul_f32_e32 v102, v95, v162
	v_fma_f32 v74, v81, v149, -v74
	v_fmac_f32_e32 v102, v96, v161
	v_add_f32_e32 v73, v73, v74
	v_mul_f32_e32 v74, v84, v142
	v_add_f32_e32 v105, v101, v102
	ds_read2_b64 v[101:104], v72 offset0:53 offset1:54
	v_fma_f32 v74, v83, v150, -v74
	s_waitcnt vmcnt(39) lgkmcnt(1)
	v_mul_f32_e32 v106, v97, v163
	v_add_f32_e32 v73, v73, v74
	v_mul_f32_e32 v74, v86, v143
	s_waitcnt vmcnt(38)
	v_fmac_f32_e32 v106, v98, v164
	v_fma_f32 v74, v85, v151, -v74
	v_add_f32_e32 v105, v105, v106
	s_waitcnt vmcnt(36)
	v_mul_f32_e32 v106, v99, v166
	v_add_f32_e32 v73, v73, v74
	v_mul_f32_e32 v74, v88, v144
	v_fmac_f32_e32 v106, v100, v165
	v_fma_f32 v74, v87, v152, -v74
	v_add_f32_e32 v105, v105, v106
	s_waitcnt vmcnt(34) lgkmcnt(0)
	v_mul_f32_e32 v106, v101, v168
	v_add_f32_e32 v73, v73, v74
	v_mul_f32_e32 v74, v90, v153
	v_fmac_f32_e32 v106, v102, v167
	v_fma_f32 v74, v89, v154, -v74
	v_add_f32_e32 v109, v105, v106
	ds_read2_b64 v[105:108], v72 offset0:55 offset1:56
	v_add_f32_e32 v73, v73, v74
	v_mul_f32_e32 v74, v92, v156
	v_fma_f32 v74, v91, v155, -v74
	s_waitcnt vmcnt(32)
	v_mul_f32_e32 v110, v103, v170
	v_add_f32_e32 v73, v73, v74
	v_mul_f32_e32 v74, v94, v159
	v_fmac_f32_e32 v110, v104, v169
	v_fma_f32 v74, v93, v160, -v74
	v_add_f32_e32 v113, v109, v110
	ds_read2_b64 v[109:112], v72 offset0:57 offset1:58
	v_add_f32_e32 v73, v73, v74
	v_mul_f32_e32 v74, v96, v162
	s_waitcnt vmcnt(30) lgkmcnt(1)
	v_mul_f32_e32 v114, v105, v172
	v_fma_f32 v74, v95, v161, -v74
	v_fmac_f32_e32 v114, v106, v171
	v_add_f32_e32 v73, v73, v74
	v_mul_f32_e32 v74, v98, v163
	v_add_f32_e32 v113, v113, v114
	s_waitcnt vmcnt(28)
	v_mul_f32_e32 v114, v107, v174
	v_fma_f32 v74, v97, v164, -v74
	v_fmac_f32_e32 v114, v108, v173
	v_add_f32_e32 v73, v73, v74
	v_mul_f32_e32 v74, v100, v166
	v_add_f32_e32 v113, v113, v114
	s_waitcnt vmcnt(26) lgkmcnt(0)
	v_mul_f32_e32 v114, v109, v176
	v_fma_f32 v74, v99, v165, -v74
	v_fmac_f32_e32 v114, v110, v175
	v_add_f32_e32 v73, v73, v74
	v_mul_f32_e32 v74, v102, v168
	v_add_f32_e32 v117, v113, v114
	ds_read2_b64 v[113:116], v72 offset0:59 offset1:60
	v_fma_f32 v74, v101, v167, -v74
	v_add_f32_e32 v73, v73, v74
	v_mul_f32_e32 v74, v104, v170
	s_waitcnt vmcnt(24)
	v_mul_f32_e32 v118, v111, v178
	v_fma_f32 v74, v103, v169, -v74
	v_fmac_f32_e32 v118, v112, v177
	v_add_f32_e32 v73, v73, v74
	v_mul_f32_e32 v74, v106, v172
	v_add_f32_e32 v121, v117, v118
	ds_read2_b64 v[117:120], v72 offset0:61 offset1:62
	v_fma_f32 v74, v105, v171, -v74
	s_waitcnt vmcnt(22) lgkmcnt(1)
	v_mul_f32_e32 v122, v113, v180
	v_add_f32_e32 v73, v73, v74
	v_mul_f32_e32 v74, v108, v174
	v_fmac_f32_e32 v122, v114, v179
	v_fma_f32 v74, v107, v173, -v74
	v_add_f32_e32 v121, v121, v122
	s_waitcnt vmcnt(20)
	v_mul_f32_e32 v122, v115, v182
	v_add_f32_e32 v73, v73, v74
	v_mul_f32_e32 v74, v110, v176
	v_fmac_f32_e32 v122, v116, v181
	v_fma_f32 v74, v109, v175, -v74
	v_add_f32_e32 v121, v121, v122
	s_waitcnt vmcnt(18) lgkmcnt(0)
	v_mul_f32_e32 v122, v117, v184
	v_add_f32_e32 v73, v73, v74
	v_mul_f32_e32 v74, v112, v178
	v_fmac_f32_e32 v122, v118, v183
	v_fma_f32 v74, v111, v177, -v74
	v_add_f32_e32 v125, v121, v122
	ds_read2_b64 v[121:124], v72 offset0:63 offset1:64
	v_add_f32_e32 v73, v73, v74
	v_mul_f32_e32 v74, v114, v180
	v_fma_f32 v74, v113, v179, -v74
	s_waitcnt vmcnt(16)
	v_mul_f32_e32 v126, v119, v186
	v_add_f32_e32 v73, v73, v74
	v_mul_f32_e32 v74, v116, v182
	v_fmac_f32_e32 v126, v120, v185
	v_fma_f32 v74, v115, v181, -v74
	v_add_f32_e32 v129, v125, v126
	ds_read2_b64 v[125:128], v72 offset0:65 offset1:66
	v_add_f32_e32 v73, v73, v74
	v_mul_f32_e32 v74, v118, v184
	s_waitcnt vmcnt(14) lgkmcnt(1)
	v_mul_f32_e32 v130, v121, v188
	v_fma_f32 v74, v117, v183, -v74
	v_fmac_f32_e32 v130, v122, v187
	v_add_f32_e32 v73, v73, v74
	v_mul_f32_e32 v74, v120, v186
	v_add_f32_e32 v129, v129, v130
	s_waitcnt vmcnt(12)
	v_mul_f32_e32 v130, v123, v190
	v_fma_f32 v74, v119, v185, -v74
	v_fmac_f32_e32 v130, v124, v189
	v_add_f32_e32 v73, v73, v74
	v_mul_f32_e32 v74, v122, v188
	v_add_f32_e32 v129, v129, v130
	s_waitcnt vmcnt(10) lgkmcnt(0)
	v_mul_f32_e32 v130, v125, v192
	v_fma_f32 v74, v121, v187, -v74
	v_fmac_f32_e32 v130, v126, v191
	v_add_f32_e32 v73, v73, v74
	v_mul_f32_e32 v74, v124, v190
	v_add_f32_e32 v133, v129, v130
	ds_read2_b64 v[129:132], v72 offset0:67 offset1:68
	v_fma_f32 v74, v123, v189, -v74
	v_add_f32_e32 v73, v73, v74
	v_mul_f32_e32 v74, v126, v192
	s_waitcnt vmcnt(8)
	v_mul_f32_e32 v134, v127, v194
	v_fma_f32 v74, v125, v191, -v74
	v_fmac_f32_e32 v134, v128, v193
	v_add_f32_e32 v73, v73, v74
	v_mul_f32_e32 v74, v128, v194
	v_add_f32_e32 v203, v133, v134
	ds_read2_b64 v[133:136], v72 offset0:69 offset1:70
	v_fma_f32 v74, v127, v193, -v74
	v_add_f32_e32 v73, v73, v74
	s_waitcnt vmcnt(6) lgkmcnt(1)
	v_mul_f32_e32 v74, v130, v196
	v_mul_f32_e32 v72, v129, v196
	v_fma_f32 v74, v129, v195, -v74
	v_fmac_f32_e32 v72, v130, v195
	v_add_f32_e32 v73, v73, v74
	s_waitcnt vmcnt(5)
	v_mul_f32_e32 v74, v132, v197
	v_add_f32_e32 v72, v203, v72
	v_mul_f32_e32 v203, v131, v197
	s_waitcnt vmcnt(4)
	v_fma_f32 v74, v131, v198, -v74
	v_fmac_f32_e32 v203, v132, v198
	v_add_f32_e32 v73, v73, v74
	s_waitcnt vmcnt(2) lgkmcnt(0)
	v_mul_f32_e32 v74, v134, v200
	v_add_f32_e32 v72, v72, v203
	v_mul_f32_e32 v203, v133, v200
	v_fma_f32 v74, v133, v199, -v74
	v_fmac_f32_e32 v203, v134, v199
	v_add_f32_e32 v73, v73, v74
	s_waitcnt vmcnt(0)
	v_mul_f32_e32 v74, v136, v202
	v_add_f32_e32 v72, v72, v203
	v_mul_f32_e32 v203, v135, v202
	v_fma_f32 v74, v135, v201, -v74
	v_fmac_f32_e32 v203, v136, v201
	v_add_f32_e32 v73, v73, v74
	v_add_f32_e32 v72, v72, v203
	v_sub_f32_e32 v73, v157, v73
	v_sub_f32_e32 v72, v158, v72
	buffer_store_dword v73, off, s[0:3], 0 offset:16
	buffer_store_dword v72, off, s[0:3], 0 offset:20
	s_and_saveexec_b64 s[4:5], vcc
	s_cbranch_execz .LBB98_221
; %bb.220:
	buffer_load_dword v72, off, s[0:3], 0 offset:8
	buffer_load_dword v73, off, s[0:3], 0 offset:12
	v_mov_b32_e32 v74, 0
	buffer_store_dword v74, off, s[0:3], 0 offset:8
	buffer_store_dword v74, off, s[0:3], 0 offset:12
	s_waitcnt vmcnt(2)
	ds_write_b64 v71, v[72:73]
.LBB98_221:
	s_or_b64 exec, exec, s[4:5]
	s_waitcnt lgkmcnt(0)
	; wave barrier
	buffer_load_dword v139, off, s[0:3], 0 offset:20
	buffer_load_dword v140, off, s[0:3], 0 offset:28
	;; [unrolled: 1-line block ×58, first 2 shown]
	v_mov_b32_e32 v72, 0
	ds_read_b128 v[73:76], v72 offset:304
	ds_read_b128 v[77:80], v72 offset:320
	;; [unrolled: 1-line block ×5, first 2 shown]
	buffer_load_dword v197, off, s[0:3], 0 offset:240
	buffer_load_dword v198, off, s[0:3], 0 offset:244
	v_cmp_ne_u32_e32 vcc, 0, v0
	s_waitcnt vmcnt(59) lgkmcnt(4)
	v_mul_f32_e32 v93, v73, v139
	s_waitcnt vmcnt(58)
	v_mul_f32_e32 v94, v75, v140
	s_waitcnt vmcnt(57) lgkmcnt(3)
	v_mul_f32_e32 v95, v77, v141
	s_waitcnt vmcnt(56)
	v_mul_f32_e32 v96, v79, v142
	;; [unrolled: 4-line block ×4, first 2 shown]
	s_waitcnt vmcnt(51)
	v_fmac_f32_e32 v93, v74, v147
	s_waitcnt vmcnt(50)
	v_fmac_f32_e32 v94, v76, v148
	v_add_f32_e32 v93, 0, v93
	s_waitcnt vmcnt(49)
	v_fmac_f32_e32 v95, v78, v149
	v_add_f32_e32 v93, v93, v94
	;; [unrolled: 3-line block ×7, first 2 shown]
	v_add_f32_e32 v97, v93, v100
	ds_read_b128 v[93:96], v72 offset:384
	buffer_load_dword v199, off, s[0:3], 0 offset:252
	buffer_load_dword v200, off, s[0:3], 0 offset:248
	buffer_load_dword v201, off, s[0:3], 0 offset:256
	buffer_load_dword v202, off, s[0:3], 0 offset:260
	buffer_load_dword v203, off, s[0:3], 0 offset:268
	buffer_load_dword v204, off, s[0:3], 0 offset:264
	buffer_load_dword v205, off, s[0:3], 0 offset:272
	buffer_load_dword v206, off, s[0:3], 0 offset:276
	s_waitcnt vmcnt(51) lgkmcnt(1)
	v_mul_f32_e32 v98, v89, v155
	s_waitcnt vmcnt(50)
	v_fmac_f32_e32 v98, v90, v156
	v_mul_f32_e32 v74, v74, v139
	v_add_f32_e32 v97, v97, v98
	s_waitcnt vmcnt(49)
	v_mul_f32_e32 v98, v91, v157
	v_fma_f32 v73, v73, v147, -v74
	v_mul_f32_e32 v74, v76, v140
	s_waitcnt vmcnt(46)
	v_fmac_f32_e32 v98, v92, v160
	v_add_f32_e32 v73, 0, v73
	v_fma_f32 v74, v75, v148, -v74
	v_add_f32_e32 v97, v97, v98
	s_waitcnt vmcnt(44) lgkmcnt(0)
	v_mul_f32_e32 v98, v93, v162
	v_add_f32_e32 v73, v73, v74
	v_mul_f32_e32 v74, v78, v141
	v_fmac_f32_e32 v98, v94, v161
	v_fma_f32 v74, v77, v149, -v74
	v_add_f32_e32 v101, v97, v98
	ds_read_b128 v[97:100], v72 offset:400
	v_add_f32_e32 v73, v73, v74
	v_mul_f32_e32 v74, v80, v142
	v_fma_f32 v74, v79, v150, -v74
	s_waitcnt vmcnt(42)
	v_mul_f32_e32 v102, v95, v164
	v_add_f32_e32 v73, v73, v74
	v_mul_f32_e32 v74, v82, v143
	v_fmac_f32_e32 v102, v96, v163
	v_fma_f32 v74, v81, v151, -v74
	v_add_f32_e32 v105, v101, v102
	ds_read_b128 v[101:104], v72 offset:416
	v_add_f32_e32 v73, v73, v74
	v_mul_f32_e32 v74, v84, v144
	s_waitcnt vmcnt(40) lgkmcnt(1)
	v_mul_f32_e32 v106, v97, v166
	v_fma_f32 v74, v83, v152, -v74
	v_fmac_f32_e32 v106, v98, v165
	v_add_f32_e32 v73, v73, v74
	v_mul_f32_e32 v74, v86, v145
	v_add_f32_e32 v105, v105, v106
	s_waitcnt vmcnt(38)
	v_mul_f32_e32 v106, v99, v168
	v_fma_f32 v74, v85, v153, -v74
	v_fmac_f32_e32 v106, v100, v167
	v_add_f32_e32 v73, v73, v74
	v_mul_f32_e32 v74, v88, v146
	v_add_f32_e32 v105, v105, v106
	s_waitcnt vmcnt(36) lgkmcnt(0)
	v_mul_f32_e32 v106, v101, v170
	v_fma_f32 v74, v87, v154, -v74
	v_fmac_f32_e32 v106, v102, v169
	v_add_f32_e32 v73, v73, v74
	v_mul_f32_e32 v74, v90, v155
	v_add_f32_e32 v109, v105, v106
	ds_read_b128 v[105:108], v72 offset:432
	v_fma_f32 v74, v89, v156, -v74
	v_add_f32_e32 v73, v73, v74
	v_mul_f32_e32 v74, v92, v157
	s_waitcnt vmcnt(34)
	v_mul_f32_e32 v110, v103, v172
	v_fma_f32 v74, v91, v160, -v74
	v_fmac_f32_e32 v110, v104, v171
	v_add_f32_e32 v73, v73, v74
	v_mul_f32_e32 v74, v94, v162
	v_add_f32_e32 v113, v109, v110
	ds_read_b128 v[109:112], v72 offset:448
	v_fma_f32 v74, v93, v161, -v74
	s_waitcnt vmcnt(32) lgkmcnt(1)
	v_mul_f32_e32 v114, v105, v174
	v_add_f32_e32 v73, v73, v74
	v_mul_f32_e32 v74, v96, v164
	v_fmac_f32_e32 v114, v106, v173
	v_fma_f32 v74, v95, v163, -v74
	v_add_f32_e32 v113, v113, v114
	s_waitcnt vmcnt(30)
	v_mul_f32_e32 v114, v107, v176
	v_add_f32_e32 v73, v73, v74
	v_mul_f32_e32 v74, v98, v166
	v_fmac_f32_e32 v114, v108, v175
	v_fma_f32 v74, v97, v165, -v74
	v_add_f32_e32 v113, v113, v114
	s_waitcnt vmcnt(28) lgkmcnt(0)
	v_mul_f32_e32 v114, v109, v178
	v_add_f32_e32 v73, v73, v74
	v_mul_f32_e32 v74, v100, v168
	v_fmac_f32_e32 v114, v110, v177
	v_fma_f32 v74, v99, v167, -v74
	v_add_f32_e32 v117, v113, v114
	ds_read_b128 v[113:116], v72 offset:464
	v_add_f32_e32 v73, v73, v74
	v_mul_f32_e32 v74, v102, v170
	v_fma_f32 v74, v101, v169, -v74
	s_waitcnt vmcnt(26)
	v_mul_f32_e32 v118, v111, v180
	v_add_f32_e32 v73, v73, v74
	v_mul_f32_e32 v74, v104, v172
	v_fmac_f32_e32 v118, v112, v179
	v_fma_f32 v74, v103, v171, -v74
	v_add_f32_e32 v121, v117, v118
	ds_read_b128 v[117:120], v72 offset:480
	v_add_f32_e32 v73, v73, v74
	v_mul_f32_e32 v74, v106, v174
	s_waitcnt vmcnt(24) lgkmcnt(1)
	v_mul_f32_e32 v122, v113, v182
	v_fma_f32 v74, v105, v173, -v74
	v_fmac_f32_e32 v122, v114, v181
	v_add_f32_e32 v73, v73, v74
	v_mul_f32_e32 v74, v108, v176
	v_add_f32_e32 v121, v121, v122
	s_waitcnt vmcnt(22)
	v_mul_f32_e32 v122, v115, v184
	v_fma_f32 v74, v107, v175, -v74
	v_fmac_f32_e32 v122, v116, v183
	v_add_f32_e32 v73, v73, v74
	v_mul_f32_e32 v74, v110, v178
	v_add_f32_e32 v121, v121, v122
	s_waitcnt vmcnt(20) lgkmcnt(0)
	v_mul_f32_e32 v122, v117, v186
	v_fma_f32 v74, v109, v177, -v74
	v_fmac_f32_e32 v122, v118, v185
	v_add_f32_e32 v73, v73, v74
	v_mul_f32_e32 v74, v112, v180
	v_add_f32_e32 v125, v121, v122
	ds_read_b128 v[121:124], v72 offset:496
	v_fma_f32 v74, v111, v179, -v74
	v_add_f32_e32 v73, v73, v74
	v_mul_f32_e32 v74, v114, v182
	s_waitcnt vmcnt(18)
	v_mul_f32_e32 v126, v119, v188
	v_fma_f32 v74, v113, v181, -v74
	v_fmac_f32_e32 v126, v120, v187
	v_add_f32_e32 v73, v73, v74
	v_mul_f32_e32 v74, v116, v184
	v_add_f32_e32 v129, v125, v126
	ds_read_b128 v[125:128], v72 offset:512
	v_fma_f32 v74, v115, v183, -v74
	s_waitcnt vmcnt(16) lgkmcnt(1)
	v_mul_f32_e32 v130, v121, v190
	v_add_f32_e32 v73, v73, v74
	v_mul_f32_e32 v74, v118, v186
	v_fmac_f32_e32 v130, v122, v189
	v_fma_f32 v74, v117, v185, -v74
	v_add_f32_e32 v129, v129, v130
	s_waitcnt vmcnt(14)
	v_mul_f32_e32 v130, v123, v192
	v_add_f32_e32 v73, v73, v74
	v_mul_f32_e32 v74, v120, v188
	v_fmac_f32_e32 v130, v124, v191
	v_fma_f32 v74, v119, v187, -v74
	v_add_f32_e32 v129, v129, v130
	s_waitcnt vmcnt(12) lgkmcnt(0)
	v_mul_f32_e32 v130, v125, v194
	v_add_f32_e32 v73, v73, v74
	v_mul_f32_e32 v74, v122, v190
	v_fmac_f32_e32 v130, v126, v193
	v_fma_f32 v74, v121, v189, -v74
	v_add_f32_e32 v133, v129, v130
	ds_read_b128 v[129:132], v72 offset:528
	v_add_f32_e32 v73, v73, v74
	v_mul_f32_e32 v74, v124, v192
	v_fma_f32 v74, v123, v191, -v74
	v_add_f32_e32 v73, v73, v74
	v_mul_f32_e32 v74, v126, v194
	s_waitcnt vmcnt(10)
	v_mul_f32_e32 v134, v127, v196
	v_fma_f32 v74, v125, v193, -v74
	v_fmac_f32_e32 v134, v128, v195
	v_add_f32_e32 v73, v73, v74
	v_mul_f32_e32 v74, v128, v196
	v_add_f32_e32 v137, v133, v134
	ds_read_b128 v[133:136], v72 offset:544
	s_waitcnt vmcnt(8) lgkmcnt(1)
	v_mul_f32_e32 v138, v129, v198
	v_fma_f32 v74, v127, v195, -v74
	v_fmac_f32_e32 v138, v130, v197
	v_add_f32_e32 v73, v73, v74
	v_mul_f32_e32 v74, v130, v198
	v_add_f32_e32 v137, v137, v138
	s_waitcnt vmcnt(7)
	v_mul_f32_e32 v138, v131, v199
	v_fma_f32 v74, v129, v197, -v74
	s_waitcnt vmcnt(6)
	v_fmac_f32_e32 v138, v132, v200
	v_add_f32_e32 v73, v73, v74
	v_mul_f32_e32 v74, v132, v199
	v_add_f32_e32 v207, v137, v138
	ds_read_b64 v[137:138], v72 offset:560
	v_fma_f32 v74, v131, v200, -v74
	v_add_f32_e32 v73, v73, v74
	s_waitcnt vmcnt(4) lgkmcnt(1)
	v_mul_f32_e32 v74, v134, v202
	v_mul_f32_e32 v208, v133, v202
	v_fma_f32 v74, v133, v201, -v74
	v_fmac_f32_e32 v208, v134, v201
	v_add_f32_e32 v73, v73, v74
	s_waitcnt vmcnt(3)
	v_mul_f32_e32 v74, v136, v203
	v_add_f32_e32 v207, v207, v208
	v_mul_f32_e32 v208, v135, v203
	s_waitcnt vmcnt(2)
	v_fma_f32 v74, v135, v204, -v74
	v_fmac_f32_e32 v208, v136, v204
	v_add_f32_e32 v73, v73, v74
	s_waitcnt vmcnt(0) lgkmcnt(0)
	v_mul_f32_e32 v74, v138, v206
	v_add_f32_e32 v207, v207, v208
	v_mul_f32_e32 v208, v137, v206
	v_fma_f32 v74, v137, v205, -v74
	v_fmac_f32_e32 v208, v138, v205
	v_add_f32_e32 v73, v73, v74
	v_add_f32_e32 v207, v207, v208
	v_sub_f32_e32 v73, v158, v73
	v_sub_f32_e32 v74, v159, v207
	buffer_store_dword v73, off, s[0:3], 0 offset:8
	buffer_store_dword v74, off, s[0:3], 0 offset:12
	s_and_saveexec_b64 s[4:5], vcc
	s_cbranch_execz .LBB98_223
; %bb.222:
	buffer_load_dword v73, off, s[0:3], 0
	buffer_load_dword v74, off, s[0:3], 0 offset:4
	s_waitcnt vmcnt(0)
	ds_write_b64 v71, v[73:74]
	buffer_store_dword v72, off, s[0:3], 0
	buffer_store_dword v72, off, s[0:3], 0 offset:4
.LBB98_223:
	s_or_b64 exec, exec, s[4:5]
	s_waitcnt lgkmcnt(0)
	; wave barrier
	buffer_load_dword v0, off, s[0:3], 0 offset:12
	buffer_load_dword v71, off, s[0:3], 0 offset:20
	;; [unrolled: 1-line block ×20, first 2 shown]
	buffer_load_dword v159, off, s[0:3], 0
	buffer_load_dword v160, off, s[0:3], 0 offset:4
	buffer_load_dword v161, off, s[0:3], 0 offset:92
	;; [unrolled: 1-line block ×3, first 2 shown]
	ds_read2_b64 v[73:76], v72 offset0:37 offset1:38
	ds_read2_b64 v[77:80], v72 offset0:39 offset1:40
	;; [unrolled: 1-line block ×6, first 2 shown]
	buffer_load_dword v163, off, s[0:3], 0 offset:100
	buffer_load_dword v164, off, s[0:3], 0 offset:96
	;; [unrolled: 1-line block ×46, first 2 shown]
	s_and_b64 vcc, exec, s[14:15]
	s_waitcnt vmcnt(62) lgkmcnt(5)
	v_mul_f32_e32 v97, v73, v0
	v_mul_f32_e32 v98, v75, v71
	s_waitcnt lgkmcnt(4)
	v_mul_f32_e32 v99, v77, v141
	v_mul_f32_e32 v100, v79, v142
	s_waitcnt lgkmcnt(3)
	;; [unrolled: 3-line block ×3, first 2 shown]
	v_mul_f32_e32 v103, v85, v145
	v_mul_f32_e32 v104, v87, v146
	s_waitcnt vmcnt(61)
	v_fmac_f32_e32 v97, v74, v147
	s_waitcnt vmcnt(60)
	v_fmac_f32_e32 v98, v76, v148
	v_add_f32_e32 v97, 0, v97
	s_waitcnt vmcnt(59)
	v_fmac_f32_e32 v99, v78, v149
	v_add_f32_e32 v97, v97, v98
	;; [unrolled: 3-line block ×7, first 2 shown]
	s_waitcnt vmcnt(53) lgkmcnt(1)
	v_mul_f32_e32 v98, v89, v155
	v_add_f32_e32 v97, v97, v104
	s_waitcnt vmcnt(52)
	v_fmac_f32_e32 v98, v90, v156
	v_mul_f32_e32 v0, v74, v0
	v_add_f32_e32 v97, v97, v98
	s_waitcnt vmcnt(51)
	v_mul_f32_e32 v98, v91, v157
	v_fma_f32 v0, v73, v147, -v0
	v_mul_f32_e32 v71, v76, v71
	s_waitcnt vmcnt(50)
	v_fmac_f32_e32 v98, v92, v158
	v_add_f32_e32 v0, 0, v0
	v_fma_f32 v71, v75, v148, -v71
	v_add_f32_e32 v97, v97, v98
	s_waitcnt vmcnt(47) lgkmcnt(0)
	v_mul_f32_e32 v98, v93, v161
	v_add_f32_e32 v0, v0, v71
	v_mul_f32_e32 v71, v78, v141
	s_waitcnt vmcnt(46)
	v_fmac_f32_e32 v98, v94, v162
	v_fma_f32 v71, v77, v149, -v71
	v_add_f32_e32 v101, v97, v98
	ds_read2_b64 v[97:100], v72 offset0:49 offset1:50
	v_add_f32_e32 v0, v0, v71
	v_mul_f32_e32 v71, v80, v142
	v_fma_f32 v71, v79, v150, -v71
	s_waitcnt vmcnt(45)
	v_mul_f32_e32 v102, v95, v163
	v_add_f32_e32 v0, v0, v71
	v_mul_f32_e32 v71, v82, v143
	s_waitcnt vmcnt(44)
	v_fmac_f32_e32 v102, v96, v164
	v_fma_f32 v71, v81, v151, -v71
	v_add_f32_e32 v105, v101, v102
	ds_read2_b64 v[101:104], v72 offset0:51 offset1:52
	v_add_f32_e32 v0, v0, v71
	v_mul_f32_e32 v71, v84, v144
	s_waitcnt vmcnt(42) lgkmcnt(1)
	v_mul_f32_e32 v106, v97, v166
	v_fma_f32 v71, v83, v152, -v71
	v_fmac_f32_e32 v106, v98, v165
	v_add_f32_e32 v0, v0, v71
	v_mul_f32_e32 v71, v86, v145
	v_add_f32_e32 v105, v105, v106
	s_waitcnt vmcnt(40)
	v_mul_f32_e32 v106, v99, v168
	v_fma_f32 v71, v85, v153, -v71
	v_fmac_f32_e32 v106, v100, v167
	v_add_f32_e32 v0, v0, v71
	v_mul_f32_e32 v71, v88, v146
	v_add_f32_e32 v105, v105, v106
	s_waitcnt vmcnt(38) lgkmcnt(0)
	v_mul_f32_e32 v106, v101, v170
	v_fma_f32 v71, v87, v154, -v71
	v_fmac_f32_e32 v106, v102, v169
	v_add_f32_e32 v0, v0, v71
	v_mul_f32_e32 v71, v90, v155
	v_add_f32_e32 v109, v105, v106
	ds_read2_b64 v[105:108], v72 offset0:53 offset1:54
	v_fma_f32 v71, v89, v156, -v71
	v_add_f32_e32 v0, v0, v71
	v_mul_f32_e32 v71, v92, v157
	s_waitcnt vmcnt(36)
	v_mul_f32_e32 v110, v103, v172
	v_fma_f32 v71, v91, v158, -v71
	v_fmac_f32_e32 v110, v104, v171
	v_add_f32_e32 v0, v0, v71
	v_mul_f32_e32 v71, v94, v161
	v_add_f32_e32 v113, v109, v110
	ds_read2_b64 v[109:112], v72 offset0:55 offset1:56
	v_fma_f32 v71, v93, v162, -v71
	s_waitcnt vmcnt(34) lgkmcnt(1)
	v_mul_f32_e32 v114, v105, v174
	v_add_f32_e32 v0, v0, v71
	v_mul_f32_e32 v71, v96, v163
	v_fmac_f32_e32 v114, v106, v173
	v_fma_f32 v71, v95, v164, -v71
	v_add_f32_e32 v113, v113, v114
	s_waitcnt vmcnt(32)
	v_mul_f32_e32 v114, v107, v176
	v_add_f32_e32 v0, v0, v71
	v_mul_f32_e32 v71, v98, v166
	v_fmac_f32_e32 v114, v108, v175
	v_fma_f32 v71, v97, v165, -v71
	v_add_f32_e32 v113, v113, v114
	s_waitcnt vmcnt(30) lgkmcnt(0)
	v_mul_f32_e32 v114, v109, v178
	v_add_f32_e32 v0, v0, v71
	v_mul_f32_e32 v71, v100, v168
	v_fmac_f32_e32 v114, v110, v177
	v_fma_f32 v71, v99, v167, -v71
	v_add_f32_e32 v117, v113, v114
	ds_read2_b64 v[113:116], v72 offset0:57 offset1:58
	v_add_f32_e32 v0, v0, v71
	v_mul_f32_e32 v71, v102, v170
	v_fma_f32 v71, v101, v169, -v71
	s_waitcnt vmcnt(28)
	v_mul_f32_e32 v118, v111, v180
	v_add_f32_e32 v0, v0, v71
	v_mul_f32_e32 v71, v104, v172
	v_fmac_f32_e32 v118, v112, v179
	v_fma_f32 v71, v103, v171, -v71
	v_add_f32_e32 v121, v117, v118
	ds_read2_b64 v[117:120], v72 offset0:59 offset1:60
	v_add_f32_e32 v0, v0, v71
	v_mul_f32_e32 v71, v106, v174
	s_waitcnt vmcnt(26) lgkmcnt(1)
	v_mul_f32_e32 v122, v113, v182
	v_fma_f32 v71, v105, v173, -v71
	v_fmac_f32_e32 v122, v114, v181
	v_add_f32_e32 v0, v0, v71
	v_mul_f32_e32 v71, v108, v176
	v_add_f32_e32 v121, v121, v122
	s_waitcnt vmcnt(24)
	v_mul_f32_e32 v122, v115, v184
	v_fma_f32 v71, v107, v175, -v71
	v_fmac_f32_e32 v122, v116, v183
	v_add_f32_e32 v0, v0, v71
	v_mul_f32_e32 v71, v110, v178
	v_add_f32_e32 v121, v121, v122
	s_waitcnt vmcnt(22) lgkmcnt(0)
	v_mul_f32_e32 v122, v117, v186
	v_fma_f32 v71, v109, v177, -v71
	v_fmac_f32_e32 v122, v118, v185
	v_add_f32_e32 v0, v0, v71
	v_mul_f32_e32 v71, v112, v180
	v_add_f32_e32 v125, v121, v122
	ds_read2_b64 v[121:124], v72 offset0:61 offset1:62
	v_fma_f32 v71, v111, v179, -v71
	v_add_f32_e32 v0, v0, v71
	v_mul_f32_e32 v71, v114, v182
	s_waitcnt vmcnt(20)
	v_mul_f32_e32 v126, v119, v188
	v_fma_f32 v71, v113, v181, -v71
	v_fmac_f32_e32 v126, v120, v187
	v_add_f32_e32 v0, v0, v71
	v_mul_f32_e32 v71, v116, v184
	v_add_f32_e32 v129, v125, v126
	ds_read2_b64 v[125:128], v72 offset0:63 offset1:64
	v_fma_f32 v71, v115, v183, -v71
	s_waitcnt vmcnt(18) lgkmcnt(1)
	v_mul_f32_e32 v130, v121, v190
	v_add_f32_e32 v0, v0, v71
	v_mul_f32_e32 v71, v118, v186
	v_fmac_f32_e32 v130, v122, v189
	v_fma_f32 v71, v117, v185, -v71
	v_add_f32_e32 v129, v129, v130
	s_waitcnt vmcnt(16)
	v_mul_f32_e32 v130, v123, v192
	v_add_f32_e32 v0, v0, v71
	v_mul_f32_e32 v71, v120, v188
	v_fmac_f32_e32 v130, v124, v191
	v_fma_f32 v71, v119, v187, -v71
	v_add_f32_e32 v129, v129, v130
	s_waitcnt vmcnt(14) lgkmcnt(0)
	v_mul_f32_e32 v130, v125, v194
	v_add_f32_e32 v0, v0, v71
	v_mul_f32_e32 v71, v122, v190
	v_fmac_f32_e32 v130, v126, v193
	v_fma_f32 v71, v121, v189, -v71
	v_add_f32_e32 v133, v129, v130
	ds_read2_b64 v[129:132], v72 offset0:65 offset1:66
	v_add_f32_e32 v0, v0, v71
	v_mul_f32_e32 v71, v124, v192
	v_fma_f32 v71, v123, v191, -v71
	v_add_f32_e32 v0, v0, v71
	v_mul_f32_e32 v71, v126, v194
	s_waitcnt vmcnt(12)
	v_mul_f32_e32 v134, v127, v196
	v_fma_f32 v71, v125, v193, -v71
	v_fmac_f32_e32 v134, v128, v195
	v_add_f32_e32 v0, v0, v71
	v_mul_f32_e32 v71, v128, v196
	v_add_f32_e32 v137, v133, v134
	ds_read2_b64 v[133:136], v72 offset0:67 offset1:68
	s_waitcnt vmcnt(10) lgkmcnt(1)
	v_mul_f32_e32 v138, v129, v198
	v_fma_f32 v71, v127, v195, -v71
	v_fmac_f32_e32 v138, v130, v197
	v_add_f32_e32 v0, v0, v71
	v_mul_f32_e32 v71, v130, v198
	v_add_f32_e32 v137, v137, v138
	s_waitcnt vmcnt(9)
	v_mul_f32_e32 v138, v131, v199
	v_fma_f32 v71, v129, v197, -v71
	s_waitcnt vmcnt(8)
	v_fmac_f32_e32 v138, v132, v200
	v_add_f32_e32 v0, v0, v71
	v_mul_f32_e32 v71, v132, v199
	v_add_f32_e32 v209, v137, v138
	ds_read2_b64 v[137:140], v72 offset0:69 offset1:70
	v_fma_f32 v71, v131, v200, -v71
	v_add_f32_e32 v0, v0, v71
	s_waitcnt vmcnt(6) lgkmcnt(1)
	v_mul_f32_e32 v71, v134, v202
	v_mul_f32_e32 v210, v133, v202
	v_fma_f32 v71, v133, v201, -v71
	v_fmac_f32_e32 v210, v134, v201
	v_add_f32_e32 v0, v0, v71
	s_waitcnt vmcnt(4)
	v_mul_f32_e32 v71, v136, v204
	v_add_f32_e32 v72, v209, v210
	v_mul_f32_e32 v209, v135, v204
	v_fma_f32 v71, v135, v203, -v71
	v_fmac_f32_e32 v209, v136, v203
	v_add_f32_e32 v0, v0, v71
	s_waitcnt vmcnt(3) lgkmcnt(0)
	v_mul_f32_e32 v71, v138, v205
	v_add_f32_e32 v72, v72, v209
	v_mul_f32_e32 v209, v137, v205
	s_waitcnt vmcnt(2)
	v_fma_f32 v71, v137, v206, -v71
	v_fmac_f32_e32 v209, v138, v206
	v_add_f32_e32 v0, v0, v71
	s_waitcnt vmcnt(0)
	v_mul_f32_e32 v71, v140, v208
	v_add_f32_e32 v72, v72, v209
	v_mul_f32_e32 v209, v139, v208
	v_fma_f32 v71, v139, v207, -v71
	v_fmac_f32_e32 v209, v140, v207
	v_add_f32_e32 v0, v0, v71
	v_add_f32_e32 v72, v72, v209
	v_sub_f32_e32 v0, v159, v0
	v_sub_f32_e32 v71, v160, v72
	buffer_store_dword v0, off, s[0:3], 0
	buffer_store_dword v71, off, s[0:3], 0 offset:4
	s_cbranch_vccz .LBB98_292
; %bb.224:
	v_mov_b32_e32 v0, 0
	global_load_dword v71, v0, s[12:13] offset:132
	s_waitcnt vmcnt(0)
	v_add_u32_e32 v71, -1, v71
	v_cmp_ne_u32_e32 vcc, 33, v71
	s_cbranch_vccz .LBB98_226
; %bb.225:
	v_lshlrev_b32_e32 v71, 3, v71
	buffer_load_dword v72, v71, s[0:3], 0 offen
	buffer_load_dword v73, v71, s[0:3], 0 offen offset:4
	buffer_load_dword v74, off, s[0:3], 0 offset:264
	buffer_load_dword v75, off, s[0:3], 0 offset:268
	s_waitcnt vmcnt(3)
	buffer_store_dword v72, off, s[0:3], 0 offset:264
	s_waitcnt vmcnt(3)
	buffer_store_dword v73, off, s[0:3], 0 offset:268
	s_waitcnt vmcnt(3)
	buffer_store_dword v74, v71, s[0:3], 0 offen
	s_waitcnt vmcnt(3)
	buffer_store_dword v75, v71, s[0:3], 0 offen offset:4
.LBB98_226:
	global_load_dword v0, v0, s[12:13] offset:128
	s_waitcnt vmcnt(0)
	v_add_u32_e32 v0, -1, v0
	v_cmp_eq_u32_e32 vcc, 32, v0
	s_cbranch_vccnz .LBB98_228
; %bb.227:
	v_lshlrev_b32_e32 v0, 3, v0
	buffer_load_dword v71, v0, s[0:3], 0 offen
	buffer_load_dword v72, v0, s[0:3], 0 offen offset:4
	buffer_load_dword v73, off, s[0:3], 0 offset:260
	buffer_load_dword v74, off, s[0:3], 0 offset:256
	s_waitcnt vmcnt(3)
	buffer_store_dword v71, off, s[0:3], 0 offset:256
	s_waitcnt vmcnt(3)
	buffer_store_dword v72, off, s[0:3], 0 offset:260
	s_waitcnt vmcnt(3)
	buffer_store_dword v73, v0, s[0:3], 0 offen offset:4
	s_waitcnt vmcnt(3)
	buffer_store_dword v74, v0, s[0:3], 0 offen
.LBB98_228:
	v_mov_b32_e32 v0, 0
	global_load_dword v71, v0, s[12:13] offset:124
	s_waitcnt vmcnt(0)
	v_add_u32_e32 v71, -1, v71
	v_cmp_eq_u32_e32 vcc, 31, v71
	s_cbranch_vccnz .LBB98_230
; %bb.229:
	v_lshlrev_b32_e32 v71, 3, v71
	buffer_load_dword v72, v71, s[0:3], 0 offen
	buffer_load_dword v73, v71, s[0:3], 0 offen offset:4
	buffer_load_dword v74, off, s[0:3], 0 offset:248
	buffer_load_dword v75, off, s[0:3], 0 offset:252
	s_waitcnt vmcnt(3)
	buffer_store_dword v72, off, s[0:3], 0 offset:248
	s_waitcnt vmcnt(3)
	buffer_store_dword v73, off, s[0:3], 0 offset:252
	s_waitcnt vmcnt(3)
	buffer_store_dword v74, v71, s[0:3], 0 offen
	s_waitcnt vmcnt(3)
	buffer_store_dword v75, v71, s[0:3], 0 offen offset:4
.LBB98_230:
	global_load_dword v0, v0, s[12:13] offset:120
	s_waitcnt vmcnt(0)
	v_add_u32_e32 v0, -1, v0
	v_cmp_eq_u32_e32 vcc, 30, v0
	s_cbranch_vccnz .LBB98_232
; %bb.231:
	v_lshlrev_b32_e32 v0, 3, v0
	buffer_load_dword v71, v0, s[0:3], 0 offen
	buffer_load_dword v72, v0, s[0:3], 0 offen offset:4
	buffer_load_dword v73, off, s[0:3], 0 offset:244
	buffer_load_dword v74, off, s[0:3], 0 offset:240
	s_waitcnt vmcnt(3)
	buffer_store_dword v71, off, s[0:3], 0 offset:240
	s_waitcnt vmcnt(3)
	buffer_store_dword v72, off, s[0:3], 0 offset:244
	s_waitcnt vmcnt(3)
	buffer_store_dword v73, v0, s[0:3], 0 offen offset:4
	s_waitcnt vmcnt(3)
	buffer_store_dword v74, v0, s[0:3], 0 offen
.LBB98_232:
	v_mov_b32_e32 v0, 0
	global_load_dword v71, v0, s[12:13] offset:116
	s_waitcnt vmcnt(0)
	v_add_u32_e32 v71, -1, v71
	v_cmp_eq_u32_e32 vcc, 29, v71
	s_cbranch_vccnz .LBB98_234
; %bb.233:
	v_lshlrev_b32_e32 v71, 3, v71
	buffer_load_dword v72, v71, s[0:3], 0 offen
	buffer_load_dword v73, v71, s[0:3], 0 offen offset:4
	buffer_load_dword v74, off, s[0:3], 0 offset:232
	buffer_load_dword v75, off, s[0:3], 0 offset:236
	s_waitcnt vmcnt(3)
	buffer_store_dword v72, off, s[0:3], 0 offset:232
	s_waitcnt vmcnt(3)
	buffer_store_dword v73, off, s[0:3], 0 offset:236
	s_waitcnt vmcnt(3)
	buffer_store_dword v74, v71, s[0:3], 0 offen
	s_waitcnt vmcnt(3)
	buffer_store_dword v75, v71, s[0:3], 0 offen offset:4
.LBB98_234:
	;; [unrolled: 41-line block ×16, first 2 shown]
	global_load_dword v0, v0, s[12:13]
	s_waitcnt vmcnt(0)
	v_add_u32_e32 v0, -1, v0
	v_cmp_eq_u32_e32 vcc, 0, v0
	s_cbranch_vccnz .LBB98_292
; %bb.291:
	v_lshlrev_b32_e32 v0, 3, v0
	buffer_load_dword v71, v0, s[0:3], 0 offen
	buffer_load_dword v72, v0, s[0:3], 0 offen offset:4
	buffer_load_dword v73, off, s[0:3], 0 offset:4
	buffer_load_dword v74, off, s[0:3], 0
	s_waitcnt vmcnt(3)
	buffer_store_dword v71, off, s[0:3], 0
	s_waitcnt vmcnt(3)
	buffer_store_dword v72, off, s[0:3], 0 offset:4
	s_waitcnt vmcnt(3)
	buffer_store_dword v73, v0, s[0:3], 0 offen offset:4
	s_waitcnt vmcnt(3)
	buffer_store_dword v74, v0, s[0:3], 0 offen
.LBB98_292:
	buffer_load_dword v71, off, s[0:3], 0
	buffer_load_dword v72, off, s[0:3], 0 offset:4
	s_waitcnt vmcnt(0)
	flat_store_dwordx2 v[1:2], v[71:72]
	buffer_load_dword v0, off, s[0:3], 0 offset:8
	s_nop 0
	buffer_load_dword v1, off, s[0:3], 0 offset:12
	s_waitcnt vmcnt(0)
	flat_store_dwordx2 v[3:4], v[0:1]
	buffer_load_dword v0, off, s[0:3], 0 offset:16
	s_nop 0
	;; [unrolled: 5-line block ×34, first 2 shown]
	buffer_load_dword v1, off, s[0:3], 0 offset:276
	s_waitcnt vmcnt(0)
	flat_store_dwordx2 v[69:70], v[0:1]
	s_endpgm
	.section	.rodata,"a",@progbits
	.p2align	6, 0x0
	.amdhsa_kernel _ZN9rocsolver6v33100L18getri_kernel_smallILi35E19rocblas_complex_numIfEPKPS3_EEvT1_iilPiilS8_bb
		.amdhsa_group_segment_fixed_size 568
		.amdhsa_private_segment_fixed_size 288
		.amdhsa_kernarg_size 60
		.amdhsa_user_sgpr_count 6
		.amdhsa_user_sgpr_private_segment_buffer 1
		.amdhsa_user_sgpr_dispatch_ptr 0
		.amdhsa_user_sgpr_queue_ptr 0
		.amdhsa_user_sgpr_kernarg_segment_ptr 1
		.amdhsa_user_sgpr_dispatch_id 0
		.amdhsa_user_sgpr_flat_scratch_init 0
		.amdhsa_user_sgpr_private_segment_size 0
		.amdhsa_uses_dynamic_stack 0
		.amdhsa_system_sgpr_private_segment_wavefront_offset 1
		.amdhsa_system_sgpr_workgroup_id_x 1
		.amdhsa_system_sgpr_workgroup_id_y 0
		.amdhsa_system_sgpr_workgroup_id_z 0
		.amdhsa_system_sgpr_workgroup_info 0
		.amdhsa_system_vgpr_workitem_id 0
		.amdhsa_next_free_vgpr 211
		.amdhsa_next_free_sgpr 21
		.amdhsa_reserve_vcc 1
		.amdhsa_reserve_flat_scratch 0
		.amdhsa_float_round_mode_32 0
		.amdhsa_float_round_mode_16_64 0
		.amdhsa_float_denorm_mode_32 3
		.amdhsa_float_denorm_mode_16_64 3
		.amdhsa_dx10_clamp 1
		.amdhsa_ieee_mode 1
		.amdhsa_fp16_overflow 0
		.amdhsa_exception_fp_ieee_invalid_op 0
		.amdhsa_exception_fp_denorm_src 0
		.amdhsa_exception_fp_ieee_div_zero 0
		.amdhsa_exception_fp_ieee_overflow 0
		.amdhsa_exception_fp_ieee_underflow 0
		.amdhsa_exception_fp_ieee_inexact 0
		.amdhsa_exception_int_div_zero 0
	.end_amdhsa_kernel
	.section	.text._ZN9rocsolver6v33100L18getri_kernel_smallILi35E19rocblas_complex_numIfEPKPS3_EEvT1_iilPiilS8_bb,"axG",@progbits,_ZN9rocsolver6v33100L18getri_kernel_smallILi35E19rocblas_complex_numIfEPKPS3_EEvT1_iilPiilS8_bb,comdat
.Lfunc_end98:
	.size	_ZN9rocsolver6v33100L18getri_kernel_smallILi35E19rocblas_complex_numIfEPKPS3_EEvT1_iilPiilS8_bb, .Lfunc_end98-_ZN9rocsolver6v33100L18getri_kernel_smallILi35E19rocblas_complex_numIfEPKPS3_EEvT1_iilPiilS8_bb
                                        ; -- End function
	.set _ZN9rocsolver6v33100L18getri_kernel_smallILi35E19rocblas_complex_numIfEPKPS3_EEvT1_iilPiilS8_bb.num_vgpr, 211
	.set _ZN9rocsolver6v33100L18getri_kernel_smallILi35E19rocblas_complex_numIfEPKPS3_EEvT1_iilPiilS8_bb.num_agpr, 0
	.set _ZN9rocsolver6v33100L18getri_kernel_smallILi35E19rocblas_complex_numIfEPKPS3_EEvT1_iilPiilS8_bb.numbered_sgpr, 21
	.set _ZN9rocsolver6v33100L18getri_kernel_smallILi35E19rocblas_complex_numIfEPKPS3_EEvT1_iilPiilS8_bb.num_named_barrier, 0
	.set _ZN9rocsolver6v33100L18getri_kernel_smallILi35E19rocblas_complex_numIfEPKPS3_EEvT1_iilPiilS8_bb.private_seg_size, 288
	.set _ZN9rocsolver6v33100L18getri_kernel_smallILi35E19rocblas_complex_numIfEPKPS3_EEvT1_iilPiilS8_bb.uses_vcc, 1
	.set _ZN9rocsolver6v33100L18getri_kernel_smallILi35E19rocblas_complex_numIfEPKPS3_EEvT1_iilPiilS8_bb.uses_flat_scratch, 0
	.set _ZN9rocsolver6v33100L18getri_kernel_smallILi35E19rocblas_complex_numIfEPKPS3_EEvT1_iilPiilS8_bb.has_dyn_sized_stack, 0
	.set _ZN9rocsolver6v33100L18getri_kernel_smallILi35E19rocblas_complex_numIfEPKPS3_EEvT1_iilPiilS8_bb.has_recursion, 0
	.set _ZN9rocsolver6v33100L18getri_kernel_smallILi35E19rocblas_complex_numIfEPKPS3_EEvT1_iilPiilS8_bb.has_indirect_call, 0
	.section	.AMDGPU.csdata,"",@progbits
; Kernel info:
; codeLenInByte = 51624
; TotalNumSgprs: 25
; NumVgprs: 211
; ScratchSize: 288
; MemoryBound: 0
; FloatMode: 240
; IeeeMode: 1
; LDSByteSize: 568 bytes/workgroup (compile time only)
; SGPRBlocks: 3
; VGPRBlocks: 52
; NumSGPRsForWavesPerEU: 25
; NumVGPRsForWavesPerEU: 211
; Occupancy: 1
; WaveLimiterHint : 1
; COMPUTE_PGM_RSRC2:SCRATCH_EN: 1
; COMPUTE_PGM_RSRC2:USER_SGPR: 6
; COMPUTE_PGM_RSRC2:TRAP_HANDLER: 0
; COMPUTE_PGM_RSRC2:TGID_X_EN: 1
; COMPUTE_PGM_RSRC2:TGID_Y_EN: 0
; COMPUTE_PGM_RSRC2:TGID_Z_EN: 0
; COMPUTE_PGM_RSRC2:TIDIG_COMP_CNT: 0
	.section	.text._ZN9rocsolver6v33100L18getri_kernel_smallILi36E19rocblas_complex_numIfEPKPS3_EEvT1_iilPiilS8_bb,"axG",@progbits,_ZN9rocsolver6v33100L18getri_kernel_smallILi36E19rocblas_complex_numIfEPKPS3_EEvT1_iilPiilS8_bb,comdat
	.globl	_ZN9rocsolver6v33100L18getri_kernel_smallILi36E19rocblas_complex_numIfEPKPS3_EEvT1_iilPiilS8_bb ; -- Begin function _ZN9rocsolver6v33100L18getri_kernel_smallILi36E19rocblas_complex_numIfEPKPS3_EEvT1_iilPiilS8_bb
	.p2align	8
	.type	_ZN9rocsolver6v33100L18getri_kernel_smallILi36E19rocblas_complex_numIfEPKPS3_EEvT1_iilPiilS8_bb,@function
_ZN9rocsolver6v33100L18getri_kernel_smallILi36E19rocblas_complex_numIfEPKPS3_EEvT1_iilPiilS8_bb: ; @_ZN9rocsolver6v33100L18getri_kernel_smallILi36E19rocblas_complex_numIfEPKPS3_EEvT1_iilPiilS8_bb
; %bb.0:
	s_add_u32 s0, s0, s7
	s_addc_u32 s1, s1, 0
	v_cmp_gt_u32_e32 vcc, 36, v0
	s_and_saveexec_b64 s[8:9], vcc
	s_cbranch_execz .LBB99_158
; %bb.1:
	s_load_dword s18, s[4:5], 0x38
	s_load_dwordx2 s[12:13], s[4:5], 0x0
	s_load_dwordx4 s[8:11], s[4:5], 0x28
	s_waitcnt lgkmcnt(0)
	s_bitcmp1_b32 s18, 8
	s_cselect_b64 s[14:15], -1, 0
	s_ashr_i32 s7, s6, 31
	s_lshl_b64 s[16:17], s[6:7], 3
	s_add_u32 s12, s12, s16
	s_addc_u32 s13, s13, s17
	s_load_dwordx2 s[16:17], s[12:13], 0x0
	s_bfe_u32 s12, s18, 0x10008
	s_cmp_eq_u32 s12, 0
                                        ; implicit-def: $sgpr12_sgpr13
	s_cbranch_scc1 .LBB99_3
; %bb.2:
	s_load_dword s12, s[4:5], 0x20
	s_load_dwordx2 s[18:19], s[4:5], 0x18
	s_mul_i32 s13, s8, s7
	s_mul_hi_u32 s20, s8, s6
	s_add_i32 s20, s20, s13
	s_mul_i32 s9, s9, s6
	s_add_i32 s9, s20, s9
	s_mul_i32 s8, s8, s6
	s_waitcnt lgkmcnt(0)
	s_ashr_i32 s13, s12, 31
	s_lshl_b64 s[8:9], s[8:9], 2
	s_add_u32 s18, s18, s8
	s_addc_u32 s19, s19, s9
	s_lshl_b64 s[8:9], s[12:13], 2
	s_add_u32 s12, s18, s8
	s_addc_u32 s13, s19, s9
.LBB99_3:
	s_load_dwordx2 s[8:9], s[4:5], 0x8
	s_load_dword s18, s[4:5], 0x38
	v_lshlrev_b32_e32 v75, 3, v0
	s_waitcnt lgkmcnt(0)
	s_ashr_i32 s5, s8, 31
	s_mov_b32 s4, s8
	s_lshl_b64 s[4:5], s[4:5], 3
	s_add_u32 s4, s16, s4
	s_addc_u32 s5, s17, s5
	v_mov_b32_e32 v2, s5
	v_add_co_u32_e32 v1, vcc, s4, v75
	v_addc_co_u32_e32 v2, vcc, 0, v2, vcc
	flat_load_dwordx2 v[5:6], v[1:2]
	s_mov_b32 s16, s9
	s_ashr_i32 s17, s9, 31
	s_lshl_b64 s[16:17], s[16:17], 3
	v_mov_b32_e32 v4, s17
	v_add_co_u32_e32 v3, vcc, s16, v1
	v_addc_co_u32_e32 v4, vcc, v2, v4, vcc
	s_add_i32 s8, s9, s9
	v_add_u32_e32 v9, s8, v0
	v_ashrrev_i32_e32 v10, 31, v9
	v_mov_b32_e32 v11, s5
	v_add_u32_e32 v12, s9, v9
	v_ashrrev_i32_e32 v13, 31, v12
	v_mov_b32_e32 v14, s5
	v_mov_b32_e32 v15, s5
	;; [unrolled: 1-line block ×32, first 2 shown]
	s_bitcmp0_b32 s18, 0
	s_waitcnt vmcnt(0) lgkmcnt(0)
	buffer_store_dword v6, off, s[0:3], 0 offset:4
	buffer_store_dword v5, off, s[0:3], 0
	flat_load_dwordx2 v[7:8], v[3:4]
	v_lshlrev_b64 v[5:6], 3, v[9:10]
	s_waitcnt vmcnt(0) lgkmcnt(0)
	buffer_store_dword v8, off, s[0:3], 0 offset:12
	buffer_store_dword v7, off, s[0:3], 0 offset:8
	v_add_co_u32_e32 v5, vcc, s4, v5
	v_addc_co_u32_e32 v6, vcc, v11, v6, vcc
	flat_load_dwordx2 v[10:11], v[5:6]
	v_lshlrev_b64 v[7:8], 3, v[12:13]
	s_waitcnt vmcnt(0) lgkmcnt(0)
	buffer_store_dword v11, off, s[0:3], 0 offset:20
	buffer_store_dword v10, off, s[0:3], 0 offset:16
	v_add_co_u32_e32 v7, vcc, s4, v7
	v_addc_co_u32_e32 v8, vcc, v14, v8, vcc
	flat_load_dwordx2 v[13:14], v[7:8]
	v_add_u32_e32 v11, s9, v12
	v_ashrrev_i32_e32 v12, 31, v11
	v_lshlrev_b64 v[9:10], 3, v[11:12]
	s_waitcnt vmcnt(0) lgkmcnt(0)
	buffer_store_dword v14, off, s[0:3], 0 offset:28
	buffer_store_dword v13, off, s[0:3], 0 offset:24
	v_add_co_u32_e32 v9, vcc, s4, v9
	v_addc_co_u32_e32 v10, vcc, v15, v10, vcc
	flat_load_dwordx2 v[13:14], v[9:10]
	v_add_u32_e32 v15, s9, v11
	v_ashrrev_i32_e32 v16, 31, v15
	v_lshlrev_b64 v[11:12], 3, v[15:16]
	v_add_u32_e32 v18, s9, v15
	v_add_co_u32_e32 v11, vcc, s4, v11
	v_addc_co_u32_e32 v12, vcc, v17, v12, vcc
	v_ashrrev_i32_e32 v19, 31, v18
	s_waitcnt vmcnt(0) lgkmcnt(0)
	buffer_store_dword v14, off, s[0:3], 0 offset:36
	buffer_store_dword v13, off, s[0:3], 0 offset:32
	flat_load_dwordx2 v[16:17], v[11:12]
	v_lshlrev_b64 v[13:14], 3, v[18:19]
	s_waitcnt vmcnt(0) lgkmcnt(0)
	buffer_store_dword v17, off, s[0:3], 0 offset:44
	buffer_store_dword v16, off, s[0:3], 0 offset:40
	v_add_co_u32_e32 v13, vcc, s4, v13
	v_addc_co_u32_e32 v14, vcc, v20, v14, vcc
	flat_load_dwordx2 v[19:20], v[13:14]
	v_add_u32_e32 v17, s9, v18
	v_ashrrev_i32_e32 v18, 31, v17
	v_lshlrev_b64 v[15:16], 3, v[17:18]
	s_waitcnt vmcnt(0) lgkmcnt(0)
	buffer_store_dword v20, off, s[0:3], 0 offset:52
	buffer_store_dword v19, off, s[0:3], 0 offset:48
	v_add_co_u32_e32 v15, vcc, s4, v15
	v_addc_co_u32_e32 v16, vcc, v21, v16, vcc
	flat_load_dwordx2 v[19:20], v[15:16]
	v_add_u32_e32 v21, s9, v17
	v_ashrrev_i32_e32 v22, 31, v21
	v_lshlrev_b64 v[17:18], 3, v[21:22]
	v_add_u32_e32 v24, s9, v21
	v_add_co_u32_e32 v17, vcc, s4, v17
	v_addc_co_u32_e32 v18, vcc, v23, v18, vcc
	v_ashrrev_i32_e32 v25, 31, v24
	s_waitcnt vmcnt(0) lgkmcnt(0)
	buffer_store_dword v20, off, s[0:3], 0 offset:60
	buffer_store_dword v19, off, s[0:3], 0 offset:56
	;; [unrolled: 27-line block ×7, first 2 shown]
	flat_load_dwordx2 v[52:53], v[47:48]
	v_lshlrev_b64 v[49:50], 3, v[54:55]
	s_waitcnt vmcnt(0) lgkmcnt(0)
	buffer_store_dword v53, off, s[0:3], 0 offset:188
	buffer_store_dword v52, off, s[0:3], 0 offset:184
	v_add_co_u32_e32 v49, vcc, s4, v49
	v_addc_co_u32_e32 v50, vcc, v56, v50, vcc
	flat_load_dwordx2 v[55:56], v[49:50]
	v_add_u32_e32 v53, s9, v54
	v_ashrrev_i32_e32 v54, 31, v53
	v_lshlrev_b64 v[51:52], 3, v[53:54]
	s_waitcnt vmcnt(0) lgkmcnt(0)
	buffer_store_dword v56, off, s[0:3], 0 offset:196
	buffer_store_dword v55, off, s[0:3], 0 offset:192
	v_add_co_u32_e32 v51, vcc, s4, v51
	v_addc_co_u32_e32 v52, vcc, v57, v52, vcc
	flat_load_dwordx2 v[55:56], v[51:52]
	v_add_u32_e32 v57, s9, v53
	v_ashrrev_i32_e32 v58, 31, v57
	v_lshlrev_b64 v[53:54], 3, v[57:58]
	v_add_u32_e32 v60, s9, v57
	v_add_co_u32_e32 v53, vcc, s4, v53
	v_addc_co_u32_e32 v54, vcc, v59, v54, vcc
	s_waitcnt vmcnt(0) lgkmcnt(0)
	buffer_store_dword v56, off, s[0:3], 0 offset:204
	buffer_store_dword v55, off, s[0:3], 0 offset:200
	flat_load_dwordx2 v[58:59], v[53:54]
	v_ashrrev_i32_e32 v61, 31, v60
	v_lshlrev_b64 v[55:56], 3, v[60:61]
	s_waitcnt vmcnt(0) lgkmcnt(0)
	buffer_store_dword v59, off, s[0:3], 0 offset:212
	buffer_store_dword v58, off, s[0:3], 0 offset:208
	v_add_co_u32_e32 v55, vcc, s4, v55
	v_addc_co_u32_e32 v56, vcc, v62, v56, vcc
	flat_load_dwordx2 v[61:62], v[55:56]
	v_add_u32_e32 v59, s9, v60
	v_ashrrev_i32_e32 v60, 31, v59
	v_lshlrev_b64 v[57:58], 3, v[59:60]
	s_waitcnt vmcnt(0) lgkmcnt(0)
	buffer_store_dword v62, off, s[0:3], 0 offset:220
	buffer_store_dword v61, off, s[0:3], 0 offset:216
	v_add_co_u32_e32 v57, vcc, s4, v57
	v_addc_co_u32_e32 v58, vcc, v63, v58, vcc
	flat_load_dwordx2 v[61:62], v[57:58]
	v_add_u32_e32 v63, s9, v59
	;; [unrolled: 9-line block ×8, first 2 shown]
	v_ashrrev_i32_e32 v72, 31, v71
	v_lshlrev_b64 v[71:72], 3, v[71:72]
	s_waitcnt vmcnt(0) lgkmcnt(0)
	buffer_store_dword v74, off, s[0:3], 0 offset:276
	buffer_store_dword v73, off, s[0:3], 0 offset:272
	v_add_co_u32_e32 v71, vcc, s4, v71
	v_addc_co_u32_e32 v72, vcc, v76, v72, vcc
	flat_load_dwordx2 v[73:74], v[71:72]
	s_mov_b64 s[8:9], -1
	s_waitcnt vmcnt(0) lgkmcnt(0)
	buffer_store_dword v74, off, s[0:3], 0 offset:284
	buffer_store_dword v73, off, s[0:3], 0 offset:280
	s_cbranch_scc1 .LBB99_156
; %bb.4:
	v_cmp_eq_u32_e64 s[4:5], 0, v0
	s_and_saveexec_b64 s[8:9], s[4:5]
; %bb.5:
	v_mov_b32_e32 v73, 0
	ds_write_b32 v73, v73 offset:576
; %bb.6:
	s_or_b64 exec, exec, s[8:9]
	v_mov_b32_e32 v73, 0
	v_lshl_add_u32 v77, v0, 3, v73
	s_waitcnt lgkmcnt(0)
	; wave barrier
	buffer_load_dword v73, v77, s[0:3], 0 offen
	buffer_load_dword v74, v77, s[0:3], 0 offen offset:4
	s_waitcnt vmcnt(1)
	v_cmp_eq_f32_e32 vcc, 0, v73
	s_waitcnt vmcnt(0)
	v_cmp_eq_f32_e64 s[8:9], 0, v74
	s_and_b64 s[8:9], vcc, s[8:9]
	s_and_saveexec_b64 s[16:17], s[8:9]
	s_cbranch_execz .LBB99_10
; %bb.7:
	v_mov_b32_e32 v73, 0
	ds_read_b32 v76, v73 offset:576
	v_add_u32_e32 v74, 1, v0
	s_waitcnt lgkmcnt(0)
	v_readfirstlane_b32 s8, v76
	s_cmp_eq_u32 s8, 0
	s_cselect_b64 s[18:19], -1, 0
	v_cmp_gt_i32_e32 vcc, s8, v74
	s_or_b64 s[18:19], s[18:19], vcc
	s_and_b64 exec, exec, s[18:19]
	s_cbranch_execz .LBB99_10
; %bb.8:
	s_mov_b64 s[18:19], 0
	v_mov_b32_e32 v76, s8
.LBB99_9:                               ; =>This Inner Loop Header: Depth=1
	ds_cmpst_rtn_b32 v76, v73, v76, v74 offset:576
	s_waitcnt lgkmcnt(0)
	v_cmp_ne_u32_e32 vcc, 0, v76
	v_cmp_le_i32_e64 s[8:9], v76, v74
	s_and_b64 s[8:9], vcc, s[8:9]
	s_and_b64 s[8:9], exec, s[8:9]
	s_or_b64 s[18:19], s[8:9], s[18:19]
	s_andn2_b64 exec, exec, s[18:19]
	s_cbranch_execnz .LBB99_9
.LBB99_10:
	s_or_b64 exec, exec, s[16:17]
	v_mov_b32_e32 v74, 0
	; wave barrier
	ds_read_b32 v73, v74 offset:576
	s_and_saveexec_b64 s[8:9], s[4:5]
	s_cbranch_execz .LBB99_12
; %bb.11:
	s_lshl_b64 s[16:17], s[6:7], 2
	s_add_u32 s16, s10, s16
	s_addc_u32 s17, s11, s17
	s_waitcnt lgkmcnt(0)
	global_store_dword v74, v73, s[16:17]
.LBB99_12:
	s_or_b64 exec, exec, s[8:9]
	s_waitcnt lgkmcnt(0)
	v_cmp_ne_u32_e32 vcc, 0, v73
	s_mov_b64 s[8:9], 0
	s_cbranch_vccnz .LBB99_156
; %bb.13:
	buffer_load_dword v74, v77, s[0:3], 0 offen
	buffer_load_dword v76, v77, s[0:3], 0 offen offset:4
                                        ; implicit-def: $vgpr79
                                        ; implicit-def: $vgpr78
                                        ; implicit-def: $vgpr73
	s_waitcnt vmcnt(0)
	v_cmp_ngt_f32_e64 s[8:9], |v74|, |v76|
	s_and_saveexec_b64 s[16:17], s[8:9]
	s_xor_b64 s[8:9], exec, s[16:17]
	s_cbranch_execz .LBB99_15
; %bb.14:
	v_div_scale_f32 v73, s[16:17], v76, v76, v74
	v_div_scale_f32 v78, vcc, v74, v76, v74
	v_rcp_f32_e32 v79, v73
	v_fma_f32 v80, -v73, v79, 1.0
	v_fmac_f32_e32 v79, v80, v79
	v_mul_f32_e32 v80, v78, v79
	v_fma_f32 v81, -v73, v80, v78
	v_fmac_f32_e32 v80, v81, v79
	v_fma_f32 v73, -v73, v80, v78
	v_div_fmas_f32 v73, v73, v79, v80
	v_div_fixup_f32 v73, v73, v76, v74
	v_fmac_f32_e32 v76, v74, v73
	v_div_scale_f32 v74, s[16:17], v76, v76, 1.0
	v_div_scale_f32 v78, vcc, 1.0, v76, 1.0
	v_rcp_f32_e32 v79, v74
	v_fma_f32 v80, -v74, v79, 1.0
	v_fmac_f32_e32 v79, v80, v79
	v_mul_f32_e32 v80, v78, v79
	v_fma_f32 v81, -v74, v80, v78
	v_fmac_f32_e32 v80, v81, v79
	v_fma_f32 v74, -v74, v80, v78
	v_div_fmas_f32 v74, v74, v79, v80
	v_div_fixup_f32 v74, v74, v76, 1.0
	v_mul_f32_e32 v79, v73, v74
	v_xor_b32_e32 v78, 0x80000000, v74
	v_xor_b32_e32 v73, 0x80000000, v79
                                        ; implicit-def: $vgpr74
                                        ; implicit-def: $vgpr76
.LBB99_15:
	s_andn2_saveexec_b64 s[8:9], s[8:9]
	s_cbranch_execz .LBB99_17
; %bb.16:
	v_div_scale_f32 v73, s[16:17], v74, v74, v76
	v_div_scale_f32 v78, vcc, v76, v74, v76
	v_rcp_f32_e32 v79, v73
	v_fma_f32 v80, -v73, v79, 1.0
	v_fmac_f32_e32 v79, v80, v79
	v_mul_f32_e32 v80, v78, v79
	v_fma_f32 v81, -v73, v80, v78
	v_fmac_f32_e32 v80, v81, v79
	v_fma_f32 v73, -v73, v80, v78
	v_div_fmas_f32 v73, v73, v79, v80
	v_div_fixup_f32 v78, v73, v74, v76
	v_fmac_f32_e32 v74, v76, v78
	v_div_scale_f32 v73, s[16:17], v74, v74, 1.0
	v_div_scale_f32 v76, vcc, 1.0, v74, 1.0
	v_rcp_f32_e32 v79, v73
	v_fma_f32 v80, -v73, v79, 1.0
	v_fmac_f32_e32 v79, v80, v79
	v_mul_f32_e32 v80, v76, v79
	v_fma_f32 v81, -v73, v80, v76
	v_fmac_f32_e32 v80, v81, v79
	v_fma_f32 v73, -v73, v80, v76
	v_div_fmas_f32 v73, v73, v79, v80
	v_div_fixup_f32 v79, v73, v74, 1.0
	v_xor_b32_e32 v73, 0x80000000, v79
	v_mul_f32_e64 v78, v78, -v79
.LBB99_17:
	s_or_b64 exec, exec, s[8:9]
	buffer_store_dword v79, v77, s[0:3], 0 offen
	buffer_store_dword v78, v77, s[0:3], 0 offen offset:4
	buffer_load_dword v80, off, s[0:3], 0 offset:12
	s_nop 0
	buffer_load_dword v79, off, s[0:3], 0 offset:8
	v_xor_b32_e32 v74, 0x80000000, v78
	v_add_u32_e32 v76, 0x120, v75
	s_waitcnt vmcnt(0)
	ds_write2_b64 v75, v[73:74], v[79:80] offset1:36
	s_waitcnt lgkmcnt(0)
	; wave barrier
	s_and_saveexec_b64 s[8:9], s[4:5]
	s_cbranch_execz .LBB99_19
; %bb.18:
	buffer_load_dword v80, v77, s[0:3], 0 offen offset:4
	buffer_load_dword v81, v77, s[0:3], 0 offen
	ds_read_b64 v[73:74], v76
	v_mov_b32_e32 v78, 0
	ds_read_b64 v[78:79], v78 offset:8
	s_waitcnt vmcnt(1) lgkmcnt(1)
	v_mul_f32_e32 v82, v74, v80
	v_mul_f32_e32 v80, v73, v80
	s_waitcnt vmcnt(0)
	v_fmac_f32_e32 v80, v74, v81
	v_fma_f32 v73, v73, v81, -v82
	v_add_f32_e32 v74, 0, v80
	v_add_f32_e32 v73, 0, v73
	s_waitcnt lgkmcnt(0)
	v_mul_f32_e32 v80, v74, v79
	v_mul_f32_e32 v79, v73, v79
	v_fma_f32 v73, v73, v78, -v80
	v_fmac_f32_e32 v79, v74, v78
	buffer_store_dword v73, off, s[0:3], 0 offset:8
	buffer_store_dword v79, off, s[0:3], 0 offset:12
.LBB99_19:
	s_or_b64 exec, exec, s[8:9]
	; wave barrier
	buffer_load_dword v73, off, s[0:3], 0 offset:16
	buffer_load_dword v74, off, s[0:3], 0 offset:20
	v_cmp_gt_u32_e32 vcc, 2, v0
	s_waitcnt vmcnt(0)
	ds_write_b64 v76, v[73:74]
	s_waitcnt lgkmcnt(0)
	; wave barrier
	s_and_saveexec_b64 s[8:9], vcc
	s_cbranch_execz .LBB99_23
; %bb.20:
	buffer_load_dword v78, v77, s[0:3], 0 offen offset:4
	buffer_load_dword v79, v77, s[0:3], 0 offen
	ds_read_b64 v[73:74], v76
	s_waitcnt vmcnt(1) lgkmcnt(0)
	v_mul_f32_e32 v77, v74, v78
	v_mul_f32_e32 v78, v73, v78
	s_waitcnt vmcnt(0)
	v_fma_f32 v73, v73, v79, -v77
	v_fmac_f32_e32 v78, v74, v79
	v_add_f32_e32 v74, 0, v73
	v_add_f32_e32 v73, 0, v78
	s_and_saveexec_b64 s[16:17], s[4:5]
	s_cbranch_execz .LBB99_22
; %bb.21:
	buffer_load_dword v79, off, s[0:3], 0 offset:12
	buffer_load_dword v80, off, s[0:3], 0 offset:8
	v_mov_b32_e32 v77, 0
	ds_read_b64 v[77:78], v77 offset:296
	s_waitcnt vmcnt(1) lgkmcnt(0)
	v_mul_f32_e32 v81, v77, v79
	v_mul_f32_e32 v79, v78, v79
	s_waitcnt vmcnt(0)
	v_fmac_f32_e32 v81, v78, v80
	v_fma_f32 v77, v77, v80, -v79
	v_add_f32_e32 v73, v73, v81
	v_add_f32_e32 v74, v74, v77
.LBB99_22:
	s_or_b64 exec, exec, s[16:17]
	v_mov_b32_e32 v77, 0
	ds_read_b64 v[77:78], v77 offset:16
	s_waitcnt lgkmcnt(0)
	v_mul_f32_e32 v79, v73, v78
	v_mul_f32_e32 v78, v74, v78
	v_fma_f32 v74, v74, v77, -v79
	v_fmac_f32_e32 v78, v73, v77
	buffer_store_dword v74, off, s[0:3], 0 offset:16
	buffer_store_dword v78, off, s[0:3], 0 offset:20
.LBB99_23:
	s_or_b64 exec, exec, s[8:9]
	; wave barrier
	buffer_load_dword v73, off, s[0:3], 0 offset:24
	buffer_load_dword v74, off, s[0:3], 0 offset:28
	v_cmp_gt_u32_e32 vcc, 3, v0
	s_waitcnt vmcnt(0)
	ds_write_b64 v76, v[73:74]
	v_add_u32_e32 v73, -1, v0
	s_waitcnt lgkmcnt(0)
	; wave barrier
	s_and_saveexec_b64 s[4:5], vcc
	s_cbranch_execz .LBB99_27
; %bb.24:
	v_add_u32_e32 v77, -1, v0
	v_add_u32_e32 v78, 0x120, v75
	v_mov_b32_e32 v79, v75
	v_mov_b32_e32 v74, 0
	s_mov_b64 s[8:9], 0
	v_mov_b32_e32 v80, 0
.LBB99_25:                              ; =>This Inner Loop Header: Depth=1
	buffer_load_dword v83, v79, s[0:3], 0 offen offset:4
	buffer_load_dword v84, v79, s[0:3], 0 offen
	ds_read_b64 v[81:82], v78
	v_add_u32_e32 v77, 1, v77
	v_cmp_lt_u32_e32 vcc, 1, v77
	v_add_u32_e32 v78, 8, v78
	v_add_u32_e32 v79, 8, v79
	s_or_b64 s[8:9], vcc, s[8:9]
	s_waitcnt vmcnt(1) lgkmcnt(0)
	v_mul_f32_e32 v85, v82, v83
	v_mul_f32_e32 v83, v81, v83
	s_waitcnt vmcnt(0)
	v_fma_f32 v81, v81, v84, -v85
	v_fmac_f32_e32 v83, v82, v84
	v_add_f32_e32 v80, v80, v81
	v_add_f32_e32 v74, v74, v83
	s_andn2_b64 exec, exec, s[8:9]
	s_cbranch_execnz .LBB99_25
; %bb.26:
	s_or_b64 exec, exec, s[8:9]
	v_mov_b32_e32 v77, 0
	ds_read_b64 v[77:78], v77 offset:24
	s_waitcnt lgkmcnt(0)
	v_mul_f32_e32 v79, v74, v78
	v_mul_f32_e32 v78, v80, v78
	v_fma_f32 v79, v80, v77, -v79
	v_fmac_f32_e32 v78, v74, v77
	buffer_store_dword v79, off, s[0:3], 0 offset:24
	buffer_store_dword v78, off, s[0:3], 0 offset:28
.LBB99_27:
	s_or_b64 exec, exec, s[4:5]
	; wave barrier
	buffer_load_dword v77, off, s[0:3], 0 offset:32
	buffer_load_dword v78, off, s[0:3], 0 offset:36
	v_cmp_gt_u32_e32 vcc, 4, v0
	s_waitcnt vmcnt(0)
	ds_write_b64 v76, v[77:78]
	s_waitcnt lgkmcnt(0)
	; wave barrier
	s_and_saveexec_b64 s[4:5], vcc
	s_cbranch_execz .LBB99_31
; %bb.28:
	v_add_u32_e32 v77, -1, v0
	v_add_u32_e32 v78, 0x120, v75
	v_mov_b32_e32 v79, v75
	v_mov_b32_e32 v74, 0
	s_mov_b64 s[8:9], 0
	v_mov_b32_e32 v80, 0
.LBB99_29:                              ; =>This Inner Loop Header: Depth=1
	buffer_load_dword v83, v79, s[0:3], 0 offen offset:4
	buffer_load_dword v84, v79, s[0:3], 0 offen
	ds_read_b64 v[81:82], v78
	v_add_u32_e32 v77, 1, v77
	v_cmp_lt_u32_e32 vcc, 2, v77
	v_add_u32_e32 v78, 8, v78
	v_add_u32_e32 v79, 8, v79
	s_or_b64 s[8:9], vcc, s[8:9]
	s_waitcnt vmcnt(1) lgkmcnt(0)
	v_mul_f32_e32 v85, v82, v83
	v_mul_f32_e32 v83, v81, v83
	s_waitcnt vmcnt(0)
	v_fma_f32 v81, v81, v84, -v85
	v_fmac_f32_e32 v83, v82, v84
	v_add_f32_e32 v80, v80, v81
	v_add_f32_e32 v74, v74, v83
	s_andn2_b64 exec, exec, s[8:9]
	s_cbranch_execnz .LBB99_29
; %bb.30:
	s_or_b64 exec, exec, s[8:9]
	v_mov_b32_e32 v77, 0
	ds_read_b64 v[77:78], v77 offset:32
	s_waitcnt lgkmcnt(0)
	v_mul_f32_e32 v79, v74, v78
	v_mul_f32_e32 v78, v80, v78
	v_fma_f32 v79, v80, v77, -v79
	v_fmac_f32_e32 v78, v74, v77
	buffer_store_dword v79, off, s[0:3], 0 offset:32
	buffer_store_dword v78, off, s[0:3], 0 offset:36
.LBB99_31:
	s_or_b64 exec, exec, s[4:5]
	; wave barrier
	buffer_load_dword v77, off, s[0:3], 0 offset:40
	buffer_load_dword v78, off, s[0:3], 0 offset:44
	v_cmp_gt_u32_e32 vcc, 5, v0
	s_waitcnt vmcnt(0)
	ds_write_b64 v76, v[77:78]
	;; [unrolled: 49-line block ×19, first 2 shown]
	s_waitcnt lgkmcnt(0)
	; wave barrier
	s_and_saveexec_b64 s[4:5], vcc
	s_cbranch_execz .LBB99_103
; %bb.100:
	v_add_u32_e32 v77, -1, v0
	v_add_u32_e32 v78, 0x120, v75
	v_mov_b32_e32 v79, v75
	v_mov_b32_e32 v74, 0
	s_mov_b64 s[8:9], 0
	v_mov_b32_e32 v80, 0
.LBB99_101:                             ; =>This Inner Loop Header: Depth=1
	buffer_load_dword v83, v79, s[0:3], 0 offen offset:4
	buffer_load_dword v84, v79, s[0:3], 0 offen
	ds_read_b64 v[81:82], v78
	v_add_u32_e32 v77, 1, v77
	v_cmp_lt_u32_e32 vcc, 20, v77
	v_add_u32_e32 v78, 8, v78
	v_add_u32_e32 v79, 8, v79
	s_or_b64 s[8:9], vcc, s[8:9]
	s_waitcnt vmcnt(1) lgkmcnt(0)
	v_mul_f32_e32 v85, v82, v83
	v_mul_f32_e32 v83, v81, v83
	s_waitcnt vmcnt(0)
	v_fma_f32 v81, v81, v84, -v85
	v_fmac_f32_e32 v83, v82, v84
	v_add_f32_e32 v80, v80, v81
	v_add_f32_e32 v74, v74, v83
	s_andn2_b64 exec, exec, s[8:9]
	s_cbranch_execnz .LBB99_101
; %bb.102:
	s_or_b64 exec, exec, s[8:9]
	v_mov_b32_e32 v77, 0
	ds_read_b64 v[77:78], v77 offset:176
	s_waitcnt lgkmcnt(0)
	v_mul_f32_e32 v79, v74, v78
	v_mul_f32_e32 v78, v80, v78
	v_fma_f32 v79, v80, v77, -v79
	v_fmac_f32_e32 v78, v74, v77
	buffer_store_dword v79, off, s[0:3], 0 offset:176
	buffer_store_dword v78, off, s[0:3], 0 offset:180
.LBB99_103:
	s_or_b64 exec, exec, s[4:5]
	; wave barrier
	buffer_load_dword v77, off, s[0:3], 0 offset:184
	buffer_load_dword v78, off, s[0:3], 0 offset:188
	v_cmp_gt_u32_e32 vcc, 23, v0
	s_waitcnt vmcnt(0)
	ds_write_b64 v76, v[77:78]
	s_waitcnt lgkmcnt(0)
	; wave barrier
	s_and_saveexec_b64 s[4:5], vcc
	s_cbranch_execz .LBB99_107
; %bb.104:
	v_add_u32_e32 v77, -1, v0
	v_add_u32_e32 v78, 0x120, v75
	v_mov_b32_e32 v79, v75
	v_mov_b32_e32 v74, 0
	s_mov_b64 s[8:9], 0
	v_mov_b32_e32 v80, 0
.LBB99_105:                             ; =>This Inner Loop Header: Depth=1
	buffer_load_dword v83, v79, s[0:3], 0 offen offset:4
	buffer_load_dword v84, v79, s[0:3], 0 offen
	ds_read_b64 v[81:82], v78
	v_add_u32_e32 v77, 1, v77
	v_cmp_lt_u32_e32 vcc, 21, v77
	v_add_u32_e32 v78, 8, v78
	v_add_u32_e32 v79, 8, v79
	s_or_b64 s[8:9], vcc, s[8:9]
	s_waitcnt vmcnt(1) lgkmcnt(0)
	v_mul_f32_e32 v85, v82, v83
	v_mul_f32_e32 v83, v81, v83
	s_waitcnt vmcnt(0)
	v_fma_f32 v81, v81, v84, -v85
	v_fmac_f32_e32 v83, v82, v84
	v_add_f32_e32 v80, v80, v81
	v_add_f32_e32 v74, v74, v83
	s_andn2_b64 exec, exec, s[8:9]
	s_cbranch_execnz .LBB99_105
; %bb.106:
	s_or_b64 exec, exec, s[8:9]
	v_mov_b32_e32 v77, 0
	ds_read_b64 v[77:78], v77 offset:184
	s_waitcnt lgkmcnt(0)
	v_mul_f32_e32 v79, v74, v78
	v_mul_f32_e32 v78, v80, v78
	v_fma_f32 v79, v80, v77, -v79
	v_fmac_f32_e32 v78, v74, v77
	buffer_store_dword v79, off, s[0:3], 0 offset:184
	buffer_store_dword v78, off, s[0:3], 0 offset:188
.LBB99_107:
	s_or_b64 exec, exec, s[4:5]
	; wave barrier
	buffer_load_dword v77, off, s[0:3], 0 offset:192
	buffer_load_dword v78, off, s[0:3], 0 offset:196
	v_cmp_gt_u32_e32 vcc, 24, v0
	s_waitcnt vmcnt(0)
	ds_write_b64 v76, v[77:78]
	;; [unrolled: 49-line block ×12, first 2 shown]
	s_waitcnt lgkmcnt(0)
	; wave barrier
	s_and_saveexec_b64 s[4:5], vcc
	s_cbranch_execz .LBB99_151
; %bb.148:
	v_add_u32_e32 v77, -1, v0
	v_add_u32_e32 v78, 0x120, v75
	v_mov_b32_e32 v79, v75
	v_mov_b32_e32 v74, 0
	s_mov_b64 s[8:9], 0
	v_mov_b32_e32 v80, 0
.LBB99_149:                             ; =>This Inner Loop Header: Depth=1
	buffer_load_dword v83, v79, s[0:3], 0 offen offset:4
	buffer_load_dword v84, v79, s[0:3], 0 offen
	ds_read_b64 v[81:82], v78
	v_add_u32_e32 v77, 1, v77
	v_cmp_lt_u32_e32 vcc, 32, v77
	v_add_u32_e32 v78, 8, v78
	v_add_u32_e32 v79, 8, v79
	s_or_b64 s[8:9], vcc, s[8:9]
	s_waitcnt vmcnt(1) lgkmcnt(0)
	v_mul_f32_e32 v85, v82, v83
	v_mul_f32_e32 v83, v81, v83
	s_waitcnt vmcnt(0)
	v_fma_f32 v81, v81, v84, -v85
	v_fmac_f32_e32 v83, v82, v84
	v_add_f32_e32 v80, v80, v81
	v_add_f32_e32 v74, v74, v83
	s_andn2_b64 exec, exec, s[8:9]
	s_cbranch_execnz .LBB99_149
; %bb.150:
	s_or_b64 exec, exec, s[8:9]
	v_mov_b32_e32 v77, 0
	ds_read_b64 v[77:78], v77 offset:272
	s_waitcnt lgkmcnt(0)
	v_mul_f32_e32 v79, v74, v78
	v_mul_f32_e32 v78, v80, v78
	v_fma_f32 v79, v80, v77, -v79
	v_fmac_f32_e32 v78, v74, v77
	buffer_store_dword v79, off, s[0:3], 0 offset:272
	buffer_store_dword v78, off, s[0:3], 0 offset:276
.LBB99_151:
	s_or_b64 exec, exec, s[4:5]
	; wave barrier
	buffer_load_dword v77, off, s[0:3], 0 offset:280
	buffer_load_dword v78, off, s[0:3], 0 offset:284
	v_cmp_ne_u32_e32 vcc, 35, v0
	s_waitcnt vmcnt(0)
	ds_write_b64 v76, v[77:78]
	s_waitcnt lgkmcnt(0)
	; wave barrier
	s_and_saveexec_b64 s[4:5], vcc
	s_cbranch_execz .LBB99_155
; %bb.152:
	v_add_u32_e32 v76, 0x120, v75
	v_mov_b32_e32 v74, 0
	s_mov_b64 s[8:9], 0
	v_mov_b32_e32 v77, 0
.LBB99_153:                             ; =>This Inner Loop Header: Depth=1
	buffer_load_dword v80, v75, s[0:3], 0 offen offset:4
	buffer_load_dword v81, v75, s[0:3], 0 offen
	ds_read_b64 v[78:79], v76
	v_add_u32_e32 v73, 1, v73
	v_cmp_lt_u32_e32 vcc, 33, v73
	v_add_u32_e32 v76, 8, v76
	v_add_u32_e32 v75, 8, v75
	s_or_b64 s[8:9], vcc, s[8:9]
	s_waitcnt vmcnt(1) lgkmcnt(0)
	v_mul_f32_e32 v82, v79, v80
	v_mul_f32_e32 v80, v78, v80
	s_waitcnt vmcnt(0)
	v_fma_f32 v78, v78, v81, -v82
	v_fmac_f32_e32 v80, v79, v81
	v_add_f32_e32 v77, v77, v78
	v_add_f32_e32 v74, v74, v80
	s_andn2_b64 exec, exec, s[8:9]
	s_cbranch_execnz .LBB99_153
; %bb.154:
	s_or_b64 exec, exec, s[8:9]
	v_mov_b32_e32 v73, 0
	ds_read_b64 v[75:76], v73 offset:280
	s_waitcnt lgkmcnt(0)
	v_mul_f32_e32 v73, v74, v76
	v_mul_f32_e32 v76, v77, v76
	v_fma_f32 v73, v77, v75, -v73
	v_fmac_f32_e32 v76, v74, v75
	buffer_store_dword v73, off, s[0:3], 0 offset:280
	buffer_store_dword v76, off, s[0:3], 0 offset:284
.LBB99_155:
	s_or_b64 exec, exec, s[4:5]
	s_mov_b64 s[8:9], -1
	; wave barrier
.LBB99_156:
	s_and_b64 vcc, exec, s[8:9]
	s_cbranch_vccz .LBB99_158
; %bb.157:
	s_lshl_b64 s[4:5], s[6:7], 2
	s_add_u32 s4, s10, s4
	s_addc_u32 s5, s11, s5
	v_mov_b32_e32 v73, 0
	global_load_dword v73, v73, s[4:5]
	s_waitcnt vmcnt(0)
	v_cmp_ne_u32_e32 vcc, 0, v73
	s_cbranch_vccz .LBB99_159
.LBB99_158:
	s_endpgm
.LBB99_159:
	v_mov_b32_e32 v73, 0x120
	v_lshl_add_u32 v73, v0, 3, v73
	v_cmp_eq_u32_e32 vcc, 35, v0
	s_and_saveexec_b64 s[4:5], vcc
	s_cbranch_execz .LBB99_161
; %bb.160:
	buffer_load_dword v74, off, s[0:3], 0 offset:272
	buffer_load_dword v75, off, s[0:3], 0 offset:276
	v_mov_b32_e32 v76, 0
	buffer_store_dword v76, off, s[0:3], 0 offset:272
	buffer_store_dword v76, off, s[0:3], 0 offset:276
	s_waitcnt vmcnt(2)
	ds_write_b64 v73, v[74:75]
.LBB99_161:
	s_or_b64 exec, exec, s[4:5]
	s_waitcnt lgkmcnt(0)
	; wave barrier
	buffer_load_dword v77, off, s[0:3], 0 offset:284
	buffer_load_dword v78, off, s[0:3], 0 offset:280
	;; [unrolled: 1-line block ×4, first 2 shown]
	v_mov_b32_e32 v74, 0
	ds_read_b64 v[75:76], v74 offset:568
	v_cmp_lt_u32_e32 vcc, 33, v0
	s_waitcnt vmcnt(3) lgkmcnt(0)
	v_mul_f32_e32 v81, v75, v77
	v_mul_f32_e32 v77, v76, v77
	s_waitcnt vmcnt(2)
	v_fma_f32 v75, v75, v78, -v77
	v_fmac_f32_e32 v81, v76, v78
	v_add_f32_e32 v75, 0, v75
	v_add_f32_e32 v76, 0, v81
	s_waitcnt vmcnt(1)
	v_sub_f32_e32 v75, v79, v75
	s_waitcnt vmcnt(0)
	v_sub_f32_e32 v76, v80, v76
	buffer_store_dword v75, off, s[0:3], 0 offset:272
	buffer_store_dword v76, off, s[0:3], 0 offset:276
	s_and_saveexec_b64 s[4:5], vcc
	s_cbranch_execz .LBB99_163
; %bb.162:
	buffer_load_dword v75, off, s[0:3], 0 offset:264
	buffer_load_dword v76, off, s[0:3], 0 offset:268
	s_waitcnt vmcnt(0)
	ds_write_b64 v73, v[75:76]
	buffer_store_dword v74, off, s[0:3], 0 offset:264
	buffer_store_dword v74, off, s[0:3], 0 offset:268
.LBB99_163:
	s_or_b64 exec, exec, s[4:5]
	s_waitcnt lgkmcnt(0)
	; wave barrier
	buffer_load_dword v78, off, s[0:3], 0 offset:276
	buffer_load_dword v79, off, s[0:3], 0 offset:284
	;; [unrolled: 1-line block ×6, first 2 shown]
	ds_read_b128 v[74:77], v74 offset:560
	v_cmp_lt_u32_e32 vcc, 32, v0
	s_waitcnt vmcnt(5) lgkmcnt(0)
	v_mul_f32_e32 v84, v74, v78
	v_mul_f32_e32 v78, v75, v78
	s_waitcnt vmcnt(4)
	v_mul_f32_e32 v85, v76, v79
	v_mul_f32_e32 v79, v77, v79
	s_waitcnt vmcnt(3)
	v_fma_f32 v74, v74, v80, -v78
	v_fmac_f32_e32 v84, v75, v80
	s_waitcnt vmcnt(2)
	v_fma_f32 v75, v76, v81, -v79
	v_add_f32_e32 v74, 0, v74
	v_fmac_f32_e32 v85, v77, v81
	v_add_f32_e32 v76, 0, v84
	v_add_f32_e32 v74, v74, v75
	v_add_f32_e32 v76, v76, v85
	s_waitcnt vmcnt(1)
	v_sub_f32_e32 v74, v82, v74
	s_waitcnt vmcnt(0)
	v_sub_f32_e32 v75, v83, v76
	buffer_store_dword v74, off, s[0:3], 0 offset:264
	buffer_store_dword v75, off, s[0:3], 0 offset:268
	s_and_saveexec_b64 s[4:5], vcc
	s_cbranch_execz .LBB99_165
; %bb.164:
	buffer_load_dword v74, off, s[0:3], 0 offset:256
	buffer_load_dword v75, off, s[0:3], 0 offset:260
	v_mov_b32_e32 v76, 0
	buffer_store_dword v76, off, s[0:3], 0 offset:256
	buffer_store_dword v76, off, s[0:3], 0 offset:260
	s_waitcnt vmcnt(2)
	ds_write_b64 v73, v[74:75]
.LBB99_165:
	s_or_b64 exec, exec, s[4:5]
	s_waitcnt lgkmcnt(0)
	; wave barrier
	buffer_load_dword v81, off, s[0:3], 0 offset:268
	buffer_load_dword v82, off, s[0:3], 0 offset:276
	;; [unrolled: 1-line block ×8, first 2 shown]
	v_mov_b32_e32 v74, 0
	ds_read2_b64 v[75:78], v74 offset0:69 offset1:70
	ds_read_b64 v[79:80], v74 offset:568
	v_cmp_lt_u32_e32 vcc, 31, v0
	s_waitcnt vmcnt(7) lgkmcnt(1)
	v_mul_f32_e32 v89, v75, v81
	v_mul_f32_e32 v81, v76, v81
	s_waitcnt vmcnt(6)
	v_mul_f32_e32 v90, v77, v82
	v_mul_f32_e32 v82, v78, v82
	s_waitcnt vmcnt(4)
	v_fma_f32 v75, v75, v84, -v81
	s_waitcnt lgkmcnt(0)
	v_mul_f32_e32 v91, v79, v83
	v_mul_f32_e32 v83, v80, v83
	v_fmac_f32_e32 v89, v76, v84
	s_waitcnt vmcnt(3)
	v_fma_f32 v76, v77, v85, -v82
	v_add_f32_e32 v75, 0, v75
	v_fmac_f32_e32 v90, v78, v85
	s_waitcnt vmcnt(2)
	v_fma_f32 v77, v79, v86, -v83
	v_add_f32_e32 v78, 0, v89
	v_add_f32_e32 v75, v75, v76
	v_fmac_f32_e32 v91, v80, v86
	v_add_f32_e32 v78, v78, v90
	v_add_f32_e32 v75, v75, v77
	;; [unrolled: 1-line block ×3, first 2 shown]
	s_waitcnt vmcnt(1)
	v_sub_f32_e32 v75, v87, v75
	s_waitcnt vmcnt(0)
	v_sub_f32_e32 v76, v88, v76
	buffer_store_dword v75, off, s[0:3], 0 offset:256
	buffer_store_dword v76, off, s[0:3], 0 offset:260
	s_and_saveexec_b64 s[4:5], vcc
	s_cbranch_execz .LBB99_167
; %bb.166:
	buffer_load_dword v75, off, s[0:3], 0 offset:248
	buffer_load_dword v76, off, s[0:3], 0 offset:252
	s_waitcnt vmcnt(0)
	ds_write_b64 v73, v[75:76]
	buffer_store_dword v74, off, s[0:3], 0 offset:248
	buffer_store_dword v74, off, s[0:3], 0 offset:252
.LBB99_167:
	s_or_b64 exec, exec, s[4:5]
	s_waitcnt lgkmcnt(0)
	; wave barrier
	buffer_load_dword v83, off, s[0:3], 0 offset:260
	buffer_load_dword v84, off, s[0:3], 0 offset:268
	;; [unrolled: 1-line block ×10, first 2 shown]
	ds_read_b128 v[75:78], v74 offset:544
	ds_read_b128 v[79:82], v74 offset:560
	v_cmp_lt_u32_e32 vcc, 30, v0
	s_waitcnt vmcnt(9) lgkmcnt(1)
	v_mul_f32_e32 v74, v75, v83
	v_mul_f32_e32 v83, v76, v83
	s_waitcnt vmcnt(8)
	v_mul_f32_e32 v93, v77, v84
	v_mul_f32_e32 v84, v78, v84
	s_waitcnt vmcnt(5)
	v_fma_f32 v75, v75, v87, -v83
	s_waitcnt lgkmcnt(0)
	v_mul_f32_e32 v94, v79, v85
	v_mul_f32_e32 v85, v80, v85
	v_fmac_f32_e32 v74, v76, v87
	s_waitcnt vmcnt(4)
	v_fma_f32 v76, v77, v88, -v84
	v_add_f32_e32 v75, 0, v75
	v_mul_f32_e32 v95, v81, v86
	v_mul_f32_e32 v86, v82, v86
	v_fmac_f32_e32 v93, v78, v88
	s_waitcnt vmcnt(3)
	v_fma_f32 v77, v79, v89, -v85
	v_add_f32_e32 v74, 0, v74
	v_add_f32_e32 v75, v75, v76
	v_fmac_f32_e32 v94, v80, v89
	s_waitcnt vmcnt(2)
	v_fma_f32 v78, v81, v90, -v86
	v_add_f32_e32 v74, v74, v93
	v_add_f32_e32 v75, v75, v77
	v_fmac_f32_e32 v95, v82, v90
	v_add_f32_e32 v74, v74, v94
	v_add_f32_e32 v75, v75, v78
	;; [unrolled: 1-line block ×3, first 2 shown]
	s_waitcnt vmcnt(1)
	v_sub_f32_e32 v75, v91, v75
	s_waitcnt vmcnt(0)
	v_sub_f32_e32 v74, v92, v74
	buffer_store_dword v75, off, s[0:3], 0 offset:248
	buffer_store_dword v74, off, s[0:3], 0 offset:252
	s_and_saveexec_b64 s[4:5], vcc
	s_cbranch_execz .LBB99_169
; %bb.168:
	buffer_load_dword v74, off, s[0:3], 0 offset:240
	buffer_load_dword v75, off, s[0:3], 0 offset:244
	v_mov_b32_e32 v76, 0
	buffer_store_dword v76, off, s[0:3], 0 offset:240
	buffer_store_dword v76, off, s[0:3], 0 offset:244
	s_waitcnt vmcnt(2)
	ds_write_b64 v73, v[74:75]
.LBB99_169:
	s_or_b64 exec, exec, s[4:5]
	s_waitcnt lgkmcnt(0)
	; wave barrier
	buffer_load_dword v85, off, s[0:3], 0 offset:252
	buffer_load_dword v86, off, s[0:3], 0 offset:260
	;; [unrolled: 1-line block ×12, first 2 shown]
	v_mov_b32_e32 v74, 0
	ds_read2_b64 v[75:78], v74 offset0:67 offset1:68
	ds_read2_b64 v[79:82], v74 offset0:69 offset1:70
	ds_read_b64 v[83:84], v74 offset:568
	v_cmp_lt_u32_e32 vcc, 29, v0
	s_waitcnt vmcnt(11) lgkmcnt(2)
	v_mul_f32_e32 v97, v75, v85
	v_mul_f32_e32 v85, v76, v85
	s_waitcnt vmcnt(10)
	v_mul_f32_e32 v98, v77, v86
	v_mul_f32_e32 v86, v78, v86
	s_waitcnt vmcnt(9) lgkmcnt(1)
	v_mul_f32_e32 v99, v79, v87
	s_waitcnt vmcnt(6)
	v_fma_f32 v75, v75, v90, -v85
	v_mul_f32_e32 v87, v80, v87
	v_fmac_f32_e32 v97, v76, v90
	s_waitcnt vmcnt(5)
	v_fma_f32 v76, v77, v91, -v86
	v_add_f32_e32 v75, 0, v75
	v_mul_f32_e32 v100, v81, v88
	v_mul_f32_e32 v88, v82, v88
	v_fmac_f32_e32 v98, v78, v91
	s_waitcnt vmcnt(4)
	v_fmac_f32_e32 v99, v80, v92
	v_fma_f32 v77, v79, v92, -v87
	v_add_f32_e32 v80, 0, v97
	v_add_f32_e32 v75, v75, v76
	s_waitcnt lgkmcnt(0)
	v_mul_f32_e32 v101, v83, v89
	v_mul_f32_e32 v89, v84, v89
	s_waitcnt vmcnt(3)
	v_fma_f32 v78, v81, v93, -v88
	v_add_f32_e32 v80, v80, v98
	v_add_f32_e32 v75, v75, v77
	v_fmac_f32_e32 v100, v82, v93
	s_waitcnt vmcnt(2)
	v_fma_f32 v79, v83, v94, -v89
	v_add_f32_e32 v76, v80, v99
	v_add_f32_e32 v75, v75, v78
	v_fmac_f32_e32 v101, v84, v94
	v_add_f32_e32 v76, v76, v100
	v_add_f32_e32 v75, v75, v79
	;; [unrolled: 1-line block ×3, first 2 shown]
	s_waitcnt vmcnt(1)
	v_sub_f32_e32 v75, v95, v75
	s_waitcnt vmcnt(0)
	v_sub_f32_e32 v76, v96, v76
	buffer_store_dword v75, off, s[0:3], 0 offset:240
	buffer_store_dword v76, off, s[0:3], 0 offset:244
	s_and_saveexec_b64 s[4:5], vcc
	s_cbranch_execz .LBB99_171
; %bb.170:
	buffer_load_dword v75, off, s[0:3], 0 offset:232
	buffer_load_dword v76, off, s[0:3], 0 offset:236
	s_waitcnt vmcnt(0)
	ds_write_b64 v73, v[75:76]
	buffer_store_dword v74, off, s[0:3], 0 offset:232
	buffer_store_dword v74, off, s[0:3], 0 offset:236
.LBB99_171:
	s_or_b64 exec, exec, s[4:5]
	s_waitcnt lgkmcnt(0)
	; wave barrier
	buffer_load_dword v87, off, s[0:3], 0 offset:244
	buffer_load_dword v88, off, s[0:3], 0 offset:252
	;; [unrolled: 1-line block ×14, first 2 shown]
	ds_read_b128 v[75:78], v74 offset:528
	ds_read_b128 v[79:82], v74 offset:544
	;; [unrolled: 1-line block ×3, first 2 shown]
	v_cmp_lt_u32_e32 vcc, 28, v0
	s_waitcnt vmcnt(13) lgkmcnt(2)
	v_mul_f32_e32 v74, v75, v87
	v_mul_f32_e32 v87, v76, v87
	s_waitcnt vmcnt(12)
	v_mul_f32_e32 v101, v77, v88
	v_mul_f32_e32 v88, v78, v88
	s_waitcnt vmcnt(11) lgkmcnt(1)
	v_mul_f32_e32 v102, v79, v89
	v_mul_f32_e32 v89, v80, v89
	s_waitcnt vmcnt(7)
	v_fma_f32 v75, v75, v93, -v87
	v_fmac_f32_e32 v74, v76, v93
	s_waitcnt vmcnt(6)
	v_fma_f32 v76, v77, v94, -v88
	v_add_f32_e32 v75, 0, v75
	v_mul_f32_e32 v103, v81, v90
	v_mul_f32_e32 v90, v82, v90
	v_fmac_f32_e32 v101, v78, v94
	s_waitcnt vmcnt(5)
	v_fma_f32 v77, v79, v95, -v89
	v_add_f32_e32 v74, 0, v74
	v_add_f32_e32 v75, v75, v76
	s_waitcnt lgkmcnt(0)
	v_mul_f32_e32 v104, v83, v91
	v_mul_f32_e32 v91, v84, v91
	v_fmac_f32_e32 v102, v80, v95
	s_waitcnt vmcnt(4)
	v_fma_f32 v78, v81, v96, -v90
	v_add_f32_e32 v74, v74, v101
	v_add_f32_e32 v75, v75, v77
	v_mul_f32_e32 v105, v85, v92
	v_mul_f32_e32 v92, v86, v92
	v_fmac_f32_e32 v103, v82, v96
	s_waitcnt vmcnt(3)
	v_fma_f32 v79, v83, v97, -v91
	v_add_f32_e32 v74, v74, v102
	v_add_f32_e32 v75, v75, v78
	v_fmac_f32_e32 v104, v84, v97
	s_waitcnt vmcnt(2)
	v_fma_f32 v80, v85, v98, -v92
	v_add_f32_e32 v74, v74, v103
	v_add_f32_e32 v75, v75, v79
	v_fmac_f32_e32 v105, v86, v98
	v_add_f32_e32 v74, v74, v104
	v_add_f32_e32 v75, v75, v80
	;; [unrolled: 1-line block ×3, first 2 shown]
	s_waitcnt vmcnt(1)
	v_sub_f32_e32 v75, v99, v75
	s_waitcnt vmcnt(0)
	v_sub_f32_e32 v74, v100, v74
	buffer_store_dword v75, off, s[0:3], 0 offset:232
	buffer_store_dword v74, off, s[0:3], 0 offset:236
	s_and_saveexec_b64 s[4:5], vcc
	s_cbranch_execz .LBB99_173
; %bb.172:
	buffer_load_dword v74, off, s[0:3], 0 offset:224
	buffer_load_dword v75, off, s[0:3], 0 offset:228
	v_mov_b32_e32 v76, 0
	buffer_store_dword v76, off, s[0:3], 0 offset:224
	buffer_store_dword v76, off, s[0:3], 0 offset:228
	s_waitcnt vmcnt(2)
	ds_write_b64 v73, v[74:75]
.LBB99_173:
	s_or_b64 exec, exec, s[4:5]
	s_waitcnt lgkmcnt(0)
	; wave barrier
	buffer_load_dword v89, off, s[0:3], 0 offset:236
	buffer_load_dword v90, off, s[0:3], 0 offset:244
	;; [unrolled: 1-line block ×16, first 2 shown]
	v_mov_b32_e32 v74, 0
	ds_read2_b64 v[75:78], v74 offset0:65 offset1:66
	ds_read2_b64 v[79:82], v74 offset0:67 offset1:68
	;; [unrolled: 1-line block ×3, first 2 shown]
	ds_read_b64 v[87:88], v74 offset:568
	v_cmp_lt_u32_e32 vcc, 27, v0
	s_waitcnt vmcnt(15) lgkmcnt(3)
	v_mul_f32_e32 v105, v75, v89
	v_mul_f32_e32 v89, v76, v89
	s_waitcnt vmcnt(14)
	v_mul_f32_e32 v106, v77, v90
	v_mul_f32_e32 v90, v78, v90
	s_waitcnt vmcnt(13) lgkmcnt(2)
	v_mul_f32_e32 v107, v79, v91
	s_waitcnt vmcnt(12)
	v_mul_f32_e32 v108, v81, v92
	v_mul_f32_e32 v91, v80, v91
	s_waitcnt vmcnt(8)
	v_fma_f32 v75, v75, v96, -v89
	v_fmac_f32_e32 v105, v76, v96
	s_waitcnt vmcnt(7)
	v_fma_f32 v76, v77, v97, -v90
	v_add_f32_e32 v75, 0, v75
	v_mul_f32_e32 v92, v82, v92
	v_fmac_f32_e32 v106, v78, v97
	s_waitcnt vmcnt(5)
	v_fmac_f32_e32 v108, v82, v99
	v_fma_f32 v77, v79, v98, -v91
	v_add_f32_e32 v82, 0, v105
	v_add_f32_e32 v75, v75, v76
	s_waitcnt lgkmcnt(1)
	v_mul_f32_e32 v109, v83, v93
	v_mul_f32_e32 v93, v84, v93
	v_fmac_f32_e32 v107, v80, v98
	v_fma_f32 v78, v81, v99, -v92
	v_add_f32_e32 v82, v82, v106
	v_add_f32_e32 v75, v75, v77
	v_mul_f32_e32 v110, v85, v94
	v_mul_f32_e32 v94, v86, v94
	s_waitcnt vmcnt(4)
	v_fma_f32 v79, v83, v100, -v93
	v_add_f32_e32 v76, v82, v107
	v_add_f32_e32 v75, v75, v78
	s_waitcnt lgkmcnt(0)
	v_mul_f32_e32 v111, v87, v95
	v_mul_f32_e32 v95, v88, v95
	v_fmac_f32_e32 v109, v84, v100
	s_waitcnt vmcnt(3)
	v_fma_f32 v80, v85, v101, -v94
	v_add_f32_e32 v76, v76, v108
	v_add_f32_e32 v75, v75, v79
	v_fmac_f32_e32 v110, v86, v101
	s_waitcnt vmcnt(2)
	v_fma_f32 v81, v87, v102, -v95
	v_add_f32_e32 v76, v76, v109
	v_add_f32_e32 v75, v75, v80
	v_fmac_f32_e32 v111, v88, v102
	v_add_f32_e32 v76, v76, v110
	v_add_f32_e32 v75, v75, v81
	;; [unrolled: 1-line block ×3, first 2 shown]
	s_waitcnt vmcnt(1)
	v_sub_f32_e32 v75, v103, v75
	s_waitcnt vmcnt(0)
	v_sub_f32_e32 v76, v104, v76
	buffer_store_dword v75, off, s[0:3], 0 offset:224
	buffer_store_dword v76, off, s[0:3], 0 offset:228
	s_and_saveexec_b64 s[4:5], vcc
	s_cbranch_execz .LBB99_175
; %bb.174:
	buffer_load_dword v75, off, s[0:3], 0 offset:216
	buffer_load_dword v76, off, s[0:3], 0 offset:220
	s_waitcnt vmcnt(0)
	ds_write_b64 v73, v[75:76]
	buffer_store_dword v74, off, s[0:3], 0 offset:216
	buffer_store_dword v74, off, s[0:3], 0 offset:220
.LBB99_175:
	s_or_b64 exec, exec, s[4:5]
	s_waitcnt lgkmcnt(0)
	; wave barrier
	buffer_load_dword v91, off, s[0:3], 0 offset:228
	buffer_load_dword v92, off, s[0:3], 0 offset:236
	;; [unrolled: 1-line block ×18, first 2 shown]
	ds_read_b128 v[75:78], v74 offset:512
	ds_read_b128 v[79:82], v74 offset:528
	ds_read_b128 v[83:86], v74 offset:544
	ds_read_b128 v[87:90], v74 offset:560
	v_cmp_lt_u32_e32 vcc, 26, v0
	s_waitcnt vmcnt(17) lgkmcnt(3)
	v_mul_f32_e32 v74, v75, v91
	v_mul_f32_e32 v91, v76, v91
	s_waitcnt vmcnt(16)
	v_mul_f32_e32 v109, v77, v92
	v_mul_f32_e32 v92, v78, v92
	s_waitcnt vmcnt(15) lgkmcnt(2)
	v_mul_f32_e32 v110, v79, v93
	v_mul_f32_e32 v93, v80, v93
	s_waitcnt vmcnt(14)
	v_mul_f32_e32 v111, v81, v94
	v_mul_f32_e32 v94, v82, v94
	s_waitcnt vmcnt(9)
	v_fma_f32 v75, v75, v99, -v91
	v_fmac_f32_e32 v74, v76, v99
	s_waitcnt vmcnt(8)
	v_fma_f32 v76, v77, v100, -v92
	v_add_f32_e32 v75, 0, v75
	v_fmac_f32_e32 v109, v78, v100
	s_waitcnt vmcnt(7)
	v_fma_f32 v77, v79, v101, -v93
	v_add_f32_e32 v74, 0, v74
	v_add_f32_e32 v75, v75, v76
	s_waitcnt lgkmcnt(1)
	v_mul_f32_e32 v112, v83, v95
	v_mul_f32_e32 v95, v84, v95
	v_fmac_f32_e32 v110, v80, v101
	s_waitcnt vmcnt(6)
	v_fma_f32 v78, v81, v102, -v94
	v_add_f32_e32 v74, v74, v109
	v_add_f32_e32 v75, v75, v77
	v_mul_f32_e32 v113, v85, v96
	v_mul_f32_e32 v96, v86, v96
	v_fmac_f32_e32 v111, v82, v102
	s_waitcnt vmcnt(5)
	v_fma_f32 v79, v83, v103, -v95
	v_add_f32_e32 v74, v74, v110
	v_add_f32_e32 v75, v75, v78
	s_waitcnt lgkmcnt(0)
	v_mul_f32_e32 v114, v87, v97
	v_mul_f32_e32 v97, v88, v97
	v_fmac_f32_e32 v112, v84, v103
	s_waitcnt vmcnt(4)
	v_fma_f32 v80, v85, v104, -v96
	v_add_f32_e32 v74, v74, v111
	v_add_f32_e32 v75, v75, v79
	v_mul_f32_e32 v115, v89, v98
	v_mul_f32_e32 v98, v90, v98
	v_fmac_f32_e32 v113, v86, v104
	s_waitcnt vmcnt(3)
	v_fma_f32 v81, v87, v105, -v97
	v_add_f32_e32 v74, v74, v112
	v_add_f32_e32 v75, v75, v80
	v_fmac_f32_e32 v114, v88, v105
	s_waitcnt vmcnt(2)
	v_fma_f32 v82, v89, v106, -v98
	v_add_f32_e32 v74, v74, v113
	v_add_f32_e32 v75, v75, v81
	v_fmac_f32_e32 v115, v90, v106
	v_add_f32_e32 v74, v74, v114
	v_add_f32_e32 v75, v75, v82
	;; [unrolled: 1-line block ×3, first 2 shown]
	s_waitcnt vmcnt(1)
	v_sub_f32_e32 v75, v107, v75
	s_waitcnt vmcnt(0)
	v_sub_f32_e32 v74, v108, v74
	buffer_store_dword v75, off, s[0:3], 0 offset:216
	buffer_store_dword v74, off, s[0:3], 0 offset:220
	s_and_saveexec_b64 s[4:5], vcc
	s_cbranch_execz .LBB99_177
; %bb.176:
	buffer_load_dword v74, off, s[0:3], 0 offset:208
	buffer_load_dword v75, off, s[0:3], 0 offset:212
	v_mov_b32_e32 v76, 0
	buffer_store_dword v76, off, s[0:3], 0 offset:208
	buffer_store_dword v76, off, s[0:3], 0 offset:212
	s_waitcnt vmcnt(2)
	ds_write_b64 v73, v[74:75]
.LBB99_177:
	s_or_b64 exec, exec, s[4:5]
	s_waitcnt lgkmcnt(0)
	; wave barrier
	buffer_load_dword v93, off, s[0:3], 0 offset:220
	buffer_load_dword v94, off, s[0:3], 0 offset:228
	;; [unrolled: 1-line block ×20, first 2 shown]
	v_mov_b32_e32 v74, 0
	ds_read2_b64 v[75:78], v74 offset0:63 offset1:64
	ds_read2_b64 v[79:82], v74 offset0:65 offset1:66
	ds_read2_b64 v[83:86], v74 offset0:67 offset1:68
	ds_read2_b64 v[87:90], v74 offset0:69 offset1:70
	ds_read_b64 v[91:92], v74 offset:568
	v_cmp_lt_u32_e32 vcc, 25, v0
	s_waitcnt vmcnt(19) lgkmcnt(4)
	v_mul_f32_e32 v113, v75, v93
	v_mul_f32_e32 v93, v76, v93
	s_waitcnt vmcnt(18)
	v_mul_f32_e32 v114, v77, v94
	v_mul_f32_e32 v94, v78, v94
	s_waitcnt vmcnt(17) lgkmcnt(3)
	v_mul_f32_e32 v115, v79, v95
	s_waitcnt vmcnt(15) lgkmcnt(2)
	v_mul_f32_e32 v117, v83, v97
	v_mul_f32_e32 v95, v80, v95
	;; [unrolled: 1-line block ×4, first 2 shown]
	s_waitcnt vmcnt(10)
	v_fma_f32 v75, v75, v102, -v93
	v_fmac_f32_e32 v113, v76, v102
	s_waitcnt vmcnt(9)
	v_fma_f32 v76, v77, v103, -v94
	v_add_f32_e32 v75, 0, v75
	v_mul_f32_e32 v97, v84, v97
	v_fmac_f32_e32 v114, v78, v103
	s_waitcnt vmcnt(6)
	v_fmac_f32_e32 v117, v84, v106
	v_fma_f32 v77, v79, v104, -v95
	v_add_f32_e32 v84, 0, v113
	v_add_f32_e32 v75, v75, v76
	v_fmac_f32_e32 v115, v80, v104
	v_fma_f32 v78, v81, v105, -v96
	v_add_f32_e32 v84, v84, v114
	v_add_f32_e32 v75, v75, v77
	v_mul_f32_e32 v118, v85, v98
	v_mul_f32_e32 v98, v86, v98
	v_fmac_f32_e32 v116, v82, v105
	v_fma_f32 v79, v83, v106, -v97
	v_add_f32_e32 v76, v84, v115
	v_add_f32_e32 v75, v75, v78
	s_waitcnt lgkmcnt(1)
	v_mul_f32_e32 v119, v87, v99
	v_mul_f32_e32 v99, v88, v99
	s_waitcnt vmcnt(5)
	v_fma_f32 v80, v85, v107, -v98
	v_add_f32_e32 v76, v76, v116
	v_add_f32_e32 v75, v75, v79
	v_mul_f32_e32 v120, v89, v100
	v_mul_f32_e32 v100, v90, v100
	v_fmac_f32_e32 v118, v86, v107
	s_waitcnt vmcnt(4)
	v_fma_f32 v81, v87, v108, -v99
	v_add_f32_e32 v76, v76, v117
	v_add_f32_e32 v75, v75, v80
	s_waitcnt lgkmcnt(0)
	v_mul_f32_e32 v121, v91, v101
	v_mul_f32_e32 v101, v92, v101
	v_fmac_f32_e32 v119, v88, v108
	s_waitcnt vmcnt(3)
	v_fma_f32 v82, v89, v109, -v100
	v_add_f32_e32 v76, v76, v118
	v_add_f32_e32 v75, v75, v81
	v_fmac_f32_e32 v120, v90, v109
	s_waitcnt vmcnt(2)
	v_fma_f32 v83, v91, v110, -v101
	v_add_f32_e32 v76, v76, v119
	v_add_f32_e32 v75, v75, v82
	v_fmac_f32_e32 v121, v92, v110
	v_add_f32_e32 v76, v76, v120
	v_add_f32_e32 v75, v75, v83
	;; [unrolled: 1-line block ×3, first 2 shown]
	s_waitcnt vmcnt(1)
	v_sub_f32_e32 v75, v111, v75
	s_waitcnt vmcnt(0)
	v_sub_f32_e32 v76, v112, v76
	buffer_store_dword v75, off, s[0:3], 0 offset:208
	buffer_store_dword v76, off, s[0:3], 0 offset:212
	s_and_saveexec_b64 s[4:5], vcc
	s_cbranch_execz .LBB99_179
; %bb.178:
	buffer_load_dword v75, off, s[0:3], 0 offset:200
	buffer_load_dword v76, off, s[0:3], 0 offset:204
	s_waitcnt vmcnt(0)
	ds_write_b64 v73, v[75:76]
	buffer_store_dword v74, off, s[0:3], 0 offset:200
	buffer_store_dword v74, off, s[0:3], 0 offset:204
.LBB99_179:
	s_or_b64 exec, exec, s[4:5]
	s_waitcnt lgkmcnt(0)
	; wave barrier
	buffer_load_dword v95, off, s[0:3], 0 offset:212
	buffer_load_dword v96, off, s[0:3], 0 offset:220
	;; [unrolled: 1-line block ×22, first 2 shown]
	ds_read_b128 v[75:78], v74 offset:496
	ds_read_b128 v[79:82], v74 offset:512
	;; [unrolled: 1-line block ×5, first 2 shown]
	v_cmp_lt_u32_e32 vcc, 24, v0
	s_waitcnt vmcnt(21) lgkmcnt(4)
	v_mul_f32_e32 v74, v75, v95
	v_mul_f32_e32 v95, v76, v95
	s_waitcnt vmcnt(20)
	v_mul_f32_e32 v117, v77, v96
	v_mul_f32_e32 v96, v78, v96
	s_waitcnt vmcnt(19) lgkmcnt(3)
	v_mul_f32_e32 v118, v79, v97
	v_mul_f32_e32 v97, v80, v97
	s_waitcnt vmcnt(18)
	v_mul_f32_e32 v119, v81, v98
	v_mul_f32_e32 v98, v82, v98
	s_waitcnt vmcnt(17) lgkmcnt(2)
	v_mul_f32_e32 v120, v83, v99
	v_mul_f32_e32 v99, v84, v99
	s_waitcnt vmcnt(11)
	v_fma_f32 v75, v75, v105, -v95
	v_fmac_f32_e32 v74, v76, v105
	s_waitcnt vmcnt(10)
	v_fma_f32 v76, v77, v106, -v96
	v_add_f32_e32 v75, 0, v75
	v_fmac_f32_e32 v117, v78, v106
	s_waitcnt vmcnt(9)
	v_fma_f32 v77, v79, v107, -v97
	v_add_f32_e32 v74, 0, v74
	v_add_f32_e32 v75, v75, v76
	v_fmac_f32_e32 v118, v80, v107
	s_waitcnt vmcnt(8)
	v_fma_f32 v78, v81, v108, -v98
	v_add_f32_e32 v74, v74, v117
	v_add_f32_e32 v75, v75, v77
	v_mul_f32_e32 v121, v85, v100
	v_mul_f32_e32 v100, v86, v100
	v_fmac_f32_e32 v119, v82, v108
	s_waitcnt vmcnt(7)
	v_fma_f32 v79, v83, v109, -v99
	v_add_f32_e32 v74, v74, v118
	v_add_f32_e32 v75, v75, v78
	s_waitcnt lgkmcnt(1)
	v_mul_f32_e32 v122, v87, v101
	v_mul_f32_e32 v101, v88, v101
	v_fmac_f32_e32 v120, v84, v109
	s_waitcnt vmcnt(6)
	v_fma_f32 v80, v85, v110, -v100
	v_add_f32_e32 v74, v74, v119
	v_add_f32_e32 v75, v75, v79
	v_mul_f32_e32 v123, v89, v102
	v_mul_f32_e32 v102, v90, v102
	v_fmac_f32_e32 v121, v86, v110
	s_waitcnt vmcnt(5)
	v_fma_f32 v81, v87, v111, -v101
	v_add_f32_e32 v74, v74, v120
	v_add_f32_e32 v75, v75, v80
	s_waitcnt lgkmcnt(0)
	v_mul_f32_e32 v124, v91, v103
	v_mul_f32_e32 v103, v92, v103
	v_fmac_f32_e32 v122, v88, v111
	s_waitcnt vmcnt(4)
	v_fma_f32 v82, v89, v112, -v102
	v_add_f32_e32 v74, v74, v121
	v_add_f32_e32 v75, v75, v81
	v_mul_f32_e32 v125, v93, v104
	v_mul_f32_e32 v104, v94, v104
	v_fmac_f32_e32 v123, v90, v112
	s_waitcnt vmcnt(3)
	v_fma_f32 v83, v91, v113, -v103
	v_add_f32_e32 v74, v74, v122
	v_add_f32_e32 v75, v75, v82
	v_fmac_f32_e32 v124, v92, v113
	s_waitcnt vmcnt(2)
	v_fma_f32 v84, v93, v114, -v104
	v_add_f32_e32 v74, v74, v123
	v_add_f32_e32 v75, v75, v83
	v_fmac_f32_e32 v125, v94, v114
	v_add_f32_e32 v74, v74, v124
	v_add_f32_e32 v75, v75, v84
	;; [unrolled: 1-line block ×3, first 2 shown]
	s_waitcnt vmcnt(1)
	v_sub_f32_e32 v75, v115, v75
	s_waitcnt vmcnt(0)
	v_sub_f32_e32 v74, v116, v74
	buffer_store_dword v75, off, s[0:3], 0 offset:200
	buffer_store_dword v74, off, s[0:3], 0 offset:204
	s_and_saveexec_b64 s[4:5], vcc
	s_cbranch_execz .LBB99_181
; %bb.180:
	buffer_load_dword v74, off, s[0:3], 0 offset:192
	buffer_load_dword v75, off, s[0:3], 0 offset:196
	v_mov_b32_e32 v76, 0
	buffer_store_dword v76, off, s[0:3], 0 offset:192
	buffer_store_dword v76, off, s[0:3], 0 offset:196
	s_waitcnt vmcnt(2)
	ds_write_b64 v73, v[74:75]
.LBB99_181:
	s_or_b64 exec, exec, s[4:5]
	v_mov_b32_e32 v74, 0
	s_waitcnt lgkmcnt(0)
	; wave barrier
	ds_read2_b64 v[75:78], v74 offset0:61 offset1:62
	buffer_load_dword v97, off, s[0:3], 0 offset:192
	buffer_load_dword v98, off, s[0:3], 0 offset:196
	;; [unrolled: 1-line block ×16, first 2 shown]
	v_cmp_lt_u32_e32 vcc, 23, v0
	s_waitcnt vmcnt(12) lgkmcnt(0)
	v_mul_f32_e32 v79, v75, v100
	v_fmac_f32_e32 v79, v76, v99
	s_waitcnt vmcnt(10)
	v_mul_f32_e32 v80, v77, v102
	v_add_f32_e32 v79, 0, v79
	v_fmac_f32_e32 v80, v78, v101
	v_add_f32_e32 v83, v79, v80
	ds_read2_b64 v[79:82], v74 offset0:63 offset1:64
	v_mul_f32_e32 v76, v76, v100
	v_fma_f32 v75, v75, v99, -v76
	v_mul_f32_e32 v76, v78, v102
	v_add_f32_e32 v75, 0, v75
	s_waitcnt vmcnt(8) lgkmcnt(0)
	v_mul_f32_e32 v84, v79, v104
	v_fmac_f32_e32 v84, v80, v103
	v_add_f32_e32 v83, v83, v84
	s_waitcnt vmcnt(6)
	v_mul_f32_e32 v84, v81, v106
	v_fmac_f32_e32 v84, v82, v105
	v_add_f32_e32 v87, v83, v84
	ds_read2_b64 v[83:86], v74 offset0:65 offset1:66
	v_fma_f32 v76, v77, v101, -v76
	v_add_f32_e32 v75, v75, v76
	v_mul_f32_e32 v76, v80, v104
	v_fma_f32 v76, v79, v103, -v76
	s_waitcnt vmcnt(4) lgkmcnt(0)
	v_mul_f32_e32 v88, v83, v108
	v_fmac_f32_e32 v88, v84, v107
	v_add_f32_e32 v87, v87, v88
	s_waitcnt vmcnt(2)
	v_mul_f32_e32 v88, v85, v110
	v_fmac_f32_e32 v88, v86, v109
	v_add_f32_e32 v91, v87, v88
	ds_read2_b64 v[87:90], v74 offset0:67 offset1:68
	buffer_load_dword v113, off, s[0:3], 0 offset:256
	buffer_load_dword v114, off, s[0:3], 0 offset:260
	v_add_f32_e32 v75, v75, v76
	v_mul_f32_e32 v76, v82, v106
	v_fma_f32 v76, v81, v105, -v76
	s_waitcnt vmcnt(2) lgkmcnt(0)
	v_mul_f32_e32 v92, v87, v112
	v_fmac_f32_e32 v92, v88, v111
	v_add_f32_e32 v91, v91, v92
	v_add_f32_e32 v75, v75, v76
	v_mul_f32_e32 v76, v84, v108
	v_fma_f32 v76, v83, v107, -v76
	v_add_f32_e32 v75, v75, v76
	v_mul_f32_e32 v76, v86, v110
	v_fma_f32 v76, v85, v109, -v76
	;; [unrolled: 3-line block ×3, first 2 shown]
	v_add_f32_e32 v75, v75, v76
	s_waitcnt vmcnt(0)
	v_mul_f32_e32 v92, v89, v114
	v_fmac_f32_e32 v92, v90, v113
	v_add_f32_e32 v95, v91, v92
	ds_read2_b64 v[91:94], v74 offset0:69 offset1:70
	buffer_load_dword v115, off, s[0:3], 0 offset:264
	buffer_load_dword v116, off, s[0:3], 0 offset:268
	;; [unrolled: 1-line block ×4, first 2 shown]
	v_mul_f32_e32 v76, v90, v114
	v_fma_f32 v76, v89, v113, -v76
	v_add_f32_e32 v75, v75, v76
	s_waitcnt vmcnt(2) lgkmcnt(0)
	v_mul_f32_e32 v96, v91, v116
	v_fmac_f32_e32 v96, v92, v115
	v_add_f32_e32 v95, v95, v96
	s_waitcnt vmcnt(0)
	v_mul_f32_e32 v96, v93, v118
	v_fmac_f32_e32 v96, v94, v117
	v_add_f32_e32 v119, v95, v96
	ds_read_b64 v[95:96], v74 offset:568
	buffer_load_dword v120, off, s[0:3], 0 offset:280
	buffer_load_dword v121, off, s[0:3], 0 offset:284
	v_mul_f32_e32 v76, v92, v116
	v_fma_f32 v76, v91, v115, -v76
	v_add_f32_e32 v75, v75, v76
	v_mul_f32_e32 v76, v94, v118
	v_fma_f32 v76, v93, v117, -v76
	v_add_f32_e32 v75, v75, v76
	s_waitcnt vmcnt(0) lgkmcnt(0)
	v_mul_f32_e32 v76, v96, v121
	v_mul_f32_e32 v122, v95, v121
	v_fma_f32 v76, v95, v120, -v76
	v_fmac_f32_e32 v122, v96, v120
	v_add_f32_e32 v75, v75, v76
	v_add_f32_e32 v119, v119, v122
	v_sub_f32_e32 v75, v97, v75
	v_sub_f32_e32 v76, v98, v119
	buffer_store_dword v75, off, s[0:3], 0 offset:192
	buffer_store_dword v76, off, s[0:3], 0 offset:196
	s_and_saveexec_b64 s[4:5], vcc
	s_cbranch_execz .LBB99_183
; %bb.182:
	buffer_load_dword v75, off, s[0:3], 0 offset:184
	buffer_load_dword v76, off, s[0:3], 0 offset:188
	s_waitcnt vmcnt(0)
	ds_write_b64 v73, v[75:76]
	buffer_store_dword v74, off, s[0:3], 0 offset:184
	buffer_store_dword v74, off, s[0:3], 0 offset:188
.LBB99_183:
	s_or_b64 exec, exec, s[4:5]
	s_waitcnt lgkmcnt(0)
	; wave barrier
	ds_read_b128 v[75:78], v74 offset:480
	ds_read_b128 v[79:82], v74 offset:496
	;; [unrolled: 1-line block ×4, first 2 shown]
	buffer_load_dword v99, off, s[0:3], 0 offset:184
	buffer_load_dword v100, off, s[0:3], 0 offset:188
	;; [unrolled: 1-line block ×18, first 2 shown]
	v_cmp_lt_u32_e32 vcc, 22, v0
	s_waitcnt vmcnt(14) lgkmcnt(3)
	v_mul_f32_e32 v91, v75, v102
	v_fmac_f32_e32 v91, v76, v101
	s_waitcnt vmcnt(12)
	v_mul_f32_e32 v92, v77, v104
	v_add_f32_e32 v91, 0, v91
	v_fmac_f32_e32 v92, v78, v103
	v_add_f32_e32 v91, v91, v92
	s_waitcnt vmcnt(10) lgkmcnt(2)
	v_mul_f32_e32 v92, v79, v106
	v_fmac_f32_e32 v92, v80, v105
	v_add_f32_e32 v91, v91, v92
	s_waitcnt vmcnt(8)
	v_mul_f32_e32 v92, v81, v108
	v_fmac_f32_e32 v92, v82, v107
	v_add_f32_e32 v91, v91, v92
	s_waitcnt vmcnt(6) lgkmcnt(1)
	v_mul_f32_e32 v92, v83, v110
	v_fmac_f32_e32 v92, v84, v109
	v_add_f32_e32 v91, v91, v92
	s_waitcnt vmcnt(4)
	v_mul_f32_e32 v92, v85, v112
	v_fmac_f32_e32 v92, v86, v111
	v_add_f32_e32 v91, v91, v92
	s_waitcnt vmcnt(2) lgkmcnt(0)
	v_mul_f32_e32 v92, v87, v114
	v_fmac_f32_e32 v92, v88, v113
	v_add_f32_e32 v91, v91, v92
	s_waitcnt vmcnt(0)
	v_mul_f32_e32 v92, v89, v116
	v_fmac_f32_e32 v92, v90, v115
	v_add_f32_e32 v95, v91, v92
	ds_read_b128 v[91:94], v74 offset:544
	buffer_load_dword v117, off, s[0:3], 0 offset:256
	buffer_load_dword v118, off, s[0:3], 0 offset:260
	;; [unrolled: 1-line block ×4, first 2 shown]
	v_mul_f32_e32 v76, v76, v102
	v_fma_f32 v75, v75, v101, -v76
	v_mul_f32_e32 v76, v78, v104
	v_add_f32_e32 v75, 0, v75
	v_fma_f32 v76, v77, v103, -v76
	v_add_f32_e32 v75, v75, v76
	v_mul_f32_e32 v76, v80, v106
	v_fma_f32 v76, v79, v105, -v76
	v_add_f32_e32 v75, v75, v76
	v_mul_f32_e32 v76, v82, v108
	;; [unrolled: 3-line block ×6, first 2 shown]
	v_fma_f32 v76, v89, v115, -v76
	v_add_f32_e32 v75, v75, v76
	s_waitcnt vmcnt(2) lgkmcnt(0)
	v_mul_f32_e32 v96, v91, v118
	v_fmac_f32_e32 v96, v92, v117
	v_add_f32_e32 v95, v95, v96
	s_waitcnt vmcnt(0)
	v_mul_f32_e32 v96, v93, v120
	v_fmac_f32_e32 v96, v94, v119
	v_add_f32_e32 v121, v95, v96
	ds_read_b128 v[95:98], v74 offset:560
	buffer_load_dword v74, off, s[0:3], 0 offset:272
	buffer_load_dword v122, off, s[0:3], 0 offset:276
	v_mul_f32_e32 v76, v92, v118
	v_fma_f32 v76, v91, v117, -v76
	v_add_f32_e32 v75, v75, v76
	v_mul_f32_e32 v76, v94, v120
	v_fma_f32 v76, v93, v119, -v76
	v_add_f32_e32 v75, v75, v76
	s_waitcnt vmcnt(0) lgkmcnt(0)
	v_mul_f32_e32 v123, v95, v122
	v_fmac_f32_e32 v123, v96, v74
	v_add_f32_e32 v121, v121, v123
	buffer_load_dword v123, off, s[0:3], 0 offset:280
	buffer_load_dword v124, off, s[0:3], 0 offset:284
	v_mul_f32_e32 v76, v96, v122
	v_fma_f32 v74, v95, v74, -v76
	v_add_f32_e32 v74, v75, v74
	s_waitcnt vmcnt(0)
	v_mul_f32_e32 v75, v98, v124
	v_mul_f32_e32 v125, v97, v124
	v_fma_f32 v75, v97, v123, -v75
	v_fmac_f32_e32 v125, v98, v123
	v_add_f32_e32 v74, v74, v75
	v_add_f32_e32 v121, v121, v125
	v_sub_f32_e32 v74, v99, v74
	v_sub_f32_e32 v75, v100, v121
	buffer_store_dword v74, off, s[0:3], 0 offset:184
	buffer_store_dword v75, off, s[0:3], 0 offset:188
	s_and_saveexec_b64 s[4:5], vcc
	s_cbranch_execz .LBB99_185
; %bb.184:
	buffer_load_dword v74, off, s[0:3], 0 offset:176
	buffer_load_dword v75, off, s[0:3], 0 offset:180
	v_mov_b32_e32 v76, 0
	buffer_store_dword v76, off, s[0:3], 0 offset:176
	buffer_store_dword v76, off, s[0:3], 0 offset:180
	s_waitcnt vmcnt(2)
	ds_write_b64 v73, v[74:75]
.LBB99_185:
	s_or_b64 exec, exec, s[4:5]
	s_waitcnt lgkmcnt(0)
	; wave barrier
	buffer_load_dword v101, off, s[0:3], 0 offset:188
	buffer_load_dword v102, off, s[0:3], 0 offset:196
	;; [unrolled: 1-line block ×28, first 2 shown]
	v_mov_b32_e32 v74, 0
	ds_read2_b64 v[75:78], v74 offset0:59 offset1:60
	ds_read2_b64 v[79:82], v74 offset0:61 offset1:62
	;; [unrolled: 1-line block ×6, first 2 shown]
	ds_read_b64 v[99:100], v74 offset:568
	v_cmp_lt_u32_e32 vcc, 21, v0
	s_waitcnt vmcnt(27) lgkmcnt(6)
	v_mul_f32_e32 v129, v75, v101
	v_mul_f32_e32 v101, v76, v101
	s_waitcnt vmcnt(26)
	v_mul_f32_e32 v130, v77, v102
	v_mul_f32_e32 v102, v78, v102
	s_waitcnt vmcnt(25) lgkmcnt(5)
	v_mul_f32_e32 v131, v79, v103
	v_mul_f32_e32 v103, v80, v103
	s_waitcnt vmcnt(24)
	v_mul_f32_e32 v132, v81, v104
	v_mul_f32_e32 v104, v82, v104
	;; [unrolled: 6-line block ×3, first 2 shown]
	s_waitcnt vmcnt(21) lgkmcnt(3)
	v_mul_f32_e32 v135, v87, v107
	s_waitcnt vmcnt(14)
	v_fma_f32 v75, v75, v114, -v101
	v_fmac_f32_e32 v129, v76, v114
	s_waitcnt vmcnt(13)
	v_fma_f32 v76, v77, v115, -v102
	v_add_f32_e32 v75, 0, v75
	s_waitcnt vmcnt(12)
	v_fma_f32 v77, v79, v116, -v103
	v_add_f32_e32 v75, v75, v76
	v_fmac_f32_e32 v130, v78, v115
	s_waitcnt vmcnt(11)
	v_fma_f32 v78, v81, v117, -v104
	v_add_f32_e32 v75, v75, v77
	s_waitcnt vmcnt(10)
	v_fma_f32 v79, v83, v118, -v105
	v_add_f32_e32 v75, v75, v78
	v_fmac_f32_e32 v131, v80, v116
	s_waitcnt vmcnt(9)
	v_fma_f32 v80, v85, v119, -v106
	v_add_f32_e32 v75, v75, v79
	v_mul_f32_e32 v77, v88, v107
	v_add_f32_e32 v75, v75, v80
	s_waitcnt vmcnt(8)
	v_fma_f32 v77, v87, v120, -v77
	v_add_f32_e32 v75, v75, v77
	v_mul_f32_e32 v77, v90, v108
	v_add_f32_e32 v81, 0, v129
	s_waitcnt vmcnt(7)
	v_fma_f32 v77, v89, v121, -v77
	v_add_f32_e32 v81, v81, v130
	v_add_f32_e32 v75, v75, v77
	s_waitcnt lgkmcnt(2)
	v_mul_f32_e32 v77, v92, v109
	v_fmac_f32_e32 v132, v82, v117
	v_add_f32_e32 v76, v81, v131
	s_waitcnt vmcnt(6)
	v_fma_f32 v77, v91, v122, -v77
	v_fmac_f32_e32 v133, v84, v118
	v_add_f32_e32 v76, v76, v132
	v_add_f32_e32 v75, v75, v77
	v_mul_f32_e32 v77, v94, v110
	v_fmac_f32_e32 v134, v86, v119
	v_add_f32_e32 v76, v76, v133
	s_waitcnt vmcnt(5)
	v_fma_f32 v77, v93, v123, -v77
	v_mul_f32_e32 v136, v89, v108
	v_fmac_f32_e32 v135, v88, v120
	v_add_f32_e32 v76, v76, v134
	v_add_f32_e32 v75, v75, v77
	s_waitcnt lgkmcnt(1)
	v_mul_f32_e32 v77, v96, v111
	v_mul_f32_e32 v137, v91, v109
	v_fmac_f32_e32 v136, v90, v121
	v_add_f32_e32 v76, v76, v135
	s_waitcnt vmcnt(4)
	v_fma_f32 v77, v95, v124, -v77
	v_mul_f32_e32 v138, v93, v110
	v_fmac_f32_e32 v137, v92, v122
	v_add_f32_e32 v76, v76, v136
	v_add_f32_e32 v75, v75, v77
	v_mul_f32_e32 v77, v98, v112
	v_mul_f32_e32 v139, v95, v111
	v_fmac_f32_e32 v138, v94, v123
	v_add_f32_e32 v76, v76, v137
	s_waitcnt vmcnt(3)
	v_fma_f32 v77, v97, v125, -v77
	v_mul_f32_e32 v140, v97, v112
	v_fmac_f32_e32 v139, v96, v124
	v_add_f32_e32 v76, v76, v138
	v_add_f32_e32 v75, v75, v77
	s_waitcnt lgkmcnt(0)
	v_mul_f32_e32 v77, v100, v113
	v_mul_f32_e32 v141, v99, v113
	v_fmac_f32_e32 v140, v98, v125
	v_add_f32_e32 v76, v76, v139
	s_waitcnt vmcnt(2)
	v_fma_f32 v77, v99, v126, -v77
	v_fmac_f32_e32 v141, v100, v126
	v_add_f32_e32 v76, v76, v140
	v_add_f32_e32 v75, v75, v77
	;; [unrolled: 1-line block ×3, first 2 shown]
	s_waitcnt vmcnt(1)
	v_sub_f32_e32 v75, v127, v75
	s_waitcnt vmcnt(0)
	v_sub_f32_e32 v76, v128, v76
	buffer_store_dword v75, off, s[0:3], 0 offset:176
	buffer_store_dword v76, off, s[0:3], 0 offset:180
	s_and_saveexec_b64 s[4:5], vcc
	s_cbranch_execz .LBB99_187
; %bb.186:
	buffer_load_dword v75, off, s[0:3], 0 offset:168
	buffer_load_dword v76, off, s[0:3], 0 offset:172
	s_waitcnt vmcnt(0)
	ds_write_b64 v73, v[75:76]
	buffer_store_dword v74, off, s[0:3], 0 offset:168
	buffer_store_dword v74, off, s[0:3], 0 offset:172
.LBB99_187:
	s_or_b64 exec, exec, s[4:5]
	s_waitcnt lgkmcnt(0)
	; wave barrier
	buffer_load_dword v103, off, s[0:3], 0 offset:180
	buffer_load_dword v104, off, s[0:3], 0 offset:188
	;; [unrolled: 1-line block ×30, first 2 shown]
	ds_read_b128 v[75:78], v74 offset:464
	ds_read_b128 v[79:82], v74 offset:480
	ds_read_b128 v[83:86], v74 offset:496
	ds_read_b128 v[87:90], v74 offset:512
	ds_read_b128 v[91:94], v74 offset:528
	ds_read_b128 v[95:98], v74 offset:544
	ds_read_b128 v[99:102], v74 offset:560
	v_cmp_lt_u32_e32 vcc, 20, v0
	s_waitcnt vmcnt(29) lgkmcnt(6)
	v_mul_f32_e32 v74, v75, v103
	v_mul_f32_e32 v103, v76, v103
	s_waitcnt vmcnt(28)
	v_mul_f32_e32 v133, v77, v104
	v_mul_f32_e32 v104, v78, v104
	s_waitcnt vmcnt(27) lgkmcnt(5)
	v_mul_f32_e32 v134, v79, v105
	v_mul_f32_e32 v105, v80, v105
	s_waitcnt vmcnt(26)
	v_mul_f32_e32 v135, v81, v106
	v_mul_f32_e32 v106, v82, v106
	s_waitcnt vmcnt(25) lgkmcnt(4)
	v_mul_f32_e32 v136, v83, v107
	v_mul_f32_e32 v107, v84, v107
	s_waitcnt vmcnt(24)
	v_mul_f32_e32 v137, v85, v108
	s_waitcnt vmcnt(23) lgkmcnt(3)
	v_mul_f32_e32 v138, v87, v109
	s_waitcnt vmcnt(22)
	v_mul_f32_e32 v139, v89, v110
	s_waitcnt vmcnt(21) lgkmcnt(2)
	v_mul_f32_e32 v140, v91, v111
	s_waitcnt vmcnt(15)
	v_fma_f32 v75, v75, v117, -v103
	v_fmac_f32_e32 v74, v76, v117
	s_waitcnt vmcnt(14)
	v_fma_f32 v76, v77, v118, -v104
	v_add_f32_e32 v75, 0, v75
	s_waitcnt vmcnt(13)
	v_fma_f32 v77, v79, v119, -v105
	v_add_f32_e32 v75, v75, v76
	v_fmac_f32_e32 v133, v78, v118
	s_waitcnt vmcnt(12)
	v_fma_f32 v78, v81, v120, -v106
	v_add_f32_e32 v75, v75, v77
	s_waitcnt vmcnt(11)
	v_fma_f32 v79, v83, v121, -v107
	v_add_f32_e32 v75, v75, v78
	v_mul_f32_e32 v76, v86, v108
	v_add_f32_e32 v75, v75, v79
	s_waitcnt vmcnt(10)
	v_fma_f32 v76, v85, v122, -v76
	v_add_f32_e32 v75, v75, v76
	v_mul_f32_e32 v76, v88, v109
	s_waitcnt vmcnt(9)
	v_fma_f32 v76, v87, v123, -v76
	v_add_f32_e32 v75, v75, v76
	v_mul_f32_e32 v76, v90, v110
	s_waitcnt vmcnt(8)
	v_fma_f32 v76, v89, v124, -v76
	v_add_f32_e32 v74, 0, v74
	v_add_f32_e32 v75, v75, v76
	v_mul_f32_e32 v76, v92, v111
	v_fmac_f32_e32 v134, v80, v119
	v_add_f32_e32 v74, v74, v133
	s_waitcnt vmcnt(7)
	v_fma_f32 v76, v91, v125, -v76
	v_fmac_f32_e32 v135, v82, v120
	v_add_f32_e32 v74, v74, v134
	v_add_f32_e32 v75, v75, v76
	v_mul_f32_e32 v76, v94, v112
	v_fmac_f32_e32 v136, v84, v121
	v_add_f32_e32 v74, v74, v135
	s_waitcnt vmcnt(6)
	v_fma_f32 v76, v93, v126, -v76
	v_fmac_f32_e32 v137, v86, v122
	v_add_f32_e32 v74, v74, v136
	v_add_f32_e32 v75, v75, v76
	s_waitcnt lgkmcnt(1)
	v_mul_f32_e32 v76, v96, v113
	v_fmac_f32_e32 v138, v88, v123
	v_add_f32_e32 v74, v74, v137
	s_waitcnt vmcnt(5)
	v_fma_f32 v76, v95, v127, -v76
	v_fmac_f32_e32 v139, v90, v124
	v_add_f32_e32 v74, v74, v138
	v_add_f32_e32 v75, v75, v76
	v_mul_f32_e32 v76, v98, v114
	v_mul_f32_e32 v141, v93, v112
	v_fmac_f32_e32 v140, v92, v125
	v_add_f32_e32 v74, v74, v139
	s_waitcnt vmcnt(4)
	v_fma_f32 v76, v97, v128, -v76
	v_mul_f32_e32 v142, v95, v113
	v_fmac_f32_e32 v141, v94, v126
	v_add_f32_e32 v74, v74, v140
	v_add_f32_e32 v75, v75, v76
	s_waitcnt lgkmcnt(0)
	v_mul_f32_e32 v76, v100, v115
	v_mul_f32_e32 v143, v97, v114
	v_fmac_f32_e32 v142, v96, v127
	v_add_f32_e32 v74, v74, v141
	s_waitcnt vmcnt(3)
	v_fma_f32 v76, v99, v129, -v76
	v_mul_f32_e32 v144, v99, v115
	v_fmac_f32_e32 v143, v98, v128
	v_add_f32_e32 v74, v74, v142
	v_add_f32_e32 v75, v75, v76
	v_mul_f32_e32 v76, v102, v116
	v_mul_f32_e32 v145, v101, v116
	v_fmac_f32_e32 v144, v100, v129
	v_add_f32_e32 v74, v74, v143
	s_waitcnt vmcnt(2)
	v_fma_f32 v76, v101, v130, -v76
	v_fmac_f32_e32 v145, v102, v130
	v_add_f32_e32 v74, v74, v144
	v_add_f32_e32 v75, v75, v76
	v_add_f32_e32 v74, v74, v145
	s_waitcnt vmcnt(1)
	v_sub_f32_e32 v75, v131, v75
	s_waitcnt vmcnt(0)
	v_sub_f32_e32 v74, v132, v74
	buffer_store_dword v75, off, s[0:3], 0 offset:168
	buffer_store_dword v74, off, s[0:3], 0 offset:172
	s_and_saveexec_b64 s[4:5], vcc
	s_cbranch_execz .LBB99_189
; %bb.188:
	buffer_load_dword v74, off, s[0:3], 0 offset:160
	buffer_load_dword v75, off, s[0:3], 0 offset:164
	v_mov_b32_e32 v76, 0
	buffer_store_dword v76, off, s[0:3], 0 offset:160
	buffer_store_dword v76, off, s[0:3], 0 offset:164
	s_waitcnt vmcnt(2)
	ds_write_b64 v73, v[74:75]
.LBB99_189:
	s_or_b64 exec, exec, s[4:5]
	s_waitcnt lgkmcnt(0)
	; wave barrier
	buffer_load_dword v105, off, s[0:3], 0 offset:172
	buffer_load_dword v106, off, s[0:3], 0 offset:180
	;; [unrolled: 1-line block ×32, first 2 shown]
	v_mov_b32_e32 v74, 0
	ds_read2_b64 v[75:78], v74 offset0:57 offset1:58
	ds_read2_b64 v[79:82], v74 offset0:59 offset1:60
	;; [unrolled: 1-line block ×7, first 2 shown]
	ds_read_b64 v[103:104], v74 offset:568
	v_cmp_lt_u32_e32 vcc, 19, v0
	s_waitcnt vmcnt(31) lgkmcnt(7)
	v_mul_f32_e32 v137, v75, v105
	v_mul_f32_e32 v105, v76, v105
	s_waitcnt vmcnt(30)
	v_mul_f32_e32 v138, v77, v106
	v_mul_f32_e32 v106, v78, v106
	s_waitcnt vmcnt(29) lgkmcnt(6)
	v_mul_f32_e32 v139, v79, v107
	v_mul_f32_e32 v107, v80, v107
	s_waitcnt vmcnt(28)
	v_mul_f32_e32 v140, v81, v108
	s_waitcnt vmcnt(27) lgkmcnt(5)
	v_mul_f32_e32 v141, v83, v109
	s_waitcnt vmcnt(26)
	v_mul_f32_e32 v142, v85, v110
	s_waitcnt vmcnt(25) lgkmcnt(4)
	;; [unrolled: 4-line block ×4, first 2 shown]
	v_mul_f32_e32 v147, v95, v115
	s_waitcnt vmcnt(20)
	v_mul_f32_e32 v148, v97, v116
	s_waitcnt vmcnt(16)
	v_fma_f32 v75, v75, v120, -v105
	v_fmac_f32_e32 v137, v76, v120
	s_waitcnt vmcnt(15)
	v_fma_f32 v76, v77, v121, -v106
	v_add_f32_e32 v75, 0, v75
	s_waitcnt vmcnt(14)
	v_fma_f32 v77, v79, v122, -v107
	v_add_f32_e32 v75, v75, v76
	v_add_f32_e32 v75, v75, v77
	v_mul_f32_e32 v77, v82, v108
	s_waitcnt vmcnt(13)
	v_fma_f32 v77, v81, v123, -v77
	v_add_f32_e32 v75, v75, v77
	v_mul_f32_e32 v77, v84, v109
	s_waitcnt vmcnt(12)
	v_fma_f32 v77, v83, v124, -v77
	;; [unrolled: 4-line block ×5, first 2 shown]
	v_add_f32_e32 v75, v75, v77
	v_mul_f32_e32 v77, v92, v113
	v_fmac_f32_e32 v138, v78, v121
	v_add_f32_e32 v78, 0, v137
	s_waitcnt vmcnt(8)
	v_fma_f32 v77, v91, v128, -v77
	v_fmac_f32_e32 v139, v80, v122
	v_add_f32_e32 v78, v78, v138
	v_add_f32_e32 v75, v75, v77
	v_mul_f32_e32 v77, v94, v114
	v_fmac_f32_e32 v140, v82, v123
	v_add_f32_e32 v76, v78, v139
	s_waitcnt vmcnt(7)
	v_fma_f32 v77, v93, v129, -v77
	v_fmac_f32_e32 v141, v84, v124
	v_add_f32_e32 v76, v76, v140
	;; [unrolled: 8-line block ×4, first 2 shown]
	v_add_f32_e32 v75, v75, v77
	s_waitcnt lgkmcnt(1)
	v_mul_f32_e32 v77, v100, v117
	v_fmac_f32_e32 v146, v94, v129
	v_add_f32_e32 v76, v76, v145
	s_waitcnt vmcnt(4)
	v_fma_f32 v77, v99, v132, -v77
	v_fmac_f32_e32 v147, v96, v130
	v_add_f32_e32 v76, v76, v146
	v_add_f32_e32 v75, v75, v77
	v_mul_f32_e32 v77, v102, v118
	v_mul_f32_e32 v149, v99, v117
	v_fmac_f32_e32 v148, v98, v131
	v_add_f32_e32 v76, v76, v147
	s_waitcnt vmcnt(3)
	v_fma_f32 v77, v101, v133, -v77
	v_mul_f32_e32 v150, v101, v118
	v_fmac_f32_e32 v149, v100, v132
	v_add_f32_e32 v76, v76, v148
	v_add_f32_e32 v75, v75, v77
	s_waitcnt lgkmcnt(0)
	v_mul_f32_e32 v77, v104, v119
	v_mul_f32_e32 v151, v103, v119
	v_fmac_f32_e32 v150, v102, v133
	v_add_f32_e32 v76, v76, v149
	s_waitcnt vmcnt(2)
	v_fma_f32 v77, v103, v134, -v77
	v_fmac_f32_e32 v151, v104, v134
	v_add_f32_e32 v76, v76, v150
	v_add_f32_e32 v75, v75, v77
	;; [unrolled: 1-line block ×3, first 2 shown]
	s_waitcnt vmcnt(1)
	v_sub_f32_e32 v75, v135, v75
	s_waitcnt vmcnt(0)
	v_sub_f32_e32 v76, v136, v76
	buffer_store_dword v75, off, s[0:3], 0 offset:160
	buffer_store_dword v76, off, s[0:3], 0 offset:164
	s_and_saveexec_b64 s[4:5], vcc
	s_cbranch_execz .LBB99_191
; %bb.190:
	buffer_load_dword v75, off, s[0:3], 0 offset:152
	buffer_load_dword v76, off, s[0:3], 0 offset:156
	s_waitcnt vmcnt(0)
	ds_write_b64 v73, v[75:76]
	buffer_store_dword v74, off, s[0:3], 0 offset:152
	buffer_store_dword v74, off, s[0:3], 0 offset:156
.LBB99_191:
	s_or_b64 exec, exec, s[4:5]
	s_waitcnt lgkmcnt(0)
	; wave barrier
	buffer_load_dword v107, off, s[0:3], 0 offset:164
	buffer_load_dword v108, off, s[0:3], 0 offset:172
	;; [unrolled: 1-line block ×34, first 2 shown]
	ds_read_b128 v[75:78], v74 offset:448
	ds_read_b128 v[79:82], v74 offset:464
	ds_read_b128 v[83:86], v74 offset:480
	ds_read_b128 v[87:90], v74 offset:496
	ds_read_b128 v[91:94], v74 offset:512
	ds_read_b128 v[95:98], v74 offset:528
	ds_read_b128 v[99:102], v74 offset:544
	ds_read_b128 v[103:106], v74 offset:560
	v_cmp_lt_u32_e32 vcc, 18, v0
	s_waitcnt vmcnt(33) lgkmcnt(7)
	v_mul_f32_e32 v74, v75, v107
	v_mul_f32_e32 v107, v76, v107
	s_waitcnt vmcnt(32)
	v_mul_f32_e32 v141, v77, v108
	v_mul_f32_e32 v108, v78, v108
	s_waitcnt vmcnt(31) lgkmcnt(6)
	v_mul_f32_e32 v142, v79, v109
	s_waitcnt vmcnt(30)
	v_mul_f32_e32 v143, v81, v110
	s_waitcnt vmcnt(29) lgkmcnt(5)
	v_mul_f32_e32 v144, v83, v111
	s_waitcnt vmcnt(28)
	;; [unrolled: 4-line block ×6, first 2 shown]
	v_mul_f32_e32 v153, v101, v120
	s_waitcnt vmcnt(17)
	v_fma_f32 v75, v75, v123, -v107
	v_fmac_f32_e32 v74, v76, v123
	s_waitcnt vmcnt(16)
	v_fma_f32 v76, v77, v124, -v108
	v_add_f32_e32 v75, 0, v75
	v_add_f32_e32 v75, v75, v76
	v_mul_f32_e32 v76, v80, v109
	s_waitcnt vmcnt(15)
	v_fma_f32 v76, v79, v125, -v76
	v_add_f32_e32 v75, v75, v76
	v_mul_f32_e32 v76, v82, v110
	s_waitcnt vmcnt(14)
	v_fma_f32 v76, v81, v126, -v76
	;; [unrolled: 4-line block ×7, first 2 shown]
	v_fmac_f32_e32 v141, v78, v124
	v_add_f32_e32 v74, 0, v74
	v_add_f32_e32 v75, v75, v76
	v_mul_f32_e32 v76, v94, v116
	v_fmac_f32_e32 v142, v80, v125
	v_add_f32_e32 v74, v74, v141
	s_waitcnt vmcnt(8)
	v_fma_f32 v76, v93, v132, -v76
	v_fmac_f32_e32 v143, v82, v126
	v_add_f32_e32 v74, v74, v142
	v_add_f32_e32 v75, v75, v76
	v_mul_f32_e32 v76, v96, v117
	v_fmac_f32_e32 v144, v84, v127
	v_add_f32_e32 v74, v74, v143
	s_waitcnt vmcnt(7)
	v_fma_f32 v76, v95, v133, -v76
	v_fmac_f32_e32 v145, v86, v128
	v_add_f32_e32 v74, v74, v144
	v_add_f32_e32 v75, v75, v76
	v_mul_f32_e32 v76, v98, v118
	v_fmac_f32_e32 v146, v88, v129
	v_add_f32_e32 v74, v74, v145
	s_waitcnt vmcnt(6)
	v_fma_f32 v76, v97, v134, -v76
	v_fmac_f32_e32 v147, v90, v130
	v_add_f32_e32 v74, v74, v146
	v_add_f32_e32 v75, v75, v76
	v_mul_f32_e32 v76, v100, v119
	v_fmac_f32_e32 v148, v92, v131
	v_add_f32_e32 v74, v74, v147
	s_waitcnt vmcnt(5)
	v_fma_f32 v76, v99, v135, -v76
	v_fmac_f32_e32 v149, v94, v132
	v_add_f32_e32 v74, v74, v148
	v_add_f32_e32 v75, v75, v76
	v_mul_f32_e32 v76, v102, v120
	v_fmac_f32_e32 v150, v96, v133
	v_add_f32_e32 v74, v74, v149
	s_waitcnt vmcnt(4)
	v_fma_f32 v76, v101, v136, -v76
	v_fmac_f32_e32 v151, v98, v134
	v_add_f32_e32 v74, v74, v150
	v_add_f32_e32 v75, v75, v76
	s_waitcnt lgkmcnt(0)
	v_mul_f32_e32 v76, v104, v121
	v_fmac_f32_e32 v152, v100, v135
	v_add_f32_e32 v74, v74, v151
	s_waitcnt vmcnt(3)
	v_fma_f32 v76, v103, v137, -v76
	v_mul_f32_e32 v154, v103, v121
	v_fmac_f32_e32 v153, v102, v136
	v_add_f32_e32 v74, v74, v152
	v_add_f32_e32 v75, v75, v76
	v_mul_f32_e32 v76, v106, v122
	v_mul_f32_e32 v155, v105, v122
	v_fmac_f32_e32 v154, v104, v137
	v_add_f32_e32 v74, v74, v153
	s_waitcnt vmcnt(2)
	v_fma_f32 v76, v105, v138, -v76
	v_fmac_f32_e32 v155, v106, v138
	v_add_f32_e32 v74, v74, v154
	v_add_f32_e32 v75, v75, v76
	;; [unrolled: 1-line block ×3, first 2 shown]
	s_waitcnt vmcnt(1)
	v_sub_f32_e32 v75, v139, v75
	s_waitcnt vmcnt(0)
	v_sub_f32_e32 v74, v140, v74
	buffer_store_dword v75, off, s[0:3], 0 offset:152
	buffer_store_dword v74, off, s[0:3], 0 offset:156
	s_and_saveexec_b64 s[4:5], vcc
	s_cbranch_execz .LBB99_193
; %bb.192:
	buffer_load_dword v74, off, s[0:3], 0 offset:144
	buffer_load_dword v75, off, s[0:3], 0 offset:148
	v_mov_b32_e32 v76, 0
	buffer_store_dword v76, off, s[0:3], 0 offset:144
	buffer_store_dword v76, off, s[0:3], 0 offset:148
	s_waitcnt vmcnt(2)
	ds_write_b64 v73, v[74:75]
.LBB99_193:
	s_or_b64 exec, exec, s[4:5]
	s_waitcnt lgkmcnt(0)
	; wave barrier
	buffer_load_dword v109, off, s[0:3], 0 offset:156
	buffer_load_dword v110, off, s[0:3], 0 offset:164
	;; [unrolled: 1-line block ×36, first 2 shown]
	v_mov_b32_e32 v74, 0
	ds_read2_b64 v[75:78], v74 offset0:55 offset1:56
	ds_read2_b64 v[79:82], v74 offset0:57 offset1:58
	;; [unrolled: 1-line block ×8, first 2 shown]
	ds_read_b64 v[107:108], v74 offset:568
	v_cmp_lt_u32_e32 vcc, 17, v0
	s_waitcnt vmcnt(35) lgkmcnt(8)
	v_mul_f32_e32 v145, v75, v109
	s_waitcnt vmcnt(34)
	v_mul_f32_e32 v146, v77, v110
	s_waitcnt vmcnt(33) lgkmcnt(7)
	v_mul_f32_e32 v147, v79, v111
	s_waitcnt vmcnt(32)
	v_mul_f32_e32 v148, v81, v112
	s_waitcnt vmcnt(31) lgkmcnt(6)
	v_mul_f32_e32 v149, v83, v113
	s_waitcnt vmcnt(30)
	v_mul_f32_e32 v150, v85, v114
	s_waitcnt vmcnt(29) lgkmcnt(5)
	v_mul_f32_e32 v151, v87, v115
	s_waitcnt vmcnt(28)
	v_mul_f32_e32 v152, v89, v116
	s_waitcnt vmcnt(27) lgkmcnt(4)
	v_mul_f32_e32 v153, v91, v117
	s_waitcnt vmcnt(26)
	v_mul_f32_e32 v154, v93, v118
	s_waitcnt vmcnt(25) lgkmcnt(3)
	v_mul_f32_e32 v155, v95, v119
	s_waitcnt vmcnt(24)
	v_mul_f32_e32 v156, v97, v120
	s_waitcnt vmcnt(23) lgkmcnt(2)
	v_mul_f32_e32 v157, v99, v121
	s_waitcnt vmcnt(22)
	v_mul_f32_e32 v158, v101, v122
	s_waitcnt vmcnt(21) lgkmcnt(1)
	v_mul_f32_e32 v159, v103, v123
	s_waitcnt vmcnt(20)
	v_mul_f32_e32 v160, v105, v124
	s_waitcnt vmcnt(19) lgkmcnt(0)
	v_mul_f32_e32 v161, v107, v125
	s_waitcnt vmcnt(18)
	v_fmac_f32_e32 v145, v76, v126
	v_mul_f32_e32 v76, v76, v109
	v_fma_f32 v75, v75, v126, -v76
	v_mul_f32_e32 v76, v78, v110
	v_add_f32_e32 v75, 0, v75
	s_waitcnt vmcnt(17)
	v_fma_f32 v76, v77, v127, -v76
	v_add_f32_e32 v75, v75, v76
	v_mul_f32_e32 v76, v80, v111
	s_waitcnt vmcnt(16)
	v_fma_f32 v76, v79, v128, -v76
	v_add_f32_e32 v75, v75, v76
	v_mul_f32_e32 v76, v82, v112
	;; [unrolled: 4-line block ×8, first 2 shown]
	v_fmac_f32_e32 v146, v78, v127
	v_add_f32_e32 v145, 0, v145
	s_waitcnt vmcnt(9)
	v_fma_f32 v76, v93, v135, -v76
	v_fmac_f32_e32 v147, v80, v128
	v_add_f32_e32 v145, v145, v146
	v_add_f32_e32 v75, v75, v76
	v_mul_f32_e32 v76, v96, v119
	v_fmac_f32_e32 v148, v82, v129
	v_add_f32_e32 v145, v145, v147
	s_waitcnt vmcnt(8)
	v_fma_f32 v76, v95, v136, -v76
	v_fmac_f32_e32 v149, v84, v130
	v_add_f32_e32 v145, v145, v148
	v_add_f32_e32 v75, v75, v76
	v_mul_f32_e32 v76, v98, v120
	;; [unrolled: 8-line block ×7, first 2 shown]
	v_fmac_f32_e32 v160, v106, v141
	v_add_f32_e32 v145, v145, v159
	s_waitcnt vmcnt(2)
	v_fma_f32 v76, v107, v142, -v76
	v_fmac_f32_e32 v161, v108, v142
	v_add_f32_e32 v145, v145, v160
	v_add_f32_e32 v75, v75, v76
	;; [unrolled: 1-line block ×3, first 2 shown]
	s_waitcnt vmcnt(1)
	v_sub_f32_e32 v75, v143, v75
	s_waitcnt vmcnt(0)
	v_sub_f32_e32 v76, v144, v145
	buffer_store_dword v75, off, s[0:3], 0 offset:144
	buffer_store_dword v76, off, s[0:3], 0 offset:148
	s_and_saveexec_b64 s[4:5], vcc
	s_cbranch_execz .LBB99_195
; %bb.194:
	buffer_load_dword v75, off, s[0:3], 0 offset:136
	buffer_load_dword v76, off, s[0:3], 0 offset:140
	s_waitcnt vmcnt(0)
	ds_write_b64 v73, v[75:76]
	buffer_store_dword v74, off, s[0:3], 0 offset:136
	buffer_store_dword v74, off, s[0:3], 0 offset:140
.LBB99_195:
	s_or_b64 exec, exec, s[4:5]
	s_waitcnt lgkmcnt(0)
	; wave barrier
	buffer_load_dword v111, off, s[0:3], 0 offset:148
	buffer_load_dword v112, off, s[0:3], 0 offset:156
	;; [unrolled: 1-line block ×38, first 2 shown]
	ds_read_b128 v[75:78], v74 offset:432
	ds_read_b128 v[79:82], v74 offset:448
	;; [unrolled: 1-line block ×9, first 2 shown]
	v_cmp_lt_u32_e32 vcc, 16, v0
	s_waitcnt vmcnt(37) lgkmcnt(8)
	v_mul_f32_e32 v74, v75, v111
	s_waitcnt vmcnt(36)
	v_mul_f32_e32 v149, v77, v112
	s_waitcnt vmcnt(35) lgkmcnt(7)
	v_mul_f32_e32 v150, v79, v113
	s_waitcnt vmcnt(34)
	v_mul_f32_e32 v151, v81, v114
	;; [unrolled: 4-line block ×8, first 2 shown]
	s_waitcnt vmcnt(21) lgkmcnt(0)
	v_mul_f32_e32 v164, v107, v127
	s_waitcnt vmcnt(20)
	v_fmac_f32_e32 v74, v76, v128
	v_mul_f32_e32 v76, v76, v111
	v_fma_f32 v75, v75, v128, -v76
	v_mul_f32_e32 v76, v78, v112
	v_add_f32_e32 v75, 0, v75
	s_waitcnt vmcnt(19)
	v_fma_f32 v76, v77, v129, -v76
	v_add_f32_e32 v75, v75, v76
	v_mul_f32_e32 v76, v80, v113
	s_waitcnt vmcnt(18)
	v_fma_f32 v76, v79, v130, -v76
	v_add_f32_e32 v75, v75, v76
	v_mul_f32_e32 v76, v82, v114
	;; [unrolled: 4-line block ×8, first 2 shown]
	s_waitcnt vmcnt(11)
	v_fma_f32 v76, v93, v137, -v76
	v_fmac_f32_e32 v149, v78, v129
	v_add_f32_e32 v74, 0, v74
	v_add_f32_e32 v75, v75, v76
	v_mul_f32_e32 v76, v96, v121
	v_fmac_f32_e32 v150, v80, v130
	v_add_f32_e32 v74, v74, v149
	s_waitcnt vmcnt(10)
	v_fma_f32 v76, v95, v138, -v76
	v_fmac_f32_e32 v151, v82, v131
	v_add_f32_e32 v74, v74, v150
	v_add_f32_e32 v75, v75, v76
	v_mul_f32_e32 v76, v98, v122
	v_fmac_f32_e32 v152, v84, v132
	v_add_f32_e32 v74, v74, v151
	;; [unrolled: 8-line block ×7, first 2 shown]
	s_waitcnt vmcnt(4)
	v_fma_f32 v76, v107, v144, -v76
	v_fmac_f32_e32 v163, v106, v143
	v_add_f32_e32 v74, v74, v162
	v_add_f32_e32 v75, v75, v76
	s_waitcnt vmcnt(3)
	v_mul_f32_e32 v76, v110, v145
	v_add_f32_e32 v74, v74, v163
	v_fmac_f32_e32 v164, v108, v144
	v_mul_f32_e32 v149, v109, v145
	s_waitcnt vmcnt(2)
	v_fma_f32 v76, v109, v146, -v76
	v_add_f32_e32 v74, v74, v164
	v_fmac_f32_e32 v149, v110, v146
	v_add_f32_e32 v75, v75, v76
	v_add_f32_e32 v74, v74, v149
	s_waitcnt vmcnt(1)
	v_sub_f32_e32 v75, v147, v75
	s_waitcnt vmcnt(0)
	v_sub_f32_e32 v74, v148, v74
	buffer_store_dword v75, off, s[0:3], 0 offset:136
	buffer_store_dword v74, off, s[0:3], 0 offset:140
	s_and_saveexec_b64 s[4:5], vcc
	s_cbranch_execz .LBB99_197
; %bb.196:
	buffer_load_dword v74, off, s[0:3], 0 offset:128
	buffer_load_dword v75, off, s[0:3], 0 offset:132
	v_mov_b32_e32 v76, 0
	buffer_store_dword v76, off, s[0:3], 0 offset:128
	buffer_store_dword v76, off, s[0:3], 0 offset:132
	s_waitcnt vmcnt(2)
	ds_write_b64 v73, v[74:75]
.LBB99_197:
	s_or_b64 exec, exec, s[4:5]
	s_waitcnt lgkmcnt(0)
	; wave barrier
	buffer_load_dword v113, off, s[0:3], 0 offset:140
	buffer_load_dword v114, off, s[0:3], 0 offset:148
	;; [unrolled: 1-line block ×40, first 2 shown]
	v_mov_b32_e32 v74, 0
	ds_read2_b64 v[75:78], v74 offset0:53 offset1:54
	ds_read2_b64 v[79:82], v74 offset0:55 offset1:56
	;; [unrolled: 1-line block ×9, first 2 shown]
	v_cmp_lt_u32_e32 vcc, 15, v0
	s_waitcnt vmcnt(39) lgkmcnt(8)
	v_mul_f32_e32 v111, v75, v113
	s_waitcnt vmcnt(38)
	v_mul_f32_e32 v112, v77, v114
	s_waitcnt vmcnt(37) lgkmcnt(7)
	v_mul_f32_e32 v153, v79, v115
	s_waitcnt vmcnt(36)
	v_mul_f32_e32 v154, v81, v116
	;; [unrolled: 4-line block ×7, first 2 shown]
	s_waitcnt vmcnt(25) lgkmcnt(1)
	v_mul_f32_e32 v165, v103, v127
	s_waitcnt vmcnt(24)
	v_fmac_f32_e32 v111, v76, v128
	v_mul_f32_e32 v76, v76, v113
	v_fma_f32 v75, v75, v128, -v76
	v_mul_f32_e32 v76, v78, v114
	v_add_f32_e32 v75, 0, v75
	s_waitcnt vmcnt(23)
	v_fma_f32 v76, v77, v129, -v76
	v_add_f32_e32 v75, v75, v76
	v_mul_f32_e32 v76, v80, v115
	s_waitcnt vmcnt(22)
	v_fma_f32 v76, v79, v130, -v76
	v_add_f32_e32 v75, v75, v76
	v_mul_f32_e32 v76, v82, v116
	;; [unrolled: 4-line block ×6, first 2 shown]
	s_waitcnt vmcnt(17)
	v_fma_f32 v76, v89, v135, -v76
	v_fmac_f32_e32 v112, v78, v129
	v_add_f32_e32 v111, 0, v111
	v_add_f32_e32 v75, v75, v76
	v_mul_f32_e32 v76, v92, v121
	v_fmac_f32_e32 v153, v80, v130
	v_add_f32_e32 v111, v111, v112
	s_waitcnt vmcnt(16)
	v_fma_f32 v76, v91, v136, -v76
	v_fmac_f32_e32 v154, v82, v131
	v_add_f32_e32 v111, v111, v153
	v_add_f32_e32 v75, v75, v76
	v_mul_f32_e32 v76, v94, v122
	v_fmac_f32_e32 v155, v84, v132
	v_add_f32_e32 v111, v111, v154
	;; [unrolled: 8-line block ×6, first 2 shown]
	s_waitcnt vmcnt(11)
	v_fma_f32 v76, v101, v141, -v76
	v_fmac_f32_e32 v164, v102, v141
	v_add_f32_e32 v111, v111, v163
	v_add_f32_e32 v75, v75, v76
	v_mul_f32_e32 v76, v104, v127
	s_waitcnt vmcnt(10)
	v_fmac_f32_e32 v165, v104, v142
	v_add_f32_e32 v111, v111, v164
	s_waitcnt vmcnt(9)
	v_mul_f32_e32 v112, v105, v143
	v_fma_f32 v76, v103, v142, -v76
	v_add_f32_e32 v111, v111, v165
	s_waitcnt vmcnt(8)
	v_fmac_f32_e32 v112, v106, v144
	v_add_f32_e32 v75, v75, v76
	v_mul_f32_e32 v76, v106, v143
	v_add_f32_e32 v153, v111, v112
	ds_read_b64 v[111:112], v74 offset:568
	v_fma_f32 v76, v105, v144, -v76
	v_add_f32_e32 v75, v75, v76
	s_waitcnt vmcnt(7) lgkmcnt(1)
	v_mul_f32_e32 v76, v108, v145
	v_mul_f32_e32 v154, v107, v145
	s_waitcnt vmcnt(6)
	v_fma_f32 v76, v107, v146, -v76
	v_fmac_f32_e32 v154, v108, v146
	v_add_f32_e32 v75, v75, v76
	s_waitcnt vmcnt(5)
	v_mul_f32_e32 v76, v110, v147
	v_add_f32_e32 v153, v153, v154
	v_mul_f32_e32 v154, v109, v147
	s_waitcnt vmcnt(4)
	v_fma_f32 v76, v109, v148, -v76
	v_fmac_f32_e32 v154, v110, v148
	v_add_f32_e32 v75, v75, v76
	s_waitcnt vmcnt(3) lgkmcnt(0)
	v_mul_f32_e32 v76, v112, v149
	v_add_f32_e32 v153, v153, v154
	v_mul_f32_e32 v154, v111, v149
	s_waitcnt vmcnt(2)
	v_fma_f32 v76, v111, v150, -v76
	v_fmac_f32_e32 v154, v112, v150
	v_add_f32_e32 v75, v75, v76
	v_add_f32_e32 v153, v153, v154
	s_waitcnt vmcnt(1)
	v_sub_f32_e32 v75, v151, v75
	s_waitcnt vmcnt(0)
	v_sub_f32_e32 v76, v152, v153
	buffer_store_dword v75, off, s[0:3], 0 offset:128
	buffer_store_dword v76, off, s[0:3], 0 offset:132
	s_and_saveexec_b64 s[4:5], vcc
	s_cbranch_execz .LBB99_199
; %bb.198:
	buffer_load_dword v75, off, s[0:3], 0 offset:120
	buffer_load_dword v76, off, s[0:3], 0 offset:124
	s_waitcnt vmcnt(0)
	ds_write_b64 v73, v[75:76]
	buffer_store_dword v74, off, s[0:3], 0 offset:120
	buffer_store_dword v74, off, s[0:3], 0 offset:124
.LBB99_199:
	s_or_b64 exec, exec, s[4:5]
	s_waitcnt lgkmcnt(0)
	; wave barrier
	buffer_load_dword v115, off, s[0:3], 0 offset:132
	buffer_load_dword v116, off, s[0:3], 0 offset:140
	;; [unrolled: 1-line block ×42, first 2 shown]
	ds_read_b128 v[75:78], v74 offset:416
	ds_read_b128 v[79:82], v74 offset:432
	;; [unrolled: 1-line block ×8, first 2 shown]
	v_cmp_lt_u32_e32 vcc, 14, v0
	s_waitcnt vmcnt(41) lgkmcnt(7)
	v_mul_f32_e32 v107, v75, v115
	s_waitcnt vmcnt(40)
	v_mul_f32_e32 v108, v77, v116
	s_waitcnt vmcnt(39) lgkmcnt(6)
	v_mul_f32_e32 v109, v79, v117
	s_waitcnt vmcnt(38)
	v_mul_f32_e32 v110, v81, v118
	;; [unrolled: 4-line block ×7, first 2 shown]
	s_waitcnt vmcnt(27) lgkmcnt(0)
	v_mul_f32_e32 v163, v103, v129
	s_waitcnt vmcnt(26)
	v_fmac_f32_e32 v107, v76, v130
	v_mul_f32_e32 v76, v76, v115
	v_fma_f32 v75, v75, v130, -v76
	v_mul_f32_e32 v76, v78, v116
	v_add_f32_e32 v75, 0, v75
	s_waitcnt vmcnt(25)
	v_fma_f32 v76, v77, v131, -v76
	v_add_f32_e32 v75, v75, v76
	v_mul_f32_e32 v76, v80, v117
	s_waitcnt vmcnt(24)
	v_fma_f32 v76, v79, v132, -v76
	v_add_f32_e32 v75, v75, v76
	v_mul_f32_e32 v76, v82, v118
	s_waitcnt vmcnt(23)
	v_fma_f32 v76, v81, v133, -v76
	v_add_f32_e32 v75, v75, v76
	v_mul_f32_e32 v76, v84, v119
	s_waitcnt vmcnt(22)
	v_fma_f32 v76, v83, v134, -v76
	v_add_f32_e32 v75, v75, v76
	v_mul_f32_e32 v76, v86, v120
	s_waitcnt vmcnt(21)
	v_fma_f32 v76, v85, v135, -v76
	v_add_f32_e32 v75, v75, v76
	v_mul_f32_e32 v76, v88, v121
	v_fmac_f32_e32 v108, v78, v131
	v_add_f32_e32 v107, 0, v107
	s_waitcnt vmcnt(20)
	v_fma_f32 v76, v87, v136, -v76
	v_fmac_f32_e32 v109, v80, v132
	v_add_f32_e32 v107, v107, v108
	v_add_f32_e32 v75, v75, v76
	v_mul_f32_e32 v76, v90, v122
	v_fmac_f32_e32 v110, v82, v133
	v_add_f32_e32 v107, v107, v109
	s_waitcnt vmcnt(19)
	v_fma_f32 v76, v89, v137, -v76
	v_fmac_f32_e32 v111, v84, v134
	v_add_f32_e32 v107, v107, v110
	v_add_f32_e32 v75, v75, v76
	v_mul_f32_e32 v76, v92, v123
	;; [unrolled: 8-line block ×5, first 2 shown]
	s_waitcnt vmcnt(15)
	v_fmac_f32_e32 v160, v98, v141
	v_add_f32_e32 v107, v107, v159
	v_fma_f32 v76, v97, v141, -v76
	s_waitcnt vmcnt(14)
	v_fmac_f32_e32 v161, v100, v142
	v_add_f32_e32 v107, v107, v160
	v_add_f32_e32 v75, v75, v76
	v_mul_f32_e32 v76, v100, v127
	s_waitcnt vmcnt(13)
	v_fmac_f32_e32 v162, v102, v143
	v_add_f32_e32 v107, v107, v161
	v_fma_f32 v76, v99, v142, -v76
	s_waitcnt vmcnt(12)
	v_fmac_f32_e32 v163, v104, v144
	v_add_f32_e32 v107, v107, v162
	v_add_f32_e32 v75, v75, v76
	v_mul_f32_e32 v76, v102, v128
	v_add_f32_e32 v111, v107, v163
	ds_read_b128 v[107:110], v74 offset:544
	v_fma_f32 v76, v101, v143, -v76
	v_add_f32_e32 v75, v75, v76
	v_mul_f32_e32 v76, v104, v129
	s_waitcnt vmcnt(11)
	v_mul_f32_e32 v112, v105, v145
	v_fma_f32 v76, v103, v144, -v76
	s_waitcnt vmcnt(10)
	v_fmac_f32_e32 v112, v106, v146
	v_add_f32_e32 v75, v75, v76
	v_mul_f32_e32 v76, v106, v145
	v_add_f32_e32 v157, v111, v112
	ds_read_b128 v[111:114], v74 offset:560
	v_fma_f32 v76, v105, v146, -v76
	v_add_f32_e32 v75, v75, v76
	s_waitcnt vmcnt(9) lgkmcnt(1)
	v_mul_f32_e32 v76, v108, v147
	v_mul_f32_e32 v74, v107, v147
	s_waitcnt vmcnt(8)
	v_fma_f32 v76, v107, v148, -v76
	v_fmac_f32_e32 v74, v108, v148
	v_add_f32_e32 v75, v75, v76
	s_waitcnt vmcnt(7)
	v_mul_f32_e32 v76, v110, v149
	v_add_f32_e32 v74, v157, v74
	v_mul_f32_e32 v157, v109, v149
	s_waitcnt vmcnt(6)
	v_fma_f32 v76, v109, v150, -v76
	v_fmac_f32_e32 v157, v110, v150
	v_add_f32_e32 v75, v75, v76
	s_waitcnt vmcnt(5) lgkmcnt(0)
	v_mul_f32_e32 v76, v112, v151
	v_add_f32_e32 v74, v74, v157
	v_mul_f32_e32 v157, v111, v151
	s_waitcnt vmcnt(4)
	v_fma_f32 v76, v111, v152, -v76
	v_fmac_f32_e32 v157, v112, v152
	v_add_f32_e32 v75, v75, v76
	s_waitcnt vmcnt(3)
	v_mul_f32_e32 v76, v114, v153
	v_add_f32_e32 v74, v74, v157
	v_mul_f32_e32 v157, v113, v153
	s_waitcnt vmcnt(2)
	v_fma_f32 v76, v113, v154, -v76
	v_fmac_f32_e32 v157, v114, v154
	v_add_f32_e32 v75, v75, v76
	v_add_f32_e32 v74, v74, v157
	s_waitcnt vmcnt(1)
	v_sub_f32_e32 v75, v155, v75
	s_waitcnt vmcnt(0)
	v_sub_f32_e32 v74, v156, v74
	buffer_store_dword v75, off, s[0:3], 0 offset:120
	buffer_store_dword v74, off, s[0:3], 0 offset:124
	s_and_saveexec_b64 s[4:5], vcc
	s_cbranch_execz .LBB99_201
; %bb.200:
	buffer_load_dword v74, off, s[0:3], 0 offset:112
	buffer_load_dword v75, off, s[0:3], 0 offset:116
	v_mov_b32_e32 v76, 0
	buffer_store_dword v76, off, s[0:3], 0 offset:112
	buffer_store_dword v76, off, s[0:3], 0 offset:116
	s_waitcnt vmcnt(2)
	ds_write_b64 v73, v[74:75]
.LBB99_201:
	s_or_b64 exec, exec, s[4:5]
	s_waitcnt lgkmcnt(0)
	; wave barrier
	buffer_load_dword v117, off, s[0:3], 0 offset:124
	buffer_load_dword v118, off, s[0:3], 0 offset:132
	;; [unrolled: 1-line block ×44, first 2 shown]
	v_mov_b32_e32 v74, 0
	ds_read2_b64 v[75:78], v74 offset0:51 offset1:52
	ds_read2_b64 v[79:82], v74 offset0:53 offset1:54
	;; [unrolled: 1-line block ×8, first 2 shown]
	v_cmp_lt_u32_e32 vcc, 13, v0
	s_waitcnt vmcnt(43) lgkmcnt(7)
	v_mul_f32_e32 v107, v75, v117
	s_waitcnt vmcnt(42)
	v_mul_f32_e32 v108, v77, v118
	s_waitcnt vmcnt(41) lgkmcnt(6)
	v_mul_f32_e32 v109, v79, v119
	s_waitcnt vmcnt(40)
	v_mul_f32_e32 v110, v81, v120
	;; [unrolled: 4-line block ×7, first 2 shown]
	s_waitcnt vmcnt(29)
	v_fmac_f32_e32 v107, v76, v131
	v_mul_f32_e32 v76, v76, v117
	v_fma_f32 v75, v75, v131, -v76
	v_mul_f32_e32 v76, v78, v118
	v_add_f32_e32 v75, 0, v75
	s_waitcnt vmcnt(28)
	v_fma_f32 v76, v77, v132, -v76
	v_add_f32_e32 v75, v75, v76
	v_mul_f32_e32 v76, v80, v119
	s_waitcnt vmcnt(27)
	v_fma_f32 v76, v79, v133, -v76
	v_add_f32_e32 v75, v75, v76
	v_mul_f32_e32 v76, v82, v120
	;; [unrolled: 4-line block ×4, first 2 shown]
	s_waitcnt vmcnt(24)
	v_fma_f32 v76, v85, v136, -v76
	v_fmac_f32_e32 v108, v78, v132
	v_add_f32_e32 v107, 0, v107
	v_add_f32_e32 v75, v75, v76
	v_mul_f32_e32 v76, v88, v123
	v_fmac_f32_e32 v109, v80, v133
	v_add_f32_e32 v107, v107, v108
	s_waitcnt vmcnt(23)
	v_fma_f32 v76, v87, v137, -v76
	v_fmac_f32_e32 v110, v82, v134
	v_add_f32_e32 v107, v107, v109
	v_add_f32_e32 v75, v75, v76
	v_mul_f32_e32 v76, v90, v124
	v_fmac_f32_e32 v111, v84, v135
	v_add_f32_e32 v107, v107, v110
	;; [unrolled: 8-line block ×4, first 2 shown]
	s_waitcnt vmcnt(20)
	v_fma_f32 v76, v93, v140, -v76
	v_fmac_f32_e32 v116, v94, v140
	v_add_f32_e32 v107, v107, v115
	v_add_f32_e32 v75, v75, v76
	v_mul_f32_e32 v76, v96, v127
	s_waitcnt vmcnt(19)
	v_fmac_f32_e32 v161, v96, v141
	v_add_f32_e32 v107, v107, v116
	v_fma_f32 v76, v95, v141, -v76
	s_waitcnt vmcnt(18)
	v_fmac_f32_e32 v162, v98, v142
	v_add_f32_e32 v107, v107, v161
	v_add_f32_e32 v75, v75, v76
	v_mul_f32_e32 v76, v98, v128
	s_waitcnt vmcnt(17)
	v_fmac_f32_e32 v163, v100, v143
	v_add_f32_e32 v107, v107, v162
	v_fma_f32 v76, v97, v142, -v76
	v_add_f32_e32 v107, v107, v163
	s_waitcnt vmcnt(16)
	v_fmac_f32_e32 v164, v102, v144
	s_waitcnt vmcnt(15) lgkmcnt(0)
	v_mul_f32_e32 v108, v103, v145
	v_add_f32_e32 v75, v75, v76
	v_mul_f32_e32 v76, v100, v129
	v_add_f32_e32 v107, v107, v164
	s_waitcnt vmcnt(14)
	v_fmac_f32_e32 v108, v104, v146
	v_fma_f32 v76, v99, v143, -v76
	v_add_f32_e32 v111, v107, v108
	ds_read2_b64 v[107:110], v74 offset0:67 offset1:68
	v_add_f32_e32 v75, v75, v76
	v_mul_f32_e32 v76, v102, v130
	v_fma_f32 v76, v101, v144, -v76
	v_add_f32_e32 v75, v75, v76
	v_mul_f32_e32 v76, v104, v145
	s_waitcnt vmcnt(13)
	v_mul_f32_e32 v112, v105, v147
	v_fma_f32 v76, v103, v146, -v76
	s_waitcnt vmcnt(12)
	v_fmac_f32_e32 v112, v106, v148
	v_add_f32_e32 v75, v75, v76
	v_mul_f32_e32 v76, v106, v147
	v_add_f32_e32 v115, v111, v112
	ds_read2_b64 v[111:114], v74 offset0:69 offset1:70
	s_waitcnt vmcnt(11) lgkmcnt(1)
	v_mul_f32_e32 v116, v107, v149
	v_fma_f32 v76, v105, v148, -v76
	s_waitcnt vmcnt(10)
	v_fmac_f32_e32 v116, v108, v150
	v_add_f32_e32 v75, v75, v76
	v_mul_f32_e32 v76, v108, v149
	v_add_f32_e32 v115, v115, v116
	s_waitcnt vmcnt(9)
	v_mul_f32_e32 v116, v109, v151
	v_fma_f32 v76, v107, v150, -v76
	s_waitcnt vmcnt(8)
	v_fmac_f32_e32 v116, v110, v152
	v_add_f32_e32 v75, v75, v76
	v_mul_f32_e32 v76, v110, v151
	v_add_f32_e32 v161, v115, v116
	ds_read_b64 v[115:116], v74 offset:568
	v_fma_f32 v76, v109, v152, -v76
	v_add_f32_e32 v75, v75, v76
	s_waitcnt vmcnt(7) lgkmcnt(1)
	v_mul_f32_e32 v76, v112, v153
	v_mul_f32_e32 v162, v111, v153
	s_waitcnt vmcnt(6)
	v_fma_f32 v76, v111, v154, -v76
	v_fmac_f32_e32 v162, v112, v154
	v_add_f32_e32 v75, v75, v76
	s_waitcnt vmcnt(5)
	v_mul_f32_e32 v76, v114, v155
	v_add_f32_e32 v161, v161, v162
	v_mul_f32_e32 v162, v113, v155
	s_waitcnt vmcnt(4)
	v_fma_f32 v76, v113, v156, -v76
	v_fmac_f32_e32 v162, v114, v156
	v_add_f32_e32 v75, v75, v76
	s_waitcnt vmcnt(3) lgkmcnt(0)
	v_mul_f32_e32 v76, v116, v157
	v_add_f32_e32 v161, v161, v162
	v_mul_f32_e32 v162, v115, v157
	s_waitcnt vmcnt(2)
	v_fma_f32 v76, v115, v158, -v76
	v_fmac_f32_e32 v162, v116, v158
	v_add_f32_e32 v75, v75, v76
	v_add_f32_e32 v161, v161, v162
	s_waitcnt vmcnt(1)
	v_sub_f32_e32 v75, v159, v75
	s_waitcnt vmcnt(0)
	v_sub_f32_e32 v76, v160, v161
	buffer_store_dword v75, off, s[0:3], 0 offset:112
	buffer_store_dword v76, off, s[0:3], 0 offset:116
	s_and_saveexec_b64 s[4:5], vcc
	s_cbranch_execz .LBB99_203
; %bb.202:
	buffer_load_dword v75, off, s[0:3], 0 offset:104
	buffer_load_dword v76, off, s[0:3], 0 offset:108
	s_waitcnt vmcnt(0)
	ds_write_b64 v73, v[75:76]
	buffer_store_dword v74, off, s[0:3], 0 offset:104
	buffer_store_dword v74, off, s[0:3], 0 offset:108
.LBB99_203:
	s_or_b64 exec, exec, s[4:5]
	s_waitcnt lgkmcnt(0)
	; wave barrier
	buffer_load_dword v119, off, s[0:3], 0 offset:116
	buffer_load_dword v120, off, s[0:3], 0 offset:124
	;; [unrolled: 1-line block ×46, first 2 shown]
	ds_read_b128 v[75:78], v74 offset:400
	ds_read_b128 v[79:82], v74 offset:416
	;; [unrolled: 1-line block ×8, first 2 shown]
	v_cmp_lt_u32_e32 vcc, 12, v0
	s_waitcnt vmcnt(45) lgkmcnt(7)
	v_mul_f32_e32 v107, v75, v119
	s_waitcnt vmcnt(44)
	v_mul_f32_e32 v108, v77, v120
	s_waitcnt vmcnt(43) lgkmcnt(6)
	v_mul_f32_e32 v109, v79, v121
	s_waitcnt vmcnt(42)
	v_mul_f32_e32 v110, v81, v122
	;; [unrolled: 4-line block ×6, first 2 shown]
	s_waitcnt vmcnt(33) lgkmcnt(1)
	v_mul_f32_e32 v165, v99, v131
	s_waitcnt vmcnt(32)
	v_fmac_f32_e32 v107, v76, v132
	v_mul_f32_e32 v76, v76, v119
	v_fma_f32 v75, v75, v132, -v76
	v_mul_f32_e32 v76, v78, v120
	v_add_f32_e32 v75, 0, v75
	s_waitcnt vmcnt(31)
	v_fma_f32 v76, v77, v133, -v76
	v_add_f32_e32 v75, v75, v76
	v_mul_f32_e32 v76, v80, v121
	s_waitcnt vmcnt(30)
	v_fma_f32 v76, v79, v134, -v76
	v_add_f32_e32 v75, v75, v76
	v_mul_f32_e32 v76, v82, v122
	;; [unrolled: 4-line block ×4, first 2 shown]
	v_fmac_f32_e32 v108, v78, v133
	v_add_f32_e32 v107, 0, v107
	s_waitcnt vmcnt(27)
	v_fma_f32 v76, v85, v137, -v76
	v_fmac_f32_e32 v109, v80, v134
	v_add_f32_e32 v107, v107, v108
	v_add_f32_e32 v75, v75, v76
	v_mul_f32_e32 v76, v88, v125
	v_fmac_f32_e32 v110, v82, v135
	v_add_f32_e32 v107, v107, v109
	s_waitcnt vmcnt(26)
	v_fma_f32 v76, v87, v138, -v76
	v_fmac_f32_e32 v111, v84, v136
	v_add_f32_e32 v107, v107, v110
	v_add_f32_e32 v75, v75, v76
	v_mul_f32_e32 v76, v90, v126
	;; [unrolled: 8-line block ×4, first 2 shown]
	s_waitcnt vmcnt(23)
	v_fmac_f32_e32 v116, v94, v141
	v_add_f32_e32 v107, v107, v115
	v_fma_f32 v76, v93, v141, -v76
	s_waitcnt vmcnt(22)
	v_fmac_f32_e32 v117, v96, v142
	v_add_f32_e32 v107, v107, v116
	v_add_f32_e32 v75, v75, v76
	v_mul_f32_e32 v76, v96, v129
	s_waitcnt vmcnt(21)
	v_fmac_f32_e32 v118, v98, v143
	v_add_f32_e32 v107, v107, v117
	v_fma_f32 v76, v95, v142, -v76
	s_waitcnt vmcnt(20)
	v_fmac_f32_e32 v165, v100, v144
	v_add_f32_e32 v107, v107, v118
	s_waitcnt vmcnt(19)
	v_mul_f32_e32 v108, v101, v145
	v_add_f32_e32 v75, v75, v76
	v_mul_f32_e32 v76, v98, v130
	v_add_f32_e32 v107, v107, v165
	s_waitcnt vmcnt(18)
	v_fmac_f32_e32 v108, v102, v146
	v_fma_f32 v76, v97, v143, -v76
	v_add_f32_e32 v107, v107, v108
	s_waitcnt vmcnt(17) lgkmcnt(0)
	v_mul_f32_e32 v108, v103, v147
	v_add_f32_e32 v75, v75, v76
	v_mul_f32_e32 v76, v100, v131
	s_waitcnt vmcnt(16)
	v_fmac_f32_e32 v108, v104, v148
	v_fma_f32 v76, v99, v144, -v76
	v_add_f32_e32 v111, v107, v108
	ds_read_b128 v[107:110], v74 offset:528
	v_add_f32_e32 v75, v75, v76
	v_mul_f32_e32 v76, v102, v145
	v_fma_f32 v76, v101, v146, -v76
	v_add_f32_e32 v75, v75, v76
	v_mul_f32_e32 v76, v104, v147
	s_waitcnt vmcnt(15)
	v_mul_f32_e32 v112, v105, v149
	v_fma_f32 v76, v103, v148, -v76
	s_waitcnt vmcnt(14)
	v_fmac_f32_e32 v112, v106, v150
	v_add_f32_e32 v75, v75, v76
	v_mul_f32_e32 v76, v106, v149
	v_add_f32_e32 v115, v111, v112
	ds_read_b128 v[111:114], v74 offset:544
	s_waitcnt vmcnt(13) lgkmcnt(1)
	v_mul_f32_e32 v116, v107, v151
	v_fma_f32 v76, v105, v150, -v76
	s_waitcnt vmcnt(12)
	v_fmac_f32_e32 v116, v108, v152
	v_add_f32_e32 v75, v75, v76
	v_mul_f32_e32 v76, v108, v151
	v_add_f32_e32 v115, v115, v116
	s_waitcnt vmcnt(11)
	v_mul_f32_e32 v116, v109, v153
	v_fma_f32 v76, v107, v152, -v76
	s_waitcnt vmcnt(10)
	v_fmac_f32_e32 v116, v110, v154
	v_add_f32_e32 v75, v75, v76
	v_mul_f32_e32 v76, v110, v153
	v_add_f32_e32 v165, v115, v116
	ds_read_b128 v[115:118], v74 offset:560
	v_fma_f32 v76, v109, v154, -v76
	v_add_f32_e32 v75, v75, v76
	s_waitcnt vmcnt(9) lgkmcnt(1)
	v_mul_f32_e32 v76, v112, v155
	v_mul_f32_e32 v166, v111, v155
	s_waitcnt vmcnt(8)
	v_fma_f32 v76, v111, v156, -v76
	v_fmac_f32_e32 v166, v112, v156
	v_add_f32_e32 v75, v75, v76
	s_waitcnt vmcnt(7)
	v_mul_f32_e32 v76, v114, v157
	v_add_f32_e32 v74, v165, v166
	v_mul_f32_e32 v165, v113, v157
	s_waitcnt vmcnt(6)
	v_fma_f32 v76, v113, v158, -v76
	v_fmac_f32_e32 v165, v114, v158
	v_add_f32_e32 v75, v75, v76
	s_waitcnt vmcnt(5) lgkmcnt(0)
	v_mul_f32_e32 v76, v116, v159
	v_add_f32_e32 v74, v74, v165
	v_mul_f32_e32 v165, v115, v159
	s_waitcnt vmcnt(4)
	v_fma_f32 v76, v115, v160, -v76
	v_fmac_f32_e32 v165, v116, v160
	v_add_f32_e32 v75, v75, v76
	s_waitcnt vmcnt(3)
	v_mul_f32_e32 v76, v118, v161
	v_add_f32_e32 v74, v74, v165
	v_mul_f32_e32 v165, v117, v161
	s_waitcnt vmcnt(2)
	v_fma_f32 v76, v117, v162, -v76
	v_fmac_f32_e32 v165, v118, v162
	v_add_f32_e32 v75, v75, v76
	v_add_f32_e32 v74, v74, v165
	s_waitcnt vmcnt(1)
	v_sub_f32_e32 v75, v163, v75
	s_waitcnt vmcnt(0)
	v_sub_f32_e32 v74, v164, v74
	buffer_store_dword v75, off, s[0:3], 0 offset:104
	buffer_store_dword v74, off, s[0:3], 0 offset:108
	s_and_saveexec_b64 s[4:5], vcc
	s_cbranch_execz .LBB99_205
; %bb.204:
	buffer_load_dword v74, off, s[0:3], 0 offset:96
	buffer_load_dword v75, off, s[0:3], 0 offset:100
	v_mov_b32_e32 v76, 0
	buffer_store_dword v76, off, s[0:3], 0 offset:96
	buffer_store_dword v76, off, s[0:3], 0 offset:100
	s_waitcnt vmcnt(2)
	ds_write_b64 v73, v[74:75]
.LBB99_205:
	s_or_b64 exec, exec, s[4:5]
	s_waitcnt lgkmcnt(0)
	; wave barrier
	buffer_load_dword v121, off, s[0:3], 0 offset:108
	buffer_load_dword v122, off, s[0:3], 0 offset:116
	;; [unrolled: 1-line block ×48, first 2 shown]
	v_mov_b32_e32 v74, 0
	ds_read2_b64 v[75:78], v74 offset0:49 offset1:50
	ds_read2_b64 v[79:82], v74 offset0:51 offset1:52
	;; [unrolled: 1-line block ×7, first 2 shown]
	v_cmp_lt_u32_e32 vcc, 11, v0
	s_waitcnt vmcnt(47) lgkmcnt(6)
	v_mul_f32_e32 v103, v75, v121
	s_waitcnt vmcnt(46)
	v_mul_f32_e32 v104, v77, v122
	s_waitcnt vmcnt(45) lgkmcnt(5)
	v_mul_f32_e32 v105, v79, v123
	s_waitcnt vmcnt(44)
	v_mul_f32_e32 v106, v81, v124
	;; [unrolled: 4-line block ×6, first 2 shown]
	s_waitcnt vmcnt(35)
	v_fmac_f32_e32 v103, v76, v133
	v_mul_f32_e32 v76, v76, v121
	v_fma_f32 v75, v75, v133, -v76
	v_mul_f32_e32 v76, v78, v122
	v_add_f32_e32 v75, 0, v75
	s_waitcnt vmcnt(34)
	v_fma_f32 v76, v77, v134, -v76
	v_add_f32_e32 v75, v75, v76
	v_mul_f32_e32 v76, v80, v123
	s_waitcnt vmcnt(33)
	v_fma_f32 v76, v79, v135, -v76
	v_fmac_f32_e32 v104, v78, v134
	v_add_f32_e32 v103, 0, v103
	v_add_f32_e32 v75, v75, v76
	v_mul_f32_e32 v76, v82, v124
	v_fmac_f32_e32 v105, v80, v135
	v_add_f32_e32 v103, v103, v104
	s_waitcnt vmcnt(32)
	v_fma_f32 v76, v81, v136, -v76
	v_fmac_f32_e32 v106, v82, v136
	v_add_f32_e32 v103, v103, v105
	v_add_f32_e32 v75, v75, v76
	v_mul_f32_e32 v76, v84, v125
	s_waitcnt vmcnt(31)
	v_fmac_f32_e32 v107, v84, v137
	v_add_f32_e32 v103, v103, v106
	v_fma_f32 v76, v83, v137, -v76
	s_waitcnt vmcnt(30)
	v_fmac_f32_e32 v108, v86, v138
	v_add_f32_e32 v103, v103, v107
	v_add_f32_e32 v75, v75, v76
	v_mul_f32_e32 v76, v86, v126
	s_waitcnt vmcnt(29)
	v_fmac_f32_e32 v109, v88, v139
	v_add_f32_e32 v103, v103, v108
	v_fma_f32 v76, v85, v138, -v76
	s_waitcnt vmcnt(28)
	;; [unrolled: 9-line block ×4, first 2 shown]
	v_fmac_f32_e32 v114, v98, v144
	v_add_f32_e32 v103, v103, v113
	v_add_f32_e32 v75, v75, v76
	v_mul_f32_e32 v76, v92, v129
	v_add_f32_e32 v107, v103, v114
	ds_read2_b64 v[103:106], v74 offset0:63 offset1:64
	v_fma_f32 v76, v91, v141, -v76
	s_waitcnt vmcnt(23) lgkmcnt(1)
	v_mul_f32_e32 v108, v99, v145
	v_add_f32_e32 v75, v75, v76
	v_mul_f32_e32 v76, v94, v130
	s_waitcnt vmcnt(22)
	v_fmac_f32_e32 v108, v100, v146
	v_fma_f32 v76, v93, v142, -v76
	v_add_f32_e32 v107, v107, v108
	s_waitcnt vmcnt(21)
	v_mul_f32_e32 v108, v101, v147
	v_add_f32_e32 v75, v75, v76
	v_mul_f32_e32 v76, v96, v131
	s_waitcnt vmcnt(20)
	v_fmac_f32_e32 v108, v102, v148
	v_fma_f32 v76, v95, v143, -v76
	v_add_f32_e32 v107, v107, v108
	s_waitcnt vmcnt(19) lgkmcnt(0)
	v_mul_f32_e32 v108, v103, v149
	v_add_f32_e32 v75, v75, v76
	v_mul_f32_e32 v76, v98, v132
	s_waitcnt vmcnt(18)
	v_fmac_f32_e32 v108, v104, v150
	v_fma_f32 v76, v97, v144, -v76
	v_add_f32_e32 v111, v107, v108
	ds_read2_b64 v[107:110], v74 offset0:65 offset1:66
	v_add_f32_e32 v75, v75, v76
	v_mul_f32_e32 v76, v100, v145
	v_fma_f32 v76, v99, v146, -v76
	s_waitcnt vmcnt(17)
	v_mul_f32_e32 v112, v105, v151
	v_add_f32_e32 v75, v75, v76
	v_mul_f32_e32 v76, v102, v147
	s_waitcnt vmcnt(16)
	v_fmac_f32_e32 v112, v106, v152
	v_fma_f32 v76, v101, v148, -v76
	v_add_f32_e32 v115, v111, v112
	ds_read2_b64 v[111:114], v74 offset0:67 offset1:68
	v_add_f32_e32 v75, v75, v76
	v_mul_f32_e32 v76, v104, v149
	s_waitcnt vmcnt(15) lgkmcnt(1)
	v_mul_f32_e32 v116, v107, v153
	v_fma_f32 v76, v103, v150, -v76
	s_waitcnt vmcnt(14)
	v_fmac_f32_e32 v116, v108, v154
	v_add_f32_e32 v75, v75, v76
	v_mul_f32_e32 v76, v106, v151
	v_add_f32_e32 v115, v115, v116
	s_waitcnt vmcnt(13)
	v_mul_f32_e32 v116, v109, v155
	v_fma_f32 v76, v105, v152, -v76
	s_waitcnt vmcnt(12)
	v_fmac_f32_e32 v116, v110, v156
	v_add_f32_e32 v75, v75, v76
	v_mul_f32_e32 v76, v108, v153
	v_add_f32_e32 v115, v115, v116
	s_waitcnt vmcnt(11) lgkmcnt(0)
	v_mul_f32_e32 v116, v111, v157
	v_fma_f32 v76, v107, v154, -v76
	s_waitcnt vmcnt(10)
	v_fmac_f32_e32 v116, v112, v158
	v_add_f32_e32 v75, v75, v76
	v_mul_f32_e32 v76, v110, v155
	v_add_f32_e32 v119, v115, v116
	ds_read2_b64 v[115:118], v74 offset0:69 offset1:70
	v_fma_f32 v76, v109, v156, -v76
	v_add_f32_e32 v75, v75, v76
	v_mul_f32_e32 v76, v112, v157
	s_waitcnt vmcnt(9)
	v_mul_f32_e32 v120, v113, v159
	v_fma_f32 v76, v111, v158, -v76
	s_waitcnt vmcnt(8)
	v_fmac_f32_e32 v120, v114, v160
	v_add_f32_e32 v75, v75, v76
	v_mul_f32_e32 v76, v114, v159
	v_add_f32_e32 v169, v119, v120
	ds_read_b64 v[119:120], v74 offset:568
	v_fma_f32 v76, v113, v160, -v76
	v_add_f32_e32 v75, v75, v76
	s_waitcnt vmcnt(6) lgkmcnt(1)
	v_mul_f32_e32 v76, v116, v162
	v_mul_f32_e32 v170, v115, v162
	v_fma_f32 v76, v115, v161, -v76
	v_fmac_f32_e32 v170, v116, v161
	v_add_f32_e32 v75, v75, v76
	s_waitcnt vmcnt(3)
	v_mul_f32_e32 v76, v118, v165
	v_add_f32_e32 v169, v169, v170
	v_mul_f32_e32 v170, v117, v165
	s_waitcnt vmcnt(2)
	v_fma_f32 v76, v117, v166, -v76
	v_fmac_f32_e32 v170, v118, v166
	v_add_f32_e32 v75, v75, v76
	s_waitcnt vmcnt(0) lgkmcnt(0)
	v_mul_f32_e32 v76, v120, v168
	v_add_f32_e32 v169, v169, v170
	v_mul_f32_e32 v170, v119, v168
	v_fma_f32 v76, v119, v167, -v76
	v_fmac_f32_e32 v170, v120, v167
	v_add_f32_e32 v75, v75, v76
	v_add_f32_e32 v169, v169, v170
	v_sub_f32_e32 v75, v163, v75
	v_sub_f32_e32 v76, v164, v169
	buffer_store_dword v75, off, s[0:3], 0 offset:96
	buffer_store_dword v76, off, s[0:3], 0 offset:100
	s_and_saveexec_b64 s[4:5], vcc
	s_cbranch_execz .LBB99_207
; %bb.206:
	buffer_load_dword v75, off, s[0:3], 0 offset:88
	buffer_load_dword v76, off, s[0:3], 0 offset:92
	s_waitcnt vmcnt(0)
	ds_write_b64 v73, v[75:76]
	buffer_store_dword v74, off, s[0:3], 0 offset:88
	buffer_store_dword v74, off, s[0:3], 0 offset:92
.LBB99_207:
	s_or_b64 exec, exec, s[4:5]
	s_waitcnt lgkmcnt(0)
	; wave barrier
	buffer_load_dword v123, off, s[0:3], 0 offset:100
	buffer_load_dword v124, off, s[0:3], 0 offset:108
	;; [unrolled: 1-line block ×48, first 2 shown]
	ds_read_b128 v[75:78], v74 offset:384
	ds_read_b128 v[79:82], v74 offset:400
	buffer_load_dword v171, off, s[0:3], 0 offset:280
	buffer_load_dword v172, off, s[0:3], 0 offset:284
	ds_read_b128 v[83:86], v74 offset:416
	ds_read_b128 v[87:90], v74 offset:432
	;; [unrolled: 1-line block ×5, first 2 shown]
	v_cmp_lt_u32_e32 vcc, 10, v0
	s_waitcnt vmcnt(49) lgkmcnt(6)
	v_mul_f32_e32 v103, v75, v123
	s_waitcnt vmcnt(48)
	v_mul_f32_e32 v104, v77, v124
	s_waitcnt vmcnt(47) lgkmcnt(5)
	v_mul_f32_e32 v105, v79, v125
	s_waitcnt vmcnt(46)
	v_mul_f32_e32 v106, v81, v126
	;; [unrolled: 4-line block ×6, first 2 shown]
	s_waitcnt vmcnt(37)
	v_fmac_f32_e32 v103, v76, v135
	v_mul_f32_e32 v76, v76, v123
	v_fma_f32 v75, v75, v135, -v76
	v_mul_f32_e32 v76, v78, v124
	v_add_f32_e32 v75, 0, v75
	s_waitcnt vmcnt(36)
	v_fma_f32 v76, v77, v136, -v76
	v_add_f32_e32 v75, v75, v76
	v_mul_f32_e32 v76, v80, v125
	s_waitcnt vmcnt(35)
	v_fma_f32 v76, v79, v137, -v76
	v_fmac_f32_e32 v104, v78, v136
	v_add_f32_e32 v103, 0, v103
	v_add_f32_e32 v75, v75, v76
	v_mul_f32_e32 v76, v82, v126
	v_fmac_f32_e32 v105, v80, v137
	v_add_f32_e32 v103, v103, v104
	s_waitcnt vmcnt(34)
	v_fma_f32 v76, v81, v138, -v76
	v_fmac_f32_e32 v106, v82, v138
	v_add_f32_e32 v103, v103, v105
	v_add_f32_e32 v75, v75, v76
	v_mul_f32_e32 v76, v84, v127
	s_waitcnt vmcnt(33)
	v_fmac_f32_e32 v107, v84, v139
	v_add_f32_e32 v103, v103, v106
	v_fma_f32 v76, v83, v139, -v76
	s_waitcnt vmcnt(32)
	v_fmac_f32_e32 v108, v86, v140
	v_add_f32_e32 v103, v103, v107
	v_add_f32_e32 v75, v75, v76
	v_mul_f32_e32 v76, v86, v128
	s_waitcnt vmcnt(31)
	v_fmac_f32_e32 v109, v88, v141
	v_add_f32_e32 v103, v103, v108
	v_fma_f32 v76, v85, v140, -v76
	s_waitcnt vmcnt(30)
	;; [unrolled: 9-line block ×3, first 2 shown]
	v_fmac_f32_e32 v112, v94, v144
	v_add_f32_e32 v103, v103, v111
	v_add_f32_e32 v75, v75, v76
	v_mul_f32_e32 v76, v90, v130
	s_waitcnt vmcnt(27)
	v_fmac_f32_e32 v113, v96, v145
	v_add_f32_e32 v103, v103, v112
	v_fma_f32 v76, v89, v142, -v76
	v_add_f32_e32 v103, v103, v113
	s_waitcnt vmcnt(26)
	v_fmac_f32_e32 v114, v98, v146
	v_add_f32_e32 v75, v75, v76
	v_mul_f32_e32 v76, v92, v131
	v_add_f32_e32 v107, v103, v114
	ds_read_b128 v[103:106], v74 offset:496
	v_fma_f32 v76, v91, v143, -v76
	s_waitcnt vmcnt(25) lgkmcnt(1)
	v_mul_f32_e32 v108, v99, v147
	v_add_f32_e32 v75, v75, v76
	v_mul_f32_e32 v76, v94, v132
	s_waitcnt vmcnt(24)
	v_fmac_f32_e32 v108, v100, v148
	v_fma_f32 v76, v93, v144, -v76
	v_add_f32_e32 v107, v107, v108
	s_waitcnt vmcnt(23)
	v_mul_f32_e32 v108, v101, v149
	v_add_f32_e32 v75, v75, v76
	v_mul_f32_e32 v76, v96, v133
	s_waitcnt vmcnt(22)
	v_fmac_f32_e32 v108, v102, v150
	v_fma_f32 v76, v95, v145, -v76
	v_add_f32_e32 v107, v107, v108
	s_waitcnt vmcnt(21) lgkmcnt(0)
	v_mul_f32_e32 v108, v103, v151
	v_add_f32_e32 v75, v75, v76
	v_mul_f32_e32 v76, v98, v134
	s_waitcnt vmcnt(20)
	v_fmac_f32_e32 v108, v104, v152
	v_fma_f32 v76, v97, v146, -v76
	v_add_f32_e32 v111, v107, v108
	ds_read_b128 v[107:110], v74 offset:512
	v_add_f32_e32 v75, v75, v76
	v_mul_f32_e32 v76, v100, v147
	v_fma_f32 v76, v99, v148, -v76
	s_waitcnt vmcnt(19)
	v_mul_f32_e32 v112, v105, v153
	v_add_f32_e32 v75, v75, v76
	v_mul_f32_e32 v76, v102, v149
	s_waitcnt vmcnt(18)
	v_fmac_f32_e32 v112, v106, v154
	v_fma_f32 v76, v101, v150, -v76
	v_add_f32_e32 v115, v111, v112
	ds_read_b128 v[111:114], v74 offset:528
	v_add_f32_e32 v75, v75, v76
	v_mul_f32_e32 v76, v104, v151
	s_waitcnt vmcnt(17) lgkmcnt(1)
	v_mul_f32_e32 v116, v107, v155
	v_fma_f32 v76, v103, v152, -v76
	s_waitcnt vmcnt(16)
	v_fmac_f32_e32 v116, v108, v156
	v_add_f32_e32 v75, v75, v76
	v_mul_f32_e32 v76, v106, v153
	v_add_f32_e32 v115, v115, v116
	s_waitcnt vmcnt(15)
	v_mul_f32_e32 v116, v109, v157
	v_fma_f32 v76, v105, v154, -v76
	s_waitcnt vmcnt(14)
	v_fmac_f32_e32 v116, v110, v158
	v_add_f32_e32 v75, v75, v76
	v_mul_f32_e32 v76, v108, v155
	v_add_f32_e32 v115, v115, v116
	s_waitcnt vmcnt(13) lgkmcnt(0)
	v_mul_f32_e32 v116, v111, v159
	v_fma_f32 v76, v107, v156, -v76
	s_waitcnt vmcnt(12)
	v_fmac_f32_e32 v116, v112, v160
	v_add_f32_e32 v75, v75, v76
	v_mul_f32_e32 v76, v110, v157
	v_add_f32_e32 v119, v115, v116
	ds_read_b128 v[115:118], v74 offset:544
	v_fma_f32 v76, v109, v158, -v76
	v_add_f32_e32 v75, v75, v76
	v_mul_f32_e32 v76, v112, v159
	s_waitcnt vmcnt(11)
	v_mul_f32_e32 v120, v113, v161
	v_fma_f32 v76, v111, v160, -v76
	s_waitcnt vmcnt(10)
	v_fmac_f32_e32 v120, v114, v162
	v_add_f32_e32 v75, v75, v76
	v_mul_f32_e32 v76, v114, v161
	v_add_f32_e32 v173, v119, v120
	ds_read_b128 v[119:122], v74 offset:560
	v_fma_f32 v76, v113, v162, -v76
	v_add_f32_e32 v75, v75, v76
	s_waitcnt vmcnt(7) lgkmcnt(1)
	v_mul_f32_e32 v76, v116, v165
	v_mul_f32_e32 v74, v115, v165
	s_waitcnt vmcnt(6)
	v_fma_f32 v76, v115, v166, -v76
	v_fmac_f32_e32 v74, v116, v166
	v_add_f32_e32 v75, v75, v76
	s_waitcnt vmcnt(4)
	v_mul_f32_e32 v76, v118, v168
	v_add_f32_e32 v74, v173, v74
	v_mul_f32_e32 v173, v117, v168
	v_fma_f32 v76, v117, v167, -v76
	v_fmac_f32_e32 v173, v118, v167
	v_add_f32_e32 v75, v75, v76
	s_waitcnt vmcnt(2) lgkmcnt(0)
	v_mul_f32_e32 v76, v120, v170
	v_add_f32_e32 v74, v74, v173
	v_mul_f32_e32 v173, v119, v170
	v_fma_f32 v76, v119, v169, -v76
	v_fmac_f32_e32 v173, v120, v169
	v_add_f32_e32 v75, v75, v76
	s_waitcnt vmcnt(0)
	v_mul_f32_e32 v76, v122, v172
	v_add_f32_e32 v74, v74, v173
	v_mul_f32_e32 v173, v121, v172
	v_fma_f32 v76, v121, v171, -v76
	v_fmac_f32_e32 v173, v122, v171
	v_add_f32_e32 v75, v75, v76
	v_add_f32_e32 v74, v74, v173
	v_sub_f32_e32 v75, v163, v75
	v_sub_f32_e32 v74, v164, v74
	buffer_store_dword v75, off, s[0:3], 0 offset:88
	buffer_store_dword v74, off, s[0:3], 0 offset:92
	s_and_saveexec_b64 s[4:5], vcc
	s_cbranch_execz .LBB99_209
; %bb.208:
	buffer_load_dword v74, off, s[0:3], 0 offset:80
	buffer_load_dword v75, off, s[0:3], 0 offset:84
	v_mov_b32_e32 v76, 0
	buffer_store_dword v76, off, s[0:3], 0 offset:80
	buffer_store_dword v76, off, s[0:3], 0 offset:84
	s_waitcnt vmcnt(2)
	ds_write_b64 v73, v[74:75]
.LBB99_209:
	s_or_b64 exec, exec, s[4:5]
	s_waitcnt lgkmcnt(0)
	; wave barrier
	buffer_load_dword v125, off, s[0:3], 0 offset:92
	buffer_load_dword v126, off, s[0:3], 0 offset:100
	;; [unrolled: 1-line block ×52, first 2 shown]
	v_mov_b32_e32 v74, 0
	ds_read2_b64 v[75:78], v74 offset0:47 offset1:48
	ds_read2_b64 v[79:82], v74 offset0:49 offset1:50
	;; [unrolled: 1-line block ×6, first 2 shown]
	v_cmp_lt_u32_e32 vcc, 9, v0
	s_waitcnt vmcnt(51) lgkmcnt(5)
	v_mul_f32_e32 v99, v75, v125
	s_waitcnt vmcnt(50)
	v_mul_f32_e32 v100, v77, v126
	s_waitcnt vmcnt(49) lgkmcnt(4)
	v_mul_f32_e32 v101, v79, v127
	s_waitcnt vmcnt(48)
	v_mul_f32_e32 v102, v81, v128
	s_waitcnt vmcnt(47) lgkmcnt(3)
	v_mul_f32_e32 v103, v83, v129
	s_waitcnt vmcnt(46)
	v_mul_f32_e32 v104, v85, v130
	s_waitcnt vmcnt(45) lgkmcnt(2)
	v_mul_f32_e32 v105, v87, v131
	s_waitcnt vmcnt(44)
	v_mul_f32_e32 v106, v89, v132
	s_waitcnt vmcnt(43) lgkmcnt(1)
	v_mul_f32_e32 v107, v91, v133
	s_waitcnt vmcnt(42)
	v_mul_f32_e32 v108, v93, v134
	s_waitcnt vmcnt(41) lgkmcnt(0)
	v_mul_f32_e32 v109, v95, v135
	s_waitcnt vmcnt(40)
	v_fmac_f32_e32 v99, v76, v136
	v_mul_f32_e32 v76, v76, v125
	s_waitcnt vmcnt(39)
	v_fmac_f32_e32 v100, v78, v137
	v_add_f32_e32 v99, 0, v99
	v_fma_f32 v75, v75, v136, -v76
	v_mul_f32_e32 v76, v78, v126
	s_waitcnt vmcnt(38)
	v_fmac_f32_e32 v101, v80, v138
	v_add_f32_e32 v99, v99, v100
	v_add_f32_e32 v75, 0, v75
	v_fma_f32 v76, v77, v137, -v76
	s_waitcnt vmcnt(37)
	v_fmac_f32_e32 v102, v82, v139
	v_add_f32_e32 v99, v99, v101
	v_add_f32_e32 v75, v75, v76
	v_mul_f32_e32 v76, v80, v127
	s_waitcnt vmcnt(36)
	v_fmac_f32_e32 v103, v84, v140
	v_add_f32_e32 v99, v99, v102
	v_fma_f32 v76, v79, v138, -v76
	s_waitcnt vmcnt(35)
	v_fmac_f32_e32 v104, v86, v141
	v_add_f32_e32 v99, v99, v103
	v_add_f32_e32 v75, v75, v76
	v_mul_f32_e32 v76, v82, v128
	s_waitcnt vmcnt(34)
	v_fmac_f32_e32 v105, v88, v142
	;; [unrolled: 9-line block ×3, first 2 shown]
	v_add_f32_e32 v99, v99, v106
	v_fma_f32 v76, v83, v140, -v76
	s_waitcnt vmcnt(31)
	v_fmac_f32_e32 v108, v94, v145
	v_add_f32_e32 v99, v99, v107
	v_add_f32_e32 v75, v75, v76
	v_mul_f32_e32 v76, v86, v130
	v_add_f32_e32 v99, v99, v108
	s_waitcnt vmcnt(30)
	v_fmac_f32_e32 v109, v96, v146
	v_fma_f32 v76, v85, v141, -v76
	v_add_f32_e32 v103, v99, v109
	ds_read2_b64 v[99:102], v74 offset0:59 offset1:60
	v_add_f32_e32 v75, v75, v76
	v_mul_f32_e32 v76, v88, v131
	v_fma_f32 v76, v87, v142, -v76
	s_waitcnt vmcnt(29)
	v_mul_f32_e32 v104, v97, v147
	v_add_f32_e32 v75, v75, v76
	v_mul_f32_e32 v76, v90, v132
	s_waitcnt vmcnt(28)
	v_fmac_f32_e32 v104, v98, v148
	v_fma_f32 v76, v89, v143, -v76
	v_add_f32_e32 v107, v103, v104
	ds_read2_b64 v[103:106], v74 offset0:61 offset1:62
	v_add_f32_e32 v75, v75, v76
	v_mul_f32_e32 v76, v92, v133
	s_waitcnt vmcnt(27) lgkmcnt(1)
	v_mul_f32_e32 v108, v99, v149
	v_fma_f32 v76, v91, v144, -v76
	s_waitcnt vmcnt(26)
	v_fmac_f32_e32 v108, v100, v150
	v_add_f32_e32 v75, v75, v76
	v_mul_f32_e32 v76, v94, v134
	v_add_f32_e32 v107, v107, v108
	s_waitcnt vmcnt(25)
	v_mul_f32_e32 v108, v101, v151
	v_fma_f32 v76, v93, v145, -v76
	s_waitcnt vmcnt(24)
	v_fmac_f32_e32 v108, v102, v152
	v_add_f32_e32 v75, v75, v76
	v_mul_f32_e32 v76, v96, v135
	v_add_f32_e32 v107, v107, v108
	s_waitcnt vmcnt(23) lgkmcnt(0)
	v_mul_f32_e32 v108, v103, v153
	v_fma_f32 v76, v95, v146, -v76
	s_waitcnt vmcnt(22)
	v_fmac_f32_e32 v108, v104, v154
	v_add_f32_e32 v75, v75, v76
	v_mul_f32_e32 v76, v98, v147
	v_add_f32_e32 v111, v107, v108
	ds_read2_b64 v[107:110], v74 offset0:63 offset1:64
	v_fma_f32 v76, v97, v148, -v76
	v_add_f32_e32 v75, v75, v76
	v_mul_f32_e32 v76, v100, v149
	s_waitcnt vmcnt(21)
	v_mul_f32_e32 v112, v105, v155
	v_fma_f32 v76, v99, v150, -v76
	s_waitcnt vmcnt(20)
	v_fmac_f32_e32 v112, v106, v156
	v_add_f32_e32 v75, v75, v76
	v_mul_f32_e32 v76, v102, v151
	v_add_f32_e32 v115, v111, v112
	ds_read2_b64 v[111:114], v74 offset0:65 offset1:66
	v_fma_f32 v76, v101, v152, -v76
	s_waitcnt vmcnt(19) lgkmcnt(1)
	v_mul_f32_e32 v116, v107, v157
	v_add_f32_e32 v75, v75, v76
	v_mul_f32_e32 v76, v104, v153
	s_waitcnt vmcnt(18)
	v_fmac_f32_e32 v116, v108, v158
	v_fma_f32 v76, v103, v154, -v76
	v_add_f32_e32 v115, v115, v116
	s_waitcnt vmcnt(17)
	v_mul_f32_e32 v116, v109, v159
	v_add_f32_e32 v75, v75, v76
	v_mul_f32_e32 v76, v106, v155
	s_waitcnt vmcnt(16)
	v_fmac_f32_e32 v116, v110, v160
	v_fma_f32 v76, v105, v156, -v76
	v_add_f32_e32 v115, v115, v116
	s_waitcnt vmcnt(14) lgkmcnt(0)
	v_mul_f32_e32 v116, v111, v162
	v_add_f32_e32 v75, v75, v76
	v_mul_f32_e32 v76, v108, v157
	v_fmac_f32_e32 v116, v112, v161
	v_fma_f32 v76, v107, v158, -v76
	v_add_f32_e32 v119, v115, v116
	ds_read2_b64 v[115:118], v74 offset0:67 offset1:68
	v_add_f32_e32 v75, v75, v76
	v_mul_f32_e32 v76, v110, v159
	v_fma_f32 v76, v109, v160, -v76
	v_add_f32_e32 v75, v75, v76
	v_mul_f32_e32 v76, v112, v162
	s_waitcnt vmcnt(11)
	v_mul_f32_e32 v120, v113, v165
	v_fma_f32 v76, v111, v161, -v76
	s_waitcnt vmcnt(10)
	v_fmac_f32_e32 v120, v114, v166
	v_add_f32_e32 v75, v75, v76
	v_mul_f32_e32 v76, v114, v165
	v_add_f32_e32 v123, v119, v120
	ds_read2_b64 v[119:122], v74 offset0:69 offset1:70
	s_waitcnt vmcnt(8) lgkmcnt(1)
	v_mul_f32_e32 v124, v115, v168
	v_fma_f32 v76, v113, v166, -v76
	v_fmac_f32_e32 v124, v116, v167
	v_add_f32_e32 v75, v75, v76
	v_mul_f32_e32 v76, v116, v168
	v_add_f32_e32 v123, v123, v124
	s_waitcnt vmcnt(6)
	v_mul_f32_e32 v124, v117, v170
	v_fma_f32 v76, v115, v167, -v76
	v_fmac_f32_e32 v124, v118, v169
	v_add_f32_e32 v75, v75, v76
	v_mul_f32_e32 v76, v118, v170
	v_add_f32_e32 v177, v123, v124
	ds_read_b64 v[123:124], v74 offset:568
	v_fma_f32 v76, v117, v169, -v76
	v_add_f32_e32 v75, v75, v76
	s_waitcnt vmcnt(4) lgkmcnt(1)
	v_mul_f32_e32 v76, v120, v172
	v_mul_f32_e32 v178, v119, v172
	v_fma_f32 v76, v119, v171, -v76
	v_fmac_f32_e32 v178, v120, v171
	v_add_f32_e32 v75, v75, v76
	s_waitcnt vmcnt(2)
	v_mul_f32_e32 v76, v122, v174
	v_add_f32_e32 v177, v177, v178
	v_mul_f32_e32 v178, v121, v174
	v_fma_f32 v76, v121, v173, -v76
	v_fmac_f32_e32 v178, v122, v173
	v_add_f32_e32 v75, v75, v76
	s_waitcnt vmcnt(0) lgkmcnt(0)
	v_mul_f32_e32 v76, v124, v176
	v_add_f32_e32 v177, v177, v178
	v_mul_f32_e32 v178, v123, v176
	v_fma_f32 v76, v123, v175, -v76
	v_fmac_f32_e32 v178, v124, v175
	v_add_f32_e32 v75, v75, v76
	v_add_f32_e32 v177, v177, v178
	v_sub_f32_e32 v75, v163, v75
	v_sub_f32_e32 v76, v164, v177
	buffer_store_dword v75, off, s[0:3], 0 offset:80
	buffer_store_dword v76, off, s[0:3], 0 offset:84
	s_and_saveexec_b64 s[4:5], vcc
	s_cbranch_execz .LBB99_211
; %bb.210:
	buffer_load_dword v75, off, s[0:3], 0 offset:72
	buffer_load_dword v76, off, s[0:3], 0 offset:76
	s_waitcnt vmcnt(0)
	ds_write_b64 v73, v[75:76]
	buffer_store_dword v74, off, s[0:3], 0 offset:72
	buffer_store_dword v74, off, s[0:3], 0 offset:76
.LBB99_211:
	s_or_b64 exec, exec, s[4:5]
	s_waitcnt lgkmcnt(0)
	; wave barrier
	buffer_load_dword v127, off, s[0:3], 0 offset:84
	buffer_load_dword v128, off, s[0:3], 0 offset:92
	;; [unrolled: 1-line block ×42, first 2 shown]
	ds_read_b128 v[75:78], v74 offset:368
	ds_read_b128 v[79:82], v74 offset:384
	;; [unrolled: 1-line block ×4, first 2 shown]
	buffer_load_dword v169, off, s[0:3], 0 offset:244
	buffer_load_dword v170, off, s[0:3], 0 offset:240
	;; [unrolled: 1-line block ×6, first 2 shown]
	ds_read_b128 v[91:94], v74 offset:432
	ds_read_b128 v[95:98], v74 offset:448
	buffer_load_dword v175, off, s[0:3], 0 offset:264
	buffer_load_dword v176, off, s[0:3], 0 offset:268
	;; [unrolled: 1-line block ×6, first 2 shown]
	v_cmp_lt_u32_e32 vcc, 8, v0
	s_waitcnt vmcnt(53) lgkmcnt(5)
	v_mul_f32_e32 v99, v75, v127
	s_waitcnt vmcnt(52)
	v_mul_f32_e32 v100, v77, v128
	s_waitcnt vmcnt(51) lgkmcnt(4)
	v_mul_f32_e32 v101, v79, v129
	s_waitcnt vmcnt(50)
	v_mul_f32_e32 v102, v81, v130
	;; [unrolled: 4-line block ×5, first 2 shown]
	s_waitcnt vmcnt(43)
	v_fmac_f32_e32 v99, v76, v137
	v_mul_f32_e32 v76, v76, v127
	s_waitcnt vmcnt(42)
	v_fmac_f32_e32 v100, v78, v138
	v_add_f32_e32 v99, 0, v99
	v_fma_f32 v75, v75, v137, -v76
	v_mul_f32_e32 v76, v78, v128
	s_waitcnt vmcnt(41)
	v_fmac_f32_e32 v101, v80, v139
	v_add_f32_e32 v99, v99, v100
	v_add_f32_e32 v75, 0, v75
	v_fma_f32 v76, v77, v138, -v76
	s_waitcnt vmcnt(40)
	v_fmac_f32_e32 v102, v82, v140
	v_add_f32_e32 v99, v99, v101
	v_add_f32_e32 v75, v75, v76
	v_mul_f32_e32 v76, v80, v129
	s_waitcnt vmcnt(39)
	v_fmac_f32_e32 v103, v84, v141
	v_add_f32_e32 v99, v99, v102
	v_fma_f32 v76, v79, v139, -v76
	s_waitcnt vmcnt(38)
	v_fmac_f32_e32 v104, v86, v142
	v_add_f32_e32 v99, v99, v103
	v_add_f32_e32 v75, v75, v76
	v_mul_f32_e32 v76, v82, v130
	s_waitcnt vmcnt(37)
	v_fmac_f32_e32 v105, v88, v143
	;; [unrolled: 9-line block ×3, first 2 shown]
	v_add_f32_e32 v99, v99, v106
	v_fma_f32 v76, v83, v141, -v76
	s_waitcnt vmcnt(34)
	v_fmac_f32_e32 v108, v94, v146
	v_add_f32_e32 v99, v99, v107
	s_waitcnt vmcnt(33) lgkmcnt(0)
	v_mul_f32_e32 v100, v95, v147
	v_add_f32_e32 v75, v75, v76
	v_mul_f32_e32 v76, v86, v132
	v_add_f32_e32 v99, v99, v108
	s_waitcnt vmcnt(32)
	v_fmac_f32_e32 v100, v96, v148
	v_fma_f32 v76, v85, v142, -v76
	v_add_f32_e32 v103, v99, v100
	ds_read_b128 v[99:102], v74 offset:464
	v_add_f32_e32 v75, v75, v76
	v_mul_f32_e32 v76, v88, v133
	v_fma_f32 v76, v87, v143, -v76
	s_waitcnt vmcnt(31)
	v_mul_f32_e32 v104, v97, v149
	v_add_f32_e32 v75, v75, v76
	v_mul_f32_e32 v76, v90, v134
	s_waitcnt vmcnt(30)
	v_fmac_f32_e32 v104, v98, v150
	v_fma_f32 v76, v89, v144, -v76
	v_add_f32_e32 v107, v103, v104
	ds_read_b128 v[103:106], v74 offset:480
	v_add_f32_e32 v75, v75, v76
	v_mul_f32_e32 v76, v92, v135
	s_waitcnt vmcnt(29) lgkmcnt(1)
	v_mul_f32_e32 v108, v99, v151
	v_fma_f32 v76, v91, v145, -v76
	s_waitcnt vmcnt(28)
	v_fmac_f32_e32 v108, v100, v152
	v_add_f32_e32 v75, v75, v76
	v_mul_f32_e32 v76, v94, v136
	v_add_f32_e32 v107, v107, v108
	s_waitcnt vmcnt(27)
	v_mul_f32_e32 v108, v101, v153
	v_fma_f32 v76, v93, v146, -v76
	s_waitcnt vmcnt(26)
	v_fmac_f32_e32 v108, v102, v154
	v_add_f32_e32 v75, v75, v76
	v_mul_f32_e32 v76, v96, v147
	v_add_f32_e32 v107, v107, v108
	s_waitcnt vmcnt(25) lgkmcnt(0)
	v_mul_f32_e32 v108, v103, v155
	v_fma_f32 v76, v95, v148, -v76
	s_waitcnt vmcnt(24)
	v_fmac_f32_e32 v108, v104, v156
	v_add_f32_e32 v75, v75, v76
	v_mul_f32_e32 v76, v98, v149
	v_add_f32_e32 v111, v107, v108
	ds_read_b128 v[107:110], v74 offset:496
	v_fma_f32 v76, v97, v150, -v76
	v_add_f32_e32 v75, v75, v76
	v_mul_f32_e32 v76, v100, v151
	s_waitcnt vmcnt(23)
	v_mul_f32_e32 v112, v105, v157
	v_fma_f32 v76, v99, v152, -v76
	s_waitcnt vmcnt(22)
	v_fmac_f32_e32 v112, v106, v158
	v_add_f32_e32 v75, v75, v76
	v_mul_f32_e32 v76, v102, v153
	v_add_f32_e32 v115, v111, v112
	ds_read_b128 v[111:114], v74 offset:512
	v_fma_f32 v76, v101, v154, -v76
	s_waitcnt vmcnt(21) lgkmcnt(1)
	v_mul_f32_e32 v116, v107, v159
	v_add_f32_e32 v75, v75, v76
	v_mul_f32_e32 v76, v104, v155
	s_waitcnt vmcnt(20)
	v_fmac_f32_e32 v116, v108, v160
	v_fma_f32 v76, v103, v156, -v76
	v_add_f32_e32 v115, v115, v116
	s_waitcnt vmcnt(18)
	v_mul_f32_e32 v116, v109, v162
	v_add_f32_e32 v75, v75, v76
	v_mul_f32_e32 v76, v106, v157
	v_fmac_f32_e32 v116, v110, v161
	v_fma_f32 v76, v105, v158, -v76
	v_add_f32_e32 v115, v115, v116
	s_waitcnt vmcnt(15) lgkmcnt(0)
	v_mul_f32_e32 v116, v111, v165
	v_add_f32_e32 v75, v75, v76
	v_mul_f32_e32 v76, v108, v159
	s_waitcnt vmcnt(14)
	v_fmac_f32_e32 v116, v112, v166
	v_fma_f32 v76, v107, v160, -v76
	v_add_f32_e32 v119, v115, v116
	ds_read_b128 v[115:118], v74 offset:528
	v_add_f32_e32 v75, v75, v76
	v_mul_f32_e32 v76, v110, v162
	v_fma_f32 v76, v109, v161, -v76
	v_add_f32_e32 v75, v75, v76
	v_mul_f32_e32 v76, v112, v165
	s_waitcnt vmcnt(12)
	v_mul_f32_e32 v120, v113, v168
	v_fma_f32 v76, v111, v166, -v76
	v_fmac_f32_e32 v120, v114, v167
	v_add_f32_e32 v75, v75, v76
	v_mul_f32_e32 v76, v114, v168
	v_add_f32_e32 v123, v119, v120
	ds_read_b128 v[119:122], v74 offset:544
	s_waitcnt vmcnt(11) lgkmcnt(1)
	v_mul_f32_e32 v124, v115, v169
	v_fma_f32 v76, v113, v167, -v76
	s_waitcnt vmcnt(10)
	v_fmac_f32_e32 v124, v116, v170
	v_add_f32_e32 v75, v75, v76
	v_mul_f32_e32 v76, v116, v169
	v_add_f32_e32 v123, v123, v124
	s_waitcnt vmcnt(8)
	v_mul_f32_e32 v124, v117, v172
	v_fma_f32 v76, v115, v170, -v76
	v_fmac_f32_e32 v124, v118, v171
	v_add_f32_e32 v75, v75, v76
	v_mul_f32_e32 v76, v118, v172
	v_add_f32_e32 v181, v123, v124
	ds_read_b128 v[123:126], v74 offset:560
	v_fma_f32 v76, v117, v171, -v76
	v_add_f32_e32 v75, v75, v76
	s_waitcnt vmcnt(6) lgkmcnt(1)
	v_mul_f32_e32 v76, v120, v174
	v_mul_f32_e32 v182, v119, v174
	v_fma_f32 v76, v119, v173, -v76
	v_fmac_f32_e32 v182, v120, v173
	v_add_f32_e32 v75, v75, v76
	s_waitcnt vmcnt(4)
	v_mul_f32_e32 v76, v122, v176
	v_add_f32_e32 v74, v181, v182
	v_mul_f32_e32 v181, v121, v176
	v_fma_f32 v76, v121, v175, -v76
	v_fmac_f32_e32 v181, v122, v175
	v_add_f32_e32 v75, v75, v76
	s_waitcnt vmcnt(2) lgkmcnt(0)
	v_mul_f32_e32 v76, v124, v178
	v_add_f32_e32 v74, v74, v181
	v_mul_f32_e32 v181, v123, v178
	v_fma_f32 v76, v123, v177, -v76
	v_fmac_f32_e32 v181, v124, v177
	v_add_f32_e32 v75, v75, v76
	s_waitcnt vmcnt(0)
	v_mul_f32_e32 v76, v126, v180
	v_add_f32_e32 v74, v74, v181
	v_mul_f32_e32 v181, v125, v180
	v_fma_f32 v76, v125, v179, -v76
	v_fmac_f32_e32 v181, v126, v179
	v_add_f32_e32 v75, v75, v76
	v_add_f32_e32 v74, v74, v181
	v_sub_f32_e32 v75, v163, v75
	v_sub_f32_e32 v74, v164, v74
	buffer_store_dword v75, off, s[0:3], 0 offset:72
	buffer_store_dword v74, off, s[0:3], 0 offset:76
	s_and_saveexec_b64 s[4:5], vcc
	s_cbranch_execz .LBB99_213
; %bb.212:
	buffer_load_dword v74, off, s[0:3], 0 offset:64
	buffer_load_dword v75, off, s[0:3], 0 offset:68
	v_mov_b32_e32 v76, 0
	buffer_store_dword v76, off, s[0:3], 0 offset:64
	buffer_store_dword v76, off, s[0:3], 0 offset:68
	s_waitcnt vmcnt(2)
	ds_write_b64 v73, v[74:75]
.LBB99_213:
	s_or_b64 exec, exec, s[4:5]
	s_waitcnt lgkmcnt(0)
	; wave barrier
	buffer_load_dword v129, off, s[0:3], 0 offset:76
	buffer_load_dword v130, off, s[0:3], 0 offset:84
	;; [unrolled: 1-line block ×56, first 2 shown]
	v_mov_b32_e32 v74, 0
	ds_read2_b64 v[75:78], v74 offset0:45 offset1:46
	ds_read2_b64 v[79:82], v74 offset0:47 offset1:48
	;; [unrolled: 1-line block ×6, first 2 shown]
	v_cmp_lt_u32_e32 vcc, 7, v0
	s_waitcnt vmcnt(55) lgkmcnt(5)
	v_mul_f32_e32 v99, v75, v129
	s_waitcnt vmcnt(54)
	v_mul_f32_e32 v100, v77, v130
	s_waitcnt vmcnt(53) lgkmcnt(4)
	v_mul_f32_e32 v101, v79, v131
	s_waitcnt vmcnt(52)
	v_mul_f32_e32 v102, v81, v132
	;; [unrolled: 4-line block ×4, first 2 shown]
	s_waitcnt vmcnt(47) lgkmcnt(1)
	v_mul_f32_e32 v107, v91, v137
	s_waitcnt vmcnt(46)
	v_fmac_f32_e32 v99, v76, v138
	s_waitcnt vmcnt(45)
	v_fmac_f32_e32 v100, v78, v139
	v_add_f32_e32 v99, 0, v99
	s_waitcnt vmcnt(44)
	v_fmac_f32_e32 v101, v80, v140
	v_add_f32_e32 v99, v99, v100
	;; [unrolled: 3-line block ×3, first 2 shown]
	v_mul_f32_e32 v76, v76, v129
	s_waitcnt vmcnt(42)
	v_fmac_f32_e32 v103, v84, v142
	v_add_f32_e32 v99, v99, v102
	v_fma_f32 v75, v75, v138, -v76
	v_mul_f32_e32 v76, v78, v130
	s_waitcnt vmcnt(41)
	v_fmac_f32_e32 v104, v86, v143
	v_add_f32_e32 v99, v99, v103
	v_add_f32_e32 v75, 0, v75
	v_fma_f32 v76, v77, v139, -v76
	s_waitcnt vmcnt(40)
	v_fmac_f32_e32 v105, v88, v144
	v_add_f32_e32 v99, v99, v104
	v_add_f32_e32 v75, v75, v76
	v_mul_f32_e32 v76, v80, v131
	s_waitcnt vmcnt(39)
	v_fmac_f32_e32 v106, v90, v145
	v_add_f32_e32 v99, v99, v105
	v_fma_f32 v76, v79, v140, -v76
	v_add_f32_e32 v99, v99, v106
	s_waitcnt vmcnt(38)
	v_fmac_f32_e32 v107, v92, v146
	s_waitcnt vmcnt(37)
	v_mul_f32_e32 v100, v93, v147
	v_add_f32_e32 v75, v75, v76
	v_mul_f32_e32 v76, v82, v132
	v_add_f32_e32 v99, v99, v107
	s_waitcnt vmcnt(36)
	v_fmac_f32_e32 v100, v94, v148
	v_fma_f32 v76, v81, v141, -v76
	v_add_f32_e32 v99, v99, v100
	s_waitcnt vmcnt(35) lgkmcnt(0)
	v_mul_f32_e32 v100, v95, v149
	v_add_f32_e32 v75, v75, v76
	v_mul_f32_e32 v76, v84, v133
	s_waitcnt vmcnt(34)
	v_fmac_f32_e32 v100, v96, v150
	v_fma_f32 v76, v83, v142, -v76
	v_add_f32_e32 v103, v99, v100
	ds_read2_b64 v[99:102], v74 offset0:57 offset1:58
	v_add_f32_e32 v75, v75, v76
	v_mul_f32_e32 v76, v86, v134
	v_fma_f32 v76, v85, v143, -v76
	s_waitcnt vmcnt(33)
	v_mul_f32_e32 v104, v97, v151
	v_add_f32_e32 v75, v75, v76
	v_mul_f32_e32 v76, v88, v135
	s_waitcnt vmcnt(32)
	v_fmac_f32_e32 v104, v98, v152
	v_fma_f32 v76, v87, v144, -v76
	v_add_f32_e32 v107, v103, v104
	ds_read2_b64 v[103:106], v74 offset0:59 offset1:60
	v_add_f32_e32 v75, v75, v76
	v_mul_f32_e32 v76, v90, v136
	s_waitcnt vmcnt(31) lgkmcnt(1)
	v_mul_f32_e32 v108, v99, v153
	v_fma_f32 v76, v89, v145, -v76
	s_waitcnt vmcnt(30)
	v_fmac_f32_e32 v108, v100, v154
	v_add_f32_e32 v75, v75, v76
	v_mul_f32_e32 v76, v92, v137
	v_add_f32_e32 v107, v107, v108
	s_waitcnt vmcnt(29)
	v_mul_f32_e32 v108, v101, v155
	v_fma_f32 v76, v91, v146, -v76
	s_waitcnt vmcnt(28)
	v_fmac_f32_e32 v108, v102, v156
	v_add_f32_e32 v75, v75, v76
	v_mul_f32_e32 v76, v94, v147
	v_add_f32_e32 v107, v107, v108
	s_waitcnt vmcnt(27) lgkmcnt(0)
	v_mul_f32_e32 v108, v103, v157
	v_fma_f32 v76, v93, v148, -v76
	s_waitcnt vmcnt(26)
	v_fmac_f32_e32 v108, v104, v158
	v_add_f32_e32 v75, v75, v76
	v_mul_f32_e32 v76, v96, v149
	v_add_f32_e32 v111, v107, v108
	ds_read2_b64 v[107:110], v74 offset0:61 offset1:62
	v_fma_f32 v76, v95, v150, -v76
	v_add_f32_e32 v75, v75, v76
	v_mul_f32_e32 v76, v98, v151
	s_waitcnt vmcnt(24)
	v_mul_f32_e32 v112, v105, v160
	v_fma_f32 v76, v97, v152, -v76
	v_fmac_f32_e32 v112, v106, v159
	v_add_f32_e32 v75, v75, v76
	v_mul_f32_e32 v76, v100, v153
	v_add_f32_e32 v115, v111, v112
	ds_read2_b64 v[111:114], v74 offset0:63 offset1:64
	v_fma_f32 v76, v99, v154, -v76
	s_waitcnt vmcnt(21) lgkmcnt(1)
	v_mul_f32_e32 v116, v107, v163
	v_add_f32_e32 v75, v75, v76
	v_mul_f32_e32 v76, v102, v155
	s_waitcnt vmcnt(20)
	v_fmac_f32_e32 v116, v108, v164
	v_fma_f32 v76, v101, v156, -v76
	v_add_f32_e32 v115, v115, v116
	s_waitcnt vmcnt(18)
	v_mul_f32_e32 v116, v109, v166
	v_add_f32_e32 v75, v75, v76
	v_mul_f32_e32 v76, v104, v157
	v_fmac_f32_e32 v116, v110, v165
	v_fma_f32 v76, v103, v158, -v76
	v_add_f32_e32 v115, v115, v116
	s_waitcnt vmcnt(16) lgkmcnt(0)
	v_mul_f32_e32 v116, v111, v168
	v_add_f32_e32 v75, v75, v76
	v_mul_f32_e32 v76, v106, v160
	v_fmac_f32_e32 v116, v112, v167
	v_fma_f32 v76, v105, v159, -v76
	v_add_f32_e32 v119, v115, v116
	ds_read2_b64 v[115:118], v74 offset0:65 offset1:66
	v_add_f32_e32 v75, v75, v76
	v_mul_f32_e32 v76, v108, v163
	v_fma_f32 v76, v107, v164, -v76
	s_waitcnt vmcnt(14)
	v_mul_f32_e32 v120, v113, v170
	v_add_f32_e32 v75, v75, v76
	v_mul_f32_e32 v76, v110, v166
	v_fmac_f32_e32 v120, v114, v169
	v_fma_f32 v76, v109, v165, -v76
	v_add_f32_e32 v123, v119, v120
	ds_read2_b64 v[119:122], v74 offset0:67 offset1:68
	v_add_f32_e32 v75, v75, v76
	v_mul_f32_e32 v76, v112, v168
	s_waitcnt vmcnt(12) lgkmcnt(1)
	v_mul_f32_e32 v124, v115, v172
	v_fma_f32 v76, v111, v167, -v76
	v_fmac_f32_e32 v124, v116, v171
	v_add_f32_e32 v75, v75, v76
	v_mul_f32_e32 v76, v114, v170
	v_add_f32_e32 v123, v123, v124
	s_waitcnt vmcnt(10)
	v_mul_f32_e32 v124, v117, v174
	v_fma_f32 v76, v113, v169, -v76
	v_fmac_f32_e32 v124, v118, v173
	v_add_f32_e32 v75, v75, v76
	v_mul_f32_e32 v76, v116, v172
	v_add_f32_e32 v123, v123, v124
	s_waitcnt vmcnt(8) lgkmcnt(0)
	v_mul_f32_e32 v124, v119, v176
	v_fma_f32 v76, v115, v171, -v76
	v_fmac_f32_e32 v124, v120, v175
	v_add_f32_e32 v75, v75, v76
	v_mul_f32_e32 v76, v118, v174
	v_add_f32_e32 v127, v123, v124
	ds_read2_b64 v[123:126], v74 offset0:69 offset1:70
	v_fma_f32 v76, v117, v173, -v76
	v_add_f32_e32 v75, v75, v76
	v_mul_f32_e32 v76, v120, v176
	s_waitcnt vmcnt(6)
	v_mul_f32_e32 v128, v121, v178
	v_fma_f32 v76, v119, v175, -v76
	v_fmac_f32_e32 v128, v122, v177
	v_add_f32_e32 v75, v75, v76
	v_mul_f32_e32 v76, v122, v178
	v_add_f32_e32 v185, v127, v128
	ds_read_b64 v[127:128], v74 offset:568
	v_fma_f32 v76, v121, v177, -v76
	v_add_f32_e32 v75, v75, v76
	s_waitcnt vmcnt(4) lgkmcnt(1)
	v_mul_f32_e32 v76, v124, v180
	v_mul_f32_e32 v186, v123, v180
	v_fma_f32 v76, v123, v179, -v76
	v_fmac_f32_e32 v186, v124, v179
	v_add_f32_e32 v75, v75, v76
	s_waitcnt vmcnt(2)
	v_mul_f32_e32 v76, v126, v182
	v_add_f32_e32 v185, v185, v186
	v_mul_f32_e32 v186, v125, v182
	v_fma_f32 v76, v125, v181, -v76
	v_fmac_f32_e32 v186, v126, v181
	v_add_f32_e32 v75, v75, v76
	s_waitcnt vmcnt(0) lgkmcnt(0)
	v_mul_f32_e32 v76, v128, v184
	v_add_f32_e32 v185, v185, v186
	v_mul_f32_e32 v186, v127, v184
	v_fma_f32 v76, v127, v183, -v76
	v_fmac_f32_e32 v186, v128, v183
	v_add_f32_e32 v75, v75, v76
	v_add_f32_e32 v185, v185, v186
	v_sub_f32_e32 v75, v161, v75
	v_sub_f32_e32 v76, v162, v185
	buffer_store_dword v75, off, s[0:3], 0 offset:64
	buffer_store_dword v76, off, s[0:3], 0 offset:68
	s_and_saveexec_b64 s[4:5], vcc
	s_cbranch_execz .LBB99_215
; %bb.214:
	buffer_load_dword v75, off, s[0:3], 0 offset:56
	buffer_load_dword v76, off, s[0:3], 0 offset:60
	s_waitcnt vmcnt(0)
	ds_write_b64 v73, v[75:76]
	buffer_store_dword v74, off, s[0:3], 0 offset:56
	buffer_store_dword v74, off, s[0:3], 0 offset:60
.LBB99_215:
	s_or_b64 exec, exec, s[4:5]
	s_waitcnt lgkmcnt(0)
	; wave barrier
	buffer_load_dword v131, off, s[0:3], 0 offset:68
	buffer_load_dword v132, off, s[0:3], 0 offset:76
	;; [unrolled: 1-line block ×34, first 2 shown]
	ds_read_b128 v[75:78], v74 offset:352
	ds_read_b128 v[79:82], v74 offset:368
	buffer_load_dword v165, off, s[0:3], 0 offset:196
	buffer_load_dword v166, off, s[0:3], 0 offset:192
	;; [unrolled: 1-line block ×6, first 2 shown]
	ds_read_b128 v[83:86], v74 offset:384
	ds_read_b128 v[87:90], v74 offset:400
	;; [unrolled: 1-line block ×4, first 2 shown]
	buffer_load_dword v171, off, s[0:3], 0 offset:220
	buffer_load_dword v172, off, s[0:3], 0 offset:216
	;; [unrolled: 1-line block ×18, first 2 shown]
	v_cmp_lt_u32_e32 vcc, 6, v0
	s_waitcnt vmcnt(57) lgkmcnt(5)
	v_mul_f32_e32 v99, v75, v131
	s_waitcnt vmcnt(56)
	v_mul_f32_e32 v100, v77, v132
	s_waitcnt vmcnt(55) lgkmcnt(4)
	v_mul_f32_e32 v101, v79, v133
	s_waitcnt vmcnt(54)
	v_mul_f32_e32 v102, v81, v134
	s_waitcnt vmcnt(53) lgkmcnt(3)
	v_mul_f32_e32 v103, v83, v135
	s_waitcnt vmcnt(52)
	v_mul_f32_e32 v104, v85, v136
	s_waitcnt vmcnt(51) lgkmcnt(2)
	v_mul_f32_e32 v105, v87, v137
	s_waitcnt vmcnt(50)
	v_mul_f32_e32 v106, v89, v138
	s_waitcnt vmcnt(49)
	v_fmac_f32_e32 v99, v76, v139
	s_waitcnt vmcnt(48)
	v_fmac_f32_e32 v100, v78, v140
	v_add_f32_e32 v99, 0, v99
	s_waitcnt vmcnt(47)
	v_fmac_f32_e32 v101, v80, v141
	v_add_f32_e32 v99, v99, v100
	;; [unrolled: 3-line block ×4, first 2 shown]
	v_mul_f32_e32 v76, v76, v131
	s_waitcnt vmcnt(44)
	v_fmac_f32_e32 v104, v86, v144
	v_add_f32_e32 v99, v99, v103
	v_fma_f32 v75, v75, v139, -v76
	v_mul_f32_e32 v76, v78, v132
	s_waitcnt vmcnt(43)
	v_fmac_f32_e32 v105, v88, v145
	v_add_f32_e32 v99, v99, v104
	v_add_f32_e32 v75, 0, v75
	v_fma_f32 v76, v77, v140, -v76
	s_waitcnt vmcnt(42)
	v_fmac_f32_e32 v106, v90, v146
	v_add_f32_e32 v99, v99, v105
	s_waitcnt vmcnt(41) lgkmcnt(1)
	v_mul_f32_e32 v100, v91, v147
	v_add_f32_e32 v75, v75, v76
	v_mul_f32_e32 v76, v80, v133
	v_add_f32_e32 v99, v99, v106
	s_waitcnt vmcnt(40)
	v_fmac_f32_e32 v100, v92, v148
	v_fma_f32 v76, v79, v141, -v76
	v_add_f32_e32 v99, v99, v100
	s_waitcnt vmcnt(39)
	v_mul_f32_e32 v100, v93, v149
	v_add_f32_e32 v75, v75, v76
	v_mul_f32_e32 v76, v82, v134
	s_waitcnt vmcnt(38)
	v_fmac_f32_e32 v100, v94, v150
	v_fma_f32 v76, v81, v142, -v76
	v_add_f32_e32 v99, v99, v100
	s_waitcnt vmcnt(37) lgkmcnt(0)
	v_mul_f32_e32 v100, v95, v151
	v_add_f32_e32 v75, v75, v76
	v_mul_f32_e32 v76, v84, v135
	s_waitcnt vmcnt(36)
	v_fmac_f32_e32 v100, v96, v152
	v_fma_f32 v76, v83, v143, -v76
	v_add_f32_e32 v103, v99, v100
	ds_read_b128 v[99:102], v74 offset:448
	v_add_f32_e32 v75, v75, v76
	v_mul_f32_e32 v76, v86, v136
	v_fma_f32 v76, v85, v144, -v76
	s_waitcnt vmcnt(35)
	v_mul_f32_e32 v104, v97, v153
	v_add_f32_e32 v75, v75, v76
	v_mul_f32_e32 v76, v88, v137
	s_waitcnt vmcnt(34)
	v_fmac_f32_e32 v104, v98, v154
	v_fma_f32 v76, v87, v145, -v76
	v_add_f32_e32 v107, v103, v104
	ds_read_b128 v[103:106], v74 offset:464
	v_add_f32_e32 v75, v75, v76
	v_mul_f32_e32 v76, v90, v138
	s_waitcnt vmcnt(33) lgkmcnt(1)
	v_mul_f32_e32 v108, v99, v155
	v_fma_f32 v76, v89, v146, -v76
	s_waitcnt vmcnt(32)
	v_fmac_f32_e32 v108, v100, v156
	v_add_f32_e32 v75, v75, v76
	v_mul_f32_e32 v76, v92, v147
	v_add_f32_e32 v107, v107, v108
	s_waitcnt vmcnt(31)
	v_mul_f32_e32 v108, v101, v157
	v_fma_f32 v76, v91, v148, -v76
	s_waitcnt vmcnt(30)
	v_fmac_f32_e32 v108, v102, v158
	v_add_f32_e32 v75, v75, v76
	v_mul_f32_e32 v76, v94, v149
	v_add_f32_e32 v107, v107, v108
	s_waitcnt vmcnt(29) lgkmcnt(0)
	v_mul_f32_e32 v108, v103, v159
	v_fma_f32 v76, v93, v150, -v76
	s_waitcnt vmcnt(28)
	v_fmac_f32_e32 v108, v104, v160
	v_add_f32_e32 v75, v75, v76
	v_mul_f32_e32 v76, v96, v151
	v_add_f32_e32 v111, v107, v108
	ds_read_b128 v[107:110], v74 offset:480
	v_fma_f32 v76, v95, v152, -v76
	v_add_f32_e32 v75, v75, v76
	v_mul_f32_e32 v76, v98, v153
	s_waitcnt vmcnt(25)
	v_mul_f32_e32 v112, v105, v163
	v_fma_f32 v76, v97, v154, -v76
	s_waitcnt vmcnt(24)
	v_fmac_f32_e32 v112, v106, v164
	v_add_f32_e32 v75, v75, v76
	v_mul_f32_e32 v76, v100, v155
	v_add_f32_e32 v115, v111, v112
	ds_read_b128 v[111:114], v74 offset:496
	v_fma_f32 v76, v99, v156, -v76
	s_waitcnt vmcnt(23) lgkmcnt(1)
	v_mul_f32_e32 v116, v107, v165
	v_add_f32_e32 v75, v75, v76
	v_mul_f32_e32 v76, v102, v157
	s_waitcnt vmcnt(22)
	v_fmac_f32_e32 v116, v108, v166
	v_fma_f32 v76, v101, v158, -v76
	v_add_f32_e32 v115, v115, v116
	s_waitcnt vmcnt(20)
	v_mul_f32_e32 v116, v109, v168
	v_add_f32_e32 v75, v75, v76
	v_mul_f32_e32 v76, v104, v159
	v_fmac_f32_e32 v116, v110, v167
	v_fma_f32 v76, v103, v160, -v76
	v_add_f32_e32 v115, v115, v116
	s_waitcnt vmcnt(18) lgkmcnt(0)
	v_mul_f32_e32 v116, v111, v170
	v_add_f32_e32 v75, v75, v76
	v_mul_f32_e32 v76, v106, v163
	v_fmac_f32_e32 v116, v112, v169
	v_fma_f32 v76, v105, v164, -v76
	v_add_f32_e32 v119, v115, v116
	ds_read_b128 v[115:118], v74 offset:512
	v_add_f32_e32 v75, v75, v76
	v_mul_f32_e32 v76, v108, v165
	v_fma_f32 v76, v107, v166, -v76
	s_waitcnt vmcnt(17)
	v_mul_f32_e32 v120, v113, v171
	v_add_f32_e32 v75, v75, v76
	v_mul_f32_e32 v76, v110, v168
	s_waitcnt vmcnt(16)
	v_fmac_f32_e32 v120, v114, v172
	v_fma_f32 v76, v109, v167, -v76
	v_add_f32_e32 v123, v119, v120
	ds_read_b128 v[119:122], v74 offset:528
	v_add_f32_e32 v75, v75, v76
	v_mul_f32_e32 v76, v112, v170
	s_waitcnt vmcnt(14) lgkmcnt(1)
	v_mul_f32_e32 v124, v115, v174
	v_fma_f32 v76, v111, v169, -v76
	v_fmac_f32_e32 v124, v116, v173
	v_add_f32_e32 v75, v75, v76
	v_mul_f32_e32 v76, v114, v171
	v_add_f32_e32 v123, v123, v124
	s_waitcnt vmcnt(12)
	v_mul_f32_e32 v124, v117, v176
	v_fma_f32 v76, v113, v172, -v76
	v_fmac_f32_e32 v124, v118, v175
	v_add_f32_e32 v75, v75, v76
	v_mul_f32_e32 v76, v116, v174
	v_add_f32_e32 v123, v123, v124
	s_waitcnt vmcnt(10) lgkmcnt(0)
	v_mul_f32_e32 v124, v119, v178
	v_fma_f32 v76, v115, v173, -v76
	v_fmac_f32_e32 v124, v120, v177
	v_add_f32_e32 v75, v75, v76
	v_mul_f32_e32 v76, v118, v176
	v_add_f32_e32 v127, v123, v124
	ds_read_b128 v[123:126], v74 offset:544
	v_fma_f32 v76, v117, v175, -v76
	v_add_f32_e32 v75, v75, v76
	v_mul_f32_e32 v76, v120, v178
	s_waitcnt vmcnt(8)
	v_mul_f32_e32 v128, v121, v180
	v_fma_f32 v76, v119, v177, -v76
	v_fmac_f32_e32 v128, v122, v179
	v_add_f32_e32 v75, v75, v76
	v_mul_f32_e32 v76, v122, v180
	v_add_f32_e32 v189, v127, v128
	ds_read_b128 v[127:130], v74 offset:560
	v_fma_f32 v76, v121, v179, -v76
	v_add_f32_e32 v75, v75, v76
	s_waitcnt vmcnt(6) lgkmcnt(1)
	v_mul_f32_e32 v76, v124, v182
	v_mul_f32_e32 v74, v123, v182
	v_fma_f32 v76, v123, v181, -v76
	v_fmac_f32_e32 v74, v124, v181
	v_add_f32_e32 v75, v75, v76
	s_waitcnt vmcnt(4)
	v_mul_f32_e32 v76, v126, v184
	v_add_f32_e32 v74, v189, v74
	v_mul_f32_e32 v189, v125, v184
	v_fma_f32 v76, v125, v183, -v76
	v_fmac_f32_e32 v189, v126, v183
	v_add_f32_e32 v75, v75, v76
	s_waitcnt vmcnt(2) lgkmcnt(0)
	v_mul_f32_e32 v76, v128, v186
	v_add_f32_e32 v74, v74, v189
	v_mul_f32_e32 v189, v127, v186
	v_fma_f32 v76, v127, v185, -v76
	v_fmac_f32_e32 v189, v128, v185
	v_add_f32_e32 v75, v75, v76
	s_waitcnt vmcnt(0)
	v_mul_f32_e32 v76, v130, v188
	v_add_f32_e32 v74, v74, v189
	v_mul_f32_e32 v189, v129, v188
	v_fma_f32 v76, v129, v187, -v76
	v_fmac_f32_e32 v189, v130, v187
	v_add_f32_e32 v75, v75, v76
	v_add_f32_e32 v74, v74, v189
	v_sub_f32_e32 v75, v161, v75
	v_sub_f32_e32 v74, v162, v74
	buffer_store_dword v75, off, s[0:3], 0 offset:56
	buffer_store_dword v74, off, s[0:3], 0 offset:60
	s_and_saveexec_b64 s[4:5], vcc
	s_cbranch_execz .LBB99_217
; %bb.216:
	buffer_load_dword v74, off, s[0:3], 0 offset:48
	buffer_load_dword v75, off, s[0:3], 0 offset:52
	v_mov_b32_e32 v76, 0
	buffer_store_dword v76, off, s[0:3], 0 offset:48
	buffer_store_dword v76, off, s[0:3], 0 offset:52
	s_waitcnt vmcnt(2)
	ds_write_b64 v73, v[74:75]
.LBB99_217:
	s_or_b64 exec, exec, s[4:5]
	s_waitcnt lgkmcnt(0)
	; wave barrier
	buffer_load_dword v133, off, s[0:3], 0 offset:60
	buffer_load_dword v134, off, s[0:3], 0 offset:68
	;; [unrolled: 1-line block ×60, first 2 shown]
	v_mov_b32_e32 v74, 0
	ds_read2_b64 v[75:78], v74 offset0:43 offset1:44
	ds_read2_b64 v[79:82], v74 offset0:45 offset1:46
	ds_read2_b64 v[83:86], v74 offset0:47 offset1:48
	ds_read2_b64 v[87:90], v74 offset0:49 offset1:50
	ds_read2_b64 v[91:94], v74 offset0:51 offset1:52
	v_cmp_lt_u32_e32 vcc, 5, v0
	s_waitcnt vmcnt(59) lgkmcnt(4)
	v_mul_f32_e32 v95, v75, v133
	s_waitcnt vmcnt(58)
	v_mul_f32_e32 v96, v77, v134
	s_waitcnt vmcnt(57) lgkmcnt(3)
	v_mul_f32_e32 v97, v79, v135
	s_waitcnt vmcnt(56)
	v_mul_f32_e32 v98, v81, v136
	;; [unrolled: 4-line block ×3, first 2 shown]
	s_waitcnt vmcnt(53) lgkmcnt(1)
	v_mul_f32_e32 v101, v87, v139
	s_waitcnt vmcnt(52)
	v_fmac_f32_e32 v95, v76, v140
	s_waitcnt vmcnt(51)
	v_fmac_f32_e32 v96, v78, v141
	v_add_f32_e32 v95, 0, v95
	s_waitcnt vmcnt(50)
	v_fmac_f32_e32 v97, v80, v142
	v_add_f32_e32 v95, v95, v96
	s_waitcnt vmcnt(49)
	v_fmac_f32_e32 v98, v82, v143
	v_add_f32_e32 v95, v95, v97
	s_waitcnt vmcnt(48)
	v_fmac_f32_e32 v99, v84, v144
	v_add_f32_e32 v95, v95, v98
	s_waitcnt vmcnt(47)
	v_fmac_f32_e32 v100, v86, v145
	v_add_f32_e32 v95, v95, v99
	s_waitcnt vmcnt(46)
	v_fmac_f32_e32 v101, v88, v146
	v_add_f32_e32 v95, v95, v100
	s_waitcnt vmcnt(45)
	v_mul_f32_e32 v96, v89, v147
	v_add_f32_e32 v95, v95, v101
	s_waitcnt vmcnt(44)
	v_fmac_f32_e32 v96, v90, v148
	v_mul_f32_e32 v76, v76, v133
	v_add_f32_e32 v99, v95, v96
	ds_read2_b64 v[95:98], v74 offset0:53 offset1:54
	v_fma_f32 v75, v75, v140, -v76
	v_mul_f32_e32 v76, v78, v134
	s_waitcnt vmcnt(43) lgkmcnt(1)
	v_mul_f32_e32 v100, v91, v149
	v_add_f32_e32 v75, 0, v75
	v_fma_f32 v76, v77, v141, -v76
	s_waitcnt vmcnt(42)
	v_fmac_f32_e32 v100, v92, v150
	v_add_f32_e32 v75, v75, v76
	v_mul_f32_e32 v76, v80, v135
	v_add_f32_e32 v99, v99, v100
	s_waitcnt vmcnt(41)
	v_mul_f32_e32 v100, v93, v151
	v_fma_f32 v76, v79, v142, -v76
	s_waitcnt vmcnt(40)
	v_fmac_f32_e32 v100, v94, v152
	v_add_f32_e32 v75, v75, v76
	v_mul_f32_e32 v76, v82, v136
	v_add_f32_e32 v99, v99, v100
	s_waitcnt vmcnt(39) lgkmcnt(0)
	v_mul_f32_e32 v100, v95, v153
	v_fma_f32 v76, v81, v143, -v76
	s_waitcnt vmcnt(38)
	v_fmac_f32_e32 v100, v96, v154
	v_add_f32_e32 v75, v75, v76
	v_mul_f32_e32 v76, v84, v137
	v_add_f32_e32 v103, v99, v100
	ds_read2_b64 v[99:102], v74 offset0:55 offset1:56
	v_fma_f32 v76, v83, v144, -v76
	v_add_f32_e32 v75, v75, v76
	v_mul_f32_e32 v76, v86, v138
	s_waitcnt vmcnt(37)
	v_mul_f32_e32 v104, v97, v155
	v_fma_f32 v76, v85, v145, -v76
	s_waitcnt vmcnt(36)
	v_fmac_f32_e32 v104, v98, v156
	v_add_f32_e32 v75, v75, v76
	v_mul_f32_e32 v76, v88, v139
	v_add_f32_e32 v107, v103, v104
	ds_read2_b64 v[103:106], v74 offset0:57 offset1:58
	v_fma_f32 v76, v87, v146, -v76
	s_waitcnt vmcnt(34) lgkmcnt(1)
	v_mul_f32_e32 v108, v99, v158
	v_add_f32_e32 v75, v75, v76
	v_mul_f32_e32 v76, v90, v147
	v_fmac_f32_e32 v108, v100, v157
	v_fma_f32 v76, v89, v148, -v76
	v_add_f32_e32 v107, v107, v108
	s_waitcnt vmcnt(31)
	v_mul_f32_e32 v108, v101, v161
	v_add_f32_e32 v75, v75, v76
	v_mul_f32_e32 v76, v92, v149
	s_waitcnt vmcnt(30)
	v_fmac_f32_e32 v108, v102, v162
	v_fma_f32 v76, v91, v150, -v76
	v_add_f32_e32 v107, v107, v108
	s_waitcnt vmcnt(28) lgkmcnt(0)
	v_mul_f32_e32 v108, v103, v164
	v_add_f32_e32 v75, v75, v76
	v_mul_f32_e32 v76, v94, v151
	v_fmac_f32_e32 v108, v104, v163
	v_fma_f32 v76, v93, v152, -v76
	v_add_f32_e32 v111, v107, v108
	ds_read2_b64 v[107:110], v74 offset0:59 offset1:60
	v_add_f32_e32 v75, v75, v76
	v_mul_f32_e32 v76, v96, v153
	v_fma_f32 v76, v95, v154, -v76
	s_waitcnt vmcnt(26)
	v_mul_f32_e32 v112, v105, v166
	v_add_f32_e32 v75, v75, v76
	v_mul_f32_e32 v76, v98, v155
	v_fmac_f32_e32 v112, v106, v165
	v_fma_f32 v76, v97, v156, -v76
	v_add_f32_e32 v115, v111, v112
	ds_read2_b64 v[111:114], v74 offset0:61 offset1:62
	v_add_f32_e32 v75, v75, v76
	v_mul_f32_e32 v76, v100, v158
	s_waitcnt vmcnt(24) lgkmcnt(1)
	v_mul_f32_e32 v116, v107, v168
	v_fma_f32 v76, v99, v157, -v76
	v_fmac_f32_e32 v116, v108, v167
	v_add_f32_e32 v75, v75, v76
	v_mul_f32_e32 v76, v102, v161
	v_add_f32_e32 v115, v115, v116
	s_waitcnt vmcnt(22)
	v_mul_f32_e32 v116, v109, v170
	v_fma_f32 v76, v101, v162, -v76
	v_fmac_f32_e32 v116, v110, v169
	v_add_f32_e32 v75, v75, v76
	v_mul_f32_e32 v76, v104, v164
	v_add_f32_e32 v115, v115, v116
	s_waitcnt vmcnt(20) lgkmcnt(0)
	v_mul_f32_e32 v116, v111, v172
	v_fma_f32 v76, v103, v163, -v76
	v_fmac_f32_e32 v116, v112, v171
	v_add_f32_e32 v75, v75, v76
	v_mul_f32_e32 v76, v106, v166
	v_add_f32_e32 v119, v115, v116
	ds_read2_b64 v[115:118], v74 offset0:63 offset1:64
	v_fma_f32 v76, v105, v165, -v76
	v_add_f32_e32 v75, v75, v76
	v_mul_f32_e32 v76, v108, v168
	s_waitcnt vmcnt(18)
	v_mul_f32_e32 v120, v113, v174
	v_fma_f32 v76, v107, v167, -v76
	v_fmac_f32_e32 v120, v114, v173
	v_add_f32_e32 v75, v75, v76
	v_mul_f32_e32 v76, v110, v170
	v_add_f32_e32 v123, v119, v120
	ds_read2_b64 v[119:122], v74 offset0:65 offset1:66
	v_fma_f32 v76, v109, v169, -v76
	s_waitcnt vmcnt(16) lgkmcnt(1)
	v_mul_f32_e32 v124, v115, v176
	v_add_f32_e32 v75, v75, v76
	v_mul_f32_e32 v76, v112, v172
	v_fmac_f32_e32 v124, v116, v175
	v_fma_f32 v76, v111, v171, -v76
	v_add_f32_e32 v123, v123, v124
	s_waitcnt vmcnt(14)
	v_mul_f32_e32 v124, v117, v178
	v_add_f32_e32 v75, v75, v76
	v_mul_f32_e32 v76, v114, v174
	v_fmac_f32_e32 v124, v118, v177
	v_fma_f32 v76, v113, v173, -v76
	v_add_f32_e32 v123, v123, v124
	s_waitcnt vmcnt(12) lgkmcnt(0)
	v_mul_f32_e32 v124, v119, v180
	v_add_f32_e32 v75, v75, v76
	v_mul_f32_e32 v76, v116, v176
	v_fmac_f32_e32 v124, v120, v179
	v_fma_f32 v76, v115, v175, -v76
	v_add_f32_e32 v127, v123, v124
	ds_read2_b64 v[123:126], v74 offset0:67 offset1:68
	v_add_f32_e32 v75, v75, v76
	v_mul_f32_e32 v76, v118, v178
	v_fma_f32 v76, v117, v177, -v76
	v_add_f32_e32 v75, v75, v76
	v_mul_f32_e32 v76, v120, v180
	s_waitcnt vmcnt(10)
	v_mul_f32_e32 v128, v121, v182
	v_fma_f32 v76, v119, v179, -v76
	v_fmac_f32_e32 v128, v122, v181
	v_add_f32_e32 v75, v75, v76
	v_mul_f32_e32 v76, v122, v182
	v_add_f32_e32 v131, v127, v128
	ds_read2_b64 v[127:130], v74 offset0:69 offset1:70
	s_waitcnt vmcnt(8) lgkmcnt(1)
	v_mul_f32_e32 v132, v123, v184
	v_fma_f32 v76, v121, v181, -v76
	v_fmac_f32_e32 v132, v124, v183
	v_add_f32_e32 v75, v75, v76
	v_mul_f32_e32 v76, v124, v184
	v_add_f32_e32 v131, v131, v132
	s_waitcnt vmcnt(6)
	v_mul_f32_e32 v132, v125, v186
	v_fma_f32 v76, v123, v183, -v76
	v_fmac_f32_e32 v132, v126, v185
	v_add_f32_e32 v75, v75, v76
	v_mul_f32_e32 v76, v126, v186
	v_add_f32_e32 v193, v131, v132
	ds_read_b64 v[131:132], v74 offset:568
	v_fma_f32 v76, v125, v185, -v76
	v_add_f32_e32 v75, v75, v76
	s_waitcnt vmcnt(4) lgkmcnt(1)
	v_mul_f32_e32 v76, v128, v188
	v_mul_f32_e32 v194, v127, v188
	v_fma_f32 v76, v127, v187, -v76
	v_fmac_f32_e32 v194, v128, v187
	v_add_f32_e32 v75, v75, v76
	s_waitcnt vmcnt(2)
	v_mul_f32_e32 v76, v130, v190
	v_add_f32_e32 v193, v193, v194
	v_mul_f32_e32 v194, v129, v190
	v_fma_f32 v76, v129, v189, -v76
	v_fmac_f32_e32 v194, v130, v189
	v_add_f32_e32 v75, v75, v76
	s_waitcnt vmcnt(0) lgkmcnt(0)
	v_mul_f32_e32 v76, v132, v192
	v_add_f32_e32 v193, v193, v194
	v_mul_f32_e32 v194, v131, v192
	v_fma_f32 v76, v131, v191, -v76
	v_fmac_f32_e32 v194, v132, v191
	v_add_f32_e32 v75, v75, v76
	v_add_f32_e32 v193, v193, v194
	v_sub_f32_e32 v75, v159, v75
	v_sub_f32_e32 v76, v160, v193
	buffer_store_dword v75, off, s[0:3], 0 offset:48
	buffer_store_dword v76, off, s[0:3], 0 offset:52
	s_and_saveexec_b64 s[4:5], vcc
	s_cbranch_execz .LBB99_219
; %bb.218:
	buffer_load_dword v75, off, s[0:3], 0 offset:40
	buffer_load_dword v76, off, s[0:3], 0 offset:44
	s_waitcnt vmcnt(0)
	ds_write_b64 v73, v[75:76]
	buffer_store_dword v74, off, s[0:3], 0 offset:40
	buffer_store_dword v74, off, s[0:3], 0 offset:44
.LBB99_219:
	s_or_b64 exec, exec, s[4:5]
	s_waitcnt lgkmcnt(0)
	; wave barrier
	buffer_load_dword v135, off, s[0:3], 0 offset:52
	buffer_load_dword v136, off, s[0:3], 0 offset:60
	;; [unrolled: 1-line block ×32, first 2 shown]
	ds_read_b128 v[75:78], v74 offset:336
	ds_read_b128 v[79:82], v74 offset:352
	;; [unrolled: 1-line block ×4, first 2 shown]
	buffer_load_dword v167, off, s[0:3], 0 offset:172
	buffer_load_dword v168, off, s[0:3], 0 offset:168
	;; [unrolled: 1-line block ×30, first 2 shown]
	v_cmp_lt_u32_e32 vcc, 4, v0
	s_waitcnt vmcnt(61) lgkmcnt(3)
	v_mul_f32_e32 v91, v75, v135
	s_waitcnt vmcnt(60)
	v_mul_f32_e32 v92, v77, v136
	s_waitcnt vmcnt(59) lgkmcnt(2)
	v_mul_f32_e32 v93, v79, v137
	s_waitcnt vmcnt(58)
	v_mul_f32_e32 v94, v81, v138
	;; [unrolled: 4-line block ×3, first 2 shown]
	s_waitcnt vmcnt(55) lgkmcnt(0)
	v_mul_f32_e32 v97, v87, v141
	s_waitcnt vmcnt(54)
	v_fmac_f32_e32 v91, v76, v142
	s_waitcnt vmcnt(53)
	v_fmac_f32_e32 v92, v78, v143
	v_add_f32_e32 v91, 0, v91
	s_waitcnt vmcnt(52)
	v_fmac_f32_e32 v93, v80, v144
	v_add_f32_e32 v91, v91, v92
	s_waitcnt vmcnt(51)
	v_fmac_f32_e32 v94, v82, v145
	v_add_f32_e32 v91, v91, v93
	s_waitcnt vmcnt(50)
	v_fmac_f32_e32 v95, v84, v146
	v_add_f32_e32 v91, v91, v94
	s_waitcnt vmcnt(49)
	v_fmac_f32_e32 v96, v86, v147
	v_add_f32_e32 v91, v91, v95
	s_waitcnt vmcnt(48)
	v_fmac_f32_e32 v97, v88, v148
	v_add_f32_e32 v91, v91, v96
	v_add_f32_e32 v95, v91, v97
	ds_read_b128 v[91:94], v74 offset:400
	s_waitcnt vmcnt(47)
	v_mul_f32_e32 v96, v89, v149
	s_waitcnt vmcnt(46)
	v_fmac_f32_e32 v96, v90, v150
	v_mul_f32_e32 v76, v76, v135
	v_add_f32_e32 v99, v95, v96
	ds_read_b128 v[95:98], v74 offset:416
	v_fma_f32 v75, v75, v142, -v76
	v_mul_f32_e32 v76, v78, v136
	s_waitcnt vmcnt(45) lgkmcnt(1)
	v_mul_f32_e32 v100, v91, v151
	v_add_f32_e32 v75, 0, v75
	v_fma_f32 v76, v77, v143, -v76
	s_waitcnt vmcnt(44)
	v_fmac_f32_e32 v100, v92, v152
	v_add_f32_e32 v75, v75, v76
	v_mul_f32_e32 v76, v80, v137
	v_add_f32_e32 v99, v99, v100
	s_waitcnt vmcnt(43)
	v_mul_f32_e32 v100, v93, v153
	v_fma_f32 v76, v79, v144, -v76
	s_waitcnt vmcnt(42)
	v_fmac_f32_e32 v100, v94, v154
	v_add_f32_e32 v75, v75, v76
	v_mul_f32_e32 v76, v82, v138
	v_add_f32_e32 v99, v99, v100
	s_waitcnt vmcnt(41) lgkmcnt(0)
	v_mul_f32_e32 v100, v95, v155
	v_fma_f32 v76, v81, v145, -v76
	s_waitcnt vmcnt(40)
	v_fmac_f32_e32 v100, v96, v156
	v_add_f32_e32 v75, v75, v76
	v_mul_f32_e32 v76, v84, v139
	v_add_f32_e32 v103, v99, v100
	ds_read_b128 v[99:102], v74 offset:432
	v_fma_f32 v76, v83, v146, -v76
	v_add_f32_e32 v75, v75, v76
	v_mul_f32_e32 v76, v86, v140
	s_waitcnt vmcnt(39)
	v_mul_f32_e32 v104, v97, v157
	v_fma_f32 v76, v85, v147, -v76
	s_waitcnt vmcnt(38)
	v_fmac_f32_e32 v104, v98, v158
	v_add_f32_e32 v75, v75, v76
	v_mul_f32_e32 v76, v88, v141
	v_add_f32_e32 v107, v103, v104
	ds_read_b128 v[103:106], v74 offset:448
	v_fma_f32 v76, v87, v148, -v76
	s_waitcnt vmcnt(35) lgkmcnt(1)
	v_mul_f32_e32 v108, v99, v161
	v_add_f32_e32 v75, v75, v76
	v_mul_f32_e32 v76, v90, v149
	s_waitcnt vmcnt(34)
	v_fmac_f32_e32 v108, v100, v162
	v_fma_f32 v76, v89, v150, -v76
	v_add_f32_e32 v107, v107, v108
	s_waitcnt vmcnt(32)
	v_mul_f32_e32 v108, v101, v164
	v_add_f32_e32 v75, v75, v76
	v_mul_f32_e32 v76, v92, v151
	v_fmac_f32_e32 v108, v102, v163
	v_fma_f32 v76, v91, v152, -v76
	v_add_f32_e32 v107, v107, v108
	s_waitcnt vmcnt(30) lgkmcnt(0)
	v_mul_f32_e32 v108, v103, v166
	v_add_f32_e32 v75, v75, v76
	v_mul_f32_e32 v76, v94, v153
	v_fmac_f32_e32 v108, v104, v165
	v_fma_f32 v76, v93, v154, -v76
	v_add_f32_e32 v111, v107, v108
	ds_read_b128 v[107:110], v74 offset:464
	v_add_f32_e32 v75, v75, v76
	v_mul_f32_e32 v76, v96, v155
	v_fma_f32 v76, v95, v156, -v76
	s_waitcnt vmcnt(29)
	v_mul_f32_e32 v112, v105, v167
	v_add_f32_e32 v75, v75, v76
	v_mul_f32_e32 v76, v98, v157
	s_waitcnt vmcnt(28)
	v_fmac_f32_e32 v112, v106, v168
	v_fma_f32 v76, v97, v158, -v76
	v_add_f32_e32 v115, v111, v112
	ds_read_b128 v[111:114], v74 offset:480
	v_add_f32_e32 v75, v75, v76
	v_mul_f32_e32 v76, v100, v161
	s_waitcnt vmcnt(26) lgkmcnt(1)
	v_mul_f32_e32 v116, v107, v170
	v_fma_f32 v76, v99, v162, -v76
	v_fmac_f32_e32 v116, v108, v169
	v_add_f32_e32 v75, v75, v76
	v_mul_f32_e32 v76, v102, v164
	v_add_f32_e32 v115, v115, v116
	s_waitcnt vmcnt(24)
	v_mul_f32_e32 v116, v109, v172
	v_fma_f32 v76, v101, v163, -v76
	v_fmac_f32_e32 v116, v110, v171
	v_add_f32_e32 v75, v75, v76
	v_mul_f32_e32 v76, v104, v166
	v_add_f32_e32 v115, v115, v116
	s_waitcnt vmcnt(22) lgkmcnt(0)
	v_mul_f32_e32 v116, v111, v174
	v_fma_f32 v76, v103, v165, -v76
	v_fmac_f32_e32 v116, v112, v173
	v_add_f32_e32 v75, v75, v76
	v_mul_f32_e32 v76, v106, v167
	v_add_f32_e32 v119, v115, v116
	ds_read_b128 v[115:118], v74 offset:496
	v_fma_f32 v76, v105, v168, -v76
	v_add_f32_e32 v75, v75, v76
	v_mul_f32_e32 v76, v108, v170
	s_waitcnt vmcnt(20)
	v_mul_f32_e32 v120, v113, v176
	v_fma_f32 v76, v107, v169, -v76
	v_fmac_f32_e32 v120, v114, v175
	v_add_f32_e32 v75, v75, v76
	v_mul_f32_e32 v76, v110, v172
	v_add_f32_e32 v123, v119, v120
	ds_read_b128 v[119:122], v74 offset:512
	v_fma_f32 v76, v109, v171, -v76
	s_waitcnt vmcnt(18) lgkmcnt(1)
	v_mul_f32_e32 v124, v115, v178
	v_add_f32_e32 v75, v75, v76
	v_mul_f32_e32 v76, v112, v174
	v_fmac_f32_e32 v124, v116, v177
	v_fma_f32 v76, v111, v173, -v76
	v_add_f32_e32 v123, v123, v124
	s_waitcnt vmcnt(16)
	v_mul_f32_e32 v124, v117, v180
	v_add_f32_e32 v75, v75, v76
	v_mul_f32_e32 v76, v114, v176
	v_fmac_f32_e32 v124, v118, v179
	v_fma_f32 v76, v113, v175, -v76
	v_add_f32_e32 v123, v123, v124
	s_waitcnt vmcnt(14) lgkmcnt(0)
	v_mul_f32_e32 v124, v119, v182
	v_add_f32_e32 v75, v75, v76
	v_mul_f32_e32 v76, v116, v178
	v_fmac_f32_e32 v124, v120, v181
	v_fma_f32 v76, v115, v177, -v76
	v_add_f32_e32 v127, v123, v124
	ds_read_b128 v[123:126], v74 offset:528
	v_add_f32_e32 v75, v75, v76
	v_mul_f32_e32 v76, v118, v180
	v_fma_f32 v76, v117, v179, -v76
	v_add_f32_e32 v75, v75, v76
	v_mul_f32_e32 v76, v120, v182
	s_waitcnt vmcnt(12)
	v_mul_f32_e32 v128, v121, v184
	v_fma_f32 v76, v119, v181, -v76
	v_fmac_f32_e32 v128, v122, v183
	v_add_f32_e32 v75, v75, v76
	v_mul_f32_e32 v76, v122, v184
	v_add_f32_e32 v131, v127, v128
	ds_read_b128 v[127:130], v74 offset:544
	s_waitcnt vmcnt(10) lgkmcnt(1)
	v_mul_f32_e32 v132, v123, v186
	v_fma_f32 v76, v121, v183, -v76
	v_fmac_f32_e32 v132, v124, v185
	v_add_f32_e32 v75, v75, v76
	v_mul_f32_e32 v76, v124, v186
	v_add_f32_e32 v131, v131, v132
	s_waitcnt vmcnt(8)
	v_mul_f32_e32 v132, v125, v188
	v_fma_f32 v76, v123, v185, -v76
	v_fmac_f32_e32 v132, v126, v187
	v_add_f32_e32 v75, v75, v76
	v_mul_f32_e32 v76, v126, v188
	v_add_f32_e32 v197, v131, v132
	ds_read_b128 v[131:134], v74 offset:560
	v_fma_f32 v76, v125, v187, -v76
	v_add_f32_e32 v75, v75, v76
	s_waitcnt vmcnt(6) lgkmcnt(1)
	v_mul_f32_e32 v76, v128, v190
	v_mul_f32_e32 v198, v127, v190
	v_fma_f32 v76, v127, v189, -v76
	v_fmac_f32_e32 v198, v128, v189
	v_add_f32_e32 v75, v75, v76
	s_waitcnt vmcnt(4)
	v_mul_f32_e32 v76, v130, v192
	v_add_f32_e32 v74, v197, v198
	v_mul_f32_e32 v197, v129, v192
	v_fma_f32 v76, v129, v191, -v76
	v_fmac_f32_e32 v197, v130, v191
	v_add_f32_e32 v75, v75, v76
	s_waitcnt vmcnt(2) lgkmcnt(0)
	v_mul_f32_e32 v76, v132, v194
	v_add_f32_e32 v74, v74, v197
	v_mul_f32_e32 v197, v131, v194
	v_fma_f32 v76, v131, v193, -v76
	v_fmac_f32_e32 v197, v132, v193
	v_add_f32_e32 v75, v75, v76
	s_waitcnt vmcnt(0)
	v_mul_f32_e32 v76, v134, v196
	v_add_f32_e32 v74, v74, v197
	v_mul_f32_e32 v197, v133, v196
	v_fma_f32 v76, v133, v195, -v76
	v_fmac_f32_e32 v197, v134, v195
	v_add_f32_e32 v75, v75, v76
	v_add_f32_e32 v74, v74, v197
	v_sub_f32_e32 v75, v159, v75
	v_sub_f32_e32 v74, v160, v74
	buffer_store_dword v75, off, s[0:3], 0 offset:40
	buffer_store_dword v74, off, s[0:3], 0 offset:44
	s_and_saveexec_b64 s[4:5], vcc
	s_cbranch_execz .LBB99_221
; %bb.220:
	buffer_load_dword v74, off, s[0:3], 0 offset:32
	buffer_load_dword v75, off, s[0:3], 0 offset:36
	v_mov_b32_e32 v76, 0
	buffer_store_dword v76, off, s[0:3], 0 offset:32
	buffer_store_dword v76, off, s[0:3], 0 offset:36
	s_waitcnt vmcnt(2)
	ds_write_b64 v73, v[74:75]
.LBB99_221:
	s_or_b64 exec, exec, s[4:5]
	s_waitcnt lgkmcnt(0)
	; wave barrier
	buffer_load_dword v137, off, s[0:3], 0 offset:44
	buffer_load_dword v138, off, s[0:3], 0 offset:52
	;; [unrolled: 1-line block ×56, first 2 shown]
	v_mov_b32_e32 v74, 0
	ds_read2_b64 v[75:78], v74 offset0:41 offset1:42
	buffer_load_dword v193, off, s[0:3], 0 offset:256
	buffer_load_dword v194, off, s[0:3], 0 offset:260
	buffer_load_dword v195, off, s[0:3], 0 offset:264
	buffer_load_dword v196, off, s[0:3], 0 offset:268
	ds_read2_b64 v[79:82], v74 offset0:43 offset1:44
	ds_read2_b64 v[83:86], v74 offset0:45 offset1:46
	;; [unrolled: 1-line block ×3, first 2 shown]
	v_cmp_lt_u32_e32 vcc, 3, v0
	s_waitcnt vmcnt(59) lgkmcnt(3)
	v_mul_f32_e32 v91, v75, v137
	s_waitcnt vmcnt(58)
	v_mul_f32_e32 v92, v77, v138
	s_waitcnt vmcnt(57) lgkmcnt(2)
	v_mul_f32_e32 v93, v79, v139
	s_waitcnt vmcnt(56)
	v_mul_f32_e32 v94, v81, v140
	;; [unrolled: 4-line block ×4, first 2 shown]
	s_waitcnt vmcnt(51)
	v_fmac_f32_e32 v91, v76, v145
	s_waitcnt vmcnt(50)
	v_fmac_f32_e32 v92, v78, v146
	v_add_f32_e32 v91, 0, v91
	s_waitcnt vmcnt(49)
	v_fmac_f32_e32 v93, v80, v147
	v_add_f32_e32 v91, v91, v92
	;; [unrolled: 3-line block ×6, first 2 shown]
	v_add_f32_e32 v95, v91, v97
	ds_read2_b64 v[91:94], v74 offset0:49 offset1:50
	buffer_load_dword v197, off, s[0:3], 0 offset:276
	buffer_load_dword v198, off, s[0:3], 0 offset:272
	;; [unrolled: 1-line block ×4, first 2 shown]
	s_waitcnt vmcnt(48)
	v_fmac_f32_e32 v98, v90, v152
	v_add_f32_e32 v99, v95, v98
	ds_read2_b64 v[95:98], v74 offset0:51 offset1:52
	s_waitcnt vmcnt(47) lgkmcnt(1)
	v_mul_f32_e32 v100, v91, v153
	v_mul_f32_e32 v76, v76, v137
	s_waitcnt vmcnt(46)
	v_fmac_f32_e32 v100, v92, v154
	v_fma_f32 v75, v75, v145, -v76
	v_mul_f32_e32 v76, v78, v138
	v_add_f32_e32 v99, v99, v100
	s_waitcnt vmcnt(45)
	v_mul_f32_e32 v100, v93, v155
	v_add_f32_e32 v75, 0, v75
	v_fma_f32 v76, v77, v146, -v76
	s_waitcnt vmcnt(44)
	v_fmac_f32_e32 v100, v94, v156
	v_add_f32_e32 v75, v75, v76
	v_mul_f32_e32 v76, v80, v139
	v_add_f32_e32 v99, v99, v100
	s_waitcnt vmcnt(42) lgkmcnt(0)
	v_mul_f32_e32 v100, v95, v158
	v_fma_f32 v76, v79, v147, -v76
	v_fmac_f32_e32 v100, v96, v157
	v_add_f32_e32 v75, v75, v76
	v_mul_f32_e32 v76, v82, v140
	v_add_f32_e32 v103, v99, v100
	ds_read2_b64 v[99:102], v74 offset0:53 offset1:54
	v_fma_f32 v76, v81, v148, -v76
	v_add_f32_e32 v75, v75, v76
	v_mul_f32_e32 v76, v84, v141
	s_waitcnt vmcnt(39)
	v_mul_f32_e32 v104, v97, v161
	v_fma_f32 v76, v83, v149, -v76
	s_waitcnt vmcnt(38)
	v_fmac_f32_e32 v104, v98, v162
	v_add_f32_e32 v75, v75, v76
	v_mul_f32_e32 v76, v86, v142
	v_add_f32_e32 v107, v103, v104
	ds_read2_b64 v[103:106], v74 offset0:55 offset1:56
	v_fma_f32 v76, v85, v150, -v76
	s_waitcnt vmcnt(36) lgkmcnt(1)
	v_mul_f32_e32 v108, v99, v164
	v_add_f32_e32 v75, v75, v76
	v_mul_f32_e32 v76, v88, v143
	v_fmac_f32_e32 v108, v100, v163
	v_fma_f32 v76, v87, v151, -v76
	v_add_f32_e32 v107, v107, v108
	s_waitcnt vmcnt(34)
	v_mul_f32_e32 v108, v101, v166
	v_add_f32_e32 v75, v75, v76
	v_mul_f32_e32 v76, v90, v144
	v_fmac_f32_e32 v108, v102, v165
	v_fma_f32 v76, v89, v152, -v76
	v_add_f32_e32 v107, v107, v108
	s_waitcnt vmcnt(32) lgkmcnt(0)
	v_mul_f32_e32 v108, v103, v168
	v_add_f32_e32 v75, v75, v76
	v_mul_f32_e32 v76, v92, v153
	v_fmac_f32_e32 v108, v104, v167
	v_fma_f32 v76, v91, v154, -v76
	v_add_f32_e32 v111, v107, v108
	ds_read2_b64 v[107:110], v74 offset0:57 offset1:58
	v_add_f32_e32 v75, v75, v76
	v_mul_f32_e32 v76, v94, v155
	v_fma_f32 v76, v93, v156, -v76
	s_waitcnt vmcnt(30)
	v_mul_f32_e32 v112, v105, v170
	v_add_f32_e32 v75, v75, v76
	v_mul_f32_e32 v76, v96, v158
	v_fmac_f32_e32 v112, v106, v169
	v_fma_f32 v76, v95, v157, -v76
	v_add_f32_e32 v115, v111, v112
	ds_read2_b64 v[111:114], v74 offset0:59 offset1:60
	v_add_f32_e32 v75, v75, v76
	v_mul_f32_e32 v76, v98, v161
	s_waitcnt vmcnt(28) lgkmcnt(1)
	v_mul_f32_e32 v116, v107, v172
	v_fma_f32 v76, v97, v162, -v76
	v_fmac_f32_e32 v116, v108, v171
	v_add_f32_e32 v75, v75, v76
	v_mul_f32_e32 v76, v100, v164
	v_add_f32_e32 v115, v115, v116
	s_waitcnt vmcnt(26)
	v_mul_f32_e32 v116, v109, v174
	v_fma_f32 v76, v99, v163, -v76
	v_fmac_f32_e32 v116, v110, v173
	v_add_f32_e32 v75, v75, v76
	v_mul_f32_e32 v76, v102, v166
	v_add_f32_e32 v115, v115, v116
	s_waitcnt vmcnt(24) lgkmcnt(0)
	v_mul_f32_e32 v116, v111, v176
	v_fma_f32 v76, v101, v165, -v76
	v_fmac_f32_e32 v116, v112, v175
	v_add_f32_e32 v75, v75, v76
	v_mul_f32_e32 v76, v104, v168
	v_add_f32_e32 v119, v115, v116
	ds_read2_b64 v[115:118], v74 offset0:61 offset1:62
	v_fma_f32 v76, v103, v167, -v76
	v_add_f32_e32 v75, v75, v76
	v_mul_f32_e32 v76, v106, v170
	s_waitcnt vmcnt(22)
	v_mul_f32_e32 v120, v113, v178
	v_fma_f32 v76, v105, v169, -v76
	v_fmac_f32_e32 v120, v114, v177
	v_add_f32_e32 v75, v75, v76
	v_mul_f32_e32 v76, v108, v172
	v_add_f32_e32 v123, v119, v120
	ds_read2_b64 v[119:122], v74 offset0:63 offset1:64
	v_fma_f32 v76, v107, v171, -v76
	s_waitcnt vmcnt(20) lgkmcnt(1)
	v_mul_f32_e32 v124, v115, v180
	v_add_f32_e32 v75, v75, v76
	v_mul_f32_e32 v76, v110, v174
	v_fmac_f32_e32 v124, v116, v179
	v_fma_f32 v76, v109, v173, -v76
	v_add_f32_e32 v123, v123, v124
	s_waitcnt vmcnt(18)
	v_mul_f32_e32 v124, v117, v182
	v_add_f32_e32 v75, v75, v76
	v_mul_f32_e32 v76, v112, v176
	v_fmac_f32_e32 v124, v118, v181
	v_fma_f32 v76, v111, v175, -v76
	v_add_f32_e32 v123, v123, v124
	s_waitcnt vmcnt(16) lgkmcnt(0)
	v_mul_f32_e32 v124, v119, v184
	v_add_f32_e32 v75, v75, v76
	v_mul_f32_e32 v76, v114, v178
	v_fmac_f32_e32 v124, v120, v183
	v_fma_f32 v76, v113, v177, -v76
	v_add_f32_e32 v127, v123, v124
	ds_read2_b64 v[123:126], v74 offset0:65 offset1:66
	v_add_f32_e32 v75, v75, v76
	v_mul_f32_e32 v76, v116, v180
	v_fma_f32 v76, v115, v179, -v76
	s_waitcnt vmcnt(14)
	v_mul_f32_e32 v128, v121, v186
	v_add_f32_e32 v75, v75, v76
	v_mul_f32_e32 v76, v118, v182
	v_fmac_f32_e32 v128, v122, v185
	v_fma_f32 v76, v117, v181, -v76
	v_add_f32_e32 v131, v127, v128
	ds_read2_b64 v[127:130], v74 offset0:67 offset1:68
	v_add_f32_e32 v75, v75, v76
	v_mul_f32_e32 v76, v120, v184
	s_waitcnt vmcnt(12) lgkmcnt(1)
	v_mul_f32_e32 v132, v123, v188
	v_fma_f32 v76, v119, v183, -v76
	v_fmac_f32_e32 v132, v124, v187
	v_add_f32_e32 v75, v75, v76
	v_mul_f32_e32 v76, v122, v186
	v_add_f32_e32 v131, v131, v132
	s_waitcnt vmcnt(10)
	v_mul_f32_e32 v132, v125, v190
	v_fma_f32 v76, v121, v185, -v76
	v_fmac_f32_e32 v132, v126, v189
	v_add_f32_e32 v75, v75, v76
	v_mul_f32_e32 v76, v124, v188
	v_add_f32_e32 v131, v131, v132
	s_waitcnt vmcnt(8) lgkmcnt(0)
	v_mul_f32_e32 v132, v127, v192
	v_fma_f32 v76, v123, v187, -v76
	v_fmac_f32_e32 v132, v128, v191
	v_add_f32_e32 v75, v75, v76
	v_mul_f32_e32 v76, v126, v190
	v_add_f32_e32 v135, v131, v132
	ds_read2_b64 v[131:134], v74 offset0:69 offset1:70
	v_fma_f32 v76, v125, v189, -v76
	v_add_f32_e32 v75, v75, v76
	v_mul_f32_e32 v76, v128, v192
	s_waitcnt vmcnt(6)
	v_mul_f32_e32 v136, v129, v194
	v_fma_f32 v76, v127, v191, -v76
	v_fmac_f32_e32 v136, v130, v193
	v_add_f32_e32 v75, v75, v76
	v_mul_f32_e32 v76, v130, v194
	v_add_f32_e32 v201, v135, v136
	ds_read_b64 v[135:136], v74 offset:568
	v_fma_f32 v76, v129, v193, -v76
	v_add_f32_e32 v75, v75, v76
	s_waitcnt vmcnt(4) lgkmcnt(1)
	v_mul_f32_e32 v76, v132, v196
	v_mul_f32_e32 v202, v131, v196
	v_fma_f32 v76, v131, v195, -v76
	v_fmac_f32_e32 v202, v132, v195
	v_add_f32_e32 v75, v75, v76
	s_waitcnt vmcnt(3)
	v_mul_f32_e32 v76, v134, v197
	v_add_f32_e32 v201, v201, v202
	v_mul_f32_e32 v202, v133, v197
	s_waitcnt vmcnt(2)
	v_fma_f32 v76, v133, v198, -v76
	v_fmac_f32_e32 v202, v134, v198
	v_add_f32_e32 v75, v75, v76
	s_waitcnt vmcnt(0) lgkmcnt(0)
	v_mul_f32_e32 v76, v136, v200
	v_add_f32_e32 v201, v201, v202
	v_mul_f32_e32 v202, v135, v200
	v_fma_f32 v76, v135, v199, -v76
	v_fmac_f32_e32 v202, v136, v199
	v_add_f32_e32 v75, v75, v76
	v_add_f32_e32 v201, v201, v202
	v_sub_f32_e32 v75, v159, v75
	v_sub_f32_e32 v76, v160, v201
	buffer_store_dword v75, off, s[0:3], 0 offset:32
	buffer_store_dword v76, off, s[0:3], 0 offset:36
	s_and_saveexec_b64 s[4:5], vcc
	s_cbranch_execz .LBB99_223
; %bb.222:
	buffer_load_dword v75, off, s[0:3], 0 offset:24
	buffer_load_dword v76, off, s[0:3], 0 offset:28
	s_waitcnt vmcnt(0)
	ds_write_b64 v73, v[75:76]
	buffer_store_dword v74, off, s[0:3], 0 offset:24
	buffer_store_dword v74, off, s[0:3], 0 offset:28
.LBB99_223:
	s_or_b64 exec, exec, s[4:5]
	s_waitcnt lgkmcnt(0)
	; wave barrier
	buffer_load_dword v139, off, s[0:3], 0 offset:36
	buffer_load_dword v140, off, s[0:3], 0 offset:44
	;; [unrolled: 1-line block ×26, first 2 shown]
	ds_read_b128 v[75:78], v74 offset:320
	ds_read_b128 v[79:82], v74 offset:336
	;; [unrolled: 1-line block ×4, first 2 shown]
	buffer_load_dword v165, off, s[0:3], 0 offset:132
	buffer_load_dword v166, off, s[0:3], 0 offset:128
	buffer_load_dword v167, off, s[0:3], 0 offset:136
	buffer_load_dword v168, off, s[0:3], 0 offset:140
	buffer_load_dword v169, off, s[0:3], 0 offset:144
	buffer_load_dword v170, off, s[0:3], 0 offset:148
	buffer_load_dword v171, off, s[0:3], 0 offset:152
	buffer_load_dword v172, off, s[0:3], 0 offset:156
	buffer_load_dword v173, off, s[0:3], 0 offset:160
	buffer_load_dword v174, off, s[0:3], 0 offset:164
	buffer_load_dword v175, off, s[0:3], 0 offset:168
	buffer_load_dword v176, off, s[0:3], 0 offset:172
	buffer_load_dword v177, off, s[0:3], 0 offset:176
	buffer_load_dword v178, off, s[0:3], 0 offset:180
	buffer_load_dword v179, off, s[0:3], 0 offset:184
	buffer_load_dword v180, off, s[0:3], 0 offset:188
	buffer_load_dword v181, off, s[0:3], 0 offset:192
	buffer_load_dword v182, off, s[0:3], 0 offset:196
	buffer_load_dword v183, off, s[0:3], 0 offset:200
	buffer_load_dword v184, off, s[0:3], 0 offset:204
	buffer_load_dword v185, off, s[0:3], 0 offset:208
	buffer_load_dword v186, off, s[0:3], 0 offset:212
	buffer_load_dword v187, off, s[0:3], 0 offset:216
	buffer_load_dword v188, off, s[0:3], 0 offset:220
	buffer_load_dword v189, off, s[0:3], 0 offset:224
	buffer_load_dword v190, off, s[0:3], 0 offset:228
	buffer_load_dword v191, off, s[0:3], 0 offset:232
	buffer_load_dword v192, off, s[0:3], 0 offset:236
	buffer_load_dword v193, off, s[0:3], 0 offset:240
	buffer_load_dword v194, off, s[0:3], 0 offset:244
	buffer_load_dword v195, off, s[0:3], 0 offset:248
	buffer_load_dword v196, off, s[0:3], 0 offset:252
	buffer_load_dword v197, off, s[0:3], 0 offset:256
	buffer_load_dword v198, off, s[0:3], 0 offset:260
	v_cmp_lt_u32_e32 vcc, 2, v0
	s_waitcnt vmcnt(59) lgkmcnt(3)
	v_mul_f32_e32 v91, v75, v139
	s_waitcnt vmcnt(58)
	v_mul_f32_e32 v92, v77, v140
	s_waitcnt vmcnt(57) lgkmcnt(2)
	v_mul_f32_e32 v93, v79, v141
	s_waitcnt vmcnt(56)
	v_mul_f32_e32 v94, v81, v142
	;; [unrolled: 4-line block ×4, first 2 shown]
	s_waitcnt vmcnt(51)
	v_fmac_f32_e32 v91, v76, v147
	s_waitcnt vmcnt(50)
	v_fmac_f32_e32 v92, v78, v148
	v_add_f32_e32 v91, 0, v91
	s_waitcnt vmcnt(49)
	v_fmac_f32_e32 v93, v80, v149
	v_add_f32_e32 v91, v91, v92
	s_waitcnt vmcnt(48)
	v_fmac_f32_e32 v94, v82, v150
	v_add_f32_e32 v91, v91, v93
	s_waitcnt vmcnt(47)
	v_fmac_f32_e32 v95, v84, v151
	v_add_f32_e32 v91, v91, v94
	s_waitcnt vmcnt(46)
	v_fmac_f32_e32 v96, v86, v152
	v_add_f32_e32 v91, v91, v95
	s_waitcnt vmcnt(45)
	v_fmac_f32_e32 v97, v88, v153
	v_add_f32_e32 v91, v91, v96
	s_waitcnt vmcnt(44)
	v_fmac_f32_e32 v98, v90, v154
	v_add_f32_e32 v91, v91, v97
	v_add_f32_e32 v99, v91, v98
	ds_read_b128 v[91:94], v74 offset:384
	buffer_load_dword v199, off, s[0:3], 0 offset:268
	buffer_load_dword v200, off, s[0:3], 0 offset:264
	;; [unrolled: 1-line block ×4, first 2 shown]
	ds_read_b128 v[95:98], v74 offset:400
	buffer_load_dword v203, off, s[0:3], 0 offset:280
	buffer_load_dword v204, off, s[0:3], 0 offset:284
	v_mul_f32_e32 v76, v76, v139
	s_waitcnt vmcnt(49) lgkmcnt(1)
	v_mul_f32_e32 v100, v91, v155
	s_waitcnt vmcnt(48)
	v_fmac_f32_e32 v100, v92, v156
	v_fma_f32 v75, v75, v147, -v76
	v_mul_f32_e32 v76, v78, v140
	v_add_f32_e32 v99, v99, v100
	s_waitcnt vmcnt(46)
	v_mul_f32_e32 v100, v93, v158
	v_add_f32_e32 v75, 0, v75
	v_fma_f32 v76, v77, v148, -v76
	v_fmac_f32_e32 v100, v94, v157
	v_add_f32_e32 v75, v75, v76
	v_mul_f32_e32 v76, v80, v141
	v_add_f32_e32 v99, v99, v100
	s_waitcnt vmcnt(43) lgkmcnt(0)
	v_mul_f32_e32 v100, v95, v161
	v_fma_f32 v76, v79, v149, -v76
	s_waitcnt vmcnt(42)
	v_fmac_f32_e32 v100, v96, v162
	v_add_f32_e32 v75, v75, v76
	v_mul_f32_e32 v76, v82, v142
	v_add_f32_e32 v103, v99, v100
	ds_read_b128 v[99:102], v74 offset:416
	v_fma_f32 v76, v81, v150, -v76
	v_add_f32_e32 v75, v75, v76
	v_mul_f32_e32 v76, v84, v143
	s_waitcnt vmcnt(40)
	v_mul_f32_e32 v104, v97, v164
	v_fma_f32 v76, v83, v151, -v76
	v_fmac_f32_e32 v104, v98, v163
	v_add_f32_e32 v75, v75, v76
	v_mul_f32_e32 v76, v86, v144
	v_add_f32_e32 v107, v103, v104
	ds_read_b128 v[103:106], v74 offset:432
	v_fma_f32 v76, v85, v152, -v76
	s_waitcnt vmcnt(39) lgkmcnt(1)
	v_mul_f32_e32 v108, v99, v165
	v_add_f32_e32 v75, v75, v76
	v_mul_f32_e32 v76, v88, v145
	s_waitcnt vmcnt(38)
	v_fmac_f32_e32 v108, v100, v166
	v_fma_f32 v76, v87, v153, -v76
	v_add_f32_e32 v107, v107, v108
	s_waitcnt vmcnt(36)
	v_mul_f32_e32 v108, v101, v168
	v_add_f32_e32 v75, v75, v76
	v_mul_f32_e32 v76, v90, v146
	v_fmac_f32_e32 v108, v102, v167
	v_fma_f32 v76, v89, v154, -v76
	v_add_f32_e32 v107, v107, v108
	s_waitcnt vmcnt(34) lgkmcnt(0)
	v_mul_f32_e32 v108, v103, v170
	v_add_f32_e32 v75, v75, v76
	v_mul_f32_e32 v76, v92, v155
	v_fmac_f32_e32 v108, v104, v169
	v_fma_f32 v76, v91, v156, -v76
	v_add_f32_e32 v111, v107, v108
	ds_read_b128 v[107:110], v74 offset:448
	v_add_f32_e32 v75, v75, v76
	v_mul_f32_e32 v76, v94, v158
	v_fma_f32 v76, v93, v157, -v76
	s_waitcnt vmcnt(32)
	v_mul_f32_e32 v112, v105, v172
	v_add_f32_e32 v75, v75, v76
	v_mul_f32_e32 v76, v96, v161
	v_fmac_f32_e32 v112, v106, v171
	v_fma_f32 v76, v95, v162, -v76
	v_add_f32_e32 v115, v111, v112
	ds_read_b128 v[111:114], v74 offset:464
	v_add_f32_e32 v75, v75, v76
	v_mul_f32_e32 v76, v98, v164
	s_waitcnt vmcnt(30) lgkmcnt(1)
	v_mul_f32_e32 v116, v107, v174
	v_fma_f32 v76, v97, v163, -v76
	v_fmac_f32_e32 v116, v108, v173
	v_add_f32_e32 v75, v75, v76
	v_mul_f32_e32 v76, v100, v165
	v_add_f32_e32 v115, v115, v116
	s_waitcnt vmcnt(28)
	v_mul_f32_e32 v116, v109, v176
	v_fma_f32 v76, v99, v166, -v76
	v_fmac_f32_e32 v116, v110, v175
	v_add_f32_e32 v75, v75, v76
	v_mul_f32_e32 v76, v102, v168
	v_add_f32_e32 v115, v115, v116
	s_waitcnt vmcnt(26) lgkmcnt(0)
	v_mul_f32_e32 v116, v111, v178
	v_fma_f32 v76, v101, v167, -v76
	v_fmac_f32_e32 v116, v112, v177
	v_add_f32_e32 v75, v75, v76
	v_mul_f32_e32 v76, v104, v170
	v_add_f32_e32 v119, v115, v116
	ds_read_b128 v[115:118], v74 offset:480
	v_fma_f32 v76, v103, v169, -v76
	v_add_f32_e32 v75, v75, v76
	v_mul_f32_e32 v76, v106, v172
	s_waitcnt vmcnt(24)
	v_mul_f32_e32 v120, v113, v180
	v_fma_f32 v76, v105, v171, -v76
	v_fmac_f32_e32 v120, v114, v179
	v_add_f32_e32 v75, v75, v76
	v_mul_f32_e32 v76, v108, v174
	v_add_f32_e32 v123, v119, v120
	ds_read_b128 v[119:122], v74 offset:496
	v_fma_f32 v76, v107, v173, -v76
	s_waitcnt vmcnt(22) lgkmcnt(1)
	v_mul_f32_e32 v124, v115, v182
	v_add_f32_e32 v75, v75, v76
	v_mul_f32_e32 v76, v110, v176
	v_fmac_f32_e32 v124, v116, v181
	v_fma_f32 v76, v109, v175, -v76
	v_add_f32_e32 v123, v123, v124
	s_waitcnt vmcnt(20)
	v_mul_f32_e32 v124, v117, v184
	v_add_f32_e32 v75, v75, v76
	v_mul_f32_e32 v76, v112, v178
	v_fmac_f32_e32 v124, v118, v183
	v_fma_f32 v76, v111, v177, -v76
	v_add_f32_e32 v123, v123, v124
	s_waitcnt vmcnt(18) lgkmcnt(0)
	v_mul_f32_e32 v124, v119, v186
	v_add_f32_e32 v75, v75, v76
	v_mul_f32_e32 v76, v114, v180
	v_fmac_f32_e32 v124, v120, v185
	v_fma_f32 v76, v113, v179, -v76
	v_add_f32_e32 v127, v123, v124
	ds_read_b128 v[123:126], v74 offset:512
	v_add_f32_e32 v75, v75, v76
	v_mul_f32_e32 v76, v116, v182
	v_fma_f32 v76, v115, v181, -v76
	s_waitcnt vmcnt(16)
	v_mul_f32_e32 v128, v121, v188
	v_add_f32_e32 v75, v75, v76
	v_mul_f32_e32 v76, v118, v184
	v_fmac_f32_e32 v128, v122, v187
	v_fma_f32 v76, v117, v183, -v76
	v_add_f32_e32 v131, v127, v128
	ds_read_b128 v[127:130], v74 offset:528
	v_add_f32_e32 v75, v75, v76
	v_mul_f32_e32 v76, v120, v186
	s_waitcnt vmcnt(14) lgkmcnt(1)
	v_mul_f32_e32 v132, v123, v190
	v_fma_f32 v76, v119, v185, -v76
	v_fmac_f32_e32 v132, v124, v189
	v_add_f32_e32 v75, v75, v76
	v_mul_f32_e32 v76, v122, v188
	v_add_f32_e32 v131, v131, v132
	s_waitcnt vmcnt(12)
	v_mul_f32_e32 v132, v125, v192
	v_fma_f32 v76, v121, v187, -v76
	v_fmac_f32_e32 v132, v126, v191
	v_add_f32_e32 v75, v75, v76
	v_mul_f32_e32 v76, v124, v190
	v_add_f32_e32 v131, v131, v132
	s_waitcnt vmcnt(10) lgkmcnt(0)
	v_mul_f32_e32 v132, v127, v194
	v_fma_f32 v76, v123, v189, -v76
	v_fmac_f32_e32 v132, v128, v193
	v_add_f32_e32 v75, v75, v76
	v_mul_f32_e32 v76, v126, v192
	v_add_f32_e32 v135, v131, v132
	ds_read_b128 v[131:134], v74 offset:544
	v_fma_f32 v76, v125, v191, -v76
	v_add_f32_e32 v75, v75, v76
	v_mul_f32_e32 v76, v128, v194
	s_waitcnt vmcnt(8)
	v_mul_f32_e32 v136, v129, v196
	v_fma_f32 v76, v127, v193, -v76
	v_fmac_f32_e32 v136, v130, v195
	v_add_f32_e32 v75, v75, v76
	v_mul_f32_e32 v76, v130, v196
	v_add_f32_e32 v205, v135, v136
	ds_read_b128 v[135:138], v74 offset:560
	v_fma_f32 v76, v129, v195, -v76
	v_add_f32_e32 v75, v75, v76
	s_waitcnt vmcnt(6) lgkmcnt(1)
	v_mul_f32_e32 v76, v132, v198
	v_mul_f32_e32 v74, v131, v198
	v_fma_f32 v76, v131, v197, -v76
	v_fmac_f32_e32 v74, v132, v197
	v_add_f32_e32 v75, v75, v76
	s_waitcnt vmcnt(5)
	v_mul_f32_e32 v76, v134, v199
	v_add_f32_e32 v74, v205, v74
	v_mul_f32_e32 v205, v133, v199
	s_waitcnt vmcnt(4)
	v_fma_f32 v76, v133, v200, -v76
	v_fmac_f32_e32 v205, v134, v200
	v_add_f32_e32 v75, v75, v76
	s_waitcnt vmcnt(2) lgkmcnt(0)
	v_mul_f32_e32 v76, v136, v202
	v_add_f32_e32 v74, v74, v205
	v_mul_f32_e32 v205, v135, v202
	v_fma_f32 v76, v135, v201, -v76
	v_fmac_f32_e32 v205, v136, v201
	v_add_f32_e32 v75, v75, v76
	s_waitcnt vmcnt(0)
	v_mul_f32_e32 v76, v138, v204
	v_add_f32_e32 v74, v74, v205
	v_mul_f32_e32 v205, v137, v204
	v_fma_f32 v76, v137, v203, -v76
	v_fmac_f32_e32 v205, v138, v203
	v_add_f32_e32 v75, v75, v76
	v_add_f32_e32 v74, v74, v205
	v_sub_f32_e32 v75, v159, v75
	v_sub_f32_e32 v74, v160, v74
	buffer_store_dword v75, off, s[0:3], 0 offset:24
	buffer_store_dword v74, off, s[0:3], 0 offset:28
	s_and_saveexec_b64 s[4:5], vcc
	s_cbranch_execz .LBB99_225
; %bb.224:
	buffer_load_dword v74, off, s[0:3], 0 offset:16
	buffer_load_dword v75, off, s[0:3], 0 offset:20
	v_mov_b32_e32 v76, 0
	buffer_store_dword v76, off, s[0:3], 0 offset:16
	buffer_store_dword v76, off, s[0:3], 0 offset:20
	s_waitcnt vmcnt(2)
	ds_write_b64 v73, v[74:75]
.LBB99_225:
	s_or_b64 exec, exec, s[4:5]
	s_waitcnt lgkmcnt(0)
	; wave barrier
	buffer_load_dword v141, off, s[0:3], 0 offset:28
	buffer_load_dword v142, off, s[0:3], 0 offset:36
	;; [unrolled: 1-line block ×58, first 2 shown]
	v_mov_b32_e32 v74, 0
	ds_read2_b64 v[75:78], v74 offset0:39 offset1:40
	ds_read2_b64 v[79:82], v74 offset0:41 offset1:42
	;; [unrolled: 1-line block ×5, first 2 shown]
	buffer_load_dword v199, off, s[0:3], 0 offset:248
	buffer_load_dword v200, off, s[0:3], 0 offset:252
	v_cmp_lt_u32_e32 vcc, 1, v0
	s_waitcnt vmcnt(59) lgkmcnt(4)
	v_mul_f32_e32 v95, v75, v141
	s_waitcnt vmcnt(58)
	v_mul_f32_e32 v96, v77, v142
	s_waitcnt vmcnt(57) lgkmcnt(3)
	v_mul_f32_e32 v97, v79, v143
	s_waitcnt vmcnt(56)
	v_mul_f32_e32 v98, v81, v144
	;; [unrolled: 4-line block ×4, first 2 shown]
	s_waitcnt vmcnt(51)
	v_fmac_f32_e32 v95, v76, v149
	s_waitcnt vmcnt(50)
	v_fmac_f32_e32 v96, v78, v150
	v_add_f32_e32 v95, 0, v95
	s_waitcnt vmcnt(49)
	v_fmac_f32_e32 v97, v80, v151
	v_add_f32_e32 v95, v95, v96
	;; [unrolled: 3-line block ×7, first 2 shown]
	v_add_f32_e32 v99, v95, v102
	ds_read2_b64 v[95:98], v74 offset0:49 offset1:50
	buffer_load_dword v201, off, s[0:3], 0 offset:260
	buffer_load_dword v202, off, s[0:3], 0 offset:256
	;; [unrolled: 1-line block ×8, first 2 shown]
	s_waitcnt vmcnt(51) lgkmcnt(1)
	v_mul_f32_e32 v100, v91, v157
	s_waitcnt vmcnt(50)
	v_fmac_f32_e32 v100, v92, v158
	v_mul_f32_e32 v76, v76, v141
	v_add_f32_e32 v99, v99, v100
	s_waitcnt vmcnt(49)
	v_mul_f32_e32 v100, v93, v159
	v_fma_f32 v75, v75, v149, -v76
	v_mul_f32_e32 v76, v78, v142
	s_waitcnt vmcnt(46)
	v_fmac_f32_e32 v100, v94, v162
	v_add_f32_e32 v75, 0, v75
	v_fma_f32 v76, v77, v150, -v76
	v_add_f32_e32 v99, v99, v100
	s_waitcnt vmcnt(44) lgkmcnt(0)
	v_mul_f32_e32 v100, v95, v164
	v_add_f32_e32 v75, v75, v76
	v_mul_f32_e32 v76, v80, v143
	v_fmac_f32_e32 v100, v96, v163
	v_fma_f32 v76, v79, v151, -v76
	v_add_f32_e32 v103, v99, v100
	ds_read2_b64 v[99:102], v74 offset0:51 offset1:52
	v_add_f32_e32 v75, v75, v76
	v_mul_f32_e32 v76, v82, v144
	v_fma_f32 v76, v81, v152, -v76
	s_waitcnt vmcnt(42)
	v_mul_f32_e32 v104, v97, v166
	v_add_f32_e32 v75, v75, v76
	v_mul_f32_e32 v76, v84, v145
	v_fmac_f32_e32 v104, v98, v165
	v_fma_f32 v76, v83, v153, -v76
	v_add_f32_e32 v107, v103, v104
	ds_read2_b64 v[103:106], v74 offset0:53 offset1:54
	v_add_f32_e32 v75, v75, v76
	v_mul_f32_e32 v76, v86, v146
	s_waitcnt vmcnt(40) lgkmcnt(1)
	v_mul_f32_e32 v108, v99, v168
	v_fma_f32 v76, v85, v154, -v76
	v_fmac_f32_e32 v108, v100, v167
	v_add_f32_e32 v75, v75, v76
	v_mul_f32_e32 v76, v88, v147
	v_add_f32_e32 v107, v107, v108
	s_waitcnt vmcnt(38)
	v_mul_f32_e32 v108, v101, v170
	v_fma_f32 v76, v87, v155, -v76
	v_fmac_f32_e32 v108, v102, v169
	v_add_f32_e32 v75, v75, v76
	v_mul_f32_e32 v76, v90, v148
	v_add_f32_e32 v107, v107, v108
	s_waitcnt vmcnt(36) lgkmcnt(0)
	v_mul_f32_e32 v108, v103, v172
	v_fma_f32 v76, v89, v156, -v76
	v_fmac_f32_e32 v108, v104, v171
	v_add_f32_e32 v75, v75, v76
	v_mul_f32_e32 v76, v92, v157
	v_add_f32_e32 v111, v107, v108
	ds_read2_b64 v[107:110], v74 offset0:55 offset1:56
	v_fma_f32 v76, v91, v158, -v76
	v_add_f32_e32 v75, v75, v76
	v_mul_f32_e32 v76, v94, v159
	s_waitcnt vmcnt(34)
	v_mul_f32_e32 v112, v105, v174
	v_fma_f32 v76, v93, v162, -v76
	v_fmac_f32_e32 v112, v106, v173
	v_add_f32_e32 v75, v75, v76
	v_mul_f32_e32 v76, v96, v164
	v_add_f32_e32 v115, v111, v112
	ds_read2_b64 v[111:114], v74 offset0:57 offset1:58
	v_fma_f32 v76, v95, v163, -v76
	s_waitcnt vmcnt(32) lgkmcnt(1)
	v_mul_f32_e32 v116, v107, v176
	v_add_f32_e32 v75, v75, v76
	v_mul_f32_e32 v76, v98, v166
	v_fmac_f32_e32 v116, v108, v175
	v_fma_f32 v76, v97, v165, -v76
	v_add_f32_e32 v115, v115, v116
	s_waitcnt vmcnt(30)
	v_mul_f32_e32 v116, v109, v178
	v_add_f32_e32 v75, v75, v76
	v_mul_f32_e32 v76, v100, v168
	v_fmac_f32_e32 v116, v110, v177
	v_fma_f32 v76, v99, v167, -v76
	v_add_f32_e32 v115, v115, v116
	s_waitcnt vmcnt(28) lgkmcnt(0)
	v_mul_f32_e32 v116, v111, v180
	v_add_f32_e32 v75, v75, v76
	v_mul_f32_e32 v76, v102, v170
	v_fmac_f32_e32 v116, v112, v179
	v_fma_f32 v76, v101, v169, -v76
	v_add_f32_e32 v119, v115, v116
	ds_read2_b64 v[115:118], v74 offset0:59 offset1:60
	v_add_f32_e32 v75, v75, v76
	v_mul_f32_e32 v76, v104, v172
	v_fma_f32 v76, v103, v171, -v76
	s_waitcnt vmcnt(26)
	v_mul_f32_e32 v120, v113, v182
	v_add_f32_e32 v75, v75, v76
	v_mul_f32_e32 v76, v106, v174
	v_fmac_f32_e32 v120, v114, v181
	v_fma_f32 v76, v105, v173, -v76
	v_add_f32_e32 v123, v119, v120
	ds_read2_b64 v[119:122], v74 offset0:61 offset1:62
	v_add_f32_e32 v75, v75, v76
	v_mul_f32_e32 v76, v108, v176
	s_waitcnt vmcnt(24) lgkmcnt(1)
	v_mul_f32_e32 v124, v115, v184
	v_fma_f32 v76, v107, v175, -v76
	v_fmac_f32_e32 v124, v116, v183
	v_add_f32_e32 v75, v75, v76
	v_mul_f32_e32 v76, v110, v178
	v_add_f32_e32 v123, v123, v124
	s_waitcnt vmcnt(22)
	v_mul_f32_e32 v124, v117, v186
	v_fma_f32 v76, v109, v177, -v76
	v_fmac_f32_e32 v124, v118, v185
	v_add_f32_e32 v75, v75, v76
	v_mul_f32_e32 v76, v112, v180
	v_add_f32_e32 v123, v123, v124
	s_waitcnt vmcnt(20) lgkmcnt(0)
	v_mul_f32_e32 v124, v119, v188
	v_fma_f32 v76, v111, v179, -v76
	v_fmac_f32_e32 v124, v120, v187
	v_add_f32_e32 v75, v75, v76
	v_mul_f32_e32 v76, v114, v182
	v_add_f32_e32 v127, v123, v124
	ds_read2_b64 v[123:126], v74 offset0:63 offset1:64
	v_fma_f32 v76, v113, v181, -v76
	v_add_f32_e32 v75, v75, v76
	v_mul_f32_e32 v76, v116, v184
	s_waitcnt vmcnt(18)
	v_mul_f32_e32 v128, v121, v190
	v_fma_f32 v76, v115, v183, -v76
	v_fmac_f32_e32 v128, v122, v189
	v_add_f32_e32 v75, v75, v76
	v_mul_f32_e32 v76, v118, v186
	v_add_f32_e32 v131, v127, v128
	ds_read2_b64 v[127:130], v74 offset0:65 offset1:66
	v_fma_f32 v76, v117, v185, -v76
	s_waitcnt vmcnt(16) lgkmcnt(1)
	v_mul_f32_e32 v132, v123, v192
	v_add_f32_e32 v75, v75, v76
	v_mul_f32_e32 v76, v120, v188
	v_fmac_f32_e32 v132, v124, v191
	v_fma_f32 v76, v119, v187, -v76
	v_add_f32_e32 v131, v131, v132
	s_waitcnt vmcnt(14)
	v_mul_f32_e32 v132, v125, v194
	v_add_f32_e32 v75, v75, v76
	v_mul_f32_e32 v76, v122, v190
	v_fmac_f32_e32 v132, v126, v193
	v_fma_f32 v76, v121, v189, -v76
	v_add_f32_e32 v131, v131, v132
	s_waitcnt vmcnt(12) lgkmcnt(0)
	v_mul_f32_e32 v132, v127, v196
	v_add_f32_e32 v75, v75, v76
	v_mul_f32_e32 v76, v124, v192
	v_fmac_f32_e32 v132, v128, v195
	v_fma_f32 v76, v123, v191, -v76
	v_add_f32_e32 v135, v131, v132
	ds_read2_b64 v[131:134], v74 offset0:67 offset1:68
	v_add_f32_e32 v75, v75, v76
	v_mul_f32_e32 v76, v126, v194
	v_fma_f32 v76, v125, v193, -v76
	v_add_f32_e32 v75, v75, v76
	v_mul_f32_e32 v76, v128, v196
	s_waitcnt vmcnt(10)
	v_mul_f32_e32 v136, v129, v198
	v_fma_f32 v76, v127, v195, -v76
	v_fmac_f32_e32 v136, v130, v197
	v_add_f32_e32 v75, v75, v76
	v_mul_f32_e32 v76, v130, v198
	v_add_f32_e32 v139, v135, v136
	ds_read2_b64 v[135:138], v74 offset0:69 offset1:70
	s_waitcnt vmcnt(8) lgkmcnt(1)
	v_mul_f32_e32 v140, v131, v200
	v_fma_f32 v76, v129, v197, -v76
	v_fmac_f32_e32 v140, v132, v199
	v_add_f32_e32 v75, v75, v76
	v_mul_f32_e32 v76, v132, v200
	v_add_f32_e32 v139, v139, v140
	s_waitcnt vmcnt(7)
	v_mul_f32_e32 v140, v133, v201
	v_fma_f32 v76, v131, v199, -v76
	s_waitcnt vmcnt(6)
	v_fmac_f32_e32 v140, v134, v202
	v_add_f32_e32 v75, v75, v76
	v_mul_f32_e32 v76, v134, v201
	v_add_f32_e32 v209, v139, v140
	ds_read_b64 v[139:140], v74 offset:568
	v_fma_f32 v76, v133, v202, -v76
	v_add_f32_e32 v75, v75, v76
	s_waitcnt vmcnt(4) lgkmcnt(1)
	v_mul_f32_e32 v76, v136, v204
	v_mul_f32_e32 v210, v135, v204
	v_fma_f32 v76, v135, v203, -v76
	v_fmac_f32_e32 v210, v136, v203
	v_add_f32_e32 v75, v75, v76
	s_waitcnt vmcnt(3)
	v_mul_f32_e32 v76, v138, v205
	v_add_f32_e32 v209, v209, v210
	v_mul_f32_e32 v210, v137, v205
	s_waitcnt vmcnt(2)
	v_fma_f32 v76, v137, v206, -v76
	v_fmac_f32_e32 v210, v138, v206
	v_add_f32_e32 v75, v75, v76
	s_waitcnt vmcnt(0) lgkmcnt(0)
	v_mul_f32_e32 v76, v140, v208
	v_add_f32_e32 v209, v209, v210
	v_mul_f32_e32 v210, v139, v208
	v_fma_f32 v76, v139, v207, -v76
	v_fmac_f32_e32 v210, v140, v207
	v_add_f32_e32 v75, v75, v76
	v_add_f32_e32 v209, v209, v210
	v_sub_f32_e32 v75, v160, v75
	v_sub_f32_e32 v76, v161, v209
	buffer_store_dword v75, off, s[0:3], 0 offset:16
	buffer_store_dword v76, off, s[0:3], 0 offset:20
	s_and_saveexec_b64 s[4:5], vcc
	s_cbranch_execz .LBB99_227
; %bb.226:
	buffer_load_dword v75, off, s[0:3], 0 offset:8
	buffer_load_dword v76, off, s[0:3], 0 offset:12
	s_waitcnt vmcnt(0)
	ds_write_b64 v73, v[75:76]
	buffer_store_dword v74, off, s[0:3], 0 offset:8
	buffer_store_dword v74, off, s[0:3], 0 offset:12
.LBB99_227:
	s_or_b64 exec, exec, s[4:5]
	s_waitcnt lgkmcnt(0)
	; wave barrier
	buffer_load_dword v143, off, s[0:3], 0 offset:20
	buffer_load_dword v144, off, s[0:3], 0 offset:28
	;; [unrolled: 1-line block ×24, first 2 shown]
	ds_read_b128 v[75:78], v74 offset:304
	ds_read_b128 v[79:82], v74 offset:320
	ds_read_b128 v[83:86], v74 offset:336
	ds_read_b128 v[87:90], v74 offset:352
	ds_read_b128 v[91:94], v74 offset:368
	ds_read_b128 v[95:98], v74 offset:384
	buffer_load_dword v167, off, s[0:3], 0 offset:108
	buffer_load_dword v168, off, s[0:3], 0 offset:104
	;; [unrolled: 1-line block ×46, first 2 shown]
	v_cmp_ne_u32_e32 vcc, 0, v0
	s_waitcnt vmcnt(62) lgkmcnt(5)
	v_mul_f32_e32 v99, v75, v143
	v_mul_f32_e32 v100, v77, v144
	s_waitcnt lgkmcnt(4)
	v_mul_f32_e32 v101, v79, v145
	v_mul_f32_e32 v102, v81, v146
	s_waitcnt lgkmcnt(3)
	;; [unrolled: 3-line block ×3, first 2 shown]
	v_mul_f32_e32 v105, v87, v149
	v_mul_f32_e32 v106, v89, v150
	s_waitcnt vmcnt(61)
	v_fmac_f32_e32 v99, v76, v151
	s_waitcnt vmcnt(60)
	v_fmac_f32_e32 v100, v78, v152
	v_add_f32_e32 v99, 0, v99
	s_waitcnt vmcnt(59)
	v_fmac_f32_e32 v101, v80, v153
	v_add_f32_e32 v99, v99, v100
	s_waitcnt vmcnt(58)
	v_fmac_f32_e32 v102, v82, v154
	v_add_f32_e32 v99, v99, v101
	s_waitcnt vmcnt(57)
	v_fmac_f32_e32 v103, v84, v155
	v_add_f32_e32 v99, v99, v102
	s_waitcnt vmcnt(56)
	v_fmac_f32_e32 v104, v86, v156
	v_add_f32_e32 v99, v99, v103
	s_waitcnt vmcnt(55)
	v_fmac_f32_e32 v105, v88, v157
	v_add_f32_e32 v99, v99, v104
	s_waitcnt vmcnt(54)
	v_fmac_f32_e32 v106, v90, v158
	v_add_f32_e32 v99, v99, v105
	s_waitcnt vmcnt(53) lgkmcnt(1)
	v_mul_f32_e32 v100, v91, v159
	v_add_f32_e32 v99, v99, v106
	s_waitcnt vmcnt(52)
	v_fmac_f32_e32 v100, v92, v160
	v_mul_f32_e32 v76, v76, v143
	v_add_f32_e32 v99, v99, v100
	s_waitcnt vmcnt(51)
	v_mul_f32_e32 v100, v93, v161
	v_fma_f32 v75, v75, v151, -v76
	v_mul_f32_e32 v76, v78, v144
	s_waitcnt vmcnt(50)
	v_fmac_f32_e32 v100, v94, v162
	v_add_f32_e32 v75, 0, v75
	v_fma_f32 v76, v77, v152, -v76
	v_add_f32_e32 v99, v99, v100
	s_waitcnt vmcnt(47) lgkmcnt(0)
	v_mul_f32_e32 v100, v95, v165
	v_add_f32_e32 v75, v75, v76
	v_mul_f32_e32 v76, v80, v145
	s_waitcnt vmcnt(46)
	v_fmac_f32_e32 v100, v96, v166
	v_fma_f32 v76, v79, v153, -v76
	v_add_f32_e32 v103, v99, v100
	ds_read_b128 v[99:102], v74 offset:400
	v_add_f32_e32 v75, v75, v76
	v_mul_f32_e32 v76, v82, v146
	v_fma_f32 v76, v81, v154, -v76
	s_waitcnt vmcnt(45)
	v_mul_f32_e32 v104, v97, v167
	v_add_f32_e32 v75, v75, v76
	v_mul_f32_e32 v76, v84, v147
	s_waitcnt vmcnt(44)
	v_fmac_f32_e32 v104, v98, v168
	v_fma_f32 v76, v83, v155, -v76
	v_add_f32_e32 v107, v103, v104
	ds_read_b128 v[103:106], v74 offset:416
	v_add_f32_e32 v75, v75, v76
	v_mul_f32_e32 v76, v86, v148
	s_waitcnt vmcnt(42) lgkmcnt(1)
	v_mul_f32_e32 v108, v99, v170
	v_fma_f32 v76, v85, v156, -v76
	v_fmac_f32_e32 v108, v100, v169
	v_add_f32_e32 v75, v75, v76
	v_mul_f32_e32 v76, v88, v149
	v_add_f32_e32 v107, v107, v108
	s_waitcnt vmcnt(40)
	v_mul_f32_e32 v108, v101, v172
	v_fma_f32 v76, v87, v157, -v76
	v_fmac_f32_e32 v108, v102, v171
	v_add_f32_e32 v75, v75, v76
	v_mul_f32_e32 v76, v90, v150
	v_add_f32_e32 v107, v107, v108
	s_waitcnt vmcnt(38) lgkmcnt(0)
	v_mul_f32_e32 v108, v103, v174
	v_fma_f32 v76, v89, v158, -v76
	v_fmac_f32_e32 v108, v104, v173
	v_add_f32_e32 v75, v75, v76
	v_mul_f32_e32 v76, v92, v159
	v_add_f32_e32 v111, v107, v108
	ds_read_b128 v[107:110], v74 offset:432
	v_fma_f32 v76, v91, v160, -v76
	v_add_f32_e32 v75, v75, v76
	v_mul_f32_e32 v76, v94, v161
	s_waitcnt vmcnt(36)
	v_mul_f32_e32 v112, v105, v176
	v_fma_f32 v76, v93, v162, -v76
	v_fmac_f32_e32 v112, v106, v175
	v_add_f32_e32 v75, v75, v76
	v_mul_f32_e32 v76, v96, v165
	v_add_f32_e32 v115, v111, v112
	ds_read_b128 v[111:114], v74 offset:448
	v_fma_f32 v76, v95, v166, -v76
	s_waitcnt vmcnt(34) lgkmcnt(1)
	v_mul_f32_e32 v116, v107, v178
	v_add_f32_e32 v75, v75, v76
	v_mul_f32_e32 v76, v98, v167
	v_fmac_f32_e32 v116, v108, v177
	v_fma_f32 v76, v97, v168, -v76
	v_add_f32_e32 v115, v115, v116
	s_waitcnt vmcnt(32)
	v_mul_f32_e32 v116, v109, v180
	v_add_f32_e32 v75, v75, v76
	v_mul_f32_e32 v76, v100, v170
	v_fmac_f32_e32 v116, v110, v179
	v_fma_f32 v76, v99, v169, -v76
	v_add_f32_e32 v115, v115, v116
	s_waitcnt vmcnt(30) lgkmcnt(0)
	v_mul_f32_e32 v116, v111, v182
	v_add_f32_e32 v75, v75, v76
	v_mul_f32_e32 v76, v102, v172
	v_fmac_f32_e32 v116, v112, v181
	v_fma_f32 v76, v101, v171, -v76
	v_add_f32_e32 v119, v115, v116
	ds_read_b128 v[115:118], v74 offset:464
	v_add_f32_e32 v75, v75, v76
	v_mul_f32_e32 v76, v104, v174
	v_fma_f32 v76, v103, v173, -v76
	s_waitcnt vmcnt(28)
	v_mul_f32_e32 v120, v113, v184
	v_add_f32_e32 v75, v75, v76
	v_mul_f32_e32 v76, v106, v176
	v_fmac_f32_e32 v120, v114, v183
	v_fma_f32 v76, v105, v175, -v76
	v_add_f32_e32 v123, v119, v120
	ds_read_b128 v[119:122], v74 offset:480
	v_add_f32_e32 v75, v75, v76
	v_mul_f32_e32 v76, v108, v178
	s_waitcnt vmcnt(26) lgkmcnt(1)
	v_mul_f32_e32 v124, v115, v186
	v_fma_f32 v76, v107, v177, -v76
	v_fmac_f32_e32 v124, v116, v185
	v_add_f32_e32 v75, v75, v76
	v_mul_f32_e32 v76, v110, v180
	v_add_f32_e32 v123, v123, v124
	s_waitcnt vmcnt(24)
	v_mul_f32_e32 v124, v117, v188
	v_fma_f32 v76, v109, v179, -v76
	v_fmac_f32_e32 v124, v118, v187
	v_add_f32_e32 v75, v75, v76
	v_mul_f32_e32 v76, v112, v182
	v_add_f32_e32 v123, v123, v124
	s_waitcnt vmcnt(22) lgkmcnt(0)
	v_mul_f32_e32 v124, v119, v190
	v_fma_f32 v76, v111, v181, -v76
	v_fmac_f32_e32 v124, v120, v189
	v_add_f32_e32 v75, v75, v76
	v_mul_f32_e32 v76, v114, v184
	v_add_f32_e32 v127, v123, v124
	ds_read_b128 v[123:126], v74 offset:496
	v_fma_f32 v76, v113, v183, -v76
	v_add_f32_e32 v75, v75, v76
	v_mul_f32_e32 v76, v116, v186
	s_waitcnt vmcnt(20)
	v_mul_f32_e32 v128, v121, v192
	v_fma_f32 v76, v115, v185, -v76
	v_fmac_f32_e32 v128, v122, v191
	v_add_f32_e32 v75, v75, v76
	v_mul_f32_e32 v76, v118, v188
	v_add_f32_e32 v131, v127, v128
	ds_read_b128 v[127:130], v74 offset:512
	v_fma_f32 v76, v117, v187, -v76
	s_waitcnt vmcnt(18) lgkmcnt(1)
	v_mul_f32_e32 v132, v123, v194
	v_add_f32_e32 v75, v75, v76
	v_mul_f32_e32 v76, v120, v190
	v_fmac_f32_e32 v132, v124, v193
	v_fma_f32 v76, v119, v189, -v76
	v_add_f32_e32 v131, v131, v132
	s_waitcnt vmcnt(16)
	v_mul_f32_e32 v132, v125, v196
	v_add_f32_e32 v75, v75, v76
	v_mul_f32_e32 v76, v122, v192
	v_fmac_f32_e32 v132, v126, v195
	v_fma_f32 v76, v121, v191, -v76
	v_add_f32_e32 v131, v131, v132
	s_waitcnt vmcnt(14) lgkmcnt(0)
	v_mul_f32_e32 v132, v127, v198
	v_add_f32_e32 v75, v75, v76
	v_mul_f32_e32 v76, v124, v194
	v_fmac_f32_e32 v132, v128, v197
	v_fma_f32 v76, v123, v193, -v76
	v_add_f32_e32 v135, v131, v132
	ds_read_b128 v[131:134], v74 offset:528
	v_add_f32_e32 v75, v75, v76
	v_mul_f32_e32 v76, v126, v196
	v_fma_f32 v76, v125, v195, -v76
	v_add_f32_e32 v75, v75, v76
	v_mul_f32_e32 v76, v128, v198
	s_waitcnt vmcnt(12)
	v_mul_f32_e32 v136, v129, v200
	v_fma_f32 v76, v127, v197, -v76
	v_fmac_f32_e32 v136, v130, v199
	v_add_f32_e32 v75, v75, v76
	v_mul_f32_e32 v76, v130, v200
	v_add_f32_e32 v139, v135, v136
	ds_read_b128 v[135:138], v74 offset:544
	s_waitcnt vmcnt(10) lgkmcnt(1)
	v_mul_f32_e32 v140, v131, v202
	v_fma_f32 v76, v129, v199, -v76
	v_fmac_f32_e32 v140, v132, v201
	v_add_f32_e32 v75, v75, v76
	v_mul_f32_e32 v76, v132, v202
	v_add_f32_e32 v139, v139, v140
	s_waitcnt vmcnt(9)
	v_mul_f32_e32 v140, v133, v203
	v_fma_f32 v76, v131, v201, -v76
	s_waitcnt vmcnt(8)
	v_fmac_f32_e32 v140, v134, v204
	v_add_f32_e32 v75, v75, v76
	v_mul_f32_e32 v76, v134, v203
	v_add_f32_e32 v213, v139, v140
	ds_read_b128 v[139:142], v74 offset:560
	v_fma_f32 v76, v133, v204, -v76
	v_add_f32_e32 v75, v75, v76
	s_waitcnt vmcnt(6) lgkmcnt(1)
	v_mul_f32_e32 v76, v136, v206
	v_mul_f32_e32 v214, v135, v206
	v_fma_f32 v76, v135, v205, -v76
	v_fmac_f32_e32 v214, v136, v205
	v_add_f32_e32 v75, v75, v76
	s_waitcnt vmcnt(4)
	v_mul_f32_e32 v76, v138, v208
	v_add_f32_e32 v74, v213, v214
	v_mul_f32_e32 v213, v137, v208
	v_fma_f32 v76, v137, v207, -v76
	v_fmac_f32_e32 v213, v138, v207
	v_add_f32_e32 v75, v75, v76
	s_waitcnt vmcnt(3) lgkmcnt(0)
	v_mul_f32_e32 v76, v140, v209
	v_add_f32_e32 v74, v74, v213
	v_mul_f32_e32 v213, v139, v209
	s_waitcnt vmcnt(2)
	v_fma_f32 v76, v139, v210, -v76
	v_fmac_f32_e32 v213, v140, v210
	v_add_f32_e32 v75, v75, v76
	s_waitcnt vmcnt(0)
	v_mul_f32_e32 v76, v142, v212
	v_add_f32_e32 v74, v74, v213
	v_mul_f32_e32 v213, v141, v212
	v_fma_f32 v76, v141, v211, -v76
	v_fmac_f32_e32 v213, v142, v211
	v_add_f32_e32 v75, v75, v76
	v_add_f32_e32 v74, v74, v213
	v_sub_f32_e32 v75, v163, v75
	v_sub_f32_e32 v74, v164, v74
	buffer_store_dword v75, off, s[0:3], 0 offset:8
	buffer_store_dword v74, off, s[0:3], 0 offset:12
	s_and_saveexec_b64 s[4:5], vcc
	s_cbranch_execz .LBB99_229
; %bb.228:
	buffer_load_dword v74, off, s[0:3], 0
	buffer_load_dword v75, off, s[0:3], 0 offset:4
	v_mov_b32_e32 v0, 0
	buffer_store_dword v0, off, s[0:3], 0
	buffer_store_dword v0, off, s[0:3], 0 offset:4
	s_waitcnt vmcnt(2)
	ds_write_b64 v73, v[74:75]
.LBB99_229:
	s_or_b64 exec, exec, s[4:5]
	s_waitcnt lgkmcnt(0)
	; wave barrier
	buffer_load_dword v143, off, s[0:3], 0 offset:12
	buffer_load_dword v144, off, s[0:3], 0 offset:20
	;; [unrolled: 1-line block ×21, first 2 shown]
	buffer_load_dword v164, off, s[0:3], 0
	buffer_load_dword v165, off, s[0:3], 0 offset:4
	buffer_load_dword v166, off, s[0:3], 0 offset:88
	buffer_load_dword v167, off, s[0:3], 0 offset:96
	buffer_load_dword v168, off, s[0:3], 0 offset:100
	buffer_load_dword v169, off, s[0:3], 0 offset:104
	buffer_load_dword v170, off, s[0:3], 0 offset:108
	buffer_load_dword v171, off, s[0:3], 0 offset:112
	buffer_load_dword v172, off, s[0:3], 0 offset:116
	buffer_load_dword v173, off, s[0:3], 0 offset:120
	buffer_load_dword v174, off, s[0:3], 0 offset:124
	buffer_load_dword v175, off, s[0:3], 0 offset:128
	buffer_load_dword v176, off, s[0:3], 0 offset:132
	buffer_load_dword v177, off, s[0:3], 0 offset:136
	buffer_load_dword v178, off, s[0:3], 0 offset:140
	buffer_load_dword v179, off, s[0:3], 0 offset:144
	buffer_load_dword v180, off, s[0:3], 0 offset:148
	buffer_load_dword v181, off, s[0:3], 0 offset:152
	buffer_load_dword v182, off, s[0:3], 0 offset:156
	buffer_load_dword v183, off, s[0:3], 0 offset:160
	buffer_load_dword v184, off, s[0:3], 0 offset:164
	buffer_load_dword v185, off, s[0:3], 0 offset:168
	buffer_load_dword v186, off, s[0:3], 0 offset:172
	buffer_load_dword v187, off, s[0:3], 0 offset:176
	buffer_load_dword v188, off, s[0:3], 0 offset:180
	buffer_load_dword v189, off, s[0:3], 0 offset:184
	buffer_load_dword v190, off, s[0:3], 0 offset:188
	buffer_load_dword v191, off, s[0:3], 0 offset:192
	buffer_load_dword v192, off, s[0:3], 0 offset:196
	buffer_load_dword v193, off, s[0:3], 0 offset:200
	buffer_load_dword v194, off, s[0:3], 0 offset:204
	buffer_load_dword v195, off, s[0:3], 0 offset:208
	buffer_load_dword v196, off, s[0:3], 0 offset:212
	buffer_load_dword v197, off, s[0:3], 0 offset:216
	buffer_load_dword v198, off, s[0:3], 0 offset:220
	v_mov_b32_e32 v0, 0
	ds_read2_b64 v[73:76], v0 offset0:37 offset1:38
	ds_read2_b64 v[77:80], v0 offset0:39 offset1:40
	;; [unrolled: 1-line block ×6, first 2 shown]
	buffer_load_dword v199, off, s[0:3], 0 offset:224
	buffer_load_dword v200, off, s[0:3], 0 offset:228
	;; [unrolled: 1-line block ×12, first 2 shown]
	s_and_b64 vcc, exec, s[14:15]
	s_waitcnt vmcnt(62) lgkmcnt(5)
	v_mul_f32_e32 v97, v73, v143
	v_mul_f32_e32 v98, v75, v144
	s_waitcnt lgkmcnt(4)
	v_mul_f32_e32 v99, v77, v145
	v_mul_f32_e32 v100, v79, v146
	s_waitcnt lgkmcnt(3)
	v_mul_f32_e32 v101, v81, v147
	v_mul_f32_e32 v102, v83, v148
	s_waitcnt vmcnt(61) lgkmcnt(2)
	v_mul_f32_e32 v103, v85, v149
	s_waitcnt vmcnt(60)
	v_mul_f32_e32 v104, v87, v150
	s_waitcnt vmcnt(59) lgkmcnt(1)
	v_mul_f32_e32 v105, v89, v151
	s_waitcnt vmcnt(58)
	v_fmac_f32_e32 v97, v74, v152
	s_waitcnt vmcnt(57)
	v_fmac_f32_e32 v98, v76, v153
	v_add_f32_e32 v97, 0, v97
	s_waitcnt vmcnt(56)
	v_fmac_f32_e32 v99, v78, v154
	v_add_f32_e32 v97, v97, v98
	;; [unrolled: 3-line block ×7, first 2 shown]
	v_add_f32_e32 v97, v97, v104
	s_waitcnt vmcnt(50)
	v_fmac_f32_e32 v105, v90, v160
	s_waitcnt vmcnt(49)
	v_mul_f32_e32 v98, v91, v161
	v_add_f32_e32 v97, v97, v105
	s_waitcnt vmcnt(48)
	v_fmac_f32_e32 v98, v92, v162
	v_add_f32_e32 v97, v97, v98
	s_waitcnt vmcnt(47) lgkmcnt(0)
	v_mul_f32_e32 v98, v93, v163
	s_waitcnt vmcnt(44)
	v_fmac_f32_e32 v98, v94, v166
	v_add_f32_e32 v101, v97, v98
	ds_read2_b64 v[97:100], v0 offset0:49 offset1:50
	buffer_load_dword v211, off, s[0:3], 0 offset:276
	buffer_load_dword v212, off, s[0:3], 0 offset:272
	;; [unrolled: 1-line block ×4, first 2 shown]
	v_mul_f32_e32 v74, v74, v143
	v_fma_f32 v73, v73, v152, -v74
	v_mul_f32_e32 v74, v76, v144
	v_add_f32_e32 v73, 0, v73
	v_fma_f32 v74, v75, v153, -v74
	v_add_f32_e32 v73, v73, v74
	v_mul_f32_e32 v74, v78, v145
	v_fma_f32 v74, v77, v154, -v74
	s_waitcnt vmcnt(46)
	v_mul_f32_e32 v102, v95, v168
	v_add_f32_e32 v73, v73, v74
	v_mul_f32_e32 v74, v80, v146
	v_fmac_f32_e32 v102, v96, v167
	v_fma_f32 v74, v79, v155, -v74
	v_add_f32_e32 v105, v101, v102
	ds_read2_b64 v[101:104], v0 offset0:51 offset1:52
	v_add_f32_e32 v73, v73, v74
	v_mul_f32_e32 v74, v82, v147
	s_waitcnt vmcnt(44) lgkmcnt(1)
	v_mul_f32_e32 v106, v97, v170
	v_fma_f32 v74, v81, v156, -v74
	v_fmac_f32_e32 v106, v98, v169
	v_add_f32_e32 v73, v73, v74
	v_mul_f32_e32 v74, v84, v148
	v_add_f32_e32 v105, v105, v106
	s_waitcnt vmcnt(42)
	v_mul_f32_e32 v106, v99, v172
	v_fma_f32 v74, v83, v157, -v74
	v_fmac_f32_e32 v106, v100, v171
	v_add_f32_e32 v73, v73, v74
	v_mul_f32_e32 v74, v86, v149
	v_add_f32_e32 v105, v105, v106
	s_waitcnt vmcnt(40) lgkmcnt(0)
	v_mul_f32_e32 v106, v101, v174
	v_fma_f32 v74, v85, v158, -v74
	v_fmac_f32_e32 v106, v102, v173
	v_add_f32_e32 v73, v73, v74
	v_mul_f32_e32 v74, v88, v150
	v_add_f32_e32 v109, v105, v106
	ds_read2_b64 v[105:108], v0 offset0:53 offset1:54
	v_fma_f32 v74, v87, v159, -v74
	v_add_f32_e32 v73, v73, v74
	v_mul_f32_e32 v74, v90, v151
	s_waitcnt vmcnt(38)
	v_mul_f32_e32 v110, v103, v176
	v_fma_f32 v74, v89, v160, -v74
	v_fmac_f32_e32 v110, v104, v175
	v_add_f32_e32 v73, v73, v74
	v_mul_f32_e32 v74, v92, v161
	v_add_f32_e32 v113, v109, v110
	ds_read2_b64 v[109:112], v0 offset0:55 offset1:56
	v_fma_f32 v74, v91, v162, -v74
	s_waitcnt vmcnt(36) lgkmcnt(1)
	v_mul_f32_e32 v114, v105, v178
	v_add_f32_e32 v73, v73, v74
	v_mul_f32_e32 v74, v94, v163
	v_fmac_f32_e32 v114, v106, v177
	v_fma_f32 v74, v93, v166, -v74
	v_add_f32_e32 v113, v113, v114
	s_waitcnt vmcnt(34)
	v_mul_f32_e32 v114, v107, v180
	v_add_f32_e32 v73, v73, v74
	v_mul_f32_e32 v74, v96, v168
	v_fmac_f32_e32 v114, v108, v179
	v_fma_f32 v74, v95, v167, -v74
	v_add_f32_e32 v113, v113, v114
	s_waitcnt vmcnt(32) lgkmcnt(0)
	v_mul_f32_e32 v114, v109, v182
	v_add_f32_e32 v73, v73, v74
	v_mul_f32_e32 v74, v98, v170
	v_fmac_f32_e32 v114, v110, v181
	v_fma_f32 v74, v97, v169, -v74
	v_add_f32_e32 v117, v113, v114
	ds_read2_b64 v[113:116], v0 offset0:57 offset1:58
	v_add_f32_e32 v73, v73, v74
	v_mul_f32_e32 v74, v100, v172
	v_fma_f32 v74, v99, v171, -v74
	s_waitcnt vmcnt(30)
	v_mul_f32_e32 v118, v111, v184
	v_add_f32_e32 v73, v73, v74
	v_mul_f32_e32 v74, v102, v174
	v_fmac_f32_e32 v118, v112, v183
	v_fma_f32 v74, v101, v173, -v74
	v_add_f32_e32 v121, v117, v118
	ds_read2_b64 v[117:120], v0 offset0:59 offset1:60
	v_add_f32_e32 v73, v73, v74
	v_mul_f32_e32 v74, v104, v176
	s_waitcnt vmcnt(28) lgkmcnt(1)
	v_mul_f32_e32 v122, v113, v186
	v_fma_f32 v74, v103, v175, -v74
	v_fmac_f32_e32 v122, v114, v185
	v_add_f32_e32 v73, v73, v74
	v_mul_f32_e32 v74, v106, v178
	v_add_f32_e32 v121, v121, v122
	s_waitcnt vmcnt(26)
	v_mul_f32_e32 v122, v115, v188
	v_fma_f32 v74, v105, v177, -v74
	v_fmac_f32_e32 v122, v116, v187
	v_add_f32_e32 v73, v73, v74
	v_mul_f32_e32 v74, v108, v180
	v_add_f32_e32 v121, v121, v122
	s_waitcnt vmcnt(24) lgkmcnt(0)
	v_mul_f32_e32 v122, v117, v190
	v_fma_f32 v74, v107, v179, -v74
	v_fmac_f32_e32 v122, v118, v189
	v_add_f32_e32 v73, v73, v74
	v_mul_f32_e32 v74, v110, v182
	v_add_f32_e32 v125, v121, v122
	ds_read2_b64 v[121:124], v0 offset0:61 offset1:62
	v_fma_f32 v74, v109, v181, -v74
	v_add_f32_e32 v73, v73, v74
	v_mul_f32_e32 v74, v112, v184
	s_waitcnt vmcnt(22)
	v_mul_f32_e32 v126, v119, v192
	v_fma_f32 v74, v111, v183, -v74
	v_fmac_f32_e32 v126, v120, v191
	v_add_f32_e32 v73, v73, v74
	v_mul_f32_e32 v74, v114, v186
	v_add_f32_e32 v129, v125, v126
	ds_read2_b64 v[125:128], v0 offset0:63 offset1:64
	v_fma_f32 v74, v113, v185, -v74
	s_waitcnt vmcnt(20) lgkmcnt(1)
	v_mul_f32_e32 v130, v121, v194
	v_add_f32_e32 v73, v73, v74
	v_mul_f32_e32 v74, v116, v188
	v_fmac_f32_e32 v130, v122, v193
	v_fma_f32 v74, v115, v187, -v74
	v_add_f32_e32 v129, v129, v130
	s_waitcnt vmcnt(18)
	v_mul_f32_e32 v130, v123, v196
	v_add_f32_e32 v73, v73, v74
	v_mul_f32_e32 v74, v118, v190
	v_fmac_f32_e32 v130, v124, v195
	v_fma_f32 v74, v117, v189, -v74
	v_add_f32_e32 v129, v129, v130
	s_waitcnt vmcnt(16) lgkmcnt(0)
	v_mul_f32_e32 v130, v125, v198
	v_add_f32_e32 v73, v73, v74
	v_mul_f32_e32 v74, v120, v192
	v_fmac_f32_e32 v130, v126, v197
	v_fma_f32 v74, v119, v191, -v74
	v_add_f32_e32 v133, v129, v130
	ds_read2_b64 v[129:132], v0 offset0:65 offset1:66
	v_add_f32_e32 v73, v73, v74
	v_mul_f32_e32 v74, v122, v194
	v_fma_f32 v74, v121, v193, -v74
	s_waitcnt vmcnt(14)
	v_mul_f32_e32 v134, v127, v200
	v_add_f32_e32 v73, v73, v74
	v_mul_f32_e32 v74, v124, v196
	v_fmac_f32_e32 v134, v128, v199
	v_fma_f32 v74, v123, v195, -v74
	v_add_f32_e32 v137, v133, v134
	ds_read2_b64 v[133:136], v0 offset0:67 offset1:68
	v_add_f32_e32 v73, v73, v74
	v_mul_f32_e32 v74, v126, v198
	s_waitcnt vmcnt(12) lgkmcnt(1)
	v_mul_f32_e32 v138, v129, v202
	v_fma_f32 v74, v125, v197, -v74
	v_fmac_f32_e32 v138, v130, v201
	v_add_f32_e32 v73, v73, v74
	v_mul_f32_e32 v74, v128, v200
	v_add_f32_e32 v137, v137, v138
	s_waitcnt vmcnt(11)
	v_mul_f32_e32 v138, v131, v203
	v_fma_f32 v74, v127, v199, -v74
	s_waitcnt vmcnt(10)
	v_fmac_f32_e32 v138, v132, v204
	v_add_f32_e32 v73, v73, v74
	v_mul_f32_e32 v74, v130, v202
	v_add_f32_e32 v137, v137, v138
	s_waitcnt vmcnt(8) lgkmcnt(0)
	v_mul_f32_e32 v138, v133, v206
	v_fma_f32 v74, v129, v201, -v74
	v_fmac_f32_e32 v138, v134, v205
	v_add_f32_e32 v73, v73, v74
	v_mul_f32_e32 v74, v132, v203
	v_add_f32_e32 v141, v137, v138
	ds_read2_b64 v[137:140], v0 offset0:69 offset1:70
	v_fma_f32 v74, v131, v204, -v74
	v_add_f32_e32 v73, v73, v74
	v_mul_f32_e32 v74, v134, v206
	s_waitcnt vmcnt(6)
	v_mul_f32_e32 v142, v135, v208
	v_fma_f32 v74, v133, v205, -v74
	v_fmac_f32_e32 v142, v136, v207
	v_add_f32_e32 v73, v73, v74
	v_mul_f32_e32 v74, v136, v208
	v_add_f32_e32 v215, v141, v142
	ds_read_b64 v[141:142], v0 offset:568
	v_fma_f32 v74, v135, v207, -v74
	v_add_f32_e32 v73, v73, v74
	s_waitcnt vmcnt(4) lgkmcnt(1)
	v_mul_f32_e32 v74, v138, v210
	v_mul_f32_e32 v216, v137, v210
	v_fma_f32 v74, v137, v209, -v74
	v_fmac_f32_e32 v216, v138, v209
	v_add_f32_e32 v73, v73, v74
	s_waitcnt vmcnt(3)
	v_mul_f32_e32 v74, v140, v211
	v_add_f32_e32 v215, v215, v216
	v_mul_f32_e32 v216, v139, v211
	s_waitcnt vmcnt(2)
	v_fma_f32 v74, v139, v212, -v74
	v_fmac_f32_e32 v216, v140, v212
	v_add_f32_e32 v73, v73, v74
	s_waitcnt vmcnt(0) lgkmcnt(0)
	v_mul_f32_e32 v74, v142, v214
	v_add_f32_e32 v215, v215, v216
	v_mul_f32_e32 v216, v141, v214
	v_fma_f32 v74, v141, v213, -v74
	v_fmac_f32_e32 v216, v142, v213
	v_add_f32_e32 v73, v73, v74
	v_add_f32_e32 v215, v215, v216
	v_sub_f32_e32 v73, v164, v73
	v_sub_f32_e32 v74, v165, v215
	buffer_store_dword v73, off, s[0:3], 0
	buffer_store_dword v74, off, s[0:3], 0 offset:4
	s_cbranch_vccz .LBB99_300
; %bb.230:
	global_load_dword v0, v0, s[12:13] offset:136
	s_waitcnt vmcnt(0)
	v_add_u32_e32 v0, -1, v0
	v_cmp_ne_u32_e32 vcc, 34, v0
	s_cbranch_vccz .LBB99_232
; %bb.231:
	v_lshlrev_b32_e32 v0, 3, v0
	buffer_load_dword v73, v0, s[0:3], 0 offen
	buffer_load_dword v74, v0, s[0:3], 0 offen offset:4
	buffer_load_dword v75, off, s[0:3], 0 offset:276
	buffer_load_dword v76, off, s[0:3], 0 offset:272
	s_waitcnt vmcnt(3)
	buffer_store_dword v73, off, s[0:3], 0 offset:272
	s_waitcnt vmcnt(3)
	buffer_store_dword v74, off, s[0:3], 0 offset:276
	s_waitcnt vmcnt(3)
	buffer_store_dword v75, v0, s[0:3], 0 offen offset:4
	s_waitcnt vmcnt(3)
	buffer_store_dword v76, v0, s[0:3], 0 offen
.LBB99_232:
	v_mov_b32_e32 v0, 0
	global_load_dword v73, v0, s[12:13] offset:132
	s_waitcnt vmcnt(0)
	v_add_u32_e32 v73, -1, v73
	v_cmp_eq_u32_e32 vcc, 33, v73
	s_cbranch_vccnz .LBB99_234
; %bb.233:
	v_lshlrev_b32_e32 v73, 3, v73
	buffer_load_dword v74, v73, s[0:3], 0 offen
	buffer_load_dword v75, v73, s[0:3], 0 offen offset:4
	buffer_load_dword v76, off, s[0:3], 0 offset:264
	buffer_load_dword v77, off, s[0:3], 0 offset:268
	s_waitcnt vmcnt(3)
	buffer_store_dword v74, off, s[0:3], 0 offset:264
	s_waitcnt vmcnt(3)
	buffer_store_dword v75, off, s[0:3], 0 offset:268
	s_waitcnt vmcnt(3)
	buffer_store_dword v76, v73, s[0:3], 0 offen
	s_waitcnt vmcnt(3)
	buffer_store_dword v77, v73, s[0:3], 0 offen offset:4
.LBB99_234:
	global_load_dword v0, v0, s[12:13] offset:128
	s_waitcnt vmcnt(0)
	v_add_u32_e32 v0, -1, v0
	v_cmp_eq_u32_e32 vcc, 32, v0
	s_cbranch_vccnz .LBB99_236
; %bb.235:
	v_lshlrev_b32_e32 v0, 3, v0
	buffer_load_dword v73, v0, s[0:3], 0 offen
	buffer_load_dword v74, v0, s[0:3], 0 offen offset:4
	buffer_load_dword v75, off, s[0:3], 0 offset:260
	buffer_load_dword v76, off, s[0:3], 0 offset:256
	s_waitcnt vmcnt(3)
	buffer_store_dword v73, off, s[0:3], 0 offset:256
	s_waitcnt vmcnt(3)
	buffer_store_dword v74, off, s[0:3], 0 offset:260
	s_waitcnt vmcnt(3)
	buffer_store_dword v75, v0, s[0:3], 0 offen offset:4
	s_waitcnt vmcnt(3)
	buffer_store_dword v76, v0, s[0:3], 0 offen
.LBB99_236:
	v_mov_b32_e32 v0, 0
	global_load_dword v73, v0, s[12:13] offset:124
	s_waitcnt vmcnt(0)
	v_add_u32_e32 v73, -1, v73
	v_cmp_eq_u32_e32 vcc, 31, v73
	s_cbranch_vccnz .LBB99_238
; %bb.237:
	v_lshlrev_b32_e32 v73, 3, v73
	buffer_load_dword v74, v73, s[0:3], 0 offen
	buffer_load_dword v75, v73, s[0:3], 0 offen offset:4
	buffer_load_dword v76, off, s[0:3], 0 offset:248
	buffer_load_dword v77, off, s[0:3], 0 offset:252
	s_waitcnt vmcnt(3)
	buffer_store_dword v74, off, s[0:3], 0 offset:248
	s_waitcnt vmcnt(3)
	buffer_store_dword v75, off, s[0:3], 0 offset:252
	s_waitcnt vmcnt(3)
	buffer_store_dword v76, v73, s[0:3], 0 offen
	s_waitcnt vmcnt(3)
	buffer_store_dword v77, v73, s[0:3], 0 offen offset:4
.LBB99_238:
	global_load_dword v0, v0, s[12:13] offset:120
	s_waitcnt vmcnt(0)
	v_add_u32_e32 v0, -1, v0
	v_cmp_eq_u32_e32 vcc, 30, v0
	s_cbranch_vccnz .LBB99_240
; %bb.239:
	v_lshlrev_b32_e32 v0, 3, v0
	buffer_load_dword v73, v0, s[0:3], 0 offen
	buffer_load_dword v74, v0, s[0:3], 0 offen offset:4
	buffer_load_dword v75, off, s[0:3], 0 offset:244
	buffer_load_dword v76, off, s[0:3], 0 offset:240
	s_waitcnt vmcnt(3)
	buffer_store_dword v73, off, s[0:3], 0 offset:240
	s_waitcnt vmcnt(3)
	buffer_store_dword v74, off, s[0:3], 0 offset:244
	s_waitcnt vmcnt(3)
	buffer_store_dword v75, v0, s[0:3], 0 offen offset:4
	s_waitcnt vmcnt(3)
	buffer_store_dword v76, v0, s[0:3], 0 offen
.LBB99_240:
	;; [unrolled: 41-line block ×16, first 2 shown]
	v_mov_b32_e32 v0, 0
	global_load_dword v73, v0, s[12:13] offset:4
	s_waitcnt vmcnt(0)
	v_add_u32_e32 v73, -1, v73
	v_cmp_eq_u32_e32 vcc, 1, v73
	s_cbranch_vccnz .LBB99_298
; %bb.297:
	v_lshlrev_b32_e32 v73, 3, v73
	buffer_load_dword v74, v73, s[0:3], 0 offen
	buffer_load_dword v75, v73, s[0:3], 0 offen offset:4
	buffer_load_dword v76, off, s[0:3], 0 offset:8
	buffer_load_dword v77, off, s[0:3], 0 offset:12
	s_waitcnt vmcnt(3)
	buffer_store_dword v74, off, s[0:3], 0 offset:8
	s_waitcnt vmcnt(3)
	buffer_store_dword v75, off, s[0:3], 0 offset:12
	s_waitcnt vmcnt(3)
	buffer_store_dword v76, v73, s[0:3], 0 offen
	s_waitcnt vmcnt(3)
	buffer_store_dword v77, v73, s[0:3], 0 offen offset:4
.LBB99_298:
	global_load_dword v0, v0, s[12:13]
	s_waitcnt vmcnt(0)
	v_add_u32_e32 v0, -1, v0
	v_cmp_eq_u32_e32 vcc, 0, v0
	s_cbranch_vccnz .LBB99_300
; %bb.299:
	v_lshlrev_b32_e32 v0, 3, v0
	buffer_load_dword v73, v0, s[0:3], 0 offen
	buffer_load_dword v74, v0, s[0:3], 0 offen offset:4
	buffer_load_dword v75, off, s[0:3], 0 offset:4
	buffer_load_dword v76, off, s[0:3], 0
	s_waitcnt vmcnt(3)
	buffer_store_dword v73, off, s[0:3], 0
	s_waitcnt vmcnt(3)
	buffer_store_dword v74, off, s[0:3], 0 offset:4
	s_waitcnt vmcnt(3)
	buffer_store_dword v75, v0, s[0:3], 0 offen offset:4
	s_waitcnt vmcnt(3)
	buffer_store_dword v76, v0, s[0:3], 0 offen
.LBB99_300:
	buffer_load_dword v73, off, s[0:3], 0
	buffer_load_dword v74, off, s[0:3], 0 offset:4
	s_waitcnt vmcnt(0)
	flat_store_dwordx2 v[1:2], v[73:74]
	buffer_load_dword v0, off, s[0:3], 0 offset:8
	s_nop 0
	buffer_load_dword v1, off, s[0:3], 0 offset:12
	s_waitcnt vmcnt(0)
	flat_store_dwordx2 v[3:4], v[0:1]
	buffer_load_dword v0, off, s[0:3], 0 offset:16
	s_nop 0
	;; [unrolled: 5-line block ×35, first 2 shown]
	buffer_load_dword v1, off, s[0:3], 0 offset:284
	s_waitcnt vmcnt(0)
	flat_store_dwordx2 v[71:72], v[0:1]
	s_endpgm
	.section	.rodata,"a",@progbits
	.p2align	6, 0x0
	.amdhsa_kernel _ZN9rocsolver6v33100L18getri_kernel_smallILi36E19rocblas_complex_numIfEPKPS3_EEvT1_iilPiilS8_bb
		.amdhsa_group_segment_fixed_size 580
		.amdhsa_private_segment_fixed_size 304
		.amdhsa_kernarg_size 60
		.amdhsa_user_sgpr_count 6
		.amdhsa_user_sgpr_private_segment_buffer 1
		.amdhsa_user_sgpr_dispatch_ptr 0
		.amdhsa_user_sgpr_queue_ptr 0
		.amdhsa_user_sgpr_kernarg_segment_ptr 1
		.amdhsa_user_sgpr_dispatch_id 0
		.amdhsa_user_sgpr_flat_scratch_init 0
		.amdhsa_user_sgpr_private_segment_size 0
		.amdhsa_uses_dynamic_stack 0
		.amdhsa_system_sgpr_private_segment_wavefront_offset 1
		.amdhsa_system_sgpr_workgroup_id_x 1
		.amdhsa_system_sgpr_workgroup_id_y 0
		.amdhsa_system_sgpr_workgroup_id_z 0
		.amdhsa_system_sgpr_workgroup_info 0
		.amdhsa_system_vgpr_workitem_id 0
		.amdhsa_next_free_vgpr 217
		.amdhsa_next_free_sgpr 21
		.amdhsa_reserve_vcc 1
		.amdhsa_reserve_flat_scratch 0
		.amdhsa_float_round_mode_32 0
		.amdhsa_float_round_mode_16_64 0
		.amdhsa_float_denorm_mode_32 3
		.amdhsa_float_denorm_mode_16_64 3
		.amdhsa_dx10_clamp 1
		.amdhsa_ieee_mode 1
		.amdhsa_fp16_overflow 0
		.amdhsa_exception_fp_ieee_invalid_op 0
		.amdhsa_exception_fp_denorm_src 0
		.amdhsa_exception_fp_ieee_div_zero 0
		.amdhsa_exception_fp_ieee_overflow 0
		.amdhsa_exception_fp_ieee_underflow 0
		.amdhsa_exception_fp_ieee_inexact 0
		.amdhsa_exception_int_div_zero 0
	.end_amdhsa_kernel
	.section	.text._ZN9rocsolver6v33100L18getri_kernel_smallILi36E19rocblas_complex_numIfEPKPS3_EEvT1_iilPiilS8_bb,"axG",@progbits,_ZN9rocsolver6v33100L18getri_kernel_smallILi36E19rocblas_complex_numIfEPKPS3_EEvT1_iilPiilS8_bb,comdat
.Lfunc_end99:
	.size	_ZN9rocsolver6v33100L18getri_kernel_smallILi36E19rocblas_complex_numIfEPKPS3_EEvT1_iilPiilS8_bb, .Lfunc_end99-_ZN9rocsolver6v33100L18getri_kernel_smallILi36E19rocblas_complex_numIfEPKPS3_EEvT1_iilPiilS8_bb
                                        ; -- End function
	.set _ZN9rocsolver6v33100L18getri_kernel_smallILi36E19rocblas_complex_numIfEPKPS3_EEvT1_iilPiilS8_bb.num_vgpr, 217
	.set _ZN9rocsolver6v33100L18getri_kernel_smallILi36E19rocblas_complex_numIfEPKPS3_EEvT1_iilPiilS8_bb.num_agpr, 0
	.set _ZN9rocsolver6v33100L18getri_kernel_smallILi36E19rocblas_complex_numIfEPKPS3_EEvT1_iilPiilS8_bb.numbered_sgpr, 21
	.set _ZN9rocsolver6v33100L18getri_kernel_smallILi36E19rocblas_complex_numIfEPKPS3_EEvT1_iilPiilS8_bb.num_named_barrier, 0
	.set _ZN9rocsolver6v33100L18getri_kernel_smallILi36E19rocblas_complex_numIfEPKPS3_EEvT1_iilPiilS8_bb.private_seg_size, 304
	.set _ZN9rocsolver6v33100L18getri_kernel_smallILi36E19rocblas_complex_numIfEPKPS3_EEvT1_iilPiilS8_bb.uses_vcc, 1
	.set _ZN9rocsolver6v33100L18getri_kernel_smallILi36E19rocblas_complex_numIfEPKPS3_EEvT1_iilPiilS8_bb.uses_flat_scratch, 0
	.set _ZN9rocsolver6v33100L18getri_kernel_smallILi36E19rocblas_complex_numIfEPKPS3_EEvT1_iilPiilS8_bb.has_dyn_sized_stack, 0
	.set _ZN9rocsolver6v33100L18getri_kernel_smallILi36E19rocblas_complex_numIfEPKPS3_EEvT1_iilPiilS8_bb.has_recursion, 0
	.set _ZN9rocsolver6v33100L18getri_kernel_smallILi36E19rocblas_complex_numIfEPKPS3_EEvT1_iilPiilS8_bb.has_indirect_call, 0
	.section	.AMDGPU.csdata,"",@progbits
; Kernel info:
; codeLenInByte = 54012
; TotalNumSgprs: 25
; NumVgprs: 217
; ScratchSize: 304
; MemoryBound: 0
; FloatMode: 240
; IeeeMode: 1
; LDSByteSize: 580 bytes/workgroup (compile time only)
; SGPRBlocks: 3
; VGPRBlocks: 54
; NumSGPRsForWavesPerEU: 25
; NumVGPRsForWavesPerEU: 217
; Occupancy: 1
; WaveLimiterHint : 1
; COMPUTE_PGM_RSRC2:SCRATCH_EN: 1
; COMPUTE_PGM_RSRC2:USER_SGPR: 6
; COMPUTE_PGM_RSRC2:TRAP_HANDLER: 0
; COMPUTE_PGM_RSRC2:TGID_X_EN: 1
; COMPUTE_PGM_RSRC2:TGID_Y_EN: 0
; COMPUTE_PGM_RSRC2:TGID_Z_EN: 0
; COMPUTE_PGM_RSRC2:TIDIG_COMP_CNT: 0
	.section	.text._ZN9rocsolver6v33100L18getri_kernel_smallILi37E19rocblas_complex_numIfEPKPS3_EEvT1_iilPiilS8_bb,"axG",@progbits,_ZN9rocsolver6v33100L18getri_kernel_smallILi37E19rocblas_complex_numIfEPKPS3_EEvT1_iilPiilS8_bb,comdat
	.globl	_ZN9rocsolver6v33100L18getri_kernel_smallILi37E19rocblas_complex_numIfEPKPS3_EEvT1_iilPiilS8_bb ; -- Begin function _ZN9rocsolver6v33100L18getri_kernel_smallILi37E19rocblas_complex_numIfEPKPS3_EEvT1_iilPiilS8_bb
	.p2align	8
	.type	_ZN9rocsolver6v33100L18getri_kernel_smallILi37E19rocblas_complex_numIfEPKPS3_EEvT1_iilPiilS8_bb,@function
_ZN9rocsolver6v33100L18getri_kernel_smallILi37E19rocblas_complex_numIfEPKPS3_EEvT1_iilPiilS8_bb: ; @_ZN9rocsolver6v33100L18getri_kernel_smallILi37E19rocblas_complex_numIfEPKPS3_EEvT1_iilPiilS8_bb
; %bb.0:
	s_add_u32 s0, s0, s7
	s_addc_u32 s1, s1, 0
	v_cmp_gt_u32_e32 vcc, 37, v0
	s_and_saveexec_b64 s[8:9], vcc
	s_cbranch_execz .LBB100_162
; %bb.1:
	s_load_dword s18, s[4:5], 0x38
	s_load_dwordx2 s[12:13], s[4:5], 0x0
	s_load_dwordx4 s[8:11], s[4:5], 0x28
	s_waitcnt lgkmcnt(0)
	s_bitcmp1_b32 s18, 8
	s_cselect_b64 s[14:15], -1, 0
	s_ashr_i32 s7, s6, 31
	s_lshl_b64 s[16:17], s[6:7], 3
	s_add_u32 s12, s12, s16
	s_addc_u32 s13, s13, s17
	s_load_dwordx2 s[16:17], s[12:13], 0x0
	s_bfe_u32 s12, s18, 0x10008
	s_cmp_eq_u32 s12, 0
                                        ; implicit-def: $sgpr12_sgpr13
	s_cbranch_scc1 .LBB100_3
; %bb.2:
	s_load_dword s12, s[4:5], 0x20
	s_load_dwordx2 s[18:19], s[4:5], 0x18
	s_mul_i32 s13, s8, s7
	s_mul_hi_u32 s20, s8, s6
	s_add_i32 s20, s20, s13
	s_mul_i32 s9, s9, s6
	s_add_i32 s9, s20, s9
	s_mul_i32 s8, s8, s6
	s_waitcnt lgkmcnt(0)
	s_ashr_i32 s13, s12, 31
	s_lshl_b64 s[8:9], s[8:9], 2
	s_add_u32 s18, s18, s8
	s_addc_u32 s19, s19, s9
	s_lshl_b64 s[8:9], s[12:13], 2
	s_add_u32 s12, s18, s8
	s_addc_u32 s13, s19, s9
.LBB100_3:
	s_load_dwordx2 s[8:9], s[4:5], 0x8
	s_load_dword s18, s[4:5], 0x38
	v_lshlrev_b32_e32 v77, 3, v0
	s_waitcnt lgkmcnt(0)
	s_ashr_i32 s5, s8, 31
	s_mov_b32 s4, s8
	s_lshl_b64 s[4:5], s[4:5], 3
	s_add_u32 s4, s16, s4
	s_addc_u32 s5, s17, s5
	v_mov_b32_e32 v2, s5
	v_add_co_u32_e32 v1, vcc, s4, v77
	v_addc_co_u32_e32 v2, vcc, 0, v2, vcc
	flat_load_dwordx2 v[5:6], v[1:2]
	s_mov_b32 s16, s9
	s_ashr_i32 s17, s9, 31
	s_lshl_b64 s[16:17], s[16:17], 3
	v_mov_b32_e32 v4, s17
	v_add_co_u32_e32 v3, vcc, s16, v1
	v_addc_co_u32_e32 v4, vcc, v2, v4, vcc
	s_add_i32 s8, s9, s9
	v_add_u32_e32 v9, s8, v0
	v_ashrrev_i32_e32 v10, 31, v9
	v_mov_b32_e32 v11, s5
	v_add_u32_e32 v12, s9, v9
	v_ashrrev_i32_e32 v13, 31, v12
	v_mov_b32_e32 v14, s5
	v_mov_b32_e32 v15, s5
	;; [unrolled: 1-line block ×33, first 2 shown]
	s_bitcmp0_b32 s18, 0
	s_waitcnt vmcnt(0) lgkmcnt(0)
	buffer_store_dword v6, off, s[0:3], 0 offset:4
	buffer_store_dword v5, off, s[0:3], 0
	flat_load_dwordx2 v[7:8], v[3:4]
	v_lshlrev_b64 v[5:6], 3, v[9:10]
	s_waitcnt vmcnt(0) lgkmcnt(0)
	buffer_store_dword v8, off, s[0:3], 0 offset:12
	buffer_store_dword v7, off, s[0:3], 0 offset:8
	v_add_co_u32_e32 v5, vcc, s4, v5
	v_addc_co_u32_e32 v6, vcc, v11, v6, vcc
	flat_load_dwordx2 v[10:11], v[5:6]
	v_lshlrev_b64 v[7:8], 3, v[12:13]
	s_waitcnt vmcnt(0) lgkmcnt(0)
	buffer_store_dword v11, off, s[0:3], 0 offset:20
	buffer_store_dword v10, off, s[0:3], 0 offset:16
	v_add_co_u32_e32 v7, vcc, s4, v7
	v_addc_co_u32_e32 v8, vcc, v14, v8, vcc
	flat_load_dwordx2 v[13:14], v[7:8]
	v_add_u32_e32 v11, s9, v12
	v_ashrrev_i32_e32 v12, 31, v11
	v_lshlrev_b64 v[9:10], 3, v[11:12]
	s_waitcnt vmcnt(0) lgkmcnt(0)
	buffer_store_dword v14, off, s[0:3], 0 offset:28
	buffer_store_dword v13, off, s[0:3], 0 offset:24
	v_add_co_u32_e32 v9, vcc, s4, v9
	v_addc_co_u32_e32 v10, vcc, v15, v10, vcc
	flat_load_dwordx2 v[13:14], v[9:10]
	v_add_u32_e32 v15, s9, v11
	v_ashrrev_i32_e32 v16, 31, v15
	v_lshlrev_b64 v[11:12], 3, v[15:16]
	v_add_u32_e32 v18, s9, v15
	v_add_co_u32_e32 v11, vcc, s4, v11
	v_addc_co_u32_e32 v12, vcc, v17, v12, vcc
	v_ashrrev_i32_e32 v19, 31, v18
	s_waitcnt vmcnt(0) lgkmcnt(0)
	buffer_store_dword v14, off, s[0:3], 0 offset:36
	buffer_store_dword v13, off, s[0:3], 0 offset:32
	flat_load_dwordx2 v[16:17], v[11:12]
	v_lshlrev_b64 v[13:14], 3, v[18:19]
	s_waitcnt vmcnt(0) lgkmcnt(0)
	buffer_store_dword v17, off, s[0:3], 0 offset:44
	buffer_store_dword v16, off, s[0:3], 0 offset:40
	v_add_co_u32_e32 v13, vcc, s4, v13
	v_addc_co_u32_e32 v14, vcc, v20, v14, vcc
	flat_load_dwordx2 v[19:20], v[13:14]
	v_add_u32_e32 v17, s9, v18
	v_ashrrev_i32_e32 v18, 31, v17
	v_lshlrev_b64 v[15:16], 3, v[17:18]
	s_waitcnt vmcnt(0) lgkmcnt(0)
	buffer_store_dword v20, off, s[0:3], 0 offset:52
	buffer_store_dword v19, off, s[0:3], 0 offset:48
	v_add_co_u32_e32 v15, vcc, s4, v15
	v_addc_co_u32_e32 v16, vcc, v21, v16, vcc
	flat_load_dwordx2 v[19:20], v[15:16]
	v_add_u32_e32 v21, s9, v17
	v_ashrrev_i32_e32 v22, 31, v21
	v_lshlrev_b64 v[17:18], 3, v[21:22]
	v_add_u32_e32 v24, s9, v21
	v_add_co_u32_e32 v17, vcc, s4, v17
	v_addc_co_u32_e32 v18, vcc, v23, v18, vcc
	v_ashrrev_i32_e32 v25, 31, v24
	s_waitcnt vmcnt(0) lgkmcnt(0)
	buffer_store_dword v20, off, s[0:3], 0 offset:60
	buffer_store_dword v19, off, s[0:3], 0 offset:56
	;; [unrolled: 27-line block ×7, first 2 shown]
	flat_load_dwordx2 v[52:53], v[47:48]
	v_lshlrev_b64 v[49:50], 3, v[54:55]
	s_waitcnt vmcnt(0) lgkmcnt(0)
	buffer_store_dword v53, off, s[0:3], 0 offset:188
	buffer_store_dword v52, off, s[0:3], 0 offset:184
	v_add_co_u32_e32 v49, vcc, s4, v49
	v_addc_co_u32_e32 v50, vcc, v56, v50, vcc
	flat_load_dwordx2 v[55:56], v[49:50]
	v_add_u32_e32 v53, s9, v54
	v_ashrrev_i32_e32 v54, 31, v53
	v_lshlrev_b64 v[51:52], 3, v[53:54]
	s_waitcnt vmcnt(0) lgkmcnt(0)
	buffer_store_dword v56, off, s[0:3], 0 offset:196
	buffer_store_dword v55, off, s[0:3], 0 offset:192
	v_add_co_u32_e32 v51, vcc, s4, v51
	v_addc_co_u32_e32 v52, vcc, v57, v52, vcc
	flat_load_dwordx2 v[55:56], v[51:52]
	v_add_u32_e32 v57, s9, v53
	v_ashrrev_i32_e32 v58, 31, v57
	v_lshlrev_b64 v[53:54], 3, v[57:58]
	v_add_u32_e32 v60, s9, v57
	v_add_co_u32_e32 v53, vcc, s4, v53
	v_addc_co_u32_e32 v54, vcc, v59, v54, vcc
	s_waitcnt vmcnt(0) lgkmcnt(0)
	buffer_store_dword v56, off, s[0:3], 0 offset:204
	buffer_store_dword v55, off, s[0:3], 0 offset:200
	flat_load_dwordx2 v[58:59], v[53:54]
	v_ashrrev_i32_e32 v61, 31, v60
	v_lshlrev_b64 v[55:56], 3, v[60:61]
	s_waitcnt vmcnt(0) lgkmcnt(0)
	buffer_store_dword v59, off, s[0:3], 0 offset:212
	buffer_store_dword v58, off, s[0:3], 0 offset:208
	v_add_co_u32_e32 v55, vcc, s4, v55
	v_addc_co_u32_e32 v56, vcc, v62, v56, vcc
	flat_load_dwordx2 v[61:62], v[55:56]
	v_add_u32_e32 v59, s9, v60
	v_ashrrev_i32_e32 v60, 31, v59
	v_lshlrev_b64 v[57:58], 3, v[59:60]
	s_waitcnt vmcnt(0) lgkmcnt(0)
	buffer_store_dword v62, off, s[0:3], 0 offset:220
	buffer_store_dword v61, off, s[0:3], 0 offset:216
	v_add_co_u32_e32 v57, vcc, s4, v57
	v_addc_co_u32_e32 v58, vcc, v63, v58, vcc
	flat_load_dwordx2 v[61:62], v[57:58]
	v_add_u32_e32 v63, s9, v59
	;; [unrolled: 9-line block ×9, first 2 shown]
	v_ashrrev_i32_e32 v74, 31, v73
	v_lshlrev_b64 v[73:74], 3, v[73:74]
	v_mov_b32_e32 v76, s5
	v_add_co_u32_e32 v73, vcc, s4, v73
	v_addc_co_u32_e32 v74, vcc, v76, v74, vcc
	s_waitcnt vmcnt(0) lgkmcnt(0)
	buffer_store_dword v79, off, s[0:3], 0 offset:284
	buffer_store_dword v78, off, s[0:3], 0 offset:280
	flat_load_dwordx2 v[75:76], v[73:74]
	s_mov_b64 s[8:9], -1
	s_waitcnt vmcnt(0) lgkmcnt(0)
	buffer_store_dword v76, off, s[0:3], 0 offset:292
	buffer_store_dword v75, off, s[0:3], 0 offset:288
	s_cbranch_scc1 .LBB100_160
; %bb.4:
	v_cmp_eq_u32_e64 s[4:5], 0, v0
	s_and_saveexec_b64 s[8:9], s[4:5]
; %bb.5:
	v_mov_b32_e32 v75, 0
	ds_write_b32 v75, v75 offset:296
; %bb.6:
	s_or_b64 exec, exec, s[8:9]
	v_mov_b32_e32 v75, 0
	v_lshl_add_u32 v79, v0, 3, v75
	s_waitcnt lgkmcnt(0)
	; wave barrier
	buffer_load_dword v75, v79, s[0:3], 0 offen
	buffer_load_dword v76, v79, s[0:3], 0 offen offset:4
	s_waitcnt vmcnt(1)
	v_cmp_eq_f32_e32 vcc, 0, v75
	s_waitcnt vmcnt(0)
	v_cmp_eq_f32_e64 s[8:9], 0, v76
	s_and_b64 s[8:9], vcc, s[8:9]
	s_and_saveexec_b64 s[16:17], s[8:9]
	s_cbranch_execz .LBB100_10
; %bb.7:
	v_mov_b32_e32 v75, 0
	ds_read_b32 v78, v75 offset:296
	v_add_u32_e32 v76, 1, v0
	s_waitcnt lgkmcnt(0)
	v_readfirstlane_b32 s8, v78
	s_cmp_eq_u32 s8, 0
	s_cselect_b64 s[18:19], -1, 0
	v_cmp_gt_i32_e32 vcc, s8, v76
	s_or_b64 s[18:19], s[18:19], vcc
	s_and_b64 exec, exec, s[18:19]
	s_cbranch_execz .LBB100_10
; %bb.8:
	s_mov_b64 s[18:19], 0
	v_mov_b32_e32 v78, s8
.LBB100_9:                              ; =>This Inner Loop Header: Depth=1
	ds_cmpst_rtn_b32 v78, v75, v78, v76 offset:296
	s_waitcnt lgkmcnt(0)
	v_cmp_ne_u32_e32 vcc, 0, v78
	v_cmp_le_i32_e64 s[8:9], v78, v76
	s_and_b64 s[8:9], vcc, s[8:9]
	s_and_b64 s[8:9], exec, s[8:9]
	s_or_b64 s[18:19], s[8:9], s[18:19]
	s_andn2_b64 exec, exec, s[18:19]
	s_cbranch_execnz .LBB100_9
.LBB100_10:
	s_or_b64 exec, exec, s[16:17]
	v_mov_b32_e32 v76, 0
	; wave barrier
	ds_read_b32 v75, v76 offset:296
	s_and_saveexec_b64 s[8:9], s[4:5]
	s_cbranch_execz .LBB100_12
; %bb.11:
	s_lshl_b64 s[16:17], s[6:7], 2
	s_add_u32 s16, s10, s16
	s_addc_u32 s17, s11, s17
	s_waitcnt lgkmcnt(0)
	global_store_dword v76, v75, s[16:17]
.LBB100_12:
	s_or_b64 exec, exec, s[8:9]
	s_waitcnt lgkmcnt(0)
	v_cmp_ne_u32_e32 vcc, 0, v75
	s_mov_b64 s[8:9], 0
	s_cbranch_vccnz .LBB100_160
; %bb.13:
	buffer_load_dword v76, v79, s[0:3], 0 offen
	buffer_load_dword v78, v79, s[0:3], 0 offen offset:4
                                        ; implicit-def: $vgpr81
                                        ; implicit-def: $vgpr80
                                        ; implicit-def: $vgpr75
	s_waitcnt vmcnt(0)
	v_cmp_ngt_f32_e64 s[8:9], |v76|, |v78|
	s_and_saveexec_b64 s[16:17], s[8:9]
	s_xor_b64 s[8:9], exec, s[16:17]
	s_cbranch_execz .LBB100_15
; %bb.14:
	v_div_scale_f32 v75, s[16:17], v78, v78, v76
	v_div_scale_f32 v80, vcc, v76, v78, v76
	v_rcp_f32_e32 v81, v75
	v_fma_f32 v82, -v75, v81, 1.0
	v_fmac_f32_e32 v81, v82, v81
	v_mul_f32_e32 v82, v80, v81
	v_fma_f32 v83, -v75, v82, v80
	v_fmac_f32_e32 v82, v83, v81
	v_fma_f32 v75, -v75, v82, v80
	v_div_fmas_f32 v75, v75, v81, v82
	v_div_fixup_f32 v75, v75, v78, v76
	v_fmac_f32_e32 v78, v76, v75
	v_div_scale_f32 v76, s[16:17], v78, v78, 1.0
	v_div_scale_f32 v80, vcc, 1.0, v78, 1.0
	v_rcp_f32_e32 v81, v76
	v_fma_f32 v82, -v76, v81, 1.0
	v_fmac_f32_e32 v81, v82, v81
	v_mul_f32_e32 v82, v80, v81
	v_fma_f32 v83, -v76, v82, v80
	v_fmac_f32_e32 v82, v83, v81
	v_fma_f32 v76, -v76, v82, v80
	v_div_fmas_f32 v76, v76, v81, v82
	v_div_fixup_f32 v76, v76, v78, 1.0
	v_mul_f32_e32 v81, v75, v76
	v_xor_b32_e32 v80, 0x80000000, v76
	v_xor_b32_e32 v75, 0x80000000, v81
                                        ; implicit-def: $vgpr76
                                        ; implicit-def: $vgpr78
.LBB100_15:
	s_andn2_saveexec_b64 s[8:9], s[8:9]
	s_cbranch_execz .LBB100_17
; %bb.16:
	v_div_scale_f32 v75, s[16:17], v76, v76, v78
	v_div_scale_f32 v80, vcc, v78, v76, v78
	v_rcp_f32_e32 v81, v75
	v_fma_f32 v82, -v75, v81, 1.0
	v_fmac_f32_e32 v81, v82, v81
	v_mul_f32_e32 v82, v80, v81
	v_fma_f32 v83, -v75, v82, v80
	v_fmac_f32_e32 v82, v83, v81
	v_fma_f32 v75, -v75, v82, v80
	v_div_fmas_f32 v75, v75, v81, v82
	v_div_fixup_f32 v80, v75, v76, v78
	v_fmac_f32_e32 v76, v78, v80
	v_div_scale_f32 v75, s[16:17], v76, v76, 1.0
	v_div_scale_f32 v78, vcc, 1.0, v76, 1.0
	v_rcp_f32_e32 v81, v75
	v_fma_f32 v82, -v75, v81, 1.0
	v_fmac_f32_e32 v81, v82, v81
	v_mul_f32_e32 v82, v78, v81
	v_fma_f32 v83, -v75, v82, v78
	v_fmac_f32_e32 v82, v83, v81
	v_fma_f32 v75, -v75, v82, v78
	v_div_fmas_f32 v75, v75, v81, v82
	v_div_fixup_f32 v81, v75, v76, 1.0
	v_xor_b32_e32 v75, 0x80000000, v81
	v_mul_f32_e64 v80, v80, -v81
.LBB100_17:
	s_or_b64 exec, exec, s[8:9]
	buffer_store_dword v81, v79, s[0:3], 0 offen
	buffer_store_dword v80, v79, s[0:3], 0 offen offset:4
	buffer_load_dword v82, off, s[0:3], 0 offset:12
	s_nop 0
	buffer_load_dword v81, off, s[0:3], 0 offset:8
	v_xor_b32_e32 v76, 0x80000000, v80
	v_add_u32_e32 v78, 0x130, v77
	s_waitcnt vmcnt(0)
	ds_write2_b64 v77, v[75:76], v[81:82] offset1:38
	s_waitcnt lgkmcnt(0)
	; wave barrier
	s_and_saveexec_b64 s[8:9], s[4:5]
	s_cbranch_execz .LBB100_19
; %bb.18:
	buffer_load_dword v80, v79, s[0:3], 0 offen
	buffer_load_dword v81, v79, s[0:3], 0 offen offset:4
	ds_read_b64 v[75:76], v78
	s_waitcnt vmcnt(0) lgkmcnt(0)
	v_mul_f32_e32 v82, v76, v81
	v_fma_f32 v82, v75, v80, -v82
	v_mul_f32_e32 v75, v75, v81
	v_fmac_f32_e32 v75, v76, v80
	v_add_f32_e32 v81, 0, v75
	v_mov_b32_e32 v75, 0
	ds_read_b64 v[75:76], v75 offset:8
	v_add_f32_e32 v80, 0, v82
	s_waitcnt lgkmcnt(0)
	v_mul_f32_e32 v82, v81, v76
	v_fma_f32 v82, v80, v75, -v82
	v_mul_f32_e32 v76, v80, v76
	v_fmac_f32_e32 v76, v81, v75
	buffer_store_dword v82, off, s[0:3], 0 offset:8
	buffer_store_dword v76, off, s[0:3], 0 offset:12
.LBB100_19:
	s_or_b64 exec, exec, s[8:9]
	; wave barrier
	buffer_load_dword v75, off, s[0:3], 0 offset:16
	buffer_load_dword v76, off, s[0:3], 0 offset:20
	v_cmp_gt_u32_e32 vcc, 2, v0
	s_waitcnt vmcnt(0)
	ds_write_b64 v78, v[75:76]
	s_waitcnt lgkmcnt(0)
	; wave barrier
	s_and_saveexec_b64 s[8:9], vcc
	s_cbranch_execz .LBB100_23
; %bb.20:
	buffer_load_dword v80, v79, s[0:3], 0 offen offset:4
	buffer_load_dword v81, v79, s[0:3], 0 offen
	ds_read_b64 v[75:76], v78
	s_waitcnt vmcnt(1) lgkmcnt(0)
	v_mul_f32_e32 v79, v76, v80
	v_mul_f32_e32 v80, v75, v80
	s_waitcnt vmcnt(0)
	v_fma_f32 v75, v75, v81, -v79
	v_fmac_f32_e32 v80, v76, v81
	v_add_f32_e32 v76, 0, v75
	v_add_f32_e32 v75, 0, v80
	s_and_saveexec_b64 s[16:17], s[4:5]
	s_cbranch_execz .LBB100_22
; %bb.21:
	v_mov_b32_e32 v79, 0
	ds_read_b64 v[79:80], v79 offset:312
	buffer_load_dword v81, off, s[0:3], 0 offset:8
	buffer_load_dword v82, off, s[0:3], 0 offset:12
	s_waitcnt vmcnt(0) lgkmcnt(0)
	v_mul_f32_e32 v83, v79, v82
	v_fmac_f32_e32 v83, v80, v81
	v_mul_f32_e32 v80, v80, v82
	v_fma_f32 v79, v79, v81, -v80
	v_add_f32_e32 v75, v75, v83
	v_add_f32_e32 v76, v76, v79
.LBB100_22:
	s_or_b64 exec, exec, s[16:17]
	v_mov_b32_e32 v79, 0
	ds_read_b64 v[79:80], v79 offset:16
	s_waitcnt lgkmcnt(0)
	v_mul_f32_e32 v81, v75, v80
	v_mul_f32_e32 v80, v76, v80
	v_fma_f32 v76, v76, v79, -v81
	v_fmac_f32_e32 v80, v75, v79
	buffer_store_dword v76, off, s[0:3], 0 offset:16
	buffer_store_dword v80, off, s[0:3], 0 offset:20
.LBB100_23:
	s_or_b64 exec, exec, s[8:9]
	; wave barrier
	buffer_load_dword v75, off, s[0:3], 0 offset:24
	buffer_load_dword v76, off, s[0:3], 0 offset:28
	v_cmp_gt_u32_e32 vcc, 3, v0
	s_waitcnt vmcnt(0)
	ds_write_b64 v78, v[75:76]
	v_add_u32_e32 v75, -1, v0
	s_waitcnt lgkmcnt(0)
	; wave barrier
	s_and_saveexec_b64 s[4:5], vcc
	s_cbranch_execz .LBB100_27
; %bb.24:
	v_add_u32_e32 v79, -1, v0
	v_add_u32_e32 v80, 0x130, v77
	v_mov_b32_e32 v81, v77
	v_mov_b32_e32 v76, 0
	s_mov_b64 s[8:9], 0
	v_mov_b32_e32 v82, 0
.LBB100_25:                             ; =>This Inner Loop Header: Depth=1
	buffer_load_dword v85, v81, s[0:3], 0 offen offset:4
	buffer_load_dword v86, v81, s[0:3], 0 offen
	ds_read_b64 v[83:84], v80
	v_add_u32_e32 v79, 1, v79
	v_cmp_lt_u32_e32 vcc, 1, v79
	v_add_u32_e32 v80, 8, v80
	v_add_u32_e32 v81, 8, v81
	s_or_b64 s[8:9], vcc, s[8:9]
	s_waitcnt vmcnt(1) lgkmcnt(0)
	v_mul_f32_e32 v87, v84, v85
	v_mul_f32_e32 v85, v83, v85
	s_waitcnt vmcnt(0)
	v_fma_f32 v83, v83, v86, -v87
	v_fmac_f32_e32 v85, v84, v86
	v_add_f32_e32 v82, v82, v83
	v_add_f32_e32 v76, v76, v85
	s_andn2_b64 exec, exec, s[8:9]
	s_cbranch_execnz .LBB100_25
; %bb.26:
	s_or_b64 exec, exec, s[8:9]
	v_mov_b32_e32 v79, 0
	ds_read_b64 v[79:80], v79 offset:24
	s_waitcnt lgkmcnt(0)
	v_mul_f32_e32 v81, v76, v80
	v_mul_f32_e32 v80, v82, v80
	v_fma_f32 v81, v82, v79, -v81
	v_fmac_f32_e32 v80, v76, v79
	buffer_store_dword v81, off, s[0:3], 0 offset:24
	buffer_store_dword v80, off, s[0:3], 0 offset:28
.LBB100_27:
	s_or_b64 exec, exec, s[4:5]
	; wave barrier
	buffer_load_dword v79, off, s[0:3], 0 offset:32
	buffer_load_dword v80, off, s[0:3], 0 offset:36
	v_cmp_gt_u32_e32 vcc, 4, v0
	s_waitcnt vmcnt(0)
	ds_write_b64 v78, v[79:80]
	s_waitcnt lgkmcnt(0)
	; wave barrier
	s_and_saveexec_b64 s[4:5], vcc
	s_cbranch_execz .LBB100_31
; %bb.28:
	v_add_u32_e32 v79, -1, v0
	v_add_u32_e32 v80, 0x130, v77
	v_mov_b32_e32 v81, v77
	v_mov_b32_e32 v76, 0
	s_mov_b64 s[8:9], 0
	v_mov_b32_e32 v82, 0
.LBB100_29:                             ; =>This Inner Loop Header: Depth=1
	buffer_load_dword v85, v81, s[0:3], 0 offen offset:4
	buffer_load_dword v86, v81, s[0:3], 0 offen
	ds_read_b64 v[83:84], v80
	v_add_u32_e32 v79, 1, v79
	v_cmp_lt_u32_e32 vcc, 2, v79
	v_add_u32_e32 v80, 8, v80
	v_add_u32_e32 v81, 8, v81
	s_or_b64 s[8:9], vcc, s[8:9]
	s_waitcnt vmcnt(1) lgkmcnt(0)
	v_mul_f32_e32 v87, v84, v85
	v_mul_f32_e32 v85, v83, v85
	s_waitcnt vmcnt(0)
	v_fma_f32 v83, v83, v86, -v87
	v_fmac_f32_e32 v85, v84, v86
	v_add_f32_e32 v82, v82, v83
	v_add_f32_e32 v76, v76, v85
	s_andn2_b64 exec, exec, s[8:9]
	s_cbranch_execnz .LBB100_29
; %bb.30:
	s_or_b64 exec, exec, s[8:9]
	v_mov_b32_e32 v79, 0
	ds_read_b64 v[79:80], v79 offset:32
	s_waitcnt lgkmcnt(0)
	v_mul_f32_e32 v81, v76, v80
	v_mul_f32_e32 v80, v82, v80
	v_fma_f32 v81, v82, v79, -v81
	v_fmac_f32_e32 v80, v76, v79
	buffer_store_dword v81, off, s[0:3], 0 offset:32
	buffer_store_dword v80, off, s[0:3], 0 offset:36
.LBB100_31:
	s_or_b64 exec, exec, s[4:5]
	; wave barrier
	buffer_load_dword v79, off, s[0:3], 0 offset:40
	buffer_load_dword v80, off, s[0:3], 0 offset:44
	v_cmp_gt_u32_e32 vcc, 5, v0
	s_waitcnt vmcnt(0)
	ds_write_b64 v78, v[79:80]
	;; [unrolled: 49-line block ×19, first 2 shown]
	s_waitcnt lgkmcnt(0)
	; wave barrier
	s_and_saveexec_b64 s[4:5], vcc
	s_cbranch_execz .LBB100_103
; %bb.100:
	v_add_u32_e32 v79, -1, v0
	v_add_u32_e32 v80, 0x130, v77
	v_mov_b32_e32 v81, v77
	v_mov_b32_e32 v76, 0
	s_mov_b64 s[8:9], 0
	v_mov_b32_e32 v82, 0
.LBB100_101:                            ; =>This Inner Loop Header: Depth=1
	buffer_load_dword v85, v81, s[0:3], 0 offen offset:4
	buffer_load_dword v86, v81, s[0:3], 0 offen
	ds_read_b64 v[83:84], v80
	v_add_u32_e32 v79, 1, v79
	v_cmp_lt_u32_e32 vcc, 20, v79
	v_add_u32_e32 v80, 8, v80
	v_add_u32_e32 v81, 8, v81
	s_or_b64 s[8:9], vcc, s[8:9]
	s_waitcnt vmcnt(1) lgkmcnt(0)
	v_mul_f32_e32 v87, v84, v85
	v_mul_f32_e32 v85, v83, v85
	s_waitcnt vmcnt(0)
	v_fma_f32 v83, v83, v86, -v87
	v_fmac_f32_e32 v85, v84, v86
	v_add_f32_e32 v82, v82, v83
	v_add_f32_e32 v76, v76, v85
	s_andn2_b64 exec, exec, s[8:9]
	s_cbranch_execnz .LBB100_101
; %bb.102:
	s_or_b64 exec, exec, s[8:9]
	v_mov_b32_e32 v79, 0
	ds_read_b64 v[79:80], v79 offset:176
	s_waitcnt lgkmcnt(0)
	v_mul_f32_e32 v81, v76, v80
	v_mul_f32_e32 v80, v82, v80
	v_fma_f32 v81, v82, v79, -v81
	v_fmac_f32_e32 v80, v76, v79
	buffer_store_dword v81, off, s[0:3], 0 offset:176
	buffer_store_dword v80, off, s[0:3], 0 offset:180
.LBB100_103:
	s_or_b64 exec, exec, s[4:5]
	; wave barrier
	buffer_load_dword v79, off, s[0:3], 0 offset:184
	buffer_load_dword v80, off, s[0:3], 0 offset:188
	v_cmp_gt_u32_e32 vcc, 23, v0
	s_waitcnt vmcnt(0)
	ds_write_b64 v78, v[79:80]
	s_waitcnt lgkmcnt(0)
	; wave barrier
	s_and_saveexec_b64 s[4:5], vcc
	s_cbranch_execz .LBB100_107
; %bb.104:
	v_add_u32_e32 v79, -1, v0
	v_add_u32_e32 v80, 0x130, v77
	v_mov_b32_e32 v81, v77
	v_mov_b32_e32 v76, 0
	s_mov_b64 s[8:9], 0
	v_mov_b32_e32 v82, 0
.LBB100_105:                            ; =>This Inner Loop Header: Depth=1
	buffer_load_dword v85, v81, s[0:3], 0 offen offset:4
	buffer_load_dword v86, v81, s[0:3], 0 offen
	ds_read_b64 v[83:84], v80
	v_add_u32_e32 v79, 1, v79
	v_cmp_lt_u32_e32 vcc, 21, v79
	v_add_u32_e32 v80, 8, v80
	v_add_u32_e32 v81, 8, v81
	s_or_b64 s[8:9], vcc, s[8:9]
	s_waitcnt vmcnt(1) lgkmcnt(0)
	v_mul_f32_e32 v87, v84, v85
	v_mul_f32_e32 v85, v83, v85
	s_waitcnt vmcnt(0)
	v_fma_f32 v83, v83, v86, -v87
	v_fmac_f32_e32 v85, v84, v86
	v_add_f32_e32 v82, v82, v83
	v_add_f32_e32 v76, v76, v85
	s_andn2_b64 exec, exec, s[8:9]
	s_cbranch_execnz .LBB100_105
; %bb.106:
	s_or_b64 exec, exec, s[8:9]
	v_mov_b32_e32 v79, 0
	ds_read_b64 v[79:80], v79 offset:184
	s_waitcnt lgkmcnt(0)
	v_mul_f32_e32 v81, v76, v80
	v_mul_f32_e32 v80, v82, v80
	v_fma_f32 v81, v82, v79, -v81
	v_fmac_f32_e32 v80, v76, v79
	buffer_store_dword v81, off, s[0:3], 0 offset:184
	buffer_store_dword v80, off, s[0:3], 0 offset:188
.LBB100_107:
	s_or_b64 exec, exec, s[4:5]
	; wave barrier
	buffer_load_dword v79, off, s[0:3], 0 offset:192
	buffer_load_dword v80, off, s[0:3], 0 offset:196
	v_cmp_gt_u32_e32 vcc, 24, v0
	s_waitcnt vmcnt(0)
	ds_write_b64 v78, v[79:80]
	;; [unrolled: 49-line block ×13, first 2 shown]
	s_waitcnt lgkmcnt(0)
	; wave barrier
	s_and_saveexec_b64 s[4:5], vcc
	s_cbranch_execz .LBB100_155
; %bb.152:
	v_add_u32_e32 v79, -1, v0
	v_add_u32_e32 v80, 0x130, v77
	v_mov_b32_e32 v81, v77
	v_mov_b32_e32 v76, 0
	s_mov_b64 s[8:9], 0
	v_mov_b32_e32 v82, 0
.LBB100_153:                            ; =>This Inner Loop Header: Depth=1
	buffer_load_dword v85, v81, s[0:3], 0 offen offset:4
	buffer_load_dword v86, v81, s[0:3], 0 offen
	ds_read_b64 v[83:84], v80
	v_add_u32_e32 v79, 1, v79
	v_cmp_lt_u32_e32 vcc, 33, v79
	v_add_u32_e32 v80, 8, v80
	v_add_u32_e32 v81, 8, v81
	s_or_b64 s[8:9], vcc, s[8:9]
	s_waitcnt vmcnt(1) lgkmcnt(0)
	v_mul_f32_e32 v87, v84, v85
	v_mul_f32_e32 v85, v83, v85
	s_waitcnt vmcnt(0)
	v_fma_f32 v83, v83, v86, -v87
	v_fmac_f32_e32 v85, v84, v86
	v_add_f32_e32 v82, v82, v83
	v_add_f32_e32 v76, v76, v85
	s_andn2_b64 exec, exec, s[8:9]
	s_cbranch_execnz .LBB100_153
; %bb.154:
	s_or_b64 exec, exec, s[8:9]
	v_mov_b32_e32 v79, 0
	ds_read_b64 v[79:80], v79 offset:280
	s_waitcnt lgkmcnt(0)
	v_mul_f32_e32 v81, v76, v80
	v_mul_f32_e32 v80, v82, v80
	v_fma_f32 v81, v82, v79, -v81
	v_fmac_f32_e32 v80, v76, v79
	buffer_store_dword v81, off, s[0:3], 0 offset:280
	buffer_store_dword v80, off, s[0:3], 0 offset:284
.LBB100_155:
	s_or_b64 exec, exec, s[4:5]
	; wave barrier
	buffer_load_dword v79, off, s[0:3], 0 offset:288
	buffer_load_dword v80, off, s[0:3], 0 offset:292
	v_cmp_ne_u32_e32 vcc, 36, v0
	s_waitcnt vmcnt(0)
	ds_write_b64 v78, v[79:80]
	s_waitcnt lgkmcnt(0)
	; wave barrier
	s_and_saveexec_b64 s[4:5], vcc
	s_cbranch_execz .LBB100_159
; %bb.156:
	v_add_u32_e32 v78, 0x130, v77
	v_mov_b32_e32 v76, 0
	s_mov_b64 s[8:9], 0
	v_mov_b32_e32 v79, 0
.LBB100_157:                            ; =>This Inner Loop Header: Depth=1
	buffer_load_dword v82, v77, s[0:3], 0 offen offset:4
	buffer_load_dword v83, v77, s[0:3], 0 offen
	ds_read_b64 v[80:81], v78
	v_add_u32_e32 v75, 1, v75
	v_cmp_lt_u32_e32 vcc, 34, v75
	v_add_u32_e32 v78, 8, v78
	v_add_u32_e32 v77, 8, v77
	s_or_b64 s[8:9], vcc, s[8:9]
	s_waitcnt vmcnt(1) lgkmcnt(0)
	v_mul_f32_e32 v84, v81, v82
	v_mul_f32_e32 v82, v80, v82
	s_waitcnt vmcnt(0)
	v_fma_f32 v80, v80, v83, -v84
	v_fmac_f32_e32 v82, v81, v83
	v_add_f32_e32 v79, v79, v80
	v_add_f32_e32 v76, v76, v82
	s_andn2_b64 exec, exec, s[8:9]
	s_cbranch_execnz .LBB100_157
; %bb.158:
	s_or_b64 exec, exec, s[8:9]
	v_mov_b32_e32 v75, 0
	ds_read_b64 v[77:78], v75 offset:288
	s_waitcnt lgkmcnt(0)
	v_mul_f32_e32 v75, v76, v78
	v_mul_f32_e32 v78, v79, v78
	v_fma_f32 v75, v79, v77, -v75
	v_fmac_f32_e32 v78, v76, v77
	buffer_store_dword v75, off, s[0:3], 0 offset:288
	buffer_store_dword v78, off, s[0:3], 0 offset:292
.LBB100_159:
	s_or_b64 exec, exec, s[4:5]
	s_mov_b64 s[8:9], -1
	; wave barrier
.LBB100_160:
	s_and_b64 vcc, exec, s[8:9]
	s_cbranch_vccz .LBB100_162
; %bb.161:
	s_lshl_b64 s[4:5], s[6:7], 2
	s_add_u32 s4, s10, s4
	s_addc_u32 s5, s11, s5
	v_mov_b32_e32 v75, 0
	global_load_dword v75, v75, s[4:5]
	s_waitcnt vmcnt(0)
	v_cmp_ne_u32_e32 vcc, 0, v75
	s_cbranch_vccz .LBB100_163
.LBB100_162:
	s_endpgm
.LBB100_163:
	v_mov_b32_e32 v75, 0x130
	v_lshl_add_u32 v75, v0, 3, v75
	v_cmp_eq_u32_e32 vcc, 36, v0
	s_and_saveexec_b64 s[4:5], vcc
	s_cbranch_execz .LBB100_165
; %bb.164:
	buffer_load_dword v76, off, s[0:3], 0 offset:280
	buffer_load_dword v77, off, s[0:3], 0 offset:284
	v_mov_b32_e32 v78, 0
	buffer_store_dword v78, off, s[0:3], 0 offset:280
	buffer_store_dword v78, off, s[0:3], 0 offset:284
	s_waitcnt vmcnt(2)
	ds_write_b64 v75, v[76:77]
.LBB100_165:
	s_or_b64 exec, exec, s[4:5]
	s_waitcnt lgkmcnt(0)
	; wave barrier
	buffer_load_dword v79, off, s[0:3], 0 offset:292
	buffer_load_dword v80, off, s[0:3], 0 offset:288
	;; [unrolled: 1-line block ×4, first 2 shown]
	v_mov_b32_e32 v76, 0
	ds_read_b64 v[77:78], v76 offset:592
	v_cmp_lt_u32_e32 vcc, 34, v0
	s_waitcnt vmcnt(3) lgkmcnt(0)
	v_mul_f32_e32 v83, v77, v79
	v_mul_f32_e32 v79, v78, v79
	s_waitcnt vmcnt(2)
	v_fma_f32 v77, v77, v80, -v79
	v_fmac_f32_e32 v83, v78, v80
	v_add_f32_e32 v77, 0, v77
	v_add_f32_e32 v78, 0, v83
	s_waitcnt vmcnt(1)
	v_sub_f32_e32 v77, v81, v77
	s_waitcnt vmcnt(0)
	v_sub_f32_e32 v78, v82, v78
	buffer_store_dword v77, off, s[0:3], 0 offset:280
	buffer_store_dword v78, off, s[0:3], 0 offset:284
	s_and_saveexec_b64 s[4:5], vcc
	s_cbranch_execz .LBB100_167
; %bb.166:
	buffer_load_dword v77, off, s[0:3], 0 offset:272
	buffer_load_dword v78, off, s[0:3], 0 offset:276
	s_waitcnt vmcnt(0)
	ds_write_b64 v75, v[77:78]
	buffer_store_dword v76, off, s[0:3], 0 offset:272
	buffer_store_dword v76, off, s[0:3], 0 offset:276
.LBB100_167:
	s_or_b64 exec, exec, s[4:5]
	s_waitcnt lgkmcnt(0)
	; wave barrier
	buffer_load_dword v80, off, s[0:3], 0 offset:284
	buffer_load_dword v81, off, s[0:3], 0 offset:292
	;; [unrolled: 1-line block ×6, first 2 shown]
	ds_read2_b64 v[76:79], v76 offset0:73 offset1:74
	v_cmp_lt_u32_e32 vcc, 33, v0
	s_waitcnt vmcnt(5) lgkmcnt(0)
	v_mul_f32_e32 v86, v76, v80
	v_mul_f32_e32 v80, v77, v80
	s_waitcnt vmcnt(4)
	v_mul_f32_e32 v87, v78, v81
	v_mul_f32_e32 v81, v79, v81
	s_waitcnt vmcnt(3)
	v_fma_f32 v76, v76, v82, -v80
	v_fmac_f32_e32 v86, v77, v82
	s_waitcnt vmcnt(2)
	v_fma_f32 v77, v78, v83, -v81
	v_add_f32_e32 v76, 0, v76
	v_fmac_f32_e32 v87, v79, v83
	v_add_f32_e32 v78, 0, v86
	v_add_f32_e32 v76, v76, v77
	;; [unrolled: 1-line block ×3, first 2 shown]
	s_waitcnt vmcnt(1)
	v_sub_f32_e32 v76, v84, v76
	s_waitcnt vmcnt(0)
	v_sub_f32_e32 v77, v85, v78
	buffer_store_dword v76, off, s[0:3], 0 offset:272
	buffer_store_dword v77, off, s[0:3], 0 offset:276
	s_and_saveexec_b64 s[4:5], vcc
	s_cbranch_execz .LBB100_169
; %bb.168:
	buffer_load_dword v76, off, s[0:3], 0 offset:264
	buffer_load_dword v77, off, s[0:3], 0 offset:268
	v_mov_b32_e32 v78, 0
	buffer_store_dword v78, off, s[0:3], 0 offset:264
	buffer_store_dword v78, off, s[0:3], 0 offset:268
	s_waitcnt vmcnt(2)
	ds_write_b64 v75, v[76:77]
.LBB100_169:
	s_or_b64 exec, exec, s[4:5]
	s_waitcnt lgkmcnt(0)
	; wave barrier
	buffer_load_dword v83, off, s[0:3], 0 offset:276
	buffer_load_dword v84, off, s[0:3], 0 offset:284
	;; [unrolled: 1-line block ×8, first 2 shown]
	v_mov_b32_e32 v76, 0
	ds_read_b128 v[77:80], v76 offset:576
	ds_read_b64 v[81:82], v76 offset:592
	v_cmp_lt_u32_e32 vcc, 32, v0
	s_waitcnt vmcnt(7) lgkmcnt(1)
	v_mul_f32_e32 v91, v77, v83
	v_mul_f32_e32 v83, v78, v83
	s_waitcnt vmcnt(6)
	v_mul_f32_e32 v92, v79, v84
	v_mul_f32_e32 v84, v80, v84
	s_waitcnt vmcnt(4)
	v_fma_f32 v77, v77, v86, -v83
	s_waitcnt lgkmcnt(0)
	v_mul_f32_e32 v93, v81, v85
	v_mul_f32_e32 v85, v82, v85
	v_fmac_f32_e32 v91, v78, v86
	s_waitcnt vmcnt(3)
	v_fma_f32 v78, v79, v87, -v84
	v_add_f32_e32 v77, 0, v77
	v_fmac_f32_e32 v92, v80, v87
	s_waitcnt vmcnt(2)
	v_fma_f32 v79, v81, v88, -v85
	v_add_f32_e32 v80, 0, v91
	v_add_f32_e32 v77, v77, v78
	v_fmac_f32_e32 v93, v82, v88
	v_add_f32_e32 v80, v80, v92
	v_add_f32_e32 v77, v77, v79
	;; [unrolled: 1-line block ×3, first 2 shown]
	s_waitcnt vmcnt(1)
	v_sub_f32_e32 v77, v89, v77
	s_waitcnt vmcnt(0)
	v_sub_f32_e32 v78, v90, v78
	buffer_store_dword v77, off, s[0:3], 0 offset:264
	buffer_store_dword v78, off, s[0:3], 0 offset:268
	s_and_saveexec_b64 s[4:5], vcc
	s_cbranch_execz .LBB100_171
; %bb.170:
	buffer_load_dword v77, off, s[0:3], 0 offset:256
	buffer_load_dword v78, off, s[0:3], 0 offset:260
	s_waitcnt vmcnt(0)
	ds_write_b64 v75, v[77:78]
	buffer_store_dword v76, off, s[0:3], 0 offset:256
	buffer_store_dword v76, off, s[0:3], 0 offset:260
.LBB100_171:
	s_or_b64 exec, exec, s[4:5]
	s_waitcnt lgkmcnt(0)
	; wave barrier
	buffer_load_dword v85, off, s[0:3], 0 offset:268
	buffer_load_dword v86, off, s[0:3], 0 offset:276
	buffer_load_dword v87, off, s[0:3], 0 offset:284
	buffer_load_dword v88, off, s[0:3], 0 offset:292
	buffer_load_dword v89, off, s[0:3], 0 offset:264
	buffer_load_dword v90, off, s[0:3], 0 offset:272
	buffer_load_dword v91, off, s[0:3], 0 offset:280
	buffer_load_dword v92, off, s[0:3], 0 offset:288
	buffer_load_dword v93, off, s[0:3], 0 offset:256
	buffer_load_dword v94, off, s[0:3], 0 offset:260
	ds_read2_b64 v[77:80], v76 offset0:71 offset1:72
	ds_read2_b64 v[81:84], v76 offset0:73 offset1:74
	v_cmp_lt_u32_e32 vcc, 31, v0
	s_waitcnt vmcnt(9) lgkmcnt(1)
	v_mul_f32_e32 v76, v77, v85
	v_mul_f32_e32 v85, v78, v85
	s_waitcnt vmcnt(8)
	v_mul_f32_e32 v95, v79, v86
	v_mul_f32_e32 v86, v80, v86
	s_waitcnt vmcnt(5)
	v_fma_f32 v77, v77, v89, -v85
	s_waitcnt lgkmcnt(0)
	v_mul_f32_e32 v96, v81, v87
	v_mul_f32_e32 v87, v82, v87
	v_fmac_f32_e32 v76, v78, v89
	s_waitcnt vmcnt(4)
	v_fma_f32 v78, v79, v90, -v86
	v_add_f32_e32 v77, 0, v77
	v_mul_f32_e32 v97, v83, v88
	v_mul_f32_e32 v88, v84, v88
	v_fmac_f32_e32 v95, v80, v90
	s_waitcnt vmcnt(3)
	v_fma_f32 v79, v81, v91, -v87
	v_add_f32_e32 v76, 0, v76
	v_add_f32_e32 v77, v77, v78
	v_fmac_f32_e32 v96, v82, v91
	s_waitcnt vmcnt(2)
	v_fma_f32 v80, v83, v92, -v88
	v_add_f32_e32 v76, v76, v95
	v_add_f32_e32 v77, v77, v79
	v_fmac_f32_e32 v97, v84, v92
	v_add_f32_e32 v76, v76, v96
	v_add_f32_e32 v77, v77, v80
	;; [unrolled: 1-line block ×3, first 2 shown]
	s_waitcnt vmcnt(1)
	v_sub_f32_e32 v77, v93, v77
	s_waitcnt vmcnt(0)
	v_sub_f32_e32 v76, v94, v76
	buffer_store_dword v77, off, s[0:3], 0 offset:256
	buffer_store_dword v76, off, s[0:3], 0 offset:260
	s_and_saveexec_b64 s[4:5], vcc
	s_cbranch_execz .LBB100_173
; %bb.172:
	buffer_load_dword v76, off, s[0:3], 0 offset:248
	buffer_load_dword v77, off, s[0:3], 0 offset:252
	v_mov_b32_e32 v78, 0
	buffer_store_dword v78, off, s[0:3], 0 offset:248
	buffer_store_dword v78, off, s[0:3], 0 offset:252
	s_waitcnt vmcnt(2)
	ds_write_b64 v75, v[76:77]
.LBB100_173:
	s_or_b64 exec, exec, s[4:5]
	s_waitcnt lgkmcnt(0)
	; wave barrier
	buffer_load_dword v87, off, s[0:3], 0 offset:260
	buffer_load_dword v88, off, s[0:3], 0 offset:268
	;; [unrolled: 1-line block ×12, first 2 shown]
	v_mov_b32_e32 v76, 0
	ds_read_b128 v[77:80], v76 offset:560
	ds_read_b128 v[81:84], v76 offset:576
	ds_read_b64 v[85:86], v76 offset:592
	v_cmp_lt_u32_e32 vcc, 30, v0
	s_waitcnt vmcnt(11) lgkmcnt(2)
	v_mul_f32_e32 v99, v77, v87
	v_mul_f32_e32 v87, v78, v87
	s_waitcnt vmcnt(10)
	v_mul_f32_e32 v100, v79, v88
	v_mul_f32_e32 v88, v80, v88
	s_waitcnt vmcnt(9) lgkmcnt(1)
	v_mul_f32_e32 v101, v81, v89
	s_waitcnt vmcnt(6)
	v_fma_f32 v77, v77, v92, -v87
	v_mul_f32_e32 v89, v82, v89
	v_fmac_f32_e32 v99, v78, v92
	s_waitcnt vmcnt(5)
	v_fma_f32 v78, v79, v93, -v88
	v_add_f32_e32 v77, 0, v77
	v_mul_f32_e32 v102, v83, v90
	v_mul_f32_e32 v90, v84, v90
	v_fmac_f32_e32 v100, v80, v93
	s_waitcnt vmcnt(4)
	v_fmac_f32_e32 v101, v82, v94
	v_fma_f32 v79, v81, v94, -v89
	v_add_f32_e32 v82, 0, v99
	v_add_f32_e32 v77, v77, v78
	s_waitcnt lgkmcnt(0)
	v_mul_f32_e32 v103, v85, v91
	v_mul_f32_e32 v91, v86, v91
	s_waitcnt vmcnt(3)
	v_fma_f32 v80, v83, v95, -v90
	v_add_f32_e32 v82, v82, v100
	v_add_f32_e32 v77, v77, v79
	v_fmac_f32_e32 v102, v84, v95
	s_waitcnt vmcnt(2)
	v_fma_f32 v81, v85, v96, -v91
	v_add_f32_e32 v78, v82, v101
	v_add_f32_e32 v77, v77, v80
	v_fmac_f32_e32 v103, v86, v96
	v_add_f32_e32 v78, v78, v102
	v_add_f32_e32 v77, v77, v81
	;; [unrolled: 1-line block ×3, first 2 shown]
	s_waitcnt vmcnt(1)
	v_sub_f32_e32 v77, v97, v77
	s_waitcnt vmcnt(0)
	v_sub_f32_e32 v78, v98, v78
	buffer_store_dword v77, off, s[0:3], 0 offset:248
	buffer_store_dword v78, off, s[0:3], 0 offset:252
	s_and_saveexec_b64 s[4:5], vcc
	s_cbranch_execz .LBB100_175
; %bb.174:
	buffer_load_dword v77, off, s[0:3], 0 offset:240
	buffer_load_dword v78, off, s[0:3], 0 offset:244
	s_waitcnt vmcnt(0)
	ds_write_b64 v75, v[77:78]
	buffer_store_dword v76, off, s[0:3], 0 offset:240
	buffer_store_dword v76, off, s[0:3], 0 offset:244
.LBB100_175:
	s_or_b64 exec, exec, s[4:5]
	s_waitcnt lgkmcnt(0)
	; wave barrier
	buffer_load_dword v89, off, s[0:3], 0 offset:252
	buffer_load_dword v90, off, s[0:3], 0 offset:260
	;; [unrolled: 1-line block ×14, first 2 shown]
	ds_read2_b64 v[77:80], v76 offset0:69 offset1:70
	ds_read2_b64 v[81:84], v76 offset0:71 offset1:72
	;; [unrolled: 1-line block ×3, first 2 shown]
	v_cmp_lt_u32_e32 vcc, 29, v0
	s_waitcnt vmcnt(13) lgkmcnt(2)
	v_mul_f32_e32 v76, v77, v89
	v_mul_f32_e32 v89, v78, v89
	s_waitcnt vmcnt(12)
	v_mul_f32_e32 v103, v79, v90
	v_mul_f32_e32 v90, v80, v90
	s_waitcnt vmcnt(11) lgkmcnt(1)
	v_mul_f32_e32 v104, v81, v91
	v_mul_f32_e32 v91, v82, v91
	s_waitcnt vmcnt(7)
	v_fma_f32 v77, v77, v95, -v89
	v_fmac_f32_e32 v76, v78, v95
	s_waitcnt vmcnt(6)
	v_fma_f32 v78, v79, v96, -v90
	v_add_f32_e32 v77, 0, v77
	v_mul_f32_e32 v105, v83, v92
	v_mul_f32_e32 v92, v84, v92
	v_fmac_f32_e32 v103, v80, v96
	s_waitcnt vmcnt(5)
	v_fma_f32 v79, v81, v97, -v91
	v_add_f32_e32 v76, 0, v76
	v_add_f32_e32 v77, v77, v78
	s_waitcnt lgkmcnt(0)
	v_mul_f32_e32 v106, v85, v93
	v_mul_f32_e32 v93, v86, v93
	v_fmac_f32_e32 v104, v82, v97
	s_waitcnt vmcnt(4)
	v_fma_f32 v80, v83, v98, -v92
	v_add_f32_e32 v76, v76, v103
	v_add_f32_e32 v77, v77, v79
	v_mul_f32_e32 v107, v87, v94
	v_mul_f32_e32 v94, v88, v94
	v_fmac_f32_e32 v105, v84, v98
	s_waitcnt vmcnt(3)
	v_fma_f32 v81, v85, v99, -v93
	v_add_f32_e32 v76, v76, v104
	v_add_f32_e32 v77, v77, v80
	v_fmac_f32_e32 v106, v86, v99
	s_waitcnt vmcnt(2)
	v_fma_f32 v82, v87, v100, -v94
	v_add_f32_e32 v76, v76, v105
	v_add_f32_e32 v77, v77, v81
	v_fmac_f32_e32 v107, v88, v100
	v_add_f32_e32 v76, v76, v106
	v_add_f32_e32 v77, v77, v82
	;; [unrolled: 1-line block ×3, first 2 shown]
	s_waitcnt vmcnt(1)
	v_sub_f32_e32 v77, v101, v77
	s_waitcnt vmcnt(0)
	v_sub_f32_e32 v76, v102, v76
	buffer_store_dword v77, off, s[0:3], 0 offset:240
	buffer_store_dword v76, off, s[0:3], 0 offset:244
	s_and_saveexec_b64 s[4:5], vcc
	s_cbranch_execz .LBB100_177
; %bb.176:
	buffer_load_dword v76, off, s[0:3], 0 offset:232
	buffer_load_dword v77, off, s[0:3], 0 offset:236
	v_mov_b32_e32 v78, 0
	buffer_store_dword v78, off, s[0:3], 0 offset:232
	buffer_store_dword v78, off, s[0:3], 0 offset:236
	s_waitcnt vmcnt(2)
	ds_write_b64 v75, v[76:77]
.LBB100_177:
	s_or_b64 exec, exec, s[4:5]
	s_waitcnt lgkmcnt(0)
	; wave barrier
	buffer_load_dword v91, off, s[0:3], 0 offset:244
	buffer_load_dword v92, off, s[0:3], 0 offset:252
	;; [unrolled: 1-line block ×16, first 2 shown]
	v_mov_b32_e32 v76, 0
	ds_read_b128 v[77:80], v76 offset:544
	ds_read_b128 v[81:84], v76 offset:560
	;; [unrolled: 1-line block ×3, first 2 shown]
	ds_read_b64 v[89:90], v76 offset:592
	v_cmp_lt_u32_e32 vcc, 28, v0
	s_waitcnt vmcnt(15) lgkmcnt(3)
	v_mul_f32_e32 v107, v77, v91
	v_mul_f32_e32 v91, v78, v91
	s_waitcnt vmcnt(14)
	v_mul_f32_e32 v108, v79, v92
	v_mul_f32_e32 v92, v80, v92
	s_waitcnt vmcnt(13) lgkmcnt(2)
	v_mul_f32_e32 v109, v81, v93
	s_waitcnt vmcnt(12)
	v_mul_f32_e32 v110, v83, v94
	v_mul_f32_e32 v93, v82, v93
	s_waitcnt vmcnt(8)
	v_fma_f32 v77, v77, v98, -v91
	v_fmac_f32_e32 v107, v78, v98
	s_waitcnt vmcnt(7)
	v_fma_f32 v78, v79, v99, -v92
	v_add_f32_e32 v77, 0, v77
	v_mul_f32_e32 v94, v84, v94
	v_fmac_f32_e32 v108, v80, v99
	s_waitcnt vmcnt(5)
	v_fmac_f32_e32 v110, v84, v101
	v_fma_f32 v79, v81, v100, -v93
	v_add_f32_e32 v84, 0, v107
	v_add_f32_e32 v77, v77, v78
	s_waitcnt lgkmcnt(1)
	v_mul_f32_e32 v111, v85, v95
	v_mul_f32_e32 v95, v86, v95
	v_fmac_f32_e32 v109, v82, v100
	v_fma_f32 v80, v83, v101, -v94
	v_add_f32_e32 v84, v84, v108
	v_add_f32_e32 v77, v77, v79
	v_mul_f32_e32 v112, v87, v96
	v_mul_f32_e32 v96, v88, v96
	s_waitcnt vmcnt(4)
	v_fma_f32 v81, v85, v102, -v95
	v_add_f32_e32 v78, v84, v109
	v_add_f32_e32 v77, v77, v80
	s_waitcnt lgkmcnt(0)
	v_mul_f32_e32 v113, v89, v97
	v_mul_f32_e32 v97, v90, v97
	v_fmac_f32_e32 v111, v86, v102
	s_waitcnt vmcnt(3)
	v_fma_f32 v82, v87, v103, -v96
	v_add_f32_e32 v78, v78, v110
	v_add_f32_e32 v77, v77, v81
	v_fmac_f32_e32 v112, v88, v103
	s_waitcnt vmcnt(2)
	v_fma_f32 v83, v89, v104, -v97
	v_add_f32_e32 v78, v78, v111
	v_add_f32_e32 v77, v77, v82
	v_fmac_f32_e32 v113, v90, v104
	v_add_f32_e32 v78, v78, v112
	v_add_f32_e32 v77, v77, v83
	;; [unrolled: 1-line block ×3, first 2 shown]
	s_waitcnt vmcnt(1)
	v_sub_f32_e32 v77, v105, v77
	s_waitcnt vmcnt(0)
	v_sub_f32_e32 v78, v106, v78
	buffer_store_dword v77, off, s[0:3], 0 offset:232
	buffer_store_dword v78, off, s[0:3], 0 offset:236
	s_and_saveexec_b64 s[4:5], vcc
	s_cbranch_execz .LBB100_179
; %bb.178:
	buffer_load_dword v77, off, s[0:3], 0 offset:224
	buffer_load_dword v78, off, s[0:3], 0 offset:228
	s_waitcnt vmcnt(0)
	ds_write_b64 v75, v[77:78]
	buffer_store_dword v76, off, s[0:3], 0 offset:224
	buffer_store_dword v76, off, s[0:3], 0 offset:228
.LBB100_179:
	s_or_b64 exec, exec, s[4:5]
	s_waitcnt lgkmcnt(0)
	; wave barrier
	buffer_load_dword v93, off, s[0:3], 0 offset:236
	buffer_load_dword v94, off, s[0:3], 0 offset:244
	buffer_load_dword v95, off, s[0:3], 0 offset:252
	buffer_load_dword v96, off, s[0:3], 0 offset:260
	buffer_load_dword v97, off, s[0:3], 0 offset:268
	buffer_load_dword v98, off, s[0:3], 0 offset:276
	buffer_load_dword v99, off, s[0:3], 0 offset:284
	buffer_load_dword v100, off, s[0:3], 0 offset:292
	buffer_load_dword v101, off, s[0:3], 0 offset:232
	buffer_load_dword v102, off, s[0:3], 0 offset:240
	buffer_load_dword v103, off, s[0:3], 0 offset:248
	buffer_load_dword v104, off, s[0:3], 0 offset:256
	buffer_load_dword v105, off, s[0:3], 0 offset:264
	buffer_load_dword v106, off, s[0:3], 0 offset:272
	buffer_load_dword v107, off, s[0:3], 0 offset:280
	buffer_load_dword v108, off, s[0:3], 0 offset:288
	buffer_load_dword v109, off, s[0:3], 0 offset:224
	buffer_load_dword v110, off, s[0:3], 0 offset:228
	ds_read2_b64 v[77:80], v76 offset0:67 offset1:68
	ds_read2_b64 v[81:84], v76 offset0:69 offset1:70
	;; [unrolled: 1-line block ×4, first 2 shown]
	v_cmp_lt_u32_e32 vcc, 27, v0
	s_waitcnt vmcnt(17) lgkmcnt(3)
	v_mul_f32_e32 v76, v77, v93
	v_mul_f32_e32 v93, v78, v93
	s_waitcnt vmcnt(16)
	v_mul_f32_e32 v111, v79, v94
	v_mul_f32_e32 v94, v80, v94
	s_waitcnt vmcnt(15) lgkmcnt(2)
	v_mul_f32_e32 v112, v81, v95
	v_mul_f32_e32 v95, v82, v95
	s_waitcnt vmcnt(14)
	v_mul_f32_e32 v113, v83, v96
	v_mul_f32_e32 v96, v84, v96
	s_waitcnt vmcnt(9)
	v_fma_f32 v77, v77, v101, -v93
	v_fmac_f32_e32 v76, v78, v101
	s_waitcnt vmcnt(8)
	v_fma_f32 v78, v79, v102, -v94
	v_add_f32_e32 v77, 0, v77
	v_fmac_f32_e32 v111, v80, v102
	s_waitcnt vmcnt(7)
	v_fma_f32 v79, v81, v103, -v95
	v_add_f32_e32 v76, 0, v76
	v_add_f32_e32 v77, v77, v78
	s_waitcnt lgkmcnt(1)
	v_mul_f32_e32 v114, v85, v97
	v_mul_f32_e32 v97, v86, v97
	v_fmac_f32_e32 v112, v82, v103
	s_waitcnt vmcnt(6)
	v_fma_f32 v80, v83, v104, -v96
	v_add_f32_e32 v76, v76, v111
	v_add_f32_e32 v77, v77, v79
	v_mul_f32_e32 v115, v87, v98
	v_mul_f32_e32 v98, v88, v98
	v_fmac_f32_e32 v113, v84, v104
	s_waitcnt vmcnt(5)
	v_fma_f32 v81, v85, v105, -v97
	v_add_f32_e32 v76, v76, v112
	v_add_f32_e32 v77, v77, v80
	s_waitcnt lgkmcnt(0)
	v_mul_f32_e32 v116, v89, v99
	v_mul_f32_e32 v99, v90, v99
	v_fmac_f32_e32 v114, v86, v105
	s_waitcnt vmcnt(4)
	v_fma_f32 v82, v87, v106, -v98
	v_add_f32_e32 v76, v76, v113
	v_add_f32_e32 v77, v77, v81
	v_mul_f32_e32 v117, v91, v100
	v_mul_f32_e32 v100, v92, v100
	v_fmac_f32_e32 v115, v88, v106
	s_waitcnt vmcnt(3)
	v_fma_f32 v83, v89, v107, -v99
	v_add_f32_e32 v76, v76, v114
	v_add_f32_e32 v77, v77, v82
	v_fmac_f32_e32 v116, v90, v107
	s_waitcnt vmcnt(2)
	v_fma_f32 v84, v91, v108, -v100
	v_add_f32_e32 v76, v76, v115
	v_add_f32_e32 v77, v77, v83
	v_fmac_f32_e32 v117, v92, v108
	v_add_f32_e32 v76, v76, v116
	v_add_f32_e32 v77, v77, v84
	;; [unrolled: 1-line block ×3, first 2 shown]
	s_waitcnt vmcnt(1)
	v_sub_f32_e32 v77, v109, v77
	s_waitcnt vmcnt(0)
	v_sub_f32_e32 v76, v110, v76
	buffer_store_dword v77, off, s[0:3], 0 offset:224
	buffer_store_dword v76, off, s[0:3], 0 offset:228
	s_and_saveexec_b64 s[4:5], vcc
	s_cbranch_execz .LBB100_181
; %bb.180:
	buffer_load_dword v76, off, s[0:3], 0 offset:216
	buffer_load_dword v77, off, s[0:3], 0 offset:220
	v_mov_b32_e32 v78, 0
	buffer_store_dword v78, off, s[0:3], 0 offset:216
	buffer_store_dword v78, off, s[0:3], 0 offset:220
	s_waitcnt vmcnt(2)
	ds_write_b64 v75, v[76:77]
.LBB100_181:
	s_or_b64 exec, exec, s[4:5]
	s_waitcnt lgkmcnt(0)
	; wave barrier
	buffer_load_dword v95, off, s[0:3], 0 offset:228
	buffer_load_dword v96, off, s[0:3], 0 offset:236
	buffer_load_dword v97, off, s[0:3], 0 offset:244
	buffer_load_dword v98, off, s[0:3], 0 offset:252
	buffer_load_dword v99, off, s[0:3], 0 offset:260
	buffer_load_dword v100, off, s[0:3], 0 offset:268
	buffer_load_dword v101, off, s[0:3], 0 offset:276
	buffer_load_dword v102, off, s[0:3], 0 offset:284
	buffer_load_dword v103, off, s[0:3], 0 offset:292
	buffer_load_dword v104, off, s[0:3], 0 offset:224
	buffer_load_dword v105, off, s[0:3], 0 offset:232
	buffer_load_dword v106, off, s[0:3], 0 offset:240
	buffer_load_dword v107, off, s[0:3], 0 offset:248
	buffer_load_dword v108, off, s[0:3], 0 offset:256
	buffer_load_dword v109, off, s[0:3], 0 offset:264
	buffer_load_dword v110, off, s[0:3], 0 offset:272
	buffer_load_dword v111, off, s[0:3], 0 offset:280
	buffer_load_dword v112, off, s[0:3], 0 offset:288
	buffer_load_dword v113, off, s[0:3], 0 offset:216
	buffer_load_dword v114, off, s[0:3], 0 offset:220
	v_mov_b32_e32 v76, 0
	ds_read_b128 v[77:80], v76 offset:528
	ds_read_b128 v[81:84], v76 offset:544
	;; [unrolled: 1-line block ×4, first 2 shown]
	ds_read_b64 v[93:94], v76 offset:592
	v_cmp_lt_u32_e32 vcc, 26, v0
	s_waitcnt vmcnt(19) lgkmcnt(4)
	v_mul_f32_e32 v115, v77, v95
	v_mul_f32_e32 v95, v78, v95
	s_waitcnt vmcnt(18)
	v_mul_f32_e32 v116, v79, v96
	v_mul_f32_e32 v96, v80, v96
	s_waitcnt vmcnt(17) lgkmcnt(3)
	v_mul_f32_e32 v117, v81, v97
	s_waitcnt vmcnt(15) lgkmcnt(2)
	v_mul_f32_e32 v119, v85, v99
	v_mul_f32_e32 v97, v82, v97
	;; [unrolled: 1-line block ×4, first 2 shown]
	s_waitcnt vmcnt(10)
	v_fma_f32 v77, v77, v104, -v95
	v_fmac_f32_e32 v115, v78, v104
	s_waitcnt vmcnt(9)
	v_fma_f32 v78, v79, v105, -v96
	v_add_f32_e32 v77, 0, v77
	v_mul_f32_e32 v99, v86, v99
	v_fmac_f32_e32 v116, v80, v105
	s_waitcnt vmcnt(6)
	v_fmac_f32_e32 v119, v86, v108
	v_fma_f32 v79, v81, v106, -v97
	v_add_f32_e32 v86, 0, v115
	v_add_f32_e32 v77, v77, v78
	v_fmac_f32_e32 v117, v82, v106
	v_fma_f32 v80, v83, v107, -v98
	v_add_f32_e32 v86, v86, v116
	v_add_f32_e32 v77, v77, v79
	v_mul_f32_e32 v120, v87, v100
	v_mul_f32_e32 v100, v88, v100
	v_fmac_f32_e32 v118, v84, v107
	v_fma_f32 v81, v85, v108, -v99
	v_add_f32_e32 v78, v86, v117
	v_add_f32_e32 v77, v77, v80
	s_waitcnt lgkmcnt(1)
	v_mul_f32_e32 v121, v89, v101
	v_mul_f32_e32 v101, v90, v101
	s_waitcnt vmcnt(5)
	v_fma_f32 v82, v87, v109, -v100
	v_add_f32_e32 v78, v78, v118
	v_add_f32_e32 v77, v77, v81
	v_mul_f32_e32 v122, v91, v102
	v_mul_f32_e32 v102, v92, v102
	v_fmac_f32_e32 v120, v88, v109
	s_waitcnt vmcnt(4)
	v_fma_f32 v83, v89, v110, -v101
	v_add_f32_e32 v78, v78, v119
	v_add_f32_e32 v77, v77, v82
	s_waitcnt lgkmcnt(0)
	v_mul_f32_e32 v123, v93, v103
	v_mul_f32_e32 v103, v94, v103
	v_fmac_f32_e32 v121, v90, v110
	s_waitcnt vmcnt(3)
	v_fma_f32 v84, v91, v111, -v102
	v_add_f32_e32 v78, v78, v120
	v_add_f32_e32 v77, v77, v83
	v_fmac_f32_e32 v122, v92, v111
	s_waitcnt vmcnt(2)
	v_fma_f32 v85, v93, v112, -v103
	v_add_f32_e32 v78, v78, v121
	v_add_f32_e32 v77, v77, v84
	v_fmac_f32_e32 v123, v94, v112
	v_add_f32_e32 v78, v78, v122
	v_add_f32_e32 v77, v77, v85
	;; [unrolled: 1-line block ×3, first 2 shown]
	s_waitcnt vmcnt(1)
	v_sub_f32_e32 v77, v113, v77
	s_waitcnt vmcnt(0)
	v_sub_f32_e32 v78, v114, v78
	buffer_store_dword v77, off, s[0:3], 0 offset:216
	buffer_store_dword v78, off, s[0:3], 0 offset:220
	s_and_saveexec_b64 s[4:5], vcc
	s_cbranch_execz .LBB100_183
; %bb.182:
	buffer_load_dword v77, off, s[0:3], 0 offset:208
	buffer_load_dword v78, off, s[0:3], 0 offset:212
	s_waitcnt vmcnt(0)
	ds_write_b64 v75, v[77:78]
	buffer_store_dword v76, off, s[0:3], 0 offset:208
	buffer_store_dword v76, off, s[0:3], 0 offset:212
.LBB100_183:
	s_or_b64 exec, exec, s[4:5]
	s_waitcnt lgkmcnt(0)
	; wave barrier
	ds_read2_b64 v[77:80], v76 offset0:65 offset1:66
	buffer_load_dword v97, off, s[0:3], 0 offset:208
	buffer_load_dword v98, off, s[0:3], 0 offset:212
	;; [unrolled: 1-line block ×16, first 2 shown]
	v_cmp_lt_u32_e32 vcc, 25, v0
	s_waitcnt vmcnt(12) lgkmcnt(0)
	v_mul_f32_e32 v81, v77, v100
	v_fmac_f32_e32 v81, v78, v99
	s_waitcnt vmcnt(10)
	v_mul_f32_e32 v82, v79, v102
	v_add_f32_e32 v81, 0, v81
	v_fmac_f32_e32 v82, v80, v101
	v_add_f32_e32 v85, v81, v82
	ds_read2_b64 v[81:84], v76 offset0:67 offset1:68
	v_mul_f32_e32 v78, v78, v100
	v_fma_f32 v77, v77, v99, -v78
	v_mul_f32_e32 v78, v80, v102
	v_add_f32_e32 v77, 0, v77
	s_waitcnt vmcnt(8) lgkmcnt(0)
	v_mul_f32_e32 v86, v81, v104
	v_fmac_f32_e32 v86, v82, v103
	v_add_f32_e32 v85, v85, v86
	s_waitcnt vmcnt(6)
	v_mul_f32_e32 v86, v83, v106
	v_fmac_f32_e32 v86, v84, v105
	v_add_f32_e32 v89, v85, v86
	ds_read2_b64 v[85:88], v76 offset0:69 offset1:70
	v_fma_f32 v78, v79, v101, -v78
	v_add_f32_e32 v77, v77, v78
	v_mul_f32_e32 v78, v82, v104
	v_fma_f32 v78, v81, v103, -v78
	s_waitcnt vmcnt(4) lgkmcnt(0)
	v_mul_f32_e32 v90, v85, v108
	v_fmac_f32_e32 v90, v86, v107
	v_add_f32_e32 v89, v89, v90
	s_waitcnt vmcnt(2)
	v_mul_f32_e32 v90, v87, v110
	v_fmac_f32_e32 v90, v88, v109
	v_add_f32_e32 v93, v89, v90
	ds_read2_b64 v[89:92], v76 offset0:71 offset1:72
	buffer_load_dword v113, off, s[0:3], 0 offset:272
	buffer_load_dword v114, off, s[0:3], 0 offset:276
	v_add_f32_e32 v77, v77, v78
	v_mul_f32_e32 v78, v84, v106
	v_fma_f32 v78, v83, v105, -v78
	s_waitcnt vmcnt(2) lgkmcnt(0)
	v_mul_f32_e32 v94, v89, v112
	v_fmac_f32_e32 v94, v90, v111
	v_add_f32_e32 v93, v93, v94
	v_add_f32_e32 v77, v77, v78
	v_mul_f32_e32 v78, v86, v108
	v_fma_f32 v78, v85, v107, -v78
	v_add_f32_e32 v77, v77, v78
	v_mul_f32_e32 v78, v88, v110
	v_fma_f32 v78, v87, v109, -v78
	;; [unrolled: 3-line block ×3, first 2 shown]
	v_add_f32_e32 v77, v77, v78
	s_waitcnt vmcnt(0)
	v_mul_f32_e32 v94, v91, v114
	v_fmac_f32_e32 v94, v92, v113
	v_add_f32_e32 v115, v93, v94
	ds_read2_b64 v[93:96], v76 offset0:73 offset1:74
	buffer_load_dword v76, off, s[0:3], 0 offset:280
	buffer_load_dword v116, off, s[0:3], 0 offset:284
	v_mul_f32_e32 v78, v92, v114
	v_fma_f32 v78, v91, v113, -v78
	v_add_f32_e32 v77, v77, v78
	s_waitcnt vmcnt(0) lgkmcnt(0)
	v_mul_f32_e32 v117, v93, v116
	v_fmac_f32_e32 v117, v94, v76
	v_add_f32_e32 v115, v115, v117
	buffer_load_dword v117, off, s[0:3], 0 offset:288
	buffer_load_dword v118, off, s[0:3], 0 offset:292
	v_mul_f32_e32 v78, v94, v116
	v_fma_f32 v76, v93, v76, -v78
	v_add_f32_e32 v76, v77, v76
	s_waitcnt vmcnt(0)
	v_mul_f32_e32 v77, v96, v118
	v_mul_f32_e32 v119, v95, v118
	v_fma_f32 v77, v95, v117, -v77
	v_fmac_f32_e32 v119, v96, v117
	v_add_f32_e32 v76, v76, v77
	v_add_f32_e32 v115, v115, v119
	v_sub_f32_e32 v76, v97, v76
	v_sub_f32_e32 v77, v98, v115
	buffer_store_dword v76, off, s[0:3], 0 offset:208
	buffer_store_dword v77, off, s[0:3], 0 offset:212
	s_and_saveexec_b64 s[4:5], vcc
	s_cbranch_execz .LBB100_185
; %bb.184:
	buffer_load_dword v76, off, s[0:3], 0 offset:200
	buffer_load_dword v77, off, s[0:3], 0 offset:204
	v_mov_b32_e32 v78, 0
	buffer_store_dword v78, off, s[0:3], 0 offset:200
	buffer_store_dword v78, off, s[0:3], 0 offset:204
	s_waitcnt vmcnt(2)
	ds_write_b64 v75, v[76:77]
.LBB100_185:
	s_or_b64 exec, exec, s[4:5]
	v_mov_b32_e32 v76, 0
	s_waitcnt lgkmcnt(0)
	; wave barrier
	ds_read_b128 v[77:80], v76 offset:512
	ds_read_b128 v[81:84], v76 offset:528
	;; [unrolled: 1-line block ×4, first 2 shown]
	buffer_load_dword v99, off, s[0:3], 0 offset:200
	buffer_load_dword v100, off, s[0:3], 0 offset:204
	;; [unrolled: 1-line block ×18, first 2 shown]
	v_cmp_lt_u32_e32 vcc, 24, v0
	s_waitcnt vmcnt(14) lgkmcnt(3)
	v_mul_f32_e32 v93, v77, v102
	v_fmac_f32_e32 v93, v78, v101
	s_waitcnt vmcnt(12)
	v_mul_f32_e32 v94, v79, v104
	v_add_f32_e32 v93, 0, v93
	v_fmac_f32_e32 v94, v80, v103
	v_add_f32_e32 v93, v93, v94
	s_waitcnt vmcnt(10) lgkmcnt(2)
	v_mul_f32_e32 v94, v81, v106
	v_fmac_f32_e32 v94, v82, v105
	v_add_f32_e32 v93, v93, v94
	s_waitcnt vmcnt(8)
	v_mul_f32_e32 v94, v83, v108
	v_fmac_f32_e32 v94, v84, v107
	v_add_f32_e32 v93, v93, v94
	s_waitcnt vmcnt(6) lgkmcnt(1)
	v_mul_f32_e32 v94, v85, v110
	v_fmac_f32_e32 v94, v86, v109
	v_add_f32_e32 v93, v93, v94
	s_waitcnt vmcnt(4)
	v_mul_f32_e32 v94, v87, v112
	;; [unrolled: 8-line block ×3, first 2 shown]
	v_fmac_f32_e32 v94, v92, v115
	v_add_f32_e32 v97, v93, v94
	ds_read_b128 v[93:96], v76 offset:576
	buffer_load_dword v117, off, s[0:3], 0 offset:272
	buffer_load_dword v118, off, s[0:3], 0 offset:276
	;; [unrolled: 1-line block ×4, first 2 shown]
	v_mul_f32_e32 v78, v78, v102
	v_fma_f32 v77, v77, v101, -v78
	v_mul_f32_e32 v78, v80, v104
	v_add_f32_e32 v77, 0, v77
	v_fma_f32 v78, v79, v103, -v78
	v_add_f32_e32 v77, v77, v78
	v_mul_f32_e32 v78, v82, v106
	v_fma_f32 v78, v81, v105, -v78
	v_add_f32_e32 v77, v77, v78
	v_mul_f32_e32 v78, v84, v108
	;; [unrolled: 3-line block ×6, first 2 shown]
	v_fma_f32 v78, v91, v115, -v78
	v_add_f32_e32 v77, v77, v78
	s_waitcnt vmcnt(2) lgkmcnt(0)
	v_mul_f32_e32 v98, v93, v118
	v_fmac_f32_e32 v98, v94, v117
	v_add_f32_e32 v97, v97, v98
	s_waitcnt vmcnt(0)
	v_mul_f32_e32 v98, v95, v120
	v_fmac_f32_e32 v98, v96, v119
	v_add_f32_e32 v121, v97, v98
	ds_read_b64 v[97:98], v76 offset:592
	buffer_load_dword v122, off, s[0:3], 0 offset:288
	buffer_load_dword v123, off, s[0:3], 0 offset:292
	v_mul_f32_e32 v78, v94, v118
	v_fma_f32 v78, v93, v117, -v78
	v_add_f32_e32 v77, v77, v78
	v_mul_f32_e32 v78, v96, v120
	v_fma_f32 v78, v95, v119, -v78
	v_add_f32_e32 v77, v77, v78
	s_waitcnt vmcnt(0) lgkmcnt(0)
	v_mul_f32_e32 v78, v98, v123
	v_mul_f32_e32 v124, v97, v123
	v_fma_f32 v78, v97, v122, -v78
	v_fmac_f32_e32 v124, v98, v122
	v_add_f32_e32 v77, v77, v78
	v_add_f32_e32 v121, v121, v124
	v_sub_f32_e32 v77, v99, v77
	v_sub_f32_e32 v78, v100, v121
	buffer_store_dword v77, off, s[0:3], 0 offset:200
	buffer_store_dword v78, off, s[0:3], 0 offset:204
	s_and_saveexec_b64 s[4:5], vcc
	s_cbranch_execz .LBB100_187
; %bb.186:
	buffer_load_dword v77, off, s[0:3], 0 offset:192
	buffer_load_dword v78, off, s[0:3], 0 offset:196
	s_waitcnt vmcnt(0)
	ds_write_b64 v75, v[77:78]
	buffer_store_dword v76, off, s[0:3], 0 offset:192
	buffer_store_dword v76, off, s[0:3], 0 offset:196
.LBB100_187:
	s_or_b64 exec, exec, s[4:5]
	s_waitcnt lgkmcnt(0)
	; wave barrier
	buffer_load_dword v101, off, s[0:3], 0 offset:204
	buffer_load_dword v102, off, s[0:3], 0 offset:212
	;; [unrolled: 1-line block ×26, first 2 shown]
	ds_read2_b64 v[77:80], v76 offset0:63 offset1:64
	ds_read2_b64 v[81:84], v76 offset0:65 offset1:66
	;; [unrolled: 1-line block ×6, first 2 shown]
	v_cmp_lt_u32_e32 vcc, 23, v0
	s_waitcnt vmcnt(25) lgkmcnt(5)
	v_mul_f32_e32 v76, v77, v101
	v_mul_f32_e32 v101, v78, v101
	s_waitcnt vmcnt(24)
	v_mul_f32_e32 v127, v79, v102
	v_mul_f32_e32 v102, v80, v102
	s_waitcnt vmcnt(23) lgkmcnt(4)
	v_mul_f32_e32 v128, v81, v103
	v_mul_f32_e32 v103, v82, v103
	s_waitcnt vmcnt(22)
	v_mul_f32_e32 v129, v83, v104
	v_mul_f32_e32 v104, v84, v104
	;; [unrolled: 6-line block ×3, first 2 shown]
	s_waitcnt vmcnt(13)
	v_fma_f32 v77, v77, v113, -v101
	v_fmac_f32_e32 v76, v78, v113
	s_waitcnt vmcnt(12)
	v_fma_f32 v78, v79, v114, -v102
	v_add_f32_e32 v77, 0, v77
	s_waitcnt vmcnt(11)
	v_fma_f32 v79, v81, v115, -v103
	v_add_f32_e32 v77, v77, v78
	v_fmac_f32_e32 v127, v80, v114
	s_waitcnt vmcnt(10)
	v_fma_f32 v80, v83, v116, -v104
	v_add_f32_e32 v77, v77, v79
	s_waitcnt vmcnt(9)
	v_fma_f32 v81, v85, v117, -v105
	v_add_f32_e32 v77, v77, v80
	s_waitcnt lgkmcnt(2)
	v_mul_f32_e32 v132, v89, v107
	v_mul_f32_e32 v107, v90, v107
	v_fmac_f32_e32 v128, v82, v115
	s_waitcnt vmcnt(8)
	v_fma_f32 v82, v87, v118, -v106
	v_add_f32_e32 v76, 0, v76
	v_add_f32_e32 v77, v77, v81
	v_mul_f32_e32 v133, v91, v108
	v_mul_f32_e32 v108, v92, v108
	s_waitcnt vmcnt(7)
	v_fma_f32 v83, v89, v119, -v107
	v_add_f32_e32 v76, v76, v127
	v_add_f32_e32 v77, v77, v82
	v_fmac_f32_e32 v129, v84, v116
	s_waitcnt vmcnt(6)
	v_fma_f32 v84, v91, v120, -v108
	v_add_f32_e32 v76, v76, v128
	v_add_f32_e32 v77, v77, v83
	s_waitcnt lgkmcnt(1)
	v_mul_f32_e32 v78, v94, v109
	v_fmac_f32_e32 v130, v86, v117
	v_add_f32_e32 v76, v76, v129
	v_add_f32_e32 v77, v77, v84
	s_waitcnt vmcnt(5)
	v_fma_f32 v78, v93, v121, -v78
	v_fmac_f32_e32 v131, v88, v118
	v_add_f32_e32 v76, v76, v130
	v_add_f32_e32 v77, v77, v78
	v_mul_f32_e32 v78, v96, v110
	v_fmac_f32_e32 v132, v90, v119
	v_add_f32_e32 v76, v76, v131
	s_waitcnt vmcnt(4)
	v_fma_f32 v78, v95, v122, -v78
	v_mul_f32_e32 v134, v93, v109
	v_fmac_f32_e32 v133, v92, v120
	v_add_f32_e32 v76, v76, v132
	v_add_f32_e32 v77, v77, v78
	s_waitcnt lgkmcnt(0)
	v_mul_f32_e32 v78, v98, v111
	v_mul_f32_e32 v135, v95, v110
	v_fmac_f32_e32 v134, v94, v121
	v_add_f32_e32 v76, v76, v133
	s_waitcnt vmcnt(3)
	v_fma_f32 v78, v97, v123, -v78
	v_mul_f32_e32 v136, v97, v111
	v_fmac_f32_e32 v135, v96, v122
	v_add_f32_e32 v76, v76, v134
	v_add_f32_e32 v77, v77, v78
	v_mul_f32_e32 v78, v100, v112
	v_mul_f32_e32 v137, v99, v112
	v_fmac_f32_e32 v136, v98, v123
	v_add_f32_e32 v76, v76, v135
	s_waitcnt vmcnt(2)
	v_fma_f32 v78, v99, v124, -v78
	v_fmac_f32_e32 v137, v100, v124
	v_add_f32_e32 v76, v76, v136
	v_add_f32_e32 v77, v77, v78
	;; [unrolled: 1-line block ×3, first 2 shown]
	s_waitcnt vmcnt(1)
	v_sub_f32_e32 v77, v125, v77
	s_waitcnt vmcnt(0)
	v_sub_f32_e32 v76, v126, v76
	buffer_store_dword v77, off, s[0:3], 0 offset:192
	buffer_store_dword v76, off, s[0:3], 0 offset:196
	s_and_saveexec_b64 s[4:5], vcc
	s_cbranch_execz .LBB100_189
; %bb.188:
	buffer_load_dword v76, off, s[0:3], 0 offset:184
	buffer_load_dword v77, off, s[0:3], 0 offset:188
	v_mov_b32_e32 v78, 0
	buffer_store_dword v78, off, s[0:3], 0 offset:184
	buffer_store_dword v78, off, s[0:3], 0 offset:188
	s_waitcnt vmcnt(2)
	ds_write_b64 v75, v[76:77]
.LBB100_189:
	s_or_b64 exec, exec, s[4:5]
	s_waitcnt lgkmcnt(0)
	; wave barrier
	buffer_load_dword v103, off, s[0:3], 0 offset:196
	buffer_load_dword v104, off, s[0:3], 0 offset:204
	buffer_load_dword v105, off, s[0:3], 0 offset:212
	buffer_load_dword v106, off, s[0:3], 0 offset:220
	buffer_load_dword v107, off, s[0:3], 0 offset:228
	buffer_load_dword v108, off, s[0:3], 0 offset:236
	buffer_load_dword v109, off, s[0:3], 0 offset:244
	buffer_load_dword v110, off, s[0:3], 0 offset:252
	buffer_load_dword v111, off, s[0:3], 0 offset:260
	buffer_load_dword v112, off, s[0:3], 0 offset:268
	buffer_load_dword v113, off, s[0:3], 0 offset:276
	buffer_load_dword v114, off, s[0:3], 0 offset:284
	buffer_load_dword v115, off, s[0:3], 0 offset:292
	buffer_load_dword v116, off, s[0:3], 0 offset:192
	buffer_load_dword v117, off, s[0:3], 0 offset:200
	buffer_load_dword v118, off, s[0:3], 0 offset:208
	buffer_load_dword v119, off, s[0:3], 0 offset:216
	buffer_load_dword v120, off, s[0:3], 0 offset:224
	buffer_load_dword v121, off, s[0:3], 0 offset:232
	buffer_load_dword v122, off, s[0:3], 0 offset:240
	buffer_load_dword v123, off, s[0:3], 0 offset:248
	buffer_load_dword v124, off, s[0:3], 0 offset:256
	buffer_load_dword v125, off, s[0:3], 0 offset:264
	buffer_load_dword v126, off, s[0:3], 0 offset:272
	buffer_load_dword v127, off, s[0:3], 0 offset:280
	buffer_load_dword v128, off, s[0:3], 0 offset:288
	buffer_load_dword v129, off, s[0:3], 0 offset:184
	buffer_load_dword v130, off, s[0:3], 0 offset:188
	v_mov_b32_e32 v76, 0
	ds_read_b128 v[77:80], v76 offset:496
	ds_read_b128 v[81:84], v76 offset:512
	;; [unrolled: 1-line block ×6, first 2 shown]
	ds_read_b64 v[101:102], v76 offset:592
	v_cmp_lt_u32_e32 vcc, 22, v0
	s_waitcnt vmcnt(27) lgkmcnt(6)
	v_mul_f32_e32 v131, v77, v103
	v_mul_f32_e32 v103, v78, v103
	s_waitcnt vmcnt(26)
	v_mul_f32_e32 v132, v79, v104
	v_mul_f32_e32 v104, v80, v104
	s_waitcnt vmcnt(25) lgkmcnt(5)
	v_mul_f32_e32 v133, v81, v105
	v_mul_f32_e32 v105, v82, v105
	s_waitcnt vmcnt(24)
	v_mul_f32_e32 v134, v83, v106
	v_mul_f32_e32 v106, v84, v106
	;; [unrolled: 6-line block ×3, first 2 shown]
	s_waitcnt vmcnt(21) lgkmcnt(3)
	v_mul_f32_e32 v137, v89, v109
	s_waitcnt vmcnt(14)
	v_fma_f32 v77, v77, v116, -v103
	v_fmac_f32_e32 v131, v78, v116
	s_waitcnt vmcnt(13)
	v_fma_f32 v78, v79, v117, -v104
	v_add_f32_e32 v77, 0, v77
	s_waitcnt vmcnt(12)
	v_fma_f32 v79, v81, v118, -v105
	v_add_f32_e32 v77, v77, v78
	v_fmac_f32_e32 v132, v80, v117
	s_waitcnt vmcnt(11)
	v_fma_f32 v80, v83, v119, -v106
	v_add_f32_e32 v77, v77, v79
	s_waitcnt vmcnt(10)
	v_fma_f32 v81, v85, v120, -v107
	v_add_f32_e32 v77, v77, v80
	v_fmac_f32_e32 v133, v82, v118
	s_waitcnt vmcnt(9)
	v_fma_f32 v82, v87, v121, -v108
	v_add_f32_e32 v77, v77, v81
	v_mul_f32_e32 v79, v90, v109
	v_add_f32_e32 v77, v77, v82
	s_waitcnt vmcnt(8)
	v_fma_f32 v79, v89, v122, -v79
	v_add_f32_e32 v77, v77, v79
	v_mul_f32_e32 v79, v92, v110
	v_add_f32_e32 v83, 0, v131
	s_waitcnt vmcnt(7)
	v_fma_f32 v79, v91, v123, -v79
	v_add_f32_e32 v83, v83, v132
	v_add_f32_e32 v77, v77, v79
	s_waitcnt lgkmcnt(2)
	v_mul_f32_e32 v79, v94, v111
	v_fmac_f32_e32 v134, v84, v119
	v_add_f32_e32 v78, v83, v133
	s_waitcnt vmcnt(6)
	v_fma_f32 v79, v93, v124, -v79
	v_fmac_f32_e32 v135, v86, v120
	v_add_f32_e32 v78, v78, v134
	v_add_f32_e32 v77, v77, v79
	v_mul_f32_e32 v79, v96, v112
	v_fmac_f32_e32 v136, v88, v121
	v_add_f32_e32 v78, v78, v135
	s_waitcnt vmcnt(5)
	v_fma_f32 v79, v95, v125, -v79
	v_mul_f32_e32 v138, v91, v110
	v_fmac_f32_e32 v137, v90, v122
	v_add_f32_e32 v78, v78, v136
	v_add_f32_e32 v77, v77, v79
	s_waitcnt lgkmcnt(1)
	v_mul_f32_e32 v79, v98, v113
	v_mul_f32_e32 v139, v93, v111
	v_fmac_f32_e32 v138, v92, v123
	v_add_f32_e32 v78, v78, v137
	s_waitcnt vmcnt(4)
	v_fma_f32 v79, v97, v126, -v79
	v_mul_f32_e32 v140, v95, v112
	v_fmac_f32_e32 v139, v94, v124
	v_add_f32_e32 v78, v78, v138
	v_add_f32_e32 v77, v77, v79
	v_mul_f32_e32 v79, v100, v114
	v_mul_f32_e32 v141, v97, v113
	v_fmac_f32_e32 v140, v96, v125
	v_add_f32_e32 v78, v78, v139
	s_waitcnt vmcnt(3)
	v_fma_f32 v79, v99, v127, -v79
	v_mul_f32_e32 v142, v99, v114
	v_fmac_f32_e32 v141, v98, v126
	v_add_f32_e32 v78, v78, v140
	v_add_f32_e32 v77, v77, v79
	s_waitcnt lgkmcnt(0)
	v_mul_f32_e32 v79, v102, v115
	v_mul_f32_e32 v143, v101, v115
	v_fmac_f32_e32 v142, v100, v127
	v_add_f32_e32 v78, v78, v141
	s_waitcnt vmcnt(2)
	v_fma_f32 v79, v101, v128, -v79
	v_fmac_f32_e32 v143, v102, v128
	v_add_f32_e32 v78, v78, v142
	v_add_f32_e32 v77, v77, v79
	;; [unrolled: 1-line block ×3, first 2 shown]
	s_waitcnt vmcnt(1)
	v_sub_f32_e32 v77, v129, v77
	s_waitcnt vmcnt(0)
	v_sub_f32_e32 v78, v130, v78
	buffer_store_dword v77, off, s[0:3], 0 offset:184
	buffer_store_dword v78, off, s[0:3], 0 offset:188
	s_and_saveexec_b64 s[4:5], vcc
	s_cbranch_execz .LBB100_191
; %bb.190:
	buffer_load_dword v77, off, s[0:3], 0 offset:176
	buffer_load_dword v78, off, s[0:3], 0 offset:180
	s_waitcnt vmcnt(0)
	ds_write_b64 v75, v[77:78]
	buffer_store_dword v76, off, s[0:3], 0 offset:176
	buffer_store_dword v76, off, s[0:3], 0 offset:180
.LBB100_191:
	s_or_b64 exec, exec, s[4:5]
	s_waitcnt lgkmcnt(0)
	; wave barrier
	buffer_load_dword v105, off, s[0:3], 0 offset:188
	buffer_load_dword v106, off, s[0:3], 0 offset:196
	;; [unrolled: 1-line block ×30, first 2 shown]
	ds_read2_b64 v[77:80], v76 offset0:61 offset1:62
	ds_read2_b64 v[81:84], v76 offset0:63 offset1:64
	;; [unrolled: 1-line block ×7, first 2 shown]
	v_cmp_lt_u32_e32 vcc, 21, v0
	s_waitcnt vmcnt(29) lgkmcnt(6)
	v_mul_f32_e32 v76, v77, v105
	v_mul_f32_e32 v105, v78, v105
	s_waitcnt vmcnt(28)
	v_mul_f32_e32 v135, v79, v106
	v_mul_f32_e32 v106, v80, v106
	s_waitcnt vmcnt(27) lgkmcnt(5)
	v_mul_f32_e32 v136, v81, v107
	v_mul_f32_e32 v107, v82, v107
	s_waitcnt vmcnt(26)
	v_mul_f32_e32 v137, v83, v108
	v_mul_f32_e32 v108, v84, v108
	s_waitcnt vmcnt(25) lgkmcnt(4)
	v_mul_f32_e32 v138, v85, v109
	v_mul_f32_e32 v109, v86, v109
	s_waitcnt vmcnt(24)
	v_mul_f32_e32 v139, v87, v110
	s_waitcnt vmcnt(23) lgkmcnt(3)
	v_mul_f32_e32 v140, v89, v111
	s_waitcnt vmcnt(22)
	v_mul_f32_e32 v141, v91, v112
	s_waitcnt vmcnt(21) lgkmcnt(2)
	v_mul_f32_e32 v142, v93, v113
	s_waitcnt vmcnt(15)
	v_fma_f32 v77, v77, v119, -v105
	v_fmac_f32_e32 v76, v78, v119
	s_waitcnt vmcnt(14)
	v_fma_f32 v78, v79, v120, -v106
	v_add_f32_e32 v77, 0, v77
	s_waitcnt vmcnt(13)
	v_fma_f32 v79, v81, v121, -v107
	v_add_f32_e32 v77, v77, v78
	v_fmac_f32_e32 v135, v80, v120
	s_waitcnt vmcnt(12)
	v_fma_f32 v80, v83, v122, -v108
	v_add_f32_e32 v77, v77, v79
	s_waitcnt vmcnt(11)
	v_fma_f32 v81, v85, v123, -v109
	v_add_f32_e32 v77, v77, v80
	v_mul_f32_e32 v78, v88, v110
	v_add_f32_e32 v77, v77, v81
	s_waitcnt vmcnt(10)
	v_fma_f32 v78, v87, v124, -v78
	v_add_f32_e32 v77, v77, v78
	v_mul_f32_e32 v78, v90, v111
	s_waitcnt vmcnt(9)
	v_fma_f32 v78, v89, v125, -v78
	v_add_f32_e32 v77, v77, v78
	v_mul_f32_e32 v78, v92, v112
	s_waitcnt vmcnt(8)
	v_fma_f32 v78, v91, v126, -v78
	v_add_f32_e32 v76, 0, v76
	v_add_f32_e32 v77, v77, v78
	v_mul_f32_e32 v78, v94, v113
	v_fmac_f32_e32 v136, v82, v121
	v_add_f32_e32 v76, v76, v135
	s_waitcnt vmcnt(7)
	v_fma_f32 v78, v93, v127, -v78
	v_fmac_f32_e32 v137, v84, v122
	v_add_f32_e32 v76, v76, v136
	v_add_f32_e32 v77, v77, v78
	v_mul_f32_e32 v78, v96, v114
	v_fmac_f32_e32 v138, v86, v123
	v_add_f32_e32 v76, v76, v137
	s_waitcnt vmcnt(6)
	v_fma_f32 v78, v95, v128, -v78
	v_fmac_f32_e32 v139, v88, v124
	v_add_f32_e32 v76, v76, v138
	v_add_f32_e32 v77, v77, v78
	s_waitcnt lgkmcnt(1)
	v_mul_f32_e32 v78, v98, v115
	v_fmac_f32_e32 v140, v90, v125
	v_add_f32_e32 v76, v76, v139
	s_waitcnt vmcnt(5)
	v_fma_f32 v78, v97, v129, -v78
	v_fmac_f32_e32 v141, v92, v126
	v_add_f32_e32 v76, v76, v140
	v_add_f32_e32 v77, v77, v78
	v_mul_f32_e32 v78, v100, v116
	v_mul_f32_e32 v143, v95, v114
	v_fmac_f32_e32 v142, v94, v127
	v_add_f32_e32 v76, v76, v141
	s_waitcnt vmcnt(4)
	v_fma_f32 v78, v99, v130, -v78
	v_mul_f32_e32 v144, v97, v115
	v_fmac_f32_e32 v143, v96, v128
	v_add_f32_e32 v76, v76, v142
	v_add_f32_e32 v77, v77, v78
	s_waitcnt lgkmcnt(0)
	v_mul_f32_e32 v78, v102, v117
	v_mul_f32_e32 v145, v99, v116
	v_fmac_f32_e32 v144, v98, v129
	v_add_f32_e32 v76, v76, v143
	s_waitcnt vmcnt(3)
	v_fma_f32 v78, v101, v131, -v78
	v_mul_f32_e32 v146, v101, v117
	v_fmac_f32_e32 v145, v100, v130
	v_add_f32_e32 v76, v76, v144
	v_add_f32_e32 v77, v77, v78
	v_mul_f32_e32 v78, v104, v118
	v_mul_f32_e32 v147, v103, v118
	v_fmac_f32_e32 v146, v102, v131
	v_add_f32_e32 v76, v76, v145
	s_waitcnt vmcnt(2)
	v_fma_f32 v78, v103, v132, -v78
	v_fmac_f32_e32 v147, v104, v132
	v_add_f32_e32 v76, v76, v146
	v_add_f32_e32 v77, v77, v78
	;; [unrolled: 1-line block ×3, first 2 shown]
	s_waitcnt vmcnt(1)
	v_sub_f32_e32 v77, v133, v77
	s_waitcnt vmcnt(0)
	v_sub_f32_e32 v76, v134, v76
	buffer_store_dword v77, off, s[0:3], 0 offset:176
	buffer_store_dword v76, off, s[0:3], 0 offset:180
	s_and_saveexec_b64 s[4:5], vcc
	s_cbranch_execz .LBB100_193
; %bb.192:
	buffer_load_dword v76, off, s[0:3], 0 offset:168
	buffer_load_dword v77, off, s[0:3], 0 offset:172
	v_mov_b32_e32 v78, 0
	buffer_store_dword v78, off, s[0:3], 0 offset:168
	buffer_store_dword v78, off, s[0:3], 0 offset:172
	s_waitcnt vmcnt(2)
	ds_write_b64 v75, v[76:77]
.LBB100_193:
	s_or_b64 exec, exec, s[4:5]
	s_waitcnt lgkmcnt(0)
	; wave barrier
	buffer_load_dword v107, off, s[0:3], 0 offset:180
	buffer_load_dword v108, off, s[0:3], 0 offset:188
	;; [unrolled: 1-line block ×32, first 2 shown]
	v_mov_b32_e32 v76, 0
	ds_read_b128 v[77:80], v76 offset:480
	ds_read_b128 v[81:84], v76 offset:496
	;; [unrolled: 1-line block ×7, first 2 shown]
	ds_read_b64 v[105:106], v76 offset:592
	v_cmp_lt_u32_e32 vcc, 20, v0
	s_waitcnt vmcnt(31) lgkmcnt(7)
	v_mul_f32_e32 v139, v77, v107
	v_mul_f32_e32 v107, v78, v107
	s_waitcnt vmcnt(30)
	v_mul_f32_e32 v140, v79, v108
	v_mul_f32_e32 v108, v80, v108
	s_waitcnt vmcnt(29) lgkmcnt(6)
	v_mul_f32_e32 v141, v81, v109
	v_mul_f32_e32 v109, v82, v109
	s_waitcnt vmcnt(28)
	v_mul_f32_e32 v142, v83, v110
	s_waitcnt vmcnt(27) lgkmcnt(5)
	v_mul_f32_e32 v143, v85, v111
	s_waitcnt vmcnt(26)
	v_mul_f32_e32 v144, v87, v112
	s_waitcnt vmcnt(25) lgkmcnt(4)
	v_mul_f32_e32 v145, v89, v113
	s_waitcnt vmcnt(24)
	v_mul_f32_e32 v146, v91, v114
	s_waitcnt vmcnt(23) lgkmcnt(3)
	v_mul_f32_e32 v147, v93, v115
	s_waitcnt vmcnt(22)
	v_mul_f32_e32 v148, v95, v116
	s_waitcnt vmcnt(21) lgkmcnt(2)
	v_mul_f32_e32 v149, v97, v117
	s_waitcnt vmcnt(20)
	v_mul_f32_e32 v150, v99, v118
	s_waitcnt vmcnt(16)
	v_fma_f32 v77, v77, v122, -v107
	v_fmac_f32_e32 v139, v78, v122
	s_waitcnt vmcnt(15)
	v_fma_f32 v78, v79, v123, -v108
	v_add_f32_e32 v77, 0, v77
	s_waitcnt vmcnt(14)
	v_fma_f32 v79, v81, v124, -v109
	v_add_f32_e32 v77, v77, v78
	v_add_f32_e32 v77, v77, v79
	v_mul_f32_e32 v79, v84, v110
	s_waitcnt vmcnt(13)
	v_fma_f32 v79, v83, v125, -v79
	v_add_f32_e32 v77, v77, v79
	v_mul_f32_e32 v79, v86, v111
	s_waitcnt vmcnt(12)
	v_fma_f32 v79, v85, v126, -v79
	;; [unrolled: 4-line block ×5, first 2 shown]
	v_add_f32_e32 v77, v77, v79
	v_mul_f32_e32 v79, v94, v115
	v_fmac_f32_e32 v140, v80, v123
	v_add_f32_e32 v80, 0, v139
	s_waitcnt vmcnt(8)
	v_fma_f32 v79, v93, v130, -v79
	v_fmac_f32_e32 v141, v82, v124
	v_add_f32_e32 v80, v80, v140
	v_add_f32_e32 v77, v77, v79
	v_mul_f32_e32 v79, v96, v116
	v_fmac_f32_e32 v142, v84, v125
	v_add_f32_e32 v78, v80, v141
	s_waitcnt vmcnt(7)
	v_fma_f32 v79, v95, v131, -v79
	v_fmac_f32_e32 v143, v86, v126
	v_add_f32_e32 v78, v78, v142
	;; [unrolled: 8-line block ×4, first 2 shown]
	v_add_f32_e32 v77, v77, v79
	s_waitcnt lgkmcnt(1)
	v_mul_f32_e32 v79, v102, v119
	v_fmac_f32_e32 v148, v96, v131
	v_add_f32_e32 v78, v78, v147
	s_waitcnt vmcnt(4)
	v_fma_f32 v79, v101, v134, -v79
	v_fmac_f32_e32 v149, v98, v132
	v_add_f32_e32 v78, v78, v148
	v_add_f32_e32 v77, v77, v79
	v_mul_f32_e32 v79, v104, v120
	v_mul_f32_e32 v151, v101, v119
	v_fmac_f32_e32 v150, v100, v133
	v_add_f32_e32 v78, v78, v149
	s_waitcnt vmcnt(3)
	v_fma_f32 v79, v103, v135, -v79
	v_mul_f32_e32 v152, v103, v120
	v_fmac_f32_e32 v151, v102, v134
	v_add_f32_e32 v78, v78, v150
	v_add_f32_e32 v77, v77, v79
	s_waitcnt lgkmcnt(0)
	v_mul_f32_e32 v79, v106, v121
	v_mul_f32_e32 v153, v105, v121
	v_fmac_f32_e32 v152, v104, v135
	v_add_f32_e32 v78, v78, v151
	s_waitcnt vmcnt(2)
	v_fma_f32 v79, v105, v136, -v79
	v_fmac_f32_e32 v153, v106, v136
	v_add_f32_e32 v78, v78, v152
	v_add_f32_e32 v77, v77, v79
	;; [unrolled: 1-line block ×3, first 2 shown]
	s_waitcnt vmcnt(1)
	v_sub_f32_e32 v77, v137, v77
	s_waitcnt vmcnt(0)
	v_sub_f32_e32 v78, v138, v78
	buffer_store_dword v77, off, s[0:3], 0 offset:168
	buffer_store_dword v78, off, s[0:3], 0 offset:172
	s_and_saveexec_b64 s[4:5], vcc
	s_cbranch_execz .LBB100_195
; %bb.194:
	buffer_load_dword v77, off, s[0:3], 0 offset:160
	buffer_load_dword v78, off, s[0:3], 0 offset:164
	s_waitcnt vmcnt(0)
	ds_write_b64 v75, v[77:78]
	buffer_store_dword v76, off, s[0:3], 0 offset:160
	buffer_store_dword v76, off, s[0:3], 0 offset:164
.LBB100_195:
	s_or_b64 exec, exec, s[4:5]
	s_waitcnt lgkmcnt(0)
	; wave barrier
	buffer_load_dword v109, off, s[0:3], 0 offset:172
	buffer_load_dword v110, off, s[0:3], 0 offset:180
	;; [unrolled: 1-line block ×34, first 2 shown]
	ds_read2_b64 v[77:80], v76 offset0:59 offset1:60
	ds_read2_b64 v[81:84], v76 offset0:61 offset1:62
	;; [unrolled: 1-line block ×8, first 2 shown]
	v_cmp_lt_u32_e32 vcc, 19, v0
	s_waitcnt vmcnt(33) lgkmcnt(7)
	v_mul_f32_e32 v76, v77, v109
	v_mul_f32_e32 v109, v78, v109
	s_waitcnt vmcnt(32)
	v_mul_f32_e32 v143, v79, v110
	v_mul_f32_e32 v110, v80, v110
	s_waitcnt vmcnt(31) lgkmcnt(6)
	v_mul_f32_e32 v144, v81, v111
	s_waitcnt vmcnt(30)
	v_mul_f32_e32 v145, v83, v112
	s_waitcnt vmcnt(29) lgkmcnt(5)
	v_mul_f32_e32 v146, v85, v113
	s_waitcnt vmcnt(28)
	;; [unrolled: 4-line block ×6, first 2 shown]
	v_mul_f32_e32 v155, v103, v122
	s_waitcnt vmcnt(17)
	v_fma_f32 v77, v77, v125, -v109
	v_fmac_f32_e32 v76, v78, v125
	s_waitcnt vmcnt(16)
	v_fma_f32 v78, v79, v126, -v110
	v_add_f32_e32 v77, 0, v77
	v_add_f32_e32 v77, v77, v78
	v_mul_f32_e32 v78, v82, v111
	s_waitcnt vmcnt(15)
	v_fma_f32 v78, v81, v127, -v78
	v_add_f32_e32 v77, v77, v78
	v_mul_f32_e32 v78, v84, v112
	s_waitcnt vmcnt(14)
	v_fma_f32 v78, v83, v128, -v78
	;; [unrolled: 4-line block ×7, first 2 shown]
	v_fmac_f32_e32 v143, v80, v126
	v_add_f32_e32 v76, 0, v76
	v_add_f32_e32 v77, v77, v78
	v_mul_f32_e32 v78, v96, v118
	v_fmac_f32_e32 v144, v82, v127
	v_add_f32_e32 v76, v76, v143
	s_waitcnt vmcnt(8)
	v_fma_f32 v78, v95, v134, -v78
	v_fmac_f32_e32 v145, v84, v128
	v_add_f32_e32 v76, v76, v144
	v_add_f32_e32 v77, v77, v78
	v_mul_f32_e32 v78, v98, v119
	v_fmac_f32_e32 v146, v86, v129
	v_add_f32_e32 v76, v76, v145
	s_waitcnt vmcnt(7)
	v_fma_f32 v78, v97, v135, -v78
	;; [unrolled: 8-line block ×5, first 2 shown]
	v_fmac_f32_e32 v153, v100, v136
	v_add_f32_e32 v76, v76, v152
	v_add_f32_e32 v77, v77, v78
	s_waitcnt lgkmcnt(0)
	v_mul_f32_e32 v78, v106, v123
	v_fmac_f32_e32 v154, v102, v137
	v_add_f32_e32 v76, v76, v153
	s_waitcnt vmcnt(3)
	v_fma_f32 v78, v105, v139, -v78
	v_mul_f32_e32 v156, v105, v123
	v_fmac_f32_e32 v155, v104, v138
	v_add_f32_e32 v76, v76, v154
	v_add_f32_e32 v77, v77, v78
	v_mul_f32_e32 v78, v108, v124
	v_mul_f32_e32 v157, v107, v124
	v_fmac_f32_e32 v156, v106, v139
	v_add_f32_e32 v76, v76, v155
	s_waitcnt vmcnt(2)
	v_fma_f32 v78, v107, v140, -v78
	v_fmac_f32_e32 v157, v108, v140
	v_add_f32_e32 v76, v76, v156
	v_add_f32_e32 v77, v77, v78
	;; [unrolled: 1-line block ×3, first 2 shown]
	s_waitcnt vmcnt(1)
	v_sub_f32_e32 v77, v141, v77
	s_waitcnt vmcnt(0)
	v_sub_f32_e32 v76, v142, v76
	buffer_store_dword v77, off, s[0:3], 0 offset:160
	buffer_store_dword v76, off, s[0:3], 0 offset:164
	s_and_saveexec_b64 s[4:5], vcc
	s_cbranch_execz .LBB100_197
; %bb.196:
	buffer_load_dword v76, off, s[0:3], 0 offset:152
	buffer_load_dword v77, off, s[0:3], 0 offset:156
	v_mov_b32_e32 v78, 0
	buffer_store_dword v78, off, s[0:3], 0 offset:152
	buffer_store_dword v78, off, s[0:3], 0 offset:156
	s_waitcnt vmcnt(2)
	ds_write_b64 v75, v[76:77]
.LBB100_197:
	s_or_b64 exec, exec, s[4:5]
	s_waitcnt lgkmcnt(0)
	; wave barrier
	buffer_load_dword v111, off, s[0:3], 0 offset:164
	buffer_load_dword v112, off, s[0:3], 0 offset:172
	;; [unrolled: 1-line block ×36, first 2 shown]
	v_mov_b32_e32 v76, 0
	ds_read_b128 v[77:80], v76 offset:464
	ds_read_b128 v[81:84], v76 offset:480
	;; [unrolled: 1-line block ×8, first 2 shown]
	ds_read_b64 v[109:110], v76 offset:592
	v_cmp_lt_u32_e32 vcc, 18, v0
	s_waitcnt vmcnt(35) lgkmcnt(8)
	v_mul_f32_e32 v147, v77, v111
	s_waitcnt vmcnt(34)
	v_mul_f32_e32 v148, v79, v112
	s_waitcnt vmcnt(33) lgkmcnt(7)
	v_mul_f32_e32 v149, v81, v113
	s_waitcnt vmcnt(32)
	v_mul_f32_e32 v150, v83, v114
	;; [unrolled: 4-line block ×8, first 2 shown]
	s_waitcnt vmcnt(19) lgkmcnt(0)
	v_mul_f32_e32 v163, v109, v127
	s_waitcnt vmcnt(18)
	v_fmac_f32_e32 v147, v78, v128
	v_mul_f32_e32 v78, v78, v111
	v_fma_f32 v77, v77, v128, -v78
	v_mul_f32_e32 v78, v80, v112
	v_add_f32_e32 v77, 0, v77
	s_waitcnt vmcnt(17)
	v_fma_f32 v78, v79, v129, -v78
	v_add_f32_e32 v77, v77, v78
	v_mul_f32_e32 v78, v82, v113
	s_waitcnt vmcnt(16)
	v_fma_f32 v78, v81, v130, -v78
	v_add_f32_e32 v77, v77, v78
	v_mul_f32_e32 v78, v84, v114
	;; [unrolled: 4-line block ×8, first 2 shown]
	v_fmac_f32_e32 v148, v80, v129
	v_add_f32_e32 v147, 0, v147
	s_waitcnt vmcnt(9)
	v_fma_f32 v78, v95, v137, -v78
	v_fmac_f32_e32 v149, v82, v130
	v_add_f32_e32 v147, v147, v148
	v_add_f32_e32 v77, v77, v78
	v_mul_f32_e32 v78, v98, v121
	v_fmac_f32_e32 v150, v84, v131
	v_add_f32_e32 v147, v147, v149
	s_waitcnt vmcnt(8)
	v_fma_f32 v78, v97, v138, -v78
	v_fmac_f32_e32 v151, v86, v132
	v_add_f32_e32 v147, v147, v150
	v_add_f32_e32 v77, v77, v78
	v_mul_f32_e32 v78, v100, v122
	;; [unrolled: 8-line block ×7, first 2 shown]
	v_fmac_f32_e32 v162, v108, v143
	v_add_f32_e32 v147, v147, v161
	s_waitcnt vmcnt(2)
	v_fma_f32 v78, v109, v144, -v78
	v_fmac_f32_e32 v163, v110, v144
	v_add_f32_e32 v147, v147, v162
	v_add_f32_e32 v77, v77, v78
	;; [unrolled: 1-line block ×3, first 2 shown]
	s_waitcnt vmcnt(1)
	v_sub_f32_e32 v77, v145, v77
	s_waitcnt vmcnt(0)
	v_sub_f32_e32 v78, v146, v147
	buffer_store_dword v77, off, s[0:3], 0 offset:152
	buffer_store_dword v78, off, s[0:3], 0 offset:156
	s_and_saveexec_b64 s[4:5], vcc
	s_cbranch_execz .LBB100_199
; %bb.198:
	buffer_load_dword v77, off, s[0:3], 0 offset:144
	buffer_load_dword v78, off, s[0:3], 0 offset:148
	s_waitcnt vmcnt(0)
	ds_write_b64 v75, v[77:78]
	buffer_store_dword v76, off, s[0:3], 0 offset:144
	buffer_store_dword v76, off, s[0:3], 0 offset:148
.LBB100_199:
	s_or_b64 exec, exec, s[4:5]
	s_waitcnt lgkmcnt(0)
	; wave barrier
	buffer_load_dword v113, off, s[0:3], 0 offset:156
	buffer_load_dword v114, off, s[0:3], 0 offset:164
	;; [unrolled: 1-line block ×38, first 2 shown]
	ds_read2_b64 v[77:80], v76 offset0:57 offset1:58
	ds_read2_b64 v[81:84], v76 offset0:59 offset1:60
	;; [unrolled: 1-line block ×9, first 2 shown]
	v_cmp_lt_u32_e32 vcc, 17, v0
	s_waitcnt vmcnt(37) lgkmcnt(8)
	v_mul_f32_e32 v76, v77, v113
	s_waitcnt vmcnt(36)
	v_mul_f32_e32 v151, v79, v114
	s_waitcnt vmcnt(35) lgkmcnt(7)
	v_mul_f32_e32 v152, v81, v115
	s_waitcnt vmcnt(34)
	v_mul_f32_e32 v153, v83, v116
	;; [unrolled: 4-line block ×8, first 2 shown]
	s_waitcnt vmcnt(21) lgkmcnt(0)
	v_mul_f32_e32 v166, v109, v129
	s_waitcnt vmcnt(20)
	v_fmac_f32_e32 v76, v78, v130
	v_mul_f32_e32 v78, v78, v113
	v_fma_f32 v77, v77, v130, -v78
	v_mul_f32_e32 v78, v80, v114
	v_add_f32_e32 v77, 0, v77
	s_waitcnt vmcnt(19)
	v_fma_f32 v78, v79, v131, -v78
	v_add_f32_e32 v77, v77, v78
	v_mul_f32_e32 v78, v82, v115
	s_waitcnt vmcnt(18)
	v_fma_f32 v78, v81, v132, -v78
	v_add_f32_e32 v77, v77, v78
	v_mul_f32_e32 v78, v84, v116
	;; [unrolled: 4-line block ×8, first 2 shown]
	s_waitcnt vmcnt(11)
	v_fma_f32 v78, v95, v139, -v78
	v_fmac_f32_e32 v151, v80, v131
	v_add_f32_e32 v76, 0, v76
	v_add_f32_e32 v77, v77, v78
	v_mul_f32_e32 v78, v98, v123
	v_fmac_f32_e32 v152, v82, v132
	v_add_f32_e32 v76, v76, v151
	s_waitcnt vmcnt(10)
	v_fma_f32 v78, v97, v140, -v78
	v_fmac_f32_e32 v153, v84, v133
	v_add_f32_e32 v76, v76, v152
	v_add_f32_e32 v77, v77, v78
	v_mul_f32_e32 v78, v100, v124
	v_fmac_f32_e32 v154, v86, v134
	v_add_f32_e32 v76, v76, v153
	s_waitcnt vmcnt(9)
	v_fma_f32 v78, v99, v141, -v78
	v_fmac_f32_e32 v155, v88, v135
	v_add_f32_e32 v76, v76, v154
	v_add_f32_e32 v77, v77, v78
	v_mul_f32_e32 v78, v102, v125
	v_fmac_f32_e32 v156, v90, v136
	v_add_f32_e32 v76, v76, v155
	s_waitcnt vmcnt(8)
	v_fma_f32 v78, v101, v142, -v78
	v_fmac_f32_e32 v157, v92, v137
	v_add_f32_e32 v76, v76, v156
	v_add_f32_e32 v77, v77, v78
	v_mul_f32_e32 v78, v104, v126
	v_fmac_f32_e32 v158, v94, v138
	v_add_f32_e32 v76, v76, v157
	s_waitcnt vmcnt(7)
	v_fma_f32 v78, v103, v143, -v78
	v_fmac_f32_e32 v159, v96, v139
	v_add_f32_e32 v76, v76, v158
	v_add_f32_e32 v77, v77, v78
	v_mul_f32_e32 v78, v106, v127
	v_fmac_f32_e32 v160, v98, v140
	v_add_f32_e32 v76, v76, v159
	s_waitcnt vmcnt(6)
	v_fma_f32 v78, v105, v144, -v78
	v_fmac_f32_e32 v161, v100, v141
	v_add_f32_e32 v76, v76, v160
	v_add_f32_e32 v77, v77, v78
	v_mul_f32_e32 v78, v108, v128
	v_fmac_f32_e32 v162, v102, v142
	v_add_f32_e32 v76, v76, v161
	s_waitcnt vmcnt(5)
	v_fma_f32 v78, v107, v145, -v78
	v_fmac_f32_e32 v163, v104, v143
	v_add_f32_e32 v76, v76, v162
	v_add_f32_e32 v77, v77, v78
	v_mul_f32_e32 v78, v110, v129
	v_fmac_f32_e32 v164, v106, v144
	v_add_f32_e32 v76, v76, v163
	s_waitcnt vmcnt(4)
	v_fma_f32 v78, v109, v146, -v78
	v_fmac_f32_e32 v165, v108, v145
	v_add_f32_e32 v76, v76, v164
	v_add_f32_e32 v77, v77, v78
	s_waitcnt vmcnt(3)
	v_mul_f32_e32 v78, v112, v147
	v_add_f32_e32 v76, v76, v165
	v_fmac_f32_e32 v166, v110, v146
	v_mul_f32_e32 v151, v111, v147
	s_waitcnt vmcnt(2)
	v_fma_f32 v78, v111, v148, -v78
	v_add_f32_e32 v76, v76, v166
	v_fmac_f32_e32 v151, v112, v148
	v_add_f32_e32 v77, v77, v78
	v_add_f32_e32 v76, v76, v151
	s_waitcnt vmcnt(1)
	v_sub_f32_e32 v77, v149, v77
	s_waitcnt vmcnt(0)
	v_sub_f32_e32 v76, v150, v76
	buffer_store_dword v77, off, s[0:3], 0 offset:144
	buffer_store_dword v76, off, s[0:3], 0 offset:148
	s_and_saveexec_b64 s[4:5], vcc
	s_cbranch_execz .LBB100_201
; %bb.200:
	buffer_load_dword v76, off, s[0:3], 0 offset:136
	buffer_load_dword v77, off, s[0:3], 0 offset:140
	v_mov_b32_e32 v78, 0
	buffer_store_dword v78, off, s[0:3], 0 offset:136
	buffer_store_dword v78, off, s[0:3], 0 offset:140
	s_waitcnt vmcnt(2)
	ds_write_b64 v75, v[76:77]
.LBB100_201:
	s_or_b64 exec, exec, s[4:5]
	s_waitcnt lgkmcnt(0)
	; wave barrier
	buffer_load_dword v115, off, s[0:3], 0 offset:148
	buffer_load_dword v116, off, s[0:3], 0 offset:156
	buffer_load_dword v117, off, s[0:3], 0 offset:164
	buffer_load_dword v118, off, s[0:3], 0 offset:172
	buffer_load_dword v119, off, s[0:3], 0 offset:180
	buffer_load_dword v120, off, s[0:3], 0 offset:188
	buffer_load_dword v121, off, s[0:3], 0 offset:196
	buffer_load_dword v122, off, s[0:3], 0 offset:204
	buffer_load_dword v123, off, s[0:3], 0 offset:212
	buffer_load_dword v124, off, s[0:3], 0 offset:220
	buffer_load_dword v125, off, s[0:3], 0 offset:228
	buffer_load_dword v126, off, s[0:3], 0 offset:236
	buffer_load_dword v127, off, s[0:3], 0 offset:244
	buffer_load_dword v128, off, s[0:3], 0 offset:252
	buffer_load_dword v129, off, s[0:3], 0 offset:260
	buffer_load_dword v130, off, s[0:3], 0 offset:144
	buffer_load_dword v131, off, s[0:3], 0 offset:152
	buffer_load_dword v132, off, s[0:3], 0 offset:160
	buffer_load_dword v133, off, s[0:3], 0 offset:168
	buffer_load_dword v134, off, s[0:3], 0 offset:176
	buffer_load_dword v135, off, s[0:3], 0 offset:184
	buffer_load_dword v136, off, s[0:3], 0 offset:192
	buffer_load_dword v137, off, s[0:3], 0 offset:200
	buffer_load_dword v138, off, s[0:3], 0 offset:208
	buffer_load_dword v139, off, s[0:3], 0 offset:216
	buffer_load_dword v140, off, s[0:3], 0 offset:224
	buffer_load_dword v141, off, s[0:3], 0 offset:232
	buffer_load_dword v142, off, s[0:3], 0 offset:240
	buffer_load_dword v143, off, s[0:3], 0 offset:248
	buffer_load_dword v144, off, s[0:3], 0 offset:256
	buffer_load_dword v145, off, s[0:3], 0 offset:268
	buffer_load_dword v146, off, s[0:3], 0 offset:264
	buffer_load_dword v147, off, s[0:3], 0 offset:276
	buffer_load_dword v148, off, s[0:3], 0 offset:272
	buffer_load_dword v149, off, s[0:3], 0 offset:284
	buffer_load_dword v150, off, s[0:3], 0 offset:280
	buffer_load_dword v151, off, s[0:3], 0 offset:292
	buffer_load_dword v152, off, s[0:3], 0 offset:288
	buffer_load_dword v153, off, s[0:3], 0 offset:136
	buffer_load_dword v154, off, s[0:3], 0 offset:140
	v_mov_b32_e32 v76, 0
	ds_read_b128 v[77:80], v76 offset:448
	ds_read_b128 v[81:84], v76 offset:464
	;; [unrolled: 1-line block ×9, first 2 shown]
	v_cmp_lt_u32_e32 vcc, 16, v0
	s_waitcnt vmcnt(39) lgkmcnt(8)
	v_mul_f32_e32 v113, v77, v115
	s_waitcnt vmcnt(38)
	v_mul_f32_e32 v114, v79, v116
	s_waitcnt vmcnt(37) lgkmcnt(7)
	v_mul_f32_e32 v155, v81, v117
	s_waitcnt vmcnt(36)
	v_mul_f32_e32 v156, v83, v118
	;; [unrolled: 4-line block ×7, first 2 shown]
	s_waitcnt vmcnt(25) lgkmcnt(1)
	v_mul_f32_e32 v167, v105, v129
	s_waitcnt vmcnt(24)
	v_fmac_f32_e32 v113, v78, v130
	v_mul_f32_e32 v78, v78, v115
	v_fma_f32 v77, v77, v130, -v78
	v_mul_f32_e32 v78, v80, v116
	v_add_f32_e32 v77, 0, v77
	s_waitcnt vmcnt(23)
	v_fma_f32 v78, v79, v131, -v78
	v_add_f32_e32 v77, v77, v78
	v_mul_f32_e32 v78, v82, v117
	s_waitcnt vmcnt(22)
	v_fma_f32 v78, v81, v132, -v78
	v_add_f32_e32 v77, v77, v78
	v_mul_f32_e32 v78, v84, v118
	;; [unrolled: 4-line block ×6, first 2 shown]
	s_waitcnt vmcnt(17)
	v_fma_f32 v78, v91, v137, -v78
	v_fmac_f32_e32 v114, v80, v131
	v_add_f32_e32 v113, 0, v113
	v_add_f32_e32 v77, v77, v78
	v_mul_f32_e32 v78, v94, v123
	v_fmac_f32_e32 v155, v82, v132
	v_add_f32_e32 v113, v113, v114
	s_waitcnt vmcnt(16)
	v_fma_f32 v78, v93, v138, -v78
	v_fmac_f32_e32 v156, v84, v133
	v_add_f32_e32 v113, v113, v155
	v_add_f32_e32 v77, v77, v78
	v_mul_f32_e32 v78, v96, v124
	v_fmac_f32_e32 v157, v86, v134
	v_add_f32_e32 v113, v113, v156
	;; [unrolled: 8-line block ×6, first 2 shown]
	s_waitcnt vmcnt(11)
	v_fma_f32 v78, v103, v143, -v78
	v_fmac_f32_e32 v166, v104, v143
	v_add_f32_e32 v113, v113, v165
	v_add_f32_e32 v77, v77, v78
	v_mul_f32_e32 v78, v106, v129
	s_waitcnt vmcnt(10)
	v_fmac_f32_e32 v167, v106, v144
	v_add_f32_e32 v113, v113, v166
	s_waitcnt vmcnt(9)
	v_mul_f32_e32 v114, v107, v145
	v_fma_f32 v78, v105, v144, -v78
	v_add_f32_e32 v113, v113, v167
	s_waitcnt vmcnt(8)
	v_fmac_f32_e32 v114, v108, v146
	v_add_f32_e32 v77, v77, v78
	v_mul_f32_e32 v78, v108, v145
	v_add_f32_e32 v155, v113, v114
	ds_read_b64 v[113:114], v76 offset:592
	v_fma_f32 v78, v107, v146, -v78
	v_add_f32_e32 v77, v77, v78
	s_waitcnt vmcnt(7) lgkmcnt(1)
	v_mul_f32_e32 v78, v110, v147
	v_mul_f32_e32 v156, v109, v147
	s_waitcnt vmcnt(6)
	v_fma_f32 v78, v109, v148, -v78
	v_fmac_f32_e32 v156, v110, v148
	v_add_f32_e32 v77, v77, v78
	s_waitcnt vmcnt(5)
	v_mul_f32_e32 v78, v112, v149
	v_add_f32_e32 v155, v155, v156
	v_mul_f32_e32 v156, v111, v149
	s_waitcnt vmcnt(4)
	v_fma_f32 v78, v111, v150, -v78
	v_fmac_f32_e32 v156, v112, v150
	v_add_f32_e32 v77, v77, v78
	s_waitcnt vmcnt(3) lgkmcnt(0)
	v_mul_f32_e32 v78, v114, v151
	v_add_f32_e32 v155, v155, v156
	v_mul_f32_e32 v156, v113, v151
	s_waitcnt vmcnt(2)
	v_fma_f32 v78, v113, v152, -v78
	v_fmac_f32_e32 v156, v114, v152
	v_add_f32_e32 v77, v77, v78
	v_add_f32_e32 v155, v155, v156
	s_waitcnt vmcnt(1)
	v_sub_f32_e32 v77, v153, v77
	s_waitcnt vmcnt(0)
	v_sub_f32_e32 v78, v154, v155
	buffer_store_dword v77, off, s[0:3], 0 offset:136
	buffer_store_dword v78, off, s[0:3], 0 offset:140
	s_and_saveexec_b64 s[4:5], vcc
	s_cbranch_execz .LBB100_203
; %bb.202:
	buffer_load_dword v77, off, s[0:3], 0 offset:128
	buffer_load_dword v78, off, s[0:3], 0 offset:132
	s_waitcnt vmcnt(0)
	ds_write_b64 v75, v[77:78]
	buffer_store_dword v76, off, s[0:3], 0 offset:128
	buffer_store_dword v76, off, s[0:3], 0 offset:132
.LBB100_203:
	s_or_b64 exec, exec, s[4:5]
	s_waitcnt lgkmcnt(0)
	; wave barrier
	buffer_load_dword v117, off, s[0:3], 0 offset:140
	buffer_load_dword v118, off, s[0:3], 0 offset:148
	;; [unrolled: 1-line block ×42, first 2 shown]
	ds_read2_b64 v[77:80], v76 offset0:55 offset1:56
	ds_read2_b64 v[81:84], v76 offset0:57 offset1:58
	;; [unrolled: 1-line block ×8, first 2 shown]
	v_cmp_lt_u32_e32 vcc, 15, v0
	s_waitcnt vmcnt(41) lgkmcnt(7)
	v_mul_f32_e32 v109, v77, v117
	s_waitcnt vmcnt(40)
	v_mul_f32_e32 v110, v79, v118
	s_waitcnt vmcnt(39) lgkmcnt(6)
	v_mul_f32_e32 v111, v81, v119
	s_waitcnt vmcnt(38)
	v_mul_f32_e32 v112, v83, v120
	;; [unrolled: 4-line block ×7, first 2 shown]
	s_waitcnt vmcnt(27) lgkmcnt(0)
	v_mul_f32_e32 v165, v105, v131
	s_waitcnt vmcnt(26)
	v_fmac_f32_e32 v109, v78, v132
	v_mul_f32_e32 v78, v78, v117
	v_fma_f32 v77, v77, v132, -v78
	v_mul_f32_e32 v78, v80, v118
	v_add_f32_e32 v77, 0, v77
	s_waitcnt vmcnt(25)
	v_fma_f32 v78, v79, v133, -v78
	v_add_f32_e32 v77, v77, v78
	v_mul_f32_e32 v78, v82, v119
	s_waitcnt vmcnt(24)
	v_fma_f32 v78, v81, v134, -v78
	v_add_f32_e32 v77, v77, v78
	v_mul_f32_e32 v78, v84, v120
	;; [unrolled: 4-line block ×5, first 2 shown]
	v_fmac_f32_e32 v110, v80, v133
	v_add_f32_e32 v109, 0, v109
	s_waitcnt vmcnt(20)
	v_fma_f32 v78, v89, v138, -v78
	v_fmac_f32_e32 v111, v82, v134
	v_add_f32_e32 v109, v109, v110
	v_add_f32_e32 v77, v77, v78
	v_mul_f32_e32 v78, v92, v124
	v_fmac_f32_e32 v112, v84, v135
	v_add_f32_e32 v109, v109, v111
	s_waitcnt vmcnt(19)
	v_fma_f32 v78, v91, v139, -v78
	v_fmac_f32_e32 v113, v86, v136
	v_add_f32_e32 v109, v109, v112
	v_add_f32_e32 v77, v77, v78
	v_mul_f32_e32 v78, v94, v125
	v_fmac_f32_e32 v114, v88, v137
	v_add_f32_e32 v109, v109, v113
	s_waitcnt vmcnt(18)
	v_fma_f32 v78, v93, v140, -v78
	v_fmac_f32_e32 v115, v90, v138
	v_add_f32_e32 v109, v109, v114
	v_add_f32_e32 v77, v77, v78
	v_mul_f32_e32 v78, v96, v126
	v_fmac_f32_e32 v116, v92, v139
	v_add_f32_e32 v109, v109, v115
	s_waitcnt vmcnt(17)
	v_fma_f32 v78, v95, v141, -v78
	v_fmac_f32_e32 v159, v94, v140
	v_add_f32_e32 v109, v109, v116
	v_add_f32_e32 v77, v77, v78
	v_mul_f32_e32 v78, v98, v127
	v_fmac_f32_e32 v160, v96, v141
	v_add_f32_e32 v109, v109, v159
	s_waitcnt vmcnt(16)
	v_fma_f32 v78, v97, v142, -v78
	v_fmac_f32_e32 v161, v98, v142
	v_add_f32_e32 v109, v109, v160
	v_add_f32_e32 v77, v77, v78
	v_mul_f32_e32 v78, v100, v128
	s_waitcnt vmcnt(15)
	v_fmac_f32_e32 v162, v100, v143
	v_add_f32_e32 v109, v109, v161
	v_fma_f32 v78, v99, v143, -v78
	s_waitcnt vmcnt(14)
	v_fmac_f32_e32 v163, v102, v144
	v_add_f32_e32 v109, v109, v162
	v_add_f32_e32 v77, v77, v78
	v_mul_f32_e32 v78, v102, v129
	s_waitcnt vmcnt(13)
	v_fmac_f32_e32 v164, v104, v145
	v_add_f32_e32 v109, v109, v163
	v_fma_f32 v78, v101, v144, -v78
	s_waitcnt vmcnt(12)
	v_fmac_f32_e32 v165, v106, v146
	v_add_f32_e32 v109, v109, v164
	v_add_f32_e32 v77, v77, v78
	v_mul_f32_e32 v78, v104, v130
	v_add_f32_e32 v113, v109, v165
	ds_read2_b64 v[109:112], v76 offset0:71 offset1:72
	v_fma_f32 v78, v103, v145, -v78
	v_add_f32_e32 v77, v77, v78
	v_mul_f32_e32 v78, v106, v131
	s_waitcnt vmcnt(11)
	v_mul_f32_e32 v114, v107, v147
	v_fma_f32 v78, v105, v146, -v78
	s_waitcnt vmcnt(10)
	v_fmac_f32_e32 v114, v108, v148
	v_add_f32_e32 v77, v77, v78
	v_mul_f32_e32 v78, v108, v147
	v_add_f32_e32 v159, v113, v114
	ds_read2_b64 v[113:116], v76 offset0:73 offset1:74
	v_fma_f32 v78, v107, v148, -v78
	v_add_f32_e32 v77, v77, v78
	s_waitcnt vmcnt(9) lgkmcnt(1)
	v_mul_f32_e32 v78, v110, v149
	v_mul_f32_e32 v76, v109, v149
	s_waitcnt vmcnt(8)
	v_fma_f32 v78, v109, v150, -v78
	v_fmac_f32_e32 v76, v110, v150
	v_add_f32_e32 v77, v77, v78
	s_waitcnt vmcnt(7)
	v_mul_f32_e32 v78, v112, v151
	v_add_f32_e32 v76, v159, v76
	v_mul_f32_e32 v159, v111, v151
	s_waitcnt vmcnt(6)
	v_fma_f32 v78, v111, v152, -v78
	v_fmac_f32_e32 v159, v112, v152
	v_add_f32_e32 v77, v77, v78
	s_waitcnt vmcnt(5) lgkmcnt(0)
	v_mul_f32_e32 v78, v114, v153
	v_add_f32_e32 v76, v76, v159
	v_mul_f32_e32 v159, v113, v153
	s_waitcnt vmcnt(4)
	v_fma_f32 v78, v113, v154, -v78
	v_fmac_f32_e32 v159, v114, v154
	v_add_f32_e32 v77, v77, v78
	s_waitcnt vmcnt(3)
	v_mul_f32_e32 v78, v116, v155
	v_add_f32_e32 v76, v76, v159
	v_mul_f32_e32 v159, v115, v155
	s_waitcnt vmcnt(2)
	v_fma_f32 v78, v115, v156, -v78
	v_fmac_f32_e32 v159, v116, v156
	v_add_f32_e32 v77, v77, v78
	v_add_f32_e32 v76, v76, v159
	s_waitcnt vmcnt(1)
	v_sub_f32_e32 v77, v157, v77
	s_waitcnt vmcnt(0)
	v_sub_f32_e32 v76, v158, v76
	buffer_store_dword v77, off, s[0:3], 0 offset:128
	buffer_store_dword v76, off, s[0:3], 0 offset:132
	s_and_saveexec_b64 s[4:5], vcc
	s_cbranch_execz .LBB100_205
; %bb.204:
	buffer_load_dword v76, off, s[0:3], 0 offset:120
	buffer_load_dword v77, off, s[0:3], 0 offset:124
	v_mov_b32_e32 v78, 0
	buffer_store_dword v78, off, s[0:3], 0 offset:120
	buffer_store_dword v78, off, s[0:3], 0 offset:124
	s_waitcnt vmcnt(2)
	ds_write_b64 v75, v[76:77]
.LBB100_205:
	s_or_b64 exec, exec, s[4:5]
	s_waitcnt lgkmcnt(0)
	; wave barrier
	buffer_load_dword v119, off, s[0:3], 0 offset:132
	buffer_load_dword v120, off, s[0:3], 0 offset:140
	;; [unrolled: 1-line block ×44, first 2 shown]
	v_mov_b32_e32 v76, 0
	ds_read_b128 v[77:80], v76 offset:432
	ds_read_b128 v[81:84], v76 offset:448
	;; [unrolled: 1-line block ×8, first 2 shown]
	v_cmp_lt_u32_e32 vcc, 14, v0
	s_waitcnt vmcnt(43) lgkmcnt(7)
	v_mul_f32_e32 v109, v77, v119
	s_waitcnt vmcnt(42)
	v_mul_f32_e32 v110, v79, v120
	s_waitcnt vmcnt(41) lgkmcnt(6)
	v_mul_f32_e32 v111, v81, v121
	s_waitcnt vmcnt(40)
	v_mul_f32_e32 v112, v83, v122
	;; [unrolled: 4-line block ×7, first 2 shown]
	s_waitcnt vmcnt(29)
	v_fmac_f32_e32 v109, v78, v133
	v_mul_f32_e32 v78, v78, v119
	v_fma_f32 v77, v77, v133, -v78
	v_mul_f32_e32 v78, v80, v120
	v_add_f32_e32 v77, 0, v77
	s_waitcnt vmcnt(28)
	v_fma_f32 v78, v79, v134, -v78
	v_add_f32_e32 v77, v77, v78
	v_mul_f32_e32 v78, v82, v121
	s_waitcnt vmcnt(27)
	v_fma_f32 v78, v81, v135, -v78
	v_add_f32_e32 v77, v77, v78
	v_mul_f32_e32 v78, v84, v122
	s_waitcnt vmcnt(26)
	v_fma_f32 v78, v83, v136, -v78
	v_add_f32_e32 v77, v77, v78
	v_mul_f32_e32 v78, v86, v123
	s_waitcnt vmcnt(25)
	v_fma_f32 v78, v85, v137, -v78
	v_add_f32_e32 v77, v77, v78
	v_mul_f32_e32 v78, v88, v124
	s_waitcnt vmcnt(24)
	v_fma_f32 v78, v87, v138, -v78
	v_fmac_f32_e32 v110, v80, v134
	v_add_f32_e32 v109, 0, v109
	v_add_f32_e32 v77, v77, v78
	v_mul_f32_e32 v78, v90, v125
	v_fmac_f32_e32 v111, v82, v135
	v_add_f32_e32 v109, v109, v110
	s_waitcnt vmcnt(23)
	v_fma_f32 v78, v89, v139, -v78
	v_fmac_f32_e32 v112, v84, v136
	v_add_f32_e32 v109, v109, v111
	v_add_f32_e32 v77, v77, v78
	v_mul_f32_e32 v78, v92, v126
	v_fmac_f32_e32 v113, v86, v137
	v_add_f32_e32 v109, v109, v112
	;; [unrolled: 8-line block ×4, first 2 shown]
	s_waitcnt vmcnt(20)
	v_fma_f32 v78, v95, v142, -v78
	v_fmac_f32_e32 v118, v96, v142
	v_add_f32_e32 v109, v109, v117
	v_add_f32_e32 v77, v77, v78
	v_mul_f32_e32 v78, v98, v129
	s_waitcnt vmcnt(19)
	v_fmac_f32_e32 v163, v98, v143
	v_add_f32_e32 v109, v109, v118
	v_fma_f32 v78, v97, v143, -v78
	s_waitcnt vmcnt(18)
	v_fmac_f32_e32 v164, v100, v144
	v_add_f32_e32 v109, v109, v163
	v_add_f32_e32 v77, v77, v78
	v_mul_f32_e32 v78, v100, v130
	s_waitcnt vmcnt(17)
	v_fmac_f32_e32 v165, v102, v145
	v_add_f32_e32 v109, v109, v164
	v_fma_f32 v78, v99, v144, -v78
	v_add_f32_e32 v109, v109, v165
	s_waitcnt vmcnt(16)
	v_fmac_f32_e32 v166, v104, v146
	s_waitcnt vmcnt(15) lgkmcnt(0)
	v_mul_f32_e32 v110, v105, v147
	v_add_f32_e32 v77, v77, v78
	v_mul_f32_e32 v78, v102, v131
	v_add_f32_e32 v109, v109, v166
	s_waitcnt vmcnt(14)
	v_fmac_f32_e32 v110, v106, v148
	v_fma_f32 v78, v101, v145, -v78
	v_add_f32_e32 v113, v109, v110
	ds_read_b128 v[109:112], v76 offset:560
	v_add_f32_e32 v77, v77, v78
	v_mul_f32_e32 v78, v104, v132
	v_fma_f32 v78, v103, v146, -v78
	v_add_f32_e32 v77, v77, v78
	v_mul_f32_e32 v78, v106, v147
	s_waitcnt vmcnt(13)
	v_mul_f32_e32 v114, v107, v149
	v_fma_f32 v78, v105, v148, -v78
	s_waitcnt vmcnt(12)
	v_fmac_f32_e32 v114, v108, v150
	v_add_f32_e32 v77, v77, v78
	v_mul_f32_e32 v78, v108, v149
	v_add_f32_e32 v117, v113, v114
	ds_read_b128 v[113:116], v76 offset:576
	s_waitcnt vmcnt(11) lgkmcnt(1)
	v_mul_f32_e32 v118, v109, v151
	v_fma_f32 v78, v107, v150, -v78
	s_waitcnt vmcnt(10)
	v_fmac_f32_e32 v118, v110, v152
	v_add_f32_e32 v77, v77, v78
	v_mul_f32_e32 v78, v110, v151
	v_add_f32_e32 v117, v117, v118
	s_waitcnt vmcnt(9)
	v_mul_f32_e32 v118, v111, v153
	v_fma_f32 v78, v109, v152, -v78
	s_waitcnt vmcnt(8)
	v_fmac_f32_e32 v118, v112, v154
	v_add_f32_e32 v77, v77, v78
	v_mul_f32_e32 v78, v112, v153
	v_add_f32_e32 v163, v117, v118
	ds_read_b64 v[117:118], v76 offset:592
	v_fma_f32 v78, v111, v154, -v78
	v_add_f32_e32 v77, v77, v78
	s_waitcnt vmcnt(7) lgkmcnt(1)
	v_mul_f32_e32 v78, v114, v155
	v_mul_f32_e32 v164, v113, v155
	s_waitcnt vmcnt(6)
	v_fma_f32 v78, v113, v156, -v78
	v_fmac_f32_e32 v164, v114, v156
	v_add_f32_e32 v77, v77, v78
	s_waitcnt vmcnt(5)
	v_mul_f32_e32 v78, v116, v157
	v_add_f32_e32 v163, v163, v164
	v_mul_f32_e32 v164, v115, v157
	s_waitcnt vmcnt(4)
	v_fma_f32 v78, v115, v158, -v78
	v_fmac_f32_e32 v164, v116, v158
	v_add_f32_e32 v77, v77, v78
	s_waitcnt vmcnt(3) lgkmcnt(0)
	v_mul_f32_e32 v78, v118, v159
	v_add_f32_e32 v163, v163, v164
	v_mul_f32_e32 v164, v117, v159
	s_waitcnt vmcnt(2)
	v_fma_f32 v78, v117, v160, -v78
	v_fmac_f32_e32 v164, v118, v160
	v_add_f32_e32 v77, v77, v78
	v_add_f32_e32 v163, v163, v164
	s_waitcnt vmcnt(1)
	v_sub_f32_e32 v77, v161, v77
	s_waitcnt vmcnt(0)
	v_sub_f32_e32 v78, v162, v163
	buffer_store_dword v77, off, s[0:3], 0 offset:120
	buffer_store_dword v78, off, s[0:3], 0 offset:124
	s_and_saveexec_b64 s[4:5], vcc
	s_cbranch_execz .LBB100_207
; %bb.206:
	buffer_load_dword v77, off, s[0:3], 0 offset:112
	buffer_load_dword v78, off, s[0:3], 0 offset:116
	s_waitcnt vmcnt(0)
	ds_write_b64 v75, v[77:78]
	buffer_store_dword v76, off, s[0:3], 0 offset:112
	buffer_store_dword v76, off, s[0:3], 0 offset:116
.LBB100_207:
	s_or_b64 exec, exec, s[4:5]
	s_waitcnt lgkmcnt(0)
	; wave barrier
	buffer_load_dword v121, off, s[0:3], 0 offset:124
	buffer_load_dword v122, off, s[0:3], 0 offset:132
	;; [unrolled: 1-line block ×46, first 2 shown]
	ds_read2_b64 v[77:80], v76 offset0:53 offset1:54
	ds_read2_b64 v[81:84], v76 offset0:55 offset1:56
	;; [unrolled: 1-line block ×8, first 2 shown]
	v_cmp_lt_u32_e32 vcc, 13, v0
	s_waitcnt vmcnt(45) lgkmcnt(7)
	v_mul_f32_e32 v109, v77, v121
	s_waitcnt vmcnt(44)
	v_mul_f32_e32 v110, v79, v122
	s_waitcnt vmcnt(43) lgkmcnt(6)
	v_mul_f32_e32 v111, v81, v123
	s_waitcnt vmcnt(42)
	v_mul_f32_e32 v112, v83, v124
	;; [unrolled: 4-line block ×6, first 2 shown]
	s_waitcnt vmcnt(33) lgkmcnt(1)
	v_mul_f32_e32 v167, v101, v133
	s_waitcnt vmcnt(32)
	v_fmac_f32_e32 v109, v78, v134
	v_mul_f32_e32 v78, v78, v121
	v_fma_f32 v77, v77, v134, -v78
	v_mul_f32_e32 v78, v80, v122
	v_add_f32_e32 v77, 0, v77
	s_waitcnt vmcnt(31)
	v_fma_f32 v78, v79, v135, -v78
	v_add_f32_e32 v77, v77, v78
	v_mul_f32_e32 v78, v82, v123
	s_waitcnt vmcnt(30)
	v_fma_f32 v78, v81, v136, -v78
	v_add_f32_e32 v77, v77, v78
	v_mul_f32_e32 v78, v84, v124
	;; [unrolled: 4-line block ×4, first 2 shown]
	v_fmac_f32_e32 v110, v80, v135
	v_add_f32_e32 v109, 0, v109
	s_waitcnt vmcnt(27)
	v_fma_f32 v78, v87, v139, -v78
	v_fmac_f32_e32 v111, v82, v136
	v_add_f32_e32 v109, v109, v110
	v_add_f32_e32 v77, v77, v78
	v_mul_f32_e32 v78, v90, v127
	v_fmac_f32_e32 v112, v84, v137
	v_add_f32_e32 v109, v109, v111
	s_waitcnt vmcnt(26)
	v_fma_f32 v78, v89, v140, -v78
	v_fmac_f32_e32 v113, v86, v138
	v_add_f32_e32 v109, v109, v112
	v_add_f32_e32 v77, v77, v78
	v_mul_f32_e32 v78, v92, v128
	;; [unrolled: 8-line block ×4, first 2 shown]
	s_waitcnt vmcnt(23)
	v_fmac_f32_e32 v118, v96, v143
	v_add_f32_e32 v109, v109, v117
	v_fma_f32 v78, v95, v143, -v78
	s_waitcnt vmcnt(22)
	v_fmac_f32_e32 v119, v98, v144
	v_add_f32_e32 v109, v109, v118
	v_add_f32_e32 v77, v77, v78
	v_mul_f32_e32 v78, v98, v131
	s_waitcnt vmcnt(21)
	v_fmac_f32_e32 v120, v100, v145
	v_add_f32_e32 v109, v109, v119
	v_fma_f32 v78, v97, v144, -v78
	s_waitcnt vmcnt(20)
	v_fmac_f32_e32 v167, v102, v146
	v_add_f32_e32 v109, v109, v120
	s_waitcnt vmcnt(19)
	v_mul_f32_e32 v110, v103, v147
	v_add_f32_e32 v77, v77, v78
	v_mul_f32_e32 v78, v100, v132
	v_add_f32_e32 v109, v109, v167
	s_waitcnt vmcnt(18)
	v_fmac_f32_e32 v110, v104, v148
	v_fma_f32 v78, v99, v145, -v78
	v_add_f32_e32 v109, v109, v110
	s_waitcnt vmcnt(17) lgkmcnt(0)
	v_mul_f32_e32 v110, v105, v149
	v_add_f32_e32 v77, v77, v78
	v_mul_f32_e32 v78, v102, v133
	s_waitcnt vmcnt(16)
	v_fmac_f32_e32 v110, v106, v150
	v_fma_f32 v78, v101, v146, -v78
	v_add_f32_e32 v113, v109, v110
	ds_read2_b64 v[109:112], v76 offset0:69 offset1:70
	v_add_f32_e32 v77, v77, v78
	v_mul_f32_e32 v78, v104, v147
	v_fma_f32 v78, v103, v148, -v78
	v_add_f32_e32 v77, v77, v78
	v_mul_f32_e32 v78, v106, v149
	s_waitcnt vmcnt(15)
	v_mul_f32_e32 v114, v107, v151
	v_fma_f32 v78, v105, v150, -v78
	s_waitcnt vmcnt(14)
	v_fmac_f32_e32 v114, v108, v152
	v_add_f32_e32 v77, v77, v78
	v_mul_f32_e32 v78, v108, v151
	v_add_f32_e32 v117, v113, v114
	ds_read2_b64 v[113:116], v76 offset0:71 offset1:72
	s_waitcnt vmcnt(13) lgkmcnt(1)
	v_mul_f32_e32 v118, v109, v153
	v_fma_f32 v78, v107, v152, -v78
	s_waitcnt vmcnt(12)
	v_fmac_f32_e32 v118, v110, v154
	v_add_f32_e32 v77, v77, v78
	v_mul_f32_e32 v78, v110, v153
	v_add_f32_e32 v117, v117, v118
	s_waitcnt vmcnt(11)
	v_mul_f32_e32 v118, v111, v155
	v_fma_f32 v78, v109, v154, -v78
	s_waitcnt vmcnt(10)
	v_fmac_f32_e32 v118, v112, v156
	v_add_f32_e32 v77, v77, v78
	v_mul_f32_e32 v78, v112, v155
	v_add_f32_e32 v167, v117, v118
	ds_read2_b64 v[117:120], v76 offset0:73 offset1:74
	v_fma_f32 v78, v111, v156, -v78
	v_add_f32_e32 v77, v77, v78
	s_waitcnt vmcnt(9) lgkmcnt(1)
	v_mul_f32_e32 v78, v114, v157
	v_mul_f32_e32 v168, v113, v157
	s_waitcnt vmcnt(8)
	v_fma_f32 v78, v113, v158, -v78
	v_fmac_f32_e32 v168, v114, v158
	v_add_f32_e32 v77, v77, v78
	s_waitcnt vmcnt(7)
	v_mul_f32_e32 v78, v116, v159
	v_add_f32_e32 v76, v167, v168
	v_mul_f32_e32 v167, v115, v159
	s_waitcnt vmcnt(6)
	v_fma_f32 v78, v115, v160, -v78
	v_fmac_f32_e32 v167, v116, v160
	v_add_f32_e32 v77, v77, v78
	s_waitcnt vmcnt(5) lgkmcnt(0)
	v_mul_f32_e32 v78, v118, v161
	v_add_f32_e32 v76, v76, v167
	v_mul_f32_e32 v167, v117, v161
	s_waitcnt vmcnt(4)
	v_fma_f32 v78, v117, v162, -v78
	v_fmac_f32_e32 v167, v118, v162
	v_add_f32_e32 v77, v77, v78
	s_waitcnt vmcnt(3)
	v_mul_f32_e32 v78, v120, v163
	v_add_f32_e32 v76, v76, v167
	v_mul_f32_e32 v167, v119, v163
	s_waitcnt vmcnt(2)
	v_fma_f32 v78, v119, v164, -v78
	v_fmac_f32_e32 v167, v120, v164
	v_add_f32_e32 v77, v77, v78
	v_add_f32_e32 v76, v76, v167
	s_waitcnt vmcnt(1)
	v_sub_f32_e32 v77, v165, v77
	s_waitcnt vmcnt(0)
	v_sub_f32_e32 v76, v166, v76
	buffer_store_dword v77, off, s[0:3], 0 offset:112
	buffer_store_dword v76, off, s[0:3], 0 offset:116
	s_and_saveexec_b64 s[4:5], vcc
	s_cbranch_execz .LBB100_209
; %bb.208:
	buffer_load_dword v76, off, s[0:3], 0 offset:104
	buffer_load_dword v77, off, s[0:3], 0 offset:108
	v_mov_b32_e32 v78, 0
	buffer_store_dword v78, off, s[0:3], 0 offset:104
	buffer_store_dword v78, off, s[0:3], 0 offset:108
	s_waitcnt vmcnt(2)
	ds_write_b64 v75, v[76:77]
.LBB100_209:
	s_or_b64 exec, exec, s[4:5]
	s_waitcnt lgkmcnt(0)
	; wave barrier
	buffer_load_dword v123, off, s[0:3], 0 offset:116
	buffer_load_dword v124, off, s[0:3], 0 offset:124
	;; [unrolled: 1-line block ×48, first 2 shown]
	v_mov_b32_e32 v76, 0
	ds_read_b128 v[77:80], v76 offset:416
	ds_read_b128 v[81:84], v76 offset:432
	ds_read_b128 v[85:88], v76 offset:448
	ds_read_b128 v[89:92], v76 offset:464
	ds_read_b128 v[93:96], v76 offset:480
	ds_read_b128 v[97:100], v76 offset:496
	ds_read_b128 v[101:104], v76 offset:512
	v_cmp_lt_u32_e32 vcc, 12, v0
	s_waitcnt vmcnt(47) lgkmcnt(6)
	v_mul_f32_e32 v105, v77, v123
	s_waitcnt vmcnt(46)
	v_mul_f32_e32 v106, v79, v124
	s_waitcnt vmcnt(45) lgkmcnt(5)
	v_mul_f32_e32 v107, v81, v125
	s_waitcnt vmcnt(44)
	v_mul_f32_e32 v108, v83, v126
	s_waitcnt vmcnt(43) lgkmcnt(4)
	v_mul_f32_e32 v109, v85, v127
	s_waitcnt vmcnt(42)
	v_mul_f32_e32 v110, v87, v128
	s_waitcnt vmcnt(41) lgkmcnt(3)
	v_mul_f32_e32 v111, v89, v129
	s_waitcnt vmcnt(40)
	v_mul_f32_e32 v112, v91, v130
	s_waitcnt vmcnt(39) lgkmcnt(2)
	v_mul_f32_e32 v113, v93, v131
	s_waitcnt vmcnt(38)
	v_mul_f32_e32 v114, v95, v132
	s_waitcnt vmcnt(37) lgkmcnt(1)
	v_mul_f32_e32 v115, v97, v133
	s_waitcnt vmcnt(36)
	v_mul_f32_e32 v116, v99, v134
	s_waitcnt vmcnt(35)
	v_fmac_f32_e32 v105, v78, v135
	v_mul_f32_e32 v78, v78, v123
	v_fma_f32 v77, v77, v135, -v78
	v_mul_f32_e32 v78, v80, v124
	v_add_f32_e32 v77, 0, v77
	s_waitcnt vmcnt(34)
	v_fma_f32 v78, v79, v136, -v78
	v_add_f32_e32 v77, v77, v78
	v_mul_f32_e32 v78, v82, v125
	s_waitcnt vmcnt(33)
	v_fma_f32 v78, v81, v137, -v78
	v_fmac_f32_e32 v106, v80, v136
	v_add_f32_e32 v105, 0, v105
	v_add_f32_e32 v77, v77, v78
	v_mul_f32_e32 v78, v84, v126
	v_fmac_f32_e32 v107, v82, v137
	v_add_f32_e32 v105, v105, v106
	s_waitcnt vmcnt(32)
	v_fma_f32 v78, v83, v138, -v78
	v_fmac_f32_e32 v108, v84, v138
	v_add_f32_e32 v105, v105, v107
	v_add_f32_e32 v77, v77, v78
	v_mul_f32_e32 v78, v86, v127
	s_waitcnt vmcnt(31)
	v_fmac_f32_e32 v109, v86, v139
	v_add_f32_e32 v105, v105, v108
	v_fma_f32 v78, v85, v139, -v78
	s_waitcnt vmcnt(30)
	v_fmac_f32_e32 v110, v88, v140
	v_add_f32_e32 v105, v105, v109
	v_add_f32_e32 v77, v77, v78
	v_mul_f32_e32 v78, v88, v128
	s_waitcnt vmcnt(29)
	v_fmac_f32_e32 v111, v90, v141
	v_add_f32_e32 v105, v105, v110
	v_fma_f32 v78, v87, v140, -v78
	s_waitcnt vmcnt(28)
	;; [unrolled: 9-line block ×4, first 2 shown]
	v_fmac_f32_e32 v116, v100, v146
	v_add_f32_e32 v105, v105, v115
	v_add_f32_e32 v77, v77, v78
	v_mul_f32_e32 v78, v94, v131
	v_add_f32_e32 v109, v105, v116
	ds_read_b128 v[105:108], v76 offset:528
	v_fma_f32 v78, v93, v143, -v78
	s_waitcnt vmcnt(23) lgkmcnt(1)
	v_mul_f32_e32 v110, v101, v147
	v_add_f32_e32 v77, v77, v78
	v_mul_f32_e32 v78, v96, v132
	s_waitcnt vmcnt(22)
	v_fmac_f32_e32 v110, v102, v148
	v_fma_f32 v78, v95, v144, -v78
	v_add_f32_e32 v109, v109, v110
	s_waitcnt vmcnt(21)
	v_mul_f32_e32 v110, v103, v149
	v_add_f32_e32 v77, v77, v78
	v_mul_f32_e32 v78, v98, v133
	s_waitcnt vmcnt(20)
	v_fmac_f32_e32 v110, v104, v150
	v_fma_f32 v78, v97, v145, -v78
	v_add_f32_e32 v109, v109, v110
	s_waitcnt vmcnt(19) lgkmcnt(0)
	v_mul_f32_e32 v110, v105, v151
	v_add_f32_e32 v77, v77, v78
	v_mul_f32_e32 v78, v100, v134
	s_waitcnt vmcnt(18)
	v_fmac_f32_e32 v110, v106, v152
	v_fma_f32 v78, v99, v146, -v78
	v_add_f32_e32 v113, v109, v110
	ds_read_b128 v[109:112], v76 offset:544
	v_add_f32_e32 v77, v77, v78
	v_mul_f32_e32 v78, v102, v147
	v_fma_f32 v78, v101, v148, -v78
	s_waitcnt vmcnt(17)
	v_mul_f32_e32 v114, v107, v153
	v_add_f32_e32 v77, v77, v78
	v_mul_f32_e32 v78, v104, v149
	s_waitcnt vmcnt(16)
	v_fmac_f32_e32 v114, v108, v154
	v_fma_f32 v78, v103, v150, -v78
	v_add_f32_e32 v117, v113, v114
	ds_read_b128 v[113:116], v76 offset:560
	v_add_f32_e32 v77, v77, v78
	v_mul_f32_e32 v78, v106, v151
	s_waitcnt vmcnt(15) lgkmcnt(1)
	v_mul_f32_e32 v118, v109, v155
	v_fma_f32 v78, v105, v152, -v78
	s_waitcnt vmcnt(14)
	v_fmac_f32_e32 v118, v110, v156
	v_add_f32_e32 v77, v77, v78
	v_mul_f32_e32 v78, v108, v153
	v_add_f32_e32 v117, v117, v118
	s_waitcnt vmcnt(13)
	v_mul_f32_e32 v118, v111, v157
	v_fma_f32 v78, v107, v154, -v78
	s_waitcnt vmcnt(12)
	v_fmac_f32_e32 v118, v112, v158
	v_add_f32_e32 v77, v77, v78
	v_mul_f32_e32 v78, v110, v155
	v_add_f32_e32 v117, v117, v118
	s_waitcnt vmcnt(11) lgkmcnt(0)
	v_mul_f32_e32 v118, v113, v159
	v_fma_f32 v78, v109, v156, -v78
	s_waitcnt vmcnt(10)
	v_fmac_f32_e32 v118, v114, v160
	v_add_f32_e32 v77, v77, v78
	v_mul_f32_e32 v78, v112, v157
	v_add_f32_e32 v121, v117, v118
	ds_read_b128 v[117:120], v76 offset:576
	v_fma_f32 v78, v111, v158, -v78
	v_add_f32_e32 v77, v77, v78
	v_mul_f32_e32 v78, v114, v159
	s_waitcnt vmcnt(9)
	v_mul_f32_e32 v122, v115, v161
	v_fma_f32 v78, v113, v160, -v78
	s_waitcnt vmcnt(8)
	v_fmac_f32_e32 v122, v116, v162
	v_add_f32_e32 v77, v77, v78
	v_mul_f32_e32 v78, v116, v161
	v_add_f32_e32 v171, v121, v122
	ds_read_b64 v[121:122], v76 offset:592
	v_fma_f32 v78, v115, v162, -v78
	v_add_f32_e32 v77, v77, v78
	s_waitcnt vmcnt(6) lgkmcnt(1)
	v_mul_f32_e32 v78, v118, v164
	v_mul_f32_e32 v172, v117, v164
	v_fma_f32 v78, v117, v163, -v78
	v_fmac_f32_e32 v172, v118, v163
	v_add_f32_e32 v77, v77, v78
	s_waitcnt vmcnt(3)
	v_mul_f32_e32 v78, v120, v167
	v_add_f32_e32 v171, v171, v172
	v_mul_f32_e32 v172, v119, v167
	s_waitcnt vmcnt(2)
	v_fma_f32 v78, v119, v168, -v78
	v_fmac_f32_e32 v172, v120, v168
	v_add_f32_e32 v77, v77, v78
	s_waitcnt vmcnt(0) lgkmcnt(0)
	v_mul_f32_e32 v78, v122, v170
	v_add_f32_e32 v171, v171, v172
	v_mul_f32_e32 v172, v121, v170
	v_fma_f32 v78, v121, v169, -v78
	v_fmac_f32_e32 v172, v122, v169
	v_add_f32_e32 v77, v77, v78
	v_add_f32_e32 v171, v171, v172
	v_sub_f32_e32 v77, v165, v77
	v_sub_f32_e32 v78, v166, v171
	buffer_store_dword v77, off, s[0:3], 0 offset:104
	buffer_store_dword v78, off, s[0:3], 0 offset:108
	s_and_saveexec_b64 s[4:5], vcc
	s_cbranch_execz .LBB100_211
; %bb.210:
	buffer_load_dword v77, off, s[0:3], 0 offset:96
	buffer_load_dword v78, off, s[0:3], 0 offset:100
	s_waitcnt vmcnt(0)
	ds_write_b64 v75, v[77:78]
	buffer_store_dword v76, off, s[0:3], 0 offset:96
	buffer_store_dword v76, off, s[0:3], 0 offset:100
.LBB100_211:
	s_or_b64 exec, exec, s[4:5]
	s_waitcnt lgkmcnt(0)
	; wave barrier
	buffer_load_dword v125, off, s[0:3], 0 offset:108
	buffer_load_dword v126, off, s[0:3], 0 offset:116
	;; [unrolled: 1-line block ×48, first 2 shown]
	ds_read2_b64 v[77:80], v76 offset0:51 offset1:52
	ds_read2_b64 v[81:84], v76 offset0:53 offset1:54
	buffer_load_dword v173, off, s[0:3], 0 offset:288
	buffer_load_dword v174, off, s[0:3], 0 offset:292
	ds_read2_b64 v[85:88], v76 offset0:55 offset1:56
	ds_read2_b64 v[89:92], v76 offset0:57 offset1:58
	;; [unrolled: 1-line block ×5, first 2 shown]
	v_cmp_lt_u32_e32 vcc, 11, v0
	s_waitcnt vmcnt(49) lgkmcnt(6)
	v_mul_f32_e32 v105, v77, v125
	s_waitcnt vmcnt(48)
	v_mul_f32_e32 v106, v79, v126
	s_waitcnt vmcnt(47) lgkmcnt(5)
	v_mul_f32_e32 v107, v81, v127
	s_waitcnt vmcnt(46)
	v_mul_f32_e32 v108, v83, v128
	s_waitcnt vmcnt(45) lgkmcnt(4)
	v_mul_f32_e32 v109, v85, v129
	s_waitcnt vmcnt(44)
	v_mul_f32_e32 v110, v87, v130
	s_waitcnt vmcnt(43) lgkmcnt(3)
	v_mul_f32_e32 v111, v89, v131
	s_waitcnt vmcnt(42)
	v_mul_f32_e32 v112, v91, v132
	s_waitcnt vmcnt(41) lgkmcnt(2)
	v_mul_f32_e32 v113, v93, v133
	s_waitcnt vmcnt(40)
	v_mul_f32_e32 v114, v95, v134
	s_waitcnt vmcnt(39) lgkmcnt(1)
	v_mul_f32_e32 v115, v97, v135
	s_waitcnt vmcnt(38)
	v_mul_f32_e32 v116, v99, v136
	s_waitcnt vmcnt(37)
	v_fmac_f32_e32 v105, v78, v137
	v_mul_f32_e32 v78, v78, v125
	v_fma_f32 v77, v77, v137, -v78
	v_mul_f32_e32 v78, v80, v126
	v_add_f32_e32 v77, 0, v77
	s_waitcnt vmcnt(36)
	v_fma_f32 v78, v79, v138, -v78
	v_add_f32_e32 v77, v77, v78
	v_mul_f32_e32 v78, v82, v127
	s_waitcnt vmcnt(35)
	v_fma_f32 v78, v81, v139, -v78
	v_fmac_f32_e32 v106, v80, v138
	v_add_f32_e32 v105, 0, v105
	v_add_f32_e32 v77, v77, v78
	v_mul_f32_e32 v78, v84, v128
	v_fmac_f32_e32 v107, v82, v139
	v_add_f32_e32 v105, v105, v106
	s_waitcnt vmcnt(34)
	v_fma_f32 v78, v83, v140, -v78
	v_fmac_f32_e32 v108, v84, v140
	v_add_f32_e32 v105, v105, v107
	v_add_f32_e32 v77, v77, v78
	v_mul_f32_e32 v78, v86, v129
	s_waitcnt vmcnt(33)
	v_fmac_f32_e32 v109, v86, v141
	v_add_f32_e32 v105, v105, v108
	v_fma_f32 v78, v85, v141, -v78
	s_waitcnt vmcnt(32)
	v_fmac_f32_e32 v110, v88, v142
	v_add_f32_e32 v105, v105, v109
	v_add_f32_e32 v77, v77, v78
	v_mul_f32_e32 v78, v88, v130
	s_waitcnt vmcnt(31)
	v_fmac_f32_e32 v111, v90, v143
	v_add_f32_e32 v105, v105, v110
	v_fma_f32 v78, v87, v142, -v78
	s_waitcnt vmcnt(30)
	;; [unrolled: 9-line block ×3, first 2 shown]
	v_fmac_f32_e32 v114, v96, v146
	v_add_f32_e32 v105, v105, v113
	v_add_f32_e32 v77, v77, v78
	v_mul_f32_e32 v78, v92, v132
	s_waitcnt vmcnt(27)
	v_fmac_f32_e32 v115, v98, v147
	v_add_f32_e32 v105, v105, v114
	v_fma_f32 v78, v91, v144, -v78
	v_add_f32_e32 v105, v105, v115
	s_waitcnt vmcnt(26)
	v_fmac_f32_e32 v116, v100, v148
	v_add_f32_e32 v77, v77, v78
	v_mul_f32_e32 v78, v94, v133
	v_add_f32_e32 v109, v105, v116
	ds_read2_b64 v[105:108], v76 offset0:65 offset1:66
	v_fma_f32 v78, v93, v145, -v78
	s_waitcnt vmcnt(25) lgkmcnt(1)
	v_mul_f32_e32 v110, v101, v149
	v_add_f32_e32 v77, v77, v78
	v_mul_f32_e32 v78, v96, v134
	s_waitcnt vmcnt(24)
	v_fmac_f32_e32 v110, v102, v150
	v_fma_f32 v78, v95, v146, -v78
	v_add_f32_e32 v109, v109, v110
	s_waitcnt vmcnt(23)
	v_mul_f32_e32 v110, v103, v151
	v_add_f32_e32 v77, v77, v78
	v_mul_f32_e32 v78, v98, v135
	s_waitcnt vmcnt(22)
	v_fmac_f32_e32 v110, v104, v152
	v_fma_f32 v78, v97, v147, -v78
	v_add_f32_e32 v109, v109, v110
	s_waitcnt vmcnt(21) lgkmcnt(0)
	v_mul_f32_e32 v110, v105, v153
	v_add_f32_e32 v77, v77, v78
	v_mul_f32_e32 v78, v100, v136
	s_waitcnt vmcnt(20)
	v_fmac_f32_e32 v110, v106, v154
	v_fma_f32 v78, v99, v148, -v78
	v_add_f32_e32 v113, v109, v110
	ds_read2_b64 v[109:112], v76 offset0:67 offset1:68
	v_add_f32_e32 v77, v77, v78
	v_mul_f32_e32 v78, v102, v149
	v_fma_f32 v78, v101, v150, -v78
	s_waitcnt vmcnt(19)
	v_mul_f32_e32 v114, v107, v155
	v_add_f32_e32 v77, v77, v78
	v_mul_f32_e32 v78, v104, v151
	s_waitcnt vmcnt(18)
	v_fmac_f32_e32 v114, v108, v156
	v_fma_f32 v78, v103, v152, -v78
	v_add_f32_e32 v117, v113, v114
	ds_read2_b64 v[113:116], v76 offset0:69 offset1:70
	v_add_f32_e32 v77, v77, v78
	v_mul_f32_e32 v78, v106, v153
	s_waitcnt vmcnt(17) lgkmcnt(1)
	v_mul_f32_e32 v118, v109, v157
	v_fma_f32 v78, v105, v154, -v78
	s_waitcnt vmcnt(16)
	v_fmac_f32_e32 v118, v110, v158
	v_add_f32_e32 v77, v77, v78
	v_mul_f32_e32 v78, v108, v155
	v_add_f32_e32 v117, v117, v118
	s_waitcnt vmcnt(15)
	v_mul_f32_e32 v118, v111, v159
	v_fma_f32 v78, v107, v156, -v78
	s_waitcnt vmcnt(14)
	v_fmac_f32_e32 v118, v112, v160
	v_add_f32_e32 v77, v77, v78
	v_mul_f32_e32 v78, v110, v157
	v_add_f32_e32 v117, v117, v118
	s_waitcnt vmcnt(13) lgkmcnt(0)
	v_mul_f32_e32 v118, v113, v161
	v_fma_f32 v78, v109, v158, -v78
	s_waitcnt vmcnt(12)
	v_fmac_f32_e32 v118, v114, v162
	v_add_f32_e32 v77, v77, v78
	v_mul_f32_e32 v78, v112, v159
	v_add_f32_e32 v121, v117, v118
	ds_read2_b64 v[117:120], v76 offset0:71 offset1:72
	v_fma_f32 v78, v111, v160, -v78
	v_add_f32_e32 v77, v77, v78
	v_mul_f32_e32 v78, v114, v161
	s_waitcnt vmcnt(11)
	v_mul_f32_e32 v122, v115, v163
	v_fma_f32 v78, v113, v162, -v78
	s_waitcnt vmcnt(10)
	v_fmac_f32_e32 v122, v116, v164
	v_add_f32_e32 v77, v77, v78
	v_mul_f32_e32 v78, v116, v163
	v_add_f32_e32 v175, v121, v122
	ds_read2_b64 v[121:124], v76 offset0:73 offset1:74
	v_fma_f32 v78, v115, v164, -v78
	v_add_f32_e32 v77, v77, v78
	s_waitcnt vmcnt(7) lgkmcnt(1)
	v_mul_f32_e32 v78, v118, v167
	v_mul_f32_e32 v76, v117, v167
	s_waitcnt vmcnt(6)
	v_fma_f32 v78, v117, v168, -v78
	v_fmac_f32_e32 v76, v118, v168
	v_add_f32_e32 v77, v77, v78
	s_waitcnt vmcnt(4)
	v_mul_f32_e32 v78, v120, v170
	v_add_f32_e32 v76, v175, v76
	v_mul_f32_e32 v175, v119, v170
	v_fma_f32 v78, v119, v169, -v78
	v_fmac_f32_e32 v175, v120, v169
	v_add_f32_e32 v77, v77, v78
	s_waitcnt vmcnt(2) lgkmcnt(0)
	v_mul_f32_e32 v78, v122, v172
	v_add_f32_e32 v76, v76, v175
	v_mul_f32_e32 v175, v121, v172
	v_fma_f32 v78, v121, v171, -v78
	v_fmac_f32_e32 v175, v122, v171
	v_add_f32_e32 v77, v77, v78
	s_waitcnt vmcnt(0)
	v_mul_f32_e32 v78, v124, v174
	v_add_f32_e32 v76, v76, v175
	v_mul_f32_e32 v175, v123, v174
	v_fma_f32 v78, v123, v173, -v78
	v_fmac_f32_e32 v175, v124, v173
	v_add_f32_e32 v77, v77, v78
	v_add_f32_e32 v76, v76, v175
	v_sub_f32_e32 v77, v165, v77
	v_sub_f32_e32 v76, v166, v76
	buffer_store_dword v77, off, s[0:3], 0 offset:96
	buffer_store_dword v76, off, s[0:3], 0 offset:100
	s_and_saveexec_b64 s[4:5], vcc
	s_cbranch_execz .LBB100_213
; %bb.212:
	buffer_load_dword v76, off, s[0:3], 0 offset:88
	buffer_load_dword v77, off, s[0:3], 0 offset:92
	v_mov_b32_e32 v78, 0
	buffer_store_dword v78, off, s[0:3], 0 offset:88
	buffer_store_dword v78, off, s[0:3], 0 offset:92
	s_waitcnt vmcnt(2)
	ds_write_b64 v75, v[76:77]
.LBB100_213:
	s_or_b64 exec, exec, s[4:5]
	s_waitcnt lgkmcnt(0)
	; wave barrier
	buffer_load_dword v127, off, s[0:3], 0 offset:100
	buffer_load_dword v128, off, s[0:3], 0 offset:108
	;; [unrolled: 1-line block ×52, first 2 shown]
	v_mov_b32_e32 v76, 0
	ds_read_b128 v[77:80], v76 offset:400
	ds_read_b128 v[81:84], v76 offset:416
	;; [unrolled: 1-line block ×6, first 2 shown]
	v_cmp_lt_u32_e32 vcc, 10, v0
	s_waitcnt vmcnt(51) lgkmcnt(5)
	v_mul_f32_e32 v101, v77, v127
	s_waitcnt vmcnt(50)
	v_mul_f32_e32 v102, v79, v128
	s_waitcnt vmcnt(49) lgkmcnt(4)
	v_mul_f32_e32 v103, v81, v129
	s_waitcnt vmcnt(48)
	v_mul_f32_e32 v104, v83, v130
	;; [unrolled: 4-line block ×5, first 2 shown]
	s_waitcnt vmcnt(41) lgkmcnt(0)
	v_mul_f32_e32 v111, v97, v137
	s_waitcnt vmcnt(40)
	v_fmac_f32_e32 v101, v78, v138
	v_mul_f32_e32 v78, v78, v127
	s_waitcnt vmcnt(39)
	v_fmac_f32_e32 v102, v80, v139
	v_add_f32_e32 v101, 0, v101
	v_fma_f32 v77, v77, v138, -v78
	v_mul_f32_e32 v78, v80, v128
	s_waitcnt vmcnt(38)
	v_fmac_f32_e32 v103, v82, v140
	v_add_f32_e32 v101, v101, v102
	v_add_f32_e32 v77, 0, v77
	v_fma_f32 v78, v79, v139, -v78
	s_waitcnt vmcnt(37)
	v_fmac_f32_e32 v104, v84, v141
	v_add_f32_e32 v101, v101, v103
	v_add_f32_e32 v77, v77, v78
	v_mul_f32_e32 v78, v82, v129
	s_waitcnt vmcnt(36)
	v_fmac_f32_e32 v105, v86, v142
	v_add_f32_e32 v101, v101, v104
	v_fma_f32 v78, v81, v140, -v78
	s_waitcnt vmcnt(35)
	v_fmac_f32_e32 v106, v88, v143
	v_add_f32_e32 v101, v101, v105
	v_add_f32_e32 v77, v77, v78
	v_mul_f32_e32 v78, v84, v130
	s_waitcnt vmcnt(34)
	v_fmac_f32_e32 v107, v90, v144
	;; [unrolled: 9-line block ×3, first 2 shown]
	v_add_f32_e32 v101, v101, v108
	v_fma_f32 v78, v85, v142, -v78
	s_waitcnt vmcnt(31)
	v_fmac_f32_e32 v110, v96, v147
	v_add_f32_e32 v101, v101, v109
	v_add_f32_e32 v77, v77, v78
	v_mul_f32_e32 v78, v88, v132
	v_add_f32_e32 v101, v101, v110
	s_waitcnt vmcnt(30)
	v_fmac_f32_e32 v111, v98, v148
	v_fma_f32 v78, v87, v143, -v78
	v_add_f32_e32 v105, v101, v111
	ds_read_b128 v[101:104], v76 offset:496
	v_add_f32_e32 v77, v77, v78
	v_mul_f32_e32 v78, v90, v133
	v_fma_f32 v78, v89, v144, -v78
	s_waitcnt vmcnt(29)
	v_mul_f32_e32 v106, v99, v149
	v_add_f32_e32 v77, v77, v78
	v_mul_f32_e32 v78, v92, v134
	s_waitcnt vmcnt(28)
	v_fmac_f32_e32 v106, v100, v150
	v_fma_f32 v78, v91, v145, -v78
	v_add_f32_e32 v109, v105, v106
	ds_read_b128 v[105:108], v76 offset:512
	v_add_f32_e32 v77, v77, v78
	v_mul_f32_e32 v78, v94, v135
	s_waitcnt vmcnt(27) lgkmcnt(1)
	v_mul_f32_e32 v110, v101, v151
	v_fma_f32 v78, v93, v146, -v78
	s_waitcnt vmcnt(26)
	v_fmac_f32_e32 v110, v102, v152
	v_add_f32_e32 v77, v77, v78
	v_mul_f32_e32 v78, v96, v136
	v_add_f32_e32 v109, v109, v110
	s_waitcnt vmcnt(25)
	v_mul_f32_e32 v110, v103, v153
	v_fma_f32 v78, v95, v147, -v78
	s_waitcnt vmcnt(24)
	v_fmac_f32_e32 v110, v104, v154
	v_add_f32_e32 v77, v77, v78
	v_mul_f32_e32 v78, v98, v137
	v_add_f32_e32 v109, v109, v110
	s_waitcnt vmcnt(23) lgkmcnt(0)
	v_mul_f32_e32 v110, v105, v155
	v_fma_f32 v78, v97, v148, -v78
	s_waitcnt vmcnt(22)
	v_fmac_f32_e32 v110, v106, v156
	v_add_f32_e32 v77, v77, v78
	v_mul_f32_e32 v78, v100, v149
	v_add_f32_e32 v113, v109, v110
	ds_read_b128 v[109:112], v76 offset:528
	v_fma_f32 v78, v99, v150, -v78
	v_add_f32_e32 v77, v77, v78
	v_mul_f32_e32 v78, v102, v151
	s_waitcnt vmcnt(21)
	v_mul_f32_e32 v114, v107, v157
	v_fma_f32 v78, v101, v152, -v78
	s_waitcnt vmcnt(20)
	v_fmac_f32_e32 v114, v108, v158
	v_add_f32_e32 v77, v77, v78
	v_mul_f32_e32 v78, v104, v153
	v_add_f32_e32 v117, v113, v114
	ds_read_b128 v[113:116], v76 offset:544
	v_fma_f32 v78, v103, v154, -v78
	s_waitcnt vmcnt(19) lgkmcnt(1)
	v_mul_f32_e32 v118, v109, v159
	v_add_f32_e32 v77, v77, v78
	v_mul_f32_e32 v78, v106, v155
	s_waitcnt vmcnt(18)
	v_fmac_f32_e32 v118, v110, v160
	v_fma_f32 v78, v105, v156, -v78
	v_add_f32_e32 v117, v117, v118
	s_waitcnt vmcnt(17)
	v_mul_f32_e32 v118, v111, v161
	v_add_f32_e32 v77, v77, v78
	v_mul_f32_e32 v78, v108, v157
	s_waitcnt vmcnt(16)
	v_fmac_f32_e32 v118, v112, v162
	v_fma_f32 v78, v107, v158, -v78
	v_add_f32_e32 v117, v117, v118
	s_waitcnt vmcnt(14) lgkmcnt(0)
	v_mul_f32_e32 v118, v113, v164
	v_add_f32_e32 v77, v77, v78
	v_mul_f32_e32 v78, v110, v159
	v_fmac_f32_e32 v118, v114, v163
	v_fma_f32 v78, v109, v160, -v78
	v_add_f32_e32 v121, v117, v118
	ds_read_b128 v[117:120], v76 offset:560
	v_add_f32_e32 v77, v77, v78
	v_mul_f32_e32 v78, v112, v161
	v_fma_f32 v78, v111, v162, -v78
	v_add_f32_e32 v77, v77, v78
	v_mul_f32_e32 v78, v114, v164
	s_waitcnt vmcnt(11)
	v_mul_f32_e32 v122, v115, v167
	v_fma_f32 v78, v113, v163, -v78
	s_waitcnt vmcnt(10)
	v_fmac_f32_e32 v122, v116, v168
	v_add_f32_e32 v77, v77, v78
	v_mul_f32_e32 v78, v116, v167
	v_add_f32_e32 v125, v121, v122
	ds_read_b128 v[121:124], v76 offset:576
	s_waitcnt vmcnt(8) lgkmcnt(1)
	v_mul_f32_e32 v126, v117, v170
	v_fma_f32 v78, v115, v168, -v78
	v_fmac_f32_e32 v126, v118, v169
	v_add_f32_e32 v77, v77, v78
	v_mul_f32_e32 v78, v118, v170
	v_add_f32_e32 v125, v125, v126
	s_waitcnt vmcnt(6)
	v_mul_f32_e32 v126, v119, v172
	v_fma_f32 v78, v117, v169, -v78
	v_fmac_f32_e32 v126, v120, v171
	v_add_f32_e32 v77, v77, v78
	v_mul_f32_e32 v78, v120, v172
	v_add_f32_e32 v179, v125, v126
	ds_read_b64 v[125:126], v76 offset:592
	v_fma_f32 v78, v119, v171, -v78
	v_add_f32_e32 v77, v77, v78
	s_waitcnt vmcnt(4) lgkmcnt(1)
	v_mul_f32_e32 v78, v122, v174
	v_mul_f32_e32 v180, v121, v174
	v_fma_f32 v78, v121, v173, -v78
	v_fmac_f32_e32 v180, v122, v173
	v_add_f32_e32 v77, v77, v78
	s_waitcnt vmcnt(2)
	v_mul_f32_e32 v78, v124, v176
	v_add_f32_e32 v179, v179, v180
	v_mul_f32_e32 v180, v123, v176
	v_fma_f32 v78, v123, v175, -v78
	v_fmac_f32_e32 v180, v124, v175
	v_add_f32_e32 v77, v77, v78
	s_waitcnt vmcnt(0) lgkmcnt(0)
	v_mul_f32_e32 v78, v126, v178
	v_add_f32_e32 v179, v179, v180
	v_mul_f32_e32 v180, v125, v178
	v_fma_f32 v78, v125, v177, -v78
	v_fmac_f32_e32 v180, v126, v177
	v_add_f32_e32 v77, v77, v78
	v_add_f32_e32 v179, v179, v180
	v_sub_f32_e32 v77, v165, v77
	v_sub_f32_e32 v78, v166, v179
	buffer_store_dword v77, off, s[0:3], 0 offset:88
	buffer_store_dword v78, off, s[0:3], 0 offset:92
	s_and_saveexec_b64 s[4:5], vcc
	s_cbranch_execz .LBB100_215
; %bb.214:
	buffer_load_dword v77, off, s[0:3], 0 offset:80
	buffer_load_dword v78, off, s[0:3], 0 offset:84
	s_waitcnt vmcnt(0)
	ds_write_b64 v75, v[77:78]
	buffer_store_dword v76, off, s[0:3], 0 offset:80
	buffer_store_dword v76, off, s[0:3], 0 offset:84
.LBB100_215:
	s_or_b64 exec, exec, s[4:5]
	s_waitcnt lgkmcnt(0)
	; wave barrier
	buffer_load_dword v129, off, s[0:3], 0 offset:92
	buffer_load_dword v130, off, s[0:3], 0 offset:100
	;; [unrolled: 1-line block ×42, first 2 shown]
	ds_read2_b64 v[77:80], v76 offset0:49 offset1:50
	ds_read2_b64 v[81:84], v76 offset0:51 offset1:52
	;; [unrolled: 1-line block ×4, first 2 shown]
	buffer_load_dword v171, off, s[0:3], 0 offset:252
	buffer_load_dword v172, off, s[0:3], 0 offset:248
	;; [unrolled: 1-line block ×6, first 2 shown]
	ds_read2_b64 v[93:96], v76 offset0:57 offset1:58
	ds_read2_b64 v[97:100], v76 offset0:59 offset1:60
	buffer_load_dword v177, off, s[0:3], 0 offset:272
	buffer_load_dword v178, off, s[0:3], 0 offset:276
	;; [unrolled: 1-line block ×6, first 2 shown]
	v_cmp_lt_u32_e32 vcc, 9, v0
	s_waitcnt vmcnt(53) lgkmcnt(5)
	v_mul_f32_e32 v101, v77, v129
	s_waitcnt vmcnt(52)
	v_mul_f32_e32 v102, v79, v130
	s_waitcnt vmcnt(51) lgkmcnt(4)
	v_mul_f32_e32 v103, v81, v131
	s_waitcnt vmcnt(50)
	v_mul_f32_e32 v104, v83, v132
	;; [unrolled: 4-line block ×5, first 2 shown]
	s_waitcnt vmcnt(43)
	v_fmac_f32_e32 v101, v78, v139
	v_mul_f32_e32 v78, v78, v129
	s_waitcnt vmcnt(42)
	v_fmac_f32_e32 v102, v80, v140
	v_add_f32_e32 v101, 0, v101
	v_fma_f32 v77, v77, v139, -v78
	v_mul_f32_e32 v78, v80, v130
	s_waitcnt vmcnt(41)
	v_fmac_f32_e32 v103, v82, v141
	v_add_f32_e32 v101, v101, v102
	v_add_f32_e32 v77, 0, v77
	v_fma_f32 v78, v79, v140, -v78
	s_waitcnt vmcnt(40)
	v_fmac_f32_e32 v104, v84, v142
	v_add_f32_e32 v101, v101, v103
	v_add_f32_e32 v77, v77, v78
	v_mul_f32_e32 v78, v82, v131
	s_waitcnt vmcnt(39)
	v_fmac_f32_e32 v105, v86, v143
	v_add_f32_e32 v101, v101, v104
	v_fma_f32 v78, v81, v141, -v78
	s_waitcnt vmcnt(38)
	v_fmac_f32_e32 v106, v88, v144
	v_add_f32_e32 v101, v101, v105
	v_add_f32_e32 v77, v77, v78
	v_mul_f32_e32 v78, v84, v132
	s_waitcnt vmcnt(37)
	v_fmac_f32_e32 v107, v90, v145
	;; [unrolled: 9-line block ×3, first 2 shown]
	v_add_f32_e32 v101, v101, v108
	v_fma_f32 v78, v85, v143, -v78
	s_waitcnt vmcnt(34)
	v_fmac_f32_e32 v110, v96, v148
	v_add_f32_e32 v101, v101, v109
	s_waitcnt vmcnt(33) lgkmcnt(0)
	v_mul_f32_e32 v102, v97, v149
	v_add_f32_e32 v77, v77, v78
	v_mul_f32_e32 v78, v88, v134
	v_add_f32_e32 v101, v101, v110
	s_waitcnt vmcnt(32)
	v_fmac_f32_e32 v102, v98, v150
	v_fma_f32 v78, v87, v144, -v78
	v_add_f32_e32 v105, v101, v102
	ds_read2_b64 v[101:104], v76 offset0:61 offset1:62
	v_add_f32_e32 v77, v77, v78
	v_mul_f32_e32 v78, v90, v135
	v_fma_f32 v78, v89, v145, -v78
	s_waitcnt vmcnt(31)
	v_mul_f32_e32 v106, v99, v151
	v_add_f32_e32 v77, v77, v78
	v_mul_f32_e32 v78, v92, v136
	s_waitcnt vmcnt(30)
	v_fmac_f32_e32 v106, v100, v152
	v_fma_f32 v78, v91, v146, -v78
	v_add_f32_e32 v109, v105, v106
	ds_read2_b64 v[105:108], v76 offset0:63 offset1:64
	v_add_f32_e32 v77, v77, v78
	v_mul_f32_e32 v78, v94, v137
	s_waitcnt vmcnt(29) lgkmcnt(1)
	v_mul_f32_e32 v110, v101, v153
	v_fma_f32 v78, v93, v147, -v78
	s_waitcnt vmcnt(28)
	v_fmac_f32_e32 v110, v102, v154
	v_add_f32_e32 v77, v77, v78
	v_mul_f32_e32 v78, v96, v138
	v_add_f32_e32 v109, v109, v110
	s_waitcnt vmcnt(27)
	v_mul_f32_e32 v110, v103, v155
	v_fma_f32 v78, v95, v148, -v78
	s_waitcnt vmcnt(26)
	v_fmac_f32_e32 v110, v104, v156
	v_add_f32_e32 v77, v77, v78
	v_mul_f32_e32 v78, v98, v149
	v_add_f32_e32 v109, v109, v110
	s_waitcnt vmcnt(25) lgkmcnt(0)
	v_mul_f32_e32 v110, v105, v157
	v_fma_f32 v78, v97, v150, -v78
	s_waitcnt vmcnt(24)
	v_fmac_f32_e32 v110, v106, v158
	v_add_f32_e32 v77, v77, v78
	v_mul_f32_e32 v78, v100, v151
	v_add_f32_e32 v113, v109, v110
	ds_read2_b64 v[109:112], v76 offset0:65 offset1:66
	v_fma_f32 v78, v99, v152, -v78
	v_add_f32_e32 v77, v77, v78
	v_mul_f32_e32 v78, v102, v153
	s_waitcnt vmcnt(23)
	v_mul_f32_e32 v114, v107, v159
	v_fma_f32 v78, v101, v154, -v78
	s_waitcnt vmcnt(22)
	v_fmac_f32_e32 v114, v108, v160
	v_add_f32_e32 v77, v77, v78
	v_mul_f32_e32 v78, v104, v155
	v_add_f32_e32 v117, v113, v114
	ds_read2_b64 v[113:116], v76 offset0:67 offset1:68
	v_fma_f32 v78, v103, v156, -v78
	s_waitcnt vmcnt(21) lgkmcnt(1)
	v_mul_f32_e32 v118, v109, v161
	v_add_f32_e32 v77, v77, v78
	v_mul_f32_e32 v78, v106, v157
	s_waitcnt vmcnt(20)
	v_fmac_f32_e32 v118, v110, v162
	v_fma_f32 v78, v105, v158, -v78
	v_add_f32_e32 v117, v117, v118
	s_waitcnt vmcnt(18)
	v_mul_f32_e32 v118, v111, v164
	v_add_f32_e32 v77, v77, v78
	v_mul_f32_e32 v78, v108, v159
	v_fmac_f32_e32 v118, v112, v163
	v_fma_f32 v78, v107, v160, -v78
	v_add_f32_e32 v117, v117, v118
	s_waitcnt vmcnt(15) lgkmcnt(0)
	v_mul_f32_e32 v118, v113, v167
	v_add_f32_e32 v77, v77, v78
	v_mul_f32_e32 v78, v110, v161
	s_waitcnt vmcnt(14)
	v_fmac_f32_e32 v118, v114, v168
	v_fma_f32 v78, v109, v162, -v78
	v_add_f32_e32 v121, v117, v118
	ds_read2_b64 v[117:120], v76 offset0:69 offset1:70
	v_add_f32_e32 v77, v77, v78
	v_mul_f32_e32 v78, v112, v164
	v_fma_f32 v78, v111, v163, -v78
	v_add_f32_e32 v77, v77, v78
	v_mul_f32_e32 v78, v114, v167
	s_waitcnt vmcnt(12)
	v_mul_f32_e32 v122, v115, v170
	v_fma_f32 v78, v113, v168, -v78
	v_fmac_f32_e32 v122, v116, v169
	v_add_f32_e32 v77, v77, v78
	v_mul_f32_e32 v78, v116, v170
	v_add_f32_e32 v125, v121, v122
	ds_read2_b64 v[121:124], v76 offset0:71 offset1:72
	s_waitcnt vmcnt(11) lgkmcnt(1)
	v_mul_f32_e32 v126, v117, v171
	v_fma_f32 v78, v115, v169, -v78
	s_waitcnt vmcnt(10)
	v_fmac_f32_e32 v126, v118, v172
	v_add_f32_e32 v77, v77, v78
	v_mul_f32_e32 v78, v118, v171
	v_add_f32_e32 v125, v125, v126
	s_waitcnt vmcnt(8)
	v_mul_f32_e32 v126, v119, v174
	v_fma_f32 v78, v117, v172, -v78
	v_fmac_f32_e32 v126, v120, v173
	v_add_f32_e32 v77, v77, v78
	v_mul_f32_e32 v78, v120, v174
	v_add_f32_e32 v183, v125, v126
	ds_read2_b64 v[125:128], v76 offset0:73 offset1:74
	v_fma_f32 v78, v119, v173, -v78
	v_add_f32_e32 v77, v77, v78
	s_waitcnt vmcnt(6) lgkmcnt(1)
	v_mul_f32_e32 v78, v122, v176
	v_mul_f32_e32 v184, v121, v176
	v_fma_f32 v78, v121, v175, -v78
	v_fmac_f32_e32 v184, v122, v175
	v_add_f32_e32 v77, v77, v78
	s_waitcnt vmcnt(4)
	v_mul_f32_e32 v78, v124, v178
	v_add_f32_e32 v76, v183, v184
	v_mul_f32_e32 v183, v123, v178
	v_fma_f32 v78, v123, v177, -v78
	v_fmac_f32_e32 v183, v124, v177
	v_add_f32_e32 v77, v77, v78
	s_waitcnt vmcnt(2) lgkmcnt(0)
	v_mul_f32_e32 v78, v126, v180
	v_add_f32_e32 v76, v76, v183
	v_mul_f32_e32 v183, v125, v180
	v_fma_f32 v78, v125, v179, -v78
	v_fmac_f32_e32 v183, v126, v179
	v_add_f32_e32 v77, v77, v78
	s_waitcnt vmcnt(0)
	v_mul_f32_e32 v78, v128, v182
	v_add_f32_e32 v76, v76, v183
	v_mul_f32_e32 v183, v127, v182
	v_fma_f32 v78, v127, v181, -v78
	v_fmac_f32_e32 v183, v128, v181
	v_add_f32_e32 v77, v77, v78
	v_add_f32_e32 v76, v76, v183
	v_sub_f32_e32 v77, v165, v77
	v_sub_f32_e32 v76, v166, v76
	buffer_store_dword v77, off, s[0:3], 0 offset:80
	buffer_store_dword v76, off, s[0:3], 0 offset:84
	s_and_saveexec_b64 s[4:5], vcc
	s_cbranch_execz .LBB100_217
; %bb.216:
	buffer_load_dword v76, off, s[0:3], 0 offset:72
	buffer_load_dword v77, off, s[0:3], 0 offset:76
	v_mov_b32_e32 v78, 0
	buffer_store_dword v78, off, s[0:3], 0 offset:72
	buffer_store_dword v78, off, s[0:3], 0 offset:76
	s_waitcnt vmcnt(2)
	ds_write_b64 v75, v[76:77]
.LBB100_217:
	s_or_b64 exec, exec, s[4:5]
	s_waitcnt lgkmcnt(0)
	; wave barrier
	buffer_load_dword v131, off, s[0:3], 0 offset:84
	buffer_load_dword v132, off, s[0:3], 0 offset:92
	;; [unrolled: 1-line block ×56, first 2 shown]
	v_mov_b32_e32 v76, 0
	ds_read_b128 v[77:80], v76 offset:384
	ds_read_b128 v[81:84], v76 offset:400
	;; [unrolled: 1-line block ×6, first 2 shown]
	v_cmp_lt_u32_e32 vcc, 8, v0
	s_waitcnt vmcnt(55) lgkmcnt(5)
	v_mul_f32_e32 v101, v77, v131
	s_waitcnt vmcnt(54)
	v_mul_f32_e32 v102, v79, v132
	s_waitcnt vmcnt(53) lgkmcnt(4)
	v_mul_f32_e32 v103, v81, v133
	s_waitcnt vmcnt(52)
	v_mul_f32_e32 v104, v83, v134
	;; [unrolled: 4-line block ×4, first 2 shown]
	s_waitcnt vmcnt(47) lgkmcnt(1)
	v_mul_f32_e32 v109, v93, v139
	s_waitcnt vmcnt(46)
	v_fmac_f32_e32 v101, v78, v140
	s_waitcnt vmcnt(45)
	v_fmac_f32_e32 v102, v80, v141
	v_add_f32_e32 v101, 0, v101
	s_waitcnt vmcnt(44)
	v_fmac_f32_e32 v103, v82, v142
	v_add_f32_e32 v101, v101, v102
	;; [unrolled: 3-line block ×3, first 2 shown]
	v_mul_f32_e32 v78, v78, v131
	s_waitcnt vmcnt(42)
	v_fmac_f32_e32 v105, v86, v144
	v_add_f32_e32 v101, v101, v104
	v_fma_f32 v77, v77, v140, -v78
	v_mul_f32_e32 v78, v80, v132
	s_waitcnt vmcnt(41)
	v_fmac_f32_e32 v106, v88, v145
	v_add_f32_e32 v101, v101, v105
	v_add_f32_e32 v77, 0, v77
	v_fma_f32 v78, v79, v141, -v78
	s_waitcnt vmcnt(40)
	v_fmac_f32_e32 v107, v90, v146
	v_add_f32_e32 v101, v101, v106
	v_add_f32_e32 v77, v77, v78
	v_mul_f32_e32 v78, v82, v133
	s_waitcnt vmcnt(39)
	v_fmac_f32_e32 v108, v92, v147
	v_add_f32_e32 v101, v101, v107
	v_fma_f32 v78, v81, v142, -v78
	v_add_f32_e32 v101, v101, v108
	s_waitcnt vmcnt(38)
	v_fmac_f32_e32 v109, v94, v148
	s_waitcnt vmcnt(37)
	v_mul_f32_e32 v102, v95, v149
	v_add_f32_e32 v77, v77, v78
	v_mul_f32_e32 v78, v84, v134
	v_add_f32_e32 v101, v101, v109
	s_waitcnt vmcnt(36)
	v_fmac_f32_e32 v102, v96, v150
	v_fma_f32 v78, v83, v143, -v78
	v_add_f32_e32 v101, v101, v102
	s_waitcnt vmcnt(35) lgkmcnt(0)
	v_mul_f32_e32 v102, v97, v151
	v_add_f32_e32 v77, v77, v78
	v_mul_f32_e32 v78, v86, v135
	s_waitcnt vmcnt(34)
	v_fmac_f32_e32 v102, v98, v152
	v_fma_f32 v78, v85, v144, -v78
	v_add_f32_e32 v105, v101, v102
	ds_read_b128 v[101:104], v76 offset:480
	v_add_f32_e32 v77, v77, v78
	v_mul_f32_e32 v78, v88, v136
	v_fma_f32 v78, v87, v145, -v78
	s_waitcnt vmcnt(33)
	v_mul_f32_e32 v106, v99, v153
	v_add_f32_e32 v77, v77, v78
	v_mul_f32_e32 v78, v90, v137
	s_waitcnt vmcnt(32)
	v_fmac_f32_e32 v106, v100, v154
	v_fma_f32 v78, v89, v146, -v78
	v_add_f32_e32 v109, v105, v106
	ds_read_b128 v[105:108], v76 offset:496
	v_add_f32_e32 v77, v77, v78
	v_mul_f32_e32 v78, v92, v138
	s_waitcnt vmcnt(31) lgkmcnt(1)
	v_mul_f32_e32 v110, v101, v155
	v_fma_f32 v78, v91, v147, -v78
	s_waitcnt vmcnt(30)
	v_fmac_f32_e32 v110, v102, v156
	v_add_f32_e32 v77, v77, v78
	v_mul_f32_e32 v78, v94, v139
	v_add_f32_e32 v109, v109, v110
	s_waitcnt vmcnt(29)
	v_mul_f32_e32 v110, v103, v157
	v_fma_f32 v78, v93, v148, -v78
	s_waitcnt vmcnt(28)
	v_fmac_f32_e32 v110, v104, v158
	v_add_f32_e32 v77, v77, v78
	v_mul_f32_e32 v78, v96, v149
	v_add_f32_e32 v109, v109, v110
	s_waitcnt vmcnt(27) lgkmcnt(0)
	v_mul_f32_e32 v110, v105, v159
	v_fma_f32 v78, v95, v150, -v78
	s_waitcnt vmcnt(26)
	v_fmac_f32_e32 v110, v106, v160
	v_add_f32_e32 v77, v77, v78
	v_mul_f32_e32 v78, v98, v151
	v_add_f32_e32 v113, v109, v110
	ds_read_b128 v[109:112], v76 offset:512
	v_fma_f32 v78, v97, v152, -v78
	v_add_f32_e32 v77, v77, v78
	v_mul_f32_e32 v78, v100, v153
	s_waitcnt vmcnt(24)
	v_mul_f32_e32 v114, v107, v162
	v_fma_f32 v78, v99, v154, -v78
	v_fmac_f32_e32 v114, v108, v161
	v_add_f32_e32 v77, v77, v78
	v_mul_f32_e32 v78, v102, v155
	v_add_f32_e32 v117, v113, v114
	ds_read_b128 v[113:116], v76 offset:528
	v_fma_f32 v78, v101, v156, -v78
	s_waitcnt vmcnt(21) lgkmcnt(1)
	v_mul_f32_e32 v118, v109, v165
	v_add_f32_e32 v77, v77, v78
	v_mul_f32_e32 v78, v104, v157
	s_waitcnt vmcnt(20)
	v_fmac_f32_e32 v118, v110, v166
	v_fma_f32 v78, v103, v158, -v78
	v_add_f32_e32 v117, v117, v118
	s_waitcnt vmcnt(18)
	v_mul_f32_e32 v118, v111, v168
	v_add_f32_e32 v77, v77, v78
	v_mul_f32_e32 v78, v106, v159
	v_fmac_f32_e32 v118, v112, v167
	v_fma_f32 v78, v105, v160, -v78
	v_add_f32_e32 v117, v117, v118
	s_waitcnt vmcnt(16) lgkmcnt(0)
	v_mul_f32_e32 v118, v113, v170
	v_add_f32_e32 v77, v77, v78
	v_mul_f32_e32 v78, v108, v162
	v_fmac_f32_e32 v118, v114, v169
	v_fma_f32 v78, v107, v161, -v78
	v_add_f32_e32 v121, v117, v118
	ds_read_b128 v[117:120], v76 offset:544
	v_add_f32_e32 v77, v77, v78
	v_mul_f32_e32 v78, v110, v165
	v_fma_f32 v78, v109, v166, -v78
	s_waitcnt vmcnt(14)
	v_mul_f32_e32 v122, v115, v172
	v_add_f32_e32 v77, v77, v78
	v_mul_f32_e32 v78, v112, v168
	v_fmac_f32_e32 v122, v116, v171
	v_fma_f32 v78, v111, v167, -v78
	v_add_f32_e32 v125, v121, v122
	ds_read_b128 v[121:124], v76 offset:560
	v_add_f32_e32 v77, v77, v78
	v_mul_f32_e32 v78, v114, v170
	s_waitcnt vmcnt(12) lgkmcnt(1)
	v_mul_f32_e32 v126, v117, v174
	v_fma_f32 v78, v113, v169, -v78
	v_fmac_f32_e32 v126, v118, v173
	v_add_f32_e32 v77, v77, v78
	v_mul_f32_e32 v78, v116, v172
	v_add_f32_e32 v125, v125, v126
	s_waitcnt vmcnt(10)
	v_mul_f32_e32 v126, v119, v176
	v_fma_f32 v78, v115, v171, -v78
	v_fmac_f32_e32 v126, v120, v175
	v_add_f32_e32 v77, v77, v78
	v_mul_f32_e32 v78, v118, v174
	v_add_f32_e32 v125, v125, v126
	s_waitcnt vmcnt(8) lgkmcnt(0)
	v_mul_f32_e32 v126, v121, v178
	v_fma_f32 v78, v117, v173, -v78
	v_fmac_f32_e32 v126, v122, v177
	v_add_f32_e32 v77, v77, v78
	v_mul_f32_e32 v78, v120, v176
	v_add_f32_e32 v129, v125, v126
	ds_read_b128 v[125:128], v76 offset:576
	v_fma_f32 v78, v119, v175, -v78
	v_add_f32_e32 v77, v77, v78
	v_mul_f32_e32 v78, v122, v178
	s_waitcnt vmcnt(6)
	v_mul_f32_e32 v130, v123, v180
	v_fma_f32 v78, v121, v177, -v78
	v_fmac_f32_e32 v130, v124, v179
	v_add_f32_e32 v77, v77, v78
	v_mul_f32_e32 v78, v124, v180
	v_add_f32_e32 v187, v129, v130
	ds_read_b64 v[129:130], v76 offset:592
	v_fma_f32 v78, v123, v179, -v78
	v_add_f32_e32 v77, v77, v78
	s_waitcnt vmcnt(4) lgkmcnt(1)
	v_mul_f32_e32 v78, v126, v182
	v_mul_f32_e32 v188, v125, v182
	v_fma_f32 v78, v125, v181, -v78
	v_fmac_f32_e32 v188, v126, v181
	v_add_f32_e32 v77, v77, v78
	s_waitcnt vmcnt(2)
	v_mul_f32_e32 v78, v128, v184
	v_add_f32_e32 v187, v187, v188
	v_mul_f32_e32 v188, v127, v184
	v_fma_f32 v78, v127, v183, -v78
	v_fmac_f32_e32 v188, v128, v183
	v_add_f32_e32 v77, v77, v78
	s_waitcnt vmcnt(0) lgkmcnt(0)
	v_mul_f32_e32 v78, v130, v186
	v_add_f32_e32 v187, v187, v188
	v_mul_f32_e32 v188, v129, v186
	v_fma_f32 v78, v129, v185, -v78
	v_fmac_f32_e32 v188, v130, v185
	v_add_f32_e32 v77, v77, v78
	v_add_f32_e32 v187, v187, v188
	v_sub_f32_e32 v77, v163, v77
	v_sub_f32_e32 v78, v164, v187
	buffer_store_dword v77, off, s[0:3], 0 offset:72
	buffer_store_dword v78, off, s[0:3], 0 offset:76
	s_and_saveexec_b64 s[4:5], vcc
	s_cbranch_execz .LBB100_219
; %bb.218:
	buffer_load_dword v77, off, s[0:3], 0 offset:64
	buffer_load_dword v78, off, s[0:3], 0 offset:68
	s_waitcnt vmcnt(0)
	ds_write_b64 v75, v[77:78]
	buffer_store_dword v76, off, s[0:3], 0 offset:64
	buffer_store_dword v76, off, s[0:3], 0 offset:68
.LBB100_219:
	s_or_b64 exec, exec, s[4:5]
	s_waitcnt lgkmcnt(0)
	; wave barrier
	buffer_load_dword v133, off, s[0:3], 0 offset:76
	buffer_load_dword v134, off, s[0:3], 0 offset:84
	;; [unrolled: 1-line block ×34, first 2 shown]
	ds_read2_b64 v[77:80], v76 offset0:47 offset1:48
	ds_read2_b64 v[81:84], v76 offset0:49 offset1:50
	buffer_load_dword v167, off, s[0:3], 0 offset:204
	buffer_load_dword v168, off, s[0:3], 0 offset:200
	;; [unrolled: 1-line block ×6, first 2 shown]
	ds_read2_b64 v[85:88], v76 offset0:51 offset1:52
	ds_read2_b64 v[89:92], v76 offset0:53 offset1:54
	;; [unrolled: 1-line block ×4, first 2 shown]
	buffer_load_dword v173, off, s[0:3], 0 offset:228
	buffer_load_dword v174, off, s[0:3], 0 offset:224
	;; [unrolled: 1-line block ×18, first 2 shown]
	v_cmp_lt_u32_e32 vcc, 7, v0
	s_waitcnt vmcnt(57) lgkmcnt(5)
	v_mul_f32_e32 v101, v77, v133
	s_waitcnt vmcnt(56)
	v_mul_f32_e32 v102, v79, v134
	s_waitcnt vmcnt(55) lgkmcnt(4)
	v_mul_f32_e32 v103, v81, v135
	s_waitcnt vmcnt(54)
	v_mul_f32_e32 v104, v83, v136
	;; [unrolled: 4-line block ×4, first 2 shown]
	s_waitcnt vmcnt(49)
	v_fmac_f32_e32 v101, v78, v141
	s_waitcnt vmcnt(48)
	v_fmac_f32_e32 v102, v80, v142
	v_add_f32_e32 v101, 0, v101
	s_waitcnt vmcnt(47)
	v_fmac_f32_e32 v103, v82, v143
	v_add_f32_e32 v101, v101, v102
	;; [unrolled: 3-line block ×4, first 2 shown]
	v_mul_f32_e32 v78, v78, v133
	s_waitcnt vmcnt(44)
	v_fmac_f32_e32 v106, v88, v146
	v_add_f32_e32 v101, v101, v105
	v_fma_f32 v77, v77, v141, -v78
	v_mul_f32_e32 v78, v80, v134
	s_waitcnt vmcnt(43)
	v_fmac_f32_e32 v107, v90, v147
	v_add_f32_e32 v101, v101, v106
	v_add_f32_e32 v77, 0, v77
	v_fma_f32 v78, v79, v142, -v78
	s_waitcnt vmcnt(42)
	v_fmac_f32_e32 v108, v92, v148
	v_add_f32_e32 v101, v101, v107
	s_waitcnt vmcnt(41) lgkmcnt(1)
	v_mul_f32_e32 v102, v93, v149
	v_add_f32_e32 v77, v77, v78
	v_mul_f32_e32 v78, v82, v135
	v_add_f32_e32 v101, v101, v108
	s_waitcnt vmcnt(40)
	v_fmac_f32_e32 v102, v94, v150
	v_fma_f32 v78, v81, v143, -v78
	v_add_f32_e32 v101, v101, v102
	s_waitcnt vmcnt(39)
	v_mul_f32_e32 v102, v95, v151
	v_add_f32_e32 v77, v77, v78
	v_mul_f32_e32 v78, v84, v136
	s_waitcnt vmcnt(38)
	v_fmac_f32_e32 v102, v96, v152
	v_fma_f32 v78, v83, v144, -v78
	v_add_f32_e32 v101, v101, v102
	s_waitcnt vmcnt(37) lgkmcnt(0)
	v_mul_f32_e32 v102, v97, v153
	v_add_f32_e32 v77, v77, v78
	v_mul_f32_e32 v78, v86, v137
	s_waitcnt vmcnt(36)
	v_fmac_f32_e32 v102, v98, v154
	v_fma_f32 v78, v85, v145, -v78
	v_add_f32_e32 v105, v101, v102
	ds_read2_b64 v[101:104], v76 offset0:59 offset1:60
	v_add_f32_e32 v77, v77, v78
	v_mul_f32_e32 v78, v88, v138
	v_fma_f32 v78, v87, v146, -v78
	s_waitcnt vmcnt(35)
	v_mul_f32_e32 v106, v99, v155
	v_add_f32_e32 v77, v77, v78
	v_mul_f32_e32 v78, v90, v139
	s_waitcnt vmcnt(34)
	v_fmac_f32_e32 v106, v100, v156
	v_fma_f32 v78, v89, v147, -v78
	v_add_f32_e32 v109, v105, v106
	ds_read2_b64 v[105:108], v76 offset0:61 offset1:62
	v_add_f32_e32 v77, v77, v78
	v_mul_f32_e32 v78, v92, v140
	s_waitcnt vmcnt(33) lgkmcnt(1)
	v_mul_f32_e32 v110, v101, v157
	v_fma_f32 v78, v91, v148, -v78
	s_waitcnt vmcnt(32)
	v_fmac_f32_e32 v110, v102, v158
	v_add_f32_e32 v77, v77, v78
	v_mul_f32_e32 v78, v94, v149
	v_add_f32_e32 v109, v109, v110
	s_waitcnt vmcnt(31)
	v_mul_f32_e32 v110, v103, v159
	v_fma_f32 v78, v93, v150, -v78
	s_waitcnt vmcnt(30)
	v_fmac_f32_e32 v110, v104, v160
	v_add_f32_e32 v77, v77, v78
	v_mul_f32_e32 v78, v96, v151
	v_add_f32_e32 v109, v109, v110
	s_waitcnt vmcnt(29) lgkmcnt(0)
	v_mul_f32_e32 v110, v105, v161
	v_fma_f32 v78, v95, v152, -v78
	s_waitcnt vmcnt(28)
	v_fmac_f32_e32 v110, v106, v162
	v_add_f32_e32 v77, v77, v78
	v_mul_f32_e32 v78, v98, v153
	v_add_f32_e32 v113, v109, v110
	ds_read2_b64 v[109:112], v76 offset0:63 offset1:64
	v_fma_f32 v78, v97, v154, -v78
	v_add_f32_e32 v77, v77, v78
	v_mul_f32_e32 v78, v100, v155
	s_waitcnt vmcnt(25)
	v_mul_f32_e32 v114, v107, v165
	v_fma_f32 v78, v99, v156, -v78
	s_waitcnt vmcnt(24)
	v_fmac_f32_e32 v114, v108, v166
	v_add_f32_e32 v77, v77, v78
	v_mul_f32_e32 v78, v102, v157
	v_add_f32_e32 v117, v113, v114
	ds_read2_b64 v[113:116], v76 offset0:65 offset1:66
	v_fma_f32 v78, v101, v158, -v78
	s_waitcnt vmcnt(23) lgkmcnt(1)
	v_mul_f32_e32 v118, v109, v167
	v_add_f32_e32 v77, v77, v78
	v_mul_f32_e32 v78, v104, v159
	s_waitcnt vmcnt(22)
	v_fmac_f32_e32 v118, v110, v168
	v_fma_f32 v78, v103, v160, -v78
	v_add_f32_e32 v117, v117, v118
	s_waitcnt vmcnt(20)
	v_mul_f32_e32 v118, v111, v170
	v_add_f32_e32 v77, v77, v78
	v_mul_f32_e32 v78, v106, v161
	v_fmac_f32_e32 v118, v112, v169
	v_fma_f32 v78, v105, v162, -v78
	v_add_f32_e32 v117, v117, v118
	s_waitcnt vmcnt(18) lgkmcnt(0)
	v_mul_f32_e32 v118, v113, v172
	v_add_f32_e32 v77, v77, v78
	v_mul_f32_e32 v78, v108, v165
	v_fmac_f32_e32 v118, v114, v171
	v_fma_f32 v78, v107, v166, -v78
	v_add_f32_e32 v121, v117, v118
	ds_read2_b64 v[117:120], v76 offset0:67 offset1:68
	v_add_f32_e32 v77, v77, v78
	v_mul_f32_e32 v78, v110, v167
	v_fma_f32 v78, v109, v168, -v78
	s_waitcnt vmcnt(17)
	v_mul_f32_e32 v122, v115, v173
	v_add_f32_e32 v77, v77, v78
	v_mul_f32_e32 v78, v112, v170
	s_waitcnt vmcnt(16)
	v_fmac_f32_e32 v122, v116, v174
	v_fma_f32 v78, v111, v169, -v78
	v_add_f32_e32 v125, v121, v122
	ds_read2_b64 v[121:124], v76 offset0:69 offset1:70
	v_add_f32_e32 v77, v77, v78
	v_mul_f32_e32 v78, v114, v172
	s_waitcnt vmcnt(14) lgkmcnt(1)
	v_mul_f32_e32 v126, v117, v176
	v_fma_f32 v78, v113, v171, -v78
	v_fmac_f32_e32 v126, v118, v175
	v_add_f32_e32 v77, v77, v78
	v_mul_f32_e32 v78, v116, v173
	v_add_f32_e32 v125, v125, v126
	s_waitcnt vmcnt(12)
	v_mul_f32_e32 v126, v119, v178
	v_fma_f32 v78, v115, v174, -v78
	v_fmac_f32_e32 v126, v120, v177
	v_add_f32_e32 v77, v77, v78
	v_mul_f32_e32 v78, v118, v176
	v_add_f32_e32 v125, v125, v126
	s_waitcnt vmcnt(10) lgkmcnt(0)
	v_mul_f32_e32 v126, v121, v180
	v_fma_f32 v78, v117, v175, -v78
	v_fmac_f32_e32 v126, v122, v179
	v_add_f32_e32 v77, v77, v78
	v_mul_f32_e32 v78, v120, v178
	v_add_f32_e32 v129, v125, v126
	ds_read2_b64 v[125:128], v76 offset0:71 offset1:72
	v_fma_f32 v78, v119, v177, -v78
	v_add_f32_e32 v77, v77, v78
	v_mul_f32_e32 v78, v122, v180
	s_waitcnt vmcnt(8)
	v_mul_f32_e32 v130, v123, v182
	v_fma_f32 v78, v121, v179, -v78
	v_fmac_f32_e32 v130, v124, v181
	v_add_f32_e32 v77, v77, v78
	v_mul_f32_e32 v78, v124, v182
	v_add_f32_e32 v191, v129, v130
	ds_read2_b64 v[129:132], v76 offset0:73 offset1:74
	v_fma_f32 v78, v123, v181, -v78
	v_add_f32_e32 v77, v77, v78
	s_waitcnt vmcnt(6) lgkmcnt(1)
	v_mul_f32_e32 v78, v126, v184
	v_mul_f32_e32 v76, v125, v184
	v_fma_f32 v78, v125, v183, -v78
	v_fmac_f32_e32 v76, v126, v183
	v_add_f32_e32 v77, v77, v78
	s_waitcnt vmcnt(4)
	v_mul_f32_e32 v78, v128, v186
	v_add_f32_e32 v76, v191, v76
	v_mul_f32_e32 v191, v127, v186
	v_fma_f32 v78, v127, v185, -v78
	v_fmac_f32_e32 v191, v128, v185
	v_add_f32_e32 v77, v77, v78
	s_waitcnt vmcnt(2) lgkmcnt(0)
	v_mul_f32_e32 v78, v130, v188
	v_add_f32_e32 v76, v76, v191
	v_mul_f32_e32 v191, v129, v188
	v_fma_f32 v78, v129, v187, -v78
	v_fmac_f32_e32 v191, v130, v187
	v_add_f32_e32 v77, v77, v78
	s_waitcnt vmcnt(0)
	v_mul_f32_e32 v78, v132, v190
	v_add_f32_e32 v76, v76, v191
	v_mul_f32_e32 v191, v131, v190
	v_fma_f32 v78, v131, v189, -v78
	v_fmac_f32_e32 v191, v132, v189
	v_add_f32_e32 v77, v77, v78
	v_add_f32_e32 v76, v76, v191
	v_sub_f32_e32 v77, v163, v77
	v_sub_f32_e32 v76, v164, v76
	buffer_store_dword v77, off, s[0:3], 0 offset:64
	buffer_store_dword v76, off, s[0:3], 0 offset:68
	s_and_saveexec_b64 s[4:5], vcc
	s_cbranch_execz .LBB100_221
; %bb.220:
	buffer_load_dword v76, off, s[0:3], 0 offset:56
	buffer_load_dword v77, off, s[0:3], 0 offset:60
	v_mov_b32_e32 v78, 0
	buffer_store_dword v78, off, s[0:3], 0 offset:56
	buffer_store_dword v78, off, s[0:3], 0 offset:60
	s_waitcnt vmcnt(2)
	ds_write_b64 v75, v[76:77]
.LBB100_221:
	s_or_b64 exec, exec, s[4:5]
	s_waitcnt lgkmcnt(0)
	; wave barrier
	buffer_load_dword v135, off, s[0:3], 0 offset:68
	buffer_load_dword v136, off, s[0:3], 0 offset:76
	;; [unrolled: 1-line block ×60, first 2 shown]
	v_mov_b32_e32 v76, 0
	ds_read_b128 v[77:80], v76 offset:368
	ds_read_b128 v[81:84], v76 offset:384
	;; [unrolled: 1-line block ×5, first 2 shown]
	v_cmp_lt_u32_e32 vcc, 6, v0
	s_waitcnt vmcnt(59) lgkmcnt(4)
	v_mul_f32_e32 v97, v77, v135
	s_waitcnt vmcnt(58)
	v_mul_f32_e32 v98, v79, v136
	s_waitcnt vmcnt(57) lgkmcnt(3)
	v_mul_f32_e32 v99, v81, v137
	s_waitcnt vmcnt(56)
	v_mul_f32_e32 v100, v83, v138
	;; [unrolled: 4-line block ×3, first 2 shown]
	s_waitcnt vmcnt(53) lgkmcnt(1)
	v_mul_f32_e32 v103, v89, v141
	s_waitcnt vmcnt(52)
	v_fmac_f32_e32 v97, v78, v142
	s_waitcnt vmcnt(51)
	v_fmac_f32_e32 v98, v80, v143
	v_add_f32_e32 v97, 0, v97
	s_waitcnt vmcnt(50)
	v_fmac_f32_e32 v99, v82, v144
	v_add_f32_e32 v97, v97, v98
	;; [unrolled: 3-line block ×6, first 2 shown]
	s_waitcnt vmcnt(45)
	v_mul_f32_e32 v98, v91, v149
	v_add_f32_e32 v97, v97, v103
	s_waitcnt vmcnt(44)
	v_fmac_f32_e32 v98, v92, v150
	v_mul_f32_e32 v78, v78, v135
	v_add_f32_e32 v101, v97, v98
	ds_read_b128 v[97:100], v76 offset:448
	v_fma_f32 v77, v77, v142, -v78
	v_mul_f32_e32 v78, v80, v136
	s_waitcnt vmcnt(43) lgkmcnt(1)
	v_mul_f32_e32 v102, v93, v151
	v_add_f32_e32 v77, 0, v77
	v_fma_f32 v78, v79, v143, -v78
	s_waitcnt vmcnt(42)
	v_fmac_f32_e32 v102, v94, v152
	v_add_f32_e32 v77, v77, v78
	v_mul_f32_e32 v78, v82, v137
	v_add_f32_e32 v101, v101, v102
	s_waitcnt vmcnt(41)
	v_mul_f32_e32 v102, v95, v153
	v_fma_f32 v78, v81, v144, -v78
	s_waitcnt vmcnt(40)
	v_fmac_f32_e32 v102, v96, v154
	v_add_f32_e32 v77, v77, v78
	v_mul_f32_e32 v78, v84, v138
	v_add_f32_e32 v101, v101, v102
	s_waitcnt vmcnt(39) lgkmcnt(0)
	v_mul_f32_e32 v102, v97, v155
	v_fma_f32 v78, v83, v145, -v78
	s_waitcnt vmcnt(38)
	v_fmac_f32_e32 v102, v98, v156
	v_add_f32_e32 v77, v77, v78
	v_mul_f32_e32 v78, v86, v139
	v_add_f32_e32 v105, v101, v102
	ds_read_b128 v[101:104], v76 offset:464
	v_fma_f32 v78, v85, v146, -v78
	v_add_f32_e32 v77, v77, v78
	v_mul_f32_e32 v78, v88, v140
	s_waitcnt vmcnt(37)
	v_mul_f32_e32 v106, v99, v157
	v_fma_f32 v78, v87, v147, -v78
	s_waitcnt vmcnt(36)
	v_fmac_f32_e32 v106, v100, v158
	v_add_f32_e32 v77, v77, v78
	v_mul_f32_e32 v78, v90, v141
	v_add_f32_e32 v109, v105, v106
	ds_read_b128 v[105:108], v76 offset:480
	v_fma_f32 v78, v89, v148, -v78
	s_waitcnt vmcnt(34) lgkmcnt(1)
	v_mul_f32_e32 v110, v101, v160
	v_add_f32_e32 v77, v77, v78
	v_mul_f32_e32 v78, v92, v149
	v_fmac_f32_e32 v110, v102, v159
	v_fma_f32 v78, v91, v150, -v78
	v_add_f32_e32 v109, v109, v110
	s_waitcnt vmcnt(31)
	v_mul_f32_e32 v110, v103, v163
	v_add_f32_e32 v77, v77, v78
	v_mul_f32_e32 v78, v94, v151
	s_waitcnt vmcnt(30)
	v_fmac_f32_e32 v110, v104, v164
	v_fma_f32 v78, v93, v152, -v78
	v_add_f32_e32 v109, v109, v110
	s_waitcnt vmcnt(28) lgkmcnt(0)
	v_mul_f32_e32 v110, v105, v166
	v_add_f32_e32 v77, v77, v78
	v_mul_f32_e32 v78, v96, v153
	v_fmac_f32_e32 v110, v106, v165
	v_fma_f32 v78, v95, v154, -v78
	v_add_f32_e32 v113, v109, v110
	ds_read_b128 v[109:112], v76 offset:496
	v_add_f32_e32 v77, v77, v78
	v_mul_f32_e32 v78, v98, v155
	v_fma_f32 v78, v97, v156, -v78
	s_waitcnt vmcnt(26)
	v_mul_f32_e32 v114, v107, v168
	v_add_f32_e32 v77, v77, v78
	v_mul_f32_e32 v78, v100, v157
	v_fmac_f32_e32 v114, v108, v167
	v_fma_f32 v78, v99, v158, -v78
	v_add_f32_e32 v117, v113, v114
	ds_read_b128 v[113:116], v76 offset:512
	v_add_f32_e32 v77, v77, v78
	v_mul_f32_e32 v78, v102, v160
	s_waitcnt vmcnt(24) lgkmcnt(1)
	v_mul_f32_e32 v118, v109, v170
	v_fma_f32 v78, v101, v159, -v78
	v_fmac_f32_e32 v118, v110, v169
	v_add_f32_e32 v77, v77, v78
	v_mul_f32_e32 v78, v104, v163
	v_add_f32_e32 v117, v117, v118
	s_waitcnt vmcnt(22)
	v_mul_f32_e32 v118, v111, v172
	v_fma_f32 v78, v103, v164, -v78
	v_fmac_f32_e32 v118, v112, v171
	v_add_f32_e32 v77, v77, v78
	v_mul_f32_e32 v78, v106, v166
	v_add_f32_e32 v117, v117, v118
	s_waitcnt vmcnt(20) lgkmcnt(0)
	v_mul_f32_e32 v118, v113, v174
	v_fma_f32 v78, v105, v165, -v78
	v_fmac_f32_e32 v118, v114, v173
	v_add_f32_e32 v77, v77, v78
	v_mul_f32_e32 v78, v108, v168
	v_add_f32_e32 v121, v117, v118
	ds_read_b128 v[117:120], v76 offset:528
	v_fma_f32 v78, v107, v167, -v78
	v_add_f32_e32 v77, v77, v78
	v_mul_f32_e32 v78, v110, v170
	s_waitcnt vmcnt(18)
	v_mul_f32_e32 v122, v115, v176
	v_fma_f32 v78, v109, v169, -v78
	v_fmac_f32_e32 v122, v116, v175
	v_add_f32_e32 v77, v77, v78
	v_mul_f32_e32 v78, v112, v172
	v_add_f32_e32 v125, v121, v122
	ds_read_b128 v[121:124], v76 offset:544
	v_fma_f32 v78, v111, v171, -v78
	s_waitcnt vmcnt(16) lgkmcnt(1)
	v_mul_f32_e32 v126, v117, v178
	v_add_f32_e32 v77, v77, v78
	v_mul_f32_e32 v78, v114, v174
	v_fmac_f32_e32 v126, v118, v177
	v_fma_f32 v78, v113, v173, -v78
	v_add_f32_e32 v125, v125, v126
	s_waitcnt vmcnt(14)
	v_mul_f32_e32 v126, v119, v180
	v_add_f32_e32 v77, v77, v78
	v_mul_f32_e32 v78, v116, v176
	v_fmac_f32_e32 v126, v120, v179
	v_fma_f32 v78, v115, v175, -v78
	v_add_f32_e32 v125, v125, v126
	s_waitcnt vmcnt(12) lgkmcnt(0)
	v_mul_f32_e32 v126, v121, v182
	v_add_f32_e32 v77, v77, v78
	v_mul_f32_e32 v78, v118, v178
	v_fmac_f32_e32 v126, v122, v181
	v_fma_f32 v78, v117, v177, -v78
	v_add_f32_e32 v129, v125, v126
	ds_read_b128 v[125:128], v76 offset:560
	v_add_f32_e32 v77, v77, v78
	v_mul_f32_e32 v78, v120, v180
	v_fma_f32 v78, v119, v179, -v78
	v_add_f32_e32 v77, v77, v78
	v_mul_f32_e32 v78, v122, v182
	s_waitcnt vmcnt(10)
	v_mul_f32_e32 v130, v123, v184
	v_fma_f32 v78, v121, v181, -v78
	v_fmac_f32_e32 v130, v124, v183
	v_add_f32_e32 v77, v77, v78
	v_mul_f32_e32 v78, v124, v184
	v_add_f32_e32 v133, v129, v130
	ds_read_b128 v[129:132], v76 offset:576
	s_waitcnt vmcnt(8) lgkmcnt(1)
	v_mul_f32_e32 v134, v125, v186
	v_fma_f32 v78, v123, v183, -v78
	v_fmac_f32_e32 v134, v126, v185
	v_add_f32_e32 v77, v77, v78
	v_mul_f32_e32 v78, v126, v186
	v_add_f32_e32 v133, v133, v134
	s_waitcnt vmcnt(6)
	v_mul_f32_e32 v134, v127, v188
	v_fma_f32 v78, v125, v185, -v78
	v_fmac_f32_e32 v134, v128, v187
	v_add_f32_e32 v77, v77, v78
	v_mul_f32_e32 v78, v128, v188
	v_add_f32_e32 v195, v133, v134
	ds_read_b64 v[133:134], v76 offset:592
	v_fma_f32 v78, v127, v187, -v78
	v_add_f32_e32 v77, v77, v78
	s_waitcnt vmcnt(4) lgkmcnt(1)
	v_mul_f32_e32 v78, v130, v190
	v_mul_f32_e32 v196, v129, v190
	v_fma_f32 v78, v129, v189, -v78
	v_fmac_f32_e32 v196, v130, v189
	v_add_f32_e32 v77, v77, v78
	s_waitcnt vmcnt(2)
	v_mul_f32_e32 v78, v132, v192
	v_add_f32_e32 v195, v195, v196
	v_mul_f32_e32 v196, v131, v192
	v_fma_f32 v78, v131, v191, -v78
	v_fmac_f32_e32 v196, v132, v191
	v_add_f32_e32 v77, v77, v78
	s_waitcnt vmcnt(0) lgkmcnt(0)
	v_mul_f32_e32 v78, v134, v194
	v_add_f32_e32 v195, v195, v196
	v_mul_f32_e32 v196, v133, v194
	v_fma_f32 v78, v133, v193, -v78
	v_fmac_f32_e32 v196, v134, v193
	v_add_f32_e32 v77, v77, v78
	v_add_f32_e32 v195, v195, v196
	v_sub_f32_e32 v77, v161, v77
	v_sub_f32_e32 v78, v162, v195
	buffer_store_dword v77, off, s[0:3], 0 offset:56
	buffer_store_dword v78, off, s[0:3], 0 offset:60
	s_and_saveexec_b64 s[4:5], vcc
	s_cbranch_execz .LBB100_223
; %bb.222:
	buffer_load_dword v77, off, s[0:3], 0 offset:48
	buffer_load_dword v78, off, s[0:3], 0 offset:52
	s_waitcnt vmcnt(0)
	ds_write_b64 v75, v[77:78]
	buffer_store_dword v76, off, s[0:3], 0 offset:48
	buffer_store_dword v76, off, s[0:3], 0 offset:52
.LBB100_223:
	s_or_b64 exec, exec, s[4:5]
	s_waitcnt lgkmcnt(0)
	; wave barrier
	buffer_load_dword v137, off, s[0:3], 0 offset:60
	buffer_load_dword v138, off, s[0:3], 0 offset:68
	;; [unrolled: 1-line block ×32, first 2 shown]
	ds_read2_b64 v[77:80], v76 offset0:45 offset1:46
	ds_read2_b64 v[81:84], v76 offset0:47 offset1:48
	;; [unrolled: 1-line block ×4, first 2 shown]
	buffer_load_dword v169, off, s[0:3], 0 offset:180
	buffer_load_dword v170, off, s[0:3], 0 offset:176
	;; [unrolled: 1-line block ×30, first 2 shown]
	v_cmp_lt_u32_e32 vcc, 5, v0
	s_waitcnt vmcnt(61) lgkmcnt(3)
	v_mul_f32_e32 v93, v77, v137
	s_waitcnt vmcnt(60)
	v_mul_f32_e32 v94, v79, v138
	s_waitcnt vmcnt(59) lgkmcnt(2)
	v_mul_f32_e32 v95, v81, v139
	s_waitcnt vmcnt(58)
	v_mul_f32_e32 v96, v83, v140
	;; [unrolled: 4-line block ×3, first 2 shown]
	s_waitcnt vmcnt(55) lgkmcnt(0)
	v_mul_f32_e32 v99, v89, v143
	s_waitcnt vmcnt(54)
	v_fmac_f32_e32 v93, v78, v144
	s_waitcnt vmcnt(53)
	v_fmac_f32_e32 v94, v80, v145
	v_add_f32_e32 v93, 0, v93
	s_waitcnt vmcnt(52)
	v_fmac_f32_e32 v95, v82, v146
	v_add_f32_e32 v93, v93, v94
	;; [unrolled: 3-line block ×6, first 2 shown]
	v_add_f32_e32 v97, v93, v99
	ds_read2_b64 v[93:96], v76 offset0:53 offset1:54
	s_waitcnt vmcnt(47)
	v_mul_f32_e32 v98, v91, v151
	s_waitcnt vmcnt(46)
	v_fmac_f32_e32 v98, v92, v152
	v_mul_f32_e32 v78, v78, v137
	v_add_f32_e32 v101, v97, v98
	ds_read2_b64 v[97:100], v76 offset0:55 offset1:56
	v_fma_f32 v77, v77, v144, -v78
	v_mul_f32_e32 v78, v80, v138
	s_waitcnt vmcnt(45) lgkmcnt(1)
	v_mul_f32_e32 v102, v93, v153
	v_add_f32_e32 v77, 0, v77
	v_fma_f32 v78, v79, v145, -v78
	s_waitcnt vmcnt(44)
	v_fmac_f32_e32 v102, v94, v154
	v_add_f32_e32 v77, v77, v78
	v_mul_f32_e32 v78, v82, v139
	v_add_f32_e32 v101, v101, v102
	s_waitcnt vmcnt(43)
	v_mul_f32_e32 v102, v95, v155
	v_fma_f32 v78, v81, v146, -v78
	s_waitcnt vmcnt(42)
	v_fmac_f32_e32 v102, v96, v156
	v_add_f32_e32 v77, v77, v78
	v_mul_f32_e32 v78, v84, v140
	v_add_f32_e32 v101, v101, v102
	s_waitcnt vmcnt(41) lgkmcnt(0)
	v_mul_f32_e32 v102, v97, v157
	v_fma_f32 v78, v83, v147, -v78
	s_waitcnt vmcnt(40)
	v_fmac_f32_e32 v102, v98, v158
	v_add_f32_e32 v77, v77, v78
	v_mul_f32_e32 v78, v86, v141
	v_add_f32_e32 v105, v101, v102
	ds_read2_b64 v[101:104], v76 offset0:57 offset1:58
	v_fma_f32 v78, v85, v148, -v78
	v_add_f32_e32 v77, v77, v78
	v_mul_f32_e32 v78, v88, v142
	s_waitcnt vmcnt(39)
	v_mul_f32_e32 v106, v99, v159
	v_fma_f32 v78, v87, v149, -v78
	s_waitcnt vmcnt(38)
	v_fmac_f32_e32 v106, v100, v160
	v_add_f32_e32 v77, v77, v78
	v_mul_f32_e32 v78, v90, v143
	v_add_f32_e32 v109, v105, v106
	ds_read2_b64 v[105:108], v76 offset0:59 offset1:60
	v_fma_f32 v78, v89, v150, -v78
	s_waitcnt vmcnt(35) lgkmcnt(1)
	v_mul_f32_e32 v110, v101, v163
	v_add_f32_e32 v77, v77, v78
	v_mul_f32_e32 v78, v92, v151
	s_waitcnt vmcnt(34)
	v_fmac_f32_e32 v110, v102, v164
	v_fma_f32 v78, v91, v152, -v78
	v_add_f32_e32 v109, v109, v110
	s_waitcnt vmcnt(32)
	v_mul_f32_e32 v110, v103, v166
	v_add_f32_e32 v77, v77, v78
	v_mul_f32_e32 v78, v94, v153
	v_fmac_f32_e32 v110, v104, v165
	v_fma_f32 v78, v93, v154, -v78
	v_add_f32_e32 v109, v109, v110
	s_waitcnt vmcnt(30) lgkmcnt(0)
	v_mul_f32_e32 v110, v105, v168
	v_add_f32_e32 v77, v77, v78
	v_mul_f32_e32 v78, v96, v155
	v_fmac_f32_e32 v110, v106, v167
	v_fma_f32 v78, v95, v156, -v78
	v_add_f32_e32 v113, v109, v110
	ds_read2_b64 v[109:112], v76 offset0:61 offset1:62
	v_add_f32_e32 v77, v77, v78
	v_mul_f32_e32 v78, v98, v157
	v_fma_f32 v78, v97, v158, -v78
	s_waitcnt vmcnt(29)
	v_mul_f32_e32 v114, v107, v169
	v_add_f32_e32 v77, v77, v78
	v_mul_f32_e32 v78, v100, v159
	s_waitcnt vmcnt(28)
	v_fmac_f32_e32 v114, v108, v170
	v_fma_f32 v78, v99, v160, -v78
	v_add_f32_e32 v117, v113, v114
	ds_read2_b64 v[113:116], v76 offset0:63 offset1:64
	v_add_f32_e32 v77, v77, v78
	v_mul_f32_e32 v78, v102, v163
	s_waitcnt vmcnt(26) lgkmcnt(1)
	v_mul_f32_e32 v118, v109, v172
	v_fma_f32 v78, v101, v164, -v78
	v_fmac_f32_e32 v118, v110, v171
	v_add_f32_e32 v77, v77, v78
	v_mul_f32_e32 v78, v104, v166
	v_add_f32_e32 v117, v117, v118
	s_waitcnt vmcnt(24)
	v_mul_f32_e32 v118, v111, v174
	v_fma_f32 v78, v103, v165, -v78
	v_fmac_f32_e32 v118, v112, v173
	v_add_f32_e32 v77, v77, v78
	v_mul_f32_e32 v78, v106, v168
	v_add_f32_e32 v117, v117, v118
	s_waitcnt vmcnt(22) lgkmcnt(0)
	v_mul_f32_e32 v118, v113, v176
	v_fma_f32 v78, v105, v167, -v78
	v_fmac_f32_e32 v118, v114, v175
	v_add_f32_e32 v77, v77, v78
	v_mul_f32_e32 v78, v108, v169
	v_add_f32_e32 v121, v117, v118
	ds_read2_b64 v[117:120], v76 offset0:65 offset1:66
	v_fma_f32 v78, v107, v170, -v78
	v_add_f32_e32 v77, v77, v78
	v_mul_f32_e32 v78, v110, v172
	s_waitcnt vmcnt(20)
	v_mul_f32_e32 v122, v115, v178
	v_fma_f32 v78, v109, v171, -v78
	v_fmac_f32_e32 v122, v116, v177
	v_add_f32_e32 v77, v77, v78
	v_mul_f32_e32 v78, v112, v174
	v_add_f32_e32 v125, v121, v122
	ds_read2_b64 v[121:124], v76 offset0:67 offset1:68
	v_fma_f32 v78, v111, v173, -v78
	s_waitcnt vmcnt(18) lgkmcnt(1)
	v_mul_f32_e32 v126, v117, v180
	v_add_f32_e32 v77, v77, v78
	v_mul_f32_e32 v78, v114, v176
	v_fmac_f32_e32 v126, v118, v179
	v_fma_f32 v78, v113, v175, -v78
	v_add_f32_e32 v125, v125, v126
	s_waitcnt vmcnt(16)
	v_mul_f32_e32 v126, v119, v182
	v_add_f32_e32 v77, v77, v78
	v_mul_f32_e32 v78, v116, v178
	v_fmac_f32_e32 v126, v120, v181
	v_fma_f32 v78, v115, v177, -v78
	v_add_f32_e32 v125, v125, v126
	s_waitcnt vmcnt(14) lgkmcnt(0)
	v_mul_f32_e32 v126, v121, v184
	v_add_f32_e32 v77, v77, v78
	v_mul_f32_e32 v78, v118, v180
	v_fmac_f32_e32 v126, v122, v183
	v_fma_f32 v78, v117, v179, -v78
	v_add_f32_e32 v129, v125, v126
	ds_read2_b64 v[125:128], v76 offset0:69 offset1:70
	v_add_f32_e32 v77, v77, v78
	v_mul_f32_e32 v78, v120, v182
	v_fma_f32 v78, v119, v181, -v78
	v_add_f32_e32 v77, v77, v78
	v_mul_f32_e32 v78, v122, v184
	s_waitcnt vmcnt(12)
	v_mul_f32_e32 v130, v123, v186
	v_fma_f32 v78, v121, v183, -v78
	v_fmac_f32_e32 v130, v124, v185
	v_add_f32_e32 v77, v77, v78
	v_mul_f32_e32 v78, v124, v186
	v_add_f32_e32 v133, v129, v130
	ds_read2_b64 v[129:132], v76 offset0:71 offset1:72
	s_waitcnt vmcnt(10) lgkmcnt(1)
	v_mul_f32_e32 v134, v125, v188
	v_fma_f32 v78, v123, v185, -v78
	v_fmac_f32_e32 v134, v126, v187
	v_add_f32_e32 v77, v77, v78
	v_mul_f32_e32 v78, v126, v188
	v_add_f32_e32 v133, v133, v134
	s_waitcnt vmcnt(8)
	v_mul_f32_e32 v134, v127, v190
	v_fma_f32 v78, v125, v187, -v78
	v_fmac_f32_e32 v134, v128, v189
	v_add_f32_e32 v77, v77, v78
	v_mul_f32_e32 v78, v128, v190
	v_add_f32_e32 v199, v133, v134
	ds_read2_b64 v[133:136], v76 offset0:73 offset1:74
	v_fma_f32 v78, v127, v189, -v78
	v_add_f32_e32 v77, v77, v78
	s_waitcnt vmcnt(6) lgkmcnt(1)
	v_mul_f32_e32 v78, v130, v192
	v_mul_f32_e32 v200, v129, v192
	v_fma_f32 v78, v129, v191, -v78
	v_fmac_f32_e32 v200, v130, v191
	v_add_f32_e32 v77, v77, v78
	s_waitcnt vmcnt(4)
	v_mul_f32_e32 v78, v132, v194
	v_add_f32_e32 v76, v199, v200
	v_mul_f32_e32 v199, v131, v194
	v_fma_f32 v78, v131, v193, -v78
	v_fmac_f32_e32 v199, v132, v193
	v_add_f32_e32 v77, v77, v78
	s_waitcnt vmcnt(2) lgkmcnt(0)
	v_mul_f32_e32 v78, v134, v196
	v_add_f32_e32 v76, v76, v199
	v_mul_f32_e32 v199, v133, v196
	v_fma_f32 v78, v133, v195, -v78
	v_fmac_f32_e32 v199, v134, v195
	v_add_f32_e32 v77, v77, v78
	s_waitcnt vmcnt(0)
	v_mul_f32_e32 v78, v136, v198
	v_add_f32_e32 v76, v76, v199
	v_mul_f32_e32 v199, v135, v198
	v_fma_f32 v78, v135, v197, -v78
	v_fmac_f32_e32 v199, v136, v197
	v_add_f32_e32 v77, v77, v78
	v_add_f32_e32 v76, v76, v199
	v_sub_f32_e32 v77, v161, v77
	v_sub_f32_e32 v76, v162, v76
	buffer_store_dword v77, off, s[0:3], 0 offset:48
	buffer_store_dword v76, off, s[0:3], 0 offset:52
	s_and_saveexec_b64 s[4:5], vcc
	s_cbranch_execz .LBB100_225
; %bb.224:
	buffer_load_dword v76, off, s[0:3], 0 offset:40
	buffer_load_dword v77, off, s[0:3], 0 offset:44
	v_mov_b32_e32 v78, 0
	buffer_store_dword v78, off, s[0:3], 0 offset:40
	buffer_store_dword v78, off, s[0:3], 0 offset:44
	s_waitcnt vmcnt(2)
	ds_write_b64 v75, v[76:77]
.LBB100_225:
	s_or_b64 exec, exec, s[4:5]
	s_waitcnt lgkmcnt(0)
	; wave barrier
	buffer_load_dword v139, off, s[0:3], 0 offset:52
	buffer_load_dword v140, off, s[0:3], 0 offset:60
	;; [unrolled: 1-line block ×56, first 2 shown]
	v_mov_b32_e32 v76, 0
	ds_read_b128 v[77:80], v76 offset:352
	buffer_load_dword v195, off, s[0:3], 0 offset:264
	buffer_load_dword v196, off, s[0:3], 0 offset:268
	;; [unrolled: 1-line block ×4, first 2 shown]
	ds_read_b128 v[81:84], v76 offset:368
	ds_read_b128 v[85:88], v76 offset:384
	;; [unrolled: 1-line block ×3, first 2 shown]
	v_cmp_lt_u32_e32 vcc, 4, v0
	s_waitcnt vmcnt(59) lgkmcnt(3)
	v_mul_f32_e32 v93, v77, v139
	s_waitcnt vmcnt(58)
	v_mul_f32_e32 v94, v79, v140
	s_waitcnt vmcnt(57) lgkmcnt(2)
	v_mul_f32_e32 v95, v81, v141
	s_waitcnt vmcnt(56)
	v_mul_f32_e32 v96, v83, v142
	;; [unrolled: 4-line block ×4, first 2 shown]
	s_waitcnt vmcnt(51)
	v_fmac_f32_e32 v93, v78, v147
	s_waitcnt vmcnt(50)
	v_fmac_f32_e32 v94, v80, v148
	v_add_f32_e32 v93, 0, v93
	s_waitcnt vmcnt(49)
	v_fmac_f32_e32 v95, v82, v149
	v_add_f32_e32 v93, v93, v94
	;; [unrolled: 3-line block ×6, first 2 shown]
	v_add_f32_e32 v97, v93, v99
	ds_read_b128 v[93:96], v76 offset:416
	buffer_load_dword v199, off, s[0:3], 0 offset:284
	buffer_load_dword v200, off, s[0:3], 0 offset:280
	;; [unrolled: 1-line block ×4, first 2 shown]
	s_waitcnt vmcnt(48)
	v_fmac_f32_e32 v100, v92, v154
	v_add_f32_e32 v101, v97, v100
	ds_read_b128 v[97:100], v76 offset:432
	s_waitcnt vmcnt(47) lgkmcnt(1)
	v_mul_f32_e32 v102, v93, v155
	v_mul_f32_e32 v78, v78, v139
	s_waitcnt vmcnt(46)
	v_fmac_f32_e32 v102, v94, v156
	v_fma_f32 v77, v77, v147, -v78
	v_mul_f32_e32 v78, v80, v140
	v_add_f32_e32 v101, v101, v102
	s_waitcnt vmcnt(45)
	v_mul_f32_e32 v102, v95, v157
	v_add_f32_e32 v77, 0, v77
	v_fma_f32 v78, v79, v148, -v78
	s_waitcnt vmcnt(44)
	v_fmac_f32_e32 v102, v96, v158
	v_add_f32_e32 v77, v77, v78
	v_mul_f32_e32 v78, v82, v141
	v_add_f32_e32 v101, v101, v102
	s_waitcnt vmcnt(42) lgkmcnt(0)
	v_mul_f32_e32 v102, v97, v160
	v_fma_f32 v78, v81, v149, -v78
	v_fmac_f32_e32 v102, v98, v159
	v_add_f32_e32 v77, v77, v78
	v_mul_f32_e32 v78, v84, v142
	v_add_f32_e32 v105, v101, v102
	ds_read_b128 v[101:104], v76 offset:448
	v_fma_f32 v78, v83, v150, -v78
	v_add_f32_e32 v77, v77, v78
	v_mul_f32_e32 v78, v86, v143
	s_waitcnt vmcnt(39)
	v_mul_f32_e32 v106, v99, v163
	v_fma_f32 v78, v85, v151, -v78
	s_waitcnt vmcnt(38)
	v_fmac_f32_e32 v106, v100, v164
	v_add_f32_e32 v77, v77, v78
	v_mul_f32_e32 v78, v88, v144
	v_add_f32_e32 v109, v105, v106
	ds_read_b128 v[105:108], v76 offset:464
	v_fma_f32 v78, v87, v152, -v78
	s_waitcnt vmcnt(36) lgkmcnt(1)
	v_mul_f32_e32 v110, v101, v166
	v_add_f32_e32 v77, v77, v78
	v_mul_f32_e32 v78, v90, v145
	v_fmac_f32_e32 v110, v102, v165
	v_fma_f32 v78, v89, v153, -v78
	v_add_f32_e32 v109, v109, v110
	s_waitcnt vmcnt(34)
	v_mul_f32_e32 v110, v103, v168
	v_add_f32_e32 v77, v77, v78
	v_mul_f32_e32 v78, v92, v146
	v_fmac_f32_e32 v110, v104, v167
	v_fma_f32 v78, v91, v154, -v78
	v_add_f32_e32 v109, v109, v110
	s_waitcnt vmcnt(32) lgkmcnt(0)
	v_mul_f32_e32 v110, v105, v170
	v_add_f32_e32 v77, v77, v78
	v_mul_f32_e32 v78, v94, v155
	v_fmac_f32_e32 v110, v106, v169
	v_fma_f32 v78, v93, v156, -v78
	v_add_f32_e32 v113, v109, v110
	ds_read_b128 v[109:112], v76 offset:480
	v_add_f32_e32 v77, v77, v78
	v_mul_f32_e32 v78, v96, v157
	v_fma_f32 v78, v95, v158, -v78
	s_waitcnt vmcnt(30)
	v_mul_f32_e32 v114, v107, v172
	v_add_f32_e32 v77, v77, v78
	v_mul_f32_e32 v78, v98, v160
	v_fmac_f32_e32 v114, v108, v171
	v_fma_f32 v78, v97, v159, -v78
	v_add_f32_e32 v117, v113, v114
	ds_read_b128 v[113:116], v76 offset:496
	v_add_f32_e32 v77, v77, v78
	v_mul_f32_e32 v78, v100, v163
	s_waitcnt vmcnt(28) lgkmcnt(1)
	v_mul_f32_e32 v118, v109, v174
	v_fma_f32 v78, v99, v164, -v78
	v_fmac_f32_e32 v118, v110, v173
	v_add_f32_e32 v77, v77, v78
	v_mul_f32_e32 v78, v102, v166
	v_add_f32_e32 v117, v117, v118
	s_waitcnt vmcnt(26)
	v_mul_f32_e32 v118, v111, v176
	v_fma_f32 v78, v101, v165, -v78
	v_fmac_f32_e32 v118, v112, v175
	v_add_f32_e32 v77, v77, v78
	v_mul_f32_e32 v78, v104, v168
	v_add_f32_e32 v117, v117, v118
	s_waitcnt vmcnt(24) lgkmcnt(0)
	v_mul_f32_e32 v118, v113, v178
	v_fma_f32 v78, v103, v167, -v78
	v_fmac_f32_e32 v118, v114, v177
	v_add_f32_e32 v77, v77, v78
	v_mul_f32_e32 v78, v106, v170
	v_add_f32_e32 v121, v117, v118
	ds_read_b128 v[117:120], v76 offset:512
	v_fma_f32 v78, v105, v169, -v78
	v_add_f32_e32 v77, v77, v78
	v_mul_f32_e32 v78, v108, v172
	s_waitcnt vmcnt(22)
	v_mul_f32_e32 v122, v115, v180
	v_fma_f32 v78, v107, v171, -v78
	v_fmac_f32_e32 v122, v116, v179
	v_add_f32_e32 v77, v77, v78
	v_mul_f32_e32 v78, v110, v174
	v_add_f32_e32 v125, v121, v122
	ds_read_b128 v[121:124], v76 offset:528
	v_fma_f32 v78, v109, v173, -v78
	s_waitcnt vmcnt(20) lgkmcnt(1)
	v_mul_f32_e32 v126, v117, v182
	v_add_f32_e32 v77, v77, v78
	v_mul_f32_e32 v78, v112, v176
	v_fmac_f32_e32 v126, v118, v181
	v_fma_f32 v78, v111, v175, -v78
	v_add_f32_e32 v125, v125, v126
	s_waitcnt vmcnt(18)
	v_mul_f32_e32 v126, v119, v184
	v_add_f32_e32 v77, v77, v78
	v_mul_f32_e32 v78, v114, v178
	v_fmac_f32_e32 v126, v120, v183
	v_fma_f32 v78, v113, v177, -v78
	v_add_f32_e32 v125, v125, v126
	s_waitcnt vmcnt(16) lgkmcnt(0)
	v_mul_f32_e32 v126, v121, v186
	v_add_f32_e32 v77, v77, v78
	v_mul_f32_e32 v78, v116, v180
	v_fmac_f32_e32 v126, v122, v185
	v_fma_f32 v78, v115, v179, -v78
	v_add_f32_e32 v129, v125, v126
	ds_read_b128 v[125:128], v76 offset:544
	v_add_f32_e32 v77, v77, v78
	v_mul_f32_e32 v78, v118, v182
	v_fma_f32 v78, v117, v181, -v78
	s_waitcnt vmcnt(14)
	v_mul_f32_e32 v130, v123, v188
	v_add_f32_e32 v77, v77, v78
	v_mul_f32_e32 v78, v120, v184
	v_fmac_f32_e32 v130, v124, v187
	v_fma_f32 v78, v119, v183, -v78
	v_add_f32_e32 v133, v129, v130
	ds_read_b128 v[129:132], v76 offset:560
	v_add_f32_e32 v77, v77, v78
	v_mul_f32_e32 v78, v122, v186
	s_waitcnt vmcnt(12) lgkmcnt(1)
	v_mul_f32_e32 v134, v125, v190
	v_fma_f32 v78, v121, v185, -v78
	v_fmac_f32_e32 v134, v126, v189
	v_add_f32_e32 v77, v77, v78
	v_mul_f32_e32 v78, v124, v188
	v_add_f32_e32 v133, v133, v134
	s_waitcnt vmcnt(10)
	v_mul_f32_e32 v134, v127, v192
	v_fma_f32 v78, v123, v187, -v78
	v_fmac_f32_e32 v134, v128, v191
	v_add_f32_e32 v77, v77, v78
	v_mul_f32_e32 v78, v126, v190
	v_add_f32_e32 v133, v133, v134
	s_waitcnt vmcnt(8) lgkmcnt(0)
	v_mul_f32_e32 v134, v129, v194
	v_fma_f32 v78, v125, v189, -v78
	v_fmac_f32_e32 v134, v130, v193
	v_add_f32_e32 v77, v77, v78
	v_mul_f32_e32 v78, v128, v192
	v_add_f32_e32 v137, v133, v134
	ds_read_b128 v[133:136], v76 offset:576
	v_fma_f32 v78, v127, v191, -v78
	v_add_f32_e32 v77, v77, v78
	v_mul_f32_e32 v78, v130, v194
	s_waitcnt vmcnt(6)
	v_mul_f32_e32 v138, v131, v196
	v_fma_f32 v78, v129, v193, -v78
	v_fmac_f32_e32 v138, v132, v195
	v_add_f32_e32 v77, v77, v78
	v_mul_f32_e32 v78, v132, v196
	v_add_f32_e32 v203, v137, v138
	ds_read_b64 v[137:138], v76 offset:592
	v_fma_f32 v78, v131, v195, -v78
	v_add_f32_e32 v77, v77, v78
	s_waitcnt vmcnt(4) lgkmcnt(1)
	v_mul_f32_e32 v78, v134, v198
	v_mul_f32_e32 v204, v133, v198
	v_fma_f32 v78, v133, v197, -v78
	v_fmac_f32_e32 v204, v134, v197
	v_add_f32_e32 v77, v77, v78
	s_waitcnt vmcnt(3)
	v_mul_f32_e32 v78, v136, v199
	v_add_f32_e32 v203, v203, v204
	v_mul_f32_e32 v204, v135, v199
	s_waitcnt vmcnt(2)
	v_fma_f32 v78, v135, v200, -v78
	v_fmac_f32_e32 v204, v136, v200
	v_add_f32_e32 v77, v77, v78
	s_waitcnt vmcnt(0) lgkmcnt(0)
	v_mul_f32_e32 v78, v138, v202
	v_add_f32_e32 v203, v203, v204
	v_mul_f32_e32 v204, v137, v202
	v_fma_f32 v78, v137, v201, -v78
	v_fmac_f32_e32 v204, v138, v201
	v_add_f32_e32 v77, v77, v78
	v_add_f32_e32 v203, v203, v204
	v_sub_f32_e32 v77, v161, v77
	v_sub_f32_e32 v78, v162, v203
	buffer_store_dword v77, off, s[0:3], 0 offset:40
	buffer_store_dword v78, off, s[0:3], 0 offset:44
	s_and_saveexec_b64 s[4:5], vcc
	s_cbranch_execz .LBB100_227
; %bb.226:
	buffer_load_dword v77, off, s[0:3], 0 offset:32
	buffer_load_dword v78, off, s[0:3], 0 offset:36
	s_waitcnt vmcnt(0)
	ds_write_b64 v75, v[77:78]
	buffer_store_dword v76, off, s[0:3], 0 offset:32
	buffer_store_dword v76, off, s[0:3], 0 offset:36
.LBB100_227:
	s_or_b64 exec, exec, s[4:5]
	s_waitcnt lgkmcnt(0)
	; wave barrier
	buffer_load_dword v141, off, s[0:3], 0 offset:44
	buffer_load_dword v142, off, s[0:3], 0 offset:52
	;; [unrolled: 1-line block ×26, first 2 shown]
	ds_read2_b64 v[77:80], v76 offset0:43 offset1:44
	ds_read2_b64 v[81:84], v76 offset0:45 offset1:46
	;; [unrolled: 1-line block ×4, first 2 shown]
	buffer_load_dword v167, off, s[0:3], 0 offset:140
	buffer_load_dword v168, off, s[0:3], 0 offset:136
	;; [unrolled: 1-line block ×34, first 2 shown]
	v_cmp_lt_u32_e32 vcc, 3, v0
	s_waitcnt vmcnt(59) lgkmcnt(3)
	v_mul_f32_e32 v93, v77, v141
	s_waitcnt vmcnt(58)
	v_mul_f32_e32 v94, v79, v142
	s_waitcnt vmcnt(57) lgkmcnt(2)
	v_mul_f32_e32 v95, v81, v143
	s_waitcnt vmcnt(56)
	v_mul_f32_e32 v96, v83, v144
	;; [unrolled: 4-line block ×4, first 2 shown]
	s_waitcnt vmcnt(51)
	v_fmac_f32_e32 v93, v78, v149
	s_waitcnt vmcnt(50)
	v_fmac_f32_e32 v94, v80, v150
	v_add_f32_e32 v93, 0, v93
	s_waitcnt vmcnt(49)
	v_fmac_f32_e32 v95, v82, v151
	v_add_f32_e32 v93, v93, v94
	;; [unrolled: 3-line block ×7, first 2 shown]
	v_add_f32_e32 v101, v93, v100
	ds_read2_b64 v[93:96], v76 offset0:51 offset1:52
	buffer_load_dword v201, off, s[0:3], 0 offset:276
	buffer_load_dword v202, off, s[0:3], 0 offset:272
	;; [unrolled: 1-line block ×4, first 2 shown]
	ds_read2_b64 v[97:100], v76 offset0:53 offset1:54
	buffer_load_dword v205, off, s[0:3], 0 offset:288
	buffer_load_dword v206, off, s[0:3], 0 offset:292
	v_mul_f32_e32 v78, v78, v141
	s_waitcnt vmcnt(49) lgkmcnt(1)
	v_mul_f32_e32 v102, v93, v157
	s_waitcnt vmcnt(48)
	v_fmac_f32_e32 v102, v94, v158
	v_fma_f32 v77, v77, v149, -v78
	v_mul_f32_e32 v78, v80, v142
	v_add_f32_e32 v101, v101, v102
	s_waitcnt vmcnt(46)
	v_mul_f32_e32 v102, v95, v160
	v_add_f32_e32 v77, 0, v77
	v_fma_f32 v78, v79, v150, -v78
	v_fmac_f32_e32 v102, v96, v159
	v_add_f32_e32 v77, v77, v78
	v_mul_f32_e32 v78, v82, v143
	v_add_f32_e32 v101, v101, v102
	s_waitcnt vmcnt(43) lgkmcnt(0)
	v_mul_f32_e32 v102, v97, v163
	v_fma_f32 v78, v81, v151, -v78
	s_waitcnt vmcnt(42)
	v_fmac_f32_e32 v102, v98, v164
	v_add_f32_e32 v77, v77, v78
	v_mul_f32_e32 v78, v84, v144
	v_add_f32_e32 v105, v101, v102
	ds_read2_b64 v[101:104], v76 offset0:55 offset1:56
	v_fma_f32 v78, v83, v152, -v78
	v_add_f32_e32 v77, v77, v78
	v_mul_f32_e32 v78, v86, v145
	s_waitcnt vmcnt(40)
	v_mul_f32_e32 v106, v99, v166
	v_fma_f32 v78, v85, v153, -v78
	v_fmac_f32_e32 v106, v100, v165
	v_add_f32_e32 v77, v77, v78
	v_mul_f32_e32 v78, v88, v146
	v_add_f32_e32 v109, v105, v106
	ds_read2_b64 v[105:108], v76 offset0:57 offset1:58
	v_fma_f32 v78, v87, v154, -v78
	s_waitcnt vmcnt(39) lgkmcnt(1)
	v_mul_f32_e32 v110, v101, v167
	v_add_f32_e32 v77, v77, v78
	v_mul_f32_e32 v78, v90, v147
	s_waitcnt vmcnt(38)
	v_fmac_f32_e32 v110, v102, v168
	v_fma_f32 v78, v89, v155, -v78
	v_add_f32_e32 v109, v109, v110
	s_waitcnt vmcnt(36)
	v_mul_f32_e32 v110, v103, v170
	v_add_f32_e32 v77, v77, v78
	v_mul_f32_e32 v78, v92, v148
	v_fmac_f32_e32 v110, v104, v169
	v_fma_f32 v78, v91, v156, -v78
	v_add_f32_e32 v109, v109, v110
	s_waitcnt vmcnt(34) lgkmcnt(0)
	v_mul_f32_e32 v110, v105, v172
	v_add_f32_e32 v77, v77, v78
	v_mul_f32_e32 v78, v94, v157
	v_fmac_f32_e32 v110, v106, v171
	v_fma_f32 v78, v93, v158, -v78
	v_add_f32_e32 v113, v109, v110
	ds_read2_b64 v[109:112], v76 offset0:59 offset1:60
	v_add_f32_e32 v77, v77, v78
	v_mul_f32_e32 v78, v96, v160
	v_fma_f32 v78, v95, v159, -v78
	s_waitcnt vmcnt(32)
	v_mul_f32_e32 v114, v107, v174
	v_add_f32_e32 v77, v77, v78
	v_mul_f32_e32 v78, v98, v163
	v_fmac_f32_e32 v114, v108, v173
	v_fma_f32 v78, v97, v164, -v78
	v_add_f32_e32 v117, v113, v114
	ds_read2_b64 v[113:116], v76 offset0:61 offset1:62
	v_add_f32_e32 v77, v77, v78
	v_mul_f32_e32 v78, v100, v166
	s_waitcnt vmcnt(30) lgkmcnt(1)
	v_mul_f32_e32 v118, v109, v176
	v_fma_f32 v78, v99, v165, -v78
	v_fmac_f32_e32 v118, v110, v175
	v_add_f32_e32 v77, v77, v78
	v_mul_f32_e32 v78, v102, v167
	v_add_f32_e32 v117, v117, v118
	s_waitcnt vmcnt(28)
	v_mul_f32_e32 v118, v111, v178
	v_fma_f32 v78, v101, v168, -v78
	v_fmac_f32_e32 v118, v112, v177
	v_add_f32_e32 v77, v77, v78
	v_mul_f32_e32 v78, v104, v170
	v_add_f32_e32 v117, v117, v118
	s_waitcnt vmcnt(26) lgkmcnt(0)
	v_mul_f32_e32 v118, v113, v180
	v_fma_f32 v78, v103, v169, -v78
	v_fmac_f32_e32 v118, v114, v179
	v_add_f32_e32 v77, v77, v78
	v_mul_f32_e32 v78, v106, v172
	v_add_f32_e32 v121, v117, v118
	ds_read2_b64 v[117:120], v76 offset0:63 offset1:64
	v_fma_f32 v78, v105, v171, -v78
	v_add_f32_e32 v77, v77, v78
	v_mul_f32_e32 v78, v108, v174
	s_waitcnt vmcnt(24)
	v_mul_f32_e32 v122, v115, v182
	v_fma_f32 v78, v107, v173, -v78
	v_fmac_f32_e32 v122, v116, v181
	v_add_f32_e32 v77, v77, v78
	v_mul_f32_e32 v78, v110, v176
	v_add_f32_e32 v125, v121, v122
	ds_read2_b64 v[121:124], v76 offset0:65 offset1:66
	v_fma_f32 v78, v109, v175, -v78
	s_waitcnt vmcnt(22) lgkmcnt(1)
	v_mul_f32_e32 v126, v117, v184
	v_add_f32_e32 v77, v77, v78
	v_mul_f32_e32 v78, v112, v178
	v_fmac_f32_e32 v126, v118, v183
	v_fma_f32 v78, v111, v177, -v78
	v_add_f32_e32 v125, v125, v126
	s_waitcnt vmcnt(20)
	v_mul_f32_e32 v126, v119, v186
	v_add_f32_e32 v77, v77, v78
	v_mul_f32_e32 v78, v114, v180
	v_fmac_f32_e32 v126, v120, v185
	v_fma_f32 v78, v113, v179, -v78
	v_add_f32_e32 v125, v125, v126
	s_waitcnt vmcnt(18) lgkmcnt(0)
	v_mul_f32_e32 v126, v121, v188
	v_add_f32_e32 v77, v77, v78
	v_mul_f32_e32 v78, v116, v182
	v_fmac_f32_e32 v126, v122, v187
	v_fma_f32 v78, v115, v181, -v78
	v_add_f32_e32 v129, v125, v126
	ds_read2_b64 v[125:128], v76 offset0:67 offset1:68
	v_add_f32_e32 v77, v77, v78
	v_mul_f32_e32 v78, v118, v184
	v_fma_f32 v78, v117, v183, -v78
	s_waitcnt vmcnt(16)
	v_mul_f32_e32 v130, v123, v190
	v_add_f32_e32 v77, v77, v78
	v_mul_f32_e32 v78, v120, v186
	v_fmac_f32_e32 v130, v124, v189
	v_fma_f32 v78, v119, v185, -v78
	v_add_f32_e32 v133, v129, v130
	ds_read2_b64 v[129:132], v76 offset0:69 offset1:70
	v_add_f32_e32 v77, v77, v78
	v_mul_f32_e32 v78, v122, v188
	s_waitcnt vmcnt(14) lgkmcnt(1)
	v_mul_f32_e32 v134, v125, v192
	v_fma_f32 v78, v121, v187, -v78
	v_fmac_f32_e32 v134, v126, v191
	v_add_f32_e32 v77, v77, v78
	v_mul_f32_e32 v78, v124, v190
	v_add_f32_e32 v133, v133, v134
	s_waitcnt vmcnt(12)
	v_mul_f32_e32 v134, v127, v194
	v_fma_f32 v78, v123, v189, -v78
	v_fmac_f32_e32 v134, v128, v193
	v_add_f32_e32 v77, v77, v78
	v_mul_f32_e32 v78, v126, v192
	v_add_f32_e32 v133, v133, v134
	s_waitcnt vmcnt(10) lgkmcnt(0)
	v_mul_f32_e32 v134, v129, v196
	v_fma_f32 v78, v125, v191, -v78
	v_fmac_f32_e32 v134, v130, v195
	v_add_f32_e32 v77, v77, v78
	v_mul_f32_e32 v78, v128, v194
	v_add_f32_e32 v137, v133, v134
	ds_read2_b64 v[133:136], v76 offset0:71 offset1:72
	v_fma_f32 v78, v127, v193, -v78
	v_add_f32_e32 v77, v77, v78
	v_mul_f32_e32 v78, v130, v196
	s_waitcnt vmcnt(8)
	v_mul_f32_e32 v138, v131, v198
	v_fma_f32 v78, v129, v195, -v78
	v_fmac_f32_e32 v138, v132, v197
	v_add_f32_e32 v77, v77, v78
	v_mul_f32_e32 v78, v132, v198
	v_add_f32_e32 v207, v137, v138
	ds_read2_b64 v[137:140], v76 offset0:73 offset1:74
	v_fma_f32 v78, v131, v197, -v78
	v_add_f32_e32 v77, v77, v78
	s_waitcnt vmcnt(6) lgkmcnt(1)
	v_mul_f32_e32 v78, v134, v200
	v_mul_f32_e32 v76, v133, v200
	v_fma_f32 v78, v133, v199, -v78
	v_fmac_f32_e32 v76, v134, v199
	v_add_f32_e32 v77, v77, v78
	s_waitcnt vmcnt(5)
	v_mul_f32_e32 v78, v136, v201
	v_add_f32_e32 v76, v207, v76
	v_mul_f32_e32 v207, v135, v201
	s_waitcnt vmcnt(4)
	v_fma_f32 v78, v135, v202, -v78
	v_fmac_f32_e32 v207, v136, v202
	v_add_f32_e32 v77, v77, v78
	s_waitcnt vmcnt(2) lgkmcnt(0)
	v_mul_f32_e32 v78, v138, v204
	v_add_f32_e32 v76, v76, v207
	v_mul_f32_e32 v207, v137, v204
	v_fma_f32 v78, v137, v203, -v78
	v_fmac_f32_e32 v207, v138, v203
	v_add_f32_e32 v77, v77, v78
	s_waitcnt vmcnt(0)
	v_mul_f32_e32 v78, v140, v206
	v_add_f32_e32 v76, v76, v207
	v_mul_f32_e32 v207, v139, v206
	v_fma_f32 v78, v139, v205, -v78
	v_fmac_f32_e32 v207, v140, v205
	v_add_f32_e32 v77, v77, v78
	v_add_f32_e32 v76, v76, v207
	v_sub_f32_e32 v77, v161, v77
	v_sub_f32_e32 v76, v162, v76
	buffer_store_dword v77, off, s[0:3], 0 offset:32
	buffer_store_dword v76, off, s[0:3], 0 offset:36
	s_and_saveexec_b64 s[4:5], vcc
	s_cbranch_execz .LBB100_229
; %bb.228:
	buffer_load_dword v76, off, s[0:3], 0 offset:24
	buffer_load_dword v77, off, s[0:3], 0 offset:28
	v_mov_b32_e32 v78, 0
	buffer_store_dword v78, off, s[0:3], 0 offset:24
	buffer_store_dword v78, off, s[0:3], 0 offset:28
	s_waitcnt vmcnt(2)
	ds_write_b64 v75, v[76:77]
.LBB100_229:
	s_or_b64 exec, exec, s[4:5]
	s_waitcnt lgkmcnt(0)
	; wave barrier
	buffer_load_dword v143, off, s[0:3], 0 offset:36
	buffer_load_dword v144, off, s[0:3], 0 offset:44
	;; [unrolled: 1-line block ×58, first 2 shown]
	v_mov_b32_e32 v76, 0
	ds_read_b128 v[77:80], v76 offset:336
	ds_read_b128 v[81:84], v76 offset:352
	;; [unrolled: 1-line block ×5, first 2 shown]
	buffer_load_dword v201, off, s[0:3], 0 offset:256
	buffer_load_dword v202, off, s[0:3], 0 offset:260
	v_cmp_lt_u32_e32 vcc, 2, v0
	s_waitcnt vmcnt(59) lgkmcnt(4)
	v_mul_f32_e32 v97, v77, v143
	s_waitcnt vmcnt(58)
	v_mul_f32_e32 v98, v79, v144
	s_waitcnt vmcnt(57) lgkmcnt(3)
	v_mul_f32_e32 v99, v81, v145
	s_waitcnt vmcnt(56)
	v_mul_f32_e32 v100, v83, v146
	;; [unrolled: 4-line block ×4, first 2 shown]
	s_waitcnt vmcnt(51)
	v_fmac_f32_e32 v97, v78, v151
	s_waitcnt vmcnt(50)
	v_fmac_f32_e32 v98, v80, v152
	v_add_f32_e32 v97, 0, v97
	s_waitcnt vmcnt(49)
	v_fmac_f32_e32 v99, v82, v153
	v_add_f32_e32 v97, v97, v98
	;; [unrolled: 3-line block ×7, first 2 shown]
	v_add_f32_e32 v101, v97, v104
	ds_read_b128 v[97:100], v76 offset:416
	buffer_load_dword v203, off, s[0:3], 0 offset:268
	buffer_load_dword v204, off, s[0:3], 0 offset:264
	;; [unrolled: 1-line block ×8, first 2 shown]
	s_waitcnt vmcnt(51) lgkmcnt(1)
	v_mul_f32_e32 v102, v93, v159
	s_waitcnt vmcnt(50)
	v_fmac_f32_e32 v102, v94, v160
	v_mul_f32_e32 v78, v78, v143
	v_add_f32_e32 v101, v101, v102
	s_waitcnt vmcnt(49)
	v_mul_f32_e32 v102, v95, v161
	v_fma_f32 v77, v77, v151, -v78
	v_mul_f32_e32 v78, v80, v144
	s_waitcnt vmcnt(46)
	v_fmac_f32_e32 v102, v96, v164
	v_add_f32_e32 v77, 0, v77
	v_fma_f32 v78, v79, v152, -v78
	v_add_f32_e32 v101, v101, v102
	s_waitcnt vmcnt(44) lgkmcnt(0)
	v_mul_f32_e32 v102, v97, v166
	v_add_f32_e32 v77, v77, v78
	v_mul_f32_e32 v78, v82, v145
	v_fmac_f32_e32 v102, v98, v165
	v_fma_f32 v78, v81, v153, -v78
	v_add_f32_e32 v105, v101, v102
	ds_read_b128 v[101:104], v76 offset:432
	v_add_f32_e32 v77, v77, v78
	v_mul_f32_e32 v78, v84, v146
	v_fma_f32 v78, v83, v154, -v78
	s_waitcnt vmcnt(42)
	v_mul_f32_e32 v106, v99, v168
	v_add_f32_e32 v77, v77, v78
	v_mul_f32_e32 v78, v86, v147
	v_fmac_f32_e32 v106, v100, v167
	v_fma_f32 v78, v85, v155, -v78
	v_add_f32_e32 v109, v105, v106
	ds_read_b128 v[105:108], v76 offset:448
	v_add_f32_e32 v77, v77, v78
	v_mul_f32_e32 v78, v88, v148
	s_waitcnt vmcnt(40) lgkmcnt(1)
	v_mul_f32_e32 v110, v101, v170
	v_fma_f32 v78, v87, v156, -v78
	v_fmac_f32_e32 v110, v102, v169
	v_add_f32_e32 v77, v77, v78
	v_mul_f32_e32 v78, v90, v149
	v_add_f32_e32 v109, v109, v110
	s_waitcnt vmcnt(38)
	v_mul_f32_e32 v110, v103, v172
	v_fma_f32 v78, v89, v157, -v78
	v_fmac_f32_e32 v110, v104, v171
	v_add_f32_e32 v77, v77, v78
	v_mul_f32_e32 v78, v92, v150
	v_add_f32_e32 v109, v109, v110
	s_waitcnt vmcnt(36) lgkmcnt(0)
	v_mul_f32_e32 v110, v105, v174
	v_fma_f32 v78, v91, v158, -v78
	v_fmac_f32_e32 v110, v106, v173
	v_add_f32_e32 v77, v77, v78
	v_mul_f32_e32 v78, v94, v159
	v_add_f32_e32 v113, v109, v110
	ds_read_b128 v[109:112], v76 offset:464
	v_fma_f32 v78, v93, v160, -v78
	v_add_f32_e32 v77, v77, v78
	v_mul_f32_e32 v78, v96, v161
	s_waitcnt vmcnt(34)
	v_mul_f32_e32 v114, v107, v176
	v_fma_f32 v78, v95, v164, -v78
	v_fmac_f32_e32 v114, v108, v175
	v_add_f32_e32 v77, v77, v78
	v_mul_f32_e32 v78, v98, v166
	v_add_f32_e32 v117, v113, v114
	ds_read_b128 v[113:116], v76 offset:480
	v_fma_f32 v78, v97, v165, -v78
	s_waitcnt vmcnt(32) lgkmcnt(1)
	v_mul_f32_e32 v118, v109, v178
	v_add_f32_e32 v77, v77, v78
	v_mul_f32_e32 v78, v100, v168
	v_fmac_f32_e32 v118, v110, v177
	v_fma_f32 v78, v99, v167, -v78
	v_add_f32_e32 v117, v117, v118
	s_waitcnt vmcnt(30)
	v_mul_f32_e32 v118, v111, v180
	v_add_f32_e32 v77, v77, v78
	v_mul_f32_e32 v78, v102, v170
	v_fmac_f32_e32 v118, v112, v179
	v_fma_f32 v78, v101, v169, -v78
	v_add_f32_e32 v117, v117, v118
	s_waitcnt vmcnt(28) lgkmcnt(0)
	v_mul_f32_e32 v118, v113, v182
	v_add_f32_e32 v77, v77, v78
	v_mul_f32_e32 v78, v104, v172
	v_fmac_f32_e32 v118, v114, v181
	v_fma_f32 v78, v103, v171, -v78
	v_add_f32_e32 v121, v117, v118
	ds_read_b128 v[117:120], v76 offset:496
	v_add_f32_e32 v77, v77, v78
	v_mul_f32_e32 v78, v106, v174
	v_fma_f32 v78, v105, v173, -v78
	s_waitcnt vmcnt(26)
	v_mul_f32_e32 v122, v115, v184
	v_add_f32_e32 v77, v77, v78
	v_mul_f32_e32 v78, v108, v176
	v_fmac_f32_e32 v122, v116, v183
	v_fma_f32 v78, v107, v175, -v78
	v_add_f32_e32 v125, v121, v122
	ds_read_b128 v[121:124], v76 offset:512
	v_add_f32_e32 v77, v77, v78
	v_mul_f32_e32 v78, v110, v178
	s_waitcnt vmcnt(24) lgkmcnt(1)
	v_mul_f32_e32 v126, v117, v186
	v_fma_f32 v78, v109, v177, -v78
	v_fmac_f32_e32 v126, v118, v185
	v_add_f32_e32 v77, v77, v78
	v_mul_f32_e32 v78, v112, v180
	v_add_f32_e32 v125, v125, v126
	s_waitcnt vmcnt(22)
	v_mul_f32_e32 v126, v119, v188
	v_fma_f32 v78, v111, v179, -v78
	v_fmac_f32_e32 v126, v120, v187
	v_add_f32_e32 v77, v77, v78
	v_mul_f32_e32 v78, v114, v182
	v_add_f32_e32 v125, v125, v126
	s_waitcnt vmcnt(20) lgkmcnt(0)
	v_mul_f32_e32 v126, v121, v190
	v_fma_f32 v78, v113, v181, -v78
	v_fmac_f32_e32 v126, v122, v189
	v_add_f32_e32 v77, v77, v78
	v_mul_f32_e32 v78, v116, v184
	v_add_f32_e32 v129, v125, v126
	ds_read_b128 v[125:128], v76 offset:528
	v_fma_f32 v78, v115, v183, -v78
	v_add_f32_e32 v77, v77, v78
	v_mul_f32_e32 v78, v118, v186
	s_waitcnt vmcnt(18)
	v_mul_f32_e32 v130, v123, v192
	v_fma_f32 v78, v117, v185, -v78
	v_fmac_f32_e32 v130, v124, v191
	v_add_f32_e32 v77, v77, v78
	v_mul_f32_e32 v78, v120, v188
	v_add_f32_e32 v133, v129, v130
	ds_read_b128 v[129:132], v76 offset:544
	v_fma_f32 v78, v119, v187, -v78
	s_waitcnt vmcnt(16) lgkmcnt(1)
	v_mul_f32_e32 v134, v125, v194
	v_add_f32_e32 v77, v77, v78
	v_mul_f32_e32 v78, v122, v190
	v_fmac_f32_e32 v134, v126, v193
	v_fma_f32 v78, v121, v189, -v78
	v_add_f32_e32 v133, v133, v134
	s_waitcnt vmcnt(14)
	v_mul_f32_e32 v134, v127, v196
	v_add_f32_e32 v77, v77, v78
	v_mul_f32_e32 v78, v124, v192
	v_fmac_f32_e32 v134, v128, v195
	v_fma_f32 v78, v123, v191, -v78
	v_add_f32_e32 v133, v133, v134
	s_waitcnt vmcnt(12) lgkmcnt(0)
	v_mul_f32_e32 v134, v129, v198
	v_add_f32_e32 v77, v77, v78
	v_mul_f32_e32 v78, v126, v194
	v_fmac_f32_e32 v134, v130, v197
	v_fma_f32 v78, v125, v193, -v78
	v_add_f32_e32 v137, v133, v134
	ds_read_b128 v[133:136], v76 offset:560
	v_add_f32_e32 v77, v77, v78
	v_mul_f32_e32 v78, v128, v196
	v_fma_f32 v78, v127, v195, -v78
	v_add_f32_e32 v77, v77, v78
	v_mul_f32_e32 v78, v130, v198
	s_waitcnt vmcnt(10)
	v_mul_f32_e32 v138, v131, v200
	v_fma_f32 v78, v129, v197, -v78
	v_fmac_f32_e32 v138, v132, v199
	v_add_f32_e32 v77, v77, v78
	v_mul_f32_e32 v78, v132, v200
	v_add_f32_e32 v141, v137, v138
	ds_read_b128 v[137:140], v76 offset:576
	s_waitcnt vmcnt(8) lgkmcnt(1)
	v_mul_f32_e32 v142, v133, v202
	v_fma_f32 v78, v131, v199, -v78
	v_fmac_f32_e32 v142, v134, v201
	v_add_f32_e32 v77, v77, v78
	v_mul_f32_e32 v78, v134, v202
	v_add_f32_e32 v141, v141, v142
	s_waitcnt vmcnt(7)
	v_mul_f32_e32 v142, v135, v203
	v_fma_f32 v78, v133, v201, -v78
	s_waitcnt vmcnt(6)
	v_fmac_f32_e32 v142, v136, v204
	v_add_f32_e32 v77, v77, v78
	v_mul_f32_e32 v78, v136, v203
	v_add_f32_e32 v211, v141, v142
	ds_read_b64 v[141:142], v76 offset:592
	v_fma_f32 v78, v135, v204, -v78
	v_add_f32_e32 v77, v77, v78
	s_waitcnt vmcnt(4) lgkmcnt(1)
	v_mul_f32_e32 v78, v138, v206
	v_mul_f32_e32 v212, v137, v206
	v_fma_f32 v78, v137, v205, -v78
	v_fmac_f32_e32 v212, v138, v205
	v_add_f32_e32 v77, v77, v78
	s_waitcnt vmcnt(3)
	v_mul_f32_e32 v78, v140, v207
	v_add_f32_e32 v211, v211, v212
	v_mul_f32_e32 v212, v139, v207
	s_waitcnt vmcnt(2)
	v_fma_f32 v78, v139, v208, -v78
	v_fmac_f32_e32 v212, v140, v208
	v_add_f32_e32 v77, v77, v78
	s_waitcnt vmcnt(0) lgkmcnt(0)
	v_mul_f32_e32 v78, v142, v210
	v_add_f32_e32 v211, v211, v212
	v_mul_f32_e32 v212, v141, v210
	v_fma_f32 v78, v141, v209, -v78
	v_fmac_f32_e32 v212, v142, v209
	v_add_f32_e32 v77, v77, v78
	v_add_f32_e32 v211, v211, v212
	v_sub_f32_e32 v77, v162, v77
	v_sub_f32_e32 v78, v163, v211
	buffer_store_dword v77, off, s[0:3], 0 offset:24
	buffer_store_dword v78, off, s[0:3], 0 offset:28
	s_and_saveexec_b64 s[4:5], vcc
	s_cbranch_execz .LBB100_231
; %bb.230:
	buffer_load_dword v77, off, s[0:3], 0 offset:16
	buffer_load_dword v78, off, s[0:3], 0 offset:20
	s_waitcnt vmcnt(0)
	ds_write_b64 v75, v[77:78]
	buffer_store_dword v76, off, s[0:3], 0 offset:16
	buffer_store_dword v76, off, s[0:3], 0 offset:20
.LBB100_231:
	s_or_b64 exec, exec, s[4:5]
	s_waitcnt lgkmcnt(0)
	; wave barrier
	buffer_load_dword v145, off, s[0:3], 0 offset:28
	buffer_load_dword v146, off, s[0:3], 0 offset:36
	;; [unrolled: 1-line block ×24, first 2 shown]
	ds_read2_b64 v[77:80], v76 offset0:41 offset1:42
	ds_read2_b64 v[81:84], v76 offset0:43 offset1:44
	;; [unrolled: 1-line block ×6, first 2 shown]
	buffer_load_dword v169, off, s[0:3], 0 offset:116
	buffer_load_dword v170, off, s[0:3], 0 offset:112
	;; [unrolled: 1-line block ×46, first 2 shown]
	v_cmp_lt_u32_e32 vcc, 1, v0
	s_waitcnt vmcnt(62) lgkmcnt(5)
	v_mul_f32_e32 v101, v77, v145
	v_mul_f32_e32 v102, v79, v146
	s_waitcnt lgkmcnt(4)
	v_mul_f32_e32 v103, v81, v147
	v_mul_f32_e32 v104, v83, v148
	s_waitcnt lgkmcnt(3)
	;; [unrolled: 3-line block ×3, first 2 shown]
	v_mul_f32_e32 v107, v89, v151
	v_mul_f32_e32 v108, v91, v152
	s_waitcnt vmcnt(61)
	v_fmac_f32_e32 v101, v78, v153
	s_waitcnt vmcnt(60)
	v_fmac_f32_e32 v102, v80, v154
	v_add_f32_e32 v101, 0, v101
	s_waitcnt vmcnt(59)
	v_fmac_f32_e32 v103, v82, v155
	v_add_f32_e32 v101, v101, v102
	;; [unrolled: 3-line block ×7, first 2 shown]
	s_waitcnt vmcnt(53) lgkmcnt(1)
	v_mul_f32_e32 v102, v93, v161
	v_add_f32_e32 v101, v101, v108
	s_waitcnt vmcnt(52)
	v_fmac_f32_e32 v102, v94, v162
	v_mul_f32_e32 v78, v78, v145
	v_add_f32_e32 v101, v101, v102
	s_waitcnt vmcnt(51)
	v_mul_f32_e32 v102, v95, v163
	v_fma_f32 v77, v77, v153, -v78
	v_mul_f32_e32 v78, v80, v146
	s_waitcnt vmcnt(50)
	v_fmac_f32_e32 v102, v96, v164
	v_add_f32_e32 v77, 0, v77
	v_fma_f32 v78, v79, v154, -v78
	v_add_f32_e32 v101, v101, v102
	s_waitcnt vmcnt(47) lgkmcnt(0)
	v_mul_f32_e32 v102, v97, v167
	v_add_f32_e32 v77, v77, v78
	v_mul_f32_e32 v78, v82, v147
	s_waitcnt vmcnt(46)
	v_fmac_f32_e32 v102, v98, v168
	v_fma_f32 v78, v81, v155, -v78
	v_add_f32_e32 v105, v101, v102
	ds_read2_b64 v[101:104], v76 offset0:53 offset1:54
	v_add_f32_e32 v77, v77, v78
	v_mul_f32_e32 v78, v84, v148
	v_fma_f32 v78, v83, v156, -v78
	s_waitcnt vmcnt(45)
	v_mul_f32_e32 v106, v99, v169
	v_add_f32_e32 v77, v77, v78
	v_mul_f32_e32 v78, v86, v149
	s_waitcnt vmcnt(44)
	v_fmac_f32_e32 v106, v100, v170
	v_fma_f32 v78, v85, v157, -v78
	v_add_f32_e32 v109, v105, v106
	ds_read2_b64 v[105:108], v76 offset0:55 offset1:56
	v_add_f32_e32 v77, v77, v78
	v_mul_f32_e32 v78, v88, v150
	s_waitcnt vmcnt(42) lgkmcnt(1)
	v_mul_f32_e32 v110, v101, v172
	v_fma_f32 v78, v87, v158, -v78
	v_fmac_f32_e32 v110, v102, v171
	v_add_f32_e32 v77, v77, v78
	v_mul_f32_e32 v78, v90, v151
	v_add_f32_e32 v109, v109, v110
	s_waitcnt vmcnt(40)
	v_mul_f32_e32 v110, v103, v174
	v_fma_f32 v78, v89, v159, -v78
	v_fmac_f32_e32 v110, v104, v173
	v_add_f32_e32 v77, v77, v78
	v_mul_f32_e32 v78, v92, v152
	v_add_f32_e32 v109, v109, v110
	s_waitcnt vmcnt(38) lgkmcnt(0)
	v_mul_f32_e32 v110, v105, v176
	v_fma_f32 v78, v91, v160, -v78
	v_fmac_f32_e32 v110, v106, v175
	v_add_f32_e32 v77, v77, v78
	v_mul_f32_e32 v78, v94, v161
	v_add_f32_e32 v113, v109, v110
	ds_read2_b64 v[109:112], v76 offset0:57 offset1:58
	v_fma_f32 v78, v93, v162, -v78
	v_add_f32_e32 v77, v77, v78
	v_mul_f32_e32 v78, v96, v163
	s_waitcnt vmcnt(36)
	v_mul_f32_e32 v114, v107, v178
	v_fma_f32 v78, v95, v164, -v78
	v_fmac_f32_e32 v114, v108, v177
	v_add_f32_e32 v77, v77, v78
	v_mul_f32_e32 v78, v98, v167
	v_add_f32_e32 v117, v113, v114
	ds_read2_b64 v[113:116], v76 offset0:59 offset1:60
	v_fma_f32 v78, v97, v168, -v78
	s_waitcnt vmcnt(34) lgkmcnt(1)
	v_mul_f32_e32 v118, v109, v180
	v_add_f32_e32 v77, v77, v78
	v_mul_f32_e32 v78, v100, v169
	v_fmac_f32_e32 v118, v110, v179
	v_fma_f32 v78, v99, v170, -v78
	v_add_f32_e32 v117, v117, v118
	s_waitcnt vmcnt(32)
	v_mul_f32_e32 v118, v111, v182
	v_add_f32_e32 v77, v77, v78
	v_mul_f32_e32 v78, v102, v172
	v_fmac_f32_e32 v118, v112, v181
	v_fma_f32 v78, v101, v171, -v78
	v_add_f32_e32 v117, v117, v118
	s_waitcnt vmcnt(30) lgkmcnt(0)
	v_mul_f32_e32 v118, v113, v184
	v_add_f32_e32 v77, v77, v78
	v_mul_f32_e32 v78, v104, v174
	v_fmac_f32_e32 v118, v114, v183
	v_fma_f32 v78, v103, v173, -v78
	v_add_f32_e32 v121, v117, v118
	ds_read2_b64 v[117:120], v76 offset0:61 offset1:62
	v_add_f32_e32 v77, v77, v78
	v_mul_f32_e32 v78, v106, v176
	v_fma_f32 v78, v105, v175, -v78
	s_waitcnt vmcnt(28)
	v_mul_f32_e32 v122, v115, v186
	v_add_f32_e32 v77, v77, v78
	v_mul_f32_e32 v78, v108, v178
	v_fmac_f32_e32 v122, v116, v185
	v_fma_f32 v78, v107, v177, -v78
	v_add_f32_e32 v125, v121, v122
	ds_read2_b64 v[121:124], v76 offset0:63 offset1:64
	v_add_f32_e32 v77, v77, v78
	v_mul_f32_e32 v78, v110, v180
	s_waitcnt vmcnt(26) lgkmcnt(1)
	v_mul_f32_e32 v126, v117, v188
	v_fma_f32 v78, v109, v179, -v78
	v_fmac_f32_e32 v126, v118, v187
	v_add_f32_e32 v77, v77, v78
	v_mul_f32_e32 v78, v112, v182
	v_add_f32_e32 v125, v125, v126
	s_waitcnt vmcnt(24)
	v_mul_f32_e32 v126, v119, v190
	v_fma_f32 v78, v111, v181, -v78
	v_fmac_f32_e32 v126, v120, v189
	v_add_f32_e32 v77, v77, v78
	v_mul_f32_e32 v78, v114, v184
	v_add_f32_e32 v125, v125, v126
	s_waitcnt vmcnt(22) lgkmcnt(0)
	v_mul_f32_e32 v126, v121, v192
	v_fma_f32 v78, v113, v183, -v78
	v_fmac_f32_e32 v126, v122, v191
	v_add_f32_e32 v77, v77, v78
	v_mul_f32_e32 v78, v116, v186
	v_add_f32_e32 v129, v125, v126
	ds_read2_b64 v[125:128], v76 offset0:65 offset1:66
	v_fma_f32 v78, v115, v185, -v78
	v_add_f32_e32 v77, v77, v78
	v_mul_f32_e32 v78, v118, v188
	s_waitcnt vmcnt(20)
	v_mul_f32_e32 v130, v123, v194
	v_fma_f32 v78, v117, v187, -v78
	v_fmac_f32_e32 v130, v124, v193
	v_add_f32_e32 v77, v77, v78
	v_mul_f32_e32 v78, v120, v190
	v_add_f32_e32 v133, v129, v130
	ds_read2_b64 v[129:132], v76 offset0:67 offset1:68
	v_fma_f32 v78, v119, v189, -v78
	s_waitcnt vmcnt(18) lgkmcnt(1)
	v_mul_f32_e32 v134, v125, v196
	v_add_f32_e32 v77, v77, v78
	v_mul_f32_e32 v78, v122, v192
	v_fmac_f32_e32 v134, v126, v195
	v_fma_f32 v78, v121, v191, -v78
	v_add_f32_e32 v133, v133, v134
	s_waitcnt vmcnt(16)
	v_mul_f32_e32 v134, v127, v198
	v_add_f32_e32 v77, v77, v78
	v_mul_f32_e32 v78, v124, v194
	v_fmac_f32_e32 v134, v128, v197
	v_fma_f32 v78, v123, v193, -v78
	v_add_f32_e32 v133, v133, v134
	s_waitcnt vmcnt(14) lgkmcnt(0)
	v_mul_f32_e32 v134, v129, v200
	v_add_f32_e32 v77, v77, v78
	v_mul_f32_e32 v78, v126, v196
	v_fmac_f32_e32 v134, v130, v199
	v_fma_f32 v78, v125, v195, -v78
	v_add_f32_e32 v137, v133, v134
	ds_read2_b64 v[133:136], v76 offset0:69 offset1:70
	v_add_f32_e32 v77, v77, v78
	v_mul_f32_e32 v78, v128, v198
	v_fma_f32 v78, v127, v197, -v78
	v_add_f32_e32 v77, v77, v78
	v_mul_f32_e32 v78, v130, v200
	s_waitcnt vmcnt(12)
	v_mul_f32_e32 v138, v131, v202
	v_fma_f32 v78, v129, v199, -v78
	v_fmac_f32_e32 v138, v132, v201
	v_add_f32_e32 v77, v77, v78
	v_mul_f32_e32 v78, v132, v202
	v_add_f32_e32 v141, v137, v138
	ds_read2_b64 v[137:140], v76 offset0:71 offset1:72
	s_waitcnt vmcnt(10) lgkmcnt(1)
	v_mul_f32_e32 v142, v133, v204
	v_fma_f32 v78, v131, v201, -v78
	v_fmac_f32_e32 v142, v134, v203
	v_add_f32_e32 v77, v77, v78
	v_mul_f32_e32 v78, v134, v204
	v_add_f32_e32 v141, v141, v142
	s_waitcnt vmcnt(9)
	v_mul_f32_e32 v142, v135, v205
	v_fma_f32 v78, v133, v203, -v78
	s_waitcnt vmcnt(8)
	v_fmac_f32_e32 v142, v136, v206
	v_add_f32_e32 v77, v77, v78
	v_mul_f32_e32 v78, v136, v205
	v_add_f32_e32 v215, v141, v142
	ds_read2_b64 v[141:144], v76 offset0:73 offset1:74
	v_fma_f32 v78, v135, v206, -v78
	v_add_f32_e32 v77, v77, v78
	s_waitcnt vmcnt(6) lgkmcnt(1)
	v_mul_f32_e32 v78, v138, v208
	v_mul_f32_e32 v216, v137, v208
	v_fma_f32 v78, v137, v207, -v78
	v_fmac_f32_e32 v216, v138, v207
	v_add_f32_e32 v77, v77, v78
	s_waitcnt vmcnt(4)
	v_mul_f32_e32 v78, v140, v210
	v_add_f32_e32 v76, v215, v216
	v_mul_f32_e32 v215, v139, v210
	v_fma_f32 v78, v139, v209, -v78
	v_fmac_f32_e32 v215, v140, v209
	v_add_f32_e32 v77, v77, v78
	s_waitcnt vmcnt(3) lgkmcnt(0)
	v_mul_f32_e32 v78, v142, v211
	v_add_f32_e32 v76, v76, v215
	v_mul_f32_e32 v215, v141, v211
	s_waitcnt vmcnt(2)
	v_fma_f32 v78, v141, v212, -v78
	v_fmac_f32_e32 v215, v142, v212
	v_add_f32_e32 v77, v77, v78
	s_waitcnt vmcnt(0)
	v_mul_f32_e32 v78, v144, v214
	v_add_f32_e32 v76, v76, v215
	v_mul_f32_e32 v215, v143, v214
	v_fma_f32 v78, v143, v213, -v78
	v_fmac_f32_e32 v215, v144, v213
	v_add_f32_e32 v77, v77, v78
	v_add_f32_e32 v76, v76, v215
	v_sub_f32_e32 v77, v165, v77
	v_sub_f32_e32 v76, v166, v76
	buffer_store_dword v77, off, s[0:3], 0 offset:16
	buffer_store_dword v76, off, s[0:3], 0 offset:20
	s_and_saveexec_b64 s[4:5], vcc
	s_cbranch_execz .LBB100_233
; %bb.232:
	buffer_load_dword v76, off, s[0:3], 0 offset:8
	buffer_load_dword v77, off, s[0:3], 0 offset:12
	v_mov_b32_e32 v78, 0
	buffer_store_dword v78, off, s[0:3], 0 offset:8
	buffer_store_dword v78, off, s[0:3], 0 offset:12
	s_waitcnt vmcnt(2)
	ds_write_b64 v75, v[76:77]
.LBB100_233:
	s_or_b64 exec, exec, s[4:5]
	s_waitcnt lgkmcnt(0)
	; wave barrier
	buffer_load_dword v147, off, s[0:3], 0 offset:20
	buffer_load_dword v148, off, s[0:3], 0 offset:28
	;; [unrolled: 1-line block ×56, first 2 shown]
	v_mov_b32_e32 v76, 0
	ds_read_b128 v[77:80], v76 offset:320
	ds_read_b128 v[81:84], v76 offset:336
	;; [unrolled: 1-line block ×6, first 2 shown]
	buffer_load_dword v203, off, s[0:3], 0 offset:232
	buffer_load_dword v204, off, s[0:3], 0 offset:236
	;; [unrolled: 1-line block ×12, first 2 shown]
	v_cmp_ne_u32_e32 vcc, 0, v0
	s_waitcnt vmcnt(62) lgkmcnt(5)
	v_mul_f32_e32 v101, v77, v147
	v_mul_f32_e32 v102, v79, v148
	s_waitcnt lgkmcnt(4)
	v_mul_f32_e32 v103, v81, v149
	v_mul_f32_e32 v104, v83, v150
	s_waitcnt lgkmcnt(3)
	v_mul_f32_e32 v105, v85, v151
	v_mul_f32_e32 v106, v87, v152
	s_waitcnt vmcnt(61) lgkmcnt(2)
	v_mul_f32_e32 v107, v89, v153
	s_waitcnt vmcnt(60)
	v_mul_f32_e32 v108, v91, v154
	s_waitcnt vmcnt(59) lgkmcnt(1)
	v_mul_f32_e32 v109, v93, v155
	s_waitcnt vmcnt(58)
	v_fmac_f32_e32 v101, v78, v156
	s_waitcnt vmcnt(57)
	v_fmac_f32_e32 v102, v80, v157
	v_add_f32_e32 v101, 0, v101
	s_waitcnt vmcnt(56)
	v_fmac_f32_e32 v103, v82, v158
	v_add_f32_e32 v101, v101, v102
	;; [unrolled: 3-line block ×7, first 2 shown]
	v_add_f32_e32 v101, v101, v108
	s_waitcnt vmcnt(50)
	v_fmac_f32_e32 v109, v94, v164
	s_waitcnt vmcnt(49)
	v_mul_f32_e32 v102, v95, v165
	v_add_f32_e32 v101, v101, v109
	s_waitcnt vmcnt(48)
	v_fmac_f32_e32 v102, v96, v166
	v_add_f32_e32 v101, v101, v102
	s_waitcnt vmcnt(47) lgkmcnt(0)
	v_mul_f32_e32 v102, v97, v167
	s_waitcnt vmcnt(44)
	v_fmac_f32_e32 v102, v98, v170
	v_add_f32_e32 v105, v101, v102
	ds_read_b128 v[101:104], v76 offset:416
	buffer_load_dword v215, off, s[0:3], 0 offset:284
	buffer_load_dword v216, off, s[0:3], 0 offset:280
	;; [unrolled: 1-line block ×4, first 2 shown]
	v_mul_f32_e32 v78, v78, v147
	v_fma_f32 v77, v77, v156, -v78
	v_mul_f32_e32 v78, v80, v148
	v_add_f32_e32 v77, 0, v77
	v_fma_f32 v78, v79, v157, -v78
	v_add_f32_e32 v77, v77, v78
	v_mul_f32_e32 v78, v82, v149
	v_fma_f32 v78, v81, v158, -v78
	s_waitcnt vmcnt(46)
	v_mul_f32_e32 v106, v99, v172
	v_add_f32_e32 v77, v77, v78
	v_mul_f32_e32 v78, v84, v150
	v_fmac_f32_e32 v106, v100, v171
	v_fma_f32 v78, v83, v159, -v78
	v_add_f32_e32 v109, v105, v106
	ds_read_b128 v[105:108], v76 offset:432
	v_add_f32_e32 v77, v77, v78
	v_mul_f32_e32 v78, v86, v151
	s_waitcnt vmcnt(44) lgkmcnt(1)
	v_mul_f32_e32 v110, v101, v174
	v_fma_f32 v78, v85, v160, -v78
	v_fmac_f32_e32 v110, v102, v173
	v_add_f32_e32 v77, v77, v78
	v_mul_f32_e32 v78, v88, v152
	v_add_f32_e32 v109, v109, v110
	s_waitcnt vmcnt(42)
	v_mul_f32_e32 v110, v103, v176
	v_fma_f32 v78, v87, v161, -v78
	v_fmac_f32_e32 v110, v104, v175
	v_add_f32_e32 v77, v77, v78
	v_mul_f32_e32 v78, v90, v153
	v_add_f32_e32 v109, v109, v110
	s_waitcnt vmcnt(40) lgkmcnt(0)
	v_mul_f32_e32 v110, v105, v178
	v_fma_f32 v78, v89, v162, -v78
	v_fmac_f32_e32 v110, v106, v177
	v_add_f32_e32 v77, v77, v78
	v_mul_f32_e32 v78, v92, v154
	v_add_f32_e32 v113, v109, v110
	ds_read_b128 v[109:112], v76 offset:448
	v_fma_f32 v78, v91, v163, -v78
	v_add_f32_e32 v77, v77, v78
	v_mul_f32_e32 v78, v94, v155
	s_waitcnt vmcnt(38)
	v_mul_f32_e32 v114, v107, v180
	v_fma_f32 v78, v93, v164, -v78
	v_fmac_f32_e32 v114, v108, v179
	v_add_f32_e32 v77, v77, v78
	v_mul_f32_e32 v78, v96, v165
	v_add_f32_e32 v117, v113, v114
	ds_read_b128 v[113:116], v76 offset:464
	v_fma_f32 v78, v95, v166, -v78
	s_waitcnt vmcnt(36) lgkmcnt(1)
	v_mul_f32_e32 v118, v109, v182
	v_add_f32_e32 v77, v77, v78
	v_mul_f32_e32 v78, v98, v167
	v_fmac_f32_e32 v118, v110, v181
	v_fma_f32 v78, v97, v170, -v78
	v_add_f32_e32 v117, v117, v118
	s_waitcnt vmcnt(34)
	v_mul_f32_e32 v118, v111, v184
	v_add_f32_e32 v77, v77, v78
	v_mul_f32_e32 v78, v100, v172
	v_fmac_f32_e32 v118, v112, v183
	v_fma_f32 v78, v99, v171, -v78
	v_add_f32_e32 v117, v117, v118
	s_waitcnt vmcnt(32) lgkmcnt(0)
	v_mul_f32_e32 v118, v113, v186
	v_add_f32_e32 v77, v77, v78
	v_mul_f32_e32 v78, v102, v174
	v_fmac_f32_e32 v118, v114, v185
	v_fma_f32 v78, v101, v173, -v78
	v_add_f32_e32 v121, v117, v118
	ds_read_b128 v[117:120], v76 offset:480
	v_add_f32_e32 v77, v77, v78
	v_mul_f32_e32 v78, v104, v176
	v_fma_f32 v78, v103, v175, -v78
	s_waitcnt vmcnt(30)
	v_mul_f32_e32 v122, v115, v188
	v_add_f32_e32 v77, v77, v78
	v_mul_f32_e32 v78, v106, v178
	v_fmac_f32_e32 v122, v116, v187
	v_fma_f32 v78, v105, v177, -v78
	v_add_f32_e32 v125, v121, v122
	ds_read_b128 v[121:124], v76 offset:496
	v_add_f32_e32 v77, v77, v78
	v_mul_f32_e32 v78, v108, v180
	s_waitcnt vmcnt(28) lgkmcnt(1)
	v_mul_f32_e32 v126, v117, v190
	v_fma_f32 v78, v107, v179, -v78
	v_fmac_f32_e32 v126, v118, v189
	v_add_f32_e32 v77, v77, v78
	v_mul_f32_e32 v78, v110, v182
	v_add_f32_e32 v125, v125, v126
	s_waitcnt vmcnt(26)
	v_mul_f32_e32 v126, v119, v192
	v_fma_f32 v78, v109, v181, -v78
	v_fmac_f32_e32 v126, v120, v191
	v_add_f32_e32 v77, v77, v78
	v_mul_f32_e32 v78, v112, v184
	v_add_f32_e32 v125, v125, v126
	s_waitcnt vmcnt(24) lgkmcnt(0)
	v_mul_f32_e32 v126, v121, v194
	v_fma_f32 v78, v111, v183, -v78
	v_fmac_f32_e32 v126, v122, v193
	v_add_f32_e32 v77, v77, v78
	v_mul_f32_e32 v78, v114, v186
	v_add_f32_e32 v129, v125, v126
	ds_read_b128 v[125:128], v76 offset:512
	v_fma_f32 v78, v113, v185, -v78
	v_add_f32_e32 v77, v77, v78
	v_mul_f32_e32 v78, v116, v188
	s_waitcnt vmcnt(22)
	v_mul_f32_e32 v130, v123, v196
	v_fma_f32 v78, v115, v187, -v78
	v_fmac_f32_e32 v130, v124, v195
	v_add_f32_e32 v77, v77, v78
	v_mul_f32_e32 v78, v118, v190
	v_add_f32_e32 v133, v129, v130
	ds_read_b128 v[129:132], v76 offset:528
	v_fma_f32 v78, v117, v189, -v78
	s_waitcnt vmcnt(20) lgkmcnt(1)
	v_mul_f32_e32 v134, v125, v198
	v_add_f32_e32 v77, v77, v78
	v_mul_f32_e32 v78, v120, v192
	v_fmac_f32_e32 v134, v126, v197
	v_fma_f32 v78, v119, v191, -v78
	v_add_f32_e32 v133, v133, v134
	s_waitcnt vmcnt(18)
	v_mul_f32_e32 v134, v127, v200
	v_add_f32_e32 v77, v77, v78
	v_mul_f32_e32 v78, v122, v194
	v_fmac_f32_e32 v134, v128, v199
	v_fma_f32 v78, v121, v193, -v78
	v_add_f32_e32 v133, v133, v134
	s_waitcnt vmcnt(16) lgkmcnt(0)
	v_mul_f32_e32 v134, v129, v202
	v_add_f32_e32 v77, v77, v78
	v_mul_f32_e32 v78, v124, v196
	v_fmac_f32_e32 v134, v130, v201
	v_fma_f32 v78, v123, v195, -v78
	v_add_f32_e32 v137, v133, v134
	ds_read_b128 v[133:136], v76 offset:544
	v_add_f32_e32 v77, v77, v78
	v_mul_f32_e32 v78, v126, v198
	v_fma_f32 v78, v125, v197, -v78
	s_waitcnt vmcnt(14)
	v_mul_f32_e32 v138, v131, v204
	v_add_f32_e32 v77, v77, v78
	v_mul_f32_e32 v78, v128, v200
	v_fmac_f32_e32 v138, v132, v203
	v_fma_f32 v78, v127, v199, -v78
	v_add_f32_e32 v141, v137, v138
	ds_read_b128 v[137:140], v76 offset:560
	v_add_f32_e32 v77, v77, v78
	v_mul_f32_e32 v78, v130, v202
	s_waitcnt vmcnt(12) lgkmcnt(1)
	v_mul_f32_e32 v142, v133, v206
	v_fma_f32 v78, v129, v201, -v78
	v_fmac_f32_e32 v142, v134, v205
	v_add_f32_e32 v77, v77, v78
	v_mul_f32_e32 v78, v132, v204
	v_add_f32_e32 v141, v141, v142
	s_waitcnt vmcnt(11)
	v_mul_f32_e32 v142, v135, v207
	v_fma_f32 v78, v131, v203, -v78
	s_waitcnt vmcnt(10)
	v_fmac_f32_e32 v142, v136, v208
	v_add_f32_e32 v77, v77, v78
	v_mul_f32_e32 v78, v134, v206
	v_add_f32_e32 v141, v141, v142
	s_waitcnt vmcnt(8) lgkmcnt(0)
	v_mul_f32_e32 v142, v137, v210
	v_fma_f32 v78, v133, v205, -v78
	v_fmac_f32_e32 v142, v138, v209
	v_add_f32_e32 v77, v77, v78
	v_mul_f32_e32 v78, v136, v207
	v_add_f32_e32 v145, v141, v142
	ds_read_b128 v[141:144], v76 offset:576
	v_fma_f32 v78, v135, v208, -v78
	v_add_f32_e32 v77, v77, v78
	v_mul_f32_e32 v78, v138, v210
	s_waitcnt vmcnt(6)
	v_mul_f32_e32 v146, v139, v212
	v_fma_f32 v78, v137, v209, -v78
	v_fmac_f32_e32 v146, v140, v211
	v_add_f32_e32 v77, v77, v78
	v_mul_f32_e32 v78, v140, v212
	v_add_f32_e32 v219, v145, v146
	ds_read_b64 v[145:146], v76 offset:592
	v_fma_f32 v78, v139, v211, -v78
	v_add_f32_e32 v77, v77, v78
	s_waitcnt vmcnt(4) lgkmcnt(1)
	v_mul_f32_e32 v78, v142, v214
	v_mul_f32_e32 v220, v141, v214
	v_fma_f32 v78, v141, v213, -v78
	v_fmac_f32_e32 v220, v142, v213
	v_add_f32_e32 v77, v77, v78
	s_waitcnt vmcnt(3)
	v_mul_f32_e32 v78, v144, v215
	v_add_f32_e32 v219, v219, v220
	v_mul_f32_e32 v220, v143, v215
	s_waitcnt vmcnt(2)
	v_fma_f32 v78, v143, v216, -v78
	v_fmac_f32_e32 v220, v144, v216
	v_add_f32_e32 v77, v77, v78
	s_waitcnt vmcnt(0) lgkmcnt(0)
	v_mul_f32_e32 v78, v146, v218
	v_add_f32_e32 v219, v219, v220
	v_mul_f32_e32 v220, v145, v218
	v_fma_f32 v78, v145, v217, -v78
	v_fmac_f32_e32 v220, v146, v217
	v_add_f32_e32 v77, v77, v78
	v_add_f32_e32 v219, v219, v220
	v_sub_f32_e32 v77, v168, v77
	v_sub_f32_e32 v78, v169, v219
	buffer_store_dword v77, off, s[0:3], 0 offset:8
	buffer_store_dword v78, off, s[0:3], 0 offset:12
	s_and_saveexec_b64 s[4:5], vcc
	s_cbranch_execz .LBB100_235
; %bb.234:
	buffer_load_dword v77, off, s[0:3], 0
	buffer_load_dword v78, off, s[0:3], 0 offset:4
	s_waitcnt vmcnt(0)
	ds_write_b64 v75, v[77:78]
	buffer_store_dword v76, off, s[0:3], 0
	buffer_store_dword v76, off, s[0:3], 0 offset:4
.LBB100_235:
	s_or_b64 exec, exec, s[4:5]
	s_waitcnt lgkmcnt(0)
	; wave barrier
	buffer_load_dword v0, off, s[0:3], 0 offset:12
	buffer_load_dword v75, off, s[0:3], 0 offset:20
	;; [unrolled: 1-line block ×22, first 2 shown]
	buffer_load_dword v169, off, s[0:3], 0
	buffer_load_dword v170, off, s[0:3], 0 offset:4
	buffer_load_dword v171, off, s[0:3], 0 offset:96
	;; [unrolled: 1-line block ×3, first 2 shown]
	ds_read2_b64 v[77:80], v76 offset0:39 offset1:40
	ds_read2_b64 v[81:84], v76 offset0:41 offset1:42
	;; [unrolled: 1-line block ×6, first 2 shown]
	buffer_load_dword v173, off, s[0:3], 0 offset:104
	buffer_load_dword v174, off, s[0:3], 0 offset:108
	;; [unrolled: 1-line block ×42, first 2 shown]
	s_and_b64 vcc, exec, s[14:15]
	s_waitcnt vmcnt(62) lgkmcnt(5)
	v_mul_f32_e32 v101, v77, v0
	v_mul_f32_e32 v102, v79, v75
	s_waitcnt lgkmcnt(4)
	v_mul_f32_e32 v103, v81, v149
	v_mul_f32_e32 v104, v83, v150
	s_waitcnt lgkmcnt(3)
	v_mul_f32_e32 v105, v85, v151
	v_mul_f32_e32 v106, v87, v152
	s_waitcnt vmcnt(61) lgkmcnt(2)
	v_mul_f32_e32 v107, v89, v153
	s_waitcnt vmcnt(60)
	v_mul_f32_e32 v108, v91, v154
	s_waitcnt vmcnt(59) lgkmcnt(1)
	v_mul_f32_e32 v109, v93, v155
	s_waitcnt vmcnt(58)
	v_fmac_f32_e32 v101, v78, v156
	s_waitcnt vmcnt(57)
	v_fmac_f32_e32 v102, v80, v157
	v_add_f32_e32 v101, 0, v101
	s_waitcnt vmcnt(56)
	v_fmac_f32_e32 v103, v82, v158
	v_add_f32_e32 v101, v101, v102
	;; [unrolled: 3-line block ×8, first 2 shown]
	s_waitcnt vmcnt(49)
	v_mul_f32_e32 v102, v95, v165
	v_add_f32_e32 v101, v101, v109
	s_waitcnt vmcnt(48)
	v_fmac_f32_e32 v102, v96, v166
	v_add_f32_e32 v101, v101, v102
	s_waitcnt vmcnt(47) lgkmcnt(0)
	v_mul_f32_e32 v102, v97, v167
	s_waitcnt vmcnt(46)
	v_fmac_f32_e32 v102, v98, v168
	v_add_f32_e32 v101, v101, v102
	s_waitcnt vmcnt(42)
	v_mul_f32_e32 v102, v99, v172
	v_fmac_f32_e32 v102, v100, v171
	v_add_f32_e32 v109, v101, v102
	ds_read2_b64 v[101:104], v76 offset0:51 offset1:52
	buffer_load_dword v215, off, s[0:3], 0 offset:276
	buffer_load_dword v216, off, s[0:3], 0 offset:272
	buffer_load_dword v217, off, s[0:3], 0 offset:280
	buffer_load_dword v218, off, s[0:3], 0 offset:284
	ds_read2_b64 v[105:108], v76 offset0:53 offset1:54
	buffer_load_dword v219, off, s[0:3], 0 offset:288
	buffer_load_dword v220, off, s[0:3], 0 offset:292
	v_mul_f32_e32 v0, v78, v0
	v_fma_f32 v0, v77, v156, -v0
	v_mul_f32_e32 v75, v80, v75
	v_add_f32_e32 v0, 0, v0
	v_fma_f32 v75, v79, v157, -v75
	v_add_f32_e32 v0, v0, v75
	v_mul_f32_e32 v75, v82, v149
	v_fma_f32 v75, v81, v158, -v75
	v_add_f32_e32 v0, v0, v75
	v_mul_f32_e32 v75, v84, v150
	;; [unrolled: 3-line block ×3, first 2 shown]
	s_waitcnt vmcnt(46) lgkmcnt(1)
	v_mul_f32_e32 v110, v101, v174
	v_fma_f32 v75, v85, v160, -v75
	v_fmac_f32_e32 v110, v102, v173
	v_add_f32_e32 v0, v0, v75
	v_mul_f32_e32 v75, v88, v152
	v_add_f32_e32 v109, v109, v110
	s_waitcnt vmcnt(44)
	v_mul_f32_e32 v110, v103, v176
	v_fma_f32 v75, v87, v161, -v75
	v_fmac_f32_e32 v110, v104, v175
	v_add_f32_e32 v0, v0, v75
	v_mul_f32_e32 v75, v90, v153
	v_add_f32_e32 v109, v109, v110
	s_waitcnt vmcnt(42) lgkmcnt(0)
	v_mul_f32_e32 v110, v105, v178
	v_fma_f32 v75, v89, v162, -v75
	v_fmac_f32_e32 v110, v106, v177
	v_add_f32_e32 v0, v0, v75
	v_mul_f32_e32 v75, v92, v154
	v_add_f32_e32 v113, v109, v110
	ds_read2_b64 v[109:112], v76 offset0:55 offset1:56
	v_fma_f32 v75, v91, v163, -v75
	v_add_f32_e32 v0, v0, v75
	v_mul_f32_e32 v75, v94, v155
	s_waitcnt vmcnt(40)
	v_mul_f32_e32 v114, v107, v180
	v_fma_f32 v75, v93, v164, -v75
	v_fmac_f32_e32 v114, v108, v179
	v_add_f32_e32 v0, v0, v75
	v_mul_f32_e32 v75, v96, v165
	v_add_f32_e32 v117, v113, v114
	ds_read2_b64 v[113:116], v76 offset0:57 offset1:58
	v_fma_f32 v75, v95, v166, -v75
	s_waitcnt vmcnt(38) lgkmcnt(1)
	v_mul_f32_e32 v118, v109, v182
	v_add_f32_e32 v0, v0, v75
	v_mul_f32_e32 v75, v98, v167
	v_fmac_f32_e32 v118, v110, v181
	v_fma_f32 v75, v97, v168, -v75
	v_add_f32_e32 v117, v117, v118
	s_waitcnt vmcnt(36)
	v_mul_f32_e32 v118, v111, v184
	v_add_f32_e32 v0, v0, v75
	v_mul_f32_e32 v75, v100, v172
	v_fmac_f32_e32 v118, v112, v183
	v_fma_f32 v75, v99, v171, -v75
	v_add_f32_e32 v117, v117, v118
	s_waitcnt vmcnt(34) lgkmcnt(0)
	v_mul_f32_e32 v118, v113, v186
	v_add_f32_e32 v0, v0, v75
	v_mul_f32_e32 v75, v102, v174
	v_fmac_f32_e32 v118, v114, v185
	v_fma_f32 v75, v101, v173, -v75
	v_add_f32_e32 v121, v117, v118
	ds_read2_b64 v[117:120], v76 offset0:59 offset1:60
	v_add_f32_e32 v0, v0, v75
	v_mul_f32_e32 v75, v104, v176
	v_fma_f32 v75, v103, v175, -v75
	s_waitcnt vmcnt(32)
	v_mul_f32_e32 v122, v115, v188
	v_add_f32_e32 v0, v0, v75
	v_mul_f32_e32 v75, v106, v178
	v_fmac_f32_e32 v122, v116, v187
	v_fma_f32 v75, v105, v177, -v75
	v_add_f32_e32 v125, v121, v122
	ds_read2_b64 v[121:124], v76 offset0:61 offset1:62
	v_add_f32_e32 v0, v0, v75
	v_mul_f32_e32 v75, v108, v180
	s_waitcnt vmcnt(30) lgkmcnt(1)
	v_mul_f32_e32 v126, v117, v190
	v_fma_f32 v75, v107, v179, -v75
	v_fmac_f32_e32 v126, v118, v189
	v_add_f32_e32 v0, v0, v75
	v_mul_f32_e32 v75, v110, v182
	v_add_f32_e32 v125, v125, v126
	s_waitcnt vmcnt(28)
	v_mul_f32_e32 v126, v119, v192
	v_fma_f32 v75, v109, v181, -v75
	v_fmac_f32_e32 v126, v120, v191
	v_add_f32_e32 v0, v0, v75
	v_mul_f32_e32 v75, v112, v184
	v_add_f32_e32 v125, v125, v126
	s_waitcnt vmcnt(26) lgkmcnt(0)
	v_mul_f32_e32 v126, v121, v194
	v_fma_f32 v75, v111, v183, -v75
	v_fmac_f32_e32 v126, v122, v193
	v_add_f32_e32 v0, v0, v75
	v_mul_f32_e32 v75, v114, v186
	v_add_f32_e32 v129, v125, v126
	ds_read2_b64 v[125:128], v76 offset0:63 offset1:64
	v_fma_f32 v75, v113, v185, -v75
	v_add_f32_e32 v0, v0, v75
	v_mul_f32_e32 v75, v116, v188
	s_waitcnt vmcnt(24)
	v_mul_f32_e32 v130, v123, v196
	v_fma_f32 v75, v115, v187, -v75
	v_fmac_f32_e32 v130, v124, v195
	v_add_f32_e32 v0, v0, v75
	v_mul_f32_e32 v75, v118, v190
	v_add_f32_e32 v133, v129, v130
	ds_read2_b64 v[129:132], v76 offset0:65 offset1:66
	v_fma_f32 v75, v117, v189, -v75
	s_waitcnt vmcnt(22) lgkmcnt(1)
	v_mul_f32_e32 v134, v125, v198
	v_add_f32_e32 v0, v0, v75
	v_mul_f32_e32 v75, v120, v192
	v_fmac_f32_e32 v134, v126, v197
	v_fma_f32 v75, v119, v191, -v75
	v_add_f32_e32 v133, v133, v134
	s_waitcnt vmcnt(20)
	v_mul_f32_e32 v134, v127, v200
	v_add_f32_e32 v0, v0, v75
	v_mul_f32_e32 v75, v122, v194
	v_fmac_f32_e32 v134, v128, v199
	v_fma_f32 v75, v121, v193, -v75
	v_add_f32_e32 v133, v133, v134
	s_waitcnt vmcnt(18) lgkmcnt(0)
	v_mul_f32_e32 v134, v129, v202
	v_add_f32_e32 v0, v0, v75
	v_mul_f32_e32 v75, v124, v196
	v_fmac_f32_e32 v134, v130, v201
	v_fma_f32 v75, v123, v195, -v75
	v_add_f32_e32 v137, v133, v134
	ds_read2_b64 v[133:136], v76 offset0:67 offset1:68
	v_add_f32_e32 v0, v0, v75
	v_mul_f32_e32 v75, v126, v198
	v_fma_f32 v75, v125, v197, -v75
	s_waitcnt vmcnt(16)
	v_mul_f32_e32 v138, v131, v204
	v_add_f32_e32 v0, v0, v75
	v_mul_f32_e32 v75, v128, v200
	v_fmac_f32_e32 v138, v132, v203
	v_fma_f32 v75, v127, v199, -v75
	v_add_f32_e32 v141, v137, v138
	ds_read2_b64 v[137:140], v76 offset0:69 offset1:70
	v_add_f32_e32 v0, v0, v75
	v_mul_f32_e32 v75, v130, v202
	s_waitcnt vmcnt(14) lgkmcnt(1)
	v_mul_f32_e32 v142, v133, v206
	v_fma_f32 v75, v129, v201, -v75
	v_fmac_f32_e32 v142, v134, v205
	v_add_f32_e32 v0, v0, v75
	v_mul_f32_e32 v75, v132, v204
	v_add_f32_e32 v141, v141, v142
	s_waitcnt vmcnt(13)
	v_mul_f32_e32 v142, v135, v207
	v_fma_f32 v75, v131, v203, -v75
	s_waitcnt vmcnt(12)
	v_fmac_f32_e32 v142, v136, v208
	v_add_f32_e32 v0, v0, v75
	v_mul_f32_e32 v75, v134, v206
	v_add_f32_e32 v141, v141, v142
	s_waitcnt vmcnt(10) lgkmcnt(0)
	v_mul_f32_e32 v142, v137, v210
	v_fma_f32 v75, v133, v205, -v75
	v_fmac_f32_e32 v142, v138, v209
	v_add_f32_e32 v0, v0, v75
	v_mul_f32_e32 v75, v136, v207
	v_add_f32_e32 v145, v141, v142
	ds_read2_b64 v[141:144], v76 offset0:71 offset1:72
	v_fma_f32 v75, v135, v208, -v75
	v_add_f32_e32 v0, v0, v75
	v_mul_f32_e32 v75, v138, v210
	s_waitcnt vmcnt(8)
	v_mul_f32_e32 v146, v139, v212
	v_fma_f32 v75, v137, v209, -v75
	v_fmac_f32_e32 v146, v140, v211
	v_add_f32_e32 v0, v0, v75
	v_mul_f32_e32 v75, v140, v212
	v_add_f32_e32 v221, v145, v146
	ds_read2_b64 v[145:148], v76 offset0:73 offset1:74
	v_fma_f32 v75, v139, v211, -v75
	v_add_f32_e32 v0, v0, v75
	s_waitcnt vmcnt(6) lgkmcnt(1)
	v_mul_f32_e32 v75, v142, v214
	v_mul_f32_e32 v76, v141, v214
	v_fma_f32 v75, v141, v213, -v75
	v_fmac_f32_e32 v76, v142, v213
	v_add_f32_e32 v0, v0, v75
	s_waitcnt vmcnt(5)
	v_mul_f32_e32 v75, v144, v215
	v_add_f32_e32 v76, v221, v76
	v_mul_f32_e32 v221, v143, v215
	s_waitcnt vmcnt(4)
	v_fma_f32 v75, v143, v216, -v75
	v_fmac_f32_e32 v221, v144, v216
	v_add_f32_e32 v0, v0, v75
	s_waitcnt vmcnt(2) lgkmcnt(0)
	v_mul_f32_e32 v75, v146, v218
	v_add_f32_e32 v76, v76, v221
	v_mul_f32_e32 v221, v145, v218
	v_fma_f32 v75, v145, v217, -v75
	v_fmac_f32_e32 v221, v146, v217
	v_add_f32_e32 v0, v0, v75
	s_waitcnt vmcnt(0)
	v_mul_f32_e32 v75, v148, v220
	v_add_f32_e32 v76, v76, v221
	v_mul_f32_e32 v221, v147, v220
	v_fma_f32 v75, v147, v219, -v75
	v_fmac_f32_e32 v221, v148, v219
	v_add_f32_e32 v0, v0, v75
	v_add_f32_e32 v76, v76, v221
	v_sub_f32_e32 v0, v169, v0
	v_sub_f32_e32 v75, v170, v76
	buffer_store_dword v0, off, s[0:3], 0
	buffer_store_dword v75, off, s[0:3], 0 offset:4
	s_cbranch_vccz .LBB100_308
; %bb.236:
	v_mov_b32_e32 v0, 0
	global_load_dword v75, v0, s[12:13] offset:140
	s_waitcnt vmcnt(0)
	v_add_u32_e32 v75, -1, v75
	v_cmp_ne_u32_e32 vcc, 35, v75
	s_cbranch_vccz .LBB100_238
; %bb.237:
	v_lshlrev_b32_e32 v75, 3, v75
	buffer_load_dword v76, v75, s[0:3], 0 offen
	buffer_load_dword v77, v75, s[0:3], 0 offen offset:4
	buffer_load_dword v78, off, s[0:3], 0 offset:280
	buffer_load_dword v79, off, s[0:3], 0 offset:284
	s_waitcnt vmcnt(3)
	buffer_store_dword v76, off, s[0:3], 0 offset:280
	s_waitcnt vmcnt(3)
	buffer_store_dword v77, off, s[0:3], 0 offset:284
	s_waitcnt vmcnt(3)
	buffer_store_dword v78, v75, s[0:3], 0 offen
	s_waitcnt vmcnt(3)
	buffer_store_dword v79, v75, s[0:3], 0 offen offset:4
.LBB100_238:
	global_load_dword v0, v0, s[12:13] offset:136
	s_waitcnt vmcnt(0)
	v_add_u32_e32 v0, -1, v0
	v_cmp_eq_u32_e32 vcc, 34, v0
	s_cbranch_vccnz .LBB100_240
; %bb.239:
	v_lshlrev_b32_e32 v0, 3, v0
	buffer_load_dword v75, v0, s[0:3], 0 offen
	buffer_load_dword v76, v0, s[0:3], 0 offen offset:4
	buffer_load_dword v77, off, s[0:3], 0 offset:276
	buffer_load_dword v78, off, s[0:3], 0 offset:272
	s_waitcnt vmcnt(3)
	buffer_store_dword v75, off, s[0:3], 0 offset:272
	s_waitcnt vmcnt(3)
	buffer_store_dword v76, off, s[0:3], 0 offset:276
	s_waitcnt vmcnt(3)
	buffer_store_dword v77, v0, s[0:3], 0 offen offset:4
	s_waitcnt vmcnt(3)
	buffer_store_dword v78, v0, s[0:3], 0 offen
.LBB100_240:
	v_mov_b32_e32 v0, 0
	global_load_dword v75, v0, s[12:13] offset:132
	s_waitcnt vmcnt(0)
	v_add_u32_e32 v75, -1, v75
	v_cmp_eq_u32_e32 vcc, 33, v75
	s_cbranch_vccnz .LBB100_242
; %bb.241:
	v_lshlrev_b32_e32 v75, 3, v75
	buffer_load_dword v76, v75, s[0:3], 0 offen
	buffer_load_dword v77, v75, s[0:3], 0 offen offset:4
	buffer_load_dword v78, off, s[0:3], 0 offset:264
	buffer_load_dword v79, off, s[0:3], 0 offset:268
	s_waitcnt vmcnt(3)
	buffer_store_dword v76, off, s[0:3], 0 offset:264
	s_waitcnt vmcnt(3)
	buffer_store_dword v77, off, s[0:3], 0 offset:268
	s_waitcnt vmcnt(3)
	buffer_store_dword v78, v75, s[0:3], 0 offen
	s_waitcnt vmcnt(3)
	buffer_store_dword v79, v75, s[0:3], 0 offen offset:4
.LBB100_242:
	global_load_dword v0, v0, s[12:13] offset:128
	s_waitcnt vmcnt(0)
	v_add_u32_e32 v0, -1, v0
	v_cmp_eq_u32_e32 vcc, 32, v0
	s_cbranch_vccnz .LBB100_244
; %bb.243:
	v_lshlrev_b32_e32 v0, 3, v0
	buffer_load_dword v75, v0, s[0:3], 0 offen
	buffer_load_dword v76, v0, s[0:3], 0 offen offset:4
	buffer_load_dword v77, off, s[0:3], 0 offset:260
	buffer_load_dword v78, off, s[0:3], 0 offset:256
	s_waitcnt vmcnt(3)
	buffer_store_dword v75, off, s[0:3], 0 offset:256
	s_waitcnt vmcnt(3)
	buffer_store_dword v76, off, s[0:3], 0 offset:260
	s_waitcnt vmcnt(3)
	buffer_store_dword v77, v0, s[0:3], 0 offen offset:4
	s_waitcnt vmcnt(3)
	buffer_store_dword v78, v0, s[0:3], 0 offen
.LBB100_244:
	v_mov_b32_e32 v0, 0
	global_load_dword v75, v0, s[12:13] offset:124
	s_waitcnt vmcnt(0)
	v_add_u32_e32 v75, -1, v75
	v_cmp_eq_u32_e32 vcc, 31, v75
	s_cbranch_vccnz .LBB100_246
; %bb.245:
	v_lshlrev_b32_e32 v75, 3, v75
	buffer_load_dword v76, v75, s[0:3], 0 offen
	buffer_load_dword v77, v75, s[0:3], 0 offen offset:4
	buffer_load_dword v78, off, s[0:3], 0 offset:248
	buffer_load_dword v79, off, s[0:3], 0 offset:252
	s_waitcnt vmcnt(3)
	buffer_store_dword v76, off, s[0:3], 0 offset:248
	s_waitcnt vmcnt(3)
	buffer_store_dword v77, off, s[0:3], 0 offset:252
	s_waitcnt vmcnt(3)
	buffer_store_dword v78, v75, s[0:3], 0 offen
	s_waitcnt vmcnt(3)
	buffer_store_dword v79, v75, s[0:3], 0 offen offset:4
.LBB100_246:
	;; [unrolled: 41-line block ×17, first 2 shown]
	global_load_dword v0, v0, s[12:13]
	s_waitcnt vmcnt(0)
	v_add_u32_e32 v0, -1, v0
	v_cmp_eq_u32_e32 vcc, 0, v0
	s_cbranch_vccnz .LBB100_308
; %bb.307:
	v_lshlrev_b32_e32 v0, 3, v0
	buffer_load_dword v75, v0, s[0:3], 0 offen
	buffer_load_dword v76, v0, s[0:3], 0 offen offset:4
	buffer_load_dword v77, off, s[0:3], 0 offset:4
	buffer_load_dword v78, off, s[0:3], 0
	s_waitcnt vmcnt(3)
	buffer_store_dword v75, off, s[0:3], 0
	s_waitcnt vmcnt(3)
	buffer_store_dword v76, off, s[0:3], 0 offset:4
	s_waitcnt vmcnt(3)
	buffer_store_dword v77, v0, s[0:3], 0 offen offset:4
	s_waitcnt vmcnt(3)
	buffer_store_dword v78, v0, s[0:3], 0 offen
.LBB100_308:
	buffer_load_dword v75, off, s[0:3], 0
	buffer_load_dword v76, off, s[0:3], 0 offset:4
	s_waitcnt vmcnt(0)
	flat_store_dwordx2 v[1:2], v[75:76]
	buffer_load_dword v0, off, s[0:3], 0 offset:8
	s_nop 0
	buffer_load_dword v1, off, s[0:3], 0 offset:12
	s_waitcnt vmcnt(0)
	flat_store_dwordx2 v[3:4], v[0:1]
	buffer_load_dword v0, off, s[0:3], 0 offset:16
	s_nop 0
	;; [unrolled: 5-line block ×36, first 2 shown]
	buffer_load_dword v1, off, s[0:3], 0 offset:292
	s_waitcnt vmcnt(0)
	flat_store_dwordx2 v[73:74], v[0:1]
	s_endpgm
	.section	.rodata,"a",@progbits
	.p2align	6, 0x0
	.amdhsa_kernel _ZN9rocsolver6v33100L18getri_kernel_smallILi37E19rocblas_complex_numIfEPKPS3_EEvT1_iilPiilS8_bb
		.amdhsa_group_segment_fixed_size 600
		.amdhsa_private_segment_fixed_size 304
		.amdhsa_kernarg_size 60
		.amdhsa_user_sgpr_count 6
		.amdhsa_user_sgpr_private_segment_buffer 1
		.amdhsa_user_sgpr_dispatch_ptr 0
		.amdhsa_user_sgpr_queue_ptr 0
		.amdhsa_user_sgpr_kernarg_segment_ptr 1
		.amdhsa_user_sgpr_dispatch_id 0
		.amdhsa_user_sgpr_flat_scratch_init 0
		.amdhsa_user_sgpr_private_segment_size 0
		.amdhsa_uses_dynamic_stack 0
		.amdhsa_system_sgpr_private_segment_wavefront_offset 1
		.amdhsa_system_sgpr_workgroup_id_x 1
		.amdhsa_system_sgpr_workgroup_id_y 0
		.amdhsa_system_sgpr_workgroup_id_z 0
		.amdhsa_system_sgpr_workgroup_info 0
		.amdhsa_system_vgpr_workitem_id 0
		.amdhsa_next_free_vgpr 222
		.amdhsa_next_free_sgpr 21
		.amdhsa_reserve_vcc 1
		.amdhsa_reserve_flat_scratch 0
		.amdhsa_float_round_mode_32 0
		.amdhsa_float_round_mode_16_64 0
		.amdhsa_float_denorm_mode_32 3
		.amdhsa_float_denorm_mode_16_64 3
		.amdhsa_dx10_clamp 1
		.amdhsa_ieee_mode 1
		.amdhsa_fp16_overflow 0
		.amdhsa_exception_fp_ieee_invalid_op 0
		.amdhsa_exception_fp_denorm_src 0
		.amdhsa_exception_fp_ieee_div_zero 0
		.amdhsa_exception_fp_ieee_overflow 0
		.amdhsa_exception_fp_ieee_underflow 0
		.amdhsa_exception_fp_ieee_inexact 0
		.amdhsa_exception_int_div_zero 0
	.end_amdhsa_kernel
	.section	.text._ZN9rocsolver6v33100L18getri_kernel_smallILi37E19rocblas_complex_numIfEPKPS3_EEvT1_iilPiilS8_bb,"axG",@progbits,_ZN9rocsolver6v33100L18getri_kernel_smallILi37E19rocblas_complex_numIfEPKPS3_EEvT1_iilPiilS8_bb,comdat
.Lfunc_end100:
	.size	_ZN9rocsolver6v33100L18getri_kernel_smallILi37E19rocblas_complex_numIfEPKPS3_EEvT1_iilPiilS8_bb, .Lfunc_end100-_ZN9rocsolver6v33100L18getri_kernel_smallILi37E19rocblas_complex_numIfEPKPS3_EEvT1_iilPiilS8_bb
                                        ; -- End function
	.set _ZN9rocsolver6v33100L18getri_kernel_smallILi37E19rocblas_complex_numIfEPKPS3_EEvT1_iilPiilS8_bb.num_vgpr, 222
	.set _ZN9rocsolver6v33100L18getri_kernel_smallILi37E19rocblas_complex_numIfEPKPS3_EEvT1_iilPiilS8_bb.num_agpr, 0
	.set _ZN9rocsolver6v33100L18getri_kernel_smallILi37E19rocblas_complex_numIfEPKPS3_EEvT1_iilPiilS8_bb.numbered_sgpr, 21
	.set _ZN9rocsolver6v33100L18getri_kernel_smallILi37E19rocblas_complex_numIfEPKPS3_EEvT1_iilPiilS8_bb.num_named_barrier, 0
	.set _ZN9rocsolver6v33100L18getri_kernel_smallILi37E19rocblas_complex_numIfEPKPS3_EEvT1_iilPiilS8_bb.private_seg_size, 304
	.set _ZN9rocsolver6v33100L18getri_kernel_smallILi37E19rocblas_complex_numIfEPKPS3_EEvT1_iilPiilS8_bb.uses_vcc, 1
	.set _ZN9rocsolver6v33100L18getri_kernel_smallILi37E19rocblas_complex_numIfEPKPS3_EEvT1_iilPiilS8_bb.uses_flat_scratch, 0
	.set _ZN9rocsolver6v33100L18getri_kernel_smallILi37E19rocblas_complex_numIfEPKPS3_EEvT1_iilPiilS8_bb.has_dyn_sized_stack, 0
	.set _ZN9rocsolver6v33100L18getri_kernel_smallILi37E19rocblas_complex_numIfEPKPS3_EEvT1_iilPiilS8_bb.has_recursion, 0
	.set _ZN9rocsolver6v33100L18getri_kernel_smallILi37E19rocblas_complex_numIfEPKPS3_EEvT1_iilPiilS8_bb.has_indirect_call, 0
	.section	.AMDGPU.csdata,"",@progbits
; Kernel info:
; codeLenInByte = 56452
; TotalNumSgprs: 25
; NumVgprs: 222
; ScratchSize: 304
; MemoryBound: 0
; FloatMode: 240
; IeeeMode: 1
; LDSByteSize: 600 bytes/workgroup (compile time only)
; SGPRBlocks: 3
; VGPRBlocks: 55
; NumSGPRsForWavesPerEU: 25
; NumVGPRsForWavesPerEU: 222
; Occupancy: 1
; WaveLimiterHint : 1
; COMPUTE_PGM_RSRC2:SCRATCH_EN: 1
; COMPUTE_PGM_RSRC2:USER_SGPR: 6
; COMPUTE_PGM_RSRC2:TRAP_HANDLER: 0
; COMPUTE_PGM_RSRC2:TGID_X_EN: 1
; COMPUTE_PGM_RSRC2:TGID_Y_EN: 0
; COMPUTE_PGM_RSRC2:TGID_Z_EN: 0
; COMPUTE_PGM_RSRC2:TIDIG_COMP_CNT: 0
	.section	.text._ZN9rocsolver6v33100L18getri_kernel_smallILi38E19rocblas_complex_numIfEPKPS3_EEvT1_iilPiilS8_bb,"axG",@progbits,_ZN9rocsolver6v33100L18getri_kernel_smallILi38E19rocblas_complex_numIfEPKPS3_EEvT1_iilPiilS8_bb,comdat
	.globl	_ZN9rocsolver6v33100L18getri_kernel_smallILi38E19rocblas_complex_numIfEPKPS3_EEvT1_iilPiilS8_bb ; -- Begin function _ZN9rocsolver6v33100L18getri_kernel_smallILi38E19rocblas_complex_numIfEPKPS3_EEvT1_iilPiilS8_bb
	.p2align	8
	.type	_ZN9rocsolver6v33100L18getri_kernel_smallILi38E19rocblas_complex_numIfEPKPS3_EEvT1_iilPiilS8_bb,@function
_ZN9rocsolver6v33100L18getri_kernel_smallILi38E19rocblas_complex_numIfEPKPS3_EEvT1_iilPiilS8_bb: ; @_ZN9rocsolver6v33100L18getri_kernel_smallILi38E19rocblas_complex_numIfEPKPS3_EEvT1_iilPiilS8_bb
; %bb.0:
	s_add_u32 s0, s0, s7
	s_addc_u32 s1, s1, 0
	v_cmp_gt_u32_e32 vcc, 38, v0
	s_and_saveexec_b64 s[8:9], vcc
	s_cbranch_execz .LBB101_166
; %bb.1:
	s_load_dword s18, s[4:5], 0x38
	s_load_dwordx2 s[12:13], s[4:5], 0x0
	s_load_dwordx4 s[8:11], s[4:5], 0x28
	s_waitcnt lgkmcnt(0)
	s_bitcmp1_b32 s18, 8
	s_cselect_b64 s[14:15], -1, 0
	s_ashr_i32 s7, s6, 31
	s_lshl_b64 s[16:17], s[6:7], 3
	s_add_u32 s12, s12, s16
	s_addc_u32 s13, s13, s17
	s_load_dwordx2 s[16:17], s[12:13], 0x0
	s_bfe_u32 s12, s18, 0x10008
	s_cmp_eq_u32 s12, 0
                                        ; implicit-def: $sgpr12_sgpr13
	s_cbranch_scc1 .LBB101_3
; %bb.2:
	s_load_dword s12, s[4:5], 0x20
	s_load_dwordx2 s[18:19], s[4:5], 0x18
	s_mul_i32 s13, s8, s7
	s_mul_hi_u32 s20, s8, s6
	s_add_i32 s20, s20, s13
	s_mul_i32 s9, s9, s6
	s_add_i32 s9, s20, s9
	s_mul_i32 s8, s8, s6
	s_waitcnt lgkmcnt(0)
	s_ashr_i32 s13, s12, 31
	s_lshl_b64 s[8:9], s[8:9], 2
	s_add_u32 s18, s18, s8
	s_addc_u32 s19, s19, s9
	s_lshl_b64 s[8:9], s[12:13], 2
	s_add_u32 s12, s18, s8
	s_addc_u32 s13, s19, s9
.LBB101_3:
	s_load_dwordx2 s[8:9], s[4:5], 0x8
	s_load_dword s18, s[4:5], 0x38
	v_lshlrev_b32_e32 v79, 3, v0
	s_waitcnt lgkmcnt(0)
	s_ashr_i32 s5, s8, 31
	s_mov_b32 s4, s8
	s_lshl_b64 s[4:5], s[4:5], 3
	s_add_u32 s4, s16, s4
	s_addc_u32 s5, s17, s5
	v_mov_b32_e32 v2, s5
	v_add_co_u32_e32 v1, vcc, s4, v79
	v_addc_co_u32_e32 v2, vcc, 0, v2, vcc
	flat_load_dwordx2 v[5:6], v[1:2]
	s_mov_b32 s16, s9
	s_ashr_i32 s17, s9, 31
	s_lshl_b64 s[16:17], s[16:17], 3
	v_mov_b32_e32 v4, s17
	v_add_co_u32_e32 v3, vcc, s16, v1
	v_addc_co_u32_e32 v4, vcc, v2, v4, vcc
	s_add_i32 s8, s9, s9
	v_add_u32_e32 v9, s8, v0
	v_ashrrev_i32_e32 v10, 31, v9
	v_mov_b32_e32 v11, s5
	v_add_u32_e32 v12, s9, v9
	v_ashrrev_i32_e32 v13, 31, v12
	v_mov_b32_e32 v14, s5
	v_mov_b32_e32 v15, s5
	;; [unrolled: 1-line block ×34, first 2 shown]
	s_bitcmp0_b32 s18, 0
	s_waitcnt vmcnt(0) lgkmcnt(0)
	buffer_store_dword v6, off, s[0:3], 0 offset:4
	buffer_store_dword v5, off, s[0:3], 0
	flat_load_dwordx2 v[7:8], v[3:4]
	v_lshlrev_b64 v[5:6], 3, v[9:10]
	s_waitcnt vmcnt(0) lgkmcnt(0)
	buffer_store_dword v8, off, s[0:3], 0 offset:12
	buffer_store_dword v7, off, s[0:3], 0 offset:8
	v_add_co_u32_e32 v5, vcc, s4, v5
	v_addc_co_u32_e32 v6, vcc, v11, v6, vcc
	flat_load_dwordx2 v[10:11], v[5:6]
	v_lshlrev_b64 v[7:8], 3, v[12:13]
	s_waitcnt vmcnt(0) lgkmcnt(0)
	buffer_store_dword v11, off, s[0:3], 0 offset:20
	buffer_store_dword v10, off, s[0:3], 0 offset:16
	v_add_co_u32_e32 v7, vcc, s4, v7
	v_addc_co_u32_e32 v8, vcc, v14, v8, vcc
	flat_load_dwordx2 v[13:14], v[7:8]
	v_add_u32_e32 v11, s9, v12
	v_ashrrev_i32_e32 v12, 31, v11
	v_lshlrev_b64 v[9:10], 3, v[11:12]
	s_waitcnt vmcnt(0) lgkmcnt(0)
	buffer_store_dword v14, off, s[0:3], 0 offset:28
	buffer_store_dword v13, off, s[0:3], 0 offset:24
	v_add_co_u32_e32 v9, vcc, s4, v9
	v_addc_co_u32_e32 v10, vcc, v15, v10, vcc
	flat_load_dwordx2 v[13:14], v[9:10]
	v_add_u32_e32 v15, s9, v11
	v_ashrrev_i32_e32 v16, 31, v15
	v_lshlrev_b64 v[11:12], 3, v[15:16]
	v_add_u32_e32 v18, s9, v15
	v_add_co_u32_e32 v11, vcc, s4, v11
	v_addc_co_u32_e32 v12, vcc, v17, v12, vcc
	v_ashrrev_i32_e32 v19, 31, v18
	s_waitcnt vmcnt(0) lgkmcnt(0)
	buffer_store_dword v14, off, s[0:3], 0 offset:36
	buffer_store_dword v13, off, s[0:3], 0 offset:32
	flat_load_dwordx2 v[16:17], v[11:12]
	v_lshlrev_b64 v[13:14], 3, v[18:19]
	s_waitcnt vmcnt(0) lgkmcnt(0)
	buffer_store_dword v17, off, s[0:3], 0 offset:44
	buffer_store_dword v16, off, s[0:3], 0 offset:40
	v_add_co_u32_e32 v13, vcc, s4, v13
	v_addc_co_u32_e32 v14, vcc, v20, v14, vcc
	flat_load_dwordx2 v[19:20], v[13:14]
	v_add_u32_e32 v17, s9, v18
	v_ashrrev_i32_e32 v18, 31, v17
	v_lshlrev_b64 v[15:16], 3, v[17:18]
	s_waitcnt vmcnt(0) lgkmcnt(0)
	buffer_store_dword v20, off, s[0:3], 0 offset:52
	buffer_store_dword v19, off, s[0:3], 0 offset:48
	v_add_co_u32_e32 v15, vcc, s4, v15
	v_addc_co_u32_e32 v16, vcc, v21, v16, vcc
	flat_load_dwordx2 v[19:20], v[15:16]
	v_add_u32_e32 v21, s9, v17
	v_ashrrev_i32_e32 v22, 31, v21
	v_lshlrev_b64 v[17:18], 3, v[21:22]
	v_add_u32_e32 v24, s9, v21
	v_add_co_u32_e32 v17, vcc, s4, v17
	v_addc_co_u32_e32 v18, vcc, v23, v18, vcc
	v_ashrrev_i32_e32 v25, 31, v24
	s_waitcnt vmcnt(0) lgkmcnt(0)
	buffer_store_dword v20, off, s[0:3], 0 offset:60
	buffer_store_dword v19, off, s[0:3], 0 offset:56
	;; [unrolled: 27-line block ×7, first 2 shown]
	flat_load_dwordx2 v[52:53], v[47:48]
	v_lshlrev_b64 v[49:50], 3, v[54:55]
	s_waitcnt vmcnt(0) lgkmcnt(0)
	buffer_store_dword v53, off, s[0:3], 0 offset:188
	buffer_store_dword v52, off, s[0:3], 0 offset:184
	v_add_co_u32_e32 v49, vcc, s4, v49
	v_addc_co_u32_e32 v50, vcc, v56, v50, vcc
	flat_load_dwordx2 v[55:56], v[49:50]
	v_add_u32_e32 v53, s9, v54
	v_ashrrev_i32_e32 v54, 31, v53
	v_lshlrev_b64 v[51:52], 3, v[53:54]
	s_waitcnt vmcnt(0) lgkmcnt(0)
	buffer_store_dword v56, off, s[0:3], 0 offset:196
	buffer_store_dword v55, off, s[0:3], 0 offset:192
	v_add_co_u32_e32 v51, vcc, s4, v51
	v_addc_co_u32_e32 v52, vcc, v57, v52, vcc
	flat_load_dwordx2 v[55:56], v[51:52]
	v_add_u32_e32 v57, s9, v53
	v_ashrrev_i32_e32 v58, 31, v57
	v_lshlrev_b64 v[53:54], 3, v[57:58]
	v_add_u32_e32 v60, s9, v57
	v_add_co_u32_e32 v53, vcc, s4, v53
	v_addc_co_u32_e32 v54, vcc, v59, v54, vcc
	s_waitcnt vmcnt(0) lgkmcnt(0)
	buffer_store_dword v56, off, s[0:3], 0 offset:204
	buffer_store_dword v55, off, s[0:3], 0 offset:200
	flat_load_dwordx2 v[58:59], v[53:54]
	v_ashrrev_i32_e32 v61, 31, v60
	v_lshlrev_b64 v[55:56], 3, v[60:61]
	s_waitcnt vmcnt(0) lgkmcnt(0)
	buffer_store_dword v59, off, s[0:3], 0 offset:212
	buffer_store_dword v58, off, s[0:3], 0 offset:208
	v_add_co_u32_e32 v55, vcc, s4, v55
	v_addc_co_u32_e32 v56, vcc, v62, v56, vcc
	flat_load_dwordx2 v[61:62], v[55:56]
	v_add_u32_e32 v59, s9, v60
	v_ashrrev_i32_e32 v60, 31, v59
	v_lshlrev_b64 v[57:58], 3, v[59:60]
	s_waitcnt vmcnt(0) lgkmcnt(0)
	buffer_store_dword v62, off, s[0:3], 0 offset:220
	buffer_store_dword v61, off, s[0:3], 0 offset:216
	v_add_co_u32_e32 v57, vcc, s4, v57
	v_addc_co_u32_e32 v58, vcc, v63, v58, vcc
	flat_load_dwordx2 v[61:62], v[57:58]
	v_add_u32_e32 v63, s9, v59
	;; [unrolled: 9-line block ×10, first 2 shown]
	v_ashrrev_i32_e32 v76, 31, v75
	v_lshlrev_b64 v[75:76], 3, v[75:76]
	v_mov_b32_e32 v81, s5
	v_add_co_u32_e32 v75, vcc, s4, v75
	v_addc_co_u32_e32 v76, vcc, v81, v76, vcc
	s_waitcnt vmcnt(0) lgkmcnt(0)
	buffer_store_dword v78, off, s[0:3], 0 offset:292
	buffer_store_dword v77, off, s[0:3], 0 offset:288
	flat_load_dwordx2 v[77:78], v[75:76]
	s_mov_b64 s[8:9], -1
	s_waitcnt vmcnt(0) lgkmcnt(0)
	buffer_store_dword v78, off, s[0:3], 0 offset:300
	buffer_store_dword v77, off, s[0:3], 0 offset:296
	s_cbranch_scc1 .LBB101_164
; %bb.4:
	v_cmp_eq_u32_e64 s[4:5], 0, v0
	s_and_saveexec_b64 s[8:9], s[4:5]
; %bb.5:
	v_mov_b32_e32 v77, 0
	ds_write_b32 v77, v77 offset:608
; %bb.6:
	s_or_b64 exec, exec, s[8:9]
	v_mov_b32_e32 v77, 0
	v_lshl_add_u32 v81, v0, 3, v77
	s_waitcnt lgkmcnt(0)
	; wave barrier
	buffer_load_dword v77, v81, s[0:3], 0 offen
	buffer_load_dword v78, v81, s[0:3], 0 offen offset:4
	s_waitcnt vmcnt(1)
	v_cmp_eq_f32_e32 vcc, 0, v77
	s_waitcnt vmcnt(0)
	v_cmp_eq_f32_e64 s[8:9], 0, v78
	s_and_b64 s[8:9], vcc, s[8:9]
	s_and_saveexec_b64 s[16:17], s[8:9]
	s_cbranch_execz .LBB101_10
; %bb.7:
	v_mov_b32_e32 v77, 0
	ds_read_b32 v80, v77 offset:608
	v_add_u32_e32 v78, 1, v0
	s_waitcnt lgkmcnt(0)
	v_readfirstlane_b32 s8, v80
	s_cmp_eq_u32 s8, 0
	s_cselect_b64 s[18:19], -1, 0
	v_cmp_gt_i32_e32 vcc, s8, v78
	s_or_b64 s[18:19], s[18:19], vcc
	s_and_b64 exec, exec, s[18:19]
	s_cbranch_execz .LBB101_10
; %bb.8:
	s_mov_b64 s[18:19], 0
	v_mov_b32_e32 v80, s8
.LBB101_9:                              ; =>This Inner Loop Header: Depth=1
	ds_cmpst_rtn_b32 v80, v77, v80, v78 offset:608
	s_waitcnt lgkmcnt(0)
	v_cmp_ne_u32_e32 vcc, 0, v80
	v_cmp_le_i32_e64 s[8:9], v80, v78
	s_and_b64 s[8:9], vcc, s[8:9]
	s_and_b64 s[8:9], exec, s[8:9]
	s_or_b64 s[18:19], s[8:9], s[18:19]
	s_andn2_b64 exec, exec, s[18:19]
	s_cbranch_execnz .LBB101_9
.LBB101_10:
	s_or_b64 exec, exec, s[16:17]
	v_mov_b32_e32 v78, 0
	; wave barrier
	ds_read_b32 v77, v78 offset:608
	s_and_saveexec_b64 s[8:9], s[4:5]
	s_cbranch_execz .LBB101_12
; %bb.11:
	s_lshl_b64 s[16:17], s[6:7], 2
	s_add_u32 s16, s10, s16
	s_addc_u32 s17, s11, s17
	s_waitcnt lgkmcnt(0)
	global_store_dword v78, v77, s[16:17]
.LBB101_12:
	s_or_b64 exec, exec, s[8:9]
	s_waitcnt lgkmcnt(0)
	v_cmp_ne_u32_e32 vcc, 0, v77
	s_mov_b64 s[8:9], 0
	s_cbranch_vccnz .LBB101_164
; %bb.13:
	buffer_load_dword v78, v81, s[0:3], 0 offen
	buffer_load_dword v80, v81, s[0:3], 0 offen offset:4
                                        ; implicit-def: $vgpr83
                                        ; implicit-def: $vgpr82
                                        ; implicit-def: $vgpr77
	s_waitcnt vmcnt(0)
	v_cmp_ngt_f32_e64 s[8:9], |v78|, |v80|
	s_and_saveexec_b64 s[16:17], s[8:9]
	s_xor_b64 s[8:9], exec, s[16:17]
	s_cbranch_execz .LBB101_15
; %bb.14:
	v_div_scale_f32 v77, s[16:17], v80, v80, v78
	v_div_scale_f32 v82, vcc, v78, v80, v78
	v_rcp_f32_e32 v83, v77
	v_fma_f32 v84, -v77, v83, 1.0
	v_fmac_f32_e32 v83, v84, v83
	v_mul_f32_e32 v84, v82, v83
	v_fma_f32 v85, -v77, v84, v82
	v_fmac_f32_e32 v84, v85, v83
	v_fma_f32 v77, -v77, v84, v82
	v_div_fmas_f32 v77, v77, v83, v84
	v_div_fixup_f32 v77, v77, v80, v78
	v_fmac_f32_e32 v80, v78, v77
	v_div_scale_f32 v78, s[16:17], v80, v80, 1.0
	v_div_scale_f32 v82, vcc, 1.0, v80, 1.0
	v_rcp_f32_e32 v83, v78
	v_fma_f32 v84, -v78, v83, 1.0
	v_fmac_f32_e32 v83, v84, v83
	v_mul_f32_e32 v84, v82, v83
	v_fma_f32 v85, -v78, v84, v82
	v_fmac_f32_e32 v84, v85, v83
	v_fma_f32 v78, -v78, v84, v82
	v_div_fmas_f32 v78, v78, v83, v84
	v_div_fixup_f32 v78, v78, v80, 1.0
	v_mul_f32_e32 v83, v77, v78
	v_xor_b32_e32 v82, 0x80000000, v78
	v_xor_b32_e32 v77, 0x80000000, v83
                                        ; implicit-def: $vgpr78
                                        ; implicit-def: $vgpr80
.LBB101_15:
	s_andn2_saveexec_b64 s[8:9], s[8:9]
	s_cbranch_execz .LBB101_17
; %bb.16:
	v_div_scale_f32 v77, s[16:17], v78, v78, v80
	v_div_scale_f32 v82, vcc, v80, v78, v80
	v_rcp_f32_e32 v83, v77
	v_fma_f32 v84, -v77, v83, 1.0
	v_fmac_f32_e32 v83, v84, v83
	v_mul_f32_e32 v84, v82, v83
	v_fma_f32 v85, -v77, v84, v82
	v_fmac_f32_e32 v84, v85, v83
	v_fma_f32 v77, -v77, v84, v82
	v_div_fmas_f32 v77, v77, v83, v84
	v_div_fixup_f32 v82, v77, v78, v80
	v_fmac_f32_e32 v78, v80, v82
	v_div_scale_f32 v77, s[16:17], v78, v78, 1.0
	v_div_scale_f32 v80, vcc, 1.0, v78, 1.0
	v_rcp_f32_e32 v83, v77
	v_fma_f32 v84, -v77, v83, 1.0
	v_fmac_f32_e32 v83, v84, v83
	v_mul_f32_e32 v84, v80, v83
	v_fma_f32 v85, -v77, v84, v80
	v_fmac_f32_e32 v84, v85, v83
	v_fma_f32 v77, -v77, v84, v80
	v_div_fmas_f32 v77, v77, v83, v84
	v_div_fixup_f32 v83, v77, v78, 1.0
	v_xor_b32_e32 v77, 0x80000000, v83
	v_mul_f32_e64 v82, v82, -v83
.LBB101_17:
	s_or_b64 exec, exec, s[8:9]
	buffer_store_dword v83, v81, s[0:3], 0 offen
	buffer_store_dword v82, v81, s[0:3], 0 offen offset:4
	buffer_load_dword v84, off, s[0:3], 0 offset:12
	s_nop 0
	buffer_load_dword v83, off, s[0:3], 0 offset:8
	v_xor_b32_e32 v78, 0x80000000, v82
	v_add_u32_e32 v80, 0x130, v79
	s_waitcnt vmcnt(0)
	ds_write2_b64 v79, v[77:78], v[83:84] offset1:38
	s_waitcnt lgkmcnt(0)
	; wave barrier
	s_and_saveexec_b64 s[8:9], s[4:5]
	s_cbranch_execz .LBB101_19
; %bb.18:
	buffer_load_dword v84, v81, s[0:3], 0 offen offset:4
	buffer_load_dword v85, v81, s[0:3], 0 offen
	ds_read_b64 v[77:78], v80
	v_mov_b32_e32 v82, 0
	ds_read_b64 v[82:83], v82 offset:8
	s_waitcnt vmcnt(1) lgkmcnt(1)
	v_mul_f32_e32 v86, v78, v84
	v_mul_f32_e32 v84, v77, v84
	s_waitcnt vmcnt(0)
	v_fmac_f32_e32 v84, v78, v85
	v_fma_f32 v77, v77, v85, -v86
	v_add_f32_e32 v78, 0, v84
	v_add_f32_e32 v77, 0, v77
	s_waitcnt lgkmcnt(0)
	v_mul_f32_e32 v84, v78, v83
	v_mul_f32_e32 v83, v77, v83
	v_fma_f32 v77, v77, v82, -v84
	v_fmac_f32_e32 v83, v78, v82
	buffer_store_dword v77, off, s[0:3], 0 offset:8
	buffer_store_dword v83, off, s[0:3], 0 offset:12
.LBB101_19:
	s_or_b64 exec, exec, s[8:9]
	; wave barrier
	buffer_load_dword v77, off, s[0:3], 0 offset:16
	buffer_load_dword v78, off, s[0:3], 0 offset:20
	v_cmp_gt_u32_e32 vcc, 2, v0
	s_waitcnt vmcnt(0)
	ds_write_b64 v80, v[77:78]
	s_waitcnt lgkmcnt(0)
	; wave barrier
	s_and_saveexec_b64 s[8:9], vcc
	s_cbranch_execz .LBB101_23
; %bb.20:
	buffer_load_dword v82, v81, s[0:3], 0 offen offset:4
	buffer_load_dword v83, v81, s[0:3], 0 offen
	ds_read_b64 v[77:78], v80
	s_waitcnt vmcnt(1) lgkmcnt(0)
	v_mul_f32_e32 v81, v78, v82
	v_mul_f32_e32 v82, v77, v82
	s_waitcnt vmcnt(0)
	v_fma_f32 v77, v77, v83, -v81
	v_fmac_f32_e32 v82, v78, v83
	v_add_f32_e32 v78, 0, v77
	v_add_f32_e32 v77, 0, v82
	s_and_saveexec_b64 s[16:17], s[4:5]
	s_cbranch_execz .LBB101_22
; %bb.21:
	buffer_load_dword v83, off, s[0:3], 0 offset:12
	buffer_load_dword v84, off, s[0:3], 0 offset:8
	v_mov_b32_e32 v81, 0
	ds_read_b64 v[81:82], v81 offset:312
	s_waitcnt vmcnt(1) lgkmcnt(0)
	v_mul_f32_e32 v85, v81, v83
	v_mul_f32_e32 v83, v82, v83
	s_waitcnt vmcnt(0)
	v_fmac_f32_e32 v85, v82, v84
	v_fma_f32 v81, v81, v84, -v83
	v_add_f32_e32 v77, v77, v85
	v_add_f32_e32 v78, v78, v81
.LBB101_22:
	s_or_b64 exec, exec, s[16:17]
	v_mov_b32_e32 v81, 0
	ds_read_b64 v[81:82], v81 offset:16
	s_waitcnt lgkmcnt(0)
	v_mul_f32_e32 v83, v77, v82
	v_mul_f32_e32 v82, v78, v82
	v_fma_f32 v78, v78, v81, -v83
	v_fmac_f32_e32 v82, v77, v81
	buffer_store_dword v78, off, s[0:3], 0 offset:16
	buffer_store_dword v82, off, s[0:3], 0 offset:20
.LBB101_23:
	s_or_b64 exec, exec, s[8:9]
	; wave barrier
	buffer_load_dword v77, off, s[0:3], 0 offset:24
	buffer_load_dword v78, off, s[0:3], 0 offset:28
	v_cmp_gt_u32_e32 vcc, 3, v0
	s_waitcnt vmcnt(0)
	ds_write_b64 v80, v[77:78]
	v_add_u32_e32 v77, -1, v0
	s_waitcnt lgkmcnt(0)
	; wave barrier
	s_and_saveexec_b64 s[4:5], vcc
	s_cbranch_execz .LBB101_27
; %bb.24:
	v_add_u32_e32 v81, -1, v0
	v_add_u32_e32 v82, 0x130, v79
	v_mov_b32_e32 v83, v79
	v_mov_b32_e32 v78, 0
	s_mov_b64 s[8:9], 0
	v_mov_b32_e32 v84, 0
.LBB101_25:                             ; =>This Inner Loop Header: Depth=1
	buffer_load_dword v87, v83, s[0:3], 0 offen offset:4
	buffer_load_dword v88, v83, s[0:3], 0 offen
	ds_read_b64 v[85:86], v82
	v_add_u32_e32 v81, 1, v81
	v_cmp_lt_u32_e32 vcc, 1, v81
	v_add_u32_e32 v82, 8, v82
	v_add_u32_e32 v83, 8, v83
	s_or_b64 s[8:9], vcc, s[8:9]
	s_waitcnt vmcnt(1) lgkmcnt(0)
	v_mul_f32_e32 v89, v86, v87
	v_mul_f32_e32 v87, v85, v87
	s_waitcnt vmcnt(0)
	v_fma_f32 v85, v85, v88, -v89
	v_fmac_f32_e32 v87, v86, v88
	v_add_f32_e32 v84, v84, v85
	v_add_f32_e32 v78, v78, v87
	s_andn2_b64 exec, exec, s[8:9]
	s_cbranch_execnz .LBB101_25
; %bb.26:
	s_or_b64 exec, exec, s[8:9]
	v_mov_b32_e32 v81, 0
	ds_read_b64 v[81:82], v81 offset:24
	s_waitcnt lgkmcnt(0)
	v_mul_f32_e32 v83, v78, v82
	v_mul_f32_e32 v82, v84, v82
	v_fma_f32 v83, v84, v81, -v83
	v_fmac_f32_e32 v82, v78, v81
	buffer_store_dword v83, off, s[0:3], 0 offset:24
	buffer_store_dword v82, off, s[0:3], 0 offset:28
.LBB101_27:
	s_or_b64 exec, exec, s[4:5]
	; wave barrier
	buffer_load_dword v81, off, s[0:3], 0 offset:32
	buffer_load_dword v82, off, s[0:3], 0 offset:36
	v_cmp_gt_u32_e32 vcc, 4, v0
	s_waitcnt vmcnt(0)
	ds_write_b64 v80, v[81:82]
	s_waitcnt lgkmcnt(0)
	; wave barrier
	s_and_saveexec_b64 s[4:5], vcc
	s_cbranch_execz .LBB101_31
; %bb.28:
	v_add_u32_e32 v81, -1, v0
	v_add_u32_e32 v82, 0x130, v79
	v_mov_b32_e32 v83, v79
	v_mov_b32_e32 v78, 0
	s_mov_b64 s[8:9], 0
	v_mov_b32_e32 v84, 0
.LBB101_29:                             ; =>This Inner Loop Header: Depth=1
	buffer_load_dword v87, v83, s[0:3], 0 offen offset:4
	buffer_load_dword v88, v83, s[0:3], 0 offen
	ds_read_b64 v[85:86], v82
	v_add_u32_e32 v81, 1, v81
	v_cmp_lt_u32_e32 vcc, 2, v81
	v_add_u32_e32 v82, 8, v82
	v_add_u32_e32 v83, 8, v83
	s_or_b64 s[8:9], vcc, s[8:9]
	s_waitcnt vmcnt(1) lgkmcnt(0)
	v_mul_f32_e32 v89, v86, v87
	v_mul_f32_e32 v87, v85, v87
	s_waitcnt vmcnt(0)
	v_fma_f32 v85, v85, v88, -v89
	v_fmac_f32_e32 v87, v86, v88
	v_add_f32_e32 v84, v84, v85
	v_add_f32_e32 v78, v78, v87
	s_andn2_b64 exec, exec, s[8:9]
	s_cbranch_execnz .LBB101_29
; %bb.30:
	s_or_b64 exec, exec, s[8:9]
	v_mov_b32_e32 v81, 0
	ds_read_b64 v[81:82], v81 offset:32
	s_waitcnt lgkmcnt(0)
	v_mul_f32_e32 v83, v78, v82
	v_mul_f32_e32 v82, v84, v82
	v_fma_f32 v83, v84, v81, -v83
	v_fmac_f32_e32 v82, v78, v81
	buffer_store_dword v83, off, s[0:3], 0 offset:32
	buffer_store_dword v82, off, s[0:3], 0 offset:36
.LBB101_31:
	s_or_b64 exec, exec, s[4:5]
	; wave barrier
	buffer_load_dword v81, off, s[0:3], 0 offset:40
	buffer_load_dword v82, off, s[0:3], 0 offset:44
	v_cmp_gt_u32_e32 vcc, 5, v0
	s_waitcnt vmcnt(0)
	ds_write_b64 v80, v[81:82]
	;; [unrolled: 49-line block ×19, first 2 shown]
	s_waitcnt lgkmcnt(0)
	; wave barrier
	s_and_saveexec_b64 s[4:5], vcc
	s_cbranch_execz .LBB101_103
; %bb.100:
	v_add_u32_e32 v81, -1, v0
	v_add_u32_e32 v82, 0x130, v79
	v_mov_b32_e32 v83, v79
	v_mov_b32_e32 v78, 0
	s_mov_b64 s[8:9], 0
	v_mov_b32_e32 v84, 0
.LBB101_101:                            ; =>This Inner Loop Header: Depth=1
	buffer_load_dword v87, v83, s[0:3], 0 offen offset:4
	buffer_load_dword v88, v83, s[0:3], 0 offen
	ds_read_b64 v[85:86], v82
	v_add_u32_e32 v81, 1, v81
	v_cmp_lt_u32_e32 vcc, 20, v81
	v_add_u32_e32 v82, 8, v82
	v_add_u32_e32 v83, 8, v83
	s_or_b64 s[8:9], vcc, s[8:9]
	s_waitcnt vmcnt(1) lgkmcnt(0)
	v_mul_f32_e32 v89, v86, v87
	v_mul_f32_e32 v87, v85, v87
	s_waitcnt vmcnt(0)
	v_fma_f32 v85, v85, v88, -v89
	v_fmac_f32_e32 v87, v86, v88
	v_add_f32_e32 v84, v84, v85
	v_add_f32_e32 v78, v78, v87
	s_andn2_b64 exec, exec, s[8:9]
	s_cbranch_execnz .LBB101_101
; %bb.102:
	s_or_b64 exec, exec, s[8:9]
	v_mov_b32_e32 v81, 0
	ds_read_b64 v[81:82], v81 offset:176
	s_waitcnt lgkmcnt(0)
	v_mul_f32_e32 v83, v78, v82
	v_mul_f32_e32 v82, v84, v82
	v_fma_f32 v83, v84, v81, -v83
	v_fmac_f32_e32 v82, v78, v81
	buffer_store_dword v83, off, s[0:3], 0 offset:176
	buffer_store_dword v82, off, s[0:3], 0 offset:180
.LBB101_103:
	s_or_b64 exec, exec, s[4:5]
	; wave barrier
	buffer_load_dword v81, off, s[0:3], 0 offset:184
	buffer_load_dword v82, off, s[0:3], 0 offset:188
	v_cmp_gt_u32_e32 vcc, 23, v0
	s_waitcnt vmcnt(0)
	ds_write_b64 v80, v[81:82]
	s_waitcnt lgkmcnt(0)
	; wave barrier
	s_and_saveexec_b64 s[4:5], vcc
	s_cbranch_execz .LBB101_107
; %bb.104:
	v_add_u32_e32 v81, -1, v0
	v_add_u32_e32 v82, 0x130, v79
	v_mov_b32_e32 v83, v79
	v_mov_b32_e32 v78, 0
	s_mov_b64 s[8:9], 0
	v_mov_b32_e32 v84, 0
.LBB101_105:                            ; =>This Inner Loop Header: Depth=1
	buffer_load_dword v87, v83, s[0:3], 0 offen offset:4
	buffer_load_dword v88, v83, s[0:3], 0 offen
	ds_read_b64 v[85:86], v82
	v_add_u32_e32 v81, 1, v81
	v_cmp_lt_u32_e32 vcc, 21, v81
	v_add_u32_e32 v82, 8, v82
	v_add_u32_e32 v83, 8, v83
	s_or_b64 s[8:9], vcc, s[8:9]
	s_waitcnt vmcnt(1) lgkmcnt(0)
	v_mul_f32_e32 v89, v86, v87
	v_mul_f32_e32 v87, v85, v87
	s_waitcnt vmcnt(0)
	v_fma_f32 v85, v85, v88, -v89
	v_fmac_f32_e32 v87, v86, v88
	v_add_f32_e32 v84, v84, v85
	v_add_f32_e32 v78, v78, v87
	s_andn2_b64 exec, exec, s[8:9]
	s_cbranch_execnz .LBB101_105
; %bb.106:
	s_or_b64 exec, exec, s[8:9]
	v_mov_b32_e32 v81, 0
	ds_read_b64 v[81:82], v81 offset:184
	s_waitcnt lgkmcnt(0)
	v_mul_f32_e32 v83, v78, v82
	v_mul_f32_e32 v82, v84, v82
	v_fma_f32 v83, v84, v81, -v83
	v_fmac_f32_e32 v82, v78, v81
	buffer_store_dword v83, off, s[0:3], 0 offset:184
	buffer_store_dword v82, off, s[0:3], 0 offset:188
.LBB101_107:
	s_or_b64 exec, exec, s[4:5]
	; wave barrier
	buffer_load_dword v81, off, s[0:3], 0 offset:192
	buffer_load_dword v82, off, s[0:3], 0 offset:196
	v_cmp_gt_u32_e32 vcc, 24, v0
	s_waitcnt vmcnt(0)
	ds_write_b64 v80, v[81:82]
	;; [unrolled: 49-line block ×14, first 2 shown]
	s_waitcnt lgkmcnt(0)
	; wave barrier
	s_and_saveexec_b64 s[4:5], vcc
	s_cbranch_execz .LBB101_159
; %bb.156:
	v_add_u32_e32 v81, -1, v0
	v_add_u32_e32 v82, 0x130, v79
	v_mov_b32_e32 v83, v79
	v_mov_b32_e32 v78, 0
	s_mov_b64 s[8:9], 0
	v_mov_b32_e32 v84, 0
.LBB101_157:                            ; =>This Inner Loop Header: Depth=1
	buffer_load_dword v87, v83, s[0:3], 0 offen offset:4
	buffer_load_dword v88, v83, s[0:3], 0 offen
	ds_read_b64 v[85:86], v82
	v_add_u32_e32 v81, 1, v81
	v_cmp_lt_u32_e32 vcc, 34, v81
	v_add_u32_e32 v82, 8, v82
	v_add_u32_e32 v83, 8, v83
	s_or_b64 s[8:9], vcc, s[8:9]
	s_waitcnt vmcnt(1) lgkmcnt(0)
	v_mul_f32_e32 v89, v86, v87
	v_mul_f32_e32 v87, v85, v87
	s_waitcnt vmcnt(0)
	v_fma_f32 v85, v85, v88, -v89
	v_fmac_f32_e32 v87, v86, v88
	v_add_f32_e32 v84, v84, v85
	v_add_f32_e32 v78, v78, v87
	s_andn2_b64 exec, exec, s[8:9]
	s_cbranch_execnz .LBB101_157
; %bb.158:
	s_or_b64 exec, exec, s[8:9]
	v_mov_b32_e32 v81, 0
	ds_read_b64 v[81:82], v81 offset:288
	s_waitcnt lgkmcnt(0)
	v_mul_f32_e32 v83, v78, v82
	v_mul_f32_e32 v82, v84, v82
	v_fma_f32 v83, v84, v81, -v83
	v_fmac_f32_e32 v82, v78, v81
	buffer_store_dword v83, off, s[0:3], 0 offset:288
	buffer_store_dword v82, off, s[0:3], 0 offset:292
.LBB101_159:
	s_or_b64 exec, exec, s[4:5]
	; wave barrier
	buffer_load_dword v81, off, s[0:3], 0 offset:296
	buffer_load_dword v82, off, s[0:3], 0 offset:300
	v_cmp_ne_u32_e32 vcc, 37, v0
	s_waitcnt vmcnt(0)
	ds_write_b64 v80, v[81:82]
	s_waitcnt lgkmcnt(0)
	; wave barrier
	s_and_saveexec_b64 s[4:5], vcc
	s_cbranch_execz .LBB101_163
; %bb.160:
	v_add_u32_e32 v80, 0x130, v79
	v_mov_b32_e32 v78, 0
	s_mov_b64 s[8:9], 0
	v_mov_b32_e32 v81, 0
.LBB101_161:                            ; =>This Inner Loop Header: Depth=1
	buffer_load_dword v84, v79, s[0:3], 0 offen offset:4
	buffer_load_dword v85, v79, s[0:3], 0 offen
	ds_read_b64 v[82:83], v80
	v_add_u32_e32 v77, 1, v77
	v_cmp_lt_u32_e32 vcc, 35, v77
	v_add_u32_e32 v80, 8, v80
	v_add_u32_e32 v79, 8, v79
	s_or_b64 s[8:9], vcc, s[8:9]
	s_waitcnt vmcnt(1) lgkmcnt(0)
	v_mul_f32_e32 v86, v83, v84
	v_mul_f32_e32 v84, v82, v84
	s_waitcnt vmcnt(0)
	v_fma_f32 v82, v82, v85, -v86
	v_fmac_f32_e32 v84, v83, v85
	v_add_f32_e32 v81, v81, v82
	v_add_f32_e32 v78, v78, v84
	s_andn2_b64 exec, exec, s[8:9]
	s_cbranch_execnz .LBB101_161
; %bb.162:
	s_or_b64 exec, exec, s[8:9]
	v_mov_b32_e32 v77, 0
	ds_read_b64 v[79:80], v77 offset:296
	s_waitcnt lgkmcnt(0)
	v_mul_f32_e32 v77, v78, v80
	v_mul_f32_e32 v80, v81, v80
	v_fma_f32 v77, v81, v79, -v77
	v_fmac_f32_e32 v80, v78, v79
	buffer_store_dword v77, off, s[0:3], 0 offset:296
	buffer_store_dword v80, off, s[0:3], 0 offset:300
.LBB101_163:
	s_or_b64 exec, exec, s[4:5]
	s_mov_b64 s[8:9], -1
	; wave barrier
.LBB101_164:
	s_and_b64 vcc, exec, s[8:9]
	s_cbranch_vccz .LBB101_166
; %bb.165:
	s_lshl_b64 s[4:5], s[6:7], 2
	s_add_u32 s4, s10, s4
	s_addc_u32 s5, s11, s5
	v_mov_b32_e32 v77, 0
	global_load_dword v77, v77, s[4:5]
	s_waitcnt vmcnt(0)
	v_cmp_ne_u32_e32 vcc, 0, v77
	s_cbranch_vccz .LBB101_167
.LBB101_166:
	s_endpgm
.LBB101_167:
	v_mov_b32_e32 v77, 0x130
	v_lshl_add_u32 v77, v0, 3, v77
	v_cmp_eq_u32_e32 vcc, 37, v0
	s_and_saveexec_b64 s[4:5], vcc
	s_cbranch_execz .LBB101_169
; %bb.168:
	buffer_load_dword v78, off, s[0:3], 0 offset:288
	buffer_load_dword v79, off, s[0:3], 0 offset:292
	v_mov_b32_e32 v80, 0
	buffer_store_dword v80, off, s[0:3], 0 offset:288
	buffer_store_dword v80, off, s[0:3], 0 offset:292
	s_waitcnt vmcnt(2)
	ds_write_b64 v77, v[78:79]
.LBB101_169:
	s_or_b64 exec, exec, s[4:5]
	s_waitcnt lgkmcnt(0)
	; wave barrier
	buffer_load_dword v81, off, s[0:3], 0 offset:300
	buffer_load_dword v82, off, s[0:3], 0 offset:296
	;; [unrolled: 1-line block ×4, first 2 shown]
	v_mov_b32_e32 v78, 0
	ds_read_b64 v[79:80], v78 offset:600
	v_cmp_lt_u32_e32 vcc, 35, v0
	s_waitcnt vmcnt(3) lgkmcnt(0)
	v_mul_f32_e32 v85, v79, v81
	v_mul_f32_e32 v81, v80, v81
	s_waitcnt vmcnt(2)
	v_fma_f32 v79, v79, v82, -v81
	v_fmac_f32_e32 v85, v80, v82
	v_add_f32_e32 v79, 0, v79
	v_add_f32_e32 v80, 0, v85
	s_waitcnt vmcnt(1)
	v_sub_f32_e32 v79, v83, v79
	s_waitcnt vmcnt(0)
	v_sub_f32_e32 v80, v84, v80
	buffer_store_dword v79, off, s[0:3], 0 offset:288
	buffer_store_dword v80, off, s[0:3], 0 offset:292
	s_and_saveexec_b64 s[4:5], vcc
	s_cbranch_execz .LBB101_171
; %bb.170:
	buffer_load_dword v79, off, s[0:3], 0 offset:280
	buffer_load_dword v80, off, s[0:3], 0 offset:284
	s_waitcnt vmcnt(0)
	ds_write_b64 v77, v[79:80]
	buffer_store_dword v78, off, s[0:3], 0 offset:280
	buffer_store_dword v78, off, s[0:3], 0 offset:284
.LBB101_171:
	s_or_b64 exec, exec, s[4:5]
	s_waitcnt lgkmcnt(0)
	; wave barrier
	buffer_load_dword v82, off, s[0:3], 0 offset:292
	buffer_load_dword v83, off, s[0:3], 0 offset:300
	;; [unrolled: 1-line block ×6, first 2 shown]
	ds_read_b128 v[78:81], v78 offset:592
	v_cmp_lt_u32_e32 vcc, 34, v0
	s_waitcnt vmcnt(5) lgkmcnt(0)
	v_mul_f32_e32 v88, v78, v82
	v_mul_f32_e32 v82, v79, v82
	s_waitcnt vmcnt(4)
	v_mul_f32_e32 v89, v80, v83
	v_mul_f32_e32 v83, v81, v83
	s_waitcnt vmcnt(3)
	v_fma_f32 v78, v78, v84, -v82
	v_fmac_f32_e32 v88, v79, v84
	s_waitcnt vmcnt(2)
	v_fma_f32 v79, v80, v85, -v83
	v_add_f32_e32 v78, 0, v78
	v_fmac_f32_e32 v89, v81, v85
	v_add_f32_e32 v80, 0, v88
	v_add_f32_e32 v78, v78, v79
	;; [unrolled: 1-line block ×3, first 2 shown]
	s_waitcnt vmcnt(1)
	v_sub_f32_e32 v78, v86, v78
	s_waitcnt vmcnt(0)
	v_sub_f32_e32 v79, v87, v80
	buffer_store_dword v78, off, s[0:3], 0 offset:280
	buffer_store_dword v79, off, s[0:3], 0 offset:284
	s_and_saveexec_b64 s[4:5], vcc
	s_cbranch_execz .LBB101_173
; %bb.172:
	buffer_load_dword v78, off, s[0:3], 0 offset:272
	buffer_load_dword v79, off, s[0:3], 0 offset:276
	v_mov_b32_e32 v80, 0
	buffer_store_dword v80, off, s[0:3], 0 offset:272
	buffer_store_dword v80, off, s[0:3], 0 offset:276
	s_waitcnt vmcnt(2)
	ds_write_b64 v77, v[78:79]
.LBB101_173:
	s_or_b64 exec, exec, s[4:5]
	s_waitcnt lgkmcnt(0)
	; wave barrier
	buffer_load_dword v85, off, s[0:3], 0 offset:284
	buffer_load_dword v86, off, s[0:3], 0 offset:292
	;; [unrolled: 1-line block ×8, first 2 shown]
	v_mov_b32_e32 v78, 0
	ds_read2_b64 v[79:82], v78 offset0:73 offset1:74
	ds_read_b64 v[83:84], v78 offset:600
	v_cmp_lt_u32_e32 vcc, 33, v0
	s_waitcnt vmcnt(7) lgkmcnt(1)
	v_mul_f32_e32 v93, v79, v85
	v_mul_f32_e32 v85, v80, v85
	s_waitcnt vmcnt(6)
	v_mul_f32_e32 v94, v81, v86
	v_mul_f32_e32 v86, v82, v86
	s_waitcnt vmcnt(4)
	v_fma_f32 v79, v79, v88, -v85
	s_waitcnt lgkmcnt(0)
	v_mul_f32_e32 v95, v83, v87
	v_mul_f32_e32 v87, v84, v87
	v_fmac_f32_e32 v93, v80, v88
	s_waitcnt vmcnt(3)
	v_fma_f32 v80, v81, v89, -v86
	v_add_f32_e32 v79, 0, v79
	v_fmac_f32_e32 v94, v82, v89
	s_waitcnt vmcnt(2)
	v_fma_f32 v81, v83, v90, -v87
	v_add_f32_e32 v82, 0, v93
	v_add_f32_e32 v79, v79, v80
	v_fmac_f32_e32 v95, v84, v90
	v_add_f32_e32 v82, v82, v94
	v_add_f32_e32 v79, v79, v81
	;; [unrolled: 1-line block ×3, first 2 shown]
	s_waitcnt vmcnt(1)
	v_sub_f32_e32 v79, v91, v79
	s_waitcnt vmcnt(0)
	v_sub_f32_e32 v80, v92, v80
	buffer_store_dword v79, off, s[0:3], 0 offset:272
	buffer_store_dword v80, off, s[0:3], 0 offset:276
	s_and_saveexec_b64 s[4:5], vcc
	s_cbranch_execz .LBB101_175
; %bb.174:
	buffer_load_dword v79, off, s[0:3], 0 offset:264
	buffer_load_dword v80, off, s[0:3], 0 offset:268
	s_waitcnt vmcnt(0)
	ds_write_b64 v77, v[79:80]
	buffer_store_dword v78, off, s[0:3], 0 offset:264
	buffer_store_dword v78, off, s[0:3], 0 offset:268
.LBB101_175:
	s_or_b64 exec, exec, s[4:5]
	s_waitcnt lgkmcnt(0)
	; wave barrier
	buffer_load_dword v87, off, s[0:3], 0 offset:276
	buffer_load_dword v88, off, s[0:3], 0 offset:284
	;; [unrolled: 1-line block ×10, first 2 shown]
	ds_read_b128 v[79:82], v78 offset:576
	ds_read_b128 v[83:86], v78 offset:592
	v_cmp_lt_u32_e32 vcc, 32, v0
	s_waitcnt vmcnt(9) lgkmcnt(1)
	v_mul_f32_e32 v78, v79, v87
	v_mul_f32_e32 v87, v80, v87
	s_waitcnt vmcnt(8)
	v_mul_f32_e32 v97, v81, v88
	v_mul_f32_e32 v88, v82, v88
	s_waitcnt vmcnt(5)
	v_fma_f32 v79, v79, v91, -v87
	s_waitcnt lgkmcnt(0)
	v_mul_f32_e32 v98, v83, v89
	v_mul_f32_e32 v89, v84, v89
	v_fmac_f32_e32 v78, v80, v91
	s_waitcnt vmcnt(4)
	v_fma_f32 v80, v81, v92, -v88
	v_add_f32_e32 v79, 0, v79
	v_mul_f32_e32 v99, v85, v90
	v_mul_f32_e32 v90, v86, v90
	v_fmac_f32_e32 v97, v82, v92
	s_waitcnt vmcnt(3)
	v_fma_f32 v81, v83, v93, -v89
	v_add_f32_e32 v78, 0, v78
	v_add_f32_e32 v79, v79, v80
	v_fmac_f32_e32 v98, v84, v93
	s_waitcnt vmcnt(2)
	v_fma_f32 v82, v85, v94, -v90
	v_add_f32_e32 v78, v78, v97
	v_add_f32_e32 v79, v79, v81
	v_fmac_f32_e32 v99, v86, v94
	v_add_f32_e32 v78, v78, v98
	v_add_f32_e32 v79, v79, v82
	v_add_f32_e32 v78, v78, v99
	s_waitcnt vmcnt(1)
	v_sub_f32_e32 v79, v95, v79
	s_waitcnt vmcnt(0)
	v_sub_f32_e32 v78, v96, v78
	buffer_store_dword v79, off, s[0:3], 0 offset:264
	buffer_store_dword v78, off, s[0:3], 0 offset:268
	s_and_saveexec_b64 s[4:5], vcc
	s_cbranch_execz .LBB101_177
; %bb.176:
	buffer_load_dword v78, off, s[0:3], 0 offset:256
	buffer_load_dword v79, off, s[0:3], 0 offset:260
	v_mov_b32_e32 v80, 0
	buffer_store_dword v80, off, s[0:3], 0 offset:256
	buffer_store_dword v80, off, s[0:3], 0 offset:260
	s_waitcnt vmcnt(2)
	ds_write_b64 v77, v[78:79]
.LBB101_177:
	s_or_b64 exec, exec, s[4:5]
	s_waitcnt lgkmcnt(0)
	; wave barrier
	buffer_load_dword v89, off, s[0:3], 0 offset:268
	buffer_load_dword v90, off, s[0:3], 0 offset:276
	;; [unrolled: 1-line block ×12, first 2 shown]
	v_mov_b32_e32 v78, 0
	ds_read2_b64 v[79:82], v78 offset0:71 offset1:72
	ds_read2_b64 v[83:86], v78 offset0:73 offset1:74
	ds_read_b64 v[87:88], v78 offset:600
	v_cmp_lt_u32_e32 vcc, 31, v0
	s_waitcnt vmcnt(11) lgkmcnt(2)
	v_mul_f32_e32 v101, v79, v89
	v_mul_f32_e32 v89, v80, v89
	s_waitcnt vmcnt(10)
	v_mul_f32_e32 v102, v81, v90
	v_mul_f32_e32 v90, v82, v90
	s_waitcnt vmcnt(9) lgkmcnt(1)
	v_mul_f32_e32 v103, v83, v91
	s_waitcnt vmcnt(6)
	v_fma_f32 v79, v79, v94, -v89
	v_mul_f32_e32 v91, v84, v91
	v_fmac_f32_e32 v101, v80, v94
	s_waitcnt vmcnt(5)
	v_fma_f32 v80, v81, v95, -v90
	v_add_f32_e32 v79, 0, v79
	v_mul_f32_e32 v104, v85, v92
	v_mul_f32_e32 v92, v86, v92
	v_fmac_f32_e32 v102, v82, v95
	s_waitcnt vmcnt(4)
	v_fmac_f32_e32 v103, v84, v96
	v_fma_f32 v81, v83, v96, -v91
	v_add_f32_e32 v84, 0, v101
	v_add_f32_e32 v79, v79, v80
	s_waitcnt lgkmcnt(0)
	v_mul_f32_e32 v105, v87, v93
	v_mul_f32_e32 v93, v88, v93
	s_waitcnt vmcnt(3)
	v_fma_f32 v82, v85, v97, -v92
	v_add_f32_e32 v84, v84, v102
	v_add_f32_e32 v79, v79, v81
	v_fmac_f32_e32 v104, v86, v97
	s_waitcnt vmcnt(2)
	v_fma_f32 v83, v87, v98, -v93
	v_add_f32_e32 v80, v84, v103
	v_add_f32_e32 v79, v79, v82
	v_fmac_f32_e32 v105, v88, v98
	v_add_f32_e32 v80, v80, v104
	v_add_f32_e32 v79, v79, v83
	;; [unrolled: 1-line block ×3, first 2 shown]
	s_waitcnt vmcnt(1)
	v_sub_f32_e32 v79, v99, v79
	s_waitcnt vmcnt(0)
	v_sub_f32_e32 v80, v100, v80
	buffer_store_dword v79, off, s[0:3], 0 offset:256
	buffer_store_dword v80, off, s[0:3], 0 offset:260
	s_and_saveexec_b64 s[4:5], vcc
	s_cbranch_execz .LBB101_179
; %bb.178:
	buffer_load_dword v79, off, s[0:3], 0 offset:248
	buffer_load_dword v80, off, s[0:3], 0 offset:252
	s_waitcnt vmcnt(0)
	ds_write_b64 v77, v[79:80]
	buffer_store_dword v78, off, s[0:3], 0 offset:248
	buffer_store_dword v78, off, s[0:3], 0 offset:252
.LBB101_179:
	s_or_b64 exec, exec, s[4:5]
	s_waitcnt lgkmcnt(0)
	; wave barrier
	buffer_load_dword v91, off, s[0:3], 0 offset:260
	buffer_load_dword v92, off, s[0:3], 0 offset:268
	buffer_load_dword v93, off, s[0:3], 0 offset:276
	buffer_load_dword v94, off, s[0:3], 0 offset:284
	buffer_load_dword v95, off, s[0:3], 0 offset:292
	buffer_load_dword v96, off, s[0:3], 0 offset:300
	buffer_load_dword v97, off, s[0:3], 0 offset:256
	buffer_load_dword v98, off, s[0:3], 0 offset:264
	buffer_load_dword v99, off, s[0:3], 0 offset:272
	buffer_load_dword v100, off, s[0:3], 0 offset:280
	buffer_load_dword v101, off, s[0:3], 0 offset:288
	buffer_load_dword v102, off, s[0:3], 0 offset:296
	buffer_load_dword v103, off, s[0:3], 0 offset:248
	buffer_load_dword v104, off, s[0:3], 0 offset:252
	ds_read_b128 v[79:82], v78 offset:560
	ds_read_b128 v[83:86], v78 offset:576
	;; [unrolled: 1-line block ×3, first 2 shown]
	v_cmp_lt_u32_e32 vcc, 30, v0
	s_waitcnt vmcnt(13) lgkmcnt(2)
	v_mul_f32_e32 v78, v79, v91
	v_mul_f32_e32 v91, v80, v91
	s_waitcnt vmcnt(12)
	v_mul_f32_e32 v105, v81, v92
	v_mul_f32_e32 v92, v82, v92
	s_waitcnt vmcnt(11) lgkmcnt(1)
	v_mul_f32_e32 v106, v83, v93
	v_mul_f32_e32 v93, v84, v93
	s_waitcnt vmcnt(7)
	v_fma_f32 v79, v79, v97, -v91
	v_fmac_f32_e32 v78, v80, v97
	s_waitcnt vmcnt(6)
	v_fma_f32 v80, v81, v98, -v92
	v_add_f32_e32 v79, 0, v79
	v_mul_f32_e32 v107, v85, v94
	v_mul_f32_e32 v94, v86, v94
	v_fmac_f32_e32 v105, v82, v98
	s_waitcnt vmcnt(5)
	v_fma_f32 v81, v83, v99, -v93
	v_add_f32_e32 v78, 0, v78
	v_add_f32_e32 v79, v79, v80
	s_waitcnt lgkmcnt(0)
	v_mul_f32_e32 v108, v87, v95
	v_mul_f32_e32 v95, v88, v95
	v_fmac_f32_e32 v106, v84, v99
	s_waitcnt vmcnt(4)
	v_fma_f32 v82, v85, v100, -v94
	v_add_f32_e32 v78, v78, v105
	v_add_f32_e32 v79, v79, v81
	v_mul_f32_e32 v109, v89, v96
	v_mul_f32_e32 v96, v90, v96
	v_fmac_f32_e32 v107, v86, v100
	s_waitcnt vmcnt(3)
	v_fma_f32 v83, v87, v101, -v95
	v_add_f32_e32 v78, v78, v106
	v_add_f32_e32 v79, v79, v82
	v_fmac_f32_e32 v108, v88, v101
	s_waitcnt vmcnt(2)
	v_fma_f32 v84, v89, v102, -v96
	v_add_f32_e32 v78, v78, v107
	v_add_f32_e32 v79, v79, v83
	v_fmac_f32_e32 v109, v90, v102
	v_add_f32_e32 v78, v78, v108
	v_add_f32_e32 v79, v79, v84
	;; [unrolled: 1-line block ×3, first 2 shown]
	s_waitcnt vmcnt(1)
	v_sub_f32_e32 v79, v103, v79
	s_waitcnt vmcnt(0)
	v_sub_f32_e32 v78, v104, v78
	buffer_store_dword v79, off, s[0:3], 0 offset:248
	buffer_store_dword v78, off, s[0:3], 0 offset:252
	s_and_saveexec_b64 s[4:5], vcc
	s_cbranch_execz .LBB101_181
; %bb.180:
	buffer_load_dword v78, off, s[0:3], 0 offset:240
	buffer_load_dword v79, off, s[0:3], 0 offset:244
	v_mov_b32_e32 v80, 0
	buffer_store_dword v80, off, s[0:3], 0 offset:240
	buffer_store_dword v80, off, s[0:3], 0 offset:244
	s_waitcnt vmcnt(2)
	ds_write_b64 v77, v[78:79]
.LBB101_181:
	s_or_b64 exec, exec, s[4:5]
	s_waitcnt lgkmcnt(0)
	; wave barrier
	buffer_load_dword v93, off, s[0:3], 0 offset:252
	buffer_load_dword v94, off, s[0:3], 0 offset:260
	;; [unrolled: 1-line block ×16, first 2 shown]
	v_mov_b32_e32 v78, 0
	ds_read2_b64 v[79:82], v78 offset0:69 offset1:70
	ds_read2_b64 v[83:86], v78 offset0:71 offset1:72
	;; [unrolled: 1-line block ×3, first 2 shown]
	ds_read_b64 v[91:92], v78 offset:600
	v_cmp_lt_u32_e32 vcc, 29, v0
	s_waitcnt vmcnt(15) lgkmcnt(3)
	v_mul_f32_e32 v109, v79, v93
	v_mul_f32_e32 v93, v80, v93
	s_waitcnt vmcnt(14)
	v_mul_f32_e32 v110, v81, v94
	v_mul_f32_e32 v94, v82, v94
	s_waitcnt vmcnt(13) lgkmcnt(2)
	v_mul_f32_e32 v111, v83, v95
	s_waitcnt vmcnt(12)
	v_mul_f32_e32 v112, v85, v96
	v_mul_f32_e32 v95, v84, v95
	s_waitcnt vmcnt(8)
	v_fma_f32 v79, v79, v100, -v93
	v_fmac_f32_e32 v109, v80, v100
	s_waitcnt vmcnt(7)
	v_fma_f32 v80, v81, v101, -v94
	v_add_f32_e32 v79, 0, v79
	v_mul_f32_e32 v96, v86, v96
	v_fmac_f32_e32 v110, v82, v101
	s_waitcnt vmcnt(5)
	v_fmac_f32_e32 v112, v86, v103
	v_fma_f32 v81, v83, v102, -v95
	v_add_f32_e32 v86, 0, v109
	v_add_f32_e32 v79, v79, v80
	s_waitcnt lgkmcnt(1)
	v_mul_f32_e32 v113, v87, v97
	v_mul_f32_e32 v97, v88, v97
	v_fmac_f32_e32 v111, v84, v102
	v_fma_f32 v82, v85, v103, -v96
	v_add_f32_e32 v86, v86, v110
	v_add_f32_e32 v79, v79, v81
	v_mul_f32_e32 v114, v89, v98
	v_mul_f32_e32 v98, v90, v98
	s_waitcnt vmcnt(4)
	v_fma_f32 v83, v87, v104, -v97
	v_add_f32_e32 v80, v86, v111
	v_add_f32_e32 v79, v79, v82
	s_waitcnt lgkmcnt(0)
	v_mul_f32_e32 v115, v91, v99
	v_mul_f32_e32 v99, v92, v99
	v_fmac_f32_e32 v113, v88, v104
	s_waitcnt vmcnt(3)
	v_fma_f32 v84, v89, v105, -v98
	v_add_f32_e32 v80, v80, v112
	v_add_f32_e32 v79, v79, v83
	v_fmac_f32_e32 v114, v90, v105
	s_waitcnt vmcnt(2)
	v_fma_f32 v85, v91, v106, -v99
	v_add_f32_e32 v80, v80, v113
	v_add_f32_e32 v79, v79, v84
	v_fmac_f32_e32 v115, v92, v106
	v_add_f32_e32 v80, v80, v114
	v_add_f32_e32 v79, v79, v85
	;; [unrolled: 1-line block ×3, first 2 shown]
	s_waitcnt vmcnt(1)
	v_sub_f32_e32 v79, v107, v79
	s_waitcnt vmcnt(0)
	v_sub_f32_e32 v80, v108, v80
	buffer_store_dword v79, off, s[0:3], 0 offset:240
	buffer_store_dword v80, off, s[0:3], 0 offset:244
	s_and_saveexec_b64 s[4:5], vcc
	s_cbranch_execz .LBB101_183
; %bb.182:
	buffer_load_dword v79, off, s[0:3], 0 offset:232
	buffer_load_dword v80, off, s[0:3], 0 offset:236
	s_waitcnt vmcnt(0)
	ds_write_b64 v77, v[79:80]
	buffer_store_dword v78, off, s[0:3], 0 offset:232
	buffer_store_dword v78, off, s[0:3], 0 offset:236
.LBB101_183:
	s_or_b64 exec, exec, s[4:5]
	s_waitcnt lgkmcnt(0)
	; wave barrier
	buffer_load_dword v95, off, s[0:3], 0 offset:244
	buffer_load_dword v96, off, s[0:3], 0 offset:252
	buffer_load_dword v97, off, s[0:3], 0 offset:260
	buffer_load_dword v98, off, s[0:3], 0 offset:268
	buffer_load_dword v99, off, s[0:3], 0 offset:276
	buffer_load_dword v100, off, s[0:3], 0 offset:284
	buffer_load_dword v101, off, s[0:3], 0 offset:292
	buffer_load_dword v102, off, s[0:3], 0 offset:300
	buffer_load_dword v103, off, s[0:3], 0 offset:240
	buffer_load_dword v104, off, s[0:3], 0 offset:248
	buffer_load_dword v105, off, s[0:3], 0 offset:256
	buffer_load_dword v106, off, s[0:3], 0 offset:264
	buffer_load_dword v107, off, s[0:3], 0 offset:272
	buffer_load_dword v108, off, s[0:3], 0 offset:280
	buffer_load_dword v109, off, s[0:3], 0 offset:288
	buffer_load_dword v110, off, s[0:3], 0 offset:296
	buffer_load_dword v111, off, s[0:3], 0 offset:232
	buffer_load_dword v112, off, s[0:3], 0 offset:236
	ds_read_b128 v[79:82], v78 offset:544
	ds_read_b128 v[83:86], v78 offset:560
	;; [unrolled: 1-line block ×4, first 2 shown]
	v_cmp_lt_u32_e32 vcc, 28, v0
	s_waitcnt vmcnt(17) lgkmcnt(3)
	v_mul_f32_e32 v78, v79, v95
	v_mul_f32_e32 v95, v80, v95
	s_waitcnt vmcnt(16)
	v_mul_f32_e32 v113, v81, v96
	v_mul_f32_e32 v96, v82, v96
	s_waitcnt vmcnt(15) lgkmcnt(2)
	v_mul_f32_e32 v114, v83, v97
	v_mul_f32_e32 v97, v84, v97
	s_waitcnt vmcnt(14)
	v_mul_f32_e32 v115, v85, v98
	v_mul_f32_e32 v98, v86, v98
	s_waitcnt vmcnt(9)
	v_fma_f32 v79, v79, v103, -v95
	v_fmac_f32_e32 v78, v80, v103
	s_waitcnt vmcnt(8)
	v_fma_f32 v80, v81, v104, -v96
	v_add_f32_e32 v79, 0, v79
	v_fmac_f32_e32 v113, v82, v104
	s_waitcnt vmcnt(7)
	v_fma_f32 v81, v83, v105, -v97
	v_add_f32_e32 v78, 0, v78
	v_add_f32_e32 v79, v79, v80
	s_waitcnt lgkmcnt(1)
	v_mul_f32_e32 v116, v87, v99
	v_mul_f32_e32 v99, v88, v99
	v_fmac_f32_e32 v114, v84, v105
	s_waitcnt vmcnt(6)
	v_fma_f32 v82, v85, v106, -v98
	v_add_f32_e32 v78, v78, v113
	v_add_f32_e32 v79, v79, v81
	v_mul_f32_e32 v117, v89, v100
	v_mul_f32_e32 v100, v90, v100
	v_fmac_f32_e32 v115, v86, v106
	s_waitcnt vmcnt(5)
	v_fma_f32 v83, v87, v107, -v99
	v_add_f32_e32 v78, v78, v114
	v_add_f32_e32 v79, v79, v82
	s_waitcnt lgkmcnt(0)
	v_mul_f32_e32 v118, v91, v101
	v_mul_f32_e32 v101, v92, v101
	v_fmac_f32_e32 v116, v88, v107
	s_waitcnt vmcnt(4)
	v_fma_f32 v84, v89, v108, -v100
	v_add_f32_e32 v78, v78, v115
	v_add_f32_e32 v79, v79, v83
	v_mul_f32_e32 v119, v93, v102
	v_mul_f32_e32 v102, v94, v102
	v_fmac_f32_e32 v117, v90, v108
	s_waitcnt vmcnt(3)
	v_fma_f32 v85, v91, v109, -v101
	v_add_f32_e32 v78, v78, v116
	v_add_f32_e32 v79, v79, v84
	v_fmac_f32_e32 v118, v92, v109
	s_waitcnt vmcnt(2)
	v_fma_f32 v86, v93, v110, -v102
	v_add_f32_e32 v78, v78, v117
	v_add_f32_e32 v79, v79, v85
	v_fmac_f32_e32 v119, v94, v110
	v_add_f32_e32 v78, v78, v118
	v_add_f32_e32 v79, v79, v86
	;; [unrolled: 1-line block ×3, first 2 shown]
	s_waitcnt vmcnt(1)
	v_sub_f32_e32 v79, v111, v79
	s_waitcnt vmcnt(0)
	v_sub_f32_e32 v78, v112, v78
	buffer_store_dword v79, off, s[0:3], 0 offset:232
	buffer_store_dword v78, off, s[0:3], 0 offset:236
	s_and_saveexec_b64 s[4:5], vcc
	s_cbranch_execz .LBB101_185
; %bb.184:
	buffer_load_dword v78, off, s[0:3], 0 offset:224
	buffer_load_dword v79, off, s[0:3], 0 offset:228
	v_mov_b32_e32 v80, 0
	buffer_store_dword v80, off, s[0:3], 0 offset:224
	buffer_store_dword v80, off, s[0:3], 0 offset:228
	s_waitcnt vmcnt(2)
	ds_write_b64 v77, v[78:79]
.LBB101_185:
	s_or_b64 exec, exec, s[4:5]
	s_waitcnt lgkmcnt(0)
	; wave barrier
	buffer_load_dword v97, off, s[0:3], 0 offset:236
	buffer_load_dword v98, off, s[0:3], 0 offset:244
	;; [unrolled: 1-line block ×20, first 2 shown]
	v_mov_b32_e32 v78, 0
	ds_read2_b64 v[79:82], v78 offset0:67 offset1:68
	ds_read2_b64 v[83:86], v78 offset0:69 offset1:70
	;; [unrolled: 1-line block ×4, first 2 shown]
	ds_read_b64 v[95:96], v78 offset:600
	v_cmp_lt_u32_e32 vcc, 27, v0
	s_waitcnt vmcnt(19) lgkmcnt(4)
	v_mul_f32_e32 v117, v79, v97
	v_mul_f32_e32 v97, v80, v97
	s_waitcnt vmcnt(18)
	v_mul_f32_e32 v118, v81, v98
	v_mul_f32_e32 v98, v82, v98
	s_waitcnt vmcnt(17) lgkmcnt(3)
	v_mul_f32_e32 v119, v83, v99
	s_waitcnt vmcnt(15) lgkmcnt(2)
	v_mul_f32_e32 v121, v87, v101
	v_mul_f32_e32 v99, v84, v99
	;; [unrolled: 1-line block ×4, first 2 shown]
	s_waitcnt vmcnt(10)
	v_fma_f32 v79, v79, v106, -v97
	v_fmac_f32_e32 v117, v80, v106
	s_waitcnt vmcnt(9)
	v_fma_f32 v80, v81, v107, -v98
	v_add_f32_e32 v79, 0, v79
	v_mul_f32_e32 v101, v88, v101
	v_fmac_f32_e32 v118, v82, v107
	s_waitcnt vmcnt(6)
	v_fmac_f32_e32 v121, v88, v110
	v_fma_f32 v81, v83, v108, -v99
	v_add_f32_e32 v88, 0, v117
	v_add_f32_e32 v79, v79, v80
	v_fmac_f32_e32 v119, v84, v108
	v_fma_f32 v82, v85, v109, -v100
	v_add_f32_e32 v88, v88, v118
	v_add_f32_e32 v79, v79, v81
	v_mul_f32_e32 v122, v89, v102
	v_mul_f32_e32 v102, v90, v102
	v_fmac_f32_e32 v120, v86, v109
	v_fma_f32 v83, v87, v110, -v101
	v_add_f32_e32 v80, v88, v119
	v_add_f32_e32 v79, v79, v82
	s_waitcnt lgkmcnt(1)
	v_mul_f32_e32 v123, v91, v103
	v_mul_f32_e32 v103, v92, v103
	s_waitcnt vmcnt(5)
	v_fma_f32 v84, v89, v111, -v102
	v_add_f32_e32 v80, v80, v120
	v_add_f32_e32 v79, v79, v83
	v_mul_f32_e32 v124, v93, v104
	v_mul_f32_e32 v104, v94, v104
	v_fmac_f32_e32 v122, v90, v111
	s_waitcnt vmcnt(4)
	v_fma_f32 v85, v91, v112, -v103
	v_add_f32_e32 v80, v80, v121
	v_add_f32_e32 v79, v79, v84
	s_waitcnt lgkmcnt(0)
	v_mul_f32_e32 v125, v95, v105
	v_mul_f32_e32 v105, v96, v105
	v_fmac_f32_e32 v123, v92, v112
	s_waitcnt vmcnt(3)
	v_fma_f32 v86, v93, v113, -v104
	v_add_f32_e32 v80, v80, v122
	v_add_f32_e32 v79, v79, v85
	v_fmac_f32_e32 v124, v94, v113
	s_waitcnt vmcnt(2)
	v_fma_f32 v87, v95, v114, -v105
	v_add_f32_e32 v80, v80, v123
	v_add_f32_e32 v79, v79, v86
	v_fmac_f32_e32 v125, v96, v114
	v_add_f32_e32 v80, v80, v124
	v_add_f32_e32 v79, v79, v87
	;; [unrolled: 1-line block ×3, first 2 shown]
	s_waitcnt vmcnt(1)
	v_sub_f32_e32 v79, v115, v79
	s_waitcnt vmcnt(0)
	v_sub_f32_e32 v80, v116, v80
	buffer_store_dword v79, off, s[0:3], 0 offset:224
	buffer_store_dword v80, off, s[0:3], 0 offset:228
	s_and_saveexec_b64 s[4:5], vcc
	s_cbranch_execz .LBB101_187
; %bb.186:
	buffer_load_dword v79, off, s[0:3], 0 offset:216
	buffer_load_dword v80, off, s[0:3], 0 offset:220
	s_waitcnt vmcnt(0)
	ds_write_b64 v77, v[79:80]
	buffer_store_dword v78, off, s[0:3], 0 offset:216
	buffer_store_dword v78, off, s[0:3], 0 offset:220
.LBB101_187:
	s_or_b64 exec, exec, s[4:5]
	s_waitcnt lgkmcnt(0)
	; wave barrier
	ds_read_b128 v[79:82], v78 offset:528
	ds_read_b128 v[83:86], v78 offset:544
	;; [unrolled: 1-line block ×4, first 2 shown]
	buffer_load_dword v99, off, s[0:3], 0 offset:216
	buffer_load_dword v100, off, s[0:3], 0 offset:220
	;; [unrolled: 1-line block ×18, first 2 shown]
	v_cmp_lt_u32_e32 vcc, 26, v0
	s_waitcnt vmcnt(14) lgkmcnt(3)
	v_mul_f32_e32 v95, v79, v102
	v_fmac_f32_e32 v95, v80, v101
	s_waitcnt vmcnt(12)
	v_mul_f32_e32 v96, v81, v104
	v_add_f32_e32 v95, 0, v95
	v_fmac_f32_e32 v96, v82, v103
	v_add_f32_e32 v95, v95, v96
	s_waitcnt vmcnt(10) lgkmcnt(2)
	v_mul_f32_e32 v96, v83, v106
	v_fmac_f32_e32 v96, v84, v105
	v_add_f32_e32 v95, v95, v96
	s_waitcnt vmcnt(8)
	v_mul_f32_e32 v96, v85, v108
	v_fmac_f32_e32 v96, v86, v107
	v_add_f32_e32 v95, v95, v96
	s_waitcnt vmcnt(6) lgkmcnt(1)
	v_mul_f32_e32 v96, v87, v110
	v_fmac_f32_e32 v96, v88, v109
	v_add_f32_e32 v95, v95, v96
	s_waitcnt vmcnt(4)
	v_mul_f32_e32 v96, v89, v112
	;; [unrolled: 8-line block ×3, first 2 shown]
	v_fmac_f32_e32 v96, v94, v115
	v_add_f32_e32 v117, v95, v96
	ds_read_b128 v[95:98], v78 offset:592
	buffer_load_dword v78, off, s[0:3], 0 offset:288
	buffer_load_dword v118, off, s[0:3], 0 offset:292
	v_mul_f32_e32 v80, v80, v102
	v_fma_f32 v79, v79, v101, -v80
	v_mul_f32_e32 v80, v82, v104
	v_add_f32_e32 v79, 0, v79
	v_fma_f32 v80, v81, v103, -v80
	v_add_f32_e32 v79, v79, v80
	v_mul_f32_e32 v80, v84, v106
	v_fma_f32 v80, v83, v105, -v80
	v_add_f32_e32 v79, v79, v80
	v_mul_f32_e32 v80, v86, v108
	;; [unrolled: 3-line block ×6, first 2 shown]
	v_fma_f32 v80, v93, v115, -v80
	v_add_f32_e32 v79, v79, v80
	s_waitcnt vmcnt(0) lgkmcnt(0)
	v_mul_f32_e32 v119, v95, v118
	v_fmac_f32_e32 v119, v96, v78
	v_add_f32_e32 v117, v117, v119
	buffer_load_dword v119, off, s[0:3], 0 offset:296
	buffer_load_dword v120, off, s[0:3], 0 offset:300
	v_mul_f32_e32 v80, v96, v118
	v_fma_f32 v78, v95, v78, -v80
	v_add_f32_e32 v78, v79, v78
	s_waitcnt vmcnt(0)
	v_mul_f32_e32 v79, v98, v120
	v_mul_f32_e32 v121, v97, v120
	v_fma_f32 v79, v97, v119, -v79
	v_fmac_f32_e32 v121, v98, v119
	v_add_f32_e32 v78, v78, v79
	v_add_f32_e32 v117, v117, v121
	v_sub_f32_e32 v78, v99, v78
	v_sub_f32_e32 v79, v100, v117
	buffer_store_dword v78, off, s[0:3], 0 offset:216
	buffer_store_dword v79, off, s[0:3], 0 offset:220
	s_and_saveexec_b64 s[4:5], vcc
	s_cbranch_execz .LBB101_189
; %bb.188:
	buffer_load_dword v78, off, s[0:3], 0 offset:208
	buffer_load_dword v79, off, s[0:3], 0 offset:212
	v_mov_b32_e32 v80, 0
	buffer_store_dword v80, off, s[0:3], 0 offset:208
	buffer_store_dword v80, off, s[0:3], 0 offset:212
	s_waitcnt vmcnt(2)
	ds_write_b64 v77, v[78:79]
.LBB101_189:
	s_or_b64 exec, exec, s[4:5]
	v_mov_b32_e32 v78, 0
	s_waitcnt lgkmcnt(0)
	; wave barrier
	ds_read2_b64 v[79:82], v78 offset0:65 offset1:66
	buffer_load_dword v101, off, s[0:3], 0 offset:208
	buffer_load_dword v102, off, s[0:3], 0 offset:212
	;; [unrolled: 1-line block ×16, first 2 shown]
	v_cmp_lt_u32_e32 vcc, 25, v0
	s_waitcnt vmcnt(12) lgkmcnt(0)
	v_mul_f32_e32 v83, v79, v104
	v_fmac_f32_e32 v83, v80, v103
	s_waitcnt vmcnt(10)
	v_mul_f32_e32 v84, v81, v106
	v_add_f32_e32 v83, 0, v83
	v_fmac_f32_e32 v84, v82, v105
	v_add_f32_e32 v87, v83, v84
	ds_read2_b64 v[83:86], v78 offset0:67 offset1:68
	v_mul_f32_e32 v80, v80, v104
	v_fma_f32 v79, v79, v103, -v80
	v_mul_f32_e32 v80, v82, v106
	v_add_f32_e32 v79, 0, v79
	s_waitcnt vmcnt(8) lgkmcnt(0)
	v_mul_f32_e32 v88, v83, v108
	v_fmac_f32_e32 v88, v84, v107
	v_add_f32_e32 v87, v87, v88
	s_waitcnt vmcnt(6)
	v_mul_f32_e32 v88, v85, v110
	v_fmac_f32_e32 v88, v86, v109
	v_add_f32_e32 v91, v87, v88
	ds_read2_b64 v[87:90], v78 offset0:69 offset1:70
	v_fma_f32 v80, v81, v105, -v80
	v_add_f32_e32 v79, v79, v80
	v_mul_f32_e32 v80, v84, v108
	v_fma_f32 v80, v83, v107, -v80
	s_waitcnt vmcnt(4) lgkmcnt(0)
	v_mul_f32_e32 v92, v87, v112
	v_fmac_f32_e32 v92, v88, v111
	v_add_f32_e32 v91, v91, v92
	s_waitcnt vmcnt(2)
	v_mul_f32_e32 v92, v89, v114
	v_fmac_f32_e32 v92, v90, v113
	v_add_f32_e32 v95, v91, v92
	ds_read2_b64 v[91:94], v78 offset0:71 offset1:72
	buffer_load_dword v117, off, s[0:3], 0 offset:272
	buffer_load_dword v118, off, s[0:3], 0 offset:276
	v_add_f32_e32 v79, v79, v80
	v_mul_f32_e32 v80, v86, v110
	v_fma_f32 v80, v85, v109, -v80
	s_waitcnt vmcnt(2) lgkmcnt(0)
	v_mul_f32_e32 v96, v91, v116
	v_fmac_f32_e32 v96, v92, v115
	v_add_f32_e32 v95, v95, v96
	v_add_f32_e32 v79, v79, v80
	v_mul_f32_e32 v80, v88, v112
	v_fma_f32 v80, v87, v111, -v80
	v_add_f32_e32 v79, v79, v80
	v_mul_f32_e32 v80, v90, v114
	v_fma_f32 v80, v89, v113, -v80
	;; [unrolled: 3-line block ×3, first 2 shown]
	v_add_f32_e32 v79, v79, v80
	s_waitcnt vmcnt(0)
	v_mul_f32_e32 v96, v93, v118
	v_fmac_f32_e32 v96, v94, v117
	v_add_f32_e32 v99, v95, v96
	ds_read2_b64 v[95:98], v78 offset0:73 offset1:74
	buffer_load_dword v119, off, s[0:3], 0 offset:280
	buffer_load_dword v120, off, s[0:3], 0 offset:284
	;; [unrolled: 1-line block ×4, first 2 shown]
	v_mul_f32_e32 v80, v94, v118
	v_fma_f32 v80, v93, v117, -v80
	v_add_f32_e32 v79, v79, v80
	s_waitcnt vmcnt(2) lgkmcnt(0)
	v_mul_f32_e32 v100, v95, v120
	v_fmac_f32_e32 v100, v96, v119
	v_add_f32_e32 v99, v99, v100
	s_waitcnt vmcnt(0)
	v_mul_f32_e32 v100, v97, v122
	v_fmac_f32_e32 v100, v98, v121
	v_add_f32_e32 v123, v99, v100
	ds_read_b64 v[99:100], v78 offset:600
	buffer_load_dword v124, off, s[0:3], 0 offset:296
	buffer_load_dword v125, off, s[0:3], 0 offset:300
	v_mul_f32_e32 v80, v96, v120
	v_fma_f32 v80, v95, v119, -v80
	v_add_f32_e32 v79, v79, v80
	v_mul_f32_e32 v80, v98, v122
	v_fma_f32 v80, v97, v121, -v80
	v_add_f32_e32 v79, v79, v80
	s_waitcnt vmcnt(0) lgkmcnt(0)
	v_mul_f32_e32 v80, v100, v125
	v_mul_f32_e32 v126, v99, v125
	v_fma_f32 v80, v99, v124, -v80
	v_fmac_f32_e32 v126, v100, v124
	v_add_f32_e32 v79, v79, v80
	v_add_f32_e32 v123, v123, v126
	v_sub_f32_e32 v79, v101, v79
	v_sub_f32_e32 v80, v102, v123
	buffer_store_dword v79, off, s[0:3], 0 offset:208
	buffer_store_dword v80, off, s[0:3], 0 offset:212
	s_and_saveexec_b64 s[4:5], vcc
	s_cbranch_execz .LBB101_191
; %bb.190:
	buffer_load_dword v79, off, s[0:3], 0 offset:200
	buffer_load_dword v80, off, s[0:3], 0 offset:204
	s_waitcnt vmcnt(0)
	ds_write_b64 v77, v[79:80]
	buffer_store_dword v78, off, s[0:3], 0 offset:200
	buffer_store_dword v78, off, s[0:3], 0 offset:204
.LBB101_191:
	s_or_b64 exec, exec, s[4:5]
	s_waitcnt lgkmcnt(0)
	; wave barrier
	buffer_load_dword v103, off, s[0:3], 0 offset:212
	buffer_load_dword v104, off, s[0:3], 0 offset:220
	buffer_load_dword v105, off, s[0:3], 0 offset:228
	buffer_load_dword v106, off, s[0:3], 0 offset:236
	buffer_load_dword v107, off, s[0:3], 0 offset:244
	buffer_load_dword v108, off, s[0:3], 0 offset:252
	buffer_load_dword v109, off, s[0:3], 0 offset:260
	buffer_load_dword v110, off, s[0:3], 0 offset:268
	buffer_load_dword v111, off, s[0:3], 0 offset:276
	buffer_load_dword v112, off, s[0:3], 0 offset:284
	buffer_load_dword v113, off, s[0:3], 0 offset:292
	buffer_load_dword v114, off, s[0:3], 0 offset:300
	buffer_load_dword v115, off, s[0:3], 0 offset:208
	buffer_load_dword v116, off, s[0:3], 0 offset:216
	buffer_load_dword v117, off, s[0:3], 0 offset:224
	buffer_load_dword v118, off, s[0:3], 0 offset:232
	buffer_load_dword v119, off, s[0:3], 0 offset:240
	buffer_load_dword v120, off, s[0:3], 0 offset:248
	buffer_load_dword v121, off, s[0:3], 0 offset:256
	buffer_load_dword v122, off, s[0:3], 0 offset:264
	buffer_load_dword v123, off, s[0:3], 0 offset:272
	buffer_load_dword v124, off, s[0:3], 0 offset:280
	buffer_load_dword v125, off, s[0:3], 0 offset:288
	buffer_load_dword v126, off, s[0:3], 0 offset:296
	buffer_load_dword v127, off, s[0:3], 0 offset:200
	buffer_load_dword v128, off, s[0:3], 0 offset:204
	ds_read_b128 v[79:82], v78 offset:512
	ds_read_b128 v[83:86], v78 offset:528
	;; [unrolled: 1-line block ×6, first 2 shown]
	v_cmp_lt_u32_e32 vcc, 24, v0
	s_waitcnt vmcnt(25) lgkmcnt(5)
	v_mul_f32_e32 v78, v79, v103
	v_mul_f32_e32 v103, v80, v103
	s_waitcnt vmcnt(24)
	v_mul_f32_e32 v129, v81, v104
	v_mul_f32_e32 v104, v82, v104
	s_waitcnt vmcnt(23) lgkmcnt(4)
	v_mul_f32_e32 v130, v83, v105
	v_mul_f32_e32 v105, v84, v105
	s_waitcnt vmcnt(22)
	v_mul_f32_e32 v131, v85, v106
	v_mul_f32_e32 v106, v86, v106
	;; [unrolled: 6-line block ×3, first 2 shown]
	s_waitcnt vmcnt(13)
	v_fma_f32 v79, v79, v115, -v103
	v_fmac_f32_e32 v78, v80, v115
	s_waitcnt vmcnt(12)
	v_fma_f32 v80, v81, v116, -v104
	v_add_f32_e32 v79, 0, v79
	s_waitcnt vmcnt(11)
	v_fma_f32 v81, v83, v117, -v105
	v_add_f32_e32 v79, v79, v80
	v_fmac_f32_e32 v129, v82, v116
	s_waitcnt vmcnt(10)
	v_fma_f32 v82, v85, v118, -v106
	v_add_f32_e32 v79, v79, v81
	s_waitcnt vmcnt(9)
	v_fma_f32 v83, v87, v119, -v107
	v_add_f32_e32 v79, v79, v82
	s_waitcnt lgkmcnt(2)
	v_mul_f32_e32 v134, v91, v109
	v_mul_f32_e32 v109, v92, v109
	v_fmac_f32_e32 v130, v84, v117
	s_waitcnt vmcnt(8)
	v_fma_f32 v84, v89, v120, -v108
	v_add_f32_e32 v78, 0, v78
	v_add_f32_e32 v79, v79, v83
	v_mul_f32_e32 v135, v93, v110
	v_mul_f32_e32 v110, v94, v110
	s_waitcnt vmcnt(7)
	v_fma_f32 v85, v91, v121, -v109
	v_add_f32_e32 v78, v78, v129
	v_add_f32_e32 v79, v79, v84
	v_fmac_f32_e32 v131, v86, v118
	s_waitcnt vmcnt(6)
	v_fma_f32 v86, v93, v122, -v110
	v_add_f32_e32 v78, v78, v130
	v_add_f32_e32 v79, v79, v85
	s_waitcnt lgkmcnt(1)
	v_mul_f32_e32 v80, v96, v111
	v_fmac_f32_e32 v132, v88, v119
	v_add_f32_e32 v78, v78, v131
	v_add_f32_e32 v79, v79, v86
	s_waitcnt vmcnt(5)
	v_fma_f32 v80, v95, v123, -v80
	v_fmac_f32_e32 v133, v90, v120
	v_add_f32_e32 v78, v78, v132
	v_add_f32_e32 v79, v79, v80
	v_mul_f32_e32 v80, v98, v112
	v_fmac_f32_e32 v134, v92, v121
	v_add_f32_e32 v78, v78, v133
	s_waitcnt vmcnt(4)
	v_fma_f32 v80, v97, v124, -v80
	v_mul_f32_e32 v136, v95, v111
	v_fmac_f32_e32 v135, v94, v122
	v_add_f32_e32 v78, v78, v134
	v_add_f32_e32 v79, v79, v80
	s_waitcnt lgkmcnt(0)
	v_mul_f32_e32 v80, v100, v113
	v_mul_f32_e32 v137, v97, v112
	v_fmac_f32_e32 v136, v96, v123
	v_add_f32_e32 v78, v78, v135
	s_waitcnt vmcnt(3)
	v_fma_f32 v80, v99, v125, -v80
	v_mul_f32_e32 v138, v99, v113
	v_fmac_f32_e32 v137, v98, v124
	v_add_f32_e32 v78, v78, v136
	v_add_f32_e32 v79, v79, v80
	v_mul_f32_e32 v80, v102, v114
	v_mul_f32_e32 v139, v101, v114
	v_fmac_f32_e32 v138, v100, v125
	v_add_f32_e32 v78, v78, v137
	s_waitcnt vmcnt(2)
	v_fma_f32 v80, v101, v126, -v80
	v_fmac_f32_e32 v139, v102, v126
	v_add_f32_e32 v78, v78, v138
	v_add_f32_e32 v79, v79, v80
	;; [unrolled: 1-line block ×3, first 2 shown]
	s_waitcnt vmcnt(1)
	v_sub_f32_e32 v79, v127, v79
	s_waitcnt vmcnt(0)
	v_sub_f32_e32 v78, v128, v78
	buffer_store_dword v79, off, s[0:3], 0 offset:200
	buffer_store_dword v78, off, s[0:3], 0 offset:204
	s_and_saveexec_b64 s[4:5], vcc
	s_cbranch_execz .LBB101_193
; %bb.192:
	buffer_load_dword v78, off, s[0:3], 0 offset:192
	buffer_load_dword v79, off, s[0:3], 0 offset:196
	v_mov_b32_e32 v80, 0
	buffer_store_dword v80, off, s[0:3], 0 offset:192
	buffer_store_dword v80, off, s[0:3], 0 offset:196
	s_waitcnt vmcnt(2)
	ds_write_b64 v77, v[78:79]
.LBB101_193:
	s_or_b64 exec, exec, s[4:5]
	s_waitcnt lgkmcnt(0)
	; wave barrier
	buffer_load_dword v105, off, s[0:3], 0 offset:204
	buffer_load_dword v106, off, s[0:3], 0 offset:212
	;; [unrolled: 1-line block ×28, first 2 shown]
	v_mov_b32_e32 v78, 0
	ds_read2_b64 v[79:82], v78 offset0:63 offset1:64
	ds_read2_b64 v[83:86], v78 offset0:65 offset1:66
	;; [unrolled: 1-line block ×6, first 2 shown]
	ds_read_b64 v[103:104], v78 offset:600
	v_cmp_lt_u32_e32 vcc, 23, v0
	s_waitcnt vmcnt(27) lgkmcnt(6)
	v_mul_f32_e32 v133, v79, v105
	v_mul_f32_e32 v105, v80, v105
	s_waitcnt vmcnt(26)
	v_mul_f32_e32 v134, v81, v106
	v_mul_f32_e32 v106, v82, v106
	s_waitcnt vmcnt(25) lgkmcnt(5)
	v_mul_f32_e32 v135, v83, v107
	v_mul_f32_e32 v107, v84, v107
	s_waitcnt vmcnt(24)
	v_mul_f32_e32 v136, v85, v108
	v_mul_f32_e32 v108, v86, v108
	;; [unrolled: 6-line block ×3, first 2 shown]
	s_waitcnt vmcnt(21) lgkmcnt(3)
	v_mul_f32_e32 v139, v91, v111
	s_waitcnt vmcnt(14)
	v_fma_f32 v79, v79, v118, -v105
	v_fmac_f32_e32 v133, v80, v118
	s_waitcnt vmcnt(13)
	v_fma_f32 v80, v81, v119, -v106
	v_add_f32_e32 v79, 0, v79
	s_waitcnt vmcnt(12)
	v_fma_f32 v81, v83, v120, -v107
	v_add_f32_e32 v79, v79, v80
	v_fmac_f32_e32 v134, v82, v119
	s_waitcnt vmcnt(11)
	v_fma_f32 v82, v85, v121, -v108
	v_add_f32_e32 v79, v79, v81
	s_waitcnt vmcnt(10)
	v_fma_f32 v83, v87, v122, -v109
	v_add_f32_e32 v79, v79, v82
	v_fmac_f32_e32 v135, v84, v120
	s_waitcnt vmcnt(9)
	v_fma_f32 v84, v89, v123, -v110
	v_add_f32_e32 v79, v79, v83
	v_mul_f32_e32 v81, v92, v111
	v_add_f32_e32 v79, v79, v84
	s_waitcnt vmcnt(8)
	v_fma_f32 v81, v91, v124, -v81
	v_add_f32_e32 v79, v79, v81
	v_mul_f32_e32 v81, v94, v112
	v_add_f32_e32 v85, 0, v133
	s_waitcnt vmcnt(7)
	v_fma_f32 v81, v93, v125, -v81
	v_add_f32_e32 v85, v85, v134
	v_add_f32_e32 v79, v79, v81
	s_waitcnt lgkmcnt(2)
	v_mul_f32_e32 v81, v96, v113
	v_fmac_f32_e32 v136, v86, v121
	v_add_f32_e32 v80, v85, v135
	s_waitcnt vmcnt(6)
	v_fma_f32 v81, v95, v126, -v81
	v_fmac_f32_e32 v137, v88, v122
	v_add_f32_e32 v80, v80, v136
	v_add_f32_e32 v79, v79, v81
	v_mul_f32_e32 v81, v98, v114
	v_fmac_f32_e32 v138, v90, v123
	v_add_f32_e32 v80, v80, v137
	s_waitcnt vmcnt(5)
	v_fma_f32 v81, v97, v127, -v81
	v_mul_f32_e32 v140, v93, v112
	v_fmac_f32_e32 v139, v92, v124
	v_add_f32_e32 v80, v80, v138
	v_add_f32_e32 v79, v79, v81
	s_waitcnt lgkmcnt(1)
	v_mul_f32_e32 v81, v100, v115
	v_mul_f32_e32 v141, v95, v113
	v_fmac_f32_e32 v140, v94, v125
	v_add_f32_e32 v80, v80, v139
	s_waitcnt vmcnt(4)
	v_fma_f32 v81, v99, v128, -v81
	v_mul_f32_e32 v142, v97, v114
	v_fmac_f32_e32 v141, v96, v126
	v_add_f32_e32 v80, v80, v140
	v_add_f32_e32 v79, v79, v81
	v_mul_f32_e32 v81, v102, v116
	v_mul_f32_e32 v143, v99, v115
	v_fmac_f32_e32 v142, v98, v127
	v_add_f32_e32 v80, v80, v141
	s_waitcnt vmcnt(3)
	v_fma_f32 v81, v101, v129, -v81
	v_mul_f32_e32 v144, v101, v116
	v_fmac_f32_e32 v143, v100, v128
	v_add_f32_e32 v80, v80, v142
	v_add_f32_e32 v79, v79, v81
	s_waitcnt lgkmcnt(0)
	v_mul_f32_e32 v81, v104, v117
	v_mul_f32_e32 v145, v103, v117
	v_fmac_f32_e32 v144, v102, v129
	v_add_f32_e32 v80, v80, v143
	s_waitcnt vmcnt(2)
	v_fma_f32 v81, v103, v130, -v81
	v_fmac_f32_e32 v145, v104, v130
	v_add_f32_e32 v80, v80, v144
	v_add_f32_e32 v79, v79, v81
	;; [unrolled: 1-line block ×3, first 2 shown]
	s_waitcnt vmcnt(1)
	v_sub_f32_e32 v79, v131, v79
	s_waitcnt vmcnt(0)
	v_sub_f32_e32 v80, v132, v80
	buffer_store_dword v79, off, s[0:3], 0 offset:192
	buffer_store_dword v80, off, s[0:3], 0 offset:196
	s_and_saveexec_b64 s[4:5], vcc
	s_cbranch_execz .LBB101_195
; %bb.194:
	buffer_load_dword v79, off, s[0:3], 0 offset:184
	buffer_load_dword v80, off, s[0:3], 0 offset:188
	s_waitcnt vmcnt(0)
	ds_write_b64 v77, v[79:80]
	buffer_store_dword v78, off, s[0:3], 0 offset:184
	buffer_store_dword v78, off, s[0:3], 0 offset:188
.LBB101_195:
	s_or_b64 exec, exec, s[4:5]
	s_waitcnt lgkmcnt(0)
	; wave barrier
	buffer_load_dword v107, off, s[0:3], 0 offset:196
	buffer_load_dword v108, off, s[0:3], 0 offset:204
	;; [unrolled: 1-line block ×30, first 2 shown]
	ds_read_b128 v[79:82], v78 offset:496
	ds_read_b128 v[83:86], v78 offset:512
	ds_read_b128 v[87:90], v78 offset:528
	ds_read_b128 v[91:94], v78 offset:544
	ds_read_b128 v[95:98], v78 offset:560
	ds_read_b128 v[99:102], v78 offset:576
	ds_read_b128 v[103:106], v78 offset:592
	v_cmp_lt_u32_e32 vcc, 22, v0
	s_waitcnt vmcnt(29) lgkmcnt(6)
	v_mul_f32_e32 v78, v79, v107
	v_mul_f32_e32 v107, v80, v107
	s_waitcnt vmcnt(28)
	v_mul_f32_e32 v137, v81, v108
	v_mul_f32_e32 v108, v82, v108
	s_waitcnt vmcnt(27) lgkmcnt(5)
	v_mul_f32_e32 v138, v83, v109
	v_mul_f32_e32 v109, v84, v109
	s_waitcnt vmcnt(26)
	v_mul_f32_e32 v139, v85, v110
	v_mul_f32_e32 v110, v86, v110
	s_waitcnt vmcnt(25) lgkmcnt(4)
	v_mul_f32_e32 v140, v87, v111
	v_mul_f32_e32 v111, v88, v111
	s_waitcnt vmcnt(24)
	v_mul_f32_e32 v141, v89, v112
	s_waitcnt vmcnt(23) lgkmcnt(3)
	v_mul_f32_e32 v142, v91, v113
	s_waitcnt vmcnt(22)
	v_mul_f32_e32 v143, v93, v114
	s_waitcnt vmcnt(21) lgkmcnt(2)
	v_mul_f32_e32 v144, v95, v115
	s_waitcnt vmcnt(15)
	v_fma_f32 v79, v79, v121, -v107
	v_fmac_f32_e32 v78, v80, v121
	s_waitcnt vmcnt(14)
	v_fma_f32 v80, v81, v122, -v108
	v_add_f32_e32 v79, 0, v79
	s_waitcnt vmcnt(13)
	v_fma_f32 v81, v83, v123, -v109
	v_add_f32_e32 v79, v79, v80
	v_fmac_f32_e32 v137, v82, v122
	s_waitcnt vmcnt(12)
	v_fma_f32 v82, v85, v124, -v110
	v_add_f32_e32 v79, v79, v81
	s_waitcnt vmcnt(11)
	v_fma_f32 v83, v87, v125, -v111
	v_add_f32_e32 v79, v79, v82
	v_mul_f32_e32 v80, v90, v112
	v_add_f32_e32 v79, v79, v83
	s_waitcnt vmcnt(10)
	v_fma_f32 v80, v89, v126, -v80
	v_add_f32_e32 v79, v79, v80
	v_mul_f32_e32 v80, v92, v113
	s_waitcnt vmcnt(9)
	v_fma_f32 v80, v91, v127, -v80
	v_add_f32_e32 v79, v79, v80
	v_mul_f32_e32 v80, v94, v114
	s_waitcnt vmcnt(8)
	v_fma_f32 v80, v93, v128, -v80
	v_add_f32_e32 v78, 0, v78
	v_add_f32_e32 v79, v79, v80
	v_mul_f32_e32 v80, v96, v115
	v_fmac_f32_e32 v138, v84, v123
	v_add_f32_e32 v78, v78, v137
	s_waitcnt vmcnt(7)
	v_fma_f32 v80, v95, v129, -v80
	v_fmac_f32_e32 v139, v86, v124
	v_add_f32_e32 v78, v78, v138
	v_add_f32_e32 v79, v79, v80
	v_mul_f32_e32 v80, v98, v116
	v_fmac_f32_e32 v140, v88, v125
	v_add_f32_e32 v78, v78, v139
	s_waitcnt vmcnt(6)
	v_fma_f32 v80, v97, v130, -v80
	v_fmac_f32_e32 v141, v90, v126
	v_add_f32_e32 v78, v78, v140
	v_add_f32_e32 v79, v79, v80
	s_waitcnt lgkmcnt(1)
	v_mul_f32_e32 v80, v100, v117
	v_fmac_f32_e32 v142, v92, v127
	v_add_f32_e32 v78, v78, v141
	s_waitcnt vmcnt(5)
	v_fma_f32 v80, v99, v131, -v80
	v_fmac_f32_e32 v143, v94, v128
	v_add_f32_e32 v78, v78, v142
	v_add_f32_e32 v79, v79, v80
	v_mul_f32_e32 v80, v102, v118
	v_mul_f32_e32 v145, v97, v116
	v_fmac_f32_e32 v144, v96, v129
	v_add_f32_e32 v78, v78, v143
	s_waitcnt vmcnt(4)
	v_fma_f32 v80, v101, v132, -v80
	v_mul_f32_e32 v146, v99, v117
	v_fmac_f32_e32 v145, v98, v130
	v_add_f32_e32 v78, v78, v144
	v_add_f32_e32 v79, v79, v80
	s_waitcnt lgkmcnt(0)
	v_mul_f32_e32 v80, v104, v119
	v_mul_f32_e32 v147, v101, v118
	v_fmac_f32_e32 v146, v100, v131
	v_add_f32_e32 v78, v78, v145
	s_waitcnt vmcnt(3)
	v_fma_f32 v80, v103, v133, -v80
	v_mul_f32_e32 v148, v103, v119
	v_fmac_f32_e32 v147, v102, v132
	v_add_f32_e32 v78, v78, v146
	v_add_f32_e32 v79, v79, v80
	v_mul_f32_e32 v80, v106, v120
	v_mul_f32_e32 v149, v105, v120
	v_fmac_f32_e32 v148, v104, v133
	v_add_f32_e32 v78, v78, v147
	s_waitcnt vmcnt(2)
	v_fma_f32 v80, v105, v134, -v80
	v_fmac_f32_e32 v149, v106, v134
	v_add_f32_e32 v78, v78, v148
	v_add_f32_e32 v79, v79, v80
	;; [unrolled: 1-line block ×3, first 2 shown]
	s_waitcnt vmcnt(1)
	v_sub_f32_e32 v79, v135, v79
	s_waitcnt vmcnt(0)
	v_sub_f32_e32 v78, v136, v78
	buffer_store_dword v79, off, s[0:3], 0 offset:184
	buffer_store_dword v78, off, s[0:3], 0 offset:188
	s_and_saveexec_b64 s[4:5], vcc
	s_cbranch_execz .LBB101_197
; %bb.196:
	buffer_load_dword v78, off, s[0:3], 0 offset:176
	buffer_load_dword v79, off, s[0:3], 0 offset:180
	v_mov_b32_e32 v80, 0
	buffer_store_dword v80, off, s[0:3], 0 offset:176
	buffer_store_dword v80, off, s[0:3], 0 offset:180
	s_waitcnt vmcnt(2)
	ds_write_b64 v77, v[78:79]
.LBB101_197:
	s_or_b64 exec, exec, s[4:5]
	s_waitcnt lgkmcnt(0)
	; wave barrier
	buffer_load_dword v109, off, s[0:3], 0 offset:188
	buffer_load_dword v110, off, s[0:3], 0 offset:196
	;; [unrolled: 1-line block ×32, first 2 shown]
	v_mov_b32_e32 v78, 0
	ds_read2_b64 v[79:82], v78 offset0:61 offset1:62
	ds_read2_b64 v[83:86], v78 offset0:63 offset1:64
	;; [unrolled: 1-line block ×7, first 2 shown]
	ds_read_b64 v[107:108], v78 offset:600
	v_cmp_lt_u32_e32 vcc, 21, v0
	s_waitcnt vmcnt(31) lgkmcnt(7)
	v_mul_f32_e32 v141, v79, v109
	v_mul_f32_e32 v109, v80, v109
	s_waitcnt vmcnt(30)
	v_mul_f32_e32 v142, v81, v110
	v_mul_f32_e32 v110, v82, v110
	s_waitcnt vmcnt(29) lgkmcnt(6)
	v_mul_f32_e32 v143, v83, v111
	v_mul_f32_e32 v111, v84, v111
	s_waitcnt vmcnt(28)
	v_mul_f32_e32 v144, v85, v112
	s_waitcnt vmcnt(27) lgkmcnt(5)
	v_mul_f32_e32 v145, v87, v113
	s_waitcnt vmcnt(26)
	v_mul_f32_e32 v146, v89, v114
	s_waitcnt vmcnt(25) lgkmcnt(4)
	v_mul_f32_e32 v147, v91, v115
	s_waitcnt vmcnt(24)
	v_mul_f32_e32 v148, v93, v116
	s_waitcnt vmcnt(23) lgkmcnt(3)
	v_mul_f32_e32 v149, v95, v117
	s_waitcnt vmcnt(22)
	v_mul_f32_e32 v150, v97, v118
	s_waitcnt vmcnt(21) lgkmcnt(2)
	v_mul_f32_e32 v151, v99, v119
	s_waitcnt vmcnt(20)
	v_mul_f32_e32 v152, v101, v120
	s_waitcnt vmcnt(16)
	v_fma_f32 v79, v79, v124, -v109
	v_fmac_f32_e32 v141, v80, v124
	s_waitcnt vmcnt(15)
	v_fma_f32 v80, v81, v125, -v110
	v_add_f32_e32 v79, 0, v79
	s_waitcnt vmcnt(14)
	v_fma_f32 v81, v83, v126, -v111
	v_add_f32_e32 v79, v79, v80
	v_add_f32_e32 v79, v79, v81
	v_mul_f32_e32 v81, v86, v112
	s_waitcnt vmcnt(13)
	v_fma_f32 v81, v85, v127, -v81
	v_add_f32_e32 v79, v79, v81
	v_mul_f32_e32 v81, v88, v113
	s_waitcnt vmcnt(12)
	v_fma_f32 v81, v87, v128, -v81
	;; [unrolled: 4-line block ×5, first 2 shown]
	v_add_f32_e32 v79, v79, v81
	v_mul_f32_e32 v81, v96, v117
	v_fmac_f32_e32 v142, v82, v125
	v_add_f32_e32 v82, 0, v141
	s_waitcnt vmcnt(8)
	v_fma_f32 v81, v95, v132, -v81
	v_fmac_f32_e32 v143, v84, v126
	v_add_f32_e32 v82, v82, v142
	v_add_f32_e32 v79, v79, v81
	v_mul_f32_e32 v81, v98, v118
	v_fmac_f32_e32 v144, v86, v127
	v_add_f32_e32 v80, v82, v143
	s_waitcnt vmcnt(7)
	v_fma_f32 v81, v97, v133, -v81
	v_fmac_f32_e32 v145, v88, v128
	v_add_f32_e32 v80, v80, v144
	;; [unrolled: 8-line block ×4, first 2 shown]
	v_add_f32_e32 v79, v79, v81
	s_waitcnt lgkmcnt(1)
	v_mul_f32_e32 v81, v104, v121
	v_fmac_f32_e32 v150, v98, v133
	v_add_f32_e32 v80, v80, v149
	s_waitcnt vmcnt(4)
	v_fma_f32 v81, v103, v136, -v81
	v_fmac_f32_e32 v151, v100, v134
	v_add_f32_e32 v80, v80, v150
	v_add_f32_e32 v79, v79, v81
	v_mul_f32_e32 v81, v106, v122
	v_mul_f32_e32 v153, v103, v121
	v_fmac_f32_e32 v152, v102, v135
	v_add_f32_e32 v80, v80, v151
	s_waitcnt vmcnt(3)
	v_fma_f32 v81, v105, v137, -v81
	v_mul_f32_e32 v154, v105, v122
	v_fmac_f32_e32 v153, v104, v136
	v_add_f32_e32 v80, v80, v152
	v_add_f32_e32 v79, v79, v81
	s_waitcnt lgkmcnt(0)
	v_mul_f32_e32 v81, v108, v123
	v_mul_f32_e32 v155, v107, v123
	v_fmac_f32_e32 v154, v106, v137
	v_add_f32_e32 v80, v80, v153
	s_waitcnt vmcnt(2)
	v_fma_f32 v81, v107, v138, -v81
	v_fmac_f32_e32 v155, v108, v138
	v_add_f32_e32 v80, v80, v154
	v_add_f32_e32 v79, v79, v81
	;; [unrolled: 1-line block ×3, first 2 shown]
	s_waitcnt vmcnt(1)
	v_sub_f32_e32 v79, v139, v79
	s_waitcnt vmcnt(0)
	v_sub_f32_e32 v80, v140, v80
	buffer_store_dword v79, off, s[0:3], 0 offset:176
	buffer_store_dword v80, off, s[0:3], 0 offset:180
	s_and_saveexec_b64 s[4:5], vcc
	s_cbranch_execz .LBB101_199
; %bb.198:
	buffer_load_dword v79, off, s[0:3], 0 offset:168
	buffer_load_dword v80, off, s[0:3], 0 offset:172
	s_waitcnt vmcnt(0)
	ds_write_b64 v77, v[79:80]
	buffer_store_dword v78, off, s[0:3], 0 offset:168
	buffer_store_dword v78, off, s[0:3], 0 offset:172
.LBB101_199:
	s_or_b64 exec, exec, s[4:5]
	s_waitcnt lgkmcnt(0)
	; wave barrier
	buffer_load_dword v111, off, s[0:3], 0 offset:180
	buffer_load_dword v112, off, s[0:3], 0 offset:188
	;; [unrolled: 1-line block ×34, first 2 shown]
	ds_read_b128 v[79:82], v78 offset:480
	ds_read_b128 v[83:86], v78 offset:496
	;; [unrolled: 1-line block ×8, first 2 shown]
	v_cmp_lt_u32_e32 vcc, 20, v0
	s_waitcnt vmcnt(33) lgkmcnt(7)
	v_mul_f32_e32 v78, v79, v111
	v_mul_f32_e32 v111, v80, v111
	s_waitcnt vmcnt(32)
	v_mul_f32_e32 v145, v81, v112
	v_mul_f32_e32 v112, v82, v112
	s_waitcnt vmcnt(31) lgkmcnt(6)
	v_mul_f32_e32 v146, v83, v113
	s_waitcnt vmcnt(30)
	v_mul_f32_e32 v147, v85, v114
	s_waitcnt vmcnt(29) lgkmcnt(5)
	v_mul_f32_e32 v148, v87, v115
	s_waitcnt vmcnt(28)
	v_mul_f32_e32 v149, v89, v116
	s_waitcnt vmcnt(27) lgkmcnt(4)
	v_mul_f32_e32 v150, v91, v117
	s_waitcnt vmcnt(26)
	v_mul_f32_e32 v151, v93, v118
	s_waitcnt vmcnt(25) lgkmcnt(3)
	v_mul_f32_e32 v152, v95, v119
	s_waitcnt vmcnt(24)
	v_mul_f32_e32 v153, v97, v120
	s_waitcnt vmcnt(23) lgkmcnt(2)
	v_mul_f32_e32 v154, v99, v121
	s_waitcnt vmcnt(22)
	v_mul_f32_e32 v155, v101, v122
	s_waitcnt vmcnt(21) lgkmcnt(1)
	v_mul_f32_e32 v156, v103, v123
	s_waitcnt vmcnt(20)
	v_mul_f32_e32 v157, v105, v124
	s_waitcnt vmcnt(17)
	v_fma_f32 v79, v79, v127, -v111
	v_fmac_f32_e32 v78, v80, v127
	s_waitcnt vmcnt(16)
	v_fma_f32 v80, v81, v128, -v112
	v_add_f32_e32 v79, 0, v79
	v_add_f32_e32 v79, v79, v80
	v_mul_f32_e32 v80, v84, v113
	s_waitcnt vmcnt(15)
	v_fma_f32 v80, v83, v129, -v80
	v_add_f32_e32 v79, v79, v80
	v_mul_f32_e32 v80, v86, v114
	s_waitcnt vmcnt(14)
	v_fma_f32 v80, v85, v130, -v80
	;; [unrolled: 4-line block ×7, first 2 shown]
	v_fmac_f32_e32 v145, v82, v128
	v_add_f32_e32 v78, 0, v78
	v_add_f32_e32 v79, v79, v80
	v_mul_f32_e32 v80, v98, v120
	v_fmac_f32_e32 v146, v84, v129
	v_add_f32_e32 v78, v78, v145
	s_waitcnt vmcnt(8)
	v_fma_f32 v80, v97, v136, -v80
	v_fmac_f32_e32 v147, v86, v130
	v_add_f32_e32 v78, v78, v146
	v_add_f32_e32 v79, v79, v80
	v_mul_f32_e32 v80, v100, v121
	v_fmac_f32_e32 v148, v88, v131
	v_add_f32_e32 v78, v78, v147
	s_waitcnt vmcnt(7)
	v_fma_f32 v80, v99, v137, -v80
	;; [unrolled: 8-line block ×5, first 2 shown]
	v_fmac_f32_e32 v155, v102, v138
	v_add_f32_e32 v78, v78, v154
	v_add_f32_e32 v79, v79, v80
	s_waitcnt lgkmcnt(0)
	v_mul_f32_e32 v80, v108, v125
	v_fmac_f32_e32 v156, v104, v139
	v_add_f32_e32 v78, v78, v155
	s_waitcnt vmcnt(3)
	v_fma_f32 v80, v107, v141, -v80
	v_mul_f32_e32 v158, v107, v125
	v_fmac_f32_e32 v157, v106, v140
	v_add_f32_e32 v78, v78, v156
	v_add_f32_e32 v79, v79, v80
	v_mul_f32_e32 v80, v110, v126
	v_mul_f32_e32 v159, v109, v126
	v_fmac_f32_e32 v158, v108, v141
	v_add_f32_e32 v78, v78, v157
	s_waitcnt vmcnt(2)
	v_fma_f32 v80, v109, v142, -v80
	v_fmac_f32_e32 v159, v110, v142
	v_add_f32_e32 v78, v78, v158
	v_add_f32_e32 v79, v79, v80
	;; [unrolled: 1-line block ×3, first 2 shown]
	s_waitcnt vmcnt(1)
	v_sub_f32_e32 v79, v143, v79
	s_waitcnt vmcnt(0)
	v_sub_f32_e32 v78, v144, v78
	buffer_store_dword v79, off, s[0:3], 0 offset:168
	buffer_store_dword v78, off, s[0:3], 0 offset:172
	s_and_saveexec_b64 s[4:5], vcc
	s_cbranch_execz .LBB101_201
; %bb.200:
	buffer_load_dword v78, off, s[0:3], 0 offset:160
	buffer_load_dword v79, off, s[0:3], 0 offset:164
	v_mov_b32_e32 v80, 0
	buffer_store_dword v80, off, s[0:3], 0 offset:160
	buffer_store_dword v80, off, s[0:3], 0 offset:164
	s_waitcnt vmcnt(2)
	ds_write_b64 v77, v[78:79]
.LBB101_201:
	s_or_b64 exec, exec, s[4:5]
	s_waitcnt lgkmcnt(0)
	; wave barrier
	buffer_load_dword v113, off, s[0:3], 0 offset:172
	buffer_load_dword v114, off, s[0:3], 0 offset:180
	;; [unrolled: 1-line block ×36, first 2 shown]
	v_mov_b32_e32 v78, 0
	ds_read2_b64 v[79:82], v78 offset0:59 offset1:60
	ds_read2_b64 v[83:86], v78 offset0:61 offset1:62
	;; [unrolled: 1-line block ×8, first 2 shown]
	ds_read_b64 v[111:112], v78 offset:600
	v_cmp_lt_u32_e32 vcc, 19, v0
	s_waitcnt vmcnt(35) lgkmcnt(8)
	v_mul_f32_e32 v149, v79, v113
	s_waitcnt vmcnt(34)
	v_mul_f32_e32 v150, v81, v114
	s_waitcnt vmcnt(33) lgkmcnt(7)
	v_mul_f32_e32 v151, v83, v115
	s_waitcnt vmcnt(32)
	v_mul_f32_e32 v152, v85, v116
	;; [unrolled: 4-line block ×8, first 2 shown]
	s_waitcnt vmcnt(19) lgkmcnt(0)
	v_mul_f32_e32 v165, v111, v129
	s_waitcnt vmcnt(18)
	v_fmac_f32_e32 v149, v80, v130
	v_mul_f32_e32 v80, v80, v113
	v_fma_f32 v79, v79, v130, -v80
	v_mul_f32_e32 v80, v82, v114
	v_add_f32_e32 v79, 0, v79
	s_waitcnt vmcnt(17)
	v_fma_f32 v80, v81, v131, -v80
	v_add_f32_e32 v79, v79, v80
	v_mul_f32_e32 v80, v84, v115
	s_waitcnt vmcnt(16)
	v_fma_f32 v80, v83, v132, -v80
	v_add_f32_e32 v79, v79, v80
	v_mul_f32_e32 v80, v86, v116
	;; [unrolled: 4-line block ×8, first 2 shown]
	v_fmac_f32_e32 v150, v82, v131
	v_add_f32_e32 v149, 0, v149
	s_waitcnt vmcnt(9)
	v_fma_f32 v80, v97, v139, -v80
	v_fmac_f32_e32 v151, v84, v132
	v_add_f32_e32 v149, v149, v150
	v_add_f32_e32 v79, v79, v80
	v_mul_f32_e32 v80, v100, v123
	v_fmac_f32_e32 v152, v86, v133
	v_add_f32_e32 v149, v149, v151
	s_waitcnt vmcnt(8)
	v_fma_f32 v80, v99, v140, -v80
	v_fmac_f32_e32 v153, v88, v134
	v_add_f32_e32 v149, v149, v152
	v_add_f32_e32 v79, v79, v80
	v_mul_f32_e32 v80, v102, v124
	;; [unrolled: 8-line block ×7, first 2 shown]
	v_fmac_f32_e32 v164, v110, v145
	v_add_f32_e32 v149, v149, v163
	s_waitcnt vmcnt(2)
	v_fma_f32 v80, v111, v146, -v80
	v_fmac_f32_e32 v165, v112, v146
	v_add_f32_e32 v149, v149, v164
	v_add_f32_e32 v79, v79, v80
	;; [unrolled: 1-line block ×3, first 2 shown]
	s_waitcnt vmcnt(1)
	v_sub_f32_e32 v79, v147, v79
	s_waitcnt vmcnt(0)
	v_sub_f32_e32 v80, v148, v149
	buffer_store_dword v79, off, s[0:3], 0 offset:160
	buffer_store_dword v80, off, s[0:3], 0 offset:164
	s_and_saveexec_b64 s[4:5], vcc
	s_cbranch_execz .LBB101_203
; %bb.202:
	buffer_load_dword v79, off, s[0:3], 0 offset:152
	buffer_load_dword v80, off, s[0:3], 0 offset:156
	s_waitcnt vmcnt(0)
	ds_write_b64 v77, v[79:80]
	buffer_store_dword v78, off, s[0:3], 0 offset:152
	buffer_store_dword v78, off, s[0:3], 0 offset:156
.LBB101_203:
	s_or_b64 exec, exec, s[4:5]
	s_waitcnt lgkmcnt(0)
	; wave barrier
	buffer_load_dword v115, off, s[0:3], 0 offset:164
	buffer_load_dword v116, off, s[0:3], 0 offset:172
	;; [unrolled: 1-line block ×38, first 2 shown]
	ds_read_b128 v[79:82], v78 offset:464
	ds_read_b128 v[83:86], v78 offset:480
	;; [unrolled: 1-line block ×9, first 2 shown]
	v_cmp_lt_u32_e32 vcc, 18, v0
	s_waitcnt vmcnt(37) lgkmcnt(8)
	v_mul_f32_e32 v78, v79, v115
	s_waitcnt vmcnt(36)
	v_mul_f32_e32 v153, v81, v116
	s_waitcnt vmcnt(35) lgkmcnt(7)
	v_mul_f32_e32 v154, v83, v117
	s_waitcnt vmcnt(34)
	v_mul_f32_e32 v155, v85, v118
	;; [unrolled: 4-line block ×8, first 2 shown]
	s_waitcnt vmcnt(21) lgkmcnt(0)
	v_mul_f32_e32 v168, v111, v131
	s_waitcnt vmcnt(20)
	v_fmac_f32_e32 v78, v80, v132
	v_mul_f32_e32 v80, v80, v115
	v_fma_f32 v79, v79, v132, -v80
	v_mul_f32_e32 v80, v82, v116
	v_add_f32_e32 v79, 0, v79
	s_waitcnt vmcnt(19)
	v_fma_f32 v80, v81, v133, -v80
	v_add_f32_e32 v79, v79, v80
	v_mul_f32_e32 v80, v84, v117
	s_waitcnt vmcnt(18)
	v_fma_f32 v80, v83, v134, -v80
	v_add_f32_e32 v79, v79, v80
	v_mul_f32_e32 v80, v86, v118
	;; [unrolled: 4-line block ×8, first 2 shown]
	s_waitcnt vmcnt(11)
	v_fma_f32 v80, v97, v141, -v80
	v_fmac_f32_e32 v153, v82, v133
	v_add_f32_e32 v78, 0, v78
	v_add_f32_e32 v79, v79, v80
	v_mul_f32_e32 v80, v100, v125
	v_fmac_f32_e32 v154, v84, v134
	v_add_f32_e32 v78, v78, v153
	s_waitcnt vmcnt(10)
	v_fma_f32 v80, v99, v142, -v80
	v_fmac_f32_e32 v155, v86, v135
	v_add_f32_e32 v78, v78, v154
	v_add_f32_e32 v79, v79, v80
	v_mul_f32_e32 v80, v102, v126
	v_fmac_f32_e32 v156, v88, v136
	v_add_f32_e32 v78, v78, v155
	;; [unrolled: 8-line block ×7, first 2 shown]
	s_waitcnt vmcnt(4)
	v_fma_f32 v80, v111, v148, -v80
	v_fmac_f32_e32 v167, v110, v147
	v_add_f32_e32 v78, v78, v166
	v_add_f32_e32 v79, v79, v80
	s_waitcnt vmcnt(3)
	v_mul_f32_e32 v80, v114, v149
	v_add_f32_e32 v78, v78, v167
	v_fmac_f32_e32 v168, v112, v148
	v_mul_f32_e32 v153, v113, v149
	s_waitcnt vmcnt(2)
	v_fma_f32 v80, v113, v150, -v80
	v_add_f32_e32 v78, v78, v168
	v_fmac_f32_e32 v153, v114, v150
	v_add_f32_e32 v79, v79, v80
	v_add_f32_e32 v78, v78, v153
	s_waitcnt vmcnt(1)
	v_sub_f32_e32 v79, v151, v79
	s_waitcnt vmcnt(0)
	v_sub_f32_e32 v78, v152, v78
	buffer_store_dword v79, off, s[0:3], 0 offset:152
	buffer_store_dword v78, off, s[0:3], 0 offset:156
	s_and_saveexec_b64 s[4:5], vcc
	s_cbranch_execz .LBB101_205
; %bb.204:
	buffer_load_dword v78, off, s[0:3], 0 offset:144
	buffer_load_dword v79, off, s[0:3], 0 offset:148
	v_mov_b32_e32 v80, 0
	buffer_store_dword v80, off, s[0:3], 0 offset:144
	buffer_store_dword v80, off, s[0:3], 0 offset:148
	s_waitcnt vmcnt(2)
	ds_write_b64 v77, v[78:79]
.LBB101_205:
	s_or_b64 exec, exec, s[4:5]
	s_waitcnt lgkmcnt(0)
	; wave barrier
	buffer_load_dword v117, off, s[0:3], 0 offset:156
	buffer_load_dword v118, off, s[0:3], 0 offset:164
	;; [unrolled: 1-line block ×40, first 2 shown]
	v_mov_b32_e32 v78, 0
	ds_read2_b64 v[79:82], v78 offset0:57 offset1:58
	ds_read2_b64 v[83:86], v78 offset0:59 offset1:60
	;; [unrolled: 1-line block ×9, first 2 shown]
	v_cmp_lt_u32_e32 vcc, 17, v0
	s_waitcnt vmcnt(39) lgkmcnt(8)
	v_mul_f32_e32 v115, v79, v117
	s_waitcnt vmcnt(38)
	v_mul_f32_e32 v116, v81, v118
	s_waitcnt vmcnt(37) lgkmcnt(7)
	v_mul_f32_e32 v157, v83, v119
	s_waitcnt vmcnt(36)
	v_mul_f32_e32 v158, v85, v120
	s_waitcnt vmcnt(35) lgkmcnt(6)
	v_mul_f32_e32 v159, v87, v121
	s_waitcnt vmcnt(34)
	v_mul_f32_e32 v160, v89, v122
	s_waitcnt vmcnt(33) lgkmcnt(5)
	v_mul_f32_e32 v161, v91, v123
	s_waitcnt vmcnt(32)
	v_mul_f32_e32 v162, v93, v124
	s_waitcnt vmcnt(31) lgkmcnt(4)
	v_mul_f32_e32 v163, v95, v125
	s_waitcnt vmcnt(30)
	v_mul_f32_e32 v164, v97, v126
	s_waitcnt vmcnt(29) lgkmcnt(3)
	v_mul_f32_e32 v165, v99, v127
	s_waitcnt vmcnt(28)
	v_mul_f32_e32 v166, v101, v128
	s_waitcnt vmcnt(27) lgkmcnt(2)
	v_mul_f32_e32 v167, v103, v129
	s_waitcnt vmcnt(26)
	v_mul_f32_e32 v168, v105, v130
	s_waitcnt vmcnt(25) lgkmcnt(1)
	v_mul_f32_e32 v169, v107, v131
	s_waitcnt vmcnt(24)
	v_fmac_f32_e32 v115, v80, v132
	v_mul_f32_e32 v80, v80, v117
	v_fma_f32 v79, v79, v132, -v80
	v_mul_f32_e32 v80, v82, v118
	v_add_f32_e32 v79, 0, v79
	s_waitcnt vmcnt(23)
	v_fma_f32 v80, v81, v133, -v80
	v_add_f32_e32 v79, v79, v80
	v_mul_f32_e32 v80, v84, v119
	s_waitcnt vmcnt(22)
	v_fma_f32 v80, v83, v134, -v80
	v_add_f32_e32 v79, v79, v80
	v_mul_f32_e32 v80, v86, v120
	;; [unrolled: 4-line block ×6, first 2 shown]
	s_waitcnt vmcnt(17)
	v_fma_f32 v80, v93, v139, -v80
	v_fmac_f32_e32 v116, v82, v133
	v_add_f32_e32 v115, 0, v115
	v_add_f32_e32 v79, v79, v80
	v_mul_f32_e32 v80, v96, v125
	v_fmac_f32_e32 v157, v84, v134
	v_add_f32_e32 v115, v115, v116
	s_waitcnt vmcnt(16)
	v_fma_f32 v80, v95, v140, -v80
	v_fmac_f32_e32 v158, v86, v135
	v_add_f32_e32 v115, v115, v157
	v_add_f32_e32 v79, v79, v80
	v_mul_f32_e32 v80, v98, v126
	v_fmac_f32_e32 v159, v88, v136
	v_add_f32_e32 v115, v115, v158
	;; [unrolled: 8-line block ×6, first 2 shown]
	s_waitcnt vmcnt(11)
	v_fma_f32 v80, v105, v145, -v80
	v_fmac_f32_e32 v168, v106, v145
	v_add_f32_e32 v115, v115, v167
	v_add_f32_e32 v79, v79, v80
	v_mul_f32_e32 v80, v108, v131
	s_waitcnt vmcnt(10)
	v_fmac_f32_e32 v169, v108, v146
	v_add_f32_e32 v115, v115, v168
	s_waitcnt vmcnt(9)
	v_mul_f32_e32 v116, v109, v147
	v_fma_f32 v80, v107, v146, -v80
	v_add_f32_e32 v115, v115, v169
	s_waitcnt vmcnt(8)
	v_fmac_f32_e32 v116, v110, v148
	v_add_f32_e32 v79, v79, v80
	v_mul_f32_e32 v80, v110, v147
	v_add_f32_e32 v157, v115, v116
	ds_read_b64 v[115:116], v78 offset:600
	v_fma_f32 v80, v109, v148, -v80
	v_add_f32_e32 v79, v79, v80
	s_waitcnt vmcnt(7) lgkmcnt(1)
	v_mul_f32_e32 v80, v112, v149
	v_mul_f32_e32 v158, v111, v149
	s_waitcnt vmcnt(6)
	v_fma_f32 v80, v111, v150, -v80
	v_fmac_f32_e32 v158, v112, v150
	v_add_f32_e32 v79, v79, v80
	s_waitcnt vmcnt(5)
	v_mul_f32_e32 v80, v114, v151
	v_add_f32_e32 v157, v157, v158
	v_mul_f32_e32 v158, v113, v151
	s_waitcnt vmcnt(4)
	v_fma_f32 v80, v113, v152, -v80
	v_fmac_f32_e32 v158, v114, v152
	v_add_f32_e32 v79, v79, v80
	s_waitcnt vmcnt(3) lgkmcnt(0)
	v_mul_f32_e32 v80, v116, v153
	v_add_f32_e32 v157, v157, v158
	v_mul_f32_e32 v158, v115, v153
	s_waitcnt vmcnt(2)
	v_fma_f32 v80, v115, v154, -v80
	v_fmac_f32_e32 v158, v116, v154
	v_add_f32_e32 v79, v79, v80
	v_add_f32_e32 v157, v157, v158
	s_waitcnt vmcnt(1)
	v_sub_f32_e32 v79, v155, v79
	s_waitcnt vmcnt(0)
	v_sub_f32_e32 v80, v156, v157
	buffer_store_dword v79, off, s[0:3], 0 offset:144
	buffer_store_dword v80, off, s[0:3], 0 offset:148
	s_and_saveexec_b64 s[4:5], vcc
	s_cbranch_execz .LBB101_207
; %bb.206:
	buffer_load_dword v79, off, s[0:3], 0 offset:136
	buffer_load_dword v80, off, s[0:3], 0 offset:140
	s_waitcnt vmcnt(0)
	ds_write_b64 v77, v[79:80]
	buffer_store_dword v78, off, s[0:3], 0 offset:136
	buffer_store_dword v78, off, s[0:3], 0 offset:140
.LBB101_207:
	s_or_b64 exec, exec, s[4:5]
	s_waitcnt lgkmcnt(0)
	; wave barrier
	buffer_load_dword v119, off, s[0:3], 0 offset:148
	buffer_load_dword v120, off, s[0:3], 0 offset:156
	;; [unrolled: 1-line block ×42, first 2 shown]
	ds_read_b128 v[79:82], v78 offset:448
	ds_read_b128 v[83:86], v78 offset:464
	;; [unrolled: 1-line block ×8, first 2 shown]
	v_cmp_lt_u32_e32 vcc, 16, v0
	s_waitcnt vmcnt(41) lgkmcnt(7)
	v_mul_f32_e32 v111, v79, v119
	s_waitcnt vmcnt(40)
	v_mul_f32_e32 v112, v81, v120
	s_waitcnt vmcnt(39) lgkmcnt(6)
	v_mul_f32_e32 v113, v83, v121
	s_waitcnt vmcnt(38)
	v_mul_f32_e32 v114, v85, v122
	s_waitcnt vmcnt(37) lgkmcnt(5)
	v_mul_f32_e32 v115, v87, v123
	s_waitcnt vmcnt(36)
	v_mul_f32_e32 v116, v89, v124
	s_waitcnt vmcnt(35) lgkmcnt(4)
	v_mul_f32_e32 v117, v91, v125
	s_waitcnt vmcnt(34)
	v_mul_f32_e32 v118, v93, v126
	s_waitcnt vmcnt(33) lgkmcnt(3)
	v_mul_f32_e32 v161, v95, v127
	s_waitcnt vmcnt(32)
	v_mul_f32_e32 v162, v97, v128
	s_waitcnt vmcnt(31) lgkmcnt(2)
	v_mul_f32_e32 v163, v99, v129
	s_waitcnt vmcnt(30)
	v_mul_f32_e32 v164, v101, v130
	s_waitcnt vmcnt(29) lgkmcnt(1)
	v_mul_f32_e32 v165, v103, v131
	s_waitcnt vmcnt(28)
	v_mul_f32_e32 v166, v105, v132
	s_waitcnt vmcnt(27) lgkmcnt(0)
	v_mul_f32_e32 v167, v107, v133
	s_waitcnt vmcnt(26)
	v_fmac_f32_e32 v111, v80, v134
	v_mul_f32_e32 v80, v80, v119
	v_fma_f32 v79, v79, v134, -v80
	v_mul_f32_e32 v80, v82, v120
	v_add_f32_e32 v79, 0, v79
	s_waitcnt vmcnt(25)
	v_fma_f32 v80, v81, v135, -v80
	v_add_f32_e32 v79, v79, v80
	v_mul_f32_e32 v80, v84, v121
	s_waitcnt vmcnt(24)
	v_fma_f32 v80, v83, v136, -v80
	v_add_f32_e32 v79, v79, v80
	v_mul_f32_e32 v80, v86, v122
	;; [unrolled: 4-line block ×5, first 2 shown]
	v_fmac_f32_e32 v112, v82, v135
	v_add_f32_e32 v111, 0, v111
	s_waitcnt vmcnt(20)
	v_fma_f32 v80, v91, v140, -v80
	v_fmac_f32_e32 v113, v84, v136
	v_add_f32_e32 v111, v111, v112
	v_add_f32_e32 v79, v79, v80
	v_mul_f32_e32 v80, v94, v126
	v_fmac_f32_e32 v114, v86, v137
	v_add_f32_e32 v111, v111, v113
	s_waitcnt vmcnt(19)
	v_fma_f32 v80, v93, v141, -v80
	v_fmac_f32_e32 v115, v88, v138
	v_add_f32_e32 v111, v111, v114
	v_add_f32_e32 v79, v79, v80
	v_mul_f32_e32 v80, v96, v127
	;; [unrolled: 8-line block ×5, first 2 shown]
	s_waitcnt vmcnt(15)
	v_fmac_f32_e32 v164, v102, v145
	v_add_f32_e32 v111, v111, v163
	v_fma_f32 v80, v101, v145, -v80
	s_waitcnt vmcnt(14)
	v_fmac_f32_e32 v165, v104, v146
	v_add_f32_e32 v111, v111, v164
	v_add_f32_e32 v79, v79, v80
	v_mul_f32_e32 v80, v104, v131
	s_waitcnt vmcnt(13)
	v_fmac_f32_e32 v166, v106, v147
	v_add_f32_e32 v111, v111, v165
	v_fma_f32 v80, v103, v146, -v80
	s_waitcnt vmcnt(12)
	v_fmac_f32_e32 v167, v108, v148
	v_add_f32_e32 v111, v111, v166
	v_add_f32_e32 v79, v79, v80
	v_mul_f32_e32 v80, v106, v132
	v_add_f32_e32 v115, v111, v167
	ds_read_b128 v[111:114], v78 offset:576
	v_fma_f32 v80, v105, v147, -v80
	v_add_f32_e32 v79, v79, v80
	v_mul_f32_e32 v80, v108, v133
	s_waitcnt vmcnt(11)
	v_mul_f32_e32 v116, v109, v149
	v_fma_f32 v80, v107, v148, -v80
	s_waitcnt vmcnt(10)
	v_fmac_f32_e32 v116, v110, v150
	v_add_f32_e32 v79, v79, v80
	v_mul_f32_e32 v80, v110, v149
	v_add_f32_e32 v161, v115, v116
	ds_read_b128 v[115:118], v78 offset:592
	v_fma_f32 v80, v109, v150, -v80
	v_add_f32_e32 v79, v79, v80
	s_waitcnt vmcnt(9) lgkmcnt(1)
	v_mul_f32_e32 v80, v112, v151
	v_mul_f32_e32 v78, v111, v151
	s_waitcnt vmcnt(8)
	v_fma_f32 v80, v111, v152, -v80
	v_fmac_f32_e32 v78, v112, v152
	v_add_f32_e32 v79, v79, v80
	s_waitcnt vmcnt(7)
	v_mul_f32_e32 v80, v114, v153
	v_add_f32_e32 v78, v161, v78
	v_mul_f32_e32 v161, v113, v153
	s_waitcnt vmcnt(6)
	v_fma_f32 v80, v113, v154, -v80
	v_fmac_f32_e32 v161, v114, v154
	v_add_f32_e32 v79, v79, v80
	s_waitcnt vmcnt(5) lgkmcnt(0)
	v_mul_f32_e32 v80, v116, v155
	v_add_f32_e32 v78, v78, v161
	v_mul_f32_e32 v161, v115, v155
	s_waitcnt vmcnt(4)
	v_fma_f32 v80, v115, v156, -v80
	v_fmac_f32_e32 v161, v116, v156
	v_add_f32_e32 v79, v79, v80
	s_waitcnt vmcnt(3)
	v_mul_f32_e32 v80, v118, v157
	v_add_f32_e32 v78, v78, v161
	v_mul_f32_e32 v161, v117, v157
	s_waitcnt vmcnt(2)
	v_fma_f32 v80, v117, v158, -v80
	v_fmac_f32_e32 v161, v118, v158
	v_add_f32_e32 v79, v79, v80
	v_add_f32_e32 v78, v78, v161
	s_waitcnt vmcnt(1)
	v_sub_f32_e32 v79, v159, v79
	s_waitcnt vmcnt(0)
	v_sub_f32_e32 v78, v160, v78
	buffer_store_dword v79, off, s[0:3], 0 offset:136
	buffer_store_dword v78, off, s[0:3], 0 offset:140
	s_and_saveexec_b64 s[4:5], vcc
	s_cbranch_execz .LBB101_209
; %bb.208:
	buffer_load_dword v78, off, s[0:3], 0 offset:128
	buffer_load_dword v79, off, s[0:3], 0 offset:132
	v_mov_b32_e32 v80, 0
	buffer_store_dword v80, off, s[0:3], 0 offset:128
	buffer_store_dword v80, off, s[0:3], 0 offset:132
	s_waitcnt vmcnt(2)
	ds_write_b64 v77, v[78:79]
.LBB101_209:
	s_or_b64 exec, exec, s[4:5]
	s_waitcnt lgkmcnt(0)
	; wave barrier
	buffer_load_dword v121, off, s[0:3], 0 offset:140
	buffer_load_dword v122, off, s[0:3], 0 offset:148
	buffer_load_dword v123, off, s[0:3], 0 offset:156
	buffer_load_dword v124, off, s[0:3], 0 offset:164
	buffer_load_dword v125, off, s[0:3], 0 offset:172
	buffer_load_dword v126, off, s[0:3], 0 offset:180
	buffer_load_dword v127, off, s[0:3], 0 offset:188
	buffer_load_dword v128, off, s[0:3], 0 offset:196
	buffer_load_dword v129, off, s[0:3], 0 offset:204
	buffer_load_dword v130, off, s[0:3], 0 offset:212
	buffer_load_dword v131, off, s[0:3], 0 offset:220
	buffer_load_dword v132, off, s[0:3], 0 offset:228
	buffer_load_dword v133, off, s[0:3], 0 offset:236
	buffer_load_dword v134, off, s[0:3], 0 offset:244
	buffer_load_dword v135, off, s[0:3], 0 offset:136
	buffer_load_dword v136, off, s[0:3], 0 offset:144
	buffer_load_dword v137, off, s[0:3], 0 offset:152
	buffer_load_dword v138, off, s[0:3], 0 offset:160
	buffer_load_dword v139, off, s[0:3], 0 offset:168
	buffer_load_dword v140, off, s[0:3], 0 offset:176
	buffer_load_dword v141, off, s[0:3], 0 offset:184
	buffer_load_dword v142, off, s[0:3], 0 offset:192
	buffer_load_dword v143, off, s[0:3], 0 offset:200
	buffer_load_dword v144, off, s[0:3], 0 offset:208
	buffer_load_dword v145, off, s[0:3], 0 offset:216
	buffer_load_dword v146, off, s[0:3], 0 offset:224
	buffer_load_dword v147, off, s[0:3], 0 offset:232
	buffer_load_dword v148, off, s[0:3], 0 offset:240
	buffer_load_dword v149, off, s[0:3], 0 offset:252
	buffer_load_dword v150, off, s[0:3], 0 offset:248
	buffer_load_dword v151, off, s[0:3], 0 offset:260
	buffer_load_dword v152, off, s[0:3], 0 offset:256
	buffer_load_dword v153, off, s[0:3], 0 offset:268
	buffer_load_dword v154, off, s[0:3], 0 offset:264
	buffer_load_dword v155, off, s[0:3], 0 offset:276
	buffer_load_dword v156, off, s[0:3], 0 offset:272
	buffer_load_dword v157, off, s[0:3], 0 offset:284
	buffer_load_dword v158, off, s[0:3], 0 offset:280
	buffer_load_dword v159, off, s[0:3], 0 offset:292
	buffer_load_dword v160, off, s[0:3], 0 offset:288
	buffer_load_dword v161, off, s[0:3], 0 offset:300
	buffer_load_dword v162, off, s[0:3], 0 offset:296
	buffer_load_dword v163, off, s[0:3], 0 offset:128
	buffer_load_dword v164, off, s[0:3], 0 offset:132
	v_mov_b32_e32 v78, 0
	ds_read2_b64 v[79:82], v78 offset0:55 offset1:56
	ds_read2_b64 v[83:86], v78 offset0:57 offset1:58
	;; [unrolled: 1-line block ×8, first 2 shown]
	v_cmp_lt_u32_e32 vcc, 15, v0
	s_waitcnt vmcnt(43) lgkmcnt(7)
	v_mul_f32_e32 v111, v79, v121
	s_waitcnt vmcnt(42)
	v_mul_f32_e32 v112, v81, v122
	s_waitcnt vmcnt(41) lgkmcnt(6)
	v_mul_f32_e32 v113, v83, v123
	s_waitcnt vmcnt(40)
	v_mul_f32_e32 v114, v85, v124
	;; [unrolled: 4-line block ×7, first 2 shown]
	s_waitcnt vmcnt(29)
	v_fmac_f32_e32 v111, v80, v135
	v_mul_f32_e32 v80, v80, v121
	v_fma_f32 v79, v79, v135, -v80
	v_mul_f32_e32 v80, v82, v122
	v_add_f32_e32 v79, 0, v79
	s_waitcnt vmcnt(28)
	v_fma_f32 v80, v81, v136, -v80
	v_add_f32_e32 v79, v79, v80
	v_mul_f32_e32 v80, v84, v123
	s_waitcnt vmcnt(27)
	v_fma_f32 v80, v83, v137, -v80
	v_add_f32_e32 v79, v79, v80
	v_mul_f32_e32 v80, v86, v124
	s_waitcnt vmcnt(26)
	v_fma_f32 v80, v85, v138, -v80
	v_add_f32_e32 v79, v79, v80
	v_mul_f32_e32 v80, v88, v125
	s_waitcnt vmcnt(25)
	v_fma_f32 v80, v87, v139, -v80
	v_add_f32_e32 v79, v79, v80
	v_mul_f32_e32 v80, v90, v126
	s_waitcnt vmcnt(24)
	v_fma_f32 v80, v89, v140, -v80
	v_fmac_f32_e32 v112, v82, v136
	v_add_f32_e32 v111, 0, v111
	v_add_f32_e32 v79, v79, v80
	v_mul_f32_e32 v80, v92, v127
	v_fmac_f32_e32 v113, v84, v137
	v_add_f32_e32 v111, v111, v112
	s_waitcnt vmcnt(23)
	v_fma_f32 v80, v91, v141, -v80
	v_fmac_f32_e32 v114, v86, v138
	v_add_f32_e32 v111, v111, v113
	v_add_f32_e32 v79, v79, v80
	v_mul_f32_e32 v80, v94, v128
	v_fmac_f32_e32 v115, v88, v139
	v_add_f32_e32 v111, v111, v114
	;; [unrolled: 8-line block ×4, first 2 shown]
	s_waitcnt vmcnt(20)
	v_fma_f32 v80, v97, v144, -v80
	v_fmac_f32_e32 v120, v98, v144
	v_add_f32_e32 v111, v111, v119
	v_add_f32_e32 v79, v79, v80
	v_mul_f32_e32 v80, v100, v131
	s_waitcnt vmcnt(19)
	v_fmac_f32_e32 v165, v100, v145
	v_add_f32_e32 v111, v111, v120
	v_fma_f32 v80, v99, v145, -v80
	s_waitcnt vmcnt(18)
	v_fmac_f32_e32 v166, v102, v146
	v_add_f32_e32 v111, v111, v165
	v_add_f32_e32 v79, v79, v80
	v_mul_f32_e32 v80, v102, v132
	s_waitcnt vmcnt(17)
	v_fmac_f32_e32 v167, v104, v147
	v_add_f32_e32 v111, v111, v166
	v_fma_f32 v80, v101, v146, -v80
	v_add_f32_e32 v111, v111, v167
	s_waitcnt vmcnt(16)
	v_fmac_f32_e32 v168, v106, v148
	s_waitcnt vmcnt(15) lgkmcnt(0)
	v_mul_f32_e32 v112, v107, v149
	v_add_f32_e32 v79, v79, v80
	v_mul_f32_e32 v80, v104, v133
	v_add_f32_e32 v111, v111, v168
	s_waitcnt vmcnt(14)
	v_fmac_f32_e32 v112, v108, v150
	v_fma_f32 v80, v103, v147, -v80
	v_add_f32_e32 v115, v111, v112
	ds_read2_b64 v[111:114], v78 offset0:71 offset1:72
	v_add_f32_e32 v79, v79, v80
	v_mul_f32_e32 v80, v106, v134
	v_fma_f32 v80, v105, v148, -v80
	v_add_f32_e32 v79, v79, v80
	v_mul_f32_e32 v80, v108, v149
	s_waitcnt vmcnt(13)
	v_mul_f32_e32 v116, v109, v151
	v_fma_f32 v80, v107, v150, -v80
	s_waitcnt vmcnt(12)
	v_fmac_f32_e32 v116, v110, v152
	v_add_f32_e32 v79, v79, v80
	v_mul_f32_e32 v80, v110, v151
	v_add_f32_e32 v119, v115, v116
	ds_read2_b64 v[115:118], v78 offset0:73 offset1:74
	s_waitcnt vmcnt(11) lgkmcnt(1)
	v_mul_f32_e32 v120, v111, v153
	v_fma_f32 v80, v109, v152, -v80
	s_waitcnt vmcnt(10)
	v_fmac_f32_e32 v120, v112, v154
	v_add_f32_e32 v79, v79, v80
	v_mul_f32_e32 v80, v112, v153
	v_add_f32_e32 v119, v119, v120
	s_waitcnt vmcnt(9)
	v_mul_f32_e32 v120, v113, v155
	v_fma_f32 v80, v111, v154, -v80
	s_waitcnt vmcnt(8)
	v_fmac_f32_e32 v120, v114, v156
	v_add_f32_e32 v79, v79, v80
	v_mul_f32_e32 v80, v114, v155
	v_add_f32_e32 v165, v119, v120
	ds_read_b64 v[119:120], v78 offset:600
	v_fma_f32 v80, v113, v156, -v80
	v_add_f32_e32 v79, v79, v80
	s_waitcnt vmcnt(7) lgkmcnt(1)
	v_mul_f32_e32 v80, v116, v157
	v_mul_f32_e32 v166, v115, v157
	s_waitcnt vmcnt(6)
	v_fma_f32 v80, v115, v158, -v80
	v_fmac_f32_e32 v166, v116, v158
	v_add_f32_e32 v79, v79, v80
	s_waitcnt vmcnt(5)
	v_mul_f32_e32 v80, v118, v159
	v_add_f32_e32 v165, v165, v166
	v_mul_f32_e32 v166, v117, v159
	s_waitcnt vmcnt(4)
	v_fma_f32 v80, v117, v160, -v80
	v_fmac_f32_e32 v166, v118, v160
	v_add_f32_e32 v79, v79, v80
	s_waitcnt vmcnt(3) lgkmcnt(0)
	v_mul_f32_e32 v80, v120, v161
	v_add_f32_e32 v165, v165, v166
	v_mul_f32_e32 v166, v119, v161
	s_waitcnt vmcnt(2)
	v_fma_f32 v80, v119, v162, -v80
	v_fmac_f32_e32 v166, v120, v162
	v_add_f32_e32 v79, v79, v80
	v_add_f32_e32 v165, v165, v166
	s_waitcnt vmcnt(1)
	v_sub_f32_e32 v79, v163, v79
	s_waitcnt vmcnt(0)
	v_sub_f32_e32 v80, v164, v165
	buffer_store_dword v79, off, s[0:3], 0 offset:128
	buffer_store_dword v80, off, s[0:3], 0 offset:132
	s_and_saveexec_b64 s[4:5], vcc
	s_cbranch_execz .LBB101_211
; %bb.210:
	buffer_load_dword v79, off, s[0:3], 0 offset:120
	buffer_load_dword v80, off, s[0:3], 0 offset:124
	s_waitcnt vmcnt(0)
	ds_write_b64 v77, v[79:80]
	buffer_store_dword v78, off, s[0:3], 0 offset:120
	buffer_store_dword v78, off, s[0:3], 0 offset:124
.LBB101_211:
	s_or_b64 exec, exec, s[4:5]
	s_waitcnt lgkmcnt(0)
	; wave barrier
	buffer_load_dword v123, off, s[0:3], 0 offset:132
	buffer_load_dword v124, off, s[0:3], 0 offset:140
	;; [unrolled: 1-line block ×46, first 2 shown]
	ds_read_b128 v[79:82], v78 offset:432
	ds_read_b128 v[83:86], v78 offset:448
	;; [unrolled: 1-line block ×8, first 2 shown]
	v_cmp_lt_u32_e32 vcc, 14, v0
	s_waitcnt vmcnt(45) lgkmcnt(7)
	v_mul_f32_e32 v111, v79, v123
	s_waitcnt vmcnt(44)
	v_mul_f32_e32 v112, v81, v124
	s_waitcnt vmcnt(43) lgkmcnt(6)
	v_mul_f32_e32 v113, v83, v125
	s_waitcnt vmcnt(42)
	v_mul_f32_e32 v114, v85, v126
	;; [unrolled: 4-line block ×6, first 2 shown]
	s_waitcnt vmcnt(33) lgkmcnt(1)
	v_mul_f32_e32 v169, v103, v135
	s_waitcnt vmcnt(32)
	v_fmac_f32_e32 v111, v80, v136
	v_mul_f32_e32 v80, v80, v123
	v_fma_f32 v79, v79, v136, -v80
	v_mul_f32_e32 v80, v82, v124
	v_add_f32_e32 v79, 0, v79
	s_waitcnt vmcnt(31)
	v_fma_f32 v80, v81, v137, -v80
	v_add_f32_e32 v79, v79, v80
	v_mul_f32_e32 v80, v84, v125
	s_waitcnt vmcnt(30)
	v_fma_f32 v80, v83, v138, -v80
	v_add_f32_e32 v79, v79, v80
	v_mul_f32_e32 v80, v86, v126
	;; [unrolled: 4-line block ×4, first 2 shown]
	v_fmac_f32_e32 v112, v82, v137
	v_add_f32_e32 v111, 0, v111
	s_waitcnt vmcnt(27)
	v_fma_f32 v80, v89, v141, -v80
	v_fmac_f32_e32 v113, v84, v138
	v_add_f32_e32 v111, v111, v112
	v_add_f32_e32 v79, v79, v80
	v_mul_f32_e32 v80, v92, v129
	v_fmac_f32_e32 v114, v86, v139
	v_add_f32_e32 v111, v111, v113
	s_waitcnt vmcnt(26)
	v_fma_f32 v80, v91, v142, -v80
	v_fmac_f32_e32 v115, v88, v140
	v_add_f32_e32 v111, v111, v114
	v_add_f32_e32 v79, v79, v80
	v_mul_f32_e32 v80, v94, v130
	;; [unrolled: 8-line block ×4, first 2 shown]
	s_waitcnt vmcnt(23)
	v_fmac_f32_e32 v120, v98, v145
	v_add_f32_e32 v111, v111, v119
	v_fma_f32 v80, v97, v145, -v80
	s_waitcnt vmcnt(22)
	v_fmac_f32_e32 v121, v100, v146
	v_add_f32_e32 v111, v111, v120
	v_add_f32_e32 v79, v79, v80
	v_mul_f32_e32 v80, v100, v133
	s_waitcnt vmcnt(21)
	v_fmac_f32_e32 v122, v102, v147
	v_add_f32_e32 v111, v111, v121
	v_fma_f32 v80, v99, v146, -v80
	s_waitcnt vmcnt(20)
	v_fmac_f32_e32 v169, v104, v148
	v_add_f32_e32 v111, v111, v122
	s_waitcnt vmcnt(19)
	v_mul_f32_e32 v112, v105, v149
	v_add_f32_e32 v79, v79, v80
	v_mul_f32_e32 v80, v102, v134
	v_add_f32_e32 v111, v111, v169
	s_waitcnt vmcnt(18)
	v_fmac_f32_e32 v112, v106, v150
	v_fma_f32 v80, v101, v147, -v80
	v_add_f32_e32 v111, v111, v112
	s_waitcnt vmcnt(17) lgkmcnt(0)
	v_mul_f32_e32 v112, v107, v151
	v_add_f32_e32 v79, v79, v80
	v_mul_f32_e32 v80, v104, v135
	s_waitcnt vmcnt(16)
	v_fmac_f32_e32 v112, v108, v152
	v_fma_f32 v80, v103, v148, -v80
	v_add_f32_e32 v115, v111, v112
	ds_read_b128 v[111:114], v78 offset:560
	v_add_f32_e32 v79, v79, v80
	v_mul_f32_e32 v80, v106, v149
	v_fma_f32 v80, v105, v150, -v80
	v_add_f32_e32 v79, v79, v80
	v_mul_f32_e32 v80, v108, v151
	s_waitcnt vmcnt(15)
	v_mul_f32_e32 v116, v109, v153
	v_fma_f32 v80, v107, v152, -v80
	s_waitcnt vmcnt(14)
	v_fmac_f32_e32 v116, v110, v154
	v_add_f32_e32 v79, v79, v80
	v_mul_f32_e32 v80, v110, v153
	v_add_f32_e32 v119, v115, v116
	ds_read_b128 v[115:118], v78 offset:576
	s_waitcnt vmcnt(13) lgkmcnt(1)
	v_mul_f32_e32 v120, v111, v155
	v_fma_f32 v80, v109, v154, -v80
	s_waitcnt vmcnt(12)
	v_fmac_f32_e32 v120, v112, v156
	v_add_f32_e32 v79, v79, v80
	v_mul_f32_e32 v80, v112, v155
	v_add_f32_e32 v119, v119, v120
	s_waitcnt vmcnt(11)
	v_mul_f32_e32 v120, v113, v157
	v_fma_f32 v80, v111, v156, -v80
	s_waitcnt vmcnt(10)
	v_fmac_f32_e32 v120, v114, v158
	v_add_f32_e32 v79, v79, v80
	v_mul_f32_e32 v80, v114, v157
	v_add_f32_e32 v169, v119, v120
	ds_read_b128 v[119:122], v78 offset:592
	v_fma_f32 v80, v113, v158, -v80
	v_add_f32_e32 v79, v79, v80
	s_waitcnt vmcnt(9) lgkmcnt(1)
	v_mul_f32_e32 v80, v116, v159
	v_mul_f32_e32 v170, v115, v159
	s_waitcnt vmcnt(8)
	v_fma_f32 v80, v115, v160, -v80
	v_fmac_f32_e32 v170, v116, v160
	v_add_f32_e32 v79, v79, v80
	s_waitcnt vmcnt(7)
	v_mul_f32_e32 v80, v118, v161
	v_add_f32_e32 v78, v169, v170
	v_mul_f32_e32 v169, v117, v161
	s_waitcnt vmcnt(6)
	v_fma_f32 v80, v117, v162, -v80
	v_fmac_f32_e32 v169, v118, v162
	v_add_f32_e32 v79, v79, v80
	s_waitcnt vmcnt(5) lgkmcnt(0)
	v_mul_f32_e32 v80, v120, v163
	v_add_f32_e32 v78, v78, v169
	v_mul_f32_e32 v169, v119, v163
	s_waitcnt vmcnt(4)
	v_fma_f32 v80, v119, v164, -v80
	v_fmac_f32_e32 v169, v120, v164
	v_add_f32_e32 v79, v79, v80
	s_waitcnt vmcnt(3)
	v_mul_f32_e32 v80, v122, v165
	v_add_f32_e32 v78, v78, v169
	v_mul_f32_e32 v169, v121, v165
	s_waitcnt vmcnt(2)
	v_fma_f32 v80, v121, v166, -v80
	v_fmac_f32_e32 v169, v122, v166
	v_add_f32_e32 v79, v79, v80
	v_add_f32_e32 v78, v78, v169
	s_waitcnt vmcnt(1)
	v_sub_f32_e32 v79, v167, v79
	s_waitcnt vmcnt(0)
	v_sub_f32_e32 v78, v168, v78
	buffer_store_dword v79, off, s[0:3], 0 offset:120
	buffer_store_dword v78, off, s[0:3], 0 offset:124
	s_and_saveexec_b64 s[4:5], vcc
	s_cbranch_execz .LBB101_213
; %bb.212:
	buffer_load_dword v78, off, s[0:3], 0 offset:112
	buffer_load_dword v79, off, s[0:3], 0 offset:116
	v_mov_b32_e32 v80, 0
	buffer_store_dword v80, off, s[0:3], 0 offset:112
	buffer_store_dword v80, off, s[0:3], 0 offset:116
	s_waitcnt vmcnt(2)
	ds_write_b64 v77, v[78:79]
.LBB101_213:
	s_or_b64 exec, exec, s[4:5]
	s_waitcnt lgkmcnt(0)
	; wave barrier
	buffer_load_dword v125, off, s[0:3], 0 offset:124
	buffer_load_dword v126, off, s[0:3], 0 offset:132
	;; [unrolled: 1-line block ×48, first 2 shown]
	v_mov_b32_e32 v78, 0
	ds_read2_b64 v[79:82], v78 offset0:53 offset1:54
	ds_read2_b64 v[83:86], v78 offset0:55 offset1:56
	ds_read2_b64 v[87:90], v78 offset0:57 offset1:58
	ds_read2_b64 v[91:94], v78 offset0:59 offset1:60
	ds_read2_b64 v[95:98], v78 offset0:61 offset1:62
	ds_read2_b64 v[99:102], v78 offset0:63 offset1:64
	ds_read2_b64 v[103:106], v78 offset0:65 offset1:66
	v_cmp_lt_u32_e32 vcc, 13, v0
	s_waitcnt vmcnt(47) lgkmcnt(6)
	v_mul_f32_e32 v107, v79, v125
	s_waitcnt vmcnt(46)
	v_mul_f32_e32 v108, v81, v126
	s_waitcnt vmcnt(45) lgkmcnt(5)
	v_mul_f32_e32 v109, v83, v127
	s_waitcnt vmcnt(44)
	v_mul_f32_e32 v110, v85, v128
	;; [unrolled: 4-line block ×6, first 2 shown]
	s_waitcnt vmcnt(35)
	v_fmac_f32_e32 v107, v80, v137
	v_mul_f32_e32 v80, v80, v125
	v_fma_f32 v79, v79, v137, -v80
	v_mul_f32_e32 v80, v82, v126
	v_add_f32_e32 v79, 0, v79
	s_waitcnt vmcnt(34)
	v_fma_f32 v80, v81, v138, -v80
	v_add_f32_e32 v79, v79, v80
	v_mul_f32_e32 v80, v84, v127
	s_waitcnt vmcnt(33)
	v_fma_f32 v80, v83, v139, -v80
	v_fmac_f32_e32 v108, v82, v138
	v_add_f32_e32 v107, 0, v107
	v_add_f32_e32 v79, v79, v80
	v_mul_f32_e32 v80, v86, v128
	v_fmac_f32_e32 v109, v84, v139
	v_add_f32_e32 v107, v107, v108
	s_waitcnt vmcnt(32)
	v_fma_f32 v80, v85, v140, -v80
	v_fmac_f32_e32 v110, v86, v140
	v_add_f32_e32 v107, v107, v109
	v_add_f32_e32 v79, v79, v80
	v_mul_f32_e32 v80, v88, v129
	s_waitcnt vmcnt(31)
	v_fmac_f32_e32 v111, v88, v141
	v_add_f32_e32 v107, v107, v110
	v_fma_f32 v80, v87, v141, -v80
	s_waitcnt vmcnt(30)
	v_fmac_f32_e32 v112, v90, v142
	v_add_f32_e32 v107, v107, v111
	v_add_f32_e32 v79, v79, v80
	v_mul_f32_e32 v80, v90, v130
	s_waitcnt vmcnt(29)
	v_fmac_f32_e32 v113, v92, v143
	v_add_f32_e32 v107, v107, v112
	v_fma_f32 v80, v89, v142, -v80
	s_waitcnt vmcnt(28)
	;; [unrolled: 9-line block ×4, first 2 shown]
	v_fmac_f32_e32 v118, v102, v148
	v_add_f32_e32 v107, v107, v117
	v_add_f32_e32 v79, v79, v80
	v_mul_f32_e32 v80, v96, v133
	v_add_f32_e32 v111, v107, v118
	ds_read2_b64 v[107:110], v78 offset0:67 offset1:68
	v_fma_f32 v80, v95, v145, -v80
	s_waitcnt vmcnt(23) lgkmcnt(1)
	v_mul_f32_e32 v112, v103, v149
	v_add_f32_e32 v79, v79, v80
	v_mul_f32_e32 v80, v98, v134
	s_waitcnt vmcnt(22)
	v_fmac_f32_e32 v112, v104, v150
	v_fma_f32 v80, v97, v146, -v80
	v_add_f32_e32 v111, v111, v112
	s_waitcnt vmcnt(21)
	v_mul_f32_e32 v112, v105, v151
	v_add_f32_e32 v79, v79, v80
	v_mul_f32_e32 v80, v100, v135
	s_waitcnt vmcnt(20)
	v_fmac_f32_e32 v112, v106, v152
	v_fma_f32 v80, v99, v147, -v80
	v_add_f32_e32 v111, v111, v112
	s_waitcnt vmcnt(19) lgkmcnt(0)
	v_mul_f32_e32 v112, v107, v153
	v_add_f32_e32 v79, v79, v80
	v_mul_f32_e32 v80, v102, v136
	s_waitcnt vmcnt(18)
	v_fmac_f32_e32 v112, v108, v154
	v_fma_f32 v80, v101, v148, -v80
	v_add_f32_e32 v115, v111, v112
	ds_read2_b64 v[111:114], v78 offset0:69 offset1:70
	v_add_f32_e32 v79, v79, v80
	v_mul_f32_e32 v80, v104, v149
	v_fma_f32 v80, v103, v150, -v80
	s_waitcnt vmcnt(17)
	v_mul_f32_e32 v116, v109, v155
	v_add_f32_e32 v79, v79, v80
	v_mul_f32_e32 v80, v106, v151
	s_waitcnt vmcnt(16)
	v_fmac_f32_e32 v116, v110, v156
	v_fma_f32 v80, v105, v152, -v80
	v_add_f32_e32 v119, v115, v116
	ds_read2_b64 v[115:118], v78 offset0:71 offset1:72
	v_add_f32_e32 v79, v79, v80
	v_mul_f32_e32 v80, v108, v153
	s_waitcnt vmcnt(15) lgkmcnt(1)
	v_mul_f32_e32 v120, v111, v157
	v_fma_f32 v80, v107, v154, -v80
	s_waitcnt vmcnt(14)
	v_fmac_f32_e32 v120, v112, v158
	v_add_f32_e32 v79, v79, v80
	v_mul_f32_e32 v80, v110, v155
	v_add_f32_e32 v119, v119, v120
	s_waitcnt vmcnt(13)
	v_mul_f32_e32 v120, v113, v159
	v_fma_f32 v80, v109, v156, -v80
	s_waitcnt vmcnt(12)
	v_fmac_f32_e32 v120, v114, v160
	v_add_f32_e32 v79, v79, v80
	v_mul_f32_e32 v80, v112, v157
	v_add_f32_e32 v119, v119, v120
	s_waitcnt vmcnt(11) lgkmcnt(0)
	v_mul_f32_e32 v120, v115, v161
	v_fma_f32 v80, v111, v158, -v80
	s_waitcnt vmcnt(10)
	v_fmac_f32_e32 v120, v116, v162
	v_add_f32_e32 v79, v79, v80
	v_mul_f32_e32 v80, v114, v159
	v_add_f32_e32 v123, v119, v120
	ds_read2_b64 v[119:122], v78 offset0:73 offset1:74
	v_fma_f32 v80, v113, v160, -v80
	v_add_f32_e32 v79, v79, v80
	v_mul_f32_e32 v80, v116, v161
	s_waitcnt vmcnt(9)
	v_mul_f32_e32 v124, v117, v163
	v_fma_f32 v80, v115, v162, -v80
	s_waitcnt vmcnt(8)
	v_fmac_f32_e32 v124, v118, v164
	v_add_f32_e32 v79, v79, v80
	v_mul_f32_e32 v80, v118, v163
	v_add_f32_e32 v173, v123, v124
	ds_read_b64 v[123:124], v78 offset:600
	v_fma_f32 v80, v117, v164, -v80
	v_add_f32_e32 v79, v79, v80
	s_waitcnt vmcnt(6) lgkmcnt(1)
	v_mul_f32_e32 v80, v120, v166
	v_mul_f32_e32 v174, v119, v166
	v_fma_f32 v80, v119, v165, -v80
	v_fmac_f32_e32 v174, v120, v165
	v_add_f32_e32 v79, v79, v80
	s_waitcnt vmcnt(3)
	v_mul_f32_e32 v80, v122, v169
	v_add_f32_e32 v173, v173, v174
	v_mul_f32_e32 v174, v121, v169
	s_waitcnt vmcnt(2)
	v_fma_f32 v80, v121, v170, -v80
	v_fmac_f32_e32 v174, v122, v170
	v_add_f32_e32 v79, v79, v80
	s_waitcnt vmcnt(0) lgkmcnt(0)
	v_mul_f32_e32 v80, v124, v172
	v_add_f32_e32 v173, v173, v174
	v_mul_f32_e32 v174, v123, v172
	v_fma_f32 v80, v123, v171, -v80
	v_fmac_f32_e32 v174, v124, v171
	v_add_f32_e32 v79, v79, v80
	v_add_f32_e32 v173, v173, v174
	v_sub_f32_e32 v79, v167, v79
	v_sub_f32_e32 v80, v168, v173
	buffer_store_dword v79, off, s[0:3], 0 offset:112
	buffer_store_dword v80, off, s[0:3], 0 offset:116
	s_and_saveexec_b64 s[4:5], vcc
	s_cbranch_execz .LBB101_215
; %bb.214:
	buffer_load_dword v79, off, s[0:3], 0 offset:104
	buffer_load_dword v80, off, s[0:3], 0 offset:108
	s_waitcnt vmcnt(0)
	ds_write_b64 v77, v[79:80]
	buffer_store_dword v78, off, s[0:3], 0 offset:104
	buffer_store_dword v78, off, s[0:3], 0 offset:108
.LBB101_215:
	s_or_b64 exec, exec, s[4:5]
	s_waitcnt lgkmcnt(0)
	; wave barrier
	buffer_load_dword v127, off, s[0:3], 0 offset:116
	buffer_load_dword v128, off, s[0:3], 0 offset:124
	buffer_load_dword v129, off, s[0:3], 0 offset:132
	buffer_load_dword v130, off, s[0:3], 0 offset:140
	buffer_load_dword v131, off, s[0:3], 0 offset:148
	buffer_load_dword v132, off, s[0:3], 0 offset:156
	buffer_load_dword v133, off, s[0:3], 0 offset:164
	buffer_load_dword v134, off, s[0:3], 0 offset:172
	buffer_load_dword v135, off, s[0:3], 0 offset:180
	buffer_load_dword v136, off, s[0:3], 0 offset:188
	buffer_load_dword v137, off, s[0:3], 0 offset:196
	buffer_load_dword v138, off, s[0:3], 0 offset:204
	buffer_load_dword v139, off, s[0:3], 0 offset:112
	buffer_load_dword v140, off, s[0:3], 0 offset:120
	buffer_load_dword v141, off, s[0:3], 0 offset:128
	buffer_load_dword v142, off, s[0:3], 0 offset:136
	buffer_load_dword v143, off, s[0:3], 0 offset:144
	buffer_load_dword v144, off, s[0:3], 0 offset:152
	buffer_load_dword v145, off, s[0:3], 0 offset:160
	buffer_load_dword v146, off, s[0:3], 0 offset:168
	buffer_load_dword v147, off, s[0:3], 0 offset:176
	buffer_load_dword v148, off, s[0:3], 0 offset:184
	buffer_load_dword v149, off, s[0:3], 0 offset:192
	buffer_load_dword v150, off, s[0:3], 0 offset:200
	buffer_load_dword v151, off, s[0:3], 0 offset:212
	buffer_load_dword v152, off, s[0:3], 0 offset:208
	buffer_load_dword v153, off, s[0:3], 0 offset:220
	buffer_load_dword v154, off, s[0:3], 0 offset:216
	buffer_load_dword v155, off, s[0:3], 0 offset:228
	buffer_load_dword v156, off, s[0:3], 0 offset:224
	buffer_load_dword v157, off, s[0:3], 0 offset:236
	buffer_load_dword v158, off, s[0:3], 0 offset:232
	buffer_load_dword v159, off, s[0:3], 0 offset:244
	buffer_load_dword v160, off, s[0:3], 0 offset:240
	buffer_load_dword v161, off, s[0:3], 0 offset:252
	buffer_load_dword v162, off, s[0:3], 0 offset:248
	buffer_load_dword v163, off, s[0:3], 0 offset:260
	buffer_load_dword v164, off, s[0:3], 0 offset:256
	buffer_load_dword v165, off, s[0:3], 0 offset:268
	buffer_load_dword v166, off, s[0:3], 0 offset:264
	buffer_load_dword v167, off, s[0:3], 0 offset:104
	buffer_load_dword v168, off, s[0:3], 0 offset:108
	buffer_load_dword v169, off, s[0:3], 0 offset:276
	buffer_load_dword v170, off, s[0:3], 0 offset:272
	buffer_load_dword v171, off, s[0:3], 0 offset:280
	buffer_load_dword v172, off, s[0:3], 0 offset:284
	buffer_load_dword v173, off, s[0:3], 0 offset:288
	buffer_load_dword v174, off, s[0:3], 0 offset:292
	ds_read_b128 v[79:82], v78 offset:416
	ds_read_b128 v[83:86], v78 offset:432
	buffer_load_dword v175, off, s[0:3], 0 offset:296
	buffer_load_dword v176, off, s[0:3], 0 offset:300
	ds_read_b128 v[87:90], v78 offset:448
	ds_read_b128 v[91:94], v78 offset:464
	;; [unrolled: 1-line block ×5, first 2 shown]
	v_cmp_lt_u32_e32 vcc, 12, v0
	s_waitcnt vmcnt(49) lgkmcnt(6)
	v_mul_f32_e32 v107, v79, v127
	s_waitcnt vmcnt(48)
	v_mul_f32_e32 v108, v81, v128
	s_waitcnt vmcnt(47) lgkmcnt(5)
	v_mul_f32_e32 v109, v83, v129
	s_waitcnt vmcnt(46)
	v_mul_f32_e32 v110, v85, v130
	;; [unrolled: 4-line block ×6, first 2 shown]
	s_waitcnt vmcnt(37)
	v_fmac_f32_e32 v107, v80, v139
	v_mul_f32_e32 v80, v80, v127
	v_fma_f32 v79, v79, v139, -v80
	v_mul_f32_e32 v80, v82, v128
	v_add_f32_e32 v79, 0, v79
	s_waitcnt vmcnt(36)
	v_fma_f32 v80, v81, v140, -v80
	v_add_f32_e32 v79, v79, v80
	v_mul_f32_e32 v80, v84, v129
	s_waitcnt vmcnt(35)
	v_fma_f32 v80, v83, v141, -v80
	v_fmac_f32_e32 v108, v82, v140
	v_add_f32_e32 v107, 0, v107
	v_add_f32_e32 v79, v79, v80
	v_mul_f32_e32 v80, v86, v130
	v_fmac_f32_e32 v109, v84, v141
	v_add_f32_e32 v107, v107, v108
	s_waitcnt vmcnt(34)
	v_fma_f32 v80, v85, v142, -v80
	v_fmac_f32_e32 v110, v86, v142
	v_add_f32_e32 v107, v107, v109
	v_add_f32_e32 v79, v79, v80
	v_mul_f32_e32 v80, v88, v131
	s_waitcnt vmcnt(33)
	v_fmac_f32_e32 v111, v88, v143
	v_add_f32_e32 v107, v107, v110
	v_fma_f32 v80, v87, v143, -v80
	s_waitcnt vmcnt(32)
	v_fmac_f32_e32 v112, v90, v144
	v_add_f32_e32 v107, v107, v111
	v_add_f32_e32 v79, v79, v80
	v_mul_f32_e32 v80, v90, v132
	s_waitcnt vmcnt(31)
	v_fmac_f32_e32 v113, v92, v145
	v_add_f32_e32 v107, v107, v112
	v_fma_f32 v80, v89, v144, -v80
	s_waitcnt vmcnt(30)
	;; [unrolled: 9-line block ×3, first 2 shown]
	v_fmac_f32_e32 v116, v98, v148
	v_add_f32_e32 v107, v107, v115
	v_add_f32_e32 v79, v79, v80
	v_mul_f32_e32 v80, v94, v134
	s_waitcnt vmcnt(27)
	v_fmac_f32_e32 v117, v100, v149
	v_add_f32_e32 v107, v107, v116
	v_fma_f32 v80, v93, v146, -v80
	v_add_f32_e32 v107, v107, v117
	s_waitcnt vmcnt(26)
	v_fmac_f32_e32 v118, v102, v150
	v_add_f32_e32 v79, v79, v80
	v_mul_f32_e32 v80, v96, v135
	v_add_f32_e32 v111, v107, v118
	ds_read_b128 v[107:110], v78 offset:528
	v_fma_f32 v80, v95, v147, -v80
	s_waitcnt vmcnt(25) lgkmcnt(1)
	v_mul_f32_e32 v112, v103, v151
	v_add_f32_e32 v79, v79, v80
	v_mul_f32_e32 v80, v98, v136
	s_waitcnt vmcnt(24)
	v_fmac_f32_e32 v112, v104, v152
	v_fma_f32 v80, v97, v148, -v80
	v_add_f32_e32 v111, v111, v112
	s_waitcnt vmcnt(23)
	v_mul_f32_e32 v112, v105, v153
	v_add_f32_e32 v79, v79, v80
	v_mul_f32_e32 v80, v100, v137
	s_waitcnt vmcnt(22)
	v_fmac_f32_e32 v112, v106, v154
	v_fma_f32 v80, v99, v149, -v80
	v_add_f32_e32 v111, v111, v112
	s_waitcnt vmcnt(21) lgkmcnt(0)
	v_mul_f32_e32 v112, v107, v155
	v_add_f32_e32 v79, v79, v80
	v_mul_f32_e32 v80, v102, v138
	s_waitcnt vmcnt(20)
	v_fmac_f32_e32 v112, v108, v156
	v_fma_f32 v80, v101, v150, -v80
	v_add_f32_e32 v115, v111, v112
	ds_read_b128 v[111:114], v78 offset:544
	v_add_f32_e32 v79, v79, v80
	v_mul_f32_e32 v80, v104, v151
	v_fma_f32 v80, v103, v152, -v80
	s_waitcnt vmcnt(19)
	v_mul_f32_e32 v116, v109, v157
	v_add_f32_e32 v79, v79, v80
	v_mul_f32_e32 v80, v106, v153
	s_waitcnt vmcnt(18)
	v_fmac_f32_e32 v116, v110, v158
	v_fma_f32 v80, v105, v154, -v80
	v_add_f32_e32 v119, v115, v116
	ds_read_b128 v[115:118], v78 offset:560
	v_add_f32_e32 v79, v79, v80
	v_mul_f32_e32 v80, v108, v155
	s_waitcnt vmcnt(17) lgkmcnt(1)
	v_mul_f32_e32 v120, v111, v159
	v_fma_f32 v80, v107, v156, -v80
	s_waitcnt vmcnt(16)
	v_fmac_f32_e32 v120, v112, v160
	v_add_f32_e32 v79, v79, v80
	v_mul_f32_e32 v80, v110, v157
	v_add_f32_e32 v119, v119, v120
	s_waitcnt vmcnt(15)
	v_mul_f32_e32 v120, v113, v161
	v_fma_f32 v80, v109, v158, -v80
	s_waitcnt vmcnt(14)
	v_fmac_f32_e32 v120, v114, v162
	v_add_f32_e32 v79, v79, v80
	v_mul_f32_e32 v80, v112, v159
	v_add_f32_e32 v119, v119, v120
	s_waitcnt vmcnt(13) lgkmcnt(0)
	v_mul_f32_e32 v120, v115, v163
	v_fma_f32 v80, v111, v160, -v80
	s_waitcnt vmcnt(12)
	v_fmac_f32_e32 v120, v116, v164
	v_add_f32_e32 v79, v79, v80
	v_mul_f32_e32 v80, v114, v161
	v_add_f32_e32 v123, v119, v120
	ds_read_b128 v[119:122], v78 offset:576
	v_fma_f32 v80, v113, v162, -v80
	v_add_f32_e32 v79, v79, v80
	v_mul_f32_e32 v80, v116, v163
	s_waitcnt vmcnt(11)
	v_mul_f32_e32 v124, v117, v165
	v_fma_f32 v80, v115, v164, -v80
	s_waitcnt vmcnt(10)
	v_fmac_f32_e32 v124, v118, v166
	v_add_f32_e32 v79, v79, v80
	v_mul_f32_e32 v80, v118, v165
	v_add_f32_e32 v177, v123, v124
	ds_read_b128 v[123:126], v78 offset:592
	v_fma_f32 v80, v117, v166, -v80
	v_add_f32_e32 v79, v79, v80
	s_waitcnt vmcnt(7) lgkmcnt(1)
	v_mul_f32_e32 v80, v120, v169
	v_mul_f32_e32 v78, v119, v169
	s_waitcnt vmcnt(6)
	v_fma_f32 v80, v119, v170, -v80
	v_fmac_f32_e32 v78, v120, v170
	v_add_f32_e32 v79, v79, v80
	s_waitcnt vmcnt(4)
	v_mul_f32_e32 v80, v122, v172
	v_add_f32_e32 v78, v177, v78
	v_mul_f32_e32 v177, v121, v172
	v_fma_f32 v80, v121, v171, -v80
	v_fmac_f32_e32 v177, v122, v171
	v_add_f32_e32 v79, v79, v80
	s_waitcnt vmcnt(2) lgkmcnt(0)
	v_mul_f32_e32 v80, v124, v174
	v_add_f32_e32 v78, v78, v177
	v_mul_f32_e32 v177, v123, v174
	v_fma_f32 v80, v123, v173, -v80
	v_fmac_f32_e32 v177, v124, v173
	v_add_f32_e32 v79, v79, v80
	s_waitcnt vmcnt(0)
	v_mul_f32_e32 v80, v126, v176
	v_add_f32_e32 v78, v78, v177
	v_mul_f32_e32 v177, v125, v176
	v_fma_f32 v80, v125, v175, -v80
	v_fmac_f32_e32 v177, v126, v175
	v_add_f32_e32 v79, v79, v80
	v_add_f32_e32 v78, v78, v177
	v_sub_f32_e32 v79, v167, v79
	v_sub_f32_e32 v78, v168, v78
	buffer_store_dword v79, off, s[0:3], 0 offset:104
	buffer_store_dword v78, off, s[0:3], 0 offset:108
	s_and_saveexec_b64 s[4:5], vcc
	s_cbranch_execz .LBB101_217
; %bb.216:
	buffer_load_dword v78, off, s[0:3], 0 offset:96
	buffer_load_dword v79, off, s[0:3], 0 offset:100
	v_mov_b32_e32 v80, 0
	buffer_store_dword v80, off, s[0:3], 0 offset:96
	buffer_store_dword v80, off, s[0:3], 0 offset:100
	s_waitcnt vmcnt(2)
	ds_write_b64 v77, v[78:79]
.LBB101_217:
	s_or_b64 exec, exec, s[4:5]
	s_waitcnt lgkmcnt(0)
	; wave barrier
	buffer_load_dword v129, off, s[0:3], 0 offset:108
	buffer_load_dword v130, off, s[0:3], 0 offset:116
	;; [unrolled: 1-line block ×52, first 2 shown]
	v_mov_b32_e32 v78, 0
	ds_read2_b64 v[79:82], v78 offset0:51 offset1:52
	ds_read2_b64 v[83:86], v78 offset0:53 offset1:54
	;; [unrolled: 1-line block ×6, first 2 shown]
	v_cmp_lt_u32_e32 vcc, 11, v0
	s_waitcnt vmcnt(51) lgkmcnt(5)
	v_mul_f32_e32 v103, v79, v129
	s_waitcnt vmcnt(50)
	v_mul_f32_e32 v104, v81, v130
	s_waitcnt vmcnt(49) lgkmcnt(4)
	v_mul_f32_e32 v105, v83, v131
	s_waitcnt vmcnt(48)
	v_mul_f32_e32 v106, v85, v132
	;; [unrolled: 4-line block ×5, first 2 shown]
	s_waitcnt vmcnt(41) lgkmcnt(0)
	v_mul_f32_e32 v113, v99, v139
	s_waitcnt vmcnt(40)
	v_fmac_f32_e32 v103, v80, v140
	v_mul_f32_e32 v80, v80, v129
	s_waitcnt vmcnt(39)
	v_fmac_f32_e32 v104, v82, v141
	v_add_f32_e32 v103, 0, v103
	v_fma_f32 v79, v79, v140, -v80
	v_mul_f32_e32 v80, v82, v130
	s_waitcnt vmcnt(38)
	v_fmac_f32_e32 v105, v84, v142
	v_add_f32_e32 v103, v103, v104
	v_add_f32_e32 v79, 0, v79
	v_fma_f32 v80, v81, v141, -v80
	s_waitcnt vmcnt(37)
	v_fmac_f32_e32 v106, v86, v143
	v_add_f32_e32 v103, v103, v105
	v_add_f32_e32 v79, v79, v80
	v_mul_f32_e32 v80, v84, v131
	s_waitcnt vmcnt(36)
	v_fmac_f32_e32 v107, v88, v144
	v_add_f32_e32 v103, v103, v106
	v_fma_f32 v80, v83, v142, -v80
	s_waitcnt vmcnt(35)
	v_fmac_f32_e32 v108, v90, v145
	v_add_f32_e32 v103, v103, v107
	v_add_f32_e32 v79, v79, v80
	v_mul_f32_e32 v80, v86, v132
	s_waitcnt vmcnt(34)
	v_fmac_f32_e32 v109, v92, v146
	;; [unrolled: 9-line block ×3, first 2 shown]
	v_add_f32_e32 v103, v103, v110
	v_fma_f32 v80, v87, v144, -v80
	s_waitcnt vmcnt(31)
	v_fmac_f32_e32 v112, v98, v149
	v_add_f32_e32 v103, v103, v111
	v_add_f32_e32 v79, v79, v80
	v_mul_f32_e32 v80, v90, v134
	v_add_f32_e32 v103, v103, v112
	s_waitcnt vmcnt(30)
	v_fmac_f32_e32 v113, v100, v150
	v_fma_f32 v80, v89, v145, -v80
	v_add_f32_e32 v107, v103, v113
	ds_read2_b64 v[103:106], v78 offset0:63 offset1:64
	v_add_f32_e32 v79, v79, v80
	v_mul_f32_e32 v80, v92, v135
	v_fma_f32 v80, v91, v146, -v80
	s_waitcnt vmcnt(29)
	v_mul_f32_e32 v108, v101, v151
	v_add_f32_e32 v79, v79, v80
	v_mul_f32_e32 v80, v94, v136
	s_waitcnt vmcnt(28)
	v_fmac_f32_e32 v108, v102, v152
	v_fma_f32 v80, v93, v147, -v80
	v_add_f32_e32 v111, v107, v108
	ds_read2_b64 v[107:110], v78 offset0:65 offset1:66
	v_add_f32_e32 v79, v79, v80
	v_mul_f32_e32 v80, v96, v137
	s_waitcnt vmcnt(27) lgkmcnt(1)
	v_mul_f32_e32 v112, v103, v153
	v_fma_f32 v80, v95, v148, -v80
	s_waitcnt vmcnt(26)
	v_fmac_f32_e32 v112, v104, v154
	v_add_f32_e32 v79, v79, v80
	v_mul_f32_e32 v80, v98, v138
	v_add_f32_e32 v111, v111, v112
	s_waitcnt vmcnt(25)
	v_mul_f32_e32 v112, v105, v155
	v_fma_f32 v80, v97, v149, -v80
	s_waitcnt vmcnt(24)
	v_fmac_f32_e32 v112, v106, v156
	v_add_f32_e32 v79, v79, v80
	v_mul_f32_e32 v80, v100, v139
	v_add_f32_e32 v111, v111, v112
	s_waitcnt vmcnt(23) lgkmcnt(0)
	v_mul_f32_e32 v112, v107, v157
	v_fma_f32 v80, v99, v150, -v80
	s_waitcnt vmcnt(22)
	v_fmac_f32_e32 v112, v108, v158
	v_add_f32_e32 v79, v79, v80
	v_mul_f32_e32 v80, v102, v151
	v_add_f32_e32 v115, v111, v112
	ds_read2_b64 v[111:114], v78 offset0:67 offset1:68
	v_fma_f32 v80, v101, v152, -v80
	v_add_f32_e32 v79, v79, v80
	v_mul_f32_e32 v80, v104, v153
	s_waitcnt vmcnt(21)
	v_mul_f32_e32 v116, v109, v159
	v_fma_f32 v80, v103, v154, -v80
	s_waitcnt vmcnt(20)
	v_fmac_f32_e32 v116, v110, v160
	v_add_f32_e32 v79, v79, v80
	v_mul_f32_e32 v80, v106, v155
	v_add_f32_e32 v119, v115, v116
	ds_read2_b64 v[115:118], v78 offset0:69 offset1:70
	v_fma_f32 v80, v105, v156, -v80
	s_waitcnt vmcnt(19) lgkmcnt(1)
	v_mul_f32_e32 v120, v111, v161
	v_add_f32_e32 v79, v79, v80
	v_mul_f32_e32 v80, v108, v157
	s_waitcnt vmcnt(18)
	v_fmac_f32_e32 v120, v112, v162
	v_fma_f32 v80, v107, v158, -v80
	v_add_f32_e32 v119, v119, v120
	s_waitcnt vmcnt(17)
	v_mul_f32_e32 v120, v113, v163
	v_add_f32_e32 v79, v79, v80
	v_mul_f32_e32 v80, v110, v159
	s_waitcnt vmcnt(16)
	v_fmac_f32_e32 v120, v114, v164
	v_fma_f32 v80, v109, v160, -v80
	v_add_f32_e32 v119, v119, v120
	s_waitcnt vmcnt(14) lgkmcnt(0)
	v_mul_f32_e32 v120, v115, v166
	v_add_f32_e32 v79, v79, v80
	v_mul_f32_e32 v80, v112, v161
	v_fmac_f32_e32 v120, v116, v165
	v_fma_f32 v80, v111, v162, -v80
	v_add_f32_e32 v123, v119, v120
	ds_read2_b64 v[119:122], v78 offset0:71 offset1:72
	v_add_f32_e32 v79, v79, v80
	v_mul_f32_e32 v80, v114, v163
	v_fma_f32 v80, v113, v164, -v80
	v_add_f32_e32 v79, v79, v80
	v_mul_f32_e32 v80, v116, v166
	s_waitcnt vmcnt(11)
	v_mul_f32_e32 v124, v117, v169
	v_fma_f32 v80, v115, v165, -v80
	s_waitcnt vmcnt(10)
	v_fmac_f32_e32 v124, v118, v170
	v_add_f32_e32 v79, v79, v80
	v_mul_f32_e32 v80, v118, v169
	v_add_f32_e32 v127, v123, v124
	ds_read2_b64 v[123:126], v78 offset0:73 offset1:74
	s_waitcnt vmcnt(8) lgkmcnt(1)
	v_mul_f32_e32 v128, v119, v172
	v_fma_f32 v80, v117, v170, -v80
	v_fmac_f32_e32 v128, v120, v171
	v_add_f32_e32 v79, v79, v80
	v_mul_f32_e32 v80, v120, v172
	v_add_f32_e32 v127, v127, v128
	s_waitcnt vmcnt(6)
	v_mul_f32_e32 v128, v121, v174
	v_fma_f32 v80, v119, v171, -v80
	v_fmac_f32_e32 v128, v122, v173
	v_add_f32_e32 v79, v79, v80
	v_mul_f32_e32 v80, v122, v174
	v_add_f32_e32 v181, v127, v128
	ds_read_b64 v[127:128], v78 offset:600
	v_fma_f32 v80, v121, v173, -v80
	v_add_f32_e32 v79, v79, v80
	s_waitcnt vmcnt(4) lgkmcnt(1)
	v_mul_f32_e32 v80, v124, v176
	v_mul_f32_e32 v182, v123, v176
	v_fma_f32 v80, v123, v175, -v80
	v_fmac_f32_e32 v182, v124, v175
	v_add_f32_e32 v79, v79, v80
	s_waitcnt vmcnt(2)
	v_mul_f32_e32 v80, v126, v178
	v_add_f32_e32 v181, v181, v182
	v_mul_f32_e32 v182, v125, v178
	v_fma_f32 v80, v125, v177, -v80
	v_fmac_f32_e32 v182, v126, v177
	v_add_f32_e32 v79, v79, v80
	s_waitcnt vmcnt(0) lgkmcnt(0)
	v_mul_f32_e32 v80, v128, v180
	v_add_f32_e32 v181, v181, v182
	v_mul_f32_e32 v182, v127, v180
	v_fma_f32 v80, v127, v179, -v80
	v_fmac_f32_e32 v182, v128, v179
	v_add_f32_e32 v79, v79, v80
	v_add_f32_e32 v181, v181, v182
	v_sub_f32_e32 v79, v167, v79
	v_sub_f32_e32 v80, v168, v181
	buffer_store_dword v79, off, s[0:3], 0 offset:96
	buffer_store_dword v80, off, s[0:3], 0 offset:100
	s_and_saveexec_b64 s[4:5], vcc
	s_cbranch_execz .LBB101_219
; %bb.218:
	buffer_load_dword v79, off, s[0:3], 0 offset:88
	buffer_load_dword v80, off, s[0:3], 0 offset:92
	s_waitcnt vmcnt(0)
	ds_write_b64 v77, v[79:80]
	buffer_store_dword v78, off, s[0:3], 0 offset:88
	buffer_store_dword v78, off, s[0:3], 0 offset:92
.LBB101_219:
	s_or_b64 exec, exec, s[4:5]
	s_waitcnt lgkmcnt(0)
	; wave barrier
	buffer_load_dword v131, off, s[0:3], 0 offset:100
	buffer_load_dword v132, off, s[0:3], 0 offset:108
	buffer_load_dword v133, off, s[0:3], 0 offset:116
	buffer_load_dword v134, off, s[0:3], 0 offset:124
	buffer_load_dword v135, off, s[0:3], 0 offset:132
	buffer_load_dword v136, off, s[0:3], 0 offset:140
	buffer_load_dword v137, off, s[0:3], 0 offset:148
	buffer_load_dword v138, off, s[0:3], 0 offset:156
	buffer_load_dword v139, off, s[0:3], 0 offset:164
	buffer_load_dword v140, off, s[0:3], 0 offset:172
	buffer_load_dword v141, off, s[0:3], 0 offset:96
	buffer_load_dword v142, off, s[0:3], 0 offset:104
	buffer_load_dword v143, off, s[0:3], 0 offset:112
	buffer_load_dword v144, off, s[0:3], 0 offset:120
	buffer_load_dword v145, off, s[0:3], 0 offset:128
	buffer_load_dword v146, off, s[0:3], 0 offset:136
	buffer_load_dword v147, off, s[0:3], 0 offset:144
	buffer_load_dword v148, off, s[0:3], 0 offset:152
	buffer_load_dword v149, off, s[0:3], 0 offset:160
	buffer_load_dword v150, off, s[0:3], 0 offset:168
	buffer_load_dword v151, off, s[0:3], 0 offset:180
	buffer_load_dword v152, off, s[0:3], 0 offset:176
	buffer_load_dword v153, off, s[0:3], 0 offset:188
	buffer_load_dword v154, off, s[0:3], 0 offset:184
	buffer_load_dword v155, off, s[0:3], 0 offset:196
	buffer_load_dword v156, off, s[0:3], 0 offset:192
	buffer_load_dword v157, off, s[0:3], 0 offset:204
	buffer_load_dword v158, off, s[0:3], 0 offset:200
	buffer_load_dword v159, off, s[0:3], 0 offset:212
	buffer_load_dword v160, off, s[0:3], 0 offset:208
	buffer_load_dword v161, off, s[0:3], 0 offset:220
	buffer_load_dword v162, off, s[0:3], 0 offset:216
	buffer_load_dword v163, off, s[0:3], 0 offset:228
	buffer_load_dword v164, off, s[0:3], 0 offset:224
	buffer_load_dword v165, off, s[0:3], 0 offset:232
	buffer_load_dword v166, off, s[0:3], 0 offset:236
	buffer_load_dword v167, off, s[0:3], 0 offset:88
	buffer_load_dword v168, off, s[0:3], 0 offset:92
	buffer_load_dword v169, off, s[0:3], 0 offset:244
	buffer_load_dword v170, off, s[0:3], 0 offset:240
	buffer_load_dword v171, off, s[0:3], 0 offset:248
	buffer_load_dword v172, off, s[0:3], 0 offset:252
	ds_read_b128 v[79:82], v78 offset:400
	ds_read_b128 v[83:86], v78 offset:416
	;; [unrolled: 1-line block ×4, first 2 shown]
	buffer_load_dword v173, off, s[0:3], 0 offset:260
	buffer_load_dword v174, off, s[0:3], 0 offset:256
	;; [unrolled: 1-line block ×6, first 2 shown]
	ds_read_b128 v[95:98], v78 offset:464
	ds_read_b128 v[99:102], v78 offset:480
	buffer_load_dword v179, off, s[0:3], 0 offset:280
	buffer_load_dword v180, off, s[0:3], 0 offset:284
	;; [unrolled: 1-line block ×6, first 2 shown]
	v_cmp_lt_u32_e32 vcc, 10, v0
	s_waitcnt vmcnt(53) lgkmcnt(5)
	v_mul_f32_e32 v103, v79, v131
	s_waitcnt vmcnt(52)
	v_mul_f32_e32 v104, v81, v132
	s_waitcnt vmcnt(51) lgkmcnt(4)
	v_mul_f32_e32 v105, v83, v133
	s_waitcnt vmcnt(50)
	v_mul_f32_e32 v106, v85, v134
	;; [unrolled: 4-line block ×5, first 2 shown]
	s_waitcnt vmcnt(43)
	v_fmac_f32_e32 v103, v80, v141
	v_mul_f32_e32 v80, v80, v131
	s_waitcnt vmcnt(42)
	v_fmac_f32_e32 v104, v82, v142
	v_add_f32_e32 v103, 0, v103
	v_fma_f32 v79, v79, v141, -v80
	v_mul_f32_e32 v80, v82, v132
	s_waitcnt vmcnt(41)
	v_fmac_f32_e32 v105, v84, v143
	v_add_f32_e32 v103, v103, v104
	v_add_f32_e32 v79, 0, v79
	v_fma_f32 v80, v81, v142, -v80
	s_waitcnt vmcnt(40)
	v_fmac_f32_e32 v106, v86, v144
	v_add_f32_e32 v103, v103, v105
	v_add_f32_e32 v79, v79, v80
	v_mul_f32_e32 v80, v84, v133
	s_waitcnt vmcnt(39)
	v_fmac_f32_e32 v107, v88, v145
	v_add_f32_e32 v103, v103, v106
	v_fma_f32 v80, v83, v143, -v80
	s_waitcnt vmcnt(38)
	v_fmac_f32_e32 v108, v90, v146
	v_add_f32_e32 v103, v103, v107
	v_add_f32_e32 v79, v79, v80
	v_mul_f32_e32 v80, v86, v134
	s_waitcnt vmcnt(37)
	v_fmac_f32_e32 v109, v92, v147
	;; [unrolled: 9-line block ×3, first 2 shown]
	v_add_f32_e32 v103, v103, v110
	v_fma_f32 v80, v87, v145, -v80
	s_waitcnt vmcnt(34)
	v_fmac_f32_e32 v112, v98, v150
	v_add_f32_e32 v103, v103, v111
	s_waitcnt vmcnt(33) lgkmcnt(0)
	v_mul_f32_e32 v104, v99, v151
	v_add_f32_e32 v79, v79, v80
	v_mul_f32_e32 v80, v90, v136
	v_add_f32_e32 v103, v103, v112
	s_waitcnt vmcnt(32)
	v_fmac_f32_e32 v104, v100, v152
	v_fma_f32 v80, v89, v146, -v80
	v_add_f32_e32 v107, v103, v104
	ds_read_b128 v[103:106], v78 offset:496
	v_add_f32_e32 v79, v79, v80
	v_mul_f32_e32 v80, v92, v137
	v_fma_f32 v80, v91, v147, -v80
	s_waitcnt vmcnt(31)
	v_mul_f32_e32 v108, v101, v153
	v_add_f32_e32 v79, v79, v80
	v_mul_f32_e32 v80, v94, v138
	s_waitcnt vmcnt(30)
	v_fmac_f32_e32 v108, v102, v154
	v_fma_f32 v80, v93, v148, -v80
	v_add_f32_e32 v111, v107, v108
	ds_read_b128 v[107:110], v78 offset:512
	v_add_f32_e32 v79, v79, v80
	v_mul_f32_e32 v80, v96, v139
	s_waitcnt vmcnt(29) lgkmcnt(1)
	v_mul_f32_e32 v112, v103, v155
	v_fma_f32 v80, v95, v149, -v80
	s_waitcnt vmcnt(28)
	v_fmac_f32_e32 v112, v104, v156
	v_add_f32_e32 v79, v79, v80
	v_mul_f32_e32 v80, v98, v140
	v_add_f32_e32 v111, v111, v112
	s_waitcnt vmcnt(27)
	v_mul_f32_e32 v112, v105, v157
	v_fma_f32 v80, v97, v150, -v80
	s_waitcnt vmcnt(26)
	v_fmac_f32_e32 v112, v106, v158
	v_add_f32_e32 v79, v79, v80
	v_mul_f32_e32 v80, v100, v151
	v_add_f32_e32 v111, v111, v112
	s_waitcnt vmcnt(25) lgkmcnt(0)
	v_mul_f32_e32 v112, v107, v159
	v_fma_f32 v80, v99, v152, -v80
	s_waitcnt vmcnt(24)
	v_fmac_f32_e32 v112, v108, v160
	v_add_f32_e32 v79, v79, v80
	v_mul_f32_e32 v80, v102, v153
	v_add_f32_e32 v115, v111, v112
	ds_read_b128 v[111:114], v78 offset:528
	v_fma_f32 v80, v101, v154, -v80
	v_add_f32_e32 v79, v79, v80
	v_mul_f32_e32 v80, v104, v155
	s_waitcnt vmcnt(23)
	v_mul_f32_e32 v116, v109, v161
	v_fma_f32 v80, v103, v156, -v80
	s_waitcnt vmcnt(22)
	v_fmac_f32_e32 v116, v110, v162
	v_add_f32_e32 v79, v79, v80
	v_mul_f32_e32 v80, v106, v157
	v_add_f32_e32 v119, v115, v116
	ds_read_b128 v[115:118], v78 offset:544
	v_fma_f32 v80, v105, v158, -v80
	s_waitcnt vmcnt(21) lgkmcnt(1)
	v_mul_f32_e32 v120, v111, v163
	v_add_f32_e32 v79, v79, v80
	v_mul_f32_e32 v80, v108, v159
	s_waitcnt vmcnt(20)
	v_fmac_f32_e32 v120, v112, v164
	v_fma_f32 v80, v107, v160, -v80
	v_add_f32_e32 v119, v119, v120
	s_waitcnt vmcnt(18)
	v_mul_f32_e32 v120, v113, v166
	v_add_f32_e32 v79, v79, v80
	v_mul_f32_e32 v80, v110, v161
	v_fmac_f32_e32 v120, v114, v165
	v_fma_f32 v80, v109, v162, -v80
	v_add_f32_e32 v119, v119, v120
	s_waitcnt vmcnt(15) lgkmcnt(0)
	v_mul_f32_e32 v120, v115, v169
	v_add_f32_e32 v79, v79, v80
	v_mul_f32_e32 v80, v112, v163
	s_waitcnt vmcnt(14)
	v_fmac_f32_e32 v120, v116, v170
	v_fma_f32 v80, v111, v164, -v80
	v_add_f32_e32 v123, v119, v120
	ds_read_b128 v[119:122], v78 offset:560
	v_add_f32_e32 v79, v79, v80
	v_mul_f32_e32 v80, v114, v166
	v_fma_f32 v80, v113, v165, -v80
	v_add_f32_e32 v79, v79, v80
	v_mul_f32_e32 v80, v116, v169
	s_waitcnt vmcnt(12)
	v_mul_f32_e32 v124, v117, v172
	v_fma_f32 v80, v115, v170, -v80
	v_fmac_f32_e32 v124, v118, v171
	v_add_f32_e32 v79, v79, v80
	v_mul_f32_e32 v80, v118, v172
	v_add_f32_e32 v127, v123, v124
	ds_read_b128 v[123:126], v78 offset:576
	s_waitcnt vmcnt(11) lgkmcnt(1)
	v_mul_f32_e32 v128, v119, v173
	v_fma_f32 v80, v117, v171, -v80
	s_waitcnt vmcnt(10)
	v_fmac_f32_e32 v128, v120, v174
	v_add_f32_e32 v79, v79, v80
	v_mul_f32_e32 v80, v120, v173
	v_add_f32_e32 v127, v127, v128
	s_waitcnt vmcnt(8)
	v_mul_f32_e32 v128, v121, v176
	v_fma_f32 v80, v119, v174, -v80
	v_fmac_f32_e32 v128, v122, v175
	v_add_f32_e32 v79, v79, v80
	v_mul_f32_e32 v80, v122, v176
	v_add_f32_e32 v185, v127, v128
	ds_read_b128 v[127:130], v78 offset:592
	v_fma_f32 v80, v121, v175, -v80
	v_add_f32_e32 v79, v79, v80
	s_waitcnt vmcnt(6) lgkmcnt(1)
	v_mul_f32_e32 v80, v124, v178
	v_mul_f32_e32 v186, v123, v178
	v_fma_f32 v80, v123, v177, -v80
	v_fmac_f32_e32 v186, v124, v177
	v_add_f32_e32 v79, v79, v80
	s_waitcnt vmcnt(4)
	v_mul_f32_e32 v80, v126, v180
	v_add_f32_e32 v78, v185, v186
	v_mul_f32_e32 v185, v125, v180
	v_fma_f32 v80, v125, v179, -v80
	v_fmac_f32_e32 v185, v126, v179
	v_add_f32_e32 v79, v79, v80
	s_waitcnt vmcnt(2) lgkmcnt(0)
	v_mul_f32_e32 v80, v128, v182
	v_add_f32_e32 v78, v78, v185
	v_mul_f32_e32 v185, v127, v182
	v_fma_f32 v80, v127, v181, -v80
	v_fmac_f32_e32 v185, v128, v181
	v_add_f32_e32 v79, v79, v80
	s_waitcnt vmcnt(0)
	v_mul_f32_e32 v80, v130, v184
	v_add_f32_e32 v78, v78, v185
	v_mul_f32_e32 v185, v129, v184
	v_fma_f32 v80, v129, v183, -v80
	v_fmac_f32_e32 v185, v130, v183
	v_add_f32_e32 v79, v79, v80
	v_add_f32_e32 v78, v78, v185
	v_sub_f32_e32 v79, v167, v79
	v_sub_f32_e32 v78, v168, v78
	buffer_store_dword v79, off, s[0:3], 0 offset:88
	buffer_store_dword v78, off, s[0:3], 0 offset:92
	s_and_saveexec_b64 s[4:5], vcc
	s_cbranch_execz .LBB101_221
; %bb.220:
	buffer_load_dword v78, off, s[0:3], 0 offset:80
	buffer_load_dword v79, off, s[0:3], 0 offset:84
	v_mov_b32_e32 v80, 0
	buffer_store_dword v80, off, s[0:3], 0 offset:80
	buffer_store_dword v80, off, s[0:3], 0 offset:84
	s_waitcnt vmcnt(2)
	ds_write_b64 v77, v[78:79]
.LBB101_221:
	s_or_b64 exec, exec, s[4:5]
	s_waitcnt lgkmcnt(0)
	; wave barrier
	buffer_load_dword v133, off, s[0:3], 0 offset:92
	buffer_load_dword v134, off, s[0:3], 0 offset:100
	;; [unrolled: 1-line block ×56, first 2 shown]
	v_mov_b32_e32 v78, 0
	ds_read2_b64 v[79:82], v78 offset0:49 offset1:50
	ds_read2_b64 v[83:86], v78 offset0:51 offset1:52
	ds_read2_b64 v[87:90], v78 offset0:53 offset1:54
	ds_read2_b64 v[91:94], v78 offset0:55 offset1:56
	ds_read2_b64 v[95:98], v78 offset0:57 offset1:58
	ds_read2_b64 v[99:102], v78 offset0:59 offset1:60
	v_cmp_lt_u32_e32 vcc, 9, v0
	s_waitcnt vmcnt(55) lgkmcnt(5)
	v_mul_f32_e32 v103, v79, v133
	s_waitcnt vmcnt(54)
	v_mul_f32_e32 v104, v81, v134
	s_waitcnt vmcnt(53) lgkmcnt(4)
	v_mul_f32_e32 v105, v83, v135
	s_waitcnt vmcnt(52)
	v_mul_f32_e32 v106, v85, v136
	s_waitcnt vmcnt(51) lgkmcnt(3)
	v_mul_f32_e32 v107, v87, v137
	s_waitcnt vmcnt(50)
	v_mul_f32_e32 v108, v89, v138
	s_waitcnt vmcnt(49) lgkmcnt(2)
	v_mul_f32_e32 v109, v91, v139
	s_waitcnt vmcnt(48)
	v_mul_f32_e32 v110, v93, v140
	s_waitcnt vmcnt(47) lgkmcnt(1)
	v_mul_f32_e32 v111, v95, v141
	s_waitcnt vmcnt(46)
	v_fmac_f32_e32 v103, v80, v142
	s_waitcnt vmcnt(45)
	v_fmac_f32_e32 v104, v82, v143
	v_add_f32_e32 v103, 0, v103
	s_waitcnt vmcnt(44)
	v_fmac_f32_e32 v105, v84, v144
	v_add_f32_e32 v103, v103, v104
	;; [unrolled: 3-line block ×3, first 2 shown]
	v_mul_f32_e32 v80, v80, v133
	s_waitcnt vmcnt(42)
	v_fmac_f32_e32 v107, v88, v146
	v_add_f32_e32 v103, v103, v106
	v_fma_f32 v79, v79, v142, -v80
	v_mul_f32_e32 v80, v82, v134
	s_waitcnt vmcnt(41)
	v_fmac_f32_e32 v108, v90, v147
	v_add_f32_e32 v103, v103, v107
	v_add_f32_e32 v79, 0, v79
	v_fma_f32 v80, v81, v143, -v80
	s_waitcnt vmcnt(40)
	v_fmac_f32_e32 v109, v92, v148
	v_add_f32_e32 v103, v103, v108
	v_add_f32_e32 v79, v79, v80
	v_mul_f32_e32 v80, v84, v135
	s_waitcnt vmcnt(39)
	v_fmac_f32_e32 v110, v94, v149
	v_add_f32_e32 v103, v103, v109
	v_fma_f32 v80, v83, v144, -v80
	v_add_f32_e32 v103, v103, v110
	s_waitcnt vmcnt(38)
	v_fmac_f32_e32 v111, v96, v150
	s_waitcnt vmcnt(37)
	v_mul_f32_e32 v104, v97, v151
	v_add_f32_e32 v79, v79, v80
	v_mul_f32_e32 v80, v86, v136
	v_add_f32_e32 v103, v103, v111
	s_waitcnt vmcnt(36)
	v_fmac_f32_e32 v104, v98, v152
	v_fma_f32 v80, v85, v145, -v80
	v_add_f32_e32 v103, v103, v104
	s_waitcnt vmcnt(35) lgkmcnt(0)
	v_mul_f32_e32 v104, v99, v153
	v_add_f32_e32 v79, v79, v80
	v_mul_f32_e32 v80, v88, v137
	s_waitcnt vmcnt(34)
	v_fmac_f32_e32 v104, v100, v154
	v_fma_f32 v80, v87, v146, -v80
	v_add_f32_e32 v107, v103, v104
	ds_read2_b64 v[103:106], v78 offset0:61 offset1:62
	v_add_f32_e32 v79, v79, v80
	v_mul_f32_e32 v80, v90, v138
	v_fma_f32 v80, v89, v147, -v80
	s_waitcnt vmcnt(33)
	v_mul_f32_e32 v108, v101, v155
	v_add_f32_e32 v79, v79, v80
	v_mul_f32_e32 v80, v92, v139
	s_waitcnt vmcnt(32)
	v_fmac_f32_e32 v108, v102, v156
	v_fma_f32 v80, v91, v148, -v80
	v_add_f32_e32 v111, v107, v108
	ds_read2_b64 v[107:110], v78 offset0:63 offset1:64
	v_add_f32_e32 v79, v79, v80
	v_mul_f32_e32 v80, v94, v140
	s_waitcnt vmcnt(31) lgkmcnt(1)
	v_mul_f32_e32 v112, v103, v157
	v_fma_f32 v80, v93, v149, -v80
	s_waitcnt vmcnt(30)
	v_fmac_f32_e32 v112, v104, v158
	v_add_f32_e32 v79, v79, v80
	v_mul_f32_e32 v80, v96, v141
	v_add_f32_e32 v111, v111, v112
	s_waitcnt vmcnt(29)
	v_mul_f32_e32 v112, v105, v159
	v_fma_f32 v80, v95, v150, -v80
	s_waitcnt vmcnt(28)
	v_fmac_f32_e32 v112, v106, v160
	v_add_f32_e32 v79, v79, v80
	v_mul_f32_e32 v80, v98, v151
	v_add_f32_e32 v111, v111, v112
	s_waitcnt vmcnt(27) lgkmcnt(0)
	v_mul_f32_e32 v112, v107, v161
	v_fma_f32 v80, v97, v152, -v80
	s_waitcnt vmcnt(26)
	v_fmac_f32_e32 v112, v108, v162
	v_add_f32_e32 v79, v79, v80
	v_mul_f32_e32 v80, v100, v153
	v_add_f32_e32 v115, v111, v112
	ds_read2_b64 v[111:114], v78 offset0:65 offset1:66
	v_fma_f32 v80, v99, v154, -v80
	v_add_f32_e32 v79, v79, v80
	v_mul_f32_e32 v80, v102, v155
	s_waitcnt vmcnt(24)
	v_mul_f32_e32 v116, v109, v164
	v_fma_f32 v80, v101, v156, -v80
	v_fmac_f32_e32 v116, v110, v163
	v_add_f32_e32 v79, v79, v80
	v_mul_f32_e32 v80, v104, v157
	v_add_f32_e32 v119, v115, v116
	ds_read2_b64 v[115:118], v78 offset0:67 offset1:68
	v_fma_f32 v80, v103, v158, -v80
	s_waitcnt vmcnt(21) lgkmcnt(1)
	v_mul_f32_e32 v120, v111, v167
	v_add_f32_e32 v79, v79, v80
	v_mul_f32_e32 v80, v106, v159
	s_waitcnt vmcnt(20)
	v_fmac_f32_e32 v120, v112, v168
	v_fma_f32 v80, v105, v160, -v80
	v_add_f32_e32 v119, v119, v120
	s_waitcnt vmcnt(18)
	v_mul_f32_e32 v120, v113, v170
	v_add_f32_e32 v79, v79, v80
	v_mul_f32_e32 v80, v108, v161
	v_fmac_f32_e32 v120, v114, v169
	v_fma_f32 v80, v107, v162, -v80
	v_add_f32_e32 v119, v119, v120
	s_waitcnt vmcnt(16) lgkmcnt(0)
	v_mul_f32_e32 v120, v115, v172
	v_add_f32_e32 v79, v79, v80
	v_mul_f32_e32 v80, v110, v164
	v_fmac_f32_e32 v120, v116, v171
	v_fma_f32 v80, v109, v163, -v80
	v_add_f32_e32 v123, v119, v120
	ds_read2_b64 v[119:122], v78 offset0:69 offset1:70
	v_add_f32_e32 v79, v79, v80
	v_mul_f32_e32 v80, v112, v167
	v_fma_f32 v80, v111, v168, -v80
	s_waitcnt vmcnt(14)
	v_mul_f32_e32 v124, v117, v174
	v_add_f32_e32 v79, v79, v80
	v_mul_f32_e32 v80, v114, v170
	v_fmac_f32_e32 v124, v118, v173
	v_fma_f32 v80, v113, v169, -v80
	v_add_f32_e32 v127, v123, v124
	ds_read2_b64 v[123:126], v78 offset0:71 offset1:72
	v_add_f32_e32 v79, v79, v80
	v_mul_f32_e32 v80, v116, v172
	s_waitcnt vmcnt(12) lgkmcnt(1)
	v_mul_f32_e32 v128, v119, v176
	v_fma_f32 v80, v115, v171, -v80
	v_fmac_f32_e32 v128, v120, v175
	v_add_f32_e32 v79, v79, v80
	v_mul_f32_e32 v80, v118, v174
	v_add_f32_e32 v127, v127, v128
	s_waitcnt vmcnt(10)
	v_mul_f32_e32 v128, v121, v178
	v_fma_f32 v80, v117, v173, -v80
	v_fmac_f32_e32 v128, v122, v177
	v_add_f32_e32 v79, v79, v80
	v_mul_f32_e32 v80, v120, v176
	v_add_f32_e32 v127, v127, v128
	s_waitcnt vmcnt(8) lgkmcnt(0)
	v_mul_f32_e32 v128, v123, v180
	v_fma_f32 v80, v119, v175, -v80
	v_fmac_f32_e32 v128, v124, v179
	v_add_f32_e32 v79, v79, v80
	v_mul_f32_e32 v80, v122, v178
	v_add_f32_e32 v131, v127, v128
	ds_read2_b64 v[127:130], v78 offset0:73 offset1:74
	v_fma_f32 v80, v121, v177, -v80
	v_add_f32_e32 v79, v79, v80
	v_mul_f32_e32 v80, v124, v180
	s_waitcnt vmcnt(6)
	v_mul_f32_e32 v132, v125, v182
	v_fma_f32 v80, v123, v179, -v80
	v_fmac_f32_e32 v132, v126, v181
	v_add_f32_e32 v79, v79, v80
	v_mul_f32_e32 v80, v126, v182
	v_add_f32_e32 v189, v131, v132
	ds_read_b64 v[131:132], v78 offset:600
	v_fma_f32 v80, v125, v181, -v80
	v_add_f32_e32 v79, v79, v80
	s_waitcnt vmcnt(4) lgkmcnt(1)
	v_mul_f32_e32 v80, v128, v184
	v_mul_f32_e32 v190, v127, v184
	v_fma_f32 v80, v127, v183, -v80
	v_fmac_f32_e32 v190, v128, v183
	v_add_f32_e32 v79, v79, v80
	s_waitcnt vmcnt(2)
	v_mul_f32_e32 v80, v130, v186
	v_add_f32_e32 v189, v189, v190
	v_mul_f32_e32 v190, v129, v186
	v_fma_f32 v80, v129, v185, -v80
	v_fmac_f32_e32 v190, v130, v185
	v_add_f32_e32 v79, v79, v80
	s_waitcnt vmcnt(0) lgkmcnt(0)
	v_mul_f32_e32 v80, v132, v188
	v_add_f32_e32 v189, v189, v190
	v_mul_f32_e32 v190, v131, v188
	v_fma_f32 v80, v131, v187, -v80
	v_fmac_f32_e32 v190, v132, v187
	v_add_f32_e32 v79, v79, v80
	v_add_f32_e32 v189, v189, v190
	v_sub_f32_e32 v79, v165, v79
	v_sub_f32_e32 v80, v166, v189
	buffer_store_dword v79, off, s[0:3], 0 offset:80
	buffer_store_dword v80, off, s[0:3], 0 offset:84
	s_and_saveexec_b64 s[4:5], vcc
	s_cbranch_execz .LBB101_223
; %bb.222:
	buffer_load_dword v79, off, s[0:3], 0 offset:72
	buffer_load_dword v80, off, s[0:3], 0 offset:76
	s_waitcnt vmcnt(0)
	ds_write_b64 v77, v[79:80]
	buffer_store_dword v78, off, s[0:3], 0 offset:72
	buffer_store_dword v78, off, s[0:3], 0 offset:76
.LBB101_223:
	s_or_b64 exec, exec, s[4:5]
	s_waitcnt lgkmcnt(0)
	; wave barrier
	buffer_load_dword v135, off, s[0:3], 0 offset:84
	buffer_load_dword v136, off, s[0:3], 0 offset:92
	;; [unrolled: 1-line block ×34, first 2 shown]
	ds_read_b128 v[79:82], v78 offset:384
	ds_read_b128 v[83:86], v78 offset:400
	buffer_load_dword v169, off, s[0:3], 0 offset:212
	buffer_load_dword v170, off, s[0:3], 0 offset:208
	;; [unrolled: 1-line block ×6, first 2 shown]
	ds_read_b128 v[87:90], v78 offset:416
	ds_read_b128 v[91:94], v78 offset:432
	;; [unrolled: 1-line block ×4, first 2 shown]
	buffer_load_dword v175, off, s[0:3], 0 offset:236
	buffer_load_dword v176, off, s[0:3], 0 offset:232
	;; [unrolled: 1-line block ×18, first 2 shown]
	v_cmp_lt_u32_e32 vcc, 8, v0
	s_waitcnt vmcnt(57) lgkmcnt(5)
	v_mul_f32_e32 v103, v79, v135
	s_waitcnt vmcnt(56)
	v_mul_f32_e32 v104, v81, v136
	s_waitcnt vmcnt(55) lgkmcnt(4)
	v_mul_f32_e32 v105, v83, v137
	s_waitcnt vmcnt(54)
	v_mul_f32_e32 v106, v85, v138
	;; [unrolled: 4-line block ×4, first 2 shown]
	s_waitcnt vmcnt(49)
	v_fmac_f32_e32 v103, v80, v143
	s_waitcnt vmcnt(48)
	v_fmac_f32_e32 v104, v82, v144
	v_add_f32_e32 v103, 0, v103
	s_waitcnt vmcnt(47)
	v_fmac_f32_e32 v105, v84, v145
	v_add_f32_e32 v103, v103, v104
	;; [unrolled: 3-line block ×4, first 2 shown]
	v_mul_f32_e32 v80, v80, v135
	s_waitcnt vmcnt(44)
	v_fmac_f32_e32 v108, v90, v148
	v_add_f32_e32 v103, v103, v107
	v_fma_f32 v79, v79, v143, -v80
	v_mul_f32_e32 v80, v82, v136
	s_waitcnt vmcnt(43)
	v_fmac_f32_e32 v109, v92, v149
	v_add_f32_e32 v103, v103, v108
	v_add_f32_e32 v79, 0, v79
	v_fma_f32 v80, v81, v144, -v80
	s_waitcnt vmcnt(42)
	v_fmac_f32_e32 v110, v94, v150
	v_add_f32_e32 v103, v103, v109
	s_waitcnt vmcnt(41) lgkmcnt(1)
	v_mul_f32_e32 v104, v95, v151
	v_add_f32_e32 v79, v79, v80
	v_mul_f32_e32 v80, v84, v137
	v_add_f32_e32 v103, v103, v110
	s_waitcnt vmcnt(40)
	v_fmac_f32_e32 v104, v96, v152
	v_fma_f32 v80, v83, v145, -v80
	v_add_f32_e32 v103, v103, v104
	s_waitcnt vmcnt(39)
	v_mul_f32_e32 v104, v97, v153
	v_add_f32_e32 v79, v79, v80
	v_mul_f32_e32 v80, v86, v138
	s_waitcnt vmcnt(38)
	v_fmac_f32_e32 v104, v98, v154
	v_fma_f32 v80, v85, v146, -v80
	v_add_f32_e32 v103, v103, v104
	s_waitcnt vmcnt(37) lgkmcnt(0)
	v_mul_f32_e32 v104, v99, v155
	v_add_f32_e32 v79, v79, v80
	v_mul_f32_e32 v80, v88, v139
	s_waitcnt vmcnt(36)
	v_fmac_f32_e32 v104, v100, v156
	v_fma_f32 v80, v87, v147, -v80
	v_add_f32_e32 v107, v103, v104
	ds_read_b128 v[103:106], v78 offset:480
	v_add_f32_e32 v79, v79, v80
	v_mul_f32_e32 v80, v90, v140
	v_fma_f32 v80, v89, v148, -v80
	s_waitcnt vmcnt(35)
	v_mul_f32_e32 v108, v101, v157
	v_add_f32_e32 v79, v79, v80
	v_mul_f32_e32 v80, v92, v141
	s_waitcnt vmcnt(34)
	v_fmac_f32_e32 v108, v102, v158
	v_fma_f32 v80, v91, v149, -v80
	v_add_f32_e32 v111, v107, v108
	ds_read_b128 v[107:110], v78 offset:496
	v_add_f32_e32 v79, v79, v80
	v_mul_f32_e32 v80, v94, v142
	s_waitcnt vmcnt(33) lgkmcnt(1)
	v_mul_f32_e32 v112, v103, v159
	v_fma_f32 v80, v93, v150, -v80
	s_waitcnt vmcnt(32)
	v_fmac_f32_e32 v112, v104, v160
	v_add_f32_e32 v79, v79, v80
	v_mul_f32_e32 v80, v96, v151
	v_add_f32_e32 v111, v111, v112
	s_waitcnt vmcnt(31)
	v_mul_f32_e32 v112, v105, v161
	v_fma_f32 v80, v95, v152, -v80
	s_waitcnt vmcnt(30)
	v_fmac_f32_e32 v112, v106, v162
	v_add_f32_e32 v79, v79, v80
	v_mul_f32_e32 v80, v98, v153
	v_add_f32_e32 v111, v111, v112
	s_waitcnt vmcnt(29) lgkmcnt(0)
	v_mul_f32_e32 v112, v107, v163
	v_fma_f32 v80, v97, v154, -v80
	s_waitcnt vmcnt(28)
	v_fmac_f32_e32 v112, v108, v164
	v_add_f32_e32 v79, v79, v80
	v_mul_f32_e32 v80, v100, v155
	v_add_f32_e32 v115, v111, v112
	ds_read_b128 v[111:114], v78 offset:512
	v_fma_f32 v80, v99, v156, -v80
	v_add_f32_e32 v79, v79, v80
	v_mul_f32_e32 v80, v102, v157
	s_waitcnt vmcnt(25)
	v_mul_f32_e32 v116, v109, v167
	v_fma_f32 v80, v101, v158, -v80
	s_waitcnt vmcnt(24)
	v_fmac_f32_e32 v116, v110, v168
	v_add_f32_e32 v79, v79, v80
	v_mul_f32_e32 v80, v104, v159
	v_add_f32_e32 v119, v115, v116
	ds_read_b128 v[115:118], v78 offset:528
	v_fma_f32 v80, v103, v160, -v80
	s_waitcnt vmcnt(23) lgkmcnt(1)
	v_mul_f32_e32 v120, v111, v169
	v_add_f32_e32 v79, v79, v80
	v_mul_f32_e32 v80, v106, v161
	s_waitcnt vmcnt(22)
	v_fmac_f32_e32 v120, v112, v170
	v_fma_f32 v80, v105, v162, -v80
	v_add_f32_e32 v119, v119, v120
	s_waitcnt vmcnt(20)
	v_mul_f32_e32 v120, v113, v172
	v_add_f32_e32 v79, v79, v80
	v_mul_f32_e32 v80, v108, v163
	v_fmac_f32_e32 v120, v114, v171
	v_fma_f32 v80, v107, v164, -v80
	v_add_f32_e32 v119, v119, v120
	s_waitcnt vmcnt(18) lgkmcnt(0)
	v_mul_f32_e32 v120, v115, v174
	v_add_f32_e32 v79, v79, v80
	v_mul_f32_e32 v80, v110, v167
	v_fmac_f32_e32 v120, v116, v173
	v_fma_f32 v80, v109, v168, -v80
	v_add_f32_e32 v123, v119, v120
	ds_read_b128 v[119:122], v78 offset:544
	v_add_f32_e32 v79, v79, v80
	v_mul_f32_e32 v80, v112, v169
	v_fma_f32 v80, v111, v170, -v80
	s_waitcnt vmcnt(17)
	v_mul_f32_e32 v124, v117, v175
	v_add_f32_e32 v79, v79, v80
	v_mul_f32_e32 v80, v114, v172
	s_waitcnt vmcnt(16)
	v_fmac_f32_e32 v124, v118, v176
	v_fma_f32 v80, v113, v171, -v80
	v_add_f32_e32 v127, v123, v124
	ds_read_b128 v[123:126], v78 offset:560
	v_add_f32_e32 v79, v79, v80
	v_mul_f32_e32 v80, v116, v174
	s_waitcnt vmcnt(14) lgkmcnt(1)
	v_mul_f32_e32 v128, v119, v178
	v_fma_f32 v80, v115, v173, -v80
	v_fmac_f32_e32 v128, v120, v177
	v_add_f32_e32 v79, v79, v80
	v_mul_f32_e32 v80, v118, v175
	v_add_f32_e32 v127, v127, v128
	s_waitcnt vmcnt(12)
	v_mul_f32_e32 v128, v121, v180
	v_fma_f32 v80, v117, v176, -v80
	v_fmac_f32_e32 v128, v122, v179
	v_add_f32_e32 v79, v79, v80
	v_mul_f32_e32 v80, v120, v178
	v_add_f32_e32 v127, v127, v128
	s_waitcnt vmcnt(10) lgkmcnt(0)
	v_mul_f32_e32 v128, v123, v182
	v_fma_f32 v80, v119, v177, -v80
	v_fmac_f32_e32 v128, v124, v181
	v_add_f32_e32 v79, v79, v80
	v_mul_f32_e32 v80, v122, v180
	v_add_f32_e32 v131, v127, v128
	ds_read_b128 v[127:130], v78 offset:576
	v_fma_f32 v80, v121, v179, -v80
	v_add_f32_e32 v79, v79, v80
	v_mul_f32_e32 v80, v124, v182
	s_waitcnt vmcnt(8)
	v_mul_f32_e32 v132, v125, v184
	v_fma_f32 v80, v123, v181, -v80
	v_fmac_f32_e32 v132, v126, v183
	v_add_f32_e32 v79, v79, v80
	v_mul_f32_e32 v80, v126, v184
	v_add_f32_e32 v193, v131, v132
	ds_read_b128 v[131:134], v78 offset:592
	v_fma_f32 v80, v125, v183, -v80
	v_add_f32_e32 v79, v79, v80
	s_waitcnt vmcnt(6) lgkmcnt(1)
	v_mul_f32_e32 v80, v128, v186
	v_mul_f32_e32 v78, v127, v186
	v_fma_f32 v80, v127, v185, -v80
	v_fmac_f32_e32 v78, v128, v185
	v_add_f32_e32 v79, v79, v80
	s_waitcnt vmcnt(4)
	v_mul_f32_e32 v80, v130, v188
	v_add_f32_e32 v78, v193, v78
	v_mul_f32_e32 v193, v129, v188
	v_fma_f32 v80, v129, v187, -v80
	v_fmac_f32_e32 v193, v130, v187
	v_add_f32_e32 v79, v79, v80
	s_waitcnt vmcnt(2) lgkmcnt(0)
	v_mul_f32_e32 v80, v132, v190
	v_add_f32_e32 v78, v78, v193
	v_mul_f32_e32 v193, v131, v190
	v_fma_f32 v80, v131, v189, -v80
	v_fmac_f32_e32 v193, v132, v189
	v_add_f32_e32 v79, v79, v80
	s_waitcnt vmcnt(0)
	v_mul_f32_e32 v80, v134, v192
	v_add_f32_e32 v78, v78, v193
	v_mul_f32_e32 v193, v133, v192
	v_fma_f32 v80, v133, v191, -v80
	v_fmac_f32_e32 v193, v134, v191
	v_add_f32_e32 v79, v79, v80
	v_add_f32_e32 v78, v78, v193
	v_sub_f32_e32 v79, v165, v79
	v_sub_f32_e32 v78, v166, v78
	buffer_store_dword v79, off, s[0:3], 0 offset:72
	buffer_store_dword v78, off, s[0:3], 0 offset:76
	s_and_saveexec_b64 s[4:5], vcc
	s_cbranch_execz .LBB101_225
; %bb.224:
	buffer_load_dword v78, off, s[0:3], 0 offset:64
	buffer_load_dword v79, off, s[0:3], 0 offset:68
	v_mov_b32_e32 v80, 0
	buffer_store_dword v80, off, s[0:3], 0 offset:64
	buffer_store_dword v80, off, s[0:3], 0 offset:68
	s_waitcnt vmcnt(2)
	ds_write_b64 v77, v[78:79]
.LBB101_225:
	s_or_b64 exec, exec, s[4:5]
	s_waitcnt lgkmcnt(0)
	; wave barrier
	buffer_load_dword v137, off, s[0:3], 0 offset:76
	buffer_load_dword v138, off, s[0:3], 0 offset:84
	;; [unrolled: 1-line block ×60, first 2 shown]
	v_mov_b32_e32 v78, 0
	ds_read2_b64 v[79:82], v78 offset0:47 offset1:48
	ds_read2_b64 v[83:86], v78 offset0:49 offset1:50
	;; [unrolled: 1-line block ×5, first 2 shown]
	v_cmp_lt_u32_e32 vcc, 7, v0
	s_waitcnt vmcnt(59) lgkmcnt(4)
	v_mul_f32_e32 v99, v79, v137
	s_waitcnt vmcnt(58)
	v_mul_f32_e32 v100, v81, v138
	s_waitcnt vmcnt(57) lgkmcnt(3)
	v_mul_f32_e32 v101, v83, v139
	s_waitcnt vmcnt(56)
	v_mul_f32_e32 v102, v85, v140
	;; [unrolled: 4-line block ×3, first 2 shown]
	s_waitcnt vmcnt(53) lgkmcnt(1)
	v_mul_f32_e32 v105, v91, v143
	s_waitcnt vmcnt(52)
	v_fmac_f32_e32 v99, v80, v144
	s_waitcnt vmcnt(51)
	v_fmac_f32_e32 v100, v82, v145
	v_add_f32_e32 v99, 0, v99
	s_waitcnt vmcnt(50)
	v_fmac_f32_e32 v101, v84, v146
	v_add_f32_e32 v99, v99, v100
	;; [unrolled: 3-line block ×6, first 2 shown]
	s_waitcnt vmcnt(45)
	v_mul_f32_e32 v100, v93, v151
	v_add_f32_e32 v99, v99, v105
	s_waitcnt vmcnt(44)
	v_fmac_f32_e32 v100, v94, v152
	v_mul_f32_e32 v80, v80, v137
	v_add_f32_e32 v103, v99, v100
	ds_read2_b64 v[99:102], v78 offset0:57 offset1:58
	v_fma_f32 v79, v79, v144, -v80
	v_mul_f32_e32 v80, v82, v138
	s_waitcnt vmcnt(43) lgkmcnt(1)
	v_mul_f32_e32 v104, v95, v153
	v_add_f32_e32 v79, 0, v79
	v_fma_f32 v80, v81, v145, -v80
	s_waitcnt vmcnt(42)
	v_fmac_f32_e32 v104, v96, v154
	v_add_f32_e32 v79, v79, v80
	v_mul_f32_e32 v80, v84, v139
	v_add_f32_e32 v103, v103, v104
	s_waitcnt vmcnt(41)
	v_mul_f32_e32 v104, v97, v155
	v_fma_f32 v80, v83, v146, -v80
	s_waitcnt vmcnt(40)
	v_fmac_f32_e32 v104, v98, v156
	v_add_f32_e32 v79, v79, v80
	v_mul_f32_e32 v80, v86, v140
	v_add_f32_e32 v103, v103, v104
	s_waitcnt vmcnt(39) lgkmcnt(0)
	v_mul_f32_e32 v104, v99, v157
	v_fma_f32 v80, v85, v147, -v80
	s_waitcnt vmcnt(38)
	v_fmac_f32_e32 v104, v100, v158
	v_add_f32_e32 v79, v79, v80
	v_mul_f32_e32 v80, v88, v141
	v_add_f32_e32 v107, v103, v104
	ds_read2_b64 v[103:106], v78 offset0:59 offset1:60
	v_fma_f32 v80, v87, v148, -v80
	v_add_f32_e32 v79, v79, v80
	v_mul_f32_e32 v80, v90, v142
	s_waitcnt vmcnt(37)
	v_mul_f32_e32 v108, v101, v159
	v_fma_f32 v80, v89, v149, -v80
	s_waitcnt vmcnt(36)
	v_fmac_f32_e32 v108, v102, v160
	v_add_f32_e32 v79, v79, v80
	v_mul_f32_e32 v80, v92, v143
	v_add_f32_e32 v111, v107, v108
	ds_read2_b64 v[107:110], v78 offset0:61 offset1:62
	v_fma_f32 v80, v91, v150, -v80
	s_waitcnt vmcnt(34) lgkmcnt(1)
	v_mul_f32_e32 v112, v103, v162
	v_add_f32_e32 v79, v79, v80
	v_mul_f32_e32 v80, v94, v151
	v_fmac_f32_e32 v112, v104, v161
	v_fma_f32 v80, v93, v152, -v80
	v_add_f32_e32 v111, v111, v112
	s_waitcnt vmcnt(31)
	v_mul_f32_e32 v112, v105, v165
	v_add_f32_e32 v79, v79, v80
	v_mul_f32_e32 v80, v96, v153
	s_waitcnt vmcnt(30)
	v_fmac_f32_e32 v112, v106, v166
	v_fma_f32 v80, v95, v154, -v80
	v_add_f32_e32 v111, v111, v112
	s_waitcnt vmcnt(28) lgkmcnt(0)
	v_mul_f32_e32 v112, v107, v168
	v_add_f32_e32 v79, v79, v80
	v_mul_f32_e32 v80, v98, v155
	v_fmac_f32_e32 v112, v108, v167
	v_fma_f32 v80, v97, v156, -v80
	v_add_f32_e32 v115, v111, v112
	ds_read2_b64 v[111:114], v78 offset0:63 offset1:64
	v_add_f32_e32 v79, v79, v80
	v_mul_f32_e32 v80, v100, v157
	v_fma_f32 v80, v99, v158, -v80
	s_waitcnt vmcnt(26)
	v_mul_f32_e32 v116, v109, v170
	v_add_f32_e32 v79, v79, v80
	v_mul_f32_e32 v80, v102, v159
	v_fmac_f32_e32 v116, v110, v169
	v_fma_f32 v80, v101, v160, -v80
	v_add_f32_e32 v119, v115, v116
	ds_read2_b64 v[115:118], v78 offset0:65 offset1:66
	v_add_f32_e32 v79, v79, v80
	v_mul_f32_e32 v80, v104, v162
	s_waitcnt vmcnt(24) lgkmcnt(1)
	v_mul_f32_e32 v120, v111, v172
	v_fma_f32 v80, v103, v161, -v80
	v_fmac_f32_e32 v120, v112, v171
	v_add_f32_e32 v79, v79, v80
	v_mul_f32_e32 v80, v106, v165
	v_add_f32_e32 v119, v119, v120
	s_waitcnt vmcnt(22)
	v_mul_f32_e32 v120, v113, v174
	v_fma_f32 v80, v105, v166, -v80
	v_fmac_f32_e32 v120, v114, v173
	v_add_f32_e32 v79, v79, v80
	v_mul_f32_e32 v80, v108, v168
	v_add_f32_e32 v119, v119, v120
	s_waitcnt vmcnt(20) lgkmcnt(0)
	v_mul_f32_e32 v120, v115, v176
	v_fma_f32 v80, v107, v167, -v80
	v_fmac_f32_e32 v120, v116, v175
	v_add_f32_e32 v79, v79, v80
	v_mul_f32_e32 v80, v110, v170
	v_add_f32_e32 v123, v119, v120
	ds_read2_b64 v[119:122], v78 offset0:67 offset1:68
	v_fma_f32 v80, v109, v169, -v80
	v_add_f32_e32 v79, v79, v80
	v_mul_f32_e32 v80, v112, v172
	s_waitcnt vmcnt(18)
	v_mul_f32_e32 v124, v117, v178
	v_fma_f32 v80, v111, v171, -v80
	v_fmac_f32_e32 v124, v118, v177
	v_add_f32_e32 v79, v79, v80
	v_mul_f32_e32 v80, v114, v174
	v_add_f32_e32 v127, v123, v124
	ds_read2_b64 v[123:126], v78 offset0:69 offset1:70
	v_fma_f32 v80, v113, v173, -v80
	s_waitcnt vmcnt(16) lgkmcnt(1)
	v_mul_f32_e32 v128, v119, v180
	v_add_f32_e32 v79, v79, v80
	v_mul_f32_e32 v80, v116, v176
	v_fmac_f32_e32 v128, v120, v179
	v_fma_f32 v80, v115, v175, -v80
	v_add_f32_e32 v127, v127, v128
	s_waitcnt vmcnt(14)
	v_mul_f32_e32 v128, v121, v182
	v_add_f32_e32 v79, v79, v80
	v_mul_f32_e32 v80, v118, v178
	v_fmac_f32_e32 v128, v122, v181
	v_fma_f32 v80, v117, v177, -v80
	v_add_f32_e32 v127, v127, v128
	s_waitcnt vmcnt(12) lgkmcnt(0)
	v_mul_f32_e32 v128, v123, v184
	v_add_f32_e32 v79, v79, v80
	v_mul_f32_e32 v80, v120, v180
	v_fmac_f32_e32 v128, v124, v183
	v_fma_f32 v80, v119, v179, -v80
	v_add_f32_e32 v131, v127, v128
	ds_read2_b64 v[127:130], v78 offset0:71 offset1:72
	v_add_f32_e32 v79, v79, v80
	v_mul_f32_e32 v80, v122, v182
	v_fma_f32 v80, v121, v181, -v80
	v_add_f32_e32 v79, v79, v80
	v_mul_f32_e32 v80, v124, v184
	s_waitcnt vmcnt(10)
	v_mul_f32_e32 v132, v125, v186
	v_fma_f32 v80, v123, v183, -v80
	v_fmac_f32_e32 v132, v126, v185
	v_add_f32_e32 v79, v79, v80
	v_mul_f32_e32 v80, v126, v186
	v_add_f32_e32 v135, v131, v132
	ds_read2_b64 v[131:134], v78 offset0:73 offset1:74
	s_waitcnt vmcnt(8) lgkmcnt(1)
	v_mul_f32_e32 v136, v127, v188
	v_fma_f32 v80, v125, v185, -v80
	v_fmac_f32_e32 v136, v128, v187
	v_add_f32_e32 v79, v79, v80
	v_mul_f32_e32 v80, v128, v188
	v_add_f32_e32 v135, v135, v136
	s_waitcnt vmcnt(6)
	v_mul_f32_e32 v136, v129, v190
	v_fma_f32 v80, v127, v187, -v80
	v_fmac_f32_e32 v136, v130, v189
	v_add_f32_e32 v79, v79, v80
	v_mul_f32_e32 v80, v130, v190
	v_add_f32_e32 v197, v135, v136
	ds_read_b64 v[135:136], v78 offset:600
	v_fma_f32 v80, v129, v189, -v80
	v_add_f32_e32 v79, v79, v80
	s_waitcnt vmcnt(4) lgkmcnt(1)
	v_mul_f32_e32 v80, v132, v192
	v_mul_f32_e32 v198, v131, v192
	v_fma_f32 v80, v131, v191, -v80
	v_fmac_f32_e32 v198, v132, v191
	v_add_f32_e32 v79, v79, v80
	s_waitcnt vmcnt(2)
	v_mul_f32_e32 v80, v134, v194
	v_add_f32_e32 v197, v197, v198
	v_mul_f32_e32 v198, v133, v194
	v_fma_f32 v80, v133, v193, -v80
	v_fmac_f32_e32 v198, v134, v193
	v_add_f32_e32 v79, v79, v80
	s_waitcnt vmcnt(0) lgkmcnt(0)
	v_mul_f32_e32 v80, v136, v196
	v_add_f32_e32 v197, v197, v198
	v_mul_f32_e32 v198, v135, v196
	v_fma_f32 v80, v135, v195, -v80
	v_fmac_f32_e32 v198, v136, v195
	v_add_f32_e32 v79, v79, v80
	v_add_f32_e32 v197, v197, v198
	v_sub_f32_e32 v79, v163, v79
	v_sub_f32_e32 v80, v164, v197
	buffer_store_dword v79, off, s[0:3], 0 offset:64
	buffer_store_dword v80, off, s[0:3], 0 offset:68
	s_and_saveexec_b64 s[4:5], vcc
	s_cbranch_execz .LBB101_227
; %bb.226:
	buffer_load_dword v79, off, s[0:3], 0 offset:56
	buffer_load_dword v80, off, s[0:3], 0 offset:60
	s_waitcnt vmcnt(0)
	ds_write_b64 v77, v[79:80]
	buffer_store_dword v78, off, s[0:3], 0 offset:56
	buffer_store_dword v78, off, s[0:3], 0 offset:60
.LBB101_227:
	s_or_b64 exec, exec, s[4:5]
	s_waitcnt lgkmcnt(0)
	; wave barrier
	buffer_load_dword v139, off, s[0:3], 0 offset:68
	buffer_load_dword v140, off, s[0:3], 0 offset:76
	;; [unrolled: 1-line block ×32, first 2 shown]
	ds_read_b128 v[79:82], v78 offset:368
	ds_read_b128 v[83:86], v78 offset:384
	;; [unrolled: 1-line block ×4, first 2 shown]
	buffer_load_dword v171, off, s[0:3], 0 offset:188
	buffer_load_dword v172, off, s[0:3], 0 offset:184
	;; [unrolled: 1-line block ×30, first 2 shown]
	v_cmp_lt_u32_e32 vcc, 6, v0
	s_waitcnt vmcnt(61) lgkmcnt(3)
	v_mul_f32_e32 v95, v79, v139
	s_waitcnt vmcnt(60)
	v_mul_f32_e32 v96, v81, v140
	s_waitcnt vmcnt(59) lgkmcnt(2)
	v_mul_f32_e32 v97, v83, v141
	s_waitcnt vmcnt(58)
	v_mul_f32_e32 v98, v85, v142
	;; [unrolled: 4-line block ×3, first 2 shown]
	s_waitcnt vmcnt(55) lgkmcnt(0)
	v_mul_f32_e32 v101, v91, v145
	s_waitcnt vmcnt(54)
	v_fmac_f32_e32 v95, v80, v146
	s_waitcnt vmcnt(53)
	v_fmac_f32_e32 v96, v82, v147
	v_add_f32_e32 v95, 0, v95
	s_waitcnt vmcnt(52)
	v_fmac_f32_e32 v97, v84, v148
	v_add_f32_e32 v95, v95, v96
	;; [unrolled: 3-line block ×6, first 2 shown]
	v_add_f32_e32 v99, v95, v101
	ds_read_b128 v[95:98], v78 offset:432
	s_waitcnt vmcnt(47)
	v_mul_f32_e32 v100, v93, v153
	s_waitcnt vmcnt(46)
	v_fmac_f32_e32 v100, v94, v154
	v_mul_f32_e32 v80, v80, v139
	v_add_f32_e32 v103, v99, v100
	ds_read_b128 v[99:102], v78 offset:448
	v_fma_f32 v79, v79, v146, -v80
	v_mul_f32_e32 v80, v82, v140
	s_waitcnt vmcnt(45) lgkmcnt(1)
	v_mul_f32_e32 v104, v95, v155
	v_add_f32_e32 v79, 0, v79
	v_fma_f32 v80, v81, v147, -v80
	s_waitcnt vmcnt(44)
	v_fmac_f32_e32 v104, v96, v156
	v_add_f32_e32 v79, v79, v80
	v_mul_f32_e32 v80, v84, v141
	v_add_f32_e32 v103, v103, v104
	s_waitcnt vmcnt(43)
	v_mul_f32_e32 v104, v97, v157
	v_fma_f32 v80, v83, v148, -v80
	s_waitcnt vmcnt(42)
	v_fmac_f32_e32 v104, v98, v158
	v_add_f32_e32 v79, v79, v80
	v_mul_f32_e32 v80, v86, v142
	v_add_f32_e32 v103, v103, v104
	s_waitcnt vmcnt(41) lgkmcnt(0)
	v_mul_f32_e32 v104, v99, v159
	v_fma_f32 v80, v85, v149, -v80
	s_waitcnt vmcnt(40)
	v_fmac_f32_e32 v104, v100, v160
	v_add_f32_e32 v79, v79, v80
	v_mul_f32_e32 v80, v88, v143
	v_add_f32_e32 v107, v103, v104
	ds_read_b128 v[103:106], v78 offset:464
	v_fma_f32 v80, v87, v150, -v80
	v_add_f32_e32 v79, v79, v80
	v_mul_f32_e32 v80, v90, v144
	s_waitcnt vmcnt(39)
	v_mul_f32_e32 v108, v101, v161
	v_fma_f32 v80, v89, v151, -v80
	s_waitcnt vmcnt(38)
	v_fmac_f32_e32 v108, v102, v162
	v_add_f32_e32 v79, v79, v80
	v_mul_f32_e32 v80, v92, v145
	v_add_f32_e32 v111, v107, v108
	ds_read_b128 v[107:110], v78 offset:480
	v_fma_f32 v80, v91, v152, -v80
	s_waitcnt vmcnt(35) lgkmcnt(1)
	v_mul_f32_e32 v112, v103, v165
	v_add_f32_e32 v79, v79, v80
	v_mul_f32_e32 v80, v94, v153
	s_waitcnt vmcnt(34)
	v_fmac_f32_e32 v112, v104, v166
	v_fma_f32 v80, v93, v154, -v80
	v_add_f32_e32 v111, v111, v112
	s_waitcnt vmcnt(32)
	v_mul_f32_e32 v112, v105, v168
	v_add_f32_e32 v79, v79, v80
	v_mul_f32_e32 v80, v96, v155
	v_fmac_f32_e32 v112, v106, v167
	v_fma_f32 v80, v95, v156, -v80
	v_add_f32_e32 v111, v111, v112
	s_waitcnt vmcnt(30) lgkmcnt(0)
	v_mul_f32_e32 v112, v107, v170
	v_add_f32_e32 v79, v79, v80
	v_mul_f32_e32 v80, v98, v157
	v_fmac_f32_e32 v112, v108, v169
	v_fma_f32 v80, v97, v158, -v80
	v_add_f32_e32 v115, v111, v112
	ds_read_b128 v[111:114], v78 offset:496
	v_add_f32_e32 v79, v79, v80
	v_mul_f32_e32 v80, v100, v159
	v_fma_f32 v80, v99, v160, -v80
	s_waitcnt vmcnt(29)
	v_mul_f32_e32 v116, v109, v171
	v_add_f32_e32 v79, v79, v80
	v_mul_f32_e32 v80, v102, v161
	s_waitcnt vmcnt(28)
	v_fmac_f32_e32 v116, v110, v172
	v_fma_f32 v80, v101, v162, -v80
	v_add_f32_e32 v119, v115, v116
	ds_read_b128 v[115:118], v78 offset:512
	v_add_f32_e32 v79, v79, v80
	v_mul_f32_e32 v80, v104, v165
	s_waitcnt vmcnt(26) lgkmcnt(1)
	v_mul_f32_e32 v120, v111, v174
	v_fma_f32 v80, v103, v166, -v80
	v_fmac_f32_e32 v120, v112, v173
	v_add_f32_e32 v79, v79, v80
	v_mul_f32_e32 v80, v106, v168
	v_add_f32_e32 v119, v119, v120
	s_waitcnt vmcnt(24)
	v_mul_f32_e32 v120, v113, v176
	v_fma_f32 v80, v105, v167, -v80
	v_fmac_f32_e32 v120, v114, v175
	v_add_f32_e32 v79, v79, v80
	v_mul_f32_e32 v80, v108, v170
	v_add_f32_e32 v119, v119, v120
	s_waitcnt vmcnt(22) lgkmcnt(0)
	v_mul_f32_e32 v120, v115, v178
	v_fma_f32 v80, v107, v169, -v80
	v_fmac_f32_e32 v120, v116, v177
	v_add_f32_e32 v79, v79, v80
	v_mul_f32_e32 v80, v110, v171
	v_add_f32_e32 v123, v119, v120
	ds_read_b128 v[119:122], v78 offset:528
	v_fma_f32 v80, v109, v172, -v80
	v_add_f32_e32 v79, v79, v80
	v_mul_f32_e32 v80, v112, v174
	s_waitcnt vmcnt(20)
	v_mul_f32_e32 v124, v117, v180
	v_fma_f32 v80, v111, v173, -v80
	v_fmac_f32_e32 v124, v118, v179
	v_add_f32_e32 v79, v79, v80
	v_mul_f32_e32 v80, v114, v176
	v_add_f32_e32 v127, v123, v124
	ds_read_b128 v[123:126], v78 offset:544
	v_fma_f32 v80, v113, v175, -v80
	s_waitcnt vmcnt(18) lgkmcnt(1)
	v_mul_f32_e32 v128, v119, v182
	v_add_f32_e32 v79, v79, v80
	v_mul_f32_e32 v80, v116, v178
	v_fmac_f32_e32 v128, v120, v181
	v_fma_f32 v80, v115, v177, -v80
	v_add_f32_e32 v127, v127, v128
	s_waitcnt vmcnt(16)
	v_mul_f32_e32 v128, v121, v184
	v_add_f32_e32 v79, v79, v80
	v_mul_f32_e32 v80, v118, v180
	v_fmac_f32_e32 v128, v122, v183
	v_fma_f32 v80, v117, v179, -v80
	v_add_f32_e32 v127, v127, v128
	s_waitcnt vmcnt(14) lgkmcnt(0)
	v_mul_f32_e32 v128, v123, v186
	v_add_f32_e32 v79, v79, v80
	v_mul_f32_e32 v80, v120, v182
	v_fmac_f32_e32 v128, v124, v185
	v_fma_f32 v80, v119, v181, -v80
	v_add_f32_e32 v131, v127, v128
	ds_read_b128 v[127:130], v78 offset:560
	v_add_f32_e32 v79, v79, v80
	v_mul_f32_e32 v80, v122, v184
	v_fma_f32 v80, v121, v183, -v80
	v_add_f32_e32 v79, v79, v80
	v_mul_f32_e32 v80, v124, v186
	s_waitcnt vmcnt(12)
	v_mul_f32_e32 v132, v125, v188
	v_fma_f32 v80, v123, v185, -v80
	v_fmac_f32_e32 v132, v126, v187
	v_add_f32_e32 v79, v79, v80
	v_mul_f32_e32 v80, v126, v188
	v_add_f32_e32 v135, v131, v132
	ds_read_b128 v[131:134], v78 offset:576
	s_waitcnt vmcnt(10) lgkmcnt(1)
	v_mul_f32_e32 v136, v127, v190
	v_fma_f32 v80, v125, v187, -v80
	v_fmac_f32_e32 v136, v128, v189
	v_add_f32_e32 v79, v79, v80
	v_mul_f32_e32 v80, v128, v190
	v_add_f32_e32 v135, v135, v136
	s_waitcnt vmcnt(8)
	v_mul_f32_e32 v136, v129, v192
	v_fma_f32 v80, v127, v189, -v80
	v_fmac_f32_e32 v136, v130, v191
	v_add_f32_e32 v79, v79, v80
	v_mul_f32_e32 v80, v130, v192
	v_add_f32_e32 v201, v135, v136
	ds_read_b128 v[135:138], v78 offset:592
	v_fma_f32 v80, v129, v191, -v80
	v_add_f32_e32 v79, v79, v80
	s_waitcnt vmcnt(6) lgkmcnt(1)
	v_mul_f32_e32 v80, v132, v194
	v_mul_f32_e32 v202, v131, v194
	v_fma_f32 v80, v131, v193, -v80
	v_fmac_f32_e32 v202, v132, v193
	v_add_f32_e32 v79, v79, v80
	s_waitcnt vmcnt(4)
	v_mul_f32_e32 v80, v134, v196
	v_add_f32_e32 v78, v201, v202
	v_mul_f32_e32 v201, v133, v196
	v_fma_f32 v80, v133, v195, -v80
	v_fmac_f32_e32 v201, v134, v195
	v_add_f32_e32 v79, v79, v80
	s_waitcnt vmcnt(2) lgkmcnt(0)
	v_mul_f32_e32 v80, v136, v198
	v_add_f32_e32 v78, v78, v201
	v_mul_f32_e32 v201, v135, v198
	v_fma_f32 v80, v135, v197, -v80
	v_fmac_f32_e32 v201, v136, v197
	v_add_f32_e32 v79, v79, v80
	s_waitcnt vmcnt(0)
	v_mul_f32_e32 v80, v138, v200
	v_add_f32_e32 v78, v78, v201
	v_mul_f32_e32 v201, v137, v200
	v_fma_f32 v80, v137, v199, -v80
	v_fmac_f32_e32 v201, v138, v199
	v_add_f32_e32 v79, v79, v80
	v_add_f32_e32 v78, v78, v201
	v_sub_f32_e32 v79, v163, v79
	v_sub_f32_e32 v78, v164, v78
	buffer_store_dword v79, off, s[0:3], 0 offset:56
	buffer_store_dword v78, off, s[0:3], 0 offset:60
	s_and_saveexec_b64 s[4:5], vcc
	s_cbranch_execz .LBB101_229
; %bb.228:
	buffer_load_dword v78, off, s[0:3], 0 offset:48
	buffer_load_dword v79, off, s[0:3], 0 offset:52
	v_mov_b32_e32 v80, 0
	buffer_store_dword v80, off, s[0:3], 0 offset:48
	buffer_store_dword v80, off, s[0:3], 0 offset:52
	s_waitcnt vmcnt(2)
	ds_write_b64 v77, v[78:79]
.LBB101_229:
	s_or_b64 exec, exec, s[4:5]
	s_waitcnt lgkmcnt(0)
	; wave barrier
	buffer_load_dword v141, off, s[0:3], 0 offset:60
	buffer_load_dword v142, off, s[0:3], 0 offset:68
	;; [unrolled: 1-line block ×56, first 2 shown]
	v_mov_b32_e32 v78, 0
	ds_read2_b64 v[79:82], v78 offset0:45 offset1:46
	buffer_load_dword v197, off, s[0:3], 0 offset:272
	buffer_load_dword v198, off, s[0:3], 0 offset:276
	;; [unrolled: 1-line block ×4, first 2 shown]
	ds_read2_b64 v[83:86], v78 offset0:47 offset1:48
	ds_read2_b64 v[87:90], v78 offset0:49 offset1:50
	;; [unrolled: 1-line block ×3, first 2 shown]
	v_cmp_lt_u32_e32 vcc, 5, v0
	s_waitcnt vmcnt(59) lgkmcnt(3)
	v_mul_f32_e32 v95, v79, v141
	s_waitcnt vmcnt(58)
	v_mul_f32_e32 v96, v81, v142
	s_waitcnt vmcnt(57) lgkmcnt(2)
	v_mul_f32_e32 v97, v83, v143
	s_waitcnt vmcnt(56)
	v_mul_f32_e32 v98, v85, v144
	;; [unrolled: 4-line block ×4, first 2 shown]
	s_waitcnt vmcnt(51)
	v_fmac_f32_e32 v95, v80, v149
	s_waitcnt vmcnt(50)
	v_fmac_f32_e32 v96, v82, v150
	v_add_f32_e32 v95, 0, v95
	s_waitcnt vmcnt(49)
	v_fmac_f32_e32 v97, v84, v151
	v_add_f32_e32 v95, v95, v96
	;; [unrolled: 3-line block ×6, first 2 shown]
	v_add_f32_e32 v99, v95, v101
	ds_read2_b64 v[95:98], v78 offset0:53 offset1:54
	buffer_load_dword v201, off, s[0:3], 0 offset:292
	buffer_load_dword v202, off, s[0:3], 0 offset:288
	buffer_load_dword v203, off, s[0:3], 0 offset:296
	buffer_load_dword v204, off, s[0:3], 0 offset:300
	s_waitcnt vmcnt(48)
	v_fmac_f32_e32 v102, v94, v156
	v_add_f32_e32 v103, v99, v102
	ds_read2_b64 v[99:102], v78 offset0:55 offset1:56
	s_waitcnt vmcnt(47) lgkmcnt(1)
	v_mul_f32_e32 v104, v95, v157
	v_mul_f32_e32 v80, v80, v141
	s_waitcnt vmcnt(46)
	v_fmac_f32_e32 v104, v96, v158
	v_fma_f32 v79, v79, v149, -v80
	v_mul_f32_e32 v80, v82, v142
	v_add_f32_e32 v103, v103, v104
	s_waitcnt vmcnt(45)
	v_mul_f32_e32 v104, v97, v159
	v_add_f32_e32 v79, 0, v79
	v_fma_f32 v80, v81, v150, -v80
	s_waitcnt vmcnt(44)
	v_fmac_f32_e32 v104, v98, v160
	v_add_f32_e32 v79, v79, v80
	v_mul_f32_e32 v80, v84, v143
	v_add_f32_e32 v103, v103, v104
	s_waitcnt vmcnt(42) lgkmcnt(0)
	v_mul_f32_e32 v104, v99, v162
	v_fma_f32 v80, v83, v151, -v80
	v_fmac_f32_e32 v104, v100, v161
	v_add_f32_e32 v79, v79, v80
	v_mul_f32_e32 v80, v86, v144
	v_add_f32_e32 v107, v103, v104
	ds_read2_b64 v[103:106], v78 offset0:57 offset1:58
	v_fma_f32 v80, v85, v152, -v80
	v_add_f32_e32 v79, v79, v80
	v_mul_f32_e32 v80, v88, v145
	s_waitcnt vmcnt(39)
	v_mul_f32_e32 v108, v101, v165
	v_fma_f32 v80, v87, v153, -v80
	s_waitcnt vmcnt(38)
	v_fmac_f32_e32 v108, v102, v166
	v_add_f32_e32 v79, v79, v80
	v_mul_f32_e32 v80, v90, v146
	v_add_f32_e32 v111, v107, v108
	ds_read2_b64 v[107:110], v78 offset0:59 offset1:60
	v_fma_f32 v80, v89, v154, -v80
	s_waitcnt vmcnt(36) lgkmcnt(1)
	v_mul_f32_e32 v112, v103, v168
	v_add_f32_e32 v79, v79, v80
	v_mul_f32_e32 v80, v92, v147
	v_fmac_f32_e32 v112, v104, v167
	v_fma_f32 v80, v91, v155, -v80
	v_add_f32_e32 v111, v111, v112
	s_waitcnt vmcnt(34)
	v_mul_f32_e32 v112, v105, v170
	v_add_f32_e32 v79, v79, v80
	v_mul_f32_e32 v80, v94, v148
	v_fmac_f32_e32 v112, v106, v169
	v_fma_f32 v80, v93, v156, -v80
	v_add_f32_e32 v111, v111, v112
	s_waitcnt vmcnt(32) lgkmcnt(0)
	v_mul_f32_e32 v112, v107, v172
	v_add_f32_e32 v79, v79, v80
	v_mul_f32_e32 v80, v96, v157
	v_fmac_f32_e32 v112, v108, v171
	v_fma_f32 v80, v95, v158, -v80
	v_add_f32_e32 v115, v111, v112
	ds_read2_b64 v[111:114], v78 offset0:61 offset1:62
	v_add_f32_e32 v79, v79, v80
	v_mul_f32_e32 v80, v98, v159
	v_fma_f32 v80, v97, v160, -v80
	s_waitcnt vmcnt(30)
	v_mul_f32_e32 v116, v109, v174
	v_add_f32_e32 v79, v79, v80
	v_mul_f32_e32 v80, v100, v162
	v_fmac_f32_e32 v116, v110, v173
	v_fma_f32 v80, v99, v161, -v80
	v_add_f32_e32 v119, v115, v116
	ds_read2_b64 v[115:118], v78 offset0:63 offset1:64
	v_add_f32_e32 v79, v79, v80
	v_mul_f32_e32 v80, v102, v165
	s_waitcnt vmcnt(28) lgkmcnt(1)
	v_mul_f32_e32 v120, v111, v176
	v_fma_f32 v80, v101, v166, -v80
	v_fmac_f32_e32 v120, v112, v175
	v_add_f32_e32 v79, v79, v80
	v_mul_f32_e32 v80, v104, v168
	v_add_f32_e32 v119, v119, v120
	s_waitcnt vmcnt(26)
	v_mul_f32_e32 v120, v113, v178
	v_fma_f32 v80, v103, v167, -v80
	v_fmac_f32_e32 v120, v114, v177
	v_add_f32_e32 v79, v79, v80
	v_mul_f32_e32 v80, v106, v170
	v_add_f32_e32 v119, v119, v120
	s_waitcnt vmcnt(24) lgkmcnt(0)
	v_mul_f32_e32 v120, v115, v180
	v_fma_f32 v80, v105, v169, -v80
	v_fmac_f32_e32 v120, v116, v179
	v_add_f32_e32 v79, v79, v80
	v_mul_f32_e32 v80, v108, v172
	v_add_f32_e32 v123, v119, v120
	ds_read2_b64 v[119:122], v78 offset0:65 offset1:66
	v_fma_f32 v80, v107, v171, -v80
	v_add_f32_e32 v79, v79, v80
	v_mul_f32_e32 v80, v110, v174
	s_waitcnt vmcnt(22)
	v_mul_f32_e32 v124, v117, v182
	v_fma_f32 v80, v109, v173, -v80
	v_fmac_f32_e32 v124, v118, v181
	v_add_f32_e32 v79, v79, v80
	v_mul_f32_e32 v80, v112, v176
	v_add_f32_e32 v127, v123, v124
	ds_read2_b64 v[123:126], v78 offset0:67 offset1:68
	v_fma_f32 v80, v111, v175, -v80
	s_waitcnt vmcnt(20) lgkmcnt(1)
	v_mul_f32_e32 v128, v119, v184
	v_add_f32_e32 v79, v79, v80
	v_mul_f32_e32 v80, v114, v178
	v_fmac_f32_e32 v128, v120, v183
	v_fma_f32 v80, v113, v177, -v80
	v_add_f32_e32 v127, v127, v128
	s_waitcnt vmcnt(18)
	v_mul_f32_e32 v128, v121, v186
	v_add_f32_e32 v79, v79, v80
	v_mul_f32_e32 v80, v116, v180
	v_fmac_f32_e32 v128, v122, v185
	v_fma_f32 v80, v115, v179, -v80
	v_add_f32_e32 v127, v127, v128
	s_waitcnt vmcnt(16) lgkmcnt(0)
	v_mul_f32_e32 v128, v123, v188
	v_add_f32_e32 v79, v79, v80
	v_mul_f32_e32 v80, v118, v182
	v_fmac_f32_e32 v128, v124, v187
	v_fma_f32 v80, v117, v181, -v80
	v_add_f32_e32 v131, v127, v128
	ds_read2_b64 v[127:130], v78 offset0:69 offset1:70
	v_add_f32_e32 v79, v79, v80
	v_mul_f32_e32 v80, v120, v184
	v_fma_f32 v80, v119, v183, -v80
	s_waitcnt vmcnt(14)
	v_mul_f32_e32 v132, v125, v190
	v_add_f32_e32 v79, v79, v80
	v_mul_f32_e32 v80, v122, v186
	v_fmac_f32_e32 v132, v126, v189
	v_fma_f32 v80, v121, v185, -v80
	v_add_f32_e32 v135, v131, v132
	ds_read2_b64 v[131:134], v78 offset0:71 offset1:72
	v_add_f32_e32 v79, v79, v80
	v_mul_f32_e32 v80, v124, v188
	s_waitcnt vmcnt(12) lgkmcnt(1)
	v_mul_f32_e32 v136, v127, v192
	v_fma_f32 v80, v123, v187, -v80
	v_fmac_f32_e32 v136, v128, v191
	v_add_f32_e32 v79, v79, v80
	v_mul_f32_e32 v80, v126, v190
	v_add_f32_e32 v135, v135, v136
	s_waitcnt vmcnt(10)
	v_mul_f32_e32 v136, v129, v194
	v_fma_f32 v80, v125, v189, -v80
	v_fmac_f32_e32 v136, v130, v193
	v_add_f32_e32 v79, v79, v80
	v_mul_f32_e32 v80, v128, v192
	v_add_f32_e32 v135, v135, v136
	s_waitcnt vmcnt(8) lgkmcnt(0)
	v_mul_f32_e32 v136, v131, v196
	v_fma_f32 v80, v127, v191, -v80
	v_fmac_f32_e32 v136, v132, v195
	v_add_f32_e32 v79, v79, v80
	v_mul_f32_e32 v80, v130, v194
	v_add_f32_e32 v139, v135, v136
	ds_read2_b64 v[135:138], v78 offset0:73 offset1:74
	v_fma_f32 v80, v129, v193, -v80
	v_add_f32_e32 v79, v79, v80
	v_mul_f32_e32 v80, v132, v196
	s_waitcnt vmcnt(6)
	v_mul_f32_e32 v140, v133, v198
	v_fma_f32 v80, v131, v195, -v80
	v_fmac_f32_e32 v140, v134, v197
	v_add_f32_e32 v79, v79, v80
	v_mul_f32_e32 v80, v134, v198
	v_add_f32_e32 v205, v139, v140
	ds_read_b64 v[139:140], v78 offset:600
	v_fma_f32 v80, v133, v197, -v80
	v_add_f32_e32 v79, v79, v80
	s_waitcnt vmcnt(4) lgkmcnt(1)
	v_mul_f32_e32 v80, v136, v200
	v_mul_f32_e32 v206, v135, v200
	v_fma_f32 v80, v135, v199, -v80
	v_fmac_f32_e32 v206, v136, v199
	v_add_f32_e32 v79, v79, v80
	s_waitcnt vmcnt(3)
	v_mul_f32_e32 v80, v138, v201
	v_add_f32_e32 v205, v205, v206
	v_mul_f32_e32 v206, v137, v201
	s_waitcnt vmcnt(2)
	v_fma_f32 v80, v137, v202, -v80
	v_fmac_f32_e32 v206, v138, v202
	v_add_f32_e32 v79, v79, v80
	s_waitcnt vmcnt(0) lgkmcnt(0)
	v_mul_f32_e32 v80, v140, v204
	v_add_f32_e32 v205, v205, v206
	v_mul_f32_e32 v206, v139, v204
	v_fma_f32 v80, v139, v203, -v80
	v_fmac_f32_e32 v206, v140, v203
	v_add_f32_e32 v79, v79, v80
	v_add_f32_e32 v205, v205, v206
	v_sub_f32_e32 v79, v163, v79
	v_sub_f32_e32 v80, v164, v205
	buffer_store_dword v79, off, s[0:3], 0 offset:48
	buffer_store_dword v80, off, s[0:3], 0 offset:52
	s_and_saveexec_b64 s[4:5], vcc
	s_cbranch_execz .LBB101_231
; %bb.230:
	buffer_load_dword v79, off, s[0:3], 0 offset:40
	buffer_load_dword v80, off, s[0:3], 0 offset:44
	s_waitcnt vmcnt(0)
	ds_write_b64 v77, v[79:80]
	buffer_store_dword v78, off, s[0:3], 0 offset:40
	buffer_store_dword v78, off, s[0:3], 0 offset:44
.LBB101_231:
	s_or_b64 exec, exec, s[4:5]
	s_waitcnt lgkmcnt(0)
	; wave barrier
	buffer_load_dword v143, off, s[0:3], 0 offset:52
	buffer_load_dword v144, off, s[0:3], 0 offset:60
	;; [unrolled: 1-line block ×26, first 2 shown]
	ds_read_b128 v[79:82], v78 offset:352
	ds_read_b128 v[83:86], v78 offset:368
	;; [unrolled: 1-line block ×4, first 2 shown]
	buffer_load_dword v169, off, s[0:3], 0 offset:148
	buffer_load_dword v170, off, s[0:3], 0 offset:144
	;; [unrolled: 1-line block ×34, first 2 shown]
	v_cmp_lt_u32_e32 vcc, 4, v0
	s_waitcnt vmcnt(59) lgkmcnt(3)
	v_mul_f32_e32 v95, v79, v143
	s_waitcnt vmcnt(58)
	v_mul_f32_e32 v96, v81, v144
	s_waitcnt vmcnt(57) lgkmcnt(2)
	v_mul_f32_e32 v97, v83, v145
	s_waitcnt vmcnt(56)
	v_mul_f32_e32 v98, v85, v146
	;; [unrolled: 4-line block ×4, first 2 shown]
	s_waitcnt vmcnt(51)
	v_fmac_f32_e32 v95, v80, v151
	s_waitcnt vmcnt(50)
	v_fmac_f32_e32 v96, v82, v152
	v_add_f32_e32 v95, 0, v95
	s_waitcnt vmcnt(49)
	v_fmac_f32_e32 v97, v84, v153
	v_add_f32_e32 v95, v95, v96
	;; [unrolled: 3-line block ×7, first 2 shown]
	v_add_f32_e32 v103, v95, v102
	ds_read_b128 v[95:98], v78 offset:416
	buffer_load_dword v203, off, s[0:3], 0 offset:284
	buffer_load_dword v204, off, s[0:3], 0 offset:280
	;; [unrolled: 1-line block ×4, first 2 shown]
	ds_read_b128 v[99:102], v78 offset:432
	buffer_load_dword v207, off, s[0:3], 0 offset:296
	buffer_load_dword v208, off, s[0:3], 0 offset:300
	v_mul_f32_e32 v80, v80, v143
	s_waitcnt vmcnt(49) lgkmcnt(1)
	v_mul_f32_e32 v104, v95, v159
	s_waitcnt vmcnt(48)
	v_fmac_f32_e32 v104, v96, v160
	v_fma_f32 v79, v79, v151, -v80
	v_mul_f32_e32 v80, v82, v144
	v_add_f32_e32 v103, v103, v104
	s_waitcnt vmcnt(46)
	v_mul_f32_e32 v104, v97, v162
	v_add_f32_e32 v79, 0, v79
	v_fma_f32 v80, v81, v152, -v80
	v_fmac_f32_e32 v104, v98, v161
	v_add_f32_e32 v79, v79, v80
	v_mul_f32_e32 v80, v84, v145
	v_add_f32_e32 v103, v103, v104
	s_waitcnt vmcnt(43) lgkmcnt(0)
	v_mul_f32_e32 v104, v99, v165
	v_fma_f32 v80, v83, v153, -v80
	s_waitcnt vmcnt(42)
	v_fmac_f32_e32 v104, v100, v166
	v_add_f32_e32 v79, v79, v80
	v_mul_f32_e32 v80, v86, v146
	v_add_f32_e32 v107, v103, v104
	ds_read_b128 v[103:106], v78 offset:448
	v_fma_f32 v80, v85, v154, -v80
	v_add_f32_e32 v79, v79, v80
	v_mul_f32_e32 v80, v88, v147
	s_waitcnt vmcnt(40)
	v_mul_f32_e32 v108, v101, v168
	v_fma_f32 v80, v87, v155, -v80
	v_fmac_f32_e32 v108, v102, v167
	v_add_f32_e32 v79, v79, v80
	v_mul_f32_e32 v80, v90, v148
	v_add_f32_e32 v111, v107, v108
	ds_read_b128 v[107:110], v78 offset:464
	v_fma_f32 v80, v89, v156, -v80
	s_waitcnt vmcnt(39) lgkmcnt(1)
	v_mul_f32_e32 v112, v103, v169
	v_add_f32_e32 v79, v79, v80
	v_mul_f32_e32 v80, v92, v149
	s_waitcnt vmcnt(38)
	v_fmac_f32_e32 v112, v104, v170
	v_fma_f32 v80, v91, v157, -v80
	v_add_f32_e32 v111, v111, v112
	s_waitcnt vmcnt(36)
	v_mul_f32_e32 v112, v105, v172
	v_add_f32_e32 v79, v79, v80
	v_mul_f32_e32 v80, v94, v150
	v_fmac_f32_e32 v112, v106, v171
	v_fma_f32 v80, v93, v158, -v80
	v_add_f32_e32 v111, v111, v112
	s_waitcnt vmcnt(34) lgkmcnt(0)
	v_mul_f32_e32 v112, v107, v174
	v_add_f32_e32 v79, v79, v80
	v_mul_f32_e32 v80, v96, v159
	v_fmac_f32_e32 v112, v108, v173
	v_fma_f32 v80, v95, v160, -v80
	v_add_f32_e32 v115, v111, v112
	ds_read_b128 v[111:114], v78 offset:480
	v_add_f32_e32 v79, v79, v80
	v_mul_f32_e32 v80, v98, v162
	v_fma_f32 v80, v97, v161, -v80
	s_waitcnt vmcnt(32)
	v_mul_f32_e32 v116, v109, v176
	v_add_f32_e32 v79, v79, v80
	v_mul_f32_e32 v80, v100, v165
	v_fmac_f32_e32 v116, v110, v175
	v_fma_f32 v80, v99, v166, -v80
	v_add_f32_e32 v119, v115, v116
	ds_read_b128 v[115:118], v78 offset:496
	v_add_f32_e32 v79, v79, v80
	v_mul_f32_e32 v80, v102, v168
	s_waitcnt vmcnt(30) lgkmcnt(1)
	v_mul_f32_e32 v120, v111, v178
	v_fma_f32 v80, v101, v167, -v80
	v_fmac_f32_e32 v120, v112, v177
	v_add_f32_e32 v79, v79, v80
	v_mul_f32_e32 v80, v104, v169
	v_add_f32_e32 v119, v119, v120
	s_waitcnt vmcnt(28)
	v_mul_f32_e32 v120, v113, v180
	v_fma_f32 v80, v103, v170, -v80
	v_fmac_f32_e32 v120, v114, v179
	v_add_f32_e32 v79, v79, v80
	v_mul_f32_e32 v80, v106, v172
	v_add_f32_e32 v119, v119, v120
	s_waitcnt vmcnt(26) lgkmcnt(0)
	v_mul_f32_e32 v120, v115, v182
	v_fma_f32 v80, v105, v171, -v80
	v_fmac_f32_e32 v120, v116, v181
	v_add_f32_e32 v79, v79, v80
	v_mul_f32_e32 v80, v108, v174
	v_add_f32_e32 v123, v119, v120
	ds_read_b128 v[119:122], v78 offset:512
	v_fma_f32 v80, v107, v173, -v80
	v_add_f32_e32 v79, v79, v80
	v_mul_f32_e32 v80, v110, v176
	s_waitcnt vmcnt(24)
	v_mul_f32_e32 v124, v117, v184
	v_fma_f32 v80, v109, v175, -v80
	v_fmac_f32_e32 v124, v118, v183
	v_add_f32_e32 v79, v79, v80
	v_mul_f32_e32 v80, v112, v178
	v_add_f32_e32 v127, v123, v124
	ds_read_b128 v[123:126], v78 offset:528
	v_fma_f32 v80, v111, v177, -v80
	s_waitcnt vmcnt(22) lgkmcnt(1)
	v_mul_f32_e32 v128, v119, v186
	v_add_f32_e32 v79, v79, v80
	v_mul_f32_e32 v80, v114, v180
	v_fmac_f32_e32 v128, v120, v185
	v_fma_f32 v80, v113, v179, -v80
	v_add_f32_e32 v127, v127, v128
	s_waitcnt vmcnt(20)
	v_mul_f32_e32 v128, v121, v188
	v_add_f32_e32 v79, v79, v80
	v_mul_f32_e32 v80, v116, v182
	v_fmac_f32_e32 v128, v122, v187
	v_fma_f32 v80, v115, v181, -v80
	v_add_f32_e32 v127, v127, v128
	s_waitcnt vmcnt(18) lgkmcnt(0)
	v_mul_f32_e32 v128, v123, v190
	v_add_f32_e32 v79, v79, v80
	v_mul_f32_e32 v80, v118, v184
	v_fmac_f32_e32 v128, v124, v189
	v_fma_f32 v80, v117, v183, -v80
	v_add_f32_e32 v131, v127, v128
	ds_read_b128 v[127:130], v78 offset:544
	v_add_f32_e32 v79, v79, v80
	v_mul_f32_e32 v80, v120, v186
	v_fma_f32 v80, v119, v185, -v80
	s_waitcnt vmcnt(16)
	v_mul_f32_e32 v132, v125, v192
	v_add_f32_e32 v79, v79, v80
	v_mul_f32_e32 v80, v122, v188
	v_fmac_f32_e32 v132, v126, v191
	v_fma_f32 v80, v121, v187, -v80
	v_add_f32_e32 v135, v131, v132
	ds_read_b128 v[131:134], v78 offset:560
	v_add_f32_e32 v79, v79, v80
	v_mul_f32_e32 v80, v124, v190
	s_waitcnt vmcnt(14) lgkmcnt(1)
	v_mul_f32_e32 v136, v127, v194
	v_fma_f32 v80, v123, v189, -v80
	v_fmac_f32_e32 v136, v128, v193
	v_add_f32_e32 v79, v79, v80
	v_mul_f32_e32 v80, v126, v192
	v_add_f32_e32 v135, v135, v136
	s_waitcnt vmcnt(12)
	v_mul_f32_e32 v136, v129, v196
	v_fma_f32 v80, v125, v191, -v80
	v_fmac_f32_e32 v136, v130, v195
	v_add_f32_e32 v79, v79, v80
	v_mul_f32_e32 v80, v128, v194
	v_add_f32_e32 v135, v135, v136
	s_waitcnt vmcnt(10) lgkmcnt(0)
	v_mul_f32_e32 v136, v131, v198
	v_fma_f32 v80, v127, v193, -v80
	v_fmac_f32_e32 v136, v132, v197
	v_add_f32_e32 v79, v79, v80
	v_mul_f32_e32 v80, v130, v196
	v_add_f32_e32 v139, v135, v136
	ds_read_b128 v[135:138], v78 offset:576
	v_fma_f32 v80, v129, v195, -v80
	v_add_f32_e32 v79, v79, v80
	v_mul_f32_e32 v80, v132, v198
	s_waitcnt vmcnt(8)
	v_mul_f32_e32 v140, v133, v200
	v_fma_f32 v80, v131, v197, -v80
	v_fmac_f32_e32 v140, v134, v199
	v_add_f32_e32 v79, v79, v80
	v_mul_f32_e32 v80, v134, v200
	v_add_f32_e32 v209, v139, v140
	ds_read_b128 v[139:142], v78 offset:592
	v_fma_f32 v80, v133, v199, -v80
	v_add_f32_e32 v79, v79, v80
	s_waitcnt vmcnt(6) lgkmcnt(1)
	v_mul_f32_e32 v80, v136, v202
	v_mul_f32_e32 v78, v135, v202
	v_fma_f32 v80, v135, v201, -v80
	v_fmac_f32_e32 v78, v136, v201
	v_add_f32_e32 v79, v79, v80
	s_waitcnt vmcnt(5)
	v_mul_f32_e32 v80, v138, v203
	v_add_f32_e32 v78, v209, v78
	v_mul_f32_e32 v209, v137, v203
	s_waitcnt vmcnt(4)
	v_fma_f32 v80, v137, v204, -v80
	v_fmac_f32_e32 v209, v138, v204
	v_add_f32_e32 v79, v79, v80
	s_waitcnt vmcnt(2) lgkmcnt(0)
	v_mul_f32_e32 v80, v140, v206
	v_add_f32_e32 v78, v78, v209
	v_mul_f32_e32 v209, v139, v206
	v_fma_f32 v80, v139, v205, -v80
	v_fmac_f32_e32 v209, v140, v205
	v_add_f32_e32 v79, v79, v80
	s_waitcnt vmcnt(0)
	v_mul_f32_e32 v80, v142, v208
	v_add_f32_e32 v78, v78, v209
	v_mul_f32_e32 v209, v141, v208
	v_fma_f32 v80, v141, v207, -v80
	v_fmac_f32_e32 v209, v142, v207
	v_add_f32_e32 v79, v79, v80
	v_add_f32_e32 v78, v78, v209
	v_sub_f32_e32 v79, v163, v79
	v_sub_f32_e32 v78, v164, v78
	buffer_store_dword v79, off, s[0:3], 0 offset:40
	buffer_store_dword v78, off, s[0:3], 0 offset:44
	s_and_saveexec_b64 s[4:5], vcc
	s_cbranch_execz .LBB101_233
; %bb.232:
	buffer_load_dword v78, off, s[0:3], 0 offset:32
	buffer_load_dword v79, off, s[0:3], 0 offset:36
	v_mov_b32_e32 v80, 0
	buffer_store_dword v80, off, s[0:3], 0 offset:32
	buffer_store_dword v80, off, s[0:3], 0 offset:36
	s_waitcnt vmcnt(2)
	ds_write_b64 v77, v[78:79]
.LBB101_233:
	s_or_b64 exec, exec, s[4:5]
	s_waitcnt lgkmcnt(0)
	; wave barrier
	buffer_load_dword v145, off, s[0:3], 0 offset:44
	buffer_load_dword v146, off, s[0:3], 0 offset:52
	;; [unrolled: 1-line block ×58, first 2 shown]
	v_mov_b32_e32 v78, 0
	ds_read2_b64 v[79:82], v78 offset0:43 offset1:44
	ds_read2_b64 v[83:86], v78 offset0:45 offset1:46
	;; [unrolled: 1-line block ×5, first 2 shown]
	buffer_load_dword v203, off, s[0:3], 0 offset:264
	buffer_load_dword v204, off, s[0:3], 0 offset:268
	v_cmp_lt_u32_e32 vcc, 3, v0
	s_waitcnt vmcnt(59) lgkmcnt(4)
	v_mul_f32_e32 v99, v79, v145
	s_waitcnt vmcnt(58)
	v_mul_f32_e32 v100, v81, v146
	s_waitcnt vmcnt(57) lgkmcnt(3)
	v_mul_f32_e32 v101, v83, v147
	s_waitcnt vmcnt(56)
	v_mul_f32_e32 v102, v85, v148
	;; [unrolled: 4-line block ×4, first 2 shown]
	s_waitcnt vmcnt(51)
	v_fmac_f32_e32 v99, v80, v153
	s_waitcnt vmcnt(50)
	v_fmac_f32_e32 v100, v82, v154
	v_add_f32_e32 v99, 0, v99
	s_waitcnt vmcnt(49)
	v_fmac_f32_e32 v101, v84, v155
	v_add_f32_e32 v99, v99, v100
	s_waitcnt vmcnt(48)
	v_fmac_f32_e32 v102, v86, v156
	v_add_f32_e32 v99, v99, v101
	s_waitcnt vmcnt(47)
	v_fmac_f32_e32 v103, v88, v157
	v_add_f32_e32 v99, v99, v102
	s_waitcnt vmcnt(46)
	v_fmac_f32_e32 v104, v90, v158
	v_add_f32_e32 v99, v99, v103
	s_waitcnt vmcnt(45)
	v_fmac_f32_e32 v105, v92, v159
	v_add_f32_e32 v99, v99, v104
	s_waitcnt vmcnt(44)
	v_fmac_f32_e32 v106, v94, v160
	v_add_f32_e32 v99, v99, v105
	v_add_f32_e32 v103, v99, v106
	ds_read2_b64 v[99:102], v78 offset0:53 offset1:54
	buffer_load_dword v205, off, s[0:3], 0 offset:276
	buffer_load_dword v206, off, s[0:3], 0 offset:272
	;; [unrolled: 1-line block ×8, first 2 shown]
	s_waitcnt vmcnt(51) lgkmcnt(1)
	v_mul_f32_e32 v104, v95, v161
	s_waitcnt vmcnt(50)
	v_fmac_f32_e32 v104, v96, v162
	v_mul_f32_e32 v80, v80, v145
	v_add_f32_e32 v103, v103, v104
	s_waitcnt vmcnt(49)
	v_mul_f32_e32 v104, v97, v163
	v_fma_f32 v79, v79, v153, -v80
	v_mul_f32_e32 v80, v82, v146
	s_waitcnt vmcnt(46)
	v_fmac_f32_e32 v104, v98, v166
	v_add_f32_e32 v79, 0, v79
	v_fma_f32 v80, v81, v154, -v80
	v_add_f32_e32 v103, v103, v104
	s_waitcnt vmcnt(44) lgkmcnt(0)
	v_mul_f32_e32 v104, v99, v168
	v_add_f32_e32 v79, v79, v80
	v_mul_f32_e32 v80, v84, v147
	v_fmac_f32_e32 v104, v100, v167
	v_fma_f32 v80, v83, v155, -v80
	v_add_f32_e32 v107, v103, v104
	ds_read2_b64 v[103:106], v78 offset0:55 offset1:56
	v_add_f32_e32 v79, v79, v80
	v_mul_f32_e32 v80, v86, v148
	v_fma_f32 v80, v85, v156, -v80
	s_waitcnt vmcnt(42)
	v_mul_f32_e32 v108, v101, v170
	v_add_f32_e32 v79, v79, v80
	v_mul_f32_e32 v80, v88, v149
	v_fmac_f32_e32 v108, v102, v169
	v_fma_f32 v80, v87, v157, -v80
	v_add_f32_e32 v111, v107, v108
	ds_read2_b64 v[107:110], v78 offset0:57 offset1:58
	v_add_f32_e32 v79, v79, v80
	v_mul_f32_e32 v80, v90, v150
	s_waitcnt vmcnt(40) lgkmcnt(1)
	v_mul_f32_e32 v112, v103, v172
	v_fma_f32 v80, v89, v158, -v80
	v_fmac_f32_e32 v112, v104, v171
	v_add_f32_e32 v79, v79, v80
	v_mul_f32_e32 v80, v92, v151
	v_add_f32_e32 v111, v111, v112
	s_waitcnt vmcnt(38)
	v_mul_f32_e32 v112, v105, v174
	v_fma_f32 v80, v91, v159, -v80
	v_fmac_f32_e32 v112, v106, v173
	v_add_f32_e32 v79, v79, v80
	v_mul_f32_e32 v80, v94, v152
	v_add_f32_e32 v111, v111, v112
	s_waitcnt vmcnt(36) lgkmcnt(0)
	v_mul_f32_e32 v112, v107, v176
	v_fma_f32 v80, v93, v160, -v80
	v_fmac_f32_e32 v112, v108, v175
	v_add_f32_e32 v79, v79, v80
	v_mul_f32_e32 v80, v96, v161
	v_add_f32_e32 v115, v111, v112
	ds_read2_b64 v[111:114], v78 offset0:59 offset1:60
	v_fma_f32 v80, v95, v162, -v80
	v_add_f32_e32 v79, v79, v80
	v_mul_f32_e32 v80, v98, v163
	s_waitcnt vmcnt(34)
	v_mul_f32_e32 v116, v109, v178
	v_fma_f32 v80, v97, v166, -v80
	v_fmac_f32_e32 v116, v110, v177
	v_add_f32_e32 v79, v79, v80
	v_mul_f32_e32 v80, v100, v168
	v_add_f32_e32 v119, v115, v116
	ds_read2_b64 v[115:118], v78 offset0:61 offset1:62
	v_fma_f32 v80, v99, v167, -v80
	s_waitcnt vmcnt(32) lgkmcnt(1)
	v_mul_f32_e32 v120, v111, v180
	v_add_f32_e32 v79, v79, v80
	v_mul_f32_e32 v80, v102, v170
	v_fmac_f32_e32 v120, v112, v179
	v_fma_f32 v80, v101, v169, -v80
	v_add_f32_e32 v119, v119, v120
	s_waitcnt vmcnt(30)
	v_mul_f32_e32 v120, v113, v182
	v_add_f32_e32 v79, v79, v80
	v_mul_f32_e32 v80, v104, v172
	v_fmac_f32_e32 v120, v114, v181
	v_fma_f32 v80, v103, v171, -v80
	v_add_f32_e32 v119, v119, v120
	s_waitcnt vmcnt(28) lgkmcnt(0)
	v_mul_f32_e32 v120, v115, v184
	v_add_f32_e32 v79, v79, v80
	v_mul_f32_e32 v80, v106, v174
	v_fmac_f32_e32 v120, v116, v183
	v_fma_f32 v80, v105, v173, -v80
	v_add_f32_e32 v123, v119, v120
	ds_read2_b64 v[119:122], v78 offset0:63 offset1:64
	v_add_f32_e32 v79, v79, v80
	v_mul_f32_e32 v80, v108, v176
	v_fma_f32 v80, v107, v175, -v80
	s_waitcnt vmcnt(26)
	v_mul_f32_e32 v124, v117, v186
	v_add_f32_e32 v79, v79, v80
	v_mul_f32_e32 v80, v110, v178
	v_fmac_f32_e32 v124, v118, v185
	v_fma_f32 v80, v109, v177, -v80
	v_add_f32_e32 v127, v123, v124
	ds_read2_b64 v[123:126], v78 offset0:65 offset1:66
	v_add_f32_e32 v79, v79, v80
	v_mul_f32_e32 v80, v112, v180
	s_waitcnt vmcnt(24) lgkmcnt(1)
	v_mul_f32_e32 v128, v119, v188
	v_fma_f32 v80, v111, v179, -v80
	v_fmac_f32_e32 v128, v120, v187
	v_add_f32_e32 v79, v79, v80
	v_mul_f32_e32 v80, v114, v182
	v_add_f32_e32 v127, v127, v128
	s_waitcnt vmcnt(22)
	v_mul_f32_e32 v128, v121, v190
	v_fma_f32 v80, v113, v181, -v80
	v_fmac_f32_e32 v128, v122, v189
	v_add_f32_e32 v79, v79, v80
	v_mul_f32_e32 v80, v116, v184
	v_add_f32_e32 v127, v127, v128
	s_waitcnt vmcnt(20) lgkmcnt(0)
	v_mul_f32_e32 v128, v123, v192
	v_fma_f32 v80, v115, v183, -v80
	v_fmac_f32_e32 v128, v124, v191
	v_add_f32_e32 v79, v79, v80
	v_mul_f32_e32 v80, v118, v186
	v_add_f32_e32 v131, v127, v128
	ds_read2_b64 v[127:130], v78 offset0:67 offset1:68
	v_fma_f32 v80, v117, v185, -v80
	v_add_f32_e32 v79, v79, v80
	v_mul_f32_e32 v80, v120, v188
	s_waitcnt vmcnt(18)
	v_mul_f32_e32 v132, v125, v194
	v_fma_f32 v80, v119, v187, -v80
	v_fmac_f32_e32 v132, v126, v193
	v_add_f32_e32 v79, v79, v80
	v_mul_f32_e32 v80, v122, v190
	v_add_f32_e32 v135, v131, v132
	ds_read2_b64 v[131:134], v78 offset0:69 offset1:70
	v_fma_f32 v80, v121, v189, -v80
	s_waitcnt vmcnt(16) lgkmcnt(1)
	v_mul_f32_e32 v136, v127, v196
	v_add_f32_e32 v79, v79, v80
	v_mul_f32_e32 v80, v124, v192
	v_fmac_f32_e32 v136, v128, v195
	v_fma_f32 v80, v123, v191, -v80
	v_add_f32_e32 v135, v135, v136
	s_waitcnt vmcnt(14)
	v_mul_f32_e32 v136, v129, v198
	v_add_f32_e32 v79, v79, v80
	v_mul_f32_e32 v80, v126, v194
	v_fmac_f32_e32 v136, v130, v197
	v_fma_f32 v80, v125, v193, -v80
	v_add_f32_e32 v135, v135, v136
	s_waitcnt vmcnt(12) lgkmcnt(0)
	v_mul_f32_e32 v136, v131, v200
	v_add_f32_e32 v79, v79, v80
	v_mul_f32_e32 v80, v128, v196
	v_fmac_f32_e32 v136, v132, v199
	v_fma_f32 v80, v127, v195, -v80
	v_add_f32_e32 v139, v135, v136
	ds_read2_b64 v[135:138], v78 offset0:71 offset1:72
	v_add_f32_e32 v79, v79, v80
	v_mul_f32_e32 v80, v130, v198
	v_fma_f32 v80, v129, v197, -v80
	v_add_f32_e32 v79, v79, v80
	v_mul_f32_e32 v80, v132, v200
	s_waitcnt vmcnt(10)
	v_mul_f32_e32 v140, v133, v202
	v_fma_f32 v80, v131, v199, -v80
	v_fmac_f32_e32 v140, v134, v201
	v_add_f32_e32 v79, v79, v80
	v_mul_f32_e32 v80, v134, v202
	v_add_f32_e32 v143, v139, v140
	ds_read2_b64 v[139:142], v78 offset0:73 offset1:74
	s_waitcnt vmcnt(8) lgkmcnt(1)
	v_mul_f32_e32 v144, v135, v204
	v_fma_f32 v80, v133, v201, -v80
	v_fmac_f32_e32 v144, v136, v203
	v_add_f32_e32 v79, v79, v80
	v_mul_f32_e32 v80, v136, v204
	v_add_f32_e32 v143, v143, v144
	s_waitcnt vmcnt(7)
	v_mul_f32_e32 v144, v137, v205
	v_fma_f32 v80, v135, v203, -v80
	s_waitcnt vmcnt(6)
	v_fmac_f32_e32 v144, v138, v206
	v_add_f32_e32 v79, v79, v80
	v_mul_f32_e32 v80, v138, v205
	v_add_f32_e32 v213, v143, v144
	ds_read_b64 v[143:144], v78 offset:600
	v_fma_f32 v80, v137, v206, -v80
	v_add_f32_e32 v79, v79, v80
	s_waitcnt vmcnt(4) lgkmcnt(1)
	v_mul_f32_e32 v80, v140, v208
	v_mul_f32_e32 v214, v139, v208
	v_fma_f32 v80, v139, v207, -v80
	v_fmac_f32_e32 v214, v140, v207
	v_add_f32_e32 v79, v79, v80
	s_waitcnt vmcnt(3)
	v_mul_f32_e32 v80, v142, v209
	v_add_f32_e32 v213, v213, v214
	v_mul_f32_e32 v214, v141, v209
	s_waitcnt vmcnt(2)
	v_fma_f32 v80, v141, v210, -v80
	v_fmac_f32_e32 v214, v142, v210
	v_add_f32_e32 v79, v79, v80
	s_waitcnt vmcnt(0) lgkmcnt(0)
	v_mul_f32_e32 v80, v144, v212
	v_add_f32_e32 v213, v213, v214
	v_mul_f32_e32 v214, v143, v212
	v_fma_f32 v80, v143, v211, -v80
	v_fmac_f32_e32 v214, v144, v211
	v_add_f32_e32 v79, v79, v80
	v_add_f32_e32 v213, v213, v214
	v_sub_f32_e32 v79, v164, v79
	v_sub_f32_e32 v80, v165, v213
	buffer_store_dword v79, off, s[0:3], 0 offset:32
	buffer_store_dword v80, off, s[0:3], 0 offset:36
	s_and_saveexec_b64 s[4:5], vcc
	s_cbranch_execz .LBB101_235
; %bb.234:
	buffer_load_dword v79, off, s[0:3], 0 offset:24
	buffer_load_dword v80, off, s[0:3], 0 offset:28
	s_waitcnt vmcnt(0)
	ds_write_b64 v77, v[79:80]
	buffer_store_dword v78, off, s[0:3], 0 offset:24
	buffer_store_dword v78, off, s[0:3], 0 offset:28
.LBB101_235:
	s_or_b64 exec, exec, s[4:5]
	s_waitcnt lgkmcnt(0)
	; wave barrier
	buffer_load_dword v147, off, s[0:3], 0 offset:36
	buffer_load_dword v148, off, s[0:3], 0 offset:44
	;; [unrolled: 1-line block ×24, first 2 shown]
	ds_read_b128 v[79:82], v78 offset:336
	ds_read_b128 v[83:86], v78 offset:352
	ds_read_b128 v[87:90], v78 offset:368
	ds_read_b128 v[91:94], v78 offset:384
	ds_read_b128 v[95:98], v78 offset:400
	ds_read_b128 v[99:102], v78 offset:416
	buffer_load_dword v171, off, s[0:3], 0 offset:124
	buffer_load_dword v172, off, s[0:3], 0 offset:120
	;; [unrolled: 1-line block ×46, first 2 shown]
	v_cmp_lt_u32_e32 vcc, 2, v0
	s_waitcnt vmcnt(62) lgkmcnt(5)
	v_mul_f32_e32 v103, v79, v147
	v_mul_f32_e32 v104, v81, v148
	s_waitcnt lgkmcnt(4)
	v_mul_f32_e32 v105, v83, v149
	v_mul_f32_e32 v106, v85, v150
	s_waitcnt lgkmcnt(3)
	;; [unrolled: 3-line block ×3, first 2 shown]
	v_mul_f32_e32 v109, v91, v153
	v_mul_f32_e32 v110, v93, v154
	s_waitcnt vmcnt(61)
	v_fmac_f32_e32 v103, v80, v155
	s_waitcnt vmcnt(60)
	v_fmac_f32_e32 v104, v82, v156
	v_add_f32_e32 v103, 0, v103
	s_waitcnt vmcnt(59)
	v_fmac_f32_e32 v105, v84, v157
	v_add_f32_e32 v103, v103, v104
	;; [unrolled: 3-line block ×7, first 2 shown]
	s_waitcnt vmcnt(53) lgkmcnt(1)
	v_mul_f32_e32 v104, v95, v163
	v_add_f32_e32 v103, v103, v110
	s_waitcnt vmcnt(52)
	v_fmac_f32_e32 v104, v96, v164
	v_mul_f32_e32 v80, v80, v147
	v_add_f32_e32 v103, v103, v104
	s_waitcnt vmcnt(51)
	v_mul_f32_e32 v104, v97, v165
	v_fma_f32 v79, v79, v155, -v80
	v_mul_f32_e32 v80, v82, v148
	s_waitcnt vmcnt(50)
	v_fmac_f32_e32 v104, v98, v166
	v_add_f32_e32 v79, 0, v79
	v_fma_f32 v80, v81, v156, -v80
	v_add_f32_e32 v103, v103, v104
	s_waitcnt vmcnt(47) lgkmcnt(0)
	v_mul_f32_e32 v104, v99, v169
	v_add_f32_e32 v79, v79, v80
	v_mul_f32_e32 v80, v84, v149
	s_waitcnt vmcnt(46)
	v_fmac_f32_e32 v104, v100, v170
	v_fma_f32 v80, v83, v157, -v80
	v_add_f32_e32 v107, v103, v104
	ds_read_b128 v[103:106], v78 offset:432
	v_add_f32_e32 v79, v79, v80
	v_mul_f32_e32 v80, v86, v150
	v_fma_f32 v80, v85, v158, -v80
	s_waitcnt vmcnt(45)
	v_mul_f32_e32 v108, v101, v171
	v_add_f32_e32 v79, v79, v80
	v_mul_f32_e32 v80, v88, v151
	s_waitcnt vmcnt(44)
	v_fmac_f32_e32 v108, v102, v172
	v_fma_f32 v80, v87, v159, -v80
	v_add_f32_e32 v111, v107, v108
	ds_read_b128 v[107:110], v78 offset:448
	v_add_f32_e32 v79, v79, v80
	v_mul_f32_e32 v80, v90, v152
	s_waitcnt vmcnt(42) lgkmcnt(1)
	v_mul_f32_e32 v112, v103, v174
	v_fma_f32 v80, v89, v160, -v80
	v_fmac_f32_e32 v112, v104, v173
	v_add_f32_e32 v79, v79, v80
	v_mul_f32_e32 v80, v92, v153
	v_add_f32_e32 v111, v111, v112
	s_waitcnt vmcnt(40)
	v_mul_f32_e32 v112, v105, v176
	v_fma_f32 v80, v91, v161, -v80
	v_fmac_f32_e32 v112, v106, v175
	v_add_f32_e32 v79, v79, v80
	v_mul_f32_e32 v80, v94, v154
	v_add_f32_e32 v111, v111, v112
	s_waitcnt vmcnt(38) lgkmcnt(0)
	v_mul_f32_e32 v112, v107, v178
	v_fma_f32 v80, v93, v162, -v80
	v_fmac_f32_e32 v112, v108, v177
	v_add_f32_e32 v79, v79, v80
	v_mul_f32_e32 v80, v96, v163
	v_add_f32_e32 v115, v111, v112
	ds_read_b128 v[111:114], v78 offset:464
	v_fma_f32 v80, v95, v164, -v80
	v_add_f32_e32 v79, v79, v80
	v_mul_f32_e32 v80, v98, v165
	s_waitcnt vmcnt(36)
	v_mul_f32_e32 v116, v109, v180
	v_fma_f32 v80, v97, v166, -v80
	v_fmac_f32_e32 v116, v110, v179
	v_add_f32_e32 v79, v79, v80
	v_mul_f32_e32 v80, v100, v169
	v_add_f32_e32 v119, v115, v116
	ds_read_b128 v[115:118], v78 offset:480
	v_fma_f32 v80, v99, v170, -v80
	s_waitcnt vmcnt(34) lgkmcnt(1)
	v_mul_f32_e32 v120, v111, v182
	v_add_f32_e32 v79, v79, v80
	v_mul_f32_e32 v80, v102, v171
	v_fmac_f32_e32 v120, v112, v181
	v_fma_f32 v80, v101, v172, -v80
	v_add_f32_e32 v119, v119, v120
	s_waitcnt vmcnt(32)
	v_mul_f32_e32 v120, v113, v184
	v_add_f32_e32 v79, v79, v80
	v_mul_f32_e32 v80, v104, v174
	v_fmac_f32_e32 v120, v114, v183
	v_fma_f32 v80, v103, v173, -v80
	v_add_f32_e32 v119, v119, v120
	s_waitcnt vmcnt(30) lgkmcnt(0)
	v_mul_f32_e32 v120, v115, v186
	v_add_f32_e32 v79, v79, v80
	v_mul_f32_e32 v80, v106, v176
	v_fmac_f32_e32 v120, v116, v185
	v_fma_f32 v80, v105, v175, -v80
	v_add_f32_e32 v123, v119, v120
	ds_read_b128 v[119:122], v78 offset:496
	v_add_f32_e32 v79, v79, v80
	v_mul_f32_e32 v80, v108, v178
	v_fma_f32 v80, v107, v177, -v80
	s_waitcnt vmcnt(28)
	v_mul_f32_e32 v124, v117, v188
	v_add_f32_e32 v79, v79, v80
	v_mul_f32_e32 v80, v110, v180
	v_fmac_f32_e32 v124, v118, v187
	v_fma_f32 v80, v109, v179, -v80
	v_add_f32_e32 v127, v123, v124
	ds_read_b128 v[123:126], v78 offset:512
	v_add_f32_e32 v79, v79, v80
	v_mul_f32_e32 v80, v112, v182
	s_waitcnt vmcnt(26) lgkmcnt(1)
	v_mul_f32_e32 v128, v119, v190
	v_fma_f32 v80, v111, v181, -v80
	v_fmac_f32_e32 v128, v120, v189
	v_add_f32_e32 v79, v79, v80
	v_mul_f32_e32 v80, v114, v184
	v_add_f32_e32 v127, v127, v128
	s_waitcnt vmcnt(24)
	v_mul_f32_e32 v128, v121, v192
	v_fma_f32 v80, v113, v183, -v80
	v_fmac_f32_e32 v128, v122, v191
	v_add_f32_e32 v79, v79, v80
	v_mul_f32_e32 v80, v116, v186
	v_add_f32_e32 v127, v127, v128
	s_waitcnt vmcnt(22) lgkmcnt(0)
	v_mul_f32_e32 v128, v123, v194
	v_fma_f32 v80, v115, v185, -v80
	v_fmac_f32_e32 v128, v124, v193
	v_add_f32_e32 v79, v79, v80
	v_mul_f32_e32 v80, v118, v188
	v_add_f32_e32 v131, v127, v128
	ds_read_b128 v[127:130], v78 offset:528
	v_fma_f32 v80, v117, v187, -v80
	v_add_f32_e32 v79, v79, v80
	v_mul_f32_e32 v80, v120, v190
	s_waitcnt vmcnt(20)
	v_mul_f32_e32 v132, v125, v196
	v_fma_f32 v80, v119, v189, -v80
	v_fmac_f32_e32 v132, v126, v195
	v_add_f32_e32 v79, v79, v80
	v_mul_f32_e32 v80, v122, v192
	v_add_f32_e32 v135, v131, v132
	ds_read_b128 v[131:134], v78 offset:544
	v_fma_f32 v80, v121, v191, -v80
	s_waitcnt vmcnt(18) lgkmcnt(1)
	v_mul_f32_e32 v136, v127, v198
	v_add_f32_e32 v79, v79, v80
	v_mul_f32_e32 v80, v124, v194
	v_fmac_f32_e32 v136, v128, v197
	v_fma_f32 v80, v123, v193, -v80
	v_add_f32_e32 v135, v135, v136
	s_waitcnt vmcnt(16)
	v_mul_f32_e32 v136, v129, v200
	v_add_f32_e32 v79, v79, v80
	v_mul_f32_e32 v80, v126, v196
	v_fmac_f32_e32 v136, v130, v199
	v_fma_f32 v80, v125, v195, -v80
	v_add_f32_e32 v135, v135, v136
	s_waitcnt vmcnt(14) lgkmcnt(0)
	v_mul_f32_e32 v136, v131, v202
	v_add_f32_e32 v79, v79, v80
	v_mul_f32_e32 v80, v128, v198
	v_fmac_f32_e32 v136, v132, v201
	v_fma_f32 v80, v127, v197, -v80
	v_add_f32_e32 v139, v135, v136
	ds_read_b128 v[135:138], v78 offset:560
	v_add_f32_e32 v79, v79, v80
	v_mul_f32_e32 v80, v130, v200
	v_fma_f32 v80, v129, v199, -v80
	v_add_f32_e32 v79, v79, v80
	v_mul_f32_e32 v80, v132, v202
	s_waitcnt vmcnt(12)
	v_mul_f32_e32 v140, v133, v204
	v_fma_f32 v80, v131, v201, -v80
	v_fmac_f32_e32 v140, v134, v203
	v_add_f32_e32 v79, v79, v80
	v_mul_f32_e32 v80, v134, v204
	v_add_f32_e32 v143, v139, v140
	ds_read_b128 v[139:142], v78 offset:576
	s_waitcnt vmcnt(10) lgkmcnt(1)
	v_mul_f32_e32 v144, v135, v206
	v_fma_f32 v80, v133, v203, -v80
	v_fmac_f32_e32 v144, v136, v205
	v_add_f32_e32 v79, v79, v80
	v_mul_f32_e32 v80, v136, v206
	v_add_f32_e32 v143, v143, v144
	s_waitcnt vmcnt(9)
	v_mul_f32_e32 v144, v137, v207
	v_fma_f32 v80, v135, v205, -v80
	s_waitcnt vmcnt(8)
	v_fmac_f32_e32 v144, v138, v208
	v_add_f32_e32 v79, v79, v80
	v_mul_f32_e32 v80, v138, v207
	v_add_f32_e32 v217, v143, v144
	ds_read_b128 v[143:146], v78 offset:592
	v_fma_f32 v80, v137, v208, -v80
	v_add_f32_e32 v79, v79, v80
	s_waitcnt vmcnt(6) lgkmcnt(1)
	v_mul_f32_e32 v80, v140, v210
	v_mul_f32_e32 v218, v139, v210
	v_fma_f32 v80, v139, v209, -v80
	v_fmac_f32_e32 v218, v140, v209
	v_add_f32_e32 v79, v79, v80
	s_waitcnt vmcnt(4)
	v_mul_f32_e32 v80, v142, v212
	v_add_f32_e32 v78, v217, v218
	v_mul_f32_e32 v217, v141, v212
	v_fma_f32 v80, v141, v211, -v80
	v_fmac_f32_e32 v217, v142, v211
	v_add_f32_e32 v79, v79, v80
	s_waitcnt vmcnt(3) lgkmcnt(0)
	v_mul_f32_e32 v80, v144, v213
	v_add_f32_e32 v78, v78, v217
	v_mul_f32_e32 v217, v143, v213
	s_waitcnt vmcnt(2)
	v_fma_f32 v80, v143, v214, -v80
	v_fmac_f32_e32 v217, v144, v214
	v_add_f32_e32 v79, v79, v80
	s_waitcnt vmcnt(0)
	v_mul_f32_e32 v80, v146, v216
	v_add_f32_e32 v78, v78, v217
	v_mul_f32_e32 v217, v145, v216
	v_fma_f32 v80, v145, v215, -v80
	v_fmac_f32_e32 v217, v146, v215
	v_add_f32_e32 v79, v79, v80
	v_add_f32_e32 v78, v78, v217
	v_sub_f32_e32 v79, v167, v79
	v_sub_f32_e32 v78, v168, v78
	buffer_store_dword v79, off, s[0:3], 0 offset:24
	buffer_store_dword v78, off, s[0:3], 0 offset:28
	s_and_saveexec_b64 s[4:5], vcc
	s_cbranch_execz .LBB101_237
; %bb.236:
	buffer_load_dword v78, off, s[0:3], 0 offset:16
	buffer_load_dword v79, off, s[0:3], 0 offset:20
	v_mov_b32_e32 v80, 0
	buffer_store_dword v80, off, s[0:3], 0 offset:16
	buffer_store_dword v80, off, s[0:3], 0 offset:20
	s_waitcnt vmcnt(2)
	ds_write_b64 v77, v[78:79]
.LBB101_237:
	s_or_b64 exec, exec, s[4:5]
	s_waitcnt lgkmcnt(0)
	; wave barrier
	buffer_load_dword v149, off, s[0:3], 0 offset:28
	buffer_load_dword v150, off, s[0:3], 0 offset:36
	;; [unrolled: 1-line block ×56, first 2 shown]
	v_mov_b32_e32 v78, 0
	ds_read2_b64 v[79:82], v78 offset0:41 offset1:42
	ds_read2_b64 v[83:86], v78 offset0:43 offset1:44
	;; [unrolled: 1-line block ×6, first 2 shown]
	buffer_load_dword v205, off, s[0:3], 0 offset:240
	buffer_load_dword v206, off, s[0:3], 0 offset:244
	;; [unrolled: 1-line block ×12, first 2 shown]
	v_cmp_lt_u32_e32 vcc, 1, v0
	s_waitcnt vmcnt(62) lgkmcnt(5)
	v_mul_f32_e32 v103, v79, v149
	v_mul_f32_e32 v104, v81, v150
	s_waitcnt lgkmcnt(4)
	v_mul_f32_e32 v105, v83, v151
	v_mul_f32_e32 v106, v85, v152
	s_waitcnt lgkmcnt(3)
	v_mul_f32_e32 v107, v87, v153
	v_mul_f32_e32 v108, v89, v154
	s_waitcnt vmcnt(61) lgkmcnt(2)
	v_mul_f32_e32 v109, v91, v155
	s_waitcnt vmcnt(60)
	v_mul_f32_e32 v110, v93, v156
	s_waitcnt vmcnt(59) lgkmcnt(1)
	v_mul_f32_e32 v111, v95, v157
	s_waitcnt vmcnt(58)
	v_fmac_f32_e32 v103, v80, v158
	s_waitcnt vmcnt(57)
	v_fmac_f32_e32 v104, v82, v159
	v_add_f32_e32 v103, 0, v103
	s_waitcnt vmcnt(56)
	v_fmac_f32_e32 v105, v84, v160
	v_add_f32_e32 v103, v103, v104
	;; [unrolled: 3-line block ×7, first 2 shown]
	v_add_f32_e32 v103, v103, v110
	s_waitcnt vmcnt(50)
	v_fmac_f32_e32 v111, v96, v166
	s_waitcnt vmcnt(49)
	v_mul_f32_e32 v104, v97, v167
	v_add_f32_e32 v103, v103, v111
	s_waitcnt vmcnt(48)
	v_fmac_f32_e32 v104, v98, v168
	v_add_f32_e32 v103, v103, v104
	s_waitcnt vmcnt(47) lgkmcnt(0)
	v_mul_f32_e32 v104, v99, v169
	s_waitcnt vmcnt(44)
	v_fmac_f32_e32 v104, v100, v172
	v_add_f32_e32 v107, v103, v104
	ds_read2_b64 v[103:106], v78 offset0:53 offset1:54
	buffer_load_dword v217, off, s[0:3], 0 offset:292
	buffer_load_dword v218, off, s[0:3], 0 offset:288
	;; [unrolled: 1-line block ×4, first 2 shown]
	v_mul_f32_e32 v80, v80, v149
	v_fma_f32 v79, v79, v158, -v80
	v_mul_f32_e32 v80, v82, v150
	v_add_f32_e32 v79, 0, v79
	v_fma_f32 v80, v81, v159, -v80
	v_add_f32_e32 v79, v79, v80
	v_mul_f32_e32 v80, v84, v151
	v_fma_f32 v80, v83, v160, -v80
	s_waitcnt vmcnt(46)
	v_mul_f32_e32 v108, v101, v174
	v_add_f32_e32 v79, v79, v80
	v_mul_f32_e32 v80, v86, v152
	v_fmac_f32_e32 v108, v102, v173
	v_fma_f32 v80, v85, v161, -v80
	v_add_f32_e32 v111, v107, v108
	ds_read2_b64 v[107:110], v78 offset0:55 offset1:56
	v_add_f32_e32 v79, v79, v80
	v_mul_f32_e32 v80, v88, v153
	s_waitcnt vmcnt(44) lgkmcnt(1)
	v_mul_f32_e32 v112, v103, v176
	v_fma_f32 v80, v87, v162, -v80
	v_fmac_f32_e32 v112, v104, v175
	v_add_f32_e32 v79, v79, v80
	v_mul_f32_e32 v80, v90, v154
	v_add_f32_e32 v111, v111, v112
	s_waitcnt vmcnt(42)
	v_mul_f32_e32 v112, v105, v178
	v_fma_f32 v80, v89, v163, -v80
	v_fmac_f32_e32 v112, v106, v177
	v_add_f32_e32 v79, v79, v80
	v_mul_f32_e32 v80, v92, v155
	v_add_f32_e32 v111, v111, v112
	s_waitcnt vmcnt(40) lgkmcnt(0)
	v_mul_f32_e32 v112, v107, v180
	v_fma_f32 v80, v91, v164, -v80
	v_fmac_f32_e32 v112, v108, v179
	v_add_f32_e32 v79, v79, v80
	v_mul_f32_e32 v80, v94, v156
	v_add_f32_e32 v115, v111, v112
	ds_read2_b64 v[111:114], v78 offset0:57 offset1:58
	v_fma_f32 v80, v93, v165, -v80
	v_add_f32_e32 v79, v79, v80
	v_mul_f32_e32 v80, v96, v157
	s_waitcnt vmcnt(38)
	v_mul_f32_e32 v116, v109, v182
	v_fma_f32 v80, v95, v166, -v80
	v_fmac_f32_e32 v116, v110, v181
	v_add_f32_e32 v79, v79, v80
	v_mul_f32_e32 v80, v98, v167
	v_add_f32_e32 v119, v115, v116
	ds_read2_b64 v[115:118], v78 offset0:59 offset1:60
	v_fma_f32 v80, v97, v168, -v80
	s_waitcnt vmcnt(36) lgkmcnt(1)
	v_mul_f32_e32 v120, v111, v184
	v_add_f32_e32 v79, v79, v80
	v_mul_f32_e32 v80, v100, v169
	v_fmac_f32_e32 v120, v112, v183
	v_fma_f32 v80, v99, v172, -v80
	v_add_f32_e32 v119, v119, v120
	s_waitcnt vmcnt(34)
	v_mul_f32_e32 v120, v113, v186
	v_add_f32_e32 v79, v79, v80
	v_mul_f32_e32 v80, v102, v174
	v_fmac_f32_e32 v120, v114, v185
	v_fma_f32 v80, v101, v173, -v80
	v_add_f32_e32 v119, v119, v120
	s_waitcnt vmcnt(32) lgkmcnt(0)
	v_mul_f32_e32 v120, v115, v188
	v_add_f32_e32 v79, v79, v80
	v_mul_f32_e32 v80, v104, v176
	v_fmac_f32_e32 v120, v116, v187
	v_fma_f32 v80, v103, v175, -v80
	v_add_f32_e32 v123, v119, v120
	ds_read2_b64 v[119:122], v78 offset0:61 offset1:62
	v_add_f32_e32 v79, v79, v80
	v_mul_f32_e32 v80, v106, v178
	v_fma_f32 v80, v105, v177, -v80
	s_waitcnt vmcnt(30)
	v_mul_f32_e32 v124, v117, v190
	v_add_f32_e32 v79, v79, v80
	v_mul_f32_e32 v80, v108, v180
	v_fmac_f32_e32 v124, v118, v189
	v_fma_f32 v80, v107, v179, -v80
	v_add_f32_e32 v127, v123, v124
	ds_read2_b64 v[123:126], v78 offset0:63 offset1:64
	v_add_f32_e32 v79, v79, v80
	v_mul_f32_e32 v80, v110, v182
	s_waitcnt vmcnt(28) lgkmcnt(1)
	v_mul_f32_e32 v128, v119, v192
	v_fma_f32 v80, v109, v181, -v80
	v_fmac_f32_e32 v128, v120, v191
	v_add_f32_e32 v79, v79, v80
	v_mul_f32_e32 v80, v112, v184
	v_add_f32_e32 v127, v127, v128
	s_waitcnt vmcnt(26)
	v_mul_f32_e32 v128, v121, v194
	v_fma_f32 v80, v111, v183, -v80
	v_fmac_f32_e32 v128, v122, v193
	v_add_f32_e32 v79, v79, v80
	v_mul_f32_e32 v80, v114, v186
	v_add_f32_e32 v127, v127, v128
	s_waitcnt vmcnt(24) lgkmcnt(0)
	v_mul_f32_e32 v128, v123, v196
	v_fma_f32 v80, v113, v185, -v80
	v_fmac_f32_e32 v128, v124, v195
	v_add_f32_e32 v79, v79, v80
	v_mul_f32_e32 v80, v116, v188
	v_add_f32_e32 v131, v127, v128
	ds_read2_b64 v[127:130], v78 offset0:65 offset1:66
	v_fma_f32 v80, v115, v187, -v80
	v_add_f32_e32 v79, v79, v80
	v_mul_f32_e32 v80, v118, v190
	s_waitcnt vmcnt(22)
	v_mul_f32_e32 v132, v125, v198
	v_fma_f32 v80, v117, v189, -v80
	v_fmac_f32_e32 v132, v126, v197
	v_add_f32_e32 v79, v79, v80
	v_mul_f32_e32 v80, v120, v192
	v_add_f32_e32 v135, v131, v132
	ds_read2_b64 v[131:134], v78 offset0:67 offset1:68
	v_fma_f32 v80, v119, v191, -v80
	s_waitcnt vmcnt(20) lgkmcnt(1)
	v_mul_f32_e32 v136, v127, v200
	v_add_f32_e32 v79, v79, v80
	v_mul_f32_e32 v80, v122, v194
	v_fmac_f32_e32 v136, v128, v199
	v_fma_f32 v80, v121, v193, -v80
	v_add_f32_e32 v135, v135, v136
	s_waitcnt vmcnt(18)
	v_mul_f32_e32 v136, v129, v202
	v_add_f32_e32 v79, v79, v80
	v_mul_f32_e32 v80, v124, v196
	v_fmac_f32_e32 v136, v130, v201
	v_fma_f32 v80, v123, v195, -v80
	v_add_f32_e32 v135, v135, v136
	s_waitcnt vmcnt(16) lgkmcnt(0)
	v_mul_f32_e32 v136, v131, v204
	v_add_f32_e32 v79, v79, v80
	v_mul_f32_e32 v80, v126, v198
	v_fmac_f32_e32 v136, v132, v203
	v_fma_f32 v80, v125, v197, -v80
	v_add_f32_e32 v139, v135, v136
	ds_read2_b64 v[135:138], v78 offset0:69 offset1:70
	v_add_f32_e32 v79, v79, v80
	v_mul_f32_e32 v80, v128, v200
	v_fma_f32 v80, v127, v199, -v80
	s_waitcnt vmcnt(14)
	v_mul_f32_e32 v140, v133, v206
	v_add_f32_e32 v79, v79, v80
	v_mul_f32_e32 v80, v130, v202
	v_fmac_f32_e32 v140, v134, v205
	v_fma_f32 v80, v129, v201, -v80
	v_add_f32_e32 v143, v139, v140
	ds_read2_b64 v[139:142], v78 offset0:71 offset1:72
	v_add_f32_e32 v79, v79, v80
	v_mul_f32_e32 v80, v132, v204
	s_waitcnt vmcnt(12) lgkmcnt(1)
	v_mul_f32_e32 v144, v135, v208
	v_fma_f32 v80, v131, v203, -v80
	v_fmac_f32_e32 v144, v136, v207
	v_add_f32_e32 v79, v79, v80
	v_mul_f32_e32 v80, v134, v206
	v_add_f32_e32 v143, v143, v144
	s_waitcnt vmcnt(11)
	v_mul_f32_e32 v144, v137, v209
	v_fma_f32 v80, v133, v205, -v80
	s_waitcnt vmcnt(10)
	v_fmac_f32_e32 v144, v138, v210
	v_add_f32_e32 v79, v79, v80
	v_mul_f32_e32 v80, v136, v208
	v_add_f32_e32 v143, v143, v144
	s_waitcnt vmcnt(8) lgkmcnt(0)
	v_mul_f32_e32 v144, v139, v212
	v_fma_f32 v80, v135, v207, -v80
	v_fmac_f32_e32 v144, v140, v211
	v_add_f32_e32 v79, v79, v80
	v_mul_f32_e32 v80, v138, v209
	v_add_f32_e32 v147, v143, v144
	ds_read2_b64 v[143:146], v78 offset0:73 offset1:74
	v_fma_f32 v80, v137, v210, -v80
	v_add_f32_e32 v79, v79, v80
	v_mul_f32_e32 v80, v140, v212
	s_waitcnt vmcnt(6)
	v_mul_f32_e32 v148, v141, v214
	v_fma_f32 v80, v139, v211, -v80
	v_fmac_f32_e32 v148, v142, v213
	v_add_f32_e32 v79, v79, v80
	v_mul_f32_e32 v80, v142, v214
	v_add_f32_e32 v221, v147, v148
	ds_read_b64 v[147:148], v78 offset:600
	v_fma_f32 v80, v141, v213, -v80
	v_add_f32_e32 v79, v79, v80
	s_waitcnt vmcnt(4) lgkmcnt(1)
	v_mul_f32_e32 v80, v144, v216
	v_mul_f32_e32 v222, v143, v216
	v_fma_f32 v80, v143, v215, -v80
	v_fmac_f32_e32 v222, v144, v215
	v_add_f32_e32 v79, v79, v80
	s_waitcnt vmcnt(3)
	v_mul_f32_e32 v80, v146, v217
	v_add_f32_e32 v221, v221, v222
	v_mul_f32_e32 v222, v145, v217
	s_waitcnt vmcnt(2)
	v_fma_f32 v80, v145, v218, -v80
	v_fmac_f32_e32 v222, v146, v218
	v_add_f32_e32 v79, v79, v80
	s_waitcnt vmcnt(0) lgkmcnt(0)
	v_mul_f32_e32 v80, v148, v220
	v_add_f32_e32 v221, v221, v222
	v_mul_f32_e32 v222, v147, v220
	v_fma_f32 v80, v147, v219, -v80
	v_fmac_f32_e32 v222, v148, v219
	v_add_f32_e32 v79, v79, v80
	v_add_f32_e32 v221, v221, v222
	v_sub_f32_e32 v79, v170, v79
	v_sub_f32_e32 v80, v171, v221
	buffer_store_dword v79, off, s[0:3], 0 offset:16
	buffer_store_dword v80, off, s[0:3], 0 offset:20
	s_and_saveexec_b64 s[4:5], vcc
	s_cbranch_execz .LBB101_239
; %bb.238:
	buffer_load_dword v79, off, s[0:3], 0 offset:8
	buffer_load_dword v80, off, s[0:3], 0 offset:12
	s_waitcnt vmcnt(0)
	ds_write_b64 v77, v[79:80]
	buffer_store_dword v78, off, s[0:3], 0 offset:8
	buffer_store_dword v78, off, s[0:3], 0 offset:12
.LBB101_239:
	s_or_b64 exec, exec, s[4:5]
	s_waitcnt lgkmcnt(0)
	; wave barrier
	buffer_load_dword v151, off, s[0:3], 0 offset:20
	buffer_load_dword v152, off, s[0:3], 0 offset:28
	;; [unrolled: 1-line block ×26, first 2 shown]
	ds_read_b128 v[79:82], v78 offset:320
	ds_read_b128 v[83:86], v78 offset:336
	;; [unrolled: 1-line block ×6, first 2 shown]
	buffer_load_dword v177, off, s[0:3], 0 offset:112
	buffer_load_dword v178, off, s[0:3], 0 offset:116
	;; [unrolled: 1-line block ×42, first 2 shown]
	v_cmp_ne_u32_e32 vcc, 0, v0
	s_waitcnt vmcnt(62) lgkmcnt(5)
	v_mul_f32_e32 v103, v79, v151
	v_mul_f32_e32 v104, v81, v152
	s_waitcnt lgkmcnt(4)
	v_mul_f32_e32 v105, v83, v153
	v_mul_f32_e32 v106, v85, v154
	s_waitcnt lgkmcnt(3)
	v_mul_f32_e32 v107, v87, v155
	v_mul_f32_e32 v108, v89, v156
	s_waitcnt vmcnt(61) lgkmcnt(2)
	v_mul_f32_e32 v109, v91, v157
	s_waitcnt vmcnt(60)
	v_mul_f32_e32 v110, v93, v158
	s_waitcnt vmcnt(59) lgkmcnt(1)
	v_mul_f32_e32 v111, v95, v159
	s_waitcnt vmcnt(58)
	v_fmac_f32_e32 v103, v80, v160
	s_waitcnt vmcnt(57)
	v_fmac_f32_e32 v104, v82, v161
	v_add_f32_e32 v103, 0, v103
	s_waitcnt vmcnt(56)
	v_fmac_f32_e32 v105, v84, v162
	v_add_f32_e32 v103, v103, v104
	;; [unrolled: 3-line block ×8, first 2 shown]
	s_waitcnt vmcnt(49)
	v_mul_f32_e32 v104, v97, v169
	v_add_f32_e32 v103, v103, v111
	s_waitcnt vmcnt(48)
	v_fmac_f32_e32 v104, v98, v170
	v_add_f32_e32 v103, v103, v104
	s_waitcnt vmcnt(47) lgkmcnt(0)
	v_mul_f32_e32 v104, v99, v171
	s_waitcnt vmcnt(46)
	v_fmac_f32_e32 v104, v100, v172
	v_add_f32_e32 v103, v103, v104
	s_waitcnt vmcnt(42)
	v_mul_f32_e32 v104, v101, v176
	v_fmac_f32_e32 v104, v102, v175
	v_add_f32_e32 v111, v103, v104
	ds_read_b128 v[103:106], v78 offset:416
	buffer_load_dword v219, off, s[0:3], 0 offset:284
	buffer_load_dword v220, off, s[0:3], 0 offset:280
	;; [unrolled: 1-line block ×4, first 2 shown]
	ds_read_b128 v[107:110], v78 offset:432
	buffer_load_dword v223, off, s[0:3], 0 offset:296
	buffer_load_dword v224, off, s[0:3], 0 offset:300
	v_mul_f32_e32 v80, v80, v151
	v_fma_f32 v79, v79, v160, -v80
	v_mul_f32_e32 v80, v82, v152
	v_add_f32_e32 v79, 0, v79
	v_fma_f32 v80, v81, v161, -v80
	v_add_f32_e32 v79, v79, v80
	v_mul_f32_e32 v80, v84, v153
	v_fma_f32 v80, v83, v162, -v80
	v_add_f32_e32 v79, v79, v80
	v_mul_f32_e32 v80, v86, v154
	;; [unrolled: 3-line block ×3, first 2 shown]
	s_waitcnt vmcnt(46) lgkmcnt(1)
	v_mul_f32_e32 v112, v103, v178
	v_fma_f32 v80, v87, v164, -v80
	v_fmac_f32_e32 v112, v104, v177
	v_add_f32_e32 v79, v79, v80
	v_mul_f32_e32 v80, v90, v156
	v_add_f32_e32 v111, v111, v112
	s_waitcnt vmcnt(44)
	v_mul_f32_e32 v112, v105, v180
	v_fma_f32 v80, v89, v165, -v80
	v_fmac_f32_e32 v112, v106, v179
	v_add_f32_e32 v79, v79, v80
	v_mul_f32_e32 v80, v92, v157
	v_add_f32_e32 v111, v111, v112
	s_waitcnt vmcnt(42) lgkmcnt(0)
	v_mul_f32_e32 v112, v107, v182
	v_fma_f32 v80, v91, v166, -v80
	v_fmac_f32_e32 v112, v108, v181
	v_add_f32_e32 v79, v79, v80
	v_mul_f32_e32 v80, v94, v158
	v_add_f32_e32 v115, v111, v112
	ds_read_b128 v[111:114], v78 offset:448
	v_fma_f32 v80, v93, v167, -v80
	v_add_f32_e32 v79, v79, v80
	v_mul_f32_e32 v80, v96, v159
	s_waitcnt vmcnt(40)
	v_mul_f32_e32 v116, v109, v184
	v_fma_f32 v80, v95, v168, -v80
	v_fmac_f32_e32 v116, v110, v183
	v_add_f32_e32 v79, v79, v80
	v_mul_f32_e32 v80, v98, v169
	v_add_f32_e32 v119, v115, v116
	ds_read_b128 v[115:118], v78 offset:464
	v_fma_f32 v80, v97, v170, -v80
	s_waitcnt vmcnt(38) lgkmcnt(1)
	v_mul_f32_e32 v120, v111, v186
	v_add_f32_e32 v79, v79, v80
	v_mul_f32_e32 v80, v100, v171
	v_fmac_f32_e32 v120, v112, v185
	v_fma_f32 v80, v99, v172, -v80
	v_add_f32_e32 v119, v119, v120
	s_waitcnt vmcnt(36)
	v_mul_f32_e32 v120, v113, v188
	v_add_f32_e32 v79, v79, v80
	v_mul_f32_e32 v80, v102, v176
	v_fmac_f32_e32 v120, v114, v187
	v_fma_f32 v80, v101, v175, -v80
	v_add_f32_e32 v119, v119, v120
	s_waitcnt vmcnt(34) lgkmcnt(0)
	v_mul_f32_e32 v120, v115, v190
	v_add_f32_e32 v79, v79, v80
	v_mul_f32_e32 v80, v104, v178
	v_fmac_f32_e32 v120, v116, v189
	v_fma_f32 v80, v103, v177, -v80
	v_add_f32_e32 v123, v119, v120
	ds_read_b128 v[119:122], v78 offset:480
	v_add_f32_e32 v79, v79, v80
	v_mul_f32_e32 v80, v106, v180
	v_fma_f32 v80, v105, v179, -v80
	s_waitcnt vmcnt(32)
	v_mul_f32_e32 v124, v117, v192
	v_add_f32_e32 v79, v79, v80
	v_mul_f32_e32 v80, v108, v182
	v_fmac_f32_e32 v124, v118, v191
	v_fma_f32 v80, v107, v181, -v80
	v_add_f32_e32 v127, v123, v124
	ds_read_b128 v[123:126], v78 offset:496
	v_add_f32_e32 v79, v79, v80
	v_mul_f32_e32 v80, v110, v184
	s_waitcnt vmcnt(30) lgkmcnt(1)
	v_mul_f32_e32 v128, v119, v194
	v_fma_f32 v80, v109, v183, -v80
	v_fmac_f32_e32 v128, v120, v193
	v_add_f32_e32 v79, v79, v80
	v_mul_f32_e32 v80, v112, v186
	v_add_f32_e32 v127, v127, v128
	s_waitcnt vmcnt(28)
	v_mul_f32_e32 v128, v121, v196
	v_fma_f32 v80, v111, v185, -v80
	v_fmac_f32_e32 v128, v122, v195
	v_add_f32_e32 v79, v79, v80
	v_mul_f32_e32 v80, v114, v188
	v_add_f32_e32 v127, v127, v128
	s_waitcnt vmcnt(26) lgkmcnt(0)
	v_mul_f32_e32 v128, v123, v198
	v_fma_f32 v80, v113, v187, -v80
	v_fmac_f32_e32 v128, v124, v197
	v_add_f32_e32 v79, v79, v80
	v_mul_f32_e32 v80, v116, v190
	v_add_f32_e32 v131, v127, v128
	ds_read_b128 v[127:130], v78 offset:512
	v_fma_f32 v80, v115, v189, -v80
	v_add_f32_e32 v79, v79, v80
	v_mul_f32_e32 v80, v118, v192
	s_waitcnt vmcnt(24)
	v_mul_f32_e32 v132, v125, v200
	v_fma_f32 v80, v117, v191, -v80
	v_fmac_f32_e32 v132, v126, v199
	v_add_f32_e32 v79, v79, v80
	v_mul_f32_e32 v80, v120, v194
	v_add_f32_e32 v135, v131, v132
	ds_read_b128 v[131:134], v78 offset:528
	v_fma_f32 v80, v119, v193, -v80
	s_waitcnt vmcnt(22) lgkmcnt(1)
	v_mul_f32_e32 v136, v127, v202
	v_add_f32_e32 v79, v79, v80
	v_mul_f32_e32 v80, v122, v196
	v_fmac_f32_e32 v136, v128, v201
	v_fma_f32 v80, v121, v195, -v80
	v_add_f32_e32 v135, v135, v136
	s_waitcnt vmcnt(20)
	v_mul_f32_e32 v136, v129, v204
	v_add_f32_e32 v79, v79, v80
	v_mul_f32_e32 v80, v124, v198
	v_fmac_f32_e32 v136, v130, v203
	v_fma_f32 v80, v123, v197, -v80
	v_add_f32_e32 v135, v135, v136
	s_waitcnt vmcnt(18) lgkmcnt(0)
	v_mul_f32_e32 v136, v131, v206
	v_add_f32_e32 v79, v79, v80
	v_mul_f32_e32 v80, v126, v200
	v_fmac_f32_e32 v136, v132, v205
	v_fma_f32 v80, v125, v199, -v80
	v_add_f32_e32 v139, v135, v136
	ds_read_b128 v[135:138], v78 offset:544
	v_add_f32_e32 v79, v79, v80
	v_mul_f32_e32 v80, v128, v202
	v_fma_f32 v80, v127, v201, -v80
	s_waitcnt vmcnt(16)
	v_mul_f32_e32 v140, v133, v208
	v_add_f32_e32 v79, v79, v80
	v_mul_f32_e32 v80, v130, v204
	v_fmac_f32_e32 v140, v134, v207
	v_fma_f32 v80, v129, v203, -v80
	v_add_f32_e32 v143, v139, v140
	ds_read_b128 v[139:142], v78 offset:560
	v_add_f32_e32 v79, v79, v80
	v_mul_f32_e32 v80, v132, v206
	s_waitcnt vmcnt(14) lgkmcnt(1)
	v_mul_f32_e32 v144, v135, v210
	v_fma_f32 v80, v131, v205, -v80
	v_fmac_f32_e32 v144, v136, v209
	v_add_f32_e32 v79, v79, v80
	v_mul_f32_e32 v80, v134, v208
	v_add_f32_e32 v143, v143, v144
	s_waitcnt vmcnt(13)
	v_mul_f32_e32 v144, v137, v211
	v_fma_f32 v80, v133, v207, -v80
	s_waitcnt vmcnt(12)
	v_fmac_f32_e32 v144, v138, v212
	v_add_f32_e32 v79, v79, v80
	v_mul_f32_e32 v80, v136, v210
	v_add_f32_e32 v143, v143, v144
	s_waitcnt vmcnt(10) lgkmcnt(0)
	v_mul_f32_e32 v144, v139, v214
	v_fma_f32 v80, v135, v209, -v80
	v_fmac_f32_e32 v144, v140, v213
	v_add_f32_e32 v79, v79, v80
	v_mul_f32_e32 v80, v138, v211
	v_add_f32_e32 v147, v143, v144
	ds_read_b128 v[143:146], v78 offset:576
	v_fma_f32 v80, v137, v212, -v80
	v_add_f32_e32 v79, v79, v80
	v_mul_f32_e32 v80, v140, v214
	s_waitcnt vmcnt(8)
	v_mul_f32_e32 v148, v141, v216
	v_fma_f32 v80, v139, v213, -v80
	v_fmac_f32_e32 v148, v142, v215
	v_add_f32_e32 v79, v79, v80
	v_mul_f32_e32 v80, v142, v216
	v_add_f32_e32 v225, v147, v148
	ds_read_b128 v[147:150], v78 offset:592
	v_fma_f32 v80, v141, v215, -v80
	v_add_f32_e32 v79, v79, v80
	s_waitcnt vmcnt(6) lgkmcnt(1)
	v_mul_f32_e32 v80, v144, v218
	v_mul_f32_e32 v78, v143, v218
	v_fma_f32 v80, v143, v217, -v80
	v_fmac_f32_e32 v78, v144, v217
	v_add_f32_e32 v79, v79, v80
	s_waitcnt vmcnt(5)
	v_mul_f32_e32 v80, v146, v219
	v_add_f32_e32 v78, v225, v78
	v_mul_f32_e32 v225, v145, v219
	s_waitcnt vmcnt(4)
	v_fma_f32 v80, v145, v220, -v80
	v_fmac_f32_e32 v225, v146, v220
	v_add_f32_e32 v79, v79, v80
	s_waitcnt vmcnt(2) lgkmcnt(0)
	v_mul_f32_e32 v80, v148, v222
	v_add_f32_e32 v78, v78, v225
	v_mul_f32_e32 v225, v147, v222
	v_fma_f32 v80, v147, v221, -v80
	v_fmac_f32_e32 v225, v148, v221
	v_add_f32_e32 v79, v79, v80
	s_waitcnt vmcnt(0)
	v_mul_f32_e32 v80, v150, v224
	v_add_f32_e32 v78, v78, v225
	v_mul_f32_e32 v225, v149, v224
	v_fma_f32 v80, v149, v223, -v80
	v_fmac_f32_e32 v225, v150, v223
	v_add_f32_e32 v79, v79, v80
	v_add_f32_e32 v78, v78, v225
	v_sub_f32_e32 v79, v173, v79
	v_sub_f32_e32 v78, v174, v78
	buffer_store_dword v79, off, s[0:3], 0 offset:8
	buffer_store_dword v78, off, s[0:3], 0 offset:12
	s_and_saveexec_b64 s[4:5], vcc
	s_cbranch_execz .LBB101_241
; %bb.240:
	buffer_load_dword v78, off, s[0:3], 0
	buffer_load_dword v79, off, s[0:3], 0 offset:4
	v_mov_b32_e32 v0, 0
	buffer_store_dword v0, off, s[0:3], 0
	buffer_store_dword v0, off, s[0:3], 0 offset:4
	s_waitcnt vmcnt(2)
	ds_write_b64 v77, v[78:79]
.LBB101_241:
	s_or_b64 exec, exec, s[4:5]
	s_waitcnt lgkmcnt(0)
	; wave barrier
	buffer_load_dword v151, off, s[0:3], 0 offset:12
	buffer_load_dword v152, off, s[0:3], 0 offset:20
	;; [unrolled: 1-line block ×22, first 2 shown]
	buffer_load_dword v173, off, s[0:3], 0
	buffer_load_dword v174, off, s[0:3], 0 offset:4
	buffer_load_dword v175, off, s[0:3], 0 offset:100
	;; [unrolled: 1-line block ×29, first 2 shown]
	v_mov_b32_e32 v0, 0
	ds_read2_b64 v[77:80], v0 offset0:39 offset1:40
	ds_read2_b64 v[81:84], v0 offset0:41 offset1:42
	;; [unrolled: 1-line block ×6, first 2 shown]
	buffer_load_dword v203, off, s[0:3], 0 offset:212
	buffer_load_dword v204, off, s[0:3], 0 offset:208
	;; [unrolled: 1-line block ×14, first 2 shown]
	s_and_b64 vcc, exec, s[14:15]
	s_waitcnt vmcnt(62) lgkmcnt(5)
	v_mul_f32_e32 v101, v77, v151
	v_mul_f32_e32 v102, v79, v152
	s_waitcnt lgkmcnt(4)
	v_mul_f32_e32 v103, v81, v153
	v_mul_f32_e32 v104, v83, v154
	s_waitcnt vmcnt(61) lgkmcnt(3)
	v_mul_f32_e32 v105, v85, v155
	s_waitcnt vmcnt(60)
	v_mul_f32_e32 v106, v87, v156
	s_waitcnt vmcnt(59) lgkmcnt(2)
	v_mul_f32_e32 v107, v89, v157
	s_waitcnt vmcnt(58)
	;; [unrolled: 4-line block ×3, first 2 shown]
	v_fmac_f32_e32 v101, v78, v160
	s_waitcnt vmcnt(55)
	v_fmac_f32_e32 v102, v80, v161
	v_add_f32_e32 v101, 0, v101
	s_waitcnt vmcnt(54)
	v_fmac_f32_e32 v103, v82, v162
	v_add_f32_e32 v101, v101, v102
	;; [unrolled: 3-line block ×8, first 2 shown]
	s_waitcnt vmcnt(47)
	v_mul_f32_e32 v102, v95, v169
	v_add_f32_e32 v101, v101, v109
	s_waitcnt vmcnt(46)
	v_fmac_f32_e32 v102, v96, v170
	v_add_f32_e32 v101, v101, v102
	s_waitcnt vmcnt(45) lgkmcnt(0)
	v_mul_f32_e32 v102, v97, v171
	s_waitcnt vmcnt(44)
	v_fmac_f32_e32 v102, v98, v172
	v_add_f32_e32 v105, v101, v102
	ds_read2_b64 v[101:104], v0 offset0:51 offset1:52
	buffer_load_dword v217, off, s[0:3], 0 offset:264
	buffer_load_dword v218, off, s[0:3], 0 offset:268
	s_waitcnt vmcnt(43)
	v_mul_f32_e32 v106, v99, v175
	s_waitcnt vmcnt(42)
	v_fmac_f32_e32 v106, v100, v176
	v_add_f32_e32 v109, v105, v106
	ds_read2_b64 v[105:108], v0 offset0:53 offset1:54
	buffer_load_dword v219, off, s[0:3], 0 offset:276
	buffer_load_dword v220, off, s[0:3], 0 offset:272
	;; [unrolled: 1-line block ×8, first 2 shown]
	v_mul_f32_e32 v78, v78, v151
	v_fma_f32 v77, v77, v160, -v78
	v_mul_f32_e32 v78, v80, v152
	v_add_f32_e32 v77, 0, v77
	v_fma_f32 v78, v79, v161, -v78
	v_add_f32_e32 v77, v77, v78
	v_mul_f32_e32 v78, v82, v153
	v_fma_f32 v78, v81, v162, -v78
	v_add_f32_e32 v77, v77, v78
	v_mul_f32_e32 v78, v84, v154
	v_fma_f32 v78, v83, v163, -v78
	s_waitcnt vmcnt(48) lgkmcnt(1)
	v_mul_f32_e32 v110, v101, v178
	v_add_f32_e32 v77, v77, v78
	v_mul_f32_e32 v78, v86, v155
	v_fmac_f32_e32 v110, v102, v177
	v_fma_f32 v78, v85, v164, -v78
	v_add_f32_e32 v109, v109, v110
	s_waitcnt vmcnt(46)
	v_mul_f32_e32 v110, v103, v180
	v_add_f32_e32 v77, v77, v78
	v_mul_f32_e32 v78, v88, v156
	v_fmac_f32_e32 v110, v104, v179
	v_fma_f32 v78, v87, v165, -v78
	v_add_f32_e32 v109, v109, v110
	s_waitcnt vmcnt(44) lgkmcnt(0)
	v_mul_f32_e32 v110, v105, v182
	v_add_f32_e32 v77, v77, v78
	v_mul_f32_e32 v78, v90, v157
	v_fmac_f32_e32 v110, v106, v181
	v_fma_f32 v78, v89, v166, -v78
	v_add_f32_e32 v113, v109, v110
	ds_read2_b64 v[109:112], v0 offset0:55 offset1:56
	v_add_f32_e32 v77, v77, v78
	v_mul_f32_e32 v78, v92, v158
	v_fma_f32 v78, v91, v167, -v78
	s_waitcnt vmcnt(42)
	v_mul_f32_e32 v114, v107, v184
	v_add_f32_e32 v77, v77, v78
	v_mul_f32_e32 v78, v94, v159
	v_fmac_f32_e32 v114, v108, v183
	v_fma_f32 v78, v93, v168, -v78
	v_add_f32_e32 v117, v113, v114
	ds_read2_b64 v[113:116], v0 offset0:57 offset1:58
	v_add_f32_e32 v77, v77, v78
	v_mul_f32_e32 v78, v96, v169
	s_waitcnt vmcnt(40) lgkmcnt(1)
	v_mul_f32_e32 v118, v109, v186
	v_fma_f32 v78, v95, v170, -v78
	v_fmac_f32_e32 v118, v110, v185
	v_add_f32_e32 v77, v77, v78
	v_mul_f32_e32 v78, v98, v171
	v_add_f32_e32 v117, v117, v118
	s_waitcnt vmcnt(38)
	v_mul_f32_e32 v118, v111, v188
	v_fma_f32 v78, v97, v172, -v78
	v_fmac_f32_e32 v118, v112, v187
	v_add_f32_e32 v77, v77, v78
	v_mul_f32_e32 v78, v100, v175
	v_add_f32_e32 v117, v117, v118
	s_waitcnt vmcnt(36) lgkmcnt(0)
	v_mul_f32_e32 v118, v113, v190
	v_fma_f32 v78, v99, v176, -v78
	v_fmac_f32_e32 v118, v114, v189
	v_add_f32_e32 v77, v77, v78
	v_mul_f32_e32 v78, v102, v178
	v_add_f32_e32 v121, v117, v118
	ds_read2_b64 v[117:120], v0 offset0:59 offset1:60
	v_fma_f32 v78, v101, v177, -v78
	v_add_f32_e32 v77, v77, v78
	v_mul_f32_e32 v78, v104, v180
	s_waitcnt vmcnt(34)
	v_mul_f32_e32 v122, v115, v192
	v_fma_f32 v78, v103, v179, -v78
	v_fmac_f32_e32 v122, v116, v191
	v_add_f32_e32 v77, v77, v78
	v_mul_f32_e32 v78, v106, v182
	v_add_f32_e32 v125, v121, v122
	ds_read2_b64 v[121:124], v0 offset0:61 offset1:62
	v_fma_f32 v78, v105, v181, -v78
	s_waitcnt vmcnt(32) lgkmcnt(1)
	v_mul_f32_e32 v126, v117, v194
	v_add_f32_e32 v77, v77, v78
	v_mul_f32_e32 v78, v108, v184
	v_fmac_f32_e32 v126, v118, v193
	v_fma_f32 v78, v107, v183, -v78
	v_add_f32_e32 v125, v125, v126
	s_waitcnt vmcnt(30)
	v_mul_f32_e32 v126, v119, v196
	v_add_f32_e32 v77, v77, v78
	v_mul_f32_e32 v78, v110, v186
	v_fmac_f32_e32 v126, v120, v195
	v_fma_f32 v78, v109, v185, -v78
	v_add_f32_e32 v125, v125, v126
	s_waitcnt vmcnt(28) lgkmcnt(0)
	v_mul_f32_e32 v126, v121, v198
	v_add_f32_e32 v77, v77, v78
	v_mul_f32_e32 v78, v112, v188
	v_fmac_f32_e32 v126, v122, v197
	v_fma_f32 v78, v111, v187, -v78
	v_add_f32_e32 v129, v125, v126
	ds_read2_b64 v[125:128], v0 offset0:63 offset1:64
	v_add_f32_e32 v77, v77, v78
	v_mul_f32_e32 v78, v114, v190
	v_fma_f32 v78, v113, v189, -v78
	s_waitcnt vmcnt(26)
	v_mul_f32_e32 v130, v123, v200
	v_add_f32_e32 v77, v77, v78
	v_mul_f32_e32 v78, v116, v192
	v_fmac_f32_e32 v130, v124, v199
	v_fma_f32 v78, v115, v191, -v78
	v_add_f32_e32 v133, v129, v130
	ds_read2_b64 v[129:132], v0 offset0:65 offset1:66
	v_add_f32_e32 v77, v77, v78
	v_mul_f32_e32 v78, v118, v194
	s_waitcnt vmcnt(24) lgkmcnt(1)
	v_mul_f32_e32 v134, v125, v202
	v_fma_f32 v78, v117, v193, -v78
	v_fmac_f32_e32 v134, v126, v201
	v_add_f32_e32 v77, v77, v78
	v_mul_f32_e32 v78, v120, v196
	v_add_f32_e32 v133, v133, v134
	s_waitcnt vmcnt(23)
	v_mul_f32_e32 v134, v127, v203
	v_fma_f32 v78, v119, v195, -v78
	s_waitcnt vmcnt(22)
	v_fmac_f32_e32 v134, v128, v204
	v_add_f32_e32 v77, v77, v78
	v_mul_f32_e32 v78, v122, v198
	v_add_f32_e32 v133, v133, v134
	s_waitcnt vmcnt(20) lgkmcnt(0)
	v_mul_f32_e32 v134, v129, v206
	v_fma_f32 v78, v121, v197, -v78
	v_fmac_f32_e32 v134, v130, v205
	v_add_f32_e32 v77, v77, v78
	v_mul_f32_e32 v78, v124, v200
	v_add_f32_e32 v137, v133, v134
	ds_read2_b64 v[133:136], v0 offset0:67 offset1:68
	v_fma_f32 v78, v123, v199, -v78
	v_add_f32_e32 v77, v77, v78
	v_mul_f32_e32 v78, v126, v202
	s_waitcnt vmcnt(18)
	v_mul_f32_e32 v138, v131, v208
	v_fma_f32 v78, v125, v201, -v78
	v_fmac_f32_e32 v138, v132, v207
	v_add_f32_e32 v77, v77, v78
	v_mul_f32_e32 v78, v128, v203
	v_add_f32_e32 v141, v137, v138
	ds_read2_b64 v[137:140], v0 offset0:69 offset1:70
	v_fma_f32 v78, v127, v204, -v78
	s_waitcnt vmcnt(16) lgkmcnt(1)
	v_mul_f32_e32 v142, v133, v210
	v_add_f32_e32 v77, v77, v78
	v_mul_f32_e32 v78, v130, v206
	v_fmac_f32_e32 v142, v134, v209
	v_fma_f32 v78, v129, v205, -v78
	v_add_f32_e32 v141, v141, v142
	s_waitcnt vmcnt(15)
	v_mul_f32_e32 v142, v135, v211
	v_add_f32_e32 v77, v77, v78
	v_mul_f32_e32 v78, v132, v208
	s_waitcnt vmcnt(14)
	v_fmac_f32_e32 v142, v136, v212
	v_fma_f32 v78, v131, v207, -v78
	v_add_f32_e32 v141, v141, v142
	s_waitcnt vmcnt(12) lgkmcnt(0)
	v_mul_f32_e32 v142, v137, v214
	v_add_f32_e32 v77, v77, v78
	v_mul_f32_e32 v78, v134, v210
	v_fmac_f32_e32 v142, v138, v213
	v_fma_f32 v78, v133, v209, -v78
	v_add_f32_e32 v145, v141, v142
	ds_read2_b64 v[141:144], v0 offset0:71 offset1:72
	v_add_f32_e32 v77, v77, v78
	v_mul_f32_e32 v78, v136, v211
	v_fma_f32 v78, v135, v212, -v78
	v_add_f32_e32 v77, v77, v78
	v_mul_f32_e32 v78, v138, v214
	s_waitcnt vmcnt(10)
	v_mul_f32_e32 v146, v139, v216
	v_fma_f32 v78, v137, v213, -v78
	v_fmac_f32_e32 v146, v140, v215
	v_add_f32_e32 v77, v77, v78
	v_mul_f32_e32 v78, v140, v216
	v_add_f32_e32 v149, v145, v146
	ds_read2_b64 v[145:148], v0 offset0:73 offset1:74
	s_waitcnt vmcnt(8) lgkmcnt(1)
	v_mul_f32_e32 v150, v141, v218
	v_fma_f32 v78, v139, v215, -v78
	v_fmac_f32_e32 v150, v142, v217
	v_add_f32_e32 v77, v77, v78
	v_mul_f32_e32 v78, v142, v218
	v_add_f32_e32 v149, v149, v150
	s_waitcnt vmcnt(7)
	v_mul_f32_e32 v150, v143, v219
	v_fma_f32 v78, v141, v217, -v78
	s_waitcnt vmcnt(6)
	v_fmac_f32_e32 v150, v144, v220
	v_add_f32_e32 v77, v77, v78
	v_mul_f32_e32 v78, v144, v219
	v_add_f32_e32 v227, v149, v150
	ds_read_b64 v[149:150], v0 offset:600
	v_fma_f32 v78, v143, v220, -v78
	v_add_f32_e32 v77, v77, v78
	s_waitcnt vmcnt(4) lgkmcnt(1)
	v_mul_f32_e32 v78, v146, v222
	v_mul_f32_e32 v228, v145, v222
	v_fma_f32 v78, v145, v221, -v78
	v_fmac_f32_e32 v228, v146, v221
	v_add_f32_e32 v77, v77, v78
	s_waitcnt vmcnt(3)
	v_mul_f32_e32 v78, v148, v223
	v_add_f32_e32 v227, v227, v228
	v_mul_f32_e32 v228, v147, v223
	s_waitcnt vmcnt(2)
	v_fma_f32 v78, v147, v224, -v78
	v_fmac_f32_e32 v228, v148, v224
	v_add_f32_e32 v77, v77, v78
	s_waitcnt vmcnt(0) lgkmcnt(0)
	v_mul_f32_e32 v78, v150, v226
	v_add_f32_e32 v227, v227, v228
	v_mul_f32_e32 v228, v149, v226
	v_fma_f32 v78, v149, v225, -v78
	v_fmac_f32_e32 v228, v150, v225
	v_add_f32_e32 v77, v77, v78
	v_add_f32_e32 v227, v227, v228
	v_sub_f32_e32 v77, v173, v77
	v_sub_f32_e32 v78, v174, v227
	buffer_store_dword v77, off, s[0:3], 0
	buffer_store_dword v78, off, s[0:3], 0 offset:4
	s_cbranch_vccz .LBB101_316
; %bb.242:
	global_load_dword v0, v0, s[12:13] offset:144
	s_waitcnt vmcnt(0)
	v_add_u32_e32 v0, -1, v0
	v_cmp_ne_u32_e32 vcc, 36, v0
	s_cbranch_vccz .LBB101_244
; %bb.243:
	v_lshlrev_b32_e32 v0, 3, v0
	buffer_load_dword v77, v0, s[0:3], 0 offen
	buffer_load_dword v78, v0, s[0:3], 0 offen offset:4
	buffer_load_dword v79, off, s[0:3], 0 offset:292
	buffer_load_dword v80, off, s[0:3], 0 offset:288
	s_waitcnt vmcnt(3)
	buffer_store_dword v77, off, s[0:3], 0 offset:288
	s_waitcnt vmcnt(3)
	buffer_store_dword v78, off, s[0:3], 0 offset:292
	s_waitcnt vmcnt(3)
	buffer_store_dword v79, v0, s[0:3], 0 offen offset:4
	s_waitcnt vmcnt(3)
	buffer_store_dword v80, v0, s[0:3], 0 offen
.LBB101_244:
	v_mov_b32_e32 v0, 0
	global_load_dword v77, v0, s[12:13] offset:140
	s_waitcnt vmcnt(0)
	v_add_u32_e32 v77, -1, v77
	v_cmp_eq_u32_e32 vcc, 35, v77
	s_cbranch_vccnz .LBB101_246
; %bb.245:
	v_lshlrev_b32_e32 v77, 3, v77
	buffer_load_dword v78, v77, s[0:3], 0 offen
	buffer_load_dword v79, v77, s[0:3], 0 offen offset:4
	buffer_load_dword v80, off, s[0:3], 0 offset:280
	buffer_load_dword v81, off, s[0:3], 0 offset:284
	s_waitcnt vmcnt(3)
	buffer_store_dword v78, off, s[0:3], 0 offset:280
	s_waitcnt vmcnt(3)
	buffer_store_dword v79, off, s[0:3], 0 offset:284
	s_waitcnt vmcnt(3)
	buffer_store_dword v80, v77, s[0:3], 0 offen
	s_waitcnt vmcnt(3)
	buffer_store_dword v81, v77, s[0:3], 0 offen offset:4
.LBB101_246:
	global_load_dword v0, v0, s[12:13] offset:136
	s_waitcnt vmcnt(0)
	v_add_u32_e32 v0, -1, v0
	v_cmp_eq_u32_e32 vcc, 34, v0
	s_cbranch_vccnz .LBB101_248
; %bb.247:
	v_lshlrev_b32_e32 v0, 3, v0
	buffer_load_dword v77, v0, s[0:3], 0 offen
	buffer_load_dword v78, v0, s[0:3], 0 offen offset:4
	buffer_load_dword v79, off, s[0:3], 0 offset:276
	buffer_load_dword v80, off, s[0:3], 0 offset:272
	s_waitcnt vmcnt(3)
	buffer_store_dword v77, off, s[0:3], 0 offset:272
	s_waitcnt vmcnt(3)
	buffer_store_dword v78, off, s[0:3], 0 offset:276
	s_waitcnt vmcnt(3)
	buffer_store_dword v79, v0, s[0:3], 0 offen offset:4
	s_waitcnt vmcnt(3)
	buffer_store_dword v80, v0, s[0:3], 0 offen
.LBB101_248:
	v_mov_b32_e32 v0, 0
	global_load_dword v77, v0, s[12:13] offset:132
	s_waitcnt vmcnt(0)
	v_add_u32_e32 v77, -1, v77
	v_cmp_eq_u32_e32 vcc, 33, v77
	s_cbranch_vccnz .LBB101_250
; %bb.249:
	v_lshlrev_b32_e32 v77, 3, v77
	buffer_load_dword v78, v77, s[0:3], 0 offen
	buffer_load_dword v79, v77, s[0:3], 0 offen offset:4
	buffer_load_dword v80, off, s[0:3], 0 offset:264
	buffer_load_dword v81, off, s[0:3], 0 offset:268
	s_waitcnt vmcnt(3)
	buffer_store_dword v78, off, s[0:3], 0 offset:264
	s_waitcnt vmcnt(3)
	buffer_store_dword v79, off, s[0:3], 0 offset:268
	s_waitcnt vmcnt(3)
	buffer_store_dword v80, v77, s[0:3], 0 offen
	s_waitcnt vmcnt(3)
	buffer_store_dword v81, v77, s[0:3], 0 offen offset:4
.LBB101_250:
	global_load_dword v0, v0, s[12:13] offset:128
	s_waitcnt vmcnt(0)
	v_add_u32_e32 v0, -1, v0
	v_cmp_eq_u32_e32 vcc, 32, v0
	s_cbranch_vccnz .LBB101_252
; %bb.251:
	v_lshlrev_b32_e32 v0, 3, v0
	buffer_load_dword v77, v0, s[0:3], 0 offen
	buffer_load_dword v78, v0, s[0:3], 0 offen offset:4
	buffer_load_dword v79, off, s[0:3], 0 offset:260
	buffer_load_dword v80, off, s[0:3], 0 offset:256
	s_waitcnt vmcnt(3)
	buffer_store_dword v77, off, s[0:3], 0 offset:256
	s_waitcnt vmcnt(3)
	buffer_store_dword v78, off, s[0:3], 0 offset:260
	s_waitcnt vmcnt(3)
	buffer_store_dword v79, v0, s[0:3], 0 offen offset:4
	s_waitcnt vmcnt(3)
	buffer_store_dword v80, v0, s[0:3], 0 offen
.LBB101_252:
	;; [unrolled: 41-line block ×17, first 2 shown]
	v_mov_b32_e32 v0, 0
	global_load_dword v77, v0, s[12:13] offset:4
	s_waitcnt vmcnt(0)
	v_add_u32_e32 v77, -1, v77
	v_cmp_eq_u32_e32 vcc, 1, v77
	s_cbranch_vccnz .LBB101_314
; %bb.313:
	v_lshlrev_b32_e32 v77, 3, v77
	buffer_load_dword v78, v77, s[0:3], 0 offen
	buffer_load_dword v79, v77, s[0:3], 0 offen offset:4
	buffer_load_dword v80, off, s[0:3], 0 offset:8
	buffer_load_dword v81, off, s[0:3], 0 offset:12
	s_waitcnt vmcnt(3)
	buffer_store_dword v78, off, s[0:3], 0 offset:8
	s_waitcnt vmcnt(3)
	buffer_store_dword v79, off, s[0:3], 0 offset:12
	s_waitcnt vmcnt(3)
	buffer_store_dword v80, v77, s[0:3], 0 offen
	s_waitcnt vmcnt(3)
	buffer_store_dword v81, v77, s[0:3], 0 offen offset:4
.LBB101_314:
	global_load_dword v0, v0, s[12:13]
	s_waitcnt vmcnt(0)
	v_add_u32_e32 v0, -1, v0
	v_cmp_eq_u32_e32 vcc, 0, v0
	s_cbranch_vccnz .LBB101_316
; %bb.315:
	v_lshlrev_b32_e32 v0, 3, v0
	buffer_load_dword v77, v0, s[0:3], 0 offen
	buffer_load_dword v78, v0, s[0:3], 0 offen offset:4
	buffer_load_dword v79, off, s[0:3], 0 offset:4
	buffer_load_dword v80, off, s[0:3], 0
	s_waitcnt vmcnt(3)
	buffer_store_dword v77, off, s[0:3], 0
	s_waitcnt vmcnt(3)
	buffer_store_dword v78, off, s[0:3], 0 offset:4
	s_waitcnt vmcnt(3)
	buffer_store_dword v79, v0, s[0:3], 0 offen offset:4
	s_waitcnt vmcnt(3)
	buffer_store_dword v80, v0, s[0:3], 0 offen
.LBB101_316:
	buffer_load_dword v77, off, s[0:3], 0
	buffer_load_dword v78, off, s[0:3], 0 offset:4
	s_waitcnt vmcnt(0)
	flat_store_dwordx2 v[1:2], v[77:78]
	buffer_load_dword v0, off, s[0:3], 0 offset:8
	s_nop 0
	buffer_load_dword v1, off, s[0:3], 0 offset:12
	s_waitcnt vmcnt(0)
	flat_store_dwordx2 v[3:4], v[0:1]
	buffer_load_dword v0, off, s[0:3], 0 offset:16
	s_nop 0
	;; [unrolled: 5-line block ×37, first 2 shown]
	buffer_load_dword v1, off, s[0:3], 0 offset:300
	s_waitcnt vmcnt(0)
	flat_store_dwordx2 v[75:76], v[0:1]
	s_endpgm
	.section	.rodata,"a",@progbits
	.p2align	6, 0x0
	.amdhsa_kernel _ZN9rocsolver6v33100L18getri_kernel_smallILi38E19rocblas_complex_numIfEPKPS3_EEvT1_iilPiilS8_bb
		.amdhsa_group_segment_fixed_size 612
		.amdhsa_private_segment_fixed_size 320
		.amdhsa_kernarg_size 60
		.amdhsa_user_sgpr_count 6
		.amdhsa_user_sgpr_private_segment_buffer 1
		.amdhsa_user_sgpr_dispatch_ptr 0
		.amdhsa_user_sgpr_queue_ptr 0
		.amdhsa_user_sgpr_kernarg_segment_ptr 1
		.amdhsa_user_sgpr_dispatch_id 0
		.amdhsa_user_sgpr_flat_scratch_init 0
		.amdhsa_user_sgpr_private_segment_size 0
		.amdhsa_uses_dynamic_stack 0
		.amdhsa_system_sgpr_private_segment_wavefront_offset 1
		.amdhsa_system_sgpr_workgroup_id_x 1
		.amdhsa_system_sgpr_workgroup_id_y 0
		.amdhsa_system_sgpr_workgroup_id_z 0
		.amdhsa_system_sgpr_workgroup_info 0
		.amdhsa_system_vgpr_workitem_id 0
		.amdhsa_next_free_vgpr 229
		.amdhsa_next_free_sgpr 21
		.amdhsa_reserve_vcc 1
		.amdhsa_reserve_flat_scratch 0
		.amdhsa_float_round_mode_32 0
		.amdhsa_float_round_mode_16_64 0
		.amdhsa_float_denorm_mode_32 3
		.amdhsa_float_denorm_mode_16_64 3
		.amdhsa_dx10_clamp 1
		.amdhsa_ieee_mode 1
		.amdhsa_fp16_overflow 0
		.amdhsa_exception_fp_ieee_invalid_op 0
		.amdhsa_exception_fp_denorm_src 0
		.amdhsa_exception_fp_ieee_div_zero 0
		.amdhsa_exception_fp_ieee_overflow 0
		.amdhsa_exception_fp_ieee_underflow 0
		.amdhsa_exception_fp_ieee_inexact 0
		.amdhsa_exception_int_div_zero 0
	.end_amdhsa_kernel
	.section	.text._ZN9rocsolver6v33100L18getri_kernel_smallILi38E19rocblas_complex_numIfEPKPS3_EEvT1_iilPiilS8_bb,"axG",@progbits,_ZN9rocsolver6v33100L18getri_kernel_smallILi38E19rocblas_complex_numIfEPKPS3_EEvT1_iilPiilS8_bb,comdat
.Lfunc_end101:
	.size	_ZN9rocsolver6v33100L18getri_kernel_smallILi38E19rocblas_complex_numIfEPKPS3_EEvT1_iilPiilS8_bb, .Lfunc_end101-_ZN9rocsolver6v33100L18getri_kernel_smallILi38E19rocblas_complex_numIfEPKPS3_EEvT1_iilPiilS8_bb
                                        ; -- End function
	.set _ZN9rocsolver6v33100L18getri_kernel_smallILi38E19rocblas_complex_numIfEPKPS3_EEvT1_iilPiilS8_bb.num_vgpr, 229
	.set _ZN9rocsolver6v33100L18getri_kernel_smallILi38E19rocblas_complex_numIfEPKPS3_EEvT1_iilPiilS8_bb.num_agpr, 0
	.set _ZN9rocsolver6v33100L18getri_kernel_smallILi38E19rocblas_complex_numIfEPKPS3_EEvT1_iilPiilS8_bb.numbered_sgpr, 21
	.set _ZN9rocsolver6v33100L18getri_kernel_smallILi38E19rocblas_complex_numIfEPKPS3_EEvT1_iilPiilS8_bb.num_named_barrier, 0
	.set _ZN9rocsolver6v33100L18getri_kernel_smallILi38E19rocblas_complex_numIfEPKPS3_EEvT1_iilPiilS8_bb.private_seg_size, 320
	.set _ZN9rocsolver6v33100L18getri_kernel_smallILi38E19rocblas_complex_numIfEPKPS3_EEvT1_iilPiilS8_bb.uses_vcc, 1
	.set _ZN9rocsolver6v33100L18getri_kernel_smallILi38E19rocblas_complex_numIfEPKPS3_EEvT1_iilPiilS8_bb.uses_flat_scratch, 0
	.set _ZN9rocsolver6v33100L18getri_kernel_smallILi38E19rocblas_complex_numIfEPKPS3_EEvT1_iilPiilS8_bb.has_dyn_sized_stack, 0
	.set _ZN9rocsolver6v33100L18getri_kernel_smallILi38E19rocblas_complex_numIfEPKPS3_EEvT1_iilPiilS8_bb.has_recursion, 0
	.set _ZN9rocsolver6v33100L18getri_kernel_smallILi38E19rocblas_complex_numIfEPKPS3_EEvT1_iilPiilS8_bb.has_indirect_call, 0
	.section	.AMDGPU.csdata,"",@progbits
; Kernel info:
; codeLenInByte = 58972
; TotalNumSgprs: 25
; NumVgprs: 229
; ScratchSize: 320
; MemoryBound: 0
; FloatMode: 240
; IeeeMode: 1
; LDSByteSize: 612 bytes/workgroup (compile time only)
; SGPRBlocks: 3
; VGPRBlocks: 57
; NumSGPRsForWavesPerEU: 25
; NumVGPRsForWavesPerEU: 229
; Occupancy: 1
; WaveLimiterHint : 1
; COMPUTE_PGM_RSRC2:SCRATCH_EN: 1
; COMPUTE_PGM_RSRC2:USER_SGPR: 6
; COMPUTE_PGM_RSRC2:TRAP_HANDLER: 0
; COMPUTE_PGM_RSRC2:TGID_X_EN: 1
; COMPUTE_PGM_RSRC2:TGID_Y_EN: 0
; COMPUTE_PGM_RSRC2:TGID_Z_EN: 0
; COMPUTE_PGM_RSRC2:TIDIG_COMP_CNT: 0
	.section	.text._ZN9rocsolver6v33100L18getri_kernel_smallILi39E19rocblas_complex_numIfEPKPS3_EEvT1_iilPiilS8_bb,"axG",@progbits,_ZN9rocsolver6v33100L18getri_kernel_smallILi39E19rocblas_complex_numIfEPKPS3_EEvT1_iilPiilS8_bb,comdat
	.globl	_ZN9rocsolver6v33100L18getri_kernel_smallILi39E19rocblas_complex_numIfEPKPS3_EEvT1_iilPiilS8_bb ; -- Begin function _ZN9rocsolver6v33100L18getri_kernel_smallILi39E19rocblas_complex_numIfEPKPS3_EEvT1_iilPiilS8_bb
	.p2align	8
	.type	_ZN9rocsolver6v33100L18getri_kernel_smallILi39E19rocblas_complex_numIfEPKPS3_EEvT1_iilPiilS8_bb,@function
_ZN9rocsolver6v33100L18getri_kernel_smallILi39E19rocblas_complex_numIfEPKPS3_EEvT1_iilPiilS8_bb: ; @_ZN9rocsolver6v33100L18getri_kernel_smallILi39E19rocblas_complex_numIfEPKPS3_EEvT1_iilPiilS8_bb
; %bb.0:
	s_add_u32 s0, s0, s7
	s_addc_u32 s1, s1, 0
	v_cmp_gt_u32_e32 vcc, 39, v0
	s_and_saveexec_b64 s[8:9], vcc
	s_cbranch_execz .LBB102_170
; %bb.1:
	s_load_dword s18, s[4:5], 0x38
	s_load_dwordx2 s[12:13], s[4:5], 0x0
	s_load_dwordx4 s[8:11], s[4:5], 0x28
	s_waitcnt lgkmcnt(0)
	s_bitcmp1_b32 s18, 8
	s_cselect_b64 s[14:15], -1, 0
	s_ashr_i32 s7, s6, 31
	s_lshl_b64 s[16:17], s[6:7], 3
	s_add_u32 s12, s12, s16
	s_addc_u32 s13, s13, s17
	s_load_dwordx2 s[16:17], s[12:13], 0x0
	s_bfe_u32 s12, s18, 0x10008
	s_cmp_eq_u32 s12, 0
                                        ; implicit-def: $sgpr12_sgpr13
	s_cbranch_scc1 .LBB102_3
; %bb.2:
	s_load_dword s12, s[4:5], 0x20
	s_load_dwordx2 s[18:19], s[4:5], 0x18
	s_mul_i32 s13, s8, s7
	s_mul_hi_u32 s20, s8, s6
	s_add_i32 s20, s20, s13
	s_mul_i32 s9, s9, s6
	s_add_i32 s9, s20, s9
	s_mul_i32 s8, s8, s6
	s_waitcnt lgkmcnt(0)
	s_ashr_i32 s13, s12, 31
	s_lshl_b64 s[8:9], s[8:9], 2
	s_add_u32 s18, s18, s8
	s_addc_u32 s19, s19, s9
	s_lshl_b64 s[8:9], s[12:13], 2
	s_add_u32 s12, s18, s8
	s_addc_u32 s13, s19, s9
.LBB102_3:
	s_load_dwordx2 s[8:9], s[4:5], 0x8
	s_load_dword s18, s[4:5], 0x38
	v_lshlrev_b32_e32 v81, 3, v0
	s_waitcnt lgkmcnt(0)
	s_ashr_i32 s5, s8, 31
	s_mov_b32 s4, s8
	s_lshl_b64 s[4:5], s[4:5], 3
	s_add_u32 s4, s16, s4
	s_addc_u32 s5, s17, s5
	v_mov_b32_e32 v2, s5
	v_add_co_u32_e32 v1, vcc, s4, v81
	v_addc_co_u32_e32 v2, vcc, 0, v2, vcc
	flat_load_dwordx2 v[5:6], v[1:2]
	s_mov_b32 s16, s9
	s_ashr_i32 s17, s9, 31
	s_lshl_b64 s[16:17], s[16:17], 3
	v_mov_b32_e32 v4, s17
	v_add_co_u32_e32 v3, vcc, s16, v1
	v_addc_co_u32_e32 v4, vcc, v2, v4, vcc
	s_add_i32 s8, s9, s9
	v_add_u32_e32 v9, s8, v0
	v_ashrrev_i32_e32 v10, 31, v9
	v_mov_b32_e32 v11, s5
	v_add_u32_e32 v12, s9, v9
	v_ashrrev_i32_e32 v13, 31, v12
	v_mov_b32_e32 v14, s5
	v_mov_b32_e32 v15, s5
	;; [unrolled: 1-line block ×35, first 2 shown]
	s_bitcmp0_b32 s18, 0
	s_waitcnt vmcnt(0) lgkmcnt(0)
	buffer_store_dword v6, off, s[0:3], 0 offset:4
	buffer_store_dword v5, off, s[0:3], 0
	flat_load_dwordx2 v[7:8], v[3:4]
	v_lshlrev_b64 v[5:6], 3, v[9:10]
	s_waitcnt vmcnt(0) lgkmcnt(0)
	buffer_store_dword v8, off, s[0:3], 0 offset:12
	buffer_store_dword v7, off, s[0:3], 0 offset:8
	v_add_co_u32_e32 v5, vcc, s4, v5
	v_addc_co_u32_e32 v6, vcc, v11, v6, vcc
	flat_load_dwordx2 v[10:11], v[5:6]
	v_lshlrev_b64 v[7:8], 3, v[12:13]
	s_waitcnt vmcnt(0) lgkmcnt(0)
	buffer_store_dword v11, off, s[0:3], 0 offset:20
	buffer_store_dword v10, off, s[0:3], 0 offset:16
	v_add_co_u32_e32 v7, vcc, s4, v7
	v_addc_co_u32_e32 v8, vcc, v14, v8, vcc
	flat_load_dwordx2 v[13:14], v[7:8]
	v_add_u32_e32 v11, s9, v12
	v_ashrrev_i32_e32 v12, 31, v11
	v_lshlrev_b64 v[9:10], 3, v[11:12]
	s_waitcnt vmcnt(0) lgkmcnt(0)
	buffer_store_dword v14, off, s[0:3], 0 offset:28
	buffer_store_dword v13, off, s[0:3], 0 offset:24
	v_add_co_u32_e32 v9, vcc, s4, v9
	v_addc_co_u32_e32 v10, vcc, v15, v10, vcc
	flat_load_dwordx2 v[13:14], v[9:10]
	v_add_u32_e32 v15, s9, v11
	v_ashrrev_i32_e32 v16, 31, v15
	v_lshlrev_b64 v[11:12], 3, v[15:16]
	v_add_u32_e32 v18, s9, v15
	v_add_co_u32_e32 v11, vcc, s4, v11
	v_addc_co_u32_e32 v12, vcc, v17, v12, vcc
	v_ashrrev_i32_e32 v19, 31, v18
	s_waitcnt vmcnt(0) lgkmcnt(0)
	buffer_store_dword v14, off, s[0:3], 0 offset:36
	buffer_store_dword v13, off, s[0:3], 0 offset:32
	flat_load_dwordx2 v[16:17], v[11:12]
	v_lshlrev_b64 v[13:14], 3, v[18:19]
	s_waitcnt vmcnt(0) lgkmcnt(0)
	buffer_store_dword v17, off, s[0:3], 0 offset:44
	buffer_store_dword v16, off, s[0:3], 0 offset:40
	v_add_co_u32_e32 v13, vcc, s4, v13
	v_addc_co_u32_e32 v14, vcc, v20, v14, vcc
	flat_load_dwordx2 v[19:20], v[13:14]
	v_add_u32_e32 v17, s9, v18
	v_ashrrev_i32_e32 v18, 31, v17
	v_lshlrev_b64 v[15:16], 3, v[17:18]
	s_waitcnt vmcnt(0) lgkmcnt(0)
	buffer_store_dword v20, off, s[0:3], 0 offset:52
	buffer_store_dword v19, off, s[0:3], 0 offset:48
	v_add_co_u32_e32 v15, vcc, s4, v15
	v_addc_co_u32_e32 v16, vcc, v21, v16, vcc
	flat_load_dwordx2 v[19:20], v[15:16]
	v_add_u32_e32 v21, s9, v17
	v_ashrrev_i32_e32 v22, 31, v21
	v_lshlrev_b64 v[17:18], 3, v[21:22]
	v_add_u32_e32 v24, s9, v21
	v_add_co_u32_e32 v17, vcc, s4, v17
	v_addc_co_u32_e32 v18, vcc, v23, v18, vcc
	v_ashrrev_i32_e32 v25, 31, v24
	s_waitcnt vmcnt(0) lgkmcnt(0)
	buffer_store_dword v20, off, s[0:3], 0 offset:60
	buffer_store_dword v19, off, s[0:3], 0 offset:56
	;; [unrolled: 27-line block ×7, first 2 shown]
	flat_load_dwordx2 v[52:53], v[47:48]
	v_lshlrev_b64 v[49:50], 3, v[54:55]
	s_waitcnt vmcnt(0) lgkmcnt(0)
	buffer_store_dword v53, off, s[0:3], 0 offset:188
	buffer_store_dword v52, off, s[0:3], 0 offset:184
	v_add_co_u32_e32 v49, vcc, s4, v49
	v_addc_co_u32_e32 v50, vcc, v56, v50, vcc
	flat_load_dwordx2 v[55:56], v[49:50]
	v_add_u32_e32 v53, s9, v54
	v_ashrrev_i32_e32 v54, 31, v53
	v_lshlrev_b64 v[51:52], 3, v[53:54]
	s_waitcnt vmcnt(0) lgkmcnt(0)
	buffer_store_dword v56, off, s[0:3], 0 offset:196
	buffer_store_dword v55, off, s[0:3], 0 offset:192
	v_add_co_u32_e32 v51, vcc, s4, v51
	v_addc_co_u32_e32 v52, vcc, v57, v52, vcc
	flat_load_dwordx2 v[55:56], v[51:52]
	v_add_u32_e32 v57, s9, v53
	v_ashrrev_i32_e32 v58, 31, v57
	v_lshlrev_b64 v[53:54], 3, v[57:58]
	v_add_u32_e32 v60, s9, v57
	v_add_co_u32_e32 v53, vcc, s4, v53
	v_addc_co_u32_e32 v54, vcc, v59, v54, vcc
	s_waitcnt vmcnt(0) lgkmcnt(0)
	buffer_store_dword v56, off, s[0:3], 0 offset:204
	buffer_store_dword v55, off, s[0:3], 0 offset:200
	flat_load_dwordx2 v[58:59], v[53:54]
	v_ashrrev_i32_e32 v61, 31, v60
	v_lshlrev_b64 v[55:56], 3, v[60:61]
	s_waitcnt vmcnt(0) lgkmcnt(0)
	buffer_store_dword v59, off, s[0:3], 0 offset:212
	buffer_store_dword v58, off, s[0:3], 0 offset:208
	v_add_co_u32_e32 v55, vcc, s4, v55
	v_addc_co_u32_e32 v56, vcc, v62, v56, vcc
	flat_load_dwordx2 v[61:62], v[55:56]
	v_add_u32_e32 v59, s9, v60
	v_ashrrev_i32_e32 v60, 31, v59
	v_lshlrev_b64 v[57:58], 3, v[59:60]
	s_waitcnt vmcnt(0) lgkmcnt(0)
	buffer_store_dword v62, off, s[0:3], 0 offset:220
	buffer_store_dword v61, off, s[0:3], 0 offset:216
	v_add_co_u32_e32 v57, vcc, s4, v57
	v_addc_co_u32_e32 v58, vcc, v63, v58, vcc
	flat_load_dwordx2 v[61:62], v[57:58]
	v_add_u32_e32 v63, s9, v59
	;; [unrolled: 9-line block ×11, first 2 shown]
	v_ashrrev_i32_e32 v78, 31, v77
	v_lshlrev_b64 v[77:78], 3, v[77:78]
	s_waitcnt vmcnt(0) lgkmcnt(0)
	buffer_store_dword v80, off, s[0:3], 0 offset:300
	buffer_store_dword v79, off, s[0:3], 0 offset:296
	v_add_co_u32_e32 v77, vcc, s4, v77
	v_addc_co_u32_e32 v78, vcc, v82, v78, vcc
	flat_load_dwordx2 v[79:80], v[77:78]
	s_mov_b64 s[8:9], -1
	s_waitcnt vmcnt(0) lgkmcnt(0)
	buffer_store_dword v80, off, s[0:3], 0 offset:308
	buffer_store_dword v79, off, s[0:3], 0 offset:304
	s_cbranch_scc1 .LBB102_168
; %bb.4:
	v_cmp_eq_u32_e64 s[4:5], 0, v0
	s_and_saveexec_b64 s[8:9], s[4:5]
; %bb.5:
	v_mov_b32_e32 v79, 0
	ds_write_b32 v79, v79 offset:312
; %bb.6:
	s_or_b64 exec, exec, s[8:9]
	v_mov_b32_e32 v79, 0
	v_lshl_add_u32 v83, v0, 3, v79
	s_waitcnt lgkmcnt(0)
	; wave barrier
	buffer_load_dword v79, v83, s[0:3], 0 offen
	buffer_load_dword v80, v83, s[0:3], 0 offen offset:4
	s_waitcnt vmcnt(1)
	v_cmp_eq_f32_e32 vcc, 0, v79
	s_waitcnt vmcnt(0)
	v_cmp_eq_f32_e64 s[8:9], 0, v80
	s_and_b64 s[8:9], vcc, s[8:9]
	s_and_saveexec_b64 s[16:17], s[8:9]
	s_cbranch_execz .LBB102_10
; %bb.7:
	v_mov_b32_e32 v79, 0
	ds_read_b32 v82, v79 offset:312
	v_add_u32_e32 v80, 1, v0
	s_waitcnt lgkmcnt(0)
	v_readfirstlane_b32 s8, v82
	s_cmp_eq_u32 s8, 0
	s_cselect_b64 s[18:19], -1, 0
	v_cmp_gt_i32_e32 vcc, s8, v80
	s_or_b64 s[18:19], s[18:19], vcc
	s_and_b64 exec, exec, s[18:19]
	s_cbranch_execz .LBB102_10
; %bb.8:
	s_mov_b64 s[18:19], 0
	v_mov_b32_e32 v82, s8
.LBB102_9:                              ; =>This Inner Loop Header: Depth=1
	ds_cmpst_rtn_b32 v82, v79, v82, v80 offset:312
	s_waitcnt lgkmcnt(0)
	v_cmp_ne_u32_e32 vcc, 0, v82
	v_cmp_le_i32_e64 s[8:9], v82, v80
	s_and_b64 s[8:9], vcc, s[8:9]
	s_and_b64 s[8:9], exec, s[8:9]
	s_or_b64 s[18:19], s[8:9], s[18:19]
	s_andn2_b64 exec, exec, s[18:19]
	s_cbranch_execnz .LBB102_9
.LBB102_10:
	s_or_b64 exec, exec, s[16:17]
	v_mov_b32_e32 v80, 0
	; wave barrier
	ds_read_b32 v79, v80 offset:312
	s_and_saveexec_b64 s[8:9], s[4:5]
	s_cbranch_execz .LBB102_12
; %bb.11:
	s_lshl_b64 s[16:17], s[6:7], 2
	s_add_u32 s16, s10, s16
	s_addc_u32 s17, s11, s17
	s_waitcnt lgkmcnt(0)
	global_store_dword v80, v79, s[16:17]
.LBB102_12:
	s_or_b64 exec, exec, s[8:9]
	s_waitcnt lgkmcnt(0)
	v_cmp_ne_u32_e32 vcc, 0, v79
	s_mov_b64 s[8:9], 0
	s_cbranch_vccnz .LBB102_168
; %bb.13:
	buffer_load_dword v80, v83, s[0:3], 0 offen
	buffer_load_dword v82, v83, s[0:3], 0 offen offset:4
                                        ; implicit-def: $vgpr85
                                        ; implicit-def: $vgpr84
                                        ; implicit-def: $vgpr79
	s_waitcnt vmcnt(0)
	v_cmp_ngt_f32_e64 s[8:9], |v80|, |v82|
	s_and_saveexec_b64 s[16:17], s[8:9]
	s_xor_b64 s[8:9], exec, s[16:17]
	s_cbranch_execz .LBB102_15
; %bb.14:
	v_div_scale_f32 v79, s[16:17], v82, v82, v80
	v_div_scale_f32 v84, vcc, v80, v82, v80
	v_rcp_f32_e32 v85, v79
	v_fma_f32 v86, -v79, v85, 1.0
	v_fmac_f32_e32 v85, v86, v85
	v_mul_f32_e32 v86, v84, v85
	v_fma_f32 v87, -v79, v86, v84
	v_fmac_f32_e32 v86, v87, v85
	v_fma_f32 v79, -v79, v86, v84
	v_div_fmas_f32 v79, v79, v85, v86
	v_div_fixup_f32 v79, v79, v82, v80
	v_fmac_f32_e32 v82, v80, v79
	v_div_scale_f32 v80, s[16:17], v82, v82, 1.0
	v_div_scale_f32 v84, vcc, 1.0, v82, 1.0
	v_rcp_f32_e32 v85, v80
	v_fma_f32 v86, -v80, v85, 1.0
	v_fmac_f32_e32 v85, v86, v85
	v_mul_f32_e32 v86, v84, v85
	v_fma_f32 v87, -v80, v86, v84
	v_fmac_f32_e32 v86, v87, v85
	v_fma_f32 v80, -v80, v86, v84
	v_div_fmas_f32 v80, v80, v85, v86
	v_div_fixup_f32 v80, v80, v82, 1.0
	v_mul_f32_e32 v85, v79, v80
	v_xor_b32_e32 v84, 0x80000000, v80
	v_xor_b32_e32 v79, 0x80000000, v85
                                        ; implicit-def: $vgpr80
                                        ; implicit-def: $vgpr82
.LBB102_15:
	s_andn2_saveexec_b64 s[8:9], s[8:9]
	s_cbranch_execz .LBB102_17
; %bb.16:
	v_div_scale_f32 v79, s[16:17], v80, v80, v82
	v_div_scale_f32 v84, vcc, v82, v80, v82
	v_rcp_f32_e32 v85, v79
	v_fma_f32 v86, -v79, v85, 1.0
	v_fmac_f32_e32 v85, v86, v85
	v_mul_f32_e32 v86, v84, v85
	v_fma_f32 v87, -v79, v86, v84
	v_fmac_f32_e32 v86, v87, v85
	v_fma_f32 v79, -v79, v86, v84
	v_div_fmas_f32 v79, v79, v85, v86
	v_div_fixup_f32 v84, v79, v80, v82
	v_fmac_f32_e32 v80, v82, v84
	v_div_scale_f32 v79, s[16:17], v80, v80, 1.0
	v_div_scale_f32 v82, vcc, 1.0, v80, 1.0
	v_rcp_f32_e32 v85, v79
	v_fma_f32 v86, -v79, v85, 1.0
	v_fmac_f32_e32 v85, v86, v85
	v_mul_f32_e32 v86, v82, v85
	v_fma_f32 v87, -v79, v86, v82
	v_fmac_f32_e32 v86, v87, v85
	v_fma_f32 v79, -v79, v86, v82
	v_div_fmas_f32 v79, v79, v85, v86
	v_div_fixup_f32 v85, v79, v80, 1.0
	v_xor_b32_e32 v79, 0x80000000, v85
	v_mul_f32_e64 v84, v84, -v85
.LBB102_17:
	s_or_b64 exec, exec, s[8:9]
	buffer_store_dword v85, v83, s[0:3], 0 offen
	buffer_store_dword v84, v83, s[0:3], 0 offen offset:4
	buffer_load_dword v86, off, s[0:3], 0 offset:12
	s_nop 0
	buffer_load_dword v85, off, s[0:3], 0 offset:8
	v_xor_b32_e32 v80, 0x80000000, v84
	v_add_u32_e32 v82, 0x140, v81
	s_waitcnt vmcnt(0)
	ds_write2_b64 v81, v[79:80], v[85:86] offset1:40
	s_waitcnt lgkmcnt(0)
	; wave barrier
	s_and_saveexec_b64 s[8:9], s[4:5]
	s_cbranch_execz .LBB102_19
; %bb.18:
	buffer_load_dword v86, v83, s[0:3], 0 offen offset:4
	buffer_load_dword v87, v83, s[0:3], 0 offen
	ds_read_b64 v[79:80], v82
	v_mov_b32_e32 v84, 0
	ds_read_b64 v[84:85], v84 offset:8
	s_waitcnt vmcnt(1) lgkmcnt(1)
	v_mul_f32_e32 v88, v80, v86
	v_mul_f32_e32 v86, v79, v86
	s_waitcnt vmcnt(0)
	v_fmac_f32_e32 v86, v80, v87
	v_fma_f32 v79, v79, v87, -v88
	v_add_f32_e32 v80, 0, v86
	v_add_f32_e32 v79, 0, v79
	s_waitcnt lgkmcnt(0)
	v_mul_f32_e32 v86, v80, v85
	v_mul_f32_e32 v85, v79, v85
	v_fma_f32 v79, v79, v84, -v86
	v_fmac_f32_e32 v85, v80, v84
	buffer_store_dword v79, off, s[0:3], 0 offset:8
	buffer_store_dword v85, off, s[0:3], 0 offset:12
.LBB102_19:
	s_or_b64 exec, exec, s[8:9]
	; wave barrier
	buffer_load_dword v79, off, s[0:3], 0 offset:16
	buffer_load_dword v80, off, s[0:3], 0 offset:20
	v_cmp_gt_u32_e32 vcc, 2, v0
	s_waitcnt vmcnt(0)
	ds_write_b64 v82, v[79:80]
	s_waitcnt lgkmcnt(0)
	; wave barrier
	s_and_saveexec_b64 s[8:9], vcc
	s_cbranch_execz .LBB102_23
; %bb.20:
	buffer_load_dword v84, v83, s[0:3], 0 offen offset:4
	buffer_load_dword v85, v83, s[0:3], 0 offen
	ds_read_b64 v[79:80], v82
	s_waitcnt vmcnt(1) lgkmcnt(0)
	v_mul_f32_e32 v83, v80, v84
	v_mul_f32_e32 v84, v79, v84
	s_waitcnt vmcnt(0)
	v_fma_f32 v79, v79, v85, -v83
	v_fmac_f32_e32 v84, v80, v85
	v_add_f32_e32 v80, 0, v79
	v_add_f32_e32 v79, 0, v84
	s_and_saveexec_b64 s[16:17], s[4:5]
	s_cbranch_execz .LBB102_22
; %bb.21:
	buffer_load_dword v85, off, s[0:3], 0 offset:12
	buffer_load_dword v86, off, s[0:3], 0 offset:8
	v_mov_b32_e32 v83, 0
	ds_read_b64 v[83:84], v83 offset:328
	s_waitcnt vmcnt(1) lgkmcnt(0)
	v_mul_f32_e32 v87, v83, v85
	v_mul_f32_e32 v85, v84, v85
	s_waitcnt vmcnt(0)
	v_fmac_f32_e32 v87, v84, v86
	v_fma_f32 v83, v83, v86, -v85
	v_add_f32_e32 v79, v79, v87
	v_add_f32_e32 v80, v80, v83
.LBB102_22:
	s_or_b64 exec, exec, s[16:17]
	v_mov_b32_e32 v83, 0
	ds_read_b64 v[83:84], v83 offset:16
	s_waitcnt lgkmcnt(0)
	v_mul_f32_e32 v85, v79, v84
	v_mul_f32_e32 v84, v80, v84
	v_fma_f32 v80, v80, v83, -v85
	v_fmac_f32_e32 v84, v79, v83
	buffer_store_dword v80, off, s[0:3], 0 offset:16
	buffer_store_dword v84, off, s[0:3], 0 offset:20
.LBB102_23:
	s_or_b64 exec, exec, s[8:9]
	; wave barrier
	buffer_load_dword v79, off, s[0:3], 0 offset:24
	buffer_load_dword v80, off, s[0:3], 0 offset:28
	v_cmp_gt_u32_e32 vcc, 3, v0
	s_waitcnt vmcnt(0)
	ds_write_b64 v82, v[79:80]
	v_add_u32_e32 v79, -1, v0
	s_waitcnt lgkmcnt(0)
	; wave barrier
	s_and_saveexec_b64 s[4:5], vcc
	s_cbranch_execz .LBB102_27
; %bb.24:
	v_add_u32_e32 v83, -1, v0
	v_add_u32_e32 v84, 0x140, v81
	v_mov_b32_e32 v85, v81
	v_mov_b32_e32 v80, 0
	s_mov_b64 s[8:9], 0
	v_mov_b32_e32 v86, 0
.LBB102_25:                             ; =>This Inner Loop Header: Depth=1
	buffer_load_dword v89, v85, s[0:3], 0 offen offset:4
	buffer_load_dword v90, v85, s[0:3], 0 offen
	ds_read_b64 v[87:88], v84
	v_add_u32_e32 v83, 1, v83
	v_cmp_lt_u32_e32 vcc, 1, v83
	v_add_u32_e32 v84, 8, v84
	v_add_u32_e32 v85, 8, v85
	s_or_b64 s[8:9], vcc, s[8:9]
	s_waitcnt vmcnt(1) lgkmcnt(0)
	v_mul_f32_e32 v91, v88, v89
	v_mul_f32_e32 v89, v87, v89
	s_waitcnt vmcnt(0)
	v_fma_f32 v87, v87, v90, -v91
	v_fmac_f32_e32 v89, v88, v90
	v_add_f32_e32 v86, v86, v87
	v_add_f32_e32 v80, v80, v89
	s_andn2_b64 exec, exec, s[8:9]
	s_cbranch_execnz .LBB102_25
; %bb.26:
	s_or_b64 exec, exec, s[8:9]
	v_mov_b32_e32 v83, 0
	ds_read_b64 v[83:84], v83 offset:24
	s_waitcnt lgkmcnt(0)
	v_mul_f32_e32 v85, v80, v84
	v_mul_f32_e32 v84, v86, v84
	v_fma_f32 v85, v86, v83, -v85
	v_fmac_f32_e32 v84, v80, v83
	buffer_store_dword v85, off, s[0:3], 0 offset:24
	buffer_store_dword v84, off, s[0:3], 0 offset:28
.LBB102_27:
	s_or_b64 exec, exec, s[4:5]
	; wave barrier
	buffer_load_dword v83, off, s[0:3], 0 offset:32
	buffer_load_dword v84, off, s[0:3], 0 offset:36
	v_cmp_gt_u32_e32 vcc, 4, v0
	s_waitcnt vmcnt(0)
	ds_write_b64 v82, v[83:84]
	s_waitcnt lgkmcnt(0)
	; wave barrier
	s_and_saveexec_b64 s[4:5], vcc
	s_cbranch_execz .LBB102_31
; %bb.28:
	v_add_u32_e32 v83, -1, v0
	v_add_u32_e32 v84, 0x140, v81
	v_mov_b32_e32 v85, v81
	v_mov_b32_e32 v80, 0
	s_mov_b64 s[8:9], 0
	v_mov_b32_e32 v86, 0
.LBB102_29:                             ; =>This Inner Loop Header: Depth=1
	buffer_load_dword v89, v85, s[0:3], 0 offen offset:4
	buffer_load_dword v90, v85, s[0:3], 0 offen
	ds_read_b64 v[87:88], v84
	v_add_u32_e32 v83, 1, v83
	v_cmp_lt_u32_e32 vcc, 2, v83
	v_add_u32_e32 v84, 8, v84
	v_add_u32_e32 v85, 8, v85
	s_or_b64 s[8:9], vcc, s[8:9]
	s_waitcnt vmcnt(1) lgkmcnt(0)
	v_mul_f32_e32 v91, v88, v89
	v_mul_f32_e32 v89, v87, v89
	s_waitcnt vmcnt(0)
	v_fma_f32 v87, v87, v90, -v91
	v_fmac_f32_e32 v89, v88, v90
	v_add_f32_e32 v86, v86, v87
	v_add_f32_e32 v80, v80, v89
	s_andn2_b64 exec, exec, s[8:9]
	s_cbranch_execnz .LBB102_29
; %bb.30:
	s_or_b64 exec, exec, s[8:9]
	v_mov_b32_e32 v83, 0
	ds_read_b64 v[83:84], v83 offset:32
	s_waitcnt lgkmcnt(0)
	v_mul_f32_e32 v85, v80, v84
	v_mul_f32_e32 v84, v86, v84
	v_fma_f32 v85, v86, v83, -v85
	v_fmac_f32_e32 v84, v80, v83
	buffer_store_dword v85, off, s[0:3], 0 offset:32
	buffer_store_dword v84, off, s[0:3], 0 offset:36
.LBB102_31:
	s_or_b64 exec, exec, s[4:5]
	; wave barrier
	buffer_load_dword v83, off, s[0:3], 0 offset:40
	buffer_load_dword v84, off, s[0:3], 0 offset:44
	v_cmp_gt_u32_e32 vcc, 5, v0
	s_waitcnt vmcnt(0)
	ds_write_b64 v82, v[83:84]
	;; [unrolled: 49-line block ×19, first 2 shown]
	s_waitcnt lgkmcnt(0)
	; wave barrier
	s_and_saveexec_b64 s[4:5], vcc
	s_cbranch_execz .LBB102_103
; %bb.100:
	v_add_u32_e32 v83, -1, v0
	v_add_u32_e32 v84, 0x140, v81
	v_mov_b32_e32 v85, v81
	v_mov_b32_e32 v80, 0
	s_mov_b64 s[8:9], 0
	v_mov_b32_e32 v86, 0
.LBB102_101:                            ; =>This Inner Loop Header: Depth=1
	buffer_load_dword v89, v85, s[0:3], 0 offen offset:4
	buffer_load_dword v90, v85, s[0:3], 0 offen
	ds_read_b64 v[87:88], v84
	v_add_u32_e32 v83, 1, v83
	v_cmp_lt_u32_e32 vcc, 20, v83
	v_add_u32_e32 v84, 8, v84
	v_add_u32_e32 v85, 8, v85
	s_or_b64 s[8:9], vcc, s[8:9]
	s_waitcnt vmcnt(1) lgkmcnt(0)
	v_mul_f32_e32 v91, v88, v89
	v_mul_f32_e32 v89, v87, v89
	s_waitcnt vmcnt(0)
	v_fma_f32 v87, v87, v90, -v91
	v_fmac_f32_e32 v89, v88, v90
	v_add_f32_e32 v86, v86, v87
	v_add_f32_e32 v80, v80, v89
	s_andn2_b64 exec, exec, s[8:9]
	s_cbranch_execnz .LBB102_101
; %bb.102:
	s_or_b64 exec, exec, s[8:9]
	v_mov_b32_e32 v83, 0
	ds_read_b64 v[83:84], v83 offset:176
	s_waitcnt lgkmcnt(0)
	v_mul_f32_e32 v85, v80, v84
	v_mul_f32_e32 v84, v86, v84
	v_fma_f32 v85, v86, v83, -v85
	v_fmac_f32_e32 v84, v80, v83
	buffer_store_dword v85, off, s[0:3], 0 offset:176
	buffer_store_dword v84, off, s[0:3], 0 offset:180
.LBB102_103:
	s_or_b64 exec, exec, s[4:5]
	; wave barrier
	buffer_load_dword v83, off, s[0:3], 0 offset:184
	buffer_load_dword v84, off, s[0:3], 0 offset:188
	v_cmp_gt_u32_e32 vcc, 23, v0
	s_waitcnt vmcnt(0)
	ds_write_b64 v82, v[83:84]
	s_waitcnt lgkmcnt(0)
	; wave barrier
	s_and_saveexec_b64 s[4:5], vcc
	s_cbranch_execz .LBB102_107
; %bb.104:
	v_add_u32_e32 v83, -1, v0
	v_add_u32_e32 v84, 0x140, v81
	v_mov_b32_e32 v85, v81
	v_mov_b32_e32 v80, 0
	s_mov_b64 s[8:9], 0
	v_mov_b32_e32 v86, 0
.LBB102_105:                            ; =>This Inner Loop Header: Depth=1
	buffer_load_dword v89, v85, s[0:3], 0 offen offset:4
	buffer_load_dword v90, v85, s[0:3], 0 offen
	ds_read_b64 v[87:88], v84
	v_add_u32_e32 v83, 1, v83
	v_cmp_lt_u32_e32 vcc, 21, v83
	v_add_u32_e32 v84, 8, v84
	v_add_u32_e32 v85, 8, v85
	s_or_b64 s[8:9], vcc, s[8:9]
	s_waitcnt vmcnt(1) lgkmcnt(0)
	v_mul_f32_e32 v91, v88, v89
	v_mul_f32_e32 v89, v87, v89
	s_waitcnt vmcnt(0)
	v_fma_f32 v87, v87, v90, -v91
	v_fmac_f32_e32 v89, v88, v90
	v_add_f32_e32 v86, v86, v87
	v_add_f32_e32 v80, v80, v89
	s_andn2_b64 exec, exec, s[8:9]
	s_cbranch_execnz .LBB102_105
; %bb.106:
	s_or_b64 exec, exec, s[8:9]
	v_mov_b32_e32 v83, 0
	ds_read_b64 v[83:84], v83 offset:184
	s_waitcnt lgkmcnt(0)
	v_mul_f32_e32 v85, v80, v84
	v_mul_f32_e32 v84, v86, v84
	v_fma_f32 v85, v86, v83, -v85
	v_fmac_f32_e32 v84, v80, v83
	buffer_store_dword v85, off, s[0:3], 0 offset:184
	buffer_store_dword v84, off, s[0:3], 0 offset:188
.LBB102_107:
	s_or_b64 exec, exec, s[4:5]
	; wave barrier
	buffer_load_dword v83, off, s[0:3], 0 offset:192
	buffer_load_dword v84, off, s[0:3], 0 offset:196
	v_cmp_gt_u32_e32 vcc, 24, v0
	s_waitcnt vmcnt(0)
	ds_write_b64 v82, v[83:84]
	;; [unrolled: 49-line block ×15, first 2 shown]
	s_waitcnt lgkmcnt(0)
	; wave barrier
	s_and_saveexec_b64 s[4:5], vcc
	s_cbranch_execz .LBB102_163
; %bb.160:
	v_add_u32_e32 v83, -1, v0
	v_add_u32_e32 v84, 0x140, v81
	v_mov_b32_e32 v85, v81
	v_mov_b32_e32 v80, 0
	s_mov_b64 s[8:9], 0
	v_mov_b32_e32 v86, 0
.LBB102_161:                            ; =>This Inner Loop Header: Depth=1
	buffer_load_dword v89, v85, s[0:3], 0 offen offset:4
	buffer_load_dword v90, v85, s[0:3], 0 offen
	ds_read_b64 v[87:88], v84
	v_add_u32_e32 v83, 1, v83
	v_cmp_lt_u32_e32 vcc, 35, v83
	v_add_u32_e32 v84, 8, v84
	v_add_u32_e32 v85, 8, v85
	s_or_b64 s[8:9], vcc, s[8:9]
	s_waitcnt vmcnt(1) lgkmcnt(0)
	v_mul_f32_e32 v91, v88, v89
	v_mul_f32_e32 v89, v87, v89
	s_waitcnt vmcnt(0)
	v_fma_f32 v87, v87, v90, -v91
	v_fmac_f32_e32 v89, v88, v90
	v_add_f32_e32 v86, v86, v87
	v_add_f32_e32 v80, v80, v89
	s_andn2_b64 exec, exec, s[8:9]
	s_cbranch_execnz .LBB102_161
; %bb.162:
	s_or_b64 exec, exec, s[8:9]
	v_mov_b32_e32 v83, 0
	ds_read_b64 v[83:84], v83 offset:296
	s_waitcnt lgkmcnt(0)
	v_mul_f32_e32 v85, v80, v84
	v_mul_f32_e32 v84, v86, v84
	v_fma_f32 v85, v86, v83, -v85
	v_fmac_f32_e32 v84, v80, v83
	buffer_store_dword v85, off, s[0:3], 0 offset:296
	buffer_store_dword v84, off, s[0:3], 0 offset:300
.LBB102_163:
	s_or_b64 exec, exec, s[4:5]
	; wave barrier
	buffer_load_dword v83, off, s[0:3], 0 offset:304
	buffer_load_dword v84, off, s[0:3], 0 offset:308
	v_cmp_ne_u32_e32 vcc, 38, v0
	s_waitcnt vmcnt(0)
	ds_write_b64 v82, v[83:84]
	s_waitcnt lgkmcnt(0)
	; wave barrier
	s_and_saveexec_b64 s[4:5], vcc
	s_cbranch_execz .LBB102_167
; %bb.164:
	v_add_u32_e32 v82, 0x140, v81
	v_mov_b32_e32 v80, 0
	s_mov_b64 s[8:9], 0
	v_mov_b32_e32 v83, 0
.LBB102_165:                            ; =>This Inner Loop Header: Depth=1
	buffer_load_dword v86, v81, s[0:3], 0 offen offset:4
	buffer_load_dword v87, v81, s[0:3], 0 offen
	ds_read_b64 v[84:85], v82
	v_add_u32_e32 v79, 1, v79
	v_cmp_lt_u32_e32 vcc, 36, v79
	v_add_u32_e32 v82, 8, v82
	v_add_u32_e32 v81, 8, v81
	s_or_b64 s[8:9], vcc, s[8:9]
	s_waitcnt vmcnt(1) lgkmcnt(0)
	v_mul_f32_e32 v88, v85, v86
	v_mul_f32_e32 v86, v84, v86
	s_waitcnt vmcnt(0)
	v_fma_f32 v84, v84, v87, -v88
	v_fmac_f32_e32 v86, v85, v87
	v_add_f32_e32 v83, v83, v84
	v_add_f32_e32 v80, v80, v86
	s_andn2_b64 exec, exec, s[8:9]
	s_cbranch_execnz .LBB102_165
; %bb.166:
	s_or_b64 exec, exec, s[8:9]
	v_mov_b32_e32 v79, 0
	ds_read_b64 v[81:82], v79 offset:304
	s_waitcnt lgkmcnt(0)
	v_mul_f32_e32 v79, v80, v82
	v_mul_f32_e32 v82, v83, v82
	v_fma_f32 v79, v83, v81, -v79
	v_fmac_f32_e32 v82, v80, v81
	buffer_store_dword v79, off, s[0:3], 0 offset:304
	buffer_store_dword v82, off, s[0:3], 0 offset:308
.LBB102_167:
	s_or_b64 exec, exec, s[4:5]
	s_mov_b64 s[8:9], -1
	; wave barrier
.LBB102_168:
	s_and_b64 vcc, exec, s[8:9]
	s_cbranch_vccz .LBB102_170
; %bb.169:
	s_lshl_b64 s[4:5], s[6:7], 2
	s_add_u32 s4, s10, s4
	s_addc_u32 s5, s11, s5
	v_mov_b32_e32 v79, 0
	global_load_dword v79, v79, s[4:5]
	s_waitcnt vmcnt(0)
	v_cmp_ne_u32_e32 vcc, 0, v79
	s_cbranch_vccz .LBB102_171
.LBB102_170:
	s_endpgm
.LBB102_171:
	v_mov_b32_e32 v79, 0x140
	v_lshl_add_u32 v79, v0, 3, v79
	v_cmp_eq_u32_e32 vcc, 38, v0
	s_and_saveexec_b64 s[4:5], vcc
	s_cbranch_execz .LBB102_173
; %bb.172:
	buffer_load_dword v80, off, s[0:3], 0 offset:296
	buffer_load_dword v81, off, s[0:3], 0 offset:300
	v_mov_b32_e32 v82, 0
	buffer_store_dword v82, off, s[0:3], 0 offset:296
	buffer_store_dword v82, off, s[0:3], 0 offset:300
	s_waitcnt vmcnt(2)
	ds_write_b64 v79, v[80:81]
.LBB102_173:
	s_or_b64 exec, exec, s[4:5]
	s_waitcnt lgkmcnt(0)
	; wave barrier
	buffer_load_dword v83, off, s[0:3], 0 offset:308
	buffer_load_dword v84, off, s[0:3], 0 offset:304
	;; [unrolled: 1-line block ×4, first 2 shown]
	v_mov_b32_e32 v80, 0
	ds_read_b64 v[81:82], v80 offset:624
	v_cmp_lt_u32_e32 vcc, 36, v0
	s_waitcnt vmcnt(3) lgkmcnt(0)
	v_mul_f32_e32 v87, v81, v83
	v_mul_f32_e32 v83, v82, v83
	s_waitcnt vmcnt(2)
	v_fma_f32 v81, v81, v84, -v83
	v_fmac_f32_e32 v87, v82, v84
	v_add_f32_e32 v81, 0, v81
	v_add_f32_e32 v82, 0, v87
	s_waitcnt vmcnt(1)
	v_sub_f32_e32 v81, v85, v81
	s_waitcnt vmcnt(0)
	v_sub_f32_e32 v82, v86, v82
	buffer_store_dword v81, off, s[0:3], 0 offset:296
	buffer_store_dword v82, off, s[0:3], 0 offset:300
	s_and_saveexec_b64 s[4:5], vcc
	s_cbranch_execz .LBB102_175
; %bb.174:
	buffer_load_dword v81, off, s[0:3], 0 offset:288
	buffer_load_dword v82, off, s[0:3], 0 offset:292
	s_waitcnt vmcnt(0)
	ds_write_b64 v79, v[81:82]
	buffer_store_dword v80, off, s[0:3], 0 offset:288
	buffer_store_dword v80, off, s[0:3], 0 offset:292
.LBB102_175:
	s_or_b64 exec, exec, s[4:5]
	s_waitcnt lgkmcnt(0)
	; wave barrier
	buffer_load_dword v84, off, s[0:3], 0 offset:300
	buffer_load_dword v85, off, s[0:3], 0 offset:308
	;; [unrolled: 1-line block ×6, first 2 shown]
	ds_read2_b64 v[80:83], v80 offset0:77 offset1:78
	v_cmp_lt_u32_e32 vcc, 35, v0
	s_waitcnt vmcnt(5) lgkmcnt(0)
	v_mul_f32_e32 v90, v80, v84
	v_mul_f32_e32 v84, v81, v84
	s_waitcnt vmcnt(4)
	v_mul_f32_e32 v91, v82, v85
	v_mul_f32_e32 v85, v83, v85
	s_waitcnt vmcnt(3)
	v_fma_f32 v80, v80, v86, -v84
	v_fmac_f32_e32 v90, v81, v86
	s_waitcnt vmcnt(2)
	v_fma_f32 v81, v82, v87, -v85
	v_add_f32_e32 v80, 0, v80
	v_fmac_f32_e32 v91, v83, v87
	v_add_f32_e32 v82, 0, v90
	v_add_f32_e32 v80, v80, v81
	;; [unrolled: 1-line block ×3, first 2 shown]
	s_waitcnt vmcnt(1)
	v_sub_f32_e32 v80, v88, v80
	s_waitcnt vmcnt(0)
	v_sub_f32_e32 v81, v89, v82
	buffer_store_dword v80, off, s[0:3], 0 offset:288
	buffer_store_dword v81, off, s[0:3], 0 offset:292
	s_and_saveexec_b64 s[4:5], vcc
	s_cbranch_execz .LBB102_177
; %bb.176:
	buffer_load_dword v80, off, s[0:3], 0 offset:280
	buffer_load_dword v81, off, s[0:3], 0 offset:284
	v_mov_b32_e32 v82, 0
	buffer_store_dword v82, off, s[0:3], 0 offset:280
	buffer_store_dword v82, off, s[0:3], 0 offset:284
	s_waitcnt vmcnt(2)
	ds_write_b64 v79, v[80:81]
.LBB102_177:
	s_or_b64 exec, exec, s[4:5]
	s_waitcnt lgkmcnt(0)
	; wave barrier
	buffer_load_dword v87, off, s[0:3], 0 offset:292
	buffer_load_dword v88, off, s[0:3], 0 offset:300
	;; [unrolled: 1-line block ×8, first 2 shown]
	v_mov_b32_e32 v80, 0
	ds_read_b128 v[81:84], v80 offset:608
	ds_read_b64 v[85:86], v80 offset:624
	v_cmp_lt_u32_e32 vcc, 34, v0
	s_waitcnt vmcnt(7) lgkmcnt(1)
	v_mul_f32_e32 v95, v81, v87
	v_mul_f32_e32 v87, v82, v87
	s_waitcnt vmcnt(6)
	v_mul_f32_e32 v96, v83, v88
	v_mul_f32_e32 v88, v84, v88
	s_waitcnt vmcnt(4)
	v_fma_f32 v81, v81, v90, -v87
	s_waitcnt lgkmcnt(0)
	v_mul_f32_e32 v97, v85, v89
	v_mul_f32_e32 v89, v86, v89
	v_fmac_f32_e32 v95, v82, v90
	s_waitcnt vmcnt(3)
	v_fma_f32 v82, v83, v91, -v88
	v_add_f32_e32 v81, 0, v81
	v_fmac_f32_e32 v96, v84, v91
	s_waitcnt vmcnt(2)
	v_fma_f32 v83, v85, v92, -v89
	v_add_f32_e32 v84, 0, v95
	v_add_f32_e32 v81, v81, v82
	v_fmac_f32_e32 v97, v86, v92
	v_add_f32_e32 v84, v84, v96
	v_add_f32_e32 v81, v81, v83
	;; [unrolled: 1-line block ×3, first 2 shown]
	s_waitcnt vmcnt(1)
	v_sub_f32_e32 v81, v93, v81
	s_waitcnt vmcnt(0)
	v_sub_f32_e32 v82, v94, v82
	buffer_store_dword v81, off, s[0:3], 0 offset:280
	buffer_store_dword v82, off, s[0:3], 0 offset:284
	s_and_saveexec_b64 s[4:5], vcc
	s_cbranch_execz .LBB102_179
; %bb.178:
	buffer_load_dword v81, off, s[0:3], 0 offset:272
	buffer_load_dword v82, off, s[0:3], 0 offset:276
	s_waitcnt vmcnt(0)
	ds_write_b64 v79, v[81:82]
	buffer_store_dword v80, off, s[0:3], 0 offset:272
	buffer_store_dword v80, off, s[0:3], 0 offset:276
.LBB102_179:
	s_or_b64 exec, exec, s[4:5]
	s_waitcnt lgkmcnt(0)
	; wave barrier
	buffer_load_dword v89, off, s[0:3], 0 offset:284
	buffer_load_dword v90, off, s[0:3], 0 offset:292
	;; [unrolled: 1-line block ×10, first 2 shown]
	ds_read2_b64 v[81:84], v80 offset0:75 offset1:76
	ds_read2_b64 v[85:88], v80 offset0:77 offset1:78
	v_cmp_lt_u32_e32 vcc, 33, v0
	s_waitcnt vmcnt(9) lgkmcnt(1)
	v_mul_f32_e32 v80, v81, v89
	v_mul_f32_e32 v89, v82, v89
	s_waitcnt vmcnt(8)
	v_mul_f32_e32 v99, v83, v90
	v_mul_f32_e32 v90, v84, v90
	s_waitcnt vmcnt(5)
	v_fma_f32 v81, v81, v93, -v89
	s_waitcnt lgkmcnt(0)
	v_mul_f32_e32 v100, v85, v91
	v_mul_f32_e32 v91, v86, v91
	v_fmac_f32_e32 v80, v82, v93
	s_waitcnt vmcnt(4)
	v_fma_f32 v82, v83, v94, -v90
	v_add_f32_e32 v81, 0, v81
	v_mul_f32_e32 v101, v87, v92
	v_mul_f32_e32 v92, v88, v92
	v_fmac_f32_e32 v99, v84, v94
	s_waitcnt vmcnt(3)
	v_fma_f32 v83, v85, v95, -v91
	v_add_f32_e32 v80, 0, v80
	v_add_f32_e32 v81, v81, v82
	v_fmac_f32_e32 v100, v86, v95
	s_waitcnt vmcnt(2)
	v_fma_f32 v84, v87, v96, -v92
	v_add_f32_e32 v80, v80, v99
	v_add_f32_e32 v81, v81, v83
	v_fmac_f32_e32 v101, v88, v96
	v_add_f32_e32 v80, v80, v100
	v_add_f32_e32 v81, v81, v84
	;; [unrolled: 1-line block ×3, first 2 shown]
	s_waitcnt vmcnt(1)
	v_sub_f32_e32 v81, v97, v81
	s_waitcnt vmcnt(0)
	v_sub_f32_e32 v80, v98, v80
	buffer_store_dword v81, off, s[0:3], 0 offset:272
	buffer_store_dword v80, off, s[0:3], 0 offset:276
	s_and_saveexec_b64 s[4:5], vcc
	s_cbranch_execz .LBB102_181
; %bb.180:
	buffer_load_dword v80, off, s[0:3], 0 offset:264
	buffer_load_dword v81, off, s[0:3], 0 offset:268
	v_mov_b32_e32 v82, 0
	buffer_store_dword v82, off, s[0:3], 0 offset:264
	buffer_store_dword v82, off, s[0:3], 0 offset:268
	s_waitcnt vmcnt(2)
	ds_write_b64 v79, v[80:81]
.LBB102_181:
	s_or_b64 exec, exec, s[4:5]
	s_waitcnt lgkmcnt(0)
	; wave barrier
	buffer_load_dword v91, off, s[0:3], 0 offset:276
	buffer_load_dword v92, off, s[0:3], 0 offset:284
	;; [unrolled: 1-line block ×12, first 2 shown]
	v_mov_b32_e32 v80, 0
	ds_read_b128 v[81:84], v80 offset:592
	ds_read_b128 v[85:88], v80 offset:608
	ds_read_b64 v[89:90], v80 offset:624
	v_cmp_lt_u32_e32 vcc, 32, v0
	s_waitcnt vmcnt(11) lgkmcnt(2)
	v_mul_f32_e32 v103, v81, v91
	v_mul_f32_e32 v91, v82, v91
	s_waitcnt vmcnt(10)
	v_mul_f32_e32 v104, v83, v92
	v_mul_f32_e32 v92, v84, v92
	s_waitcnt vmcnt(9) lgkmcnt(1)
	v_mul_f32_e32 v105, v85, v93
	s_waitcnt vmcnt(6)
	v_fma_f32 v81, v81, v96, -v91
	v_mul_f32_e32 v93, v86, v93
	v_fmac_f32_e32 v103, v82, v96
	s_waitcnt vmcnt(5)
	v_fma_f32 v82, v83, v97, -v92
	v_add_f32_e32 v81, 0, v81
	v_mul_f32_e32 v106, v87, v94
	v_mul_f32_e32 v94, v88, v94
	v_fmac_f32_e32 v104, v84, v97
	s_waitcnt vmcnt(4)
	v_fmac_f32_e32 v105, v86, v98
	v_fma_f32 v83, v85, v98, -v93
	v_add_f32_e32 v86, 0, v103
	v_add_f32_e32 v81, v81, v82
	s_waitcnt lgkmcnt(0)
	v_mul_f32_e32 v107, v89, v95
	v_mul_f32_e32 v95, v90, v95
	s_waitcnt vmcnt(3)
	v_fma_f32 v84, v87, v99, -v94
	v_add_f32_e32 v86, v86, v104
	v_add_f32_e32 v81, v81, v83
	v_fmac_f32_e32 v106, v88, v99
	s_waitcnt vmcnt(2)
	v_fma_f32 v85, v89, v100, -v95
	v_add_f32_e32 v82, v86, v105
	v_add_f32_e32 v81, v81, v84
	v_fmac_f32_e32 v107, v90, v100
	v_add_f32_e32 v82, v82, v106
	v_add_f32_e32 v81, v81, v85
	;; [unrolled: 1-line block ×3, first 2 shown]
	s_waitcnt vmcnt(1)
	v_sub_f32_e32 v81, v101, v81
	s_waitcnt vmcnt(0)
	v_sub_f32_e32 v82, v102, v82
	buffer_store_dword v81, off, s[0:3], 0 offset:264
	buffer_store_dword v82, off, s[0:3], 0 offset:268
	s_and_saveexec_b64 s[4:5], vcc
	s_cbranch_execz .LBB102_183
; %bb.182:
	buffer_load_dword v81, off, s[0:3], 0 offset:256
	buffer_load_dword v82, off, s[0:3], 0 offset:260
	s_waitcnt vmcnt(0)
	ds_write_b64 v79, v[81:82]
	buffer_store_dword v80, off, s[0:3], 0 offset:256
	buffer_store_dword v80, off, s[0:3], 0 offset:260
.LBB102_183:
	s_or_b64 exec, exec, s[4:5]
	s_waitcnt lgkmcnt(0)
	; wave barrier
	buffer_load_dword v93, off, s[0:3], 0 offset:268
	buffer_load_dword v94, off, s[0:3], 0 offset:276
	;; [unrolled: 1-line block ×14, first 2 shown]
	ds_read2_b64 v[81:84], v80 offset0:73 offset1:74
	ds_read2_b64 v[85:88], v80 offset0:75 offset1:76
	;; [unrolled: 1-line block ×3, first 2 shown]
	v_cmp_lt_u32_e32 vcc, 31, v0
	s_waitcnt vmcnt(13) lgkmcnt(2)
	v_mul_f32_e32 v80, v81, v93
	v_mul_f32_e32 v93, v82, v93
	s_waitcnt vmcnt(12)
	v_mul_f32_e32 v107, v83, v94
	v_mul_f32_e32 v94, v84, v94
	s_waitcnt vmcnt(11) lgkmcnt(1)
	v_mul_f32_e32 v108, v85, v95
	v_mul_f32_e32 v95, v86, v95
	s_waitcnt vmcnt(7)
	v_fma_f32 v81, v81, v99, -v93
	v_fmac_f32_e32 v80, v82, v99
	s_waitcnt vmcnt(6)
	v_fma_f32 v82, v83, v100, -v94
	v_add_f32_e32 v81, 0, v81
	v_mul_f32_e32 v109, v87, v96
	v_mul_f32_e32 v96, v88, v96
	v_fmac_f32_e32 v107, v84, v100
	s_waitcnt vmcnt(5)
	v_fma_f32 v83, v85, v101, -v95
	v_add_f32_e32 v80, 0, v80
	v_add_f32_e32 v81, v81, v82
	s_waitcnt lgkmcnt(0)
	v_mul_f32_e32 v110, v89, v97
	v_mul_f32_e32 v97, v90, v97
	v_fmac_f32_e32 v108, v86, v101
	s_waitcnt vmcnt(4)
	v_fma_f32 v84, v87, v102, -v96
	v_add_f32_e32 v80, v80, v107
	v_add_f32_e32 v81, v81, v83
	v_mul_f32_e32 v111, v91, v98
	v_mul_f32_e32 v98, v92, v98
	v_fmac_f32_e32 v109, v88, v102
	s_waitcnt vmcnt(3)
	v_fma_f32 v85, v89, v103, -v97
	v_add_f32_e32 v80, v80, v108
	v_add_f32_e32 v81, v81, v84
	v_fmac_f32_e32 v110, v90, v103
	s_waitcnt vmcnt(2)
	v_fma_f32 v86, v91, v104, -v98
	v_add_f32_e32 v80, v80, v109
	v_add_f32_e32 v81, v81, v85
	v_fmac_f32_e32 v111, v92, v104
	v_add_f32_e32 v80, v80, v110
	v_add_f32_e32 v81, v81, v86
	;; [unrolled: 1-line block ×3, first 2 shown]
	s_waitcnt vmcnt(1)
	v_sub_f32_e32 v81, v105, v81
	s_waitcnt vmcnt(0)
	v_sub_f32_e32 v80, v106, v80
	buffer_store_dword v81, off, s[0:3], 0 offset:256
	buffer_store_dword v80, off, s[0:3], 0 offset:260
	s_and_saveexec_b64 s[4:5], vcc
	s_cbranch_execz .LBB102_185
; %bb.184:
	buffer_load_dword v80, off, s[0:3], 0 offset:248
	buffer_load_dword v81, off, s[0:3], 0 offset:252
	v_mov_b32_e32 v82, 0
	buffer_store_dword v82, off, s[0:3], 0 offset:248
	buffer_store_dword v82, off, s[0:3], 0 offset:252
	s_waitcnt vmcnt(2)
	ds_write_b64 v79, v[80:81]
.LBB102_185:
	s_or_b64 exec, exec, s[4:5]
	s_waitcnt lgkmcnt(0)
	; wave barrier
	buffer_load_dword v95, off, s[0:3], 0 offset:260
	buffer_load_dword v96, off, s[0:3], 0 offset:268
	;; [unrolled: 1-line block ×16, first 2 shown]
	v_mov_b32_e32 v80, 0
	ds_read_b128 v[81:84], v80 offset:576
	ds_read_b128 v[85:88], v80 offset:592
	;; [unrolled: 1-line block ×3, first 2 shown]
	ds_read_b64 v[93:94], v80 offset:624
	v_cmp_lt_u32_e32 vcc, 30, v0
	s_waitcnt vmcnt(15) lgkmcnt(3)
	v_mul_f32_e32 v111, v81, v95
	v_mul_f32_e32 v95, v82, v95
	s_waitcnt vmcnt(14)
	v_mul_f32_e32 v112, v83, v96
	v_mul_f32_e32 v96, v84, v96
	s_waitcnt vmcnt(13) lgkmcnt(2)
	v_mul_f32_e32 v113, v85, v97
	s_waitcnt vmcnt(12)
	v_mul_f32_e32 v114, v87, v98
	v_mul_f32_e32 v97, v86, v97
	s_waitcnt vmcnt(8)
	v_fma_f32 v81, v81, v102, -v95
	v_fmac_f32_e32 v111, v82, v102
	s_waitcnt vmcnt(7)
	v_fma_f32 v82, v83, v103, -v96
	v_add_f32_e32 v81, 0, v81
	v_mul_f32_e32 v98, v88, v98
	v_fmac_f32_e32 v112, v84, v103
	s_waitcnt vmcnt(5)
	v_fmac_f32_e32 v114, v88, v105
	v_fma_f32 v83, v85, v104, -v97
	v_add_f32_e32 v88, 0, v111
	v_add_f32_e32 v81, v81, v82
	s_waitcnt lgkmcnt(1)
	v_mul_f32_e32 v115, v89, v99
	v_mul_f32_e32 v99, v90, v99
	v_fmac_f32_e32 v113, v86, v104
	v_fma_f32 v84, v87, v105, -v98
	v_add_f32_e32 v88, v88, v112
	v_add_f32_e32 v81, v81, v83
	v_mul_f32_e32 v116, v91, v100
	v_mul_f32_e32 v100, v92, v100
	s_waitcnt vmcnt(4)
	v_fma_f32 v85, v89, v106, -v99
	v_add_f32_e32 v82, v88, v113
	v_add_f32_e32 v81, v81, v84
	s_waitcnt lgkmcnt(0)
	v_mul_f32_e32 v117, v93, v101
	v_mul_f32_e32 v101, v94, v101
	v_fmac_f32_e32 v115, v90, v106
	s_waitcnt vmcnt(3)
	v_fma_f32 v86, v91, v107, -v100
	v_add_f32_e32 v82, v82, v114
	v_add_f32_e32 v81, v81, v85
	v_fmac_f32_e32 v116, v92, v107
	s_waitcnt vmcnt(2)
	v_fma_f32 v87, v93, v108, -v101
	v_add_f32_e32 v82, v82, v115
	v_add_f32_e32 v81, v81, v86
	v_fmac_f32_e32 v117, v94, v108
	v_add_f32_e32 v82, v82, v116
	v_add_f32_e32 v81, v81, v87
	;; [unrolled: 1-line block ×3, first 2 shown]
	s_waitcnt vmcnt(1)
	v_sub_f32_e32 v81, v109, v81
	s_waitcnt vmcnt(0)
	v_sub_f32_e32 v82, v110, v82
	buffer_store_dword v81, off, s[0:3], 0 offset:248
	buffer_store_dword v82, off, s[0:3], 0 offset:252
	s_and_saveexec_b64 s[4:5], vcc
	s_cbranch_execz .LBB102_187
; %bb.186:
	buffer_load_dword v81, off, s[0:3], 0 offset:240
	buffer_load_dword v82, off, s[0:3], 0 offset:244
	s_waitcnt vmcnt(0)
	ds_write_b64 v79, v[81:82]
	buffer_store_dword v80, off, s[0:3], 0 offset:240
	buffer_store_dword v80, off, s[0:3], 0 offset:244
.LBB102_187:
	s_or_b64 exec, exec, s[4:5]
	s_waitcnt lgkmcnt(0)
	; wave barrier
	buffer_load_dword v97, off, s[0:3], 0 offset:252
	buffer_load_dword v98, off, s[0:3], 0 offset:260
	;; [unrolled: 1-line block ×18, first 2 shown]
	ds_read2_b64 v[81:84], v80 offset0:71 offset1:72
	ds_read2_b64 v[85:88], v80 offset0:73 offset1:74
	;; [unrolled: 1-line block ×4, first 2 shown]
	v_cmp_lt_u32_e32 vcc, 29, v0
	s_waitcnt vmcnt(17) lgkmcnt(3)
	v_mul_f32_e32 v80, v81, v97
	v_mul_f32_e32 v97, v82, v97
	s_waitcnt vmcnt(16)
	v_mul_f32_e32 v115, v83, v98
	v_mul_f32_e32 v98, v84, v98
	s_waitcnt vmcnt(15) lgkmcnt(2)
	v_mul_f32_e32 v116, v85, v99
	v_mul_f32_e32 v99, v86, v99
	s_waitcnt vmcnt(14)
	v_mul_f32_e32 v117, v87, v100
	v_mul_f32_e32 v100, v88, v100
	s_waitcnt vmcnt(9)
	v_fma_f32 v81, v81, v105, -v97
	v_fmac_f32_e32 v80, v82, v105
	s_waitcnt vmcnt(8)
	v_fma_f32 v82, v83, v106, -v98
	v_add_f32_e32 v81, 0, v81
	v_fmac_f32_e32 v115, v84, v106
	s_waitcnt vmcnt(7)
	v_fma_f32 v83, v85, v107, -v99
	v_add_f32_e32 v80, 0, v80
	v_add_f32_e32 v81, v81, v82
	s_waitcnt lgkmcnt(1)
	v_mul_f32_e32 v118, v89, v101
	v_mul_f32_e32 v101, v90, v101
	v_fmac_f32_e32 v116, v86, v107
	s_waitcnt vmcnt(6)
	v_fma_f32 v84, v87, v108, -v100
	v_add_f32_e32 v80, v80, v115
	v_add_f32_e32 v81, v81, v83
	v_mul_f32_e32 v119, v91, v102
	v_mul_f32_e32 v102, v92, v102
	v_fmac_f32_e32 v117, v88, v108
	s_waitcnt vmcnt(5)
	v_fma_f32 v85, v89, v109, -v101
	v_add_f32_e32 v80, v80, v116
	v_add_f32_e32 v81, v81, v84
	s_waitcnt lgkmcnt(0)
	v_mul_f32_e32 v120, v93, v103
	v_mul_f32_e32 v103, v94, v103
	v_fmac_f32_e32 v118, v90, v109
	s_waitcnt vmcnt(4)
	v_fma_f32 v86, v91, v110, -v102
	v_add_f32_e32 v80, v80, v117
	v_add_f32_e32 v81, v81, v85
	v_mul_f32_e32 v121, v95, v104
	v_mul_f32_e32 v104, v96, v104
	v_fmac_f32_e32 v119, v92, v110
	s_waitcnt vmcnt(3)
	v_fma_f32 v87, v93, v111, -v103
	v_add_f32_e32 v80, v80, v118
	v_add_f32_e32 v81, v81, v86
	v_fmac_f32_e32 v120, v94, v111
	s_waitcnt vmcnt(2)
	v_fma_f32 v88, v95, v112, -v104
	v_add_f32_e32 v80, v80, v119
	v_add_f32_e32 v81, v81, v87
	v_fmac_f32_e32 v121, v96, v112
	v_add_f32_e32 v80, v80, v120
	v_add_f32_e32 v81, v81, v88
	;; [unrolled: 1-line block ×3, first 2 shown]
	s_waitcnt vmcnt(1)
	v_sub_f32_e32 v81, v113, v81
	s_waitcnt vmcnt(0)
	v_sub_f32_e32 v80, v114, v80
	buffer_store_dword v81, off, s[0:3], 0 offset:240
	buffer_store_dword v80, off, s[0:3], 0 offset:244
	s_and_saveexec_b64 s[4:5], vcc
	s_cbranch_execz .LBB102_189
; %bb.188:
	buffer_load_dword v80, off, s[0:3], 0 offset:232
	buffer_load_dword v81, off, s[0:3], 0 offset:236
	v_mov_b32_e32 v82, 0
	buffer_store_dword v82, off, s[0:3], 0 offset:232
	buffer_store_dword v82, off, s[0:3], 0 offset:236
	s_waitcnt vmcnt(2)
	ds_write_b64 v79, v[80:81]
.LBB102_189:
	s_or_b64 exec, exec, s[4:5]
	v_mov_b32_e32 v80, 0
	s_waitcnt lgkmcnt(0)
	; wave barrier
	ds_read_b128 v[81:84], v80 offset:560
	ds_read_b128 v[85:88], v80 offset:576
	;; [unrolled: 1-line block ×4, first 2 shown]
	buffer_load_dword v99, off, s[0:3], 0 offset:232
	buffer_load_dword v100, off, s[0:3], 0 offset:236
	;; [unrolled: 1-line block ×18, first 2 shown]
	v_cmp_lt_u32_e32 vcc, 28, v0
	s_waitcnt vmcnt(14) lgkmcnt(3)
	v_mul_f32_e32 v97, v81, v102
	v_fmac_f32_e32 v97, v82, v101
	s_waitcnt vmcnt(12)
	v_mul_f32_e32 v98, v83, v104
	v_add_f32_e32 v97, 0, v97
	v_fmac_f32_e32 v98, v84, v103
	v_add_f32_e32 v97, v97, v98
	s_waitcnt vmcnt(10) lgkmcnt(2)
	v_mul_f32_e32 v98, v85, v106
	v_fmac_f32_e32 v98, v86, v105
	v_add_f32_e32 v97, v97, v98
	s_waitcnt vmcnt(8)
	v_mul_f32_e32 v98, v87, v108
	v_fmac_f32_e32 v98, v88, v107
	v_add_f32_e32 v97, v97, v98
	s_waitcnt vmcnt(6) lgkmcnt(1)
	v_mul_f32_e32 v98, v89, v110
	v_fmac_f32_e32 v98, v90, v109
	v_add_f32_e32 v97, v97, v98
	s_waitcnt vmcnt(4)
	v_mul_f32_e32 v98, v91, v112
	;; [unrolled: 8-line block ×3, first 2 shown]
	v_fmac_f32_e32 v98, v96, v115
	v_add_f32_e32 v117, v97, v98
	ds_read_b64 v[97:98], v80 offset:624
	buffer_load_dword v118, off, s[0:3], 0 offset:304
	buffer_load_dword v119, off, s[0:3], 0 offset:308
	v_mul_f32_e32 v82, v82, v102
	v_fma_f32 v81, v81, v101, -v82
	v_mul_f32_e32 v82, v84, v104
	v_add_f32_e32 v81, 0, v81
	v_fma_f32 v82, v83, v103, -v82
	v_add_f32_e32 v81, v81, v82
	v_mul_f32_e32 v82, v86, v106
	v_fma_f32 v82, v85, v105, -v82
	v_add_f32_e32 v81, v81, v82
	v_mul_f32_e32 v82, v88, v108
	;; [unrolled: 3-line block ×6, first 2 shown]
	v_fma_f32 v82, v95, v115, -v82
	v_add_f32_e32 v81, v81, v82
	s_waitcnt vmcnt(0) lgkmcnt(0)
	v_mul_f32_e32 v82, v98, v119
	v_mul_f32_e32 v120, v97, v119
	v_fma_f32 v82, v97, v118, -v82
	v_fmac_f32_e32 v120, v98, v118
	v_add_f32_e32 v81, v81, v82
	v_add_f32_e32 v117, v117, v120
	v_sub_f32_e32 v81, v99, v81
	v_sub_f32_e32 v82, v100, v117
	buffer_store_dword v81, off, s[0:3], 0 offset:232
	buffer_store_dword v82, off, s[0:3], 0 offset:236
	s_and_saveexec_b64 s[4:5], vcc
	s_cbranch_execz .LBB102_191
; %bb.190:
	buffer_load_dword v81, off, s[0:3], 0 offset:224
	buffer_load_dword v82, off, s[0:3], 0 offset:228
	s_waitcnt vmcnt(0)
	ds_write_b64 v79, v[81:82]
	buffer_store_dword v80, off, s[0:3], 0 offset:224
	buffer_store_dword v80, off, s[0:3], 0 offset:228
.LBB102_191:
	s_or_b64 exec, exec, s[4:5]
	s_waitcnt lgkmcnt(0)
	; wave barrier
	ds_read2_b64 v[81:84], v80 offset0:69 offset1:70
	buffer_load_dword v101, off, s[0:3], 0 offset:224
	buffer_load_dword v102, off, s[0:3], 0 offset:228
	;; [unrolled: 1-line block ×16, first 2 shown]
	v_cmp_lt_u32_e32 vcc, 27, v0
	s_waitcnt vmcnt(12) lgkmcnt(0)
	v_mul_f32_e32 v85, v81, v104
	v_fmac_f32_e32 v85, v82, v103
	s_waitcnt vmcnt(10)
	v_mul_f32_e32 v86, v83, v106
	v_add_f32_e32 v85, 0, v85
	v_fmac_f32_e32 v86, v84, v105
	v_add_f32_e32 v89, v85, v86
	ds_read2_b64 v[85:88], v80 offset0:71 offset1:72
	v_mul_f32_e32 v82, v82, v104
	v_fma_f32 v81, v81, v103, -v82
	v_mul_f32_e32 v82, v84, v106
	v_add_f32_e32 v81, 0, v81
	s_waitcnt vmcnt(8) lgkmcnt(0)
	v_mul_f32_e32 v90, v85, v108
	v_fmac_f32_e32 v90, v86, v107
	v_add_f32_e32 v89, v89, v90
	s_waitcnt vmcnt(6)
	v_mul_f32_e32 v90, v87, v110
	v_fmac_f32_e32 v90, v88, v109
	v_add_f32_e32 v93, v89, v90
	ds_read2_b64 v[89:92], v80 offset0:73 offset1:74
	v_fma_f32 v82, v83, v105, -v82
	v_add_f32_e32 v81, v81, v82
	v_mul_f32_e32 v82, v86, v108
	v_fma_f32 v82, v85, v107, -v82
	s_waitcnt vmcnt(4) lgkmcnt(0)
	v_mul_f32_e32 v94, v89, v112
	v_fmac_f32_e32 v94, v90, v111
	v_add_f32_e32 v93, v93, v94
	s_waitcnt vmcnt(2)
	v_mul_f32_e32 v94, v91, v114
	v_fmac_f32_e32 v94, v92, v113
	v_add_f32_e32 v97, v93, v94
	ds_read2_b64 v[93:96], v80 offset0:75 offset1:76
	buffer_load_dword v117, off, s[0:3], 0 offset:288
	buffer_load_dword v118, off, s[0:3], 0 offset:292
	v_add_f32_e32 v81, v81, v82
	v_mul_f32_e32 v82, v88, v110
	v_fma_f32 v82, v87, v109, -v82
	s_waitcnt vmcnt(2) lgkmcnt(0)
	v_mul_f32_e32 v98, v93, v116
	v_fmac_f32_e32 v98, v94, v115
	v_add_f32_e32 v97, v97, v98
	v_add_f32_e32 v81, v81, v82
	v_mul_f32_e32 v82, v90, v112
	v_fma_f32 v82, v89, v111, -v82
	v_add_f32_e32 v81, v81, v82
	v_mul_f32_e32 v82, v92, v114
	v_fma_f32 v82, v91, v113, -v82
	;; [unrolled: 3-line block ×3, first 2 shown]
	v_add_f32_e32 v81, v81, v82
	s_waitcnt vmcnt(0)
	v_mul_f32_e32 v98, v95, v118
	v_fmac_f32_e32 v98, v96, v117
	v_add_f32_e32 v119, v97, v98
	ds_read2_b64 v[97:100], v80 offset0:77 offset1:78
	buffer_load_dword v80, off, s[0:3], 0 offset:296
	buffer_load_dword v120, off, s[0:3], 0 offset:300
	v_mul_f32_e32 v82, v96, v118
	v_fma_f32 v82, v95, v117, -v82
	v_add_f32_e32 v81, v81, v82
	s_waitcnt vmcnt(0) lgkmcnt(0)
	v_mul_f32_e32 v121, v97, v120
	v_fmac_f32_e32 v121, v98, v80
	v_add_f32_e32 v119, v119, v121
	buffer_load_dword v121, off, s[0:3], 0 offset:304
	buffer_load_dword v122, off, s[0:3], 0 offset:308
	v_mul_f32_e32 v82, v98, v120
	v_fma_f32 v80, v97, v80, -v82
	v_add_f32_e32 v80, v81, v80
	s_waitcnt vmcnt(0)
	v_mul_f32_e32 v81, v100, v122
	v_mul_f32_e32 v123, v99, v122
	v_fma_f32 v81, v99, v121, -v81
	v_fmac_f32_e32 v123, v100, v121
	v_add_f32_e32 v80, v80, v81
	v_add_f32_e32 v119, v119, v123
	v_sub_f32_e32 v80, v101, v80
	v_sub_f32_e32 v81, v102, v119
	buffer_store_dword v80, off, s[0:3], 0 offset:224
	buffer_store_dword v81, off, s[0:3], 0 offset:228
	s_and_saveexec_b64 s[4:5], vcc
	s_cbranch_execz .LBB102_193
; %bb.192:
	buffer_load_dword v80, off, s[0:3], 0 offset:216
	buffer_load_dword v81, off, s[0:3], 0 offset:220
	v_mov_b32_e32 v82, 0
	buffer_store_dword v82, off, s[0:3], 0 offset:216
	buffer_store_dword v82, off, s[0:3], 0 offset:220
	s_waitcnt vmcnt(2)
	ds_write_b64 v79, v[80:81]
.LBB102_193:
	s_or_b64 exec, exec, s[4:5]
	s_waitcnt lgkmcnt(0)
	; wave barrier
	buffer_load_dword v103, off, s[0:3], 0 offset:228
	buffer_load_dword v104, off, s[0:3], 0 offset:236
	;; [unrolled: 1-line block ×24, first 2 shown]
	v_mov_b32_e32 v80, 0
	ds_read_b128 v[81:84], v80 offset:544
	ds_read_b128 v[85:88], v80 offset:560
	;; [unrolled: 1-line block ×5, first 2 shown]
	ds_read_b64 v[101:102], v80 offset:624
	v_cmp_lt_u32_e32 vcc, 26, v0
	s_waitcnt vmcnt(23) lgkmcnt(5)
	v_mul_f32_e32 v127, v81, v103
	v_mul_f32_e32 v103, v82, v103
	s_waitcnt vmcnt(22)
	v_mul_f32_e32 v128, v83, v104
	v_mul_f32_e32 v104, v84, v104
	s_waitcnt vmcnt(21) lgkmcnt(4)
	v_mul_f32_e32 v129, v85, v105
	v_mul_f32_e32 v105, v86, v105
	s_waitcnt vmcnt(20)
	v_mul_f32_e32 v130, v87, v106
	s_waitcnt vmcnt(19) lgkmcnt(3)
	v_mul_f32_e32 v131, v89, v107
	v_mul_f32_e32 v106, v88, v106
	;; [unrolled: 1-line block ×3, first 2 shown]
	s_waitcnt vmcnt(18)
	v_mul_f32_e32 v132, v91, v108
	s_waitcnt vmcnt(12)
	v_fma_f32 v81, v81, v114, -v103
	v_fmac_f32_e32 v127, v82, v114
	s_waitcnt vmcnt(11)
	v_fma_f32 v82, v83, v115, -v104
	v_add_f32_e32 v81, 0, v81
	s_waitcnt vmcnt(10)
	v_fma_f32 v83, v85, v116, -v105
	v_add_f32_e32 v81, v81, v82
	v_fmac_f32_e32 v128, v84, v115
	s_waitcnt vmcnt(8)
	v_fmac_f32_e32 v131, v90, v118
	v_fma_f32 v84, v87, v117, -v106
	v_add_f32_e32 v90, 0, v127
	v_add_f32_e32 v81, v81, v83
	v_mul_f32_e32 v108, v92, v108
	v_fmac_f32_e32 v129, v86, v116
	v_fma_f32 v85, v89, v118, -v107
	v_add_f32_e32 v90, v90, v128
	v_add_f32_e32 v81, v81, v84
	s_waitcnt lgkmcnt(2)
	v_mul_f32_e32 v133, v93, v109
	v_mul_f32_e32 v109, v94, v109
	v_fmac_f32_e32 v130, v88, v117
	s_waitcnt vmcnt(7)
	v_fma_f32 v86, v91, v119, -v108
	v_add_f32_e32 v82, v90, v129
	v_add_f32_e32 v81, v81, v85
	v_mul_f32_e32 v134, v95, v110
	v_mul_f32_e32 v110, v96, v110
	s_waitcnt vmcnt(6)
	v_fma_f32 v87, v93, v120, -v109
	v_add_f32_e32 v82, v82, v130
	v_add_f32_e32 v81, v81, v86
	s_waitcnt lgkmcnt(1)
	v_mul_f32_e32 v135, v97, v111
	v_mul_f32_e32 v111, v98, v111
	v_fmac_f32_e32 v132, v92, v119
	s_waitcnt vmcnt(5)
	v_fma_f32 v88, v95, v121, -v110
	v_add_f32_e32 v82, v82, v131
	v_add_f32_e32 v81, v81, v87
	v_fmac_f32_e32 v133, v94, v120
	s_waitcnt vmcnt(4)
	v_fma_f32 v89, v97, v122, -v111
	v_add_f32_e32 v82, v82, v132
	v_add_f32_e32 v81, v81, v88
	v_mul_f32_e32 v83, v100, v112
	v_fmac_f32_e32 v134, v96, v121
	v_add_f32_e32 v82, v82, v133
	v_add_f32_e32 v81, v81, v89
	s_waitcnt vmcnt(3)
	v_fma_f32 v83, v99, v123, -v83
	v_mul_f32_e32 v136, v99, v112
	v_fmac_f32_e32 v135, v98, v122
	v_add_f32_e32 v82, v82, v134
	v_add_f32_e32 v81, v81, v83
	s_waitcnt lgkmcnt(0)
	v_mul_f32_e32 v83, v102, v113
	v_mul_f32_e32 v137, v101, v113
	v_fmac_f32_e32 v136, v100, v123
	v_add_f32_e32 v82, v82, v135
	s_waitcnt vmcnt(2)
	v_fma_f32 v83, v101, v124, -v83
	v_fmac_f32_e32 v137, v102, v124
	v_add_f32_e32 v82, v82, v136
	v_add_f32_e32 v81, v81, v83
	v_add_f32_e32 v82, v82, v137
	s_waitcnt vmcnt(1)
	v_sub_f32_e32 v81, v125, v81
	s_waitcnt vmcnt(0)
	v_sub_f32_e32 v82, v126, v82
	buffer_store_dword v81, off, s[0:3], 0 offset:216
	buffer_store_dword v82, off, s[0:3], 0 offset:220
	s_and_saveexec_b64 s[4:5], vcc
	s_cbranch_execz .LBB102_195
; %bb.194:
	buffer_load_dword v81, off, s[0:3], 0 offset:208
	buffer_load_dword v82, off, s[0:3], 0 offset:212
	s_waitcnt vmcnt(0)
	ds_write_b64 v79, v[81:82]
	buffer_store_dword v80, off, s[0:3], 0 offset:208
	buffer_store_dword v80, off, s[0:3], 0 offset:212
.LBB102_195:
	s_or_b64 exec, exec, s[4:5]
	s_waitcnt lgkmcnt(0)
	; wave barrier
	buffer_load_dword v105, off, s[0:3], 0 offset:220
	buffer_load_dword v106, off, s[0:3], 0 offset:228
	;; [unrolled: 1-line block ×26, first 2 shown]
	ds_read2_b64 v[81:84], v80 offset0:67 offset1:68
	ds_read2_b64 v[85:88], v80 offset0:69 offset1:70
	;; [unrolled: 1-line block ×6, first 2 shown]
	v_cmp_lt_u32_e32 vcc, 25, v0
	s_waitcnt vmcnt(25) lgkmcnt(5)
	v_mul_f32_e32 v80, v81, v105
	v_mul_f32_e32 v105, v82, v105
	s_waitcnt vmcnt(24)
	v_mul_f32_e32 v131, v83, v106
	v_mul_f32_e32 v106, v84, v106
	s_waitcnt vmcnt(23) lgkmcnt(4)
	v_mul_f32_e32 v132, v85, v107
	v_mul_f32_e32 v107, v86, v107
	s_waitcnt vmcnt(22)
	v_mul_f32_e32 v133, v87, v108
	v_mul_f32_e32 v108, v88, v108
	;; [unrolled: 6-line block ×3, first 2 shown]
	s_waitcnt vmcnt(13)
	v_fma_f32 v81, v81, v117, -v105
	v_fmac_f32_e32 v80, v82, v117
	s_waitcnt vmcnt(12)
	v_fma_f32 v82, v83, v118, -v106
	v_add_f32_e32 v81, 0, v81
	s_waitcnt vmcnt(11)
	v_fma_f32 v83, v85, v119, -v107
	v_add_f32_e32 v81, v81, v82
	v_fmac_f32_e32 v131, v84, v118
	s_waitcnt vmcnt(10)
	v_fma_f32 v84, v87, v120, -v108
	v_add_f32_e32 v81, v81, v83
	s_waitcnt vmcnt(9)
	v_fma_f32 v85, v89, v121, -v109
	v_add_f32_e32 v81, v81, v84
	s_waitcnt lgkmcnt(2)
	v_mul_f32_e32 v136, v93, v111
	v_mul_f32_e32 v111, v94, v111
	v_fmac_f32_e32 v132, v86, v119
	s_waitcnt vmcnt(8)
	v_fma_f32 v86, v91, v122, -v110
	v_add_f32_e32 v80, 0, v80
	v_add_f32_e32 v81, v81, v85
	v_mul_f32_e32 v137, v95, v112
	v_mul_f32_e32 v112, v96, v112
	s_waitcnt vmcnt(7)
	v_fma_f32 v87, v93, v123, -v111
	v_add_f32_e32 v80, v80, v131
	v_add_f32_e32 v81, v81, v86
	v_fmac_f32_e32 v133, v88, v120
	s_waitcnt vmcnt(6)
	v_fma_f32 v88, v95, v124, -v112
	v_add_f32_e32 v80, v80, v132
	v_add_f32_e32 v81, v81, v87
	s_waitcnt lgkmcnt(1)
	v_mul_f32_e32 v82, v98, v113
	v_fmac_f32_e32 v134, v90, v121
	v_add_f32_e32 v80, v80, v133
	v_add_f32_e32 v81, v81, v88
	s_waitcnt vmcnt(5)
	v_fma_f32 v82, v97, v125, -v82
	v_fmac_f32_e32 v135, v92, v122
	v_add_f32_e32 v80, v80, v134
	v_add_f32_e32 v81, v81, v82
	v_mul_f32_e32 v82, v100, v114
	v_fmac_f32_e32 v136, v94, v123
	v_add_f32_e32 v80, v80, v135
	s_waitcnt vmcnt(4)
	v_fma_f32 v82, v99, v126, -v82
	v_mul_f32_e32 v138, v97, v113
	v_fmac_f32_e32 v137, v96, v124
	v_add_f32_e32 v80, v80, v136
	v_add_f32_e32 v81, v81, v82
	s_waitcnt lgkmcnt(0)
	v_mul_f32_e32 v82, v102, v115
	v_mul_f32_e32 v139, v99, v114
	v_fmac_f32_e32 v138, v98, v125
	v_add_f32_e32 v80, v80, v137
	s_waitcnt vmcnt(3)
	v_fma_f32 v82, v101, v127, -v82
	v_mul_f32_e32 v140, v101, v115
	v_fmac_f32_e32 v139, v100, v126
	v_add_f32_e32 v80, v80, v138
	v_add_f32_e32 v81, v81, v82
	v_mul_f32_e32 v82, v104, v116
	v_mul_f32_e32 v141, v103, v116
	v_fmac_f32_e32 v140, v102, v127
	v_add_f32_e32 v80, v80, v139
	s_waitcnt vmcnt(2)
	v_fma_f32 v82, v103, v128, -v82
	v_fmac_f32_e32 v141, v104, v128
	v_add_f32_e32 v80, v80, v140
	v_add_f32_e32 v81, v81, v82
	;; [unrolled: 1-line block ×3, first 2 shown]
	s_waitcnt vmcnt(1)
	v_sub_f32_e32 v81, v129, v81
	s_waitcnt vmcnt(0)
	v_sub_f32_e32 v80, v130, v80
	buffer_store_dword v81, off, s[0:3], 0 offset:208
	buffer_store_dword v80, off, s[0:3], 0 offset:212
	s_and_saveexec_b64 s[4:5], vcc
	s_cbranch_execz .LBB102_197
; %bb.196:
	buffer_load_dword v80, off, s[0:3], 0 offset:200
	buffer_load_dword v81, off, s[0:3], 0 offset:204
	v_mov_b32_e32 v82, 0
	buffer_store_dword v82, off, s[0:3], 0 offset:200
	buffer_store_dword v82, off, s[0:3], 0 offset:204
	s_waitcnt vmcnt(2)
	ds_write_b64 v79, v[80:81]
.LBB102_197:
	s_or_b64 exec, exec, s[4:5]
	s_waitcnt lgkmcnt(0)
	; wave barrier
	buffer_load_dword v107, off, s[0:3], 0 offset:212
	buffer_load_dword v108, off, s[0:3], 0 offset:220
	;; [unrolled: 1-line block ×28, first 2 shown]
	v_mov_b32_e32 v80, 0
	ds_read_b128 v[81:84], v80 offset:528
	ds_read_b128 v[85:88], v80 offset:544
	;; [unrolled: 1-line block ×6, first 2 shown]
	ds_read_b64 v[105:106], v80 offset:624
	v_cmp_lt_u32_e32 vcc, 24, v0
	s_waitcnt vmcnt(27) lgkmcnt(6)
	v_mul_f32_e32 v135, v81, v107
	v_mul_f32_e32 v107, v82, v107
	s_waitcnt vmcnt(26)
	v_mul_f32_e32 v136, v83, v108
	v_mul_f32_e32 v108, v84, v108
	s_waitcnt vmcnt(25) lgkmcnt(5)
	v_mul_f32_e32 v137, v85, v109
	v_mul_f32_e32 v109, v86, v109
	s_waitcnt vmcnt(24)
	v_mul_f32_e32 v138, v87, v110
	v_mul_f32_e32 v110, v88, v110
	;; [unrolled: 6-line block ×3, first 2 shown]
	s_waitcnt vmcnt(21) lgkmcnt(3)
	v_mul_f32_e32 v141, v93, v113
	s_waitcnt vmcnt(14)
	v_fma_f32 v81, v81, v120, -v107
	v_fmac_f32_e32 v135, v82, v120
	s_waitcnt vmcnt(13)
	v_fma_f32 v82, v83, v121, -v108
	v_add_f32_e32 v81, 0, v81
	s_waitcnt vmcnt(12)
	v_fma_f32 v83, v85, v122, -v109
	v_add_f32_e32 v81, v81, v82
	v_fmac_f32_e32 v136, v84, v121
	s_waitcnt vmcnt(11)
	v_fma_f32 v84, v87, v123, -v110
	v_add_f32_e32 v81, v81, v83
	s_waitcnt vmcnt(10)
	v_fma_f32 v85, v89, v124, -v111
	v_add_f32_e32 v81, v81, v84
	v_fmac_f32_e32 v137, v86, v122
	s_waitcnt vmcnt(9)
	v_fma_f32 v86, v91, v125, -v112
	v_add_f32_e32 v81, v81, v85
	v_mul_f32_e32 v83, v94, v113
	v_add_f32_e32 v81, v81, v86
	s_waitcnt vmcnt(8)
	v_fma_f32 v83, v93, v126, -v83
	v_add_f32_e32 v81, v81, v83
	v_mul_f32_e32 v83, v96, v114
	v_add_f32_e32 v87, 0, v135
	s_waitcnt vmcnt(7)
	v_fma_f32 v83, v95, v127, -v83
	v_add_f32_e32 v87, v87, v136
	v_add_f32_e32 v81, v81, v83
	s_waitcnt lgkmcnt(2)
	v_mul_f32_e32 v83, v98, v115
	v_fmac_f32_e32 v138, v88, v123
	v_add_f32_e32 v82, v87, v137
	s_waitcnt vmcnt(6)
	v_fma_f32 v83, v97, v128, -v83
	v_fmac_f32_e32 v139, v90, v124
	v_add_f32_e32 v82, v82, v138
	v_add_f32_e32 v81, v81, v83
	v_mul_f32_e32 v83, v100, v116
	v_fmac_f32_e32 v140, v92, v125
	v_add_f32_e32 v82, v82, v139
	s_waitcnt vmcnt(5)
	v_fma_f32 v83, v99, v129, -v83
	v_mul_f32_e32 v142, v95, v114
	v_fmac_f32_e32 v141, v94, v126
	v_add_f32_e32 v82, v82, v140
	v_add_f32_e32 v81, v81, v83
	s_waitcnt lgkmcnt(1)
	v_mul_f32_e32 v83, v102, v117
	v_mul_f32_e32 v143, v97, v115
	v_fmac_f32_e32 v142, v96, v127
	v_add_f32_e32 v82, v82, v141
	s_waitcnt vmcnt(4)
	v_fma_f32 v83, v101, v130, -v83
	v_mul_f32_e32 v144, v99, v116
	v_fmac_f32_e32 v143, v98, v128
	v_add_f32_e32 v82, v82, v142
	v_add_f32_e32 v81, v81, v83
	v_mul_f32_e32 v83, v104, v118
	v_mul_f32_e32 v145, v101, v117
	v_fmac_f32_e32 v144, v100, v129
	v_add_f32_e32 v82, v82, v143
	s_waitcnt vmcnt(3)
	v_fma_f32 v83, v103, v131, -v83
	v_mul_f32_e32 v146, v103, v118
	v_fmac_f32_e32 v145, v102, v130
	v_add_f32_e32 v82, v82, v144
	v_add_f32_e32 v81, v81, v83
	s_waitcnt lgkmcnt(0)
	v_mul_f32_e32 v83, v106, v119
	v_mul_f32_e32 v147, v105, v119
	v_fmac_f32_e32 v146, v104, v131
	v_add_f32_e32 v82, v82, v145
	s_waitcnt vmcnt(2)
	v_fma_f32 v83, v105, v132, -v83
	v_fmac_f32_e32 v147, v106, v132
	v_add_f32_e32 v82, v82, v146
	v_add_f32_e32 v81, v81, v83
	v_add_f32_e32 v82, v82, v147
	s_waitcnt vmcnt(1)
	v_sub_f32_e32 v81, v133, v81
	s_waitcnt vmcnt(0)
	v_sub_f32_e32 v82, v134, v82
	buffer_store_dword v81, off, s[0:3], 0 offset:200
	buffer_store_dword v82, off, s[0:3], 0 offset:204
	s_and_saveexec_b64 s[4:5], vcc
	s_cbranch_execz .LBB102_199
; %bb.198:
	buffer_load_dword v81, off, s[0:3], 0 offset:192
	buffer_load_dword v82, off, s[0:3], 0 offset:196
	s_waitcnt vmcnt(0)
	ds_write_b64 v79, v[81:82]
	buffer_store_dword v80, off, s[0:3], 0 offset:192
	buffer_store_dword v80, off, s[0:3], 0 offset:196
.LBB102_199:
	s_or_b64 exec, exec, s[4:5]
	s_waitcnt lgkmcnt(0)
	; wave barrier
	buffer_load_dword v109, off, s[0:3], 0 offset:204
	buffer_load_dword v110, off, s[0:3], 0 offset:212
	;; [unrolled: 1-line block ×30, first 2 shown]
	ds_read2_b64 v[81:84], v80 offset0:65 offset1:66
	ds_read2_b64 v[85:88], v80 offset0:67 offset1:68
	;; [unrolled: 1-line block ×7, first 2 shown]
	v_cmp_lt_u32_e32 vcc, 23, v0
	s_waitcnt vmcnt(29) lgkmcnt(6)
	v_mul_f32_e32 v80, v81, v109
	v_mul_f32_e32 v109, v82, v109
	s_waitcnt vmcnt(28)
	v_mul_f32_e32 v139, v83, v110
	v_mul_f32_e32 v110, v84, v110
	s_waitcnt vmcnt(27) lgkmcnt(5)
	v_mul_f32_e32 v140, v85, v111
	v_mul_f32_e32 v111, v86, v111
	s_waitcnt vmcnt(26)
	v_mul_f32_e32 v141, v87, v112
	v_mul_f32_e32 v112, v88, v112
	s_waitcnt vmcnt(25) lgkmcnt(4)
	v_mul_f32_e32 v142, v89, v113
	v_mul_f32_e32 v113, v90, v113
	s_waitcnt vmcnt(24)
	v_mul_f32_e32 v143, v91, v114
	s_waitcnt vmcnt(23) lgkmcnt(3)
	v_mul_f32_e32 v144, v93, v115
	s_waitcnt vmcnt(22)
	v_mul_f32_e32 v145, v95, v116
	s_waitcnt vmcnt(21) lgkmcnt(2)
	v_mul_f32_e32 v146, v97, v117
	s_waitcnt vmcnt(15)
	v_fma_f32 v81, v81, v123, -v109
	v_fmac_f32_e32 v80, v82, v123
	s_waitcnt vmcnt(14)
	v_fma_f32 v82, v83, v124, -v110
	v_add_f32_e32 v81, 0, v81
	s_waitcnt vmcnt(13)
	v_fma_f32 v83, v85, v125, -v111
	v_add_f32_e32 v81, v81, v82
	v_fmac_f32_e32 v139, v84, v124
	s_waitcnt vmcnt(12)
	v_fma_f32 v84, v87, v126, -v112
	v_add_f32_e32 v81, v81, v83
	s_waitcnt vmcnt(11)
	v_fma_f32 v85, v89, v127, -v113
	v_add_f32_e32 v81, v81, v84
	v_mul_f32_e32 v82, v92, v114
	v_add_f32_e32 v81, v81, v85
	s_waitcnt vmcnt(10)
	v_fma_f32 v82, v91, v128, -v82
	v_add_f32_e32 v81, v81, v82
	v_mul_f32_e32 v82, v94, v115
	s_waitcnt vmcnt(9)
	v_fma_f32 v82, v93, v129, -v82
	v_add_f32_e32 v81, v81, v82
	v_mul_f32_e32 v82, v96, v116
	s_waitcnt vmcnt(8)
	v_fma_f32 v82, v95, v130, -v82
	v_add_f32_e32 v80, 0, v80
	v_add_f32_e32 v81, v81, v82
	v_mul_f32_e32 v82, v98, v117
	v_fmac_f32_e32 v140, v86, v125
	v_add_f32_e32 v80, v80, v139
	s_waitcnt vmcnt(7)
	v_fma_f32 v82, v97, v131, -v82
	v_fmac_f32_e32 v141, v88, v126
	v_add_f32_e32 v80, v80, v140
	v_add_f32_e32 v81, v81, v82
	v_mul_f32_e32 v82, v100, v118
	v_fmac_f32_e32 v142, v90, v127
	v_add_f32_e32 v80, v80, v141
	s_waitcnt vmcnt(6)
	v_fma_f32 v82, v99, v132, -v82
	v_fmac_f32_e32 v143, v92, v128
	v_add_f32_e32 v80, v80, v142
	v_add_f32_e32 v81, v81, v82
	s_waitcnt lgkmcnt(1)
	v_mul_f32_e32 v82, v102, v119
	v_fmac_f32_e32 v144, v94, v129
	v_add_f32_e32 v80, v80, v143
	s_waitcnt vmcnt(5)
	v_fma_f32 v82, v101, v133, -v82
	v_fmac_f32_e32 v145, v96, v130
	v_add_f32_e32 v80, v80, v144
	v_add_f32_e32 v81, v81, v82
	v_mul_f32_e32 v82, v104, v120
	v_mul_f32_e32 v147, v99, v118
	v_fmac_f32_e32 v146, v98, v131
	v_add_f32_e32 v80, v80, v145
	s_waitcnt vmcnt(4)
	v_fma_f32 v82, v103, v134, -v82
	v_mul_f32_e32 v148, v101, v119
	v_fmac_f32_e32 v147, v100, v132
	v_add_f32_e32 v80, v80, v146
	v_add_f32_e32 v81, v81, v82
	s_waitcnt lgkmcnt(0)
	v_mul_f32_e32 v82, v106, v121
	v_mul_f32_e32 v149, v103, v120
	v_fmac_f32_e32 v148, v102, v133
	v_add_f32_e32 v80, v80, v147
	s_waitcnt vmcnt(3)
	v_fma_f32 v82, v105, v135, -v82
	v_mul_f32_e32 v150, v105, v121
	v_fmac_f32_e32 v149, v104, v134
	v_add_f32_e32 v80, v80, v148
	v_add_f32_e32 v81, v81, v82
	v_mul_f32_e32 v82, v108, v122
	v_mul_f32_e32 v151, v107, v122
	v_fmac_f32_e32 v150, v106, v135
	v_add_f32_e32 v80, v80, v149
	s_waitcnt vmcnt(2)
	v_fma_f32 v82, v107, v136, -v82
	v_fmac_f32_e32 v151, v108, v136
	v_add_f32_e32 v80, v80, v150
	v_add_f32_e32 v81, v81, v82
	;; [unrolled: 1-line block ×3, first 2 shown]
	s_waitcnt vmcnt(1)
	v_sub_f32_e32 v81, v137, v81
	s_waitcnt vmcnt(0)
	v_sub_f32_e32 v80, v138, v80
	buffer_store_dword v81, off, s[0:3], 0 offset:192
	buffer_store_dword v80, off, s[0:3], 0 offset:196
	s_and_saveexec_b64 s[4:5], vcc
	s_cbranch_execz .LBB102_201
; %bb.200:
	buffer_load_dword v80, off, s[0:3], 0 offset:184
	buffer_load_dword v81, off, s[0:3], 0 offset:188
	v_mov_b32_e32 v82, 0
	buffer_store_dword v82, off, s[0:3], 0 offset:184
	buffer_store_dword v82, off, s[0:3], 0 offset:188
	s_waitcnt vmcnt(2)
	ds_write_b64 v79, v[80:81]
.LBB102_201:
	s_or_b64 exec, exec, s[4:5]
	s_waitcnt lgkmcnt(0)
	; wave barrier
	buffer_load_dword v111, off, s[0:3], 0 offset:196
	buffer_load_dword v112, off, s[0:3], 0 offset:204
	;; [unrolled: 1-line block ×32, first 2 shown]
	v_mov_b32_e32 v80, 0
	ds_read_b128 v[81:84], v80 offset:512
	ds_read_b128 v[85:88], v80 offset:528
	;; [unrolled: 1-line block ×7, first 2 shown]
	ds_read_b64 v[109:110], v80 offset:624
	v_cmp_lt_u32_e32 vcc, 22, v0
	s_waitcnt vmcnt(31) lgkmcnt(7)
	v_mul_f32_e32 v143, v81, v111
	v_mul_f32_e32 v111, v82, v111
	s_waitcnt vmcnt(30)
	v_mul_f32_e32 v144, v83, v112
	v_mul_f32_e32 v112, v84, v112
	s_waitcnt vmcnt(29) lgkmcnt(6)
	v_mul_f32_e32 v145, v85, v113
	v_mul_f32_e32 v113, v86, v113
	s_waitcnt vmcnt(28)
	v_mul_f32_e32 v146, v87, v114
	s_waitcnt vmcnt(27) lgkmcnt(5)
	v_mul_f32_e32 v147, v89, v115
	s_waitcnt vmcnt(26)
	v_mul_f32_e32 v148, v91, v116
	s_waitcnt vmcnt(25) lgkmcnt(4)
	;; [unrolled: 4-line block ×4, first 2 shown]
	v_mul_f32_e32 v153, v101, v121
	s_waitcnt vmcnt(20)
	v_mul_f32_e32 v154, v103, v122
	s_waitcnt vmcnt(16)
	v_fma_f32 v81, v81, v126, -v111
	v_fmac_f32_e32 v143, v82, v126
	s_waitcnt vmcnt(15)
	v_fma_f32 v82, v83, v127, -v112
	v_add_f32_e32 v81, 0, v81
	s_waitcnt vmcnt(14)
	v_fma_f32 v83, v85, v128, -v113
	v_add_f32_e32 v81, v81, v82
	v_add_f32_e32 v81, v81, v83
	v_mul_f32_e32 v83, v88, v114
	s_waitcnt vmcnt(13)
	v_fma_f32 v83, v87, v129, -v83
	v_add_f32_e32 v81, v81, v83
	v_mul_f32_e32 v83, v90, v115
	s_waitcnt vmcnt(12)
	v_fma_f32 v83, v89, v130, -v83
	;; [unrolled: 4-line block ×5, first 2 shown]
	v_add_f32_e32 v81, v81, v83
	v_mul_f32_e32 v83, v98, v119
	v_fmac_f32_e32 v144, v84, v127
	v_add_f32_e32 v84, 0, v143
	s_waitcnt vmcnt(8)
	v_fma_f32 v83, v97, v134, -v83
	v_fmac_f32_e32 v145, v86, v128
	v_add_f32_e32 v84, v84, v144
	v_add_f32_e32 v81, v81, v83
	v_mul_f32_e32 v83, v100, v120
	v_fmac_f32_e32 v146, v88, v129
	v_add_f32_e32 v82, v84, v145
	s_waitcnt vmcnt(7)
	v_fma_f32 v83, v99, v135, -v83
	v_fmac_f32_e32 v147, v90, v130
	v_add_f32_e32 v82, v82, v146
	v_add_f32_e32 v81, v81, v83
	v_mul_f32_e32 v83, v102, v121
	v_fmac_f32_e32 v148, v92, v131
	v_add_f32_e32 v82, v82, v147
	s_waitcnt vmcnt(6)
	v_fma_f32 v83, v101, v136, -v83
	v_fmac_f32_e32 v149, v94, v132
	v_add_f32_e32 v82, v82, v148
	v_add_f32_e32 v81, v81, v83
	v_mul_f32_e32 v83, v104, v122
	v_fmac_f32_e32 v150, v96, v133
	v_add_f32_e32 v82, v82, v149
	s_waitcnt vmcnt(5)
	v_fma_f32 v83, v103, v137, -v83
	v_fmac_f32_e32 v151, v98, v134
	v_add_f32_e32 v82, v82, v150
	v_add_f32_e32 v81, v81, v83
	s_waitcnt lgkmcnt(1)
	v_mul_f32_e32 v83, v106, v123
	v_fmac_f32_e32 v152, v100, v135
	v_add_f32_e32 v82, v82, v151
	s_waitcnt vmcnt(4)
	v_fma_f32 v83, v105, v138, -v83
	v_fmac_f32_e32 v153, v102, v136
	v_add_f32_e32 v82, v82, v152
	v_add_f32_e32 v81, v81, v83
	v_mul_f32_e32 v83, v108, v124
	v_mul_f32_e32 v155, v105, v123
	v_fmac_f32_e32 v154, v104, v137
	v_add_f32_e32 v82, v82, v153
	s_waitcnt vmcnt(3)
	v_fma_f32 v83, v107, v139, -v83
	v_mul_f32_e32 v156, v107, v124
	v_fmac_f32_e32 v155, v106, v138
	v_add_f32_e32 v82, v82, v154
	v_add_f32_e32 v81, v81, v83
	s_waitcnt lgkmcnt(0)
	v_mul_f32_e32 v83, v110, v125
	v_mul_f32_e32 v157, v109, v125
	v_fmac_f32_e32 v156, v108, v139
	v_add_f32_e32 v82, v82, v155
	s_waitcnt vmcnt(2)
	v_fma_f32 v83, v109, v140, -v83
	v_fmac_f32_e32 v157, v110, v140
	v_add_f32_e32 v82, v82, v156
	v_add_f32_e32 v81, v81, v83
	;; [unrolled: 1-line block ×3, first 2 shown]
	s_waitcnt vmcnt(1)
	v_sub_f32_e32 v81, v141, v81
	s_waitcnt vmcnt(0)
	v_sub_f32_e32 v82, v142, v82
	buffer_store_dword v81, off, s[0:3], 0 offset:184
	buffer_store_dword v82, off, s[0:3], 0 offset:188
	s_and_saveexec_b64 s[4:5], vcc
	s_cbranch_execz .LBB102_203
; %bb.202:
	buffer_load_dword v81, off, s[0:3], 0 offset:176
	buffer_load_dword v82, off, s[0:3], 0 offset:180
	s_waitcnt vmcnt(0)
	ds_write_b64 v79, v[81:82]
	buffer_store_dword v80, off, s[0:3], 0 offset:176
	buffer_store_dword v80, off, s[0:3], 0 offset:180
.LBB102_203:
	s_or_b64 exec, exec, s[4:5]
	s_waitcnt lgkmcnt(0)
	; wave barrier
	buffer_load_dword v113, off, s[0:3], 0 offset:188
	buffer_load_dword v114, off, s[0:3], 0 offset:196
	;; [unrolled: 1-line block ×34, first 2 shown]
	ds_read2_b64 v[81:84], v80 offset0:63 offset1:64
	ds_read2_b64 v[85:88], v80 offset0:65 offset1:66
	;; [unrolled: 1-line block ×8, first 2 shown]
	v_cmp_lt_u32_e32 vcc, 21, v0
	s_waitcnt vmcnt(33) lgkmcnt(7)
	v_mul_f32_e32 v80, v81, v113
	v_mul_f32_e32 v113, v82, v113
	s_waitcnt vmcnt(32)
	v_mul_f32_e32 v147, v83, v114
	v_mul_f32_e32 v114, v84, v114
	s_waitcnt vmcnt(31) lgkmcnt(6)
	v_mul_f32_e32 v148, v85, v115
	s_waitcnt vmcnt(30)
	v_mul_f32_e32 v149, v87, v116
	s_waitcnt vmcnt(29) lgkmcnt(5)
	v_mul_f32_e32 v150, v89, v117
	s_waitcnt vmcnt(28)
	;; [unrolled: 4-line block ×6, first 2 shown]
	v_mul_f32_e32 v159, v107, v126
	s_waitcnt vmcnt(17)
	v_fma_f32 v81, v81, v129, -v113
	v_fmac_f32_e32 v80, v82, v129
	s_waitcnt vmcnt(16)
	v_fma_f32 v82, v83, v130, -v114
	v_add_f32_e32 v81, 0, v81
	v_add_f32_e32 v81, v81, v82
	v_mul_f32_e32 v82, v86, v115
	s_waitcnt vmcnt(15)
	v_fma_f32 v82, v85, v131, -v82
	v_add_f32_e32 v81, v81, v82
	v_mul_f32_e32 v82, v88, v116
	s_waitcnt vmcnt(14)
	v_fma_f32 v82, v87, v132, -v82
	;; [unrolled: 4-line block ×7, first 2 shown]
	v_fmac_f32_e32 v147, v84, v130
	v_add_f32_e32 v80, 0, v80
	v_add_f32_e32 v81, v81, v82
	v_mul_f32_e32 v82, v100, v122
	v_fmac_f32_e32 v148, v86, v131
	v_add_f32_e32 v80, v80, v147
	s_waitcnt vmcnt(8)
	v_fma_f32 v82, v99, v138, -v82
	v_fmac_f32_e32 v149, v88, v132
	v_add_f32_e32 v80, v80, v148
	v_add_f32_e32 v81, v81, v82
	v_mul_f32_e32 v82, v102, v123
	v_fmac_f32_e32 v150, v90, v133
	v_add_f32_e32 v80, v80, v149
	s_waitcnt vmcnt(7)
	v_fma_f32 v82, v101, v139, -v82
	v_fmac_f32_e32 v151, v92, v134
	v_add_f32_e32 v80, v80, v150
	v_add_f32_e32 v81, v81, v82
	v_mul_f32_e32 v82, v104, v124
	v_fmac_f32_e32 v152, v94, v135
	v_add_f32_e32 v80, v80, v151
	s_waitcnt vmcnt(6)
	v_fma_f32 v82, v103, v140, -v82
	v_fmac_f32_e32 v153, v96, v136
	v_add_f32_e32 v80, v80, v152
	v_add_f32_e32 v81, v81, v82
	v_mul_f32_e32 v82, v106, v125
	v_fmac_f32_e32 v154, v98, v137
	v_add_f32_e32 v80, v80, v153
	s_waitcnt vmcnt(5)
	v_fma_f32 v82, v105, v141, -v82
	v_fmac_f32_e32 v155, v100, v138
	v_add_f32_e32 v80, v80, v154
	v_add_f32_e32 v81, v81, v82
	v_mul_f32_e32 v82, v108, v126
	v_fmac_f32_e32 v156, v102, v139
	v_add_f32_e32 v80, v80, v155
	s_waitcnt vmcnt(4)
	v_fma_f32 v82, v107, v142, -v82
	v_fmac_f32_e32 v157, v104, v140
	v_add_f32_e32 v80, v80, v156
	v_add_f32_e32 v81, v81, v82
	s_waitcnt lgkmcnt(0)
	v_mul_f32_e32 v82, v110, v127
	v_fmac_f32_e32 v158, v106, v141
	v_add_f32_e32 v80, v80, v157
	s_waitcnt vmcnt(3)
	v_fma_f32 v82, v109, v143, -v82
	v_mul_f32_e32 v160, v109, v127
	v_fmac_f32_e32 v159, v108, v142
	v_add_f32_e32 v80, v80, v158
	v_add_f32_e32 v81, v81, v82
	v_mul_f32_e32 v82, v112, v128
	v_mul_f32_e32 v161, v111, v128
	v_fmac_f32_e32 v160, v110, v143
	v_add_f32_e32 v80, v80, v159
	s_waitcnt vmcnt(2)
	v_fma_f32 v82, v111, v144, -v82
	v_fmac_f32_e32 v161, v112, v144
	v_add_f32_e32 v80, v80, v160
	v_add_f32_e32 v81, v81, v82
	;; [unrolled: 1-line block ×3, first 2 shown]
	s_waitcnt vmcnt(1)
	v_sub_f32_e32 v81, v145, v81
	s_waitcnt vmcnt(0)
	v_sub_f32_e32 v80, v146, v80
	buffer_store_dword v81, off, s[0:3], 0 offset:176
	buffer_store_dword v80, off, s[0:3], 0 offset:180
	s_and_saveexec_b64 s[4:5], vcc
	s_cbranch_execz .LBB102_205
; %bb.204:
	buffer_load_dword v80, off, s[0:3], 0 offset:168
	buffer_load_dword v81, off, s[0:3], 0 offset:172
	v_mov_b32_e32 v82, 0
	buffer_store_dword v82, off, s[0:3], 0 offset:168
	buffer_store_dword v82, off, s[0:3], 0 offset:172
	s_waitcnt vmcnt(2)
	ds_write_b64 v79, v[80:81]
.LBB102_205:
	s_or_b64 exec, exec, s[4:5]
	s_waitcnt lgkmcnt(0)
	; wave barrier
	buffer_load_dword v115, off, s[0:3], 0 offset:180
	buffer_load_dword v116, off, s[0:3], 0 offset:188
	;; [unrolled: 1-line block ×36, first 2 shown]
	v_mov_b32_e32 v80, 0
	ds_read_b128 v[81:84], v80 offset:496
	ds_read_b128 v[85:88], v80 offset:512
	;; [unrolled: 1-line block ×8, first 2 shown]
	ds_read_b64 v[113:114], v80 offset:624
	v_cmp_lt_u32_e32 vcc, 20, v0
	s_waitcnt vmcnt(35) lgkmcnt(8)
	v_mul_f32_e32 v151, v81, v115
	s_waitcnt vmcnt(34)
	v_mul_f32_e32 v152, v83, v116
	s_waitcnt vmcnt(33) lgkmcnt(7)
	v_mul_f32_e32 v153, v85, v117
	s_waitcnt vmcnt(32)
	v_mul_f32_e32 v154, v87, v118
	;; [unrolled: 4-line block ×8, first 2 shown]
	s_waitcnt vmcnt(19) lgkmcnt(0)
	v_mul_f32_e32 v167, v113, v131
	s_waitcnt vmcnt(18)
	v_fmac_f32_e32 v151, v82, v132
	v_mul_f32_e32 v82, v82, v115
	v_fma_f32 v81, v81, v132, -v82
	v_mul_f32_e32 v82, v84, v116
	v_add_f32_e32 v81, 0, v81
	s_waitcnt vmcnt(17)
	v_fma_f32 v82, v83, v133, -v82
	v_add_f32_e32 v81, v81, v82
	v_mul_f32_e32 v82, v86, v117
	s_waitcnt vmcnt(16)
	v_fma_f32 v82, v85, v134, -v82
	v_add_f32_e32 v81, v81, v82
	v_mul_f32_e32 v82, v88, v118
	;; [unrolled: 4-line block ×8, first 2 shown]
	v_fmac_f32_e32 v152, v84, v133
	v_add_f32_e32 v151, 0, v151
	s_waitcnt vmcnt(9)
	v_fma_f32 v82, v99, v141, -v82
	v_fmac_f32_e32 v153, v86, v134
	v_add_f32_e32 v151, v151, v152
	v_add_f32_e32 v81, v81, v82
	v_mul_f32_e32 v82, v102, v125
	v_fmac_f32_e32 v154, v88, v135
	v_add_f32_e32 v151, v151, v153
	s_waitcnt vmcnt(8)
	v_fma_f32 v82, v101, v142, -v82
	v_fmac_f32_e32 v155, v90, v136
	v_add_f32_e32 v151, v151, v154
	v_add_f32_e32 v81, v81, v82
	v_mul_f32_e32 v82, v104, v126
	;; [unrolled: 8-line block ×7, first 2 shown]
	v_fmac_f32_e32 v166, v112, v147
	v_add_f32_e32 v151, v151, v165
	s_waitcnt vmcnt(2)
	v_fma_f32 v82, v113, v148, -v82
	v_fmac_f32_e32 v167, v114, v148
	v_add_f32_e32 v151, v151, v166
	v_add_f32_e32 v81, v81, v82
	v_add_f32_e32 v151, v151, v167
	s_waitcnt vmcnt(1)
	v_sub_f32_e32 v81, v149, v81
	s_waitcnt vmcnt(0)
	v_sub_f32_e32 v82, v150, v151
	buffer_store_dword v81, off, s[0:3], 0 offset:168
	buffer_store_dword v82, off, s[0:3], 0 offset:172
	s_and_saveexec_b64 s[4:5], vcc
	s_cbranch_execz .LBB102_207
; %bb.206:
	buffer_load_dword v81, off, s[0:3], 0 offset:160
	buffer_load_dword v82, off, s[0:3], 0 offset:164
	s_waitcnt vmcnt(0)
	ds_write_b64 v79, v[81:82]
	buffer_store_dword v80, off, s[0:3], 0 offset:160
	buffer_store_dword v80, off, s[0:3], 0 offset:164
.LBB102_207:
	s_or_b64 exec, exec, s[4:5]
	s_waitcnt lgkmcnt(0)
	; wave barrier
	buffer_load_dword v117, off, s[0:3], 0 offset:172
	buffer_load_dword v118, off, s[0:3], 0 offset:180
	buffer_load_dword v119, off, s[0:3], 0 offset:188
	buffer_load_dword v120, off, s[0:3], 0 offset:196
	buffer_load_dword v121, off, s[0:3], 0 offset:204
	buffer_load_dword v122, off, s[0:3], 0 offset:212
	buffer_load_dword v123, off, s[0:3], 0 offset:220
	buffer_load_dword v124, off, s[0:3], 0 offset:228
	buffer_load_dword v125, off, s[0:3], 0 offset:236
	buffer_load_dword v126, off, s[0:3], 0 offset:244
	buffer_load_dword v127, off, s[0:3], 0 offset:252
	buffer_load_dword v128, off, s[0:3], 0 offset:260
	buffer_load_dword v129, off, s[0:3], 0 offset:268
	buffer_load_dword v130, off, s[0:3], 0 offset:276
	buffer_load_dword v131, off, s[0:3], 0 offset:284
	buffer_load_dword v132, off, s[0:3], 0 offset:292
	buffer_load_dword v133, off, s[0:3], 0 offset:300
	buffer_load_dword v134, off, s[0:3], 0 offset:168
	buffer_load_dword v135, off, s[0:3], 0 offset:176
	buffer_load_dword v136, off, s[0:3], 0 offset:184
	buffer_load_dword v137, off, s[0:3], 0 offset:192
	buffer_load_dword v138, off, s[0:3], 0 offset:200
	buffer_load_dword v139, off, s[0:3], 0 offset:208
	buffer_load_dword v140, off, s[0:3], 0 offset:216
	buffer_load_dword v141, off, s[0:3], 0 offset:224
	buffer_load_dword v142, off, s[0:3], 0 offset:232
	buffer_load_dword v143, off, s[0:3], 0 offset:240
	buffer_load_dword v144, off, s[0:3], 0 offset:248
	buffer_load_dword v145, off, s[0:3], 0 offset:256
	buffer_load_dword v146, off, s[0:3], 0 offset:264
	buffer_load_dword v147, off, s[0:3], 0 offset:272
	buffer_load_dword v148, off, s[0:3], 0 offset:280
	buffer_load_dword v149, off, s[0:3], 0 offset:288
	buffer_load_dword v150, off, s[0:3], 0 offset:296
	buffer_load_dword v151, off, s[0:3], 0 offset:308
	buffer_load_dword v152, off, s[0:3], 0 offset:304
	buffer_load_dword v153, off, s[0:3], 0 offset:160
	buffer_load_dword v154, off, s[0:3], 0 offset:164
	ds_read2_b64 v[81:84], v80 offset0:61 offset1:62
	ds_read2_b64 v[85:88], v80 offset0:63 offset1:64
	;; [unrolled: 1-line block ×9, first 2 shown]
	v_cmp_lt_u32_e32 vcc, 19, v0
	s_waitcnt vmcnt(37) lgkmcnt(8)
	v_mul_f32_e32 v80, v81, v117
	s_waitcnt vmcnt(36)
	v_mul_f32_e32 v155, v83, v118
	s_waitcnt vmcnt(35) lgkmcnt(7)
	v_mul_f32_e32 v156, v85, v119
	s_waitcnt vmcnt(34)
	v_mul_f32_e32 v157, v87, v120
	;; [unrolled: 4-line block ×8, first 2 shown]
	s_waitcnt vmcnt(21) lgkmcnt(0)
	v_mul_f32_e32 v170, v113, v133
	s_waitcnt vmcnt(20)
	v_fmac_f32_e32 v80, v82, v134
	v_mul_f32_e32 v82, v82, v117
	v_fma_f32 v81, v81, v134, -v82
	v_mul_f32_e32 v82, v84, v118
	v_add_f32_e32 v81, 0, v81
	s_waitcnt vmcnt(19)
	v_fma_f32 v82, v83, v135, -v82
	v_add_f32_e32 v81, v81, v82
	v_mul_f32_e32 v82, v86, v119
	s_waitcnt vmcnt(18)
	v_fma_f32 v82, v85, v136, -v82
	v_add_f32_e32 v81, v81, v82
	v_mul_f32_e32 v82, v88, v120
	;; [unrolled: 4-line block ×8, first 2 shown]
	s_waitcnt vmcnt(11)
	v_fma_f32 v82, v99, v143, -v82
	v_fmac_f32_e32 v155, v84, v135
	v_add_f32_e32 v80, 0, v80
	v_add_f32_e32 v81, v81, v82
	v_mul_f32_e32 v82, v102, v127
	v_fmac_f32_e32 v156, v86, v136
	v_add_f32_e32 v80, v80, v155
	s_waitcnt vmcnt(10)
	v_fma_f32 v82, v101, v144, -v82
	v_fmac_f32_e32 v157, v88, v137
	v_add_f32_e32 v80, v80, v156
	v_add_f32_e32 v81, v81, v82
	v_mul_f32_e32 v82, v104, v128
	v_fmac_f32_e32 v158, v90, v138
	v_add_f32_e32 v80, v80, v157
	;; [unrolled: 8-line block ×7, first 2 shown]
	s_waitcnt vmcnt(4)
	v_fma_f32 v82, v113, v150, -v82
	v_fmac_f32_e32 v169, v112, v149
	v_add_f32_e32 v80, v80, v168
	v_add_f32_e32 v81, v81, v82
	s_waitcnt vmcnt(3)
	v_mul_f32_e32 v82, v116, v151
	v_add_f32_e32 v80, v80, v169
	v_fmac_f32_e32 v170, v114, v150
	v_mul_f32_e32 v155, v115, v151
	s_waitcnt vmcnt(2)
	v_fma_f32 v82, v115, v152, -v82
	v_add_f32_e32 v80, v80, v170
	v_fmac_f32_e32 v155, v116, v152
	v_add_f32_e32 v81, v81, v82
	v_add_f32_e32 v80, v80, v155
	s_waitcnt vmcnt(1)
	v_sub_f32_e32 v81, v153, v81
	s_waitcnt vmcnt(0)
	v_sub_f32_e32 v80, v154, v80
	buffer_store_dword v81, off, s[0:3], 0 offset:160
	buffer_store_dword v80, off, s[0:3], 0 offset:164
	s_and_saveexec_b64 s[4:5], vcc
	s_cbranch_execz .LBB102_209
; %bb.208:
	buffer_load_dword v80, off, s[0:3], 0 offset:152
	buffer_load_dword v81, off, s[0:3], 0 offset:156
	v_mov_b32_e32 v82, 0
	buffer_store_dword v82, off, s[0:3], 0 offset:152
	buffer_store_dword v82, off, s[0:3], 0 offset:156
	s_waitcnt vmcnt(2)
	ds_write_b64 v79, v[80:81]
.LBB102_209:
	s_or_b64 exec, exec, s[4:5]
	s_waitcnt lgkmcnt(0)
	; wave barrier
	buffer_load_dword v119, off, s[0:3], 0 offset:164
	buffer_load_dword v120, off, s[0:3], 0 offset:172
	;; [unrolled: 1-line block ×40, first 2 shown]
	v_mov_b32_e32 v80, 0
	ds_read_b128 v[81:84], v80 offset:480
	ds_read_b128 v[85:88], v80 offset:496
	ds_read_b128 v[89:92], v80 offset:512
	ds_read_b128 v[93:96], v80 offset:528
	ds_read_b128 v[97:100], v80 offset:544
	ds_read_b128 v[101:104], v80 offset:560
	ds_read_b128 v[105:108], v80 offset:576
	ds_read_b128 v[109:112], v80 offset:592
	ds_read_b128 v[113:116], v80 offset:608
	v_cmp_lt_u32_e32 vcc, 18, v0
	s_waitcnt vmcnt(39) lgkmcnt(8)
	v_mul_f32_e32 v117, v81, v119
	s_waitcnt vmcnt(38)
	v_mul_f32_e32 v118, v83, v120
	s_waitcnt vmcnt(37) lgkmcnt(7)
	v_mul_f32_e32 v159, v85, v121
	s_waitcnt vmcnt(36)
	v_mul_f32_e32 v160, v87, v122
	;; [unrolled: 4-line block ×7, first 2 shown]
	s_waitcnt vmcnt(25) lgkmcnt(1)
	v_mul_f32_e32 v171, v109, v133
	s_waitcnt vmcnt(24)
	v_fmac_f32_e32 v117, v82, v134
	v_mul_f32_e32 v82, v82, v119
	v_fma_f32 v81, v81, v134, -v82
	v_mul_f32_e32 v82, v84, v120
	v_add_f32_e32 v81, 0, v81
	s_waitcnt vmcnt(23)
	v_fma_f32 v82, v83, v135, -v82
	v_add_f32_e32 v81, v81, v82
	v_mul_f32_e32 v82, v86, v121
	s_waitcnt vmcnt(22)
	v_fma_f32 v82, v85, v136, -v82
	v_add_f32_e32 v81, v81, v82
	v_mul_f32_e32 v82, v88, v122
	s_waitcnt vmcnt(21)
	v_fma_f32 v82, v87, v137, -v82
	v_add_f32_e32 v81, v81, v82
	v_mul_f32_e32 v82, v90, v123
	s_waitcnt vmcnt(20)
	v_fma_f32 v82, v89, v138, -v82
	v_add_f32_e32 v81, v81, v82
	v_mul_f32_e32 v82, v92, v124
	s_waitcnt vmcnt(19)
	v_fma_f32 v82, v91, v139, -v82
	v_add_f32_e32 v81, v81, v82
	v_mul_f32_e32 v82, v94, v125
	s_waitcnt vmcnt(18)
	v_fma_f32 v82, v93, v140, -v82
	v_add_f32_e32 v81, v81, v82
	v_mul_f32_e32 v82, v96, v126
	s_waitcnt vmcnt(17)
	v_fma_f32 v82, v95, v141, -v82
	v_fmac_f32_e32 v118, v84, v135
	v_add_f32_e32 v117, 0, v117
	v_add_f32_e32 v81, v81, v82
	v_mul_f32_e32 v82, v98, v127
	v_fmac_f32_e32 v159, v86, v136
	v_add_f32_e32 v117, v117, v118
	s_waitcnt vmcnt(16)
	v_fma_f32 v82, v97, v142, -v82
	v_fmac_f32_e32 v160, v88, v137
	v_add_f32_e32 v117, v117, v159
	v_add_f32_e32 v81, v81, v82
	v_mul_f32_e32 v82, v100, v128
	v_fmac_f32_e32 v161, v90, v138
	v_add_f32_e32 v117, v117, v160
	;; [unrolled: 8-line block ×6, first 2 shown]
	s_waitcnt vmcnt(11)
	v_fma_f32 v82, v107, v147, -v82
	v_fmac_f32_e32 v170, v108, v147
	v_add_f32_e32 v117, v117, v169
	v_add_f32_e32 v81, v81, v82
	v_mul_f32_e32 v82, v110, v133
	s_waitcnt vmcnt(10)
	v_fmac_f32_e32 v171, v110, v148
	v_add_f32_e32 v117, v117, v170
	s_waitcnt vmcnt(9)
	v_mul_f32_e32 v118, v111, v149
	v_fma_f32 v82, v109, v148, -v82
	v_add_f32_e32 v117, v117, v171
	s_waitcnt vmcnt(8)
	v_fmac_f32_e32 v118, v112, v150
	v_add_f32_e32 v81, v81, v82
	v_mul_f32_e32 v82, v112, v149
	v_add_f32_e32 v159, v117, v118
	ds_read_b64 v[117:118], v80 offset:624
	v_fma_f32 v82, v111, v150, -v82
	v_add_f32_e32 v81, v81, v82
	s_waitcnt vmcnt(7) lgkmcnt(1)
	v_mul_f32_e32 v82, v114, v151
	v_mul_f32_e32 v160, v113, v151
	s_waitcnt vmcnt(6)
	v_fma_f32 v82, v113, v152, -v82
	v_fmac_f32_e32 v160, v114, v152
	v_add_f32_e32 v81, v81, v82
	s_waitcnt vmcnt(5)
	v_mul_f32_e32 v82, v116, v153
	v_add_f32_e32 v159, v159, v160
	v_mul_f32_e32 v160, v115, v153
	s_waitcnt vmcnt(4)
	v_fma_f32 v82, v115, v154, -v82
	v_fmac_f32_e32 v160, v116, v154
	v_add_f32_e32 v81, v81, v82
	s_waitcnt vmcnt(3) lgkmcnt(0)
	v_mul_f32_e32 v82, v118, v155
	v_add_f32_e32 v159, v159, v160
	v_mul_f32_e32 v160, v117, v155
	s_waitcnt vmcnt(2)
	v_fma_f32 v82, v117, v156, -v82
	v_fmac_f32_e32 v160, v118, v156
	v_add_f32_e32 v81, v81, v82
	v_add_f32_e32 v159, v159, v160
	s_waitcnt vmcnt(1)
	v_sub_f32_e32 v81, v157, v81
	s_waitcnt vmcnt(0)
	v_sub_f32_e32 v82, v158, v159
	buffer_store_dword v81, off, s[0:3], 0 offset:152
	buffer_store_dword v82, off, s[0:3], 0 offset:156
	s_and_saveexec_b64 s[4:5], vcc
	s_cbranch_execz .LBB102_211
; %bb.210:
	buffer_load_dword v81, off, s[0:3], 0 offset:144
	buffer_load_dword v82, off, s[0:3], 0 offset:148
	s_waitcnt vmcnt(0)
	ds_write_b64 v79, v[81:82]
	buffer_store_dword v80, off, s[0:3], 0 offset:144
	buffer_store_dword v80, off, s[0:3], 0 offset:148
.LBB102_211:
	s_or_b64 exec, exec, s[4:5]
	s_waitcnt lgkmcnt(0)
	; wave barrier
	buffer_load_dword v121, off, s[0:3], 0 offset:156
	buffer_load_dword v122, off, s[0:3], 0 offset:164
	;; [unrolled: 1-line block ×42, first 2 shown]
	ds_read2_b64 v[81:84], v80 offset0:59 offset1:60
	ds_read2_b64 v[85:88], v80 offset0:61 offset1:62
	;; [unrolled: 1-line block ×8, first 2 shown]
	v_cmp_lt_u32_e32 vcc, 17, v0
	s_waitcnt vmcnt(41) lgkmcnt(7)
	v_mul_f32_e32 v113, v81, v121
	s_waitcnt vmcnt(40)
	v_mul_f32_e32 v114, v83, v122
	s_waitcnt vmcnt(39) lgkmcnt(6)
	v_mul_f32_e32 v115, v85, v123
	s_waitcnt vmcnt(38)
	v_mul_f32_e32 v116, v87, v124
	;; [unrolled: 4-line block ×7, first 2 shown]
	s_waitcnt vmcnt(27) lgkmcnt(0)
	v_mul_f32_e32 v169, v109, v135
	s_waitcnt vmcnt(26)
	v_fmac_f32_e32 v113, v82, v136
	v_mul_f32_e32 v82, v82, v121
	v_fma_f32 v81, v81, v136, -v82
	v_mul_f32_e32 v82, v84, v122
	v_add_f32_e32 v81, 0, v81
	s_waitcnt vmcnt(25)
	v_fma_f32 v82, v83, v137, -v82
	v_add_f32_e32 v81, v81, v82
	v_mul_f32_e32 v82, v86, v123
	s_waitcnt vmcnt(24)
	v_fma_f32 v82, v85, v138, -v82
	v_add_f32_e32 v81, v81, v82
	v_mul_f32_e32 v82, v88, v124
	;; [unrolled: 4-line block ×5, first 2 shown]
	v_fmac_f32_e32 v114, v84, v137
	v_add_f32_e32 v113, 0, v113
	s_waitcnt vmcnt(20)
	v_fma_f32 v82, v93, v142, -v82
	v_fmac_f32_e32 v115, v86, v138
	v_add_f32_e32 v113, v113, v114
	v_add_f32_e32 v81, v81, v82
	v_mul_f32_e32 v82, v96, v128
	v_fmac_f32_e32 v116, v88, v139
	v_add_f32_e32 v113, v113, v115
	s_waitcnt vmcnt(19)
	v_fma_f32 v82, v95, v143, -v82
	v_fmac_f32_e32 v117, v90, v140
	v_add_f32_e32 v113, v113, v116
	v_add_f32_e32 v81, v81, v82
	v_mul_f32_e32 v82, v98, v129
	;; [unrolled: 8-line block ×5, first 2 shown]
	s_waitcnt vmcnt(15)
	v_fmac_f32_e32 v166, v104, v147
	v_add_f32_e32 v113, v113, v165
	v_fma_f32 v82, v103, v147, -v82
	s_waitcnt vmcnt(14)
	v_fmac_f32_e32 v167, v106, v148
	v_add_f32_e32 v113, v113, v166
	v_add_f32_e32 v81, v81, v82
	v_mul_f32_e32 v82, v106, v133
	s_waitcnt vmcnt(13)
	v_fmac_f32_e32 v168, v108, v149
	v_add_f32_e32 v113, v113, v167
	v_fma_f32 v82, v105, v148, -v82
	s_waitcnt vmcnt(12)
	v_fmac_f32_e32 v169, v110, v150
	v_add_f32_e32 v113, v113, v168
	v_add_f32_e32 v81, v81, v82
	v_mul_f32_e32 v82, v108, v134
	v_add_f32_e32 v117, v113, v169
	ds_read2_b64 v[113:116], v80 offset0:75 offset1:76
	v_fma_f32 v82, v107, v149, -v82
	v_add_f32_e32 v81, v81, v82
	v_mul_f32_e32 v82, v110, v135
	s_waitcnt vmcnt(11)
	v_mul_f32_e32 v118, v111, v151
	v_fma_f32 v82, v109, v150, -v82
	s_waitcnt vmcnt(10)
	v_fmac_f32_e32 v118, v112, v152
	v_add_f32_e32 v81, v81, v82
	v_mul_f32_e32 v82, v112, v151
	v_add_f32_e32 v163, v117, v118
	ds_read2_b64 v[117:120], v80 offset0:77 offset1:78
	v_fma_f32 v82, v111, v152, -v82
	v_add_f32_e32 v81, v81, v82
	s_waitcnt vmcnt(9) lgkmcnt(1)
	v_mul_f32_e32 v82, v114, v153
	v_mul_f32_e32 v80, v113, v153
	s_waitcnt vmcnt(8)
	v_fma_f32 v82, v113, v154, -v82
	v_fmac_f32_e32 v80, v114, v154
	v_add_f32_e32 v81, v81, v82
	s_waitcnt vmcnt(7)
	v_mul_f32_e32 v82, v116, v155
	v_add_f32_e32 v80, v163, v80
	v_mul_f32_e32 v163, v115, v155
	s_waitcnt vmcnt(6)
	v_fma_f32 v82, v115, v156, -v82
	v_fmac_f32_e32 v163, v116, v156
	v_add_f32_e32 v81, v81, v82
	s_waitcnt vmcnt(5) lgkmcnt(0)
	v_mul_f32_e32 v82, v118, v157
	v_add_f32_e32 v80, v80, v163
	v_mul_f32_e32 v163, v117, v157
	s_waitcnt vmcnt(4)
	v_fma_f32 v82, v117, v158, -v82
	v_fmac_f32_e32 v163, v118, v158
	v_add_f32_e32 v81, v81, v82
	s_waitcnt vmcnt(3)
	v_mul_f32_e32 v82, v120, v159
	v_add_f32_e32 v80, v80, v163
	v_mul_f32_e32 v163, v119, v159
	s_waitcnt vmcnt(2)
	v_fma_f32 v82, v119, v160, -v82
	v_fmac_f32_e32 v163, v120, v160
	v_add_f32_e32 v81, v81, v82
	v_add_f32_e32 v80, v80, v163
	s_waitcnt vmcnt(1)
	v_sub_f32_e32 v81, v161, v81
	s_waitcnt vmcnt(0)
	v_sub_f32_e32 v80, v162, v80
	buffer_store_dword v81, off, s[0:3], 0 offset:144
	buffer_store_dword v80, off, s[0:3], 0 offset:148
	s_and_saveexec_b64 s[4:5], vcc
	s_cbranch_execz .LBB102_213
; %bb.212:
	buffer_load_dword v80, off, s[0:3], 0 offset:136
	buffer_load_dword v81, off, s[0:3], 0 offset:140
	v_mov_b32_e32 v82, 0
	buffer_store_dword v82, off, s[0:3], 0 offset:136
	buffer_store_dword v82, off, s[0:3], 0 offset:140
	s_waitcnt vmcnt(2)
	ds_write_b64 v79, v[80:81]
.LBB102_213:
	s_or_b64 exec, exec, s[4:5]
	s_waitcnt lgkmcnt(0)
	; wave barrier
	buffer_load_dword v123, off, s[0:3], 0 offset:148
	buffer_load_dword v124, off, s[0:3], 0 offset:156
	;; [unrolled: 1-line block ×44, first 2 shown]
	v_mov_b32_e32 v80, 0
	ds_read_b128 v[81:84], v80 offset:464
	ds_read_b128 v[85:88], v80 offset:480
	;; [unrolled: 1-line block ×8, first 2 shown]
	v_cmp_lt_u32_e32 vcc, 16, v0
	s_waitcnt vmcnt(43) lgkmcnt(7)
	v_mul_f32_e32 v113, v81, v123
	s_waitcnt vmcnt(42)
	v_mul_f32_e32 v114, v83, v124
	s_waitcnt vmcnt(41) lgkmcnt(6)
	v_mul_f32_e32 v115, v85, v125
	s_waitcnt vmcnt(40)
	v_mul_f32_e32 v116, v87, v126
	;; [unrolled: 4-line block ×7, first 2 shown]
	s_waitcnt vmcnt(29)
	v_fmac_f32_e32 v113, v82, v137
	v_mul_f32_e32 v82, v82, v123
	v_fma_f32 v81, v81, v137, -v82
	v_mul_f32_e32 v82, v84, v124
	v_add_f32_e32 v81, 0, v81
	s_waitcnt vmcnt(28)
	v_fma_f32 v82, v83, v138, -v82
	v_add_f32_e32 v81, v81, v82
	v_mul_f32_e32 v82, v86, v125
	s_waitcnt vmcnt(27)
	v_fma_f32 v82, v85, v139, -v82
	v_add_f32_e32 v81, v81, v82
	v_mul_f32_e32 v82, v88, v126
	;; [unrolled: 4-line block ×4, first 2 shown]
	s_waitcnt vmcnt(24)
	v_fma_f32 v82, v91, v142, -v82
	v_fmac_f32_e32 v114, v84, v138
	v_add_f32_e32 v113, 0, v113
	v_add_f32_e32 v81, v81, v82
	v_mul_f32_e32 v82, v94, v129
	v_fmac_f32_e32 v115, v86, v139
	v_add_f32_e32 v113, v113, v114
	s_waitcnt vmcnt(23)
	v_fma_f32 v82, v93, v143, -v82
	v_fmac_f32_e32 v116, v88, v140
	v_add_f32_e32 v113, v113, v115
	v_add_f32_e32 v81, v81, v82
	v_mul_f32_e32 v82, v96, v130
	v_fmac_f32_e32 v117, v90, v141
	v_add_f32_e32 v113, v113, v116
	;; [unrolled: 8-line block ×4, first 2 shown]
	s_waitcnt vmcnt(20)
	v_fma_f32 v82, v99, v146, -v82
	v_fmac_f32_e32 v122, v100, v146
	v_add_f32_e32 v113, v113, v121
	v_add_f32_e32 v81, v81, v82
	v_mul_f32_e32 v82, v102, v133
	s_waitcnt vmcnt(19)
	v_fmac_f32_e32 v167, v102, v147
	v_add_f32_e32 v113, v113, v122
	v_fma_f32 v82, v101, v147, -v82
	s_waitcnt vmcnt(18)
	v_fmac_f32_e32 v168, v104, v148
	v_add_f32_e32 v113, v113, v167
	v_add_f32_e32 v81, v81, v82
	v_mul_f32_e32 v82, v104, v134
	s_waitcnt vmcnt(17)
	v_fmac_f32_e32 v169, v106, v149
	v_add_f32_e32 v113, v113, v168
	v_fma_f32 v82, v103, v148, -v82
	v_add_f32_e32 v113, v113, v169
	s_waitcnt vmcnt(16)
	v_fmac_f32_e32 v170, v108, v150
	s_waitcnt vmcnt(15) lgkmcnt(0)
	v_mul_f32_e32 v114, v109, v151
	v_add_f32_e32 v81, v81, v82
	v_mul_f32_e32 v82, v106, v135
	v_add_f32_e32 v113, v113, v170
	s_waitcnt vmcnt(14)
	v_fmac_f32_e32 v114, v110, v152
	v_fma_f32 v82, v105, v149, -v82
	v_add_f32_e32 v117, v113, v114
	ds_read_b128 v[113:116], v80 offset:592
	v_add_f32_e32 v81, v81, v82
	v_mul_f32_e32 v82, v108, v136
	v_fma_f32 v82, v107, v150, -v82
	v_add_f32_e32 v81, v81, v82
	v_mul_f32_e32 v82, v110, v151
	s_waitcnt vmcnt(13)
	v_mul_f32_e32 v118, v111, v153
	v_fma_f32 v82, v109, v152, -v82
	s_waitcnt vmcnt(12)
	v_fmac_f32_e32 v118, v112, v154
	v_add_f32_e32 v81, v81, v82
	v_mul_f32_e32 v82, v112, v153
	v_add_f32_e32 v121, v117, v118
	ds_read_b128 v[117:120], v80 offset:608
	s_waitcnt vmcnt(11) lgkmcnt(1)
	v_mul_f32_e32 v122, v113, v155
	v_fma_f32 v82, v111, v154, -v82
	s_waitcnt vmcnt(10)
	v_fmac_f32_e32 v122, v114, v156
	v_add_f32_e32 v81, v81, v82
	v_mul_f32_e32 v82, v114, v155
	v_add_f32_e32 v121, v121, v122
	s_waitcnt vmcnt(9)
	v_mul_f32_e32 v122, v115, v157
	v_fma_f32 v82, v113, v156, -v82
	s_waitcnt vmcnt(8)
	v_fmac_f32_e32 v122, v116, v158
	v_add_f32_e32 v81, v81, v82
	v_mul_f32_e32 v82, v116, v157
	v_add_f32_e32 v167, v121, v122
	ds_read_b64 v[121:122], v80 offset:624
	v_fma_f32 v82, v115, v158, -v82
	v_add_f32_e32 v81, v81, v82
	s_waitcnt vmcnt(7) lgkmcnt(1)
	v_mul_f32_e32 v82, v118, v159
	v_mul_f32_e32 v168, v117, v159
	s_waitcnt vmcnt(6)
	v_fma_f32 v82, v117, v160, -v82
	v_fmac_f32_e32 v168, v118, v160
	v_add_f32_e32 v81, v81, v82
	s_waitcnt vmcnt(5)
	v_mul_f32_e32 v82, v120, v161
	v_add_f32_e32 v167, v167, v168
	v_mul_f32_e32 v168, v119, v161
	s_waitcnt vmcnt(4)
	v_fma_f32 v82, v119, v162, -v82
	v_fmac_f32_e32 v168, v120, v162
	v_add_f32_e32 v81, v81, v82
	s_waitcnt vmcnt(3) lgkmcnt(0)
	v_mul_f32_e32 v82, v122, v163
	v_add_f32_e32 v167, v167, v168
	v_mul_f32_e32 v168, v121, v163
	s_waitcnt vmcnt(2)
	v_fma_f32 v82, v121, v164, -v82
	v_fmac_f32_e32 v168, v122, v164
	v_add_f32_e32 v81, v81, v82
	v_add_f32_e32 v167, v167, v168
	s_waitcnt vmcnt(1)
	v_sub_f32_e32 v81, v165, v81
	s_waitcnt vmcnt(0)
	v_sub_f32_e32 v82, v166, v167
	buffer_store_dword v81, off, s[0:3], 0 offset:136
	buffer_store_dword v82, off, s[0:3], 0 offset:140
	s_and_saveexec_b64 s[4:5], vcc
	s_cbranch_execz .LBB102_215
; %bb.214:
	buffer_load_dword v81, off, s[0:3], 0 offset:128
	buffer_load_dword v82, off, s[0:3], 0 offset:132
	s_waitcnt vmcnt(0)
	ds_write_b64 v79, v[81:82]
	buffer_store_dword v80, off, s[0:3], 0 offset:128
	buffer_store_dword v80, off, s[0:3], 0 offset:132
.LBB102_215:
	s_or_b64 exec, exec, s[4:5]
	s_waitcnt lgkmcnt(0)
	; wave barrier
	buffer_load_dword v125, off, s[0:3], 0 offset:140
	buffer_load_dword v126, off, s[0:3], 0 offset:148
	buffer_load_dword v127, off, s[0:3], 0 offset:156
	buffer_load_dword v128, off, s[0:3], 0 offset:164
	buffer_load_dword v129, off, s[0:3], 0 offset:172
	buffer_load_dword v130, off, s[0:3], 0 offset:180
	buffer_load_dword v131, off, s[0:3], 0 offset:188
	buffer_load_dword v132, off, s[0:3], 0 offset:196
	buffer_load_dword v133, off, s[0:3], 0 offset:204
	buffer_load_dword v134, off, s[0:3], 0 offset:212
	buffer_load_dword v135, off, s[0:3], 0 offset:220
	buffer_load_dword v136, off, s[0:3], 0 offset:228
	buffer_load_dword v137, off, s[0:3], 0 offset:236
	buffer_load_dword v138, off, s[0:3], 0 offset:136
	buffer_load_dword v139, off, s[0:3], 0 offset:144
	buffer_load_dword v140, off, s[0:3], 0 offset:152
	buffer_load_dword v141, off, s[0:3], 0 offset:160
	buffer_load_dword v142, off, s[0:3], 0 offset:168
	buffer_load_dword v143, off, s[0:3], 0 offset:176
	buffer_load_dword v144, off, s[0:3], 0 offset:184
	buffer_load_dword v145, off, s[0:3], 0 offset:192
	buffer_load_dword v146, off, s[0:3], 0 offset:200
	buffer_load_dword v147, off, s[0:3], 0 offset:208
	buffer_load_dword v148, off, s[0:3], 0 offset:216
	buffer_load_dword v149, off, s[0:3], 0 offset:224
	buffer_load_dword v150, off, s[0:3], 0 offset:232
	buffer_load_dword v151, off, s[0:3], 0 offset:244
	buffer_load_dword v152, off, s[0:3], 0 offset:240
	buffer_load_dword v153, off, s[0:3], 0 offset:252
	buffer_load_dword v154, off, s[0:3], 0 offset:248
	buffer_load_dword v155, off, s[0:3], 0 offset:260
	buffer_load_dword v156, off, s[0:3], 0 offset:256
	buffer_load_dword v157, off, s[0:3], 0 offset:268
	buffer_load_dword v158, off, s[0:3], 0 offset:264
	buffer_load_dword v159, off, s[0:3], 0 offset:276
	buffer_load_dword v160, off, s[0:3], 0 offset:272
	buffer_load_dword v161, off, s[0:3], 0 offset:284
	buffer_load_dword v162, off, s[0:3], 0 offset:280
	buffer_load_dword v163, off, s[0:3], 0 offset:292
	buffer_load_dword v164, off, s[0:3], 0 offset:288
	buffer_load_dword v165, off, s[0:3], 0 offset:300
	buffer_load_dword v166, off, s[0:3], 0 offset:296
	buffer_load_dword v167, off, s[0:3], 0 offset:308
	buffer_load_dword v168, off, s[0:3], 0 offset:304
	buffer_load_dword v169, off, s[0:3], 0 offset:128
	buffer_load_dword v170, off, s[0:3], 0 offset:132
	ds_read2_b64 v[81:84], v80 offset0:57 offset1:58
	ds_read2_b64 v[85:88], v80 offset0:59 offset1:60
	ds_read2_b64 v[89:92], v80 offset0:61 offset1:62
	ds_read2_b64 v[93:96], v80 offset0:63 offset1:64
	ds_read2_b64 v[97:100], v80 offset0:65 offset1:66
	ds_read2_b64 v[101:104], v80 offset0:67 offset1:68
	ds_read2_b64 v[105:108], v80 offset0:69 offset1:70
	ds_read2_b64 v[109:112], v80 offset0:71 offset1:72
	v_cmp_lt_u32_e32 vcc, 15, v0
	s_waitcnt vmcnt(45) lgkmcnt(7)
	v_mul_f32_e32 v113, v81, v125
	s_waitcnt vmcnt(44)
	v_mul_f32_e32 v114, v83, v126
	s_waitcnt vmcnt(43) lgkmcnt(6)
	v_mul_f32_e32 v115, v85, v127
	s_waitcnt vmcnt(42)
	v_mul_f32_e32 v116, v87, v128
	;; [unrolled: 4-line block ×6, first 2 shown]
	s_waitcnt vmcnt(33) lgkmcnt(1)
	v_mul_f32_e32 v171, v105, v137
	s_waitcnt vmcnt(32)
	v_fmac_f32_e32 v113, v82, v138
	v_mul_f32_e32 v82, v82, v125
	v_fma_f32 v81, v81, v138, -v82
	v_mul_f32_e32 v82, v84, v126
	v_add_f32_e32 v81, 0, v81
	s_waitcnt vmcnt(31)
	v_fma_f32 v82, v83, v139, -v82
	v_add_f32_e32 v81, v81, v82
	v_mul_f32_e32 v82, v86, v127
	s_waitcnt vmcnt(30)
	v_fma_f32 v82, v85, v140, -v82
	v_add_f32_e32 v81, v81, v82
	v_mul_f32_e32 v82, v88, v128
	;; [unrolled: 4-line block ×4, first 2 shown]
	v_fmac_f32_e32 v114, v84, v139
	v_add_f32_e32 v113, 0, v113
	s_waitcnt vmcnt(27)
	v_fma_f32 v82, v91, v143, -v82
	v_fmac_f32_e32 v115, v86, v140
	v_add_f32_e32 v113, v113, v114
	v_add_f32_e32 v81, v81, v82
	v_mul_f32_e32 v82, v94, v131
	v_fmac_f32_e32 v116, v88, v141
	v_add_f32_e32 v113, v113, v115
	s_waitcnt vmcnt(26)
	v_fma_f32 v82, v93, v144, -v82
	v_fmac_f32_e32 v117, v90, v142
	v_add_f32_e32 v113, v113, v116
	v_add_f32_e32 v81, v81, v82
	v_mul_f32_e32 v82, v96, v132
	;; [unrolled: 8-line block ×4, first 2 shown]
	s_waitcnt vmcnt(23)
	v_fmac_f32_e32 v122, v100, v147
	v_add_f32_e32 v113, v113, v121
	v_fma_f32 v82, v99, v147, -v82
	s_waitcnt vmcnt(22)
	v_fmac_f32_e32 v123, v102, v148
	v_add_f32_e32 v113, v113, v122
	v_add_f32_e32 v81, v81, v82
	v_mul_f32_e32 v82, v102, v135
	s_waitcnt vmcnt(21)
	v_fmac_f32_e32 v124, v104, v149
	v_add_f32_e32 v113, v113, v123
	v_fma_f32 v82, v101, v148, -v82
	s_waitcnt vmcnt(20)
	v_fmac_f32_e32 v171, v106, v150
	v_add_f32_e32 v113, v113, v124
	s_waitcnt vmcnt(19)
	v_mul_f32_e32 v114, v107, v151
	v_add_f32_e32 v81, v81, v82
	v_mul_f32_e32 v82, v104, v136
	v_add_f32_e32 v113, v113, v171
	s_waitcnt vmcnt(18)
	v_fmac_f32_e32 v114, v108, v152
	v_fma_f32 v82, v103, v149, -v82
	v_add_f32_e32 v113, v113, v114
	s_waitcnt vmcnt(17) lgkmcnt(0)
	v_mul_f32_e32 v114, v109, v153
	v_add_f32_e32 v81, v81, v82
	v_mul_f32_e32 v82, v106, v137
	s_waitcnt vmcnt(16)
	v_fmac_f32_e32 v114, v110, v154
	v_fma_f32 v82, v105, v150, -v82
	v_add_f32_e32 v117, v113, v114
	ds_read2_b64 v[113:116], v80 offset0:73 offset1:74
	v_add_f32_e32 v81, v81, v82
	v_mul_f32_e32 v82, v108, v151
	v_fma_f32 v82, v107, v152, -v82
	v_add_f32_e32 v81, v81, v82
	v_mul_f32_e32 v82, v110, v153
	s_waitcnt vmcnt(15)
	v_mul_f32_e32 v118, v111, v155
	v_fma_f32 v82, v109, v154, -v82
	s_waitcnt vmcnt(14)
	v_fmac_f32_e32 v118, v112, v156
	v_add_f32_e32 v81, v81, v82
	v_mul_f32_e32 v82, v112, v155
	v_add_f32_e32 v121, v117, v118
	ds_read2_b64 v[117:120], v80 offset0:75 offset1:76
	s_waitcnt vmcnt(13) lgkmcnt(1)
	v_mul_f32_e32 v122, v113, v157
	v_fma_f32 v82, v111, v156, -v82
	s_waitcnt vmcnt(12)
	v_fmac_f32_e32 v122, v114, v158
	v_add_f32_e32 v81, v81, v82
	v_mul_f32_e32 v82, v114, v157
	v_add_f32_e32 v121, v121, v122
	s_waitcnt vmcnt(11)
	v_mul_f32_e32 v122, v115, v159
	v_fma_f32 v82, v113, v158, -v82
	s_waitcnt vmcnt(10)
	v_fmac_f32_e32 v122, v116, v160
	v_add_f32_e32 v81, v81, v82
	v_mul_f32_e32 v82, v116, v159
	v_add_f32_e32 v171, v121, v122
	ds_read2_b64 v[121:124], v80 offset0:77 offset1:78
	v_fma_f32 v82, v115, v160, -v82
	v_add_f32_e32 v81, v81, v82
	s_waitcnt vmcnt(9) lgkmcnt(1)
	v_mul_f32_e32 v82, v118, v161
	v_mul_f32_e32 v172, v117, v161
	s_waitcnt vmcnt(8)
	v_fma_f32 v82, v117, v162, -v82
	v_fmac_f32_e32 v172, v118, v162
	v_add_f32_e32 v81, v81, v82
	s_waitcnt vmcnt(7)
	v_mul_f32_e32 v82, v120, v163
	v_add_f32_e32 v80, v171, v172
	v_mul_f32_e32 v171, v119, v163
	s_waitcnt vmcnt(6)
	v_fma_f32 v82, v119, v164, -v82
	v_fmac_f32_e32 v171, v120, v164
	v_add_f32_e32 v81, v81, v82
	s_waitcnt vmcnt(5) lgkmcnt(0)
	v_mul_f32_e32 v82, v122, v165
	v_add_f32_e32 v80, v80, v171
	v_mul_f32_e32 v171, v121, v165
	s_waitcnt vmcnt(4)
	v_fma_f32 v82, v121, v166, -v82
	v_fmac_f32_e32 v171, v122, v166
	v_add_f32_e32 v81, v81, v82
	s_waitcnt vmcnt(3)
	v_mul_f32_e32 v82, v124, v167
	v_add_f32_e32 v80, v80, v171
	v_mul_f32_e32 v171, v123, v167
	s_waitcnt vmcnt(2)
	v_fma_f32 v82, v123, v168, -v82
	v_fmac_f32_e32 v171, v124, v168
	v_add_f32_e32 v81, v81, v82
	v_add_f32_e32 v80, v80, v171
	s_waitcnt vmcnt(1)
	v_sub_f32_e32 v81, v169, v81
	s_waitcnt vmcnt(0)
	v_sub_f32_e32 v80, v170, v80
	buffer_store_dword v81, off, s[0:3], 0 offset:128
	buffer_store_dword v80, off, s[0:3], 0 offset:132
	s_and_saveexec_b64 s[4:5], vcc
	s_cbranch_execz .LBB102_217
; %bb.216:
	buffer_load_dword v80, off, s[0:3], 0 offset:120
	buffer_load_dword v81, off, s[0:3], 0 offset:124
	v_mov_b32_e32 v82, 0
	buffer_store_dword v82, off, s[0:3], 0 offset:120
	buffer_store_dword v82, off, s[0:3], 0 offset:124
	s_waitcnt vmcnt(2)
	ds_write_b64 v79, v[80:81]
.LBB102_217:
	s_or_b64 exec, exec, s[4:5]
	s_waitcnt lgkmcnt(0)
	; wave barrier
	buffer_load_dword v127, off, s[0:3], 0 offset:132
	buffer_load_dword v128, off, s[0:3], 0 offset:140
	;; [unrolled: 1-line block ×48, first 2 shown]
	v_mov_b32_e32 v80, 0
	ds_read_b128 v[81:84], v80 offset:448
	ds_read_b128 v[85:88], v80 offset:464
	;; [unrolled: 1-line block ×7, first 2 shown]
	v_cmp_lt_u32_e32 vcc, 14, v0
	s_waitcnt vmcnt(47) lgkmcnt(6)
	v_mul_f32_e32 v109, v81, v127
	s_waitcnt vmcnt(46)
	v_mul_f32_e32 v110, v83, v128
	s_waitcnt vmcnt(45) lgkmcnt(5)
	v_mul_f32_e32 v111, v85, v129
	s_waitcnt vmcnt(44)
	v_mul_f32_e32 v112, v87, v130
	;; [unrolled: 4-line block ×6, first 2 shown]
	s_waitcnt vmcnt(35)
	v_fmac_f32_e32 v109, v82, v139
	v_mul_f32_e32 v82, v82, v127
	v_fma_f32 v81, v81, v139, -v82
	v_mul_f32_e32 v82, v84, v128
	v_add_f32_e32 v81, 0, v81
	s_waitcnt vmcnt(34)
	v_fma_f32 v82, v83, v140, -v82
	v_add_f32_e32 v81, v81, v82
	v_mul_f32_e32 v82, v86, v129
	s_waitcnt vmcnt(33)
	v_fma_f32 v82, v85, v141, -v82
	v_fmac_f32_e32 v110, v84, v140
	v_add_f32_e32 v109, 0, v109
	v_add_f32_e32 v81, v81, v82
	v_mul_f32_e32 v82, v88, v130
	v_fmac_f32_e32 v111, v86, v141
	v_add_f32_e32 v109, v109, v110
	s_waitcnt vmcnt(32)
	v_fma_f32 v82, v87, v142, -v82
	v_fmac_f32_e32 v112, v88, v142
	v_add_f32_e32 v109, v109, v111
	v_add_f32_e32 v81, v81, v82
	v_mul_f32_e32 v82, v90, v131
	s_waitcnt vmcnt(31)
	v_fmac_f32_e32 v113, v90, v143
	v_add_f32_e32 v109, v109, v112
	v_fma_f32 v82, v89, v143, -v82
	s_waitcnt vmcnt(30)
	v_fmac_f32_e32 v114, v92, v144
	v_add_f32_e32 v109, v109, v113
	v_add_f32_e32 v81, v81, v82
	v_mul_f32_e32 v82, v92, v132
	s_waitcnt vmcnt(29)
	v_fmac_f32_e32 v115, v94, v145
	v_add_f32_e32 v109, v109, v114
	v_fma_f32 v82, v91, v144, -v82
	s_waitcnt vmcnt(28)
	;; [unrolled: 9-line block ×4, first 2 shown]
	v_fmac_f32_e32 v120, v104, v150
	v_add_f32_e32 v109, v109, v119
	v_add_f32_e32 v81, v81, v82
	v_mul_f32_e32 v82, v98, v135
	v_add_f32_e32 v113, v109, v120
	ds_read_b128 v[109:112], v80 offset:560
	v_fma_f32 v82, v97, v147, -v82
	s_waitcnt vmcnt(23) lgkmcnt(1)
	v_mul_f32_e32 v114, v105, v151
	v_add_f32_e32 v81, v81, v82
	v_mul_f32_e32 v82, v100, v136
	s_waitcnt vmcnt(22)
	v_fmac_f32_e32 v114, v106, v152
	v_fma_f32 v82, v99, v148, -v82
	v_add_f32_e32 v113, v113, v114
	s_waitcnt vmcnt(21)
	v_mul_f32_e32 v114, v107, v153
	v_add_f32_e32 v81, v81, v82
	v_mul_f32_e32 v82, v102, v137
	s_waitcnt vmcnt(20)
	v_fmac_f32_e32 v114, v108, v154
	v_fma_f32 v82, v101, v149, -v82
	v_add_f32_e32 v113, v113, v114
	s_waitcnt vmcnt(19) lgkmcnt(0)
	v_mul_f32_e32 v114, v109, v155
	v_add_f32_e32 v81, v81, v82
	v_mul_f32_e32 v82, v104, v138
	s_waitcnt vmcnt(18)
	v_fmac_f32_e32 v114, v110, v156
	v_fma_f32 v82, v103, v150, -v82
	v_add_f32_e32 v117, v113, v114
	ds_read_b128 v[113:116], v80 offset:576
	v_add_f32_e32 v81, v81, v82
	v_mul_f32_e32 v82, v106, v151
	v_fma_f32 v82, v105, v152, -v82
	s_waitcnt vmcnt(17)
	v_mul_f32_e32 v118, v111, v157
	v_add_f32_e32 v81, v81, v82
	v_mul_f32_e32 v82, v108, v153
	s_waitcnt vmcnt(16)
	v_fmac_f32_e32 v118, v112, v158
	v_fma_f32 v82, v107, v154, -v82
	v_add_f32_e32 v121, v117, v118
	ds_read_b128 v[117:120], v80 offset:592
	v_add_f32_e32 v81, v81, v82
	v_mul_f32_e32 v82, v110, v155
	s_waitcnt vmcnt(15) lgkmcnt(1)
	v_mul_f32_e32 v122, v113, v159
	v_fma_f32 v82, v109, v156, -v82
	s_waitcnt vmcnt(14)
	v_fmac_f32_e32 v122, v114, v160
	v_add_f32_e32 v81, v81, v82
	v_mul_f32_e32 v82, v112, v157
	v_add_f32_e32 v121, v121, v122
	s_waitcnt vmcnt(13)
	v_mul_f32_e32 v122, v115, v161
	v_fma_f32 v82, v111, v158, -v82
	s_waitcnt vmcnt(12)
	v_fmac_f32_e32 v122, v116, v162
	v_add_f32_e32 v81, v81, v82
	v_mul_f32_e32 v82, v114, v159
	v_add_f32_e32 v121, v121, v122
	s_waitcnt vmcnt(11) lgkmcnt(0)
	v_mul_f32_e32 v122, v117, v163
	v_fma_f32 v82, v113, v160, -v82
	s_waitcnt vmcnt(10)
	v_fmac_f32_e32 v122, v118, v164
	v_add_f32_e32 v81, v81, v82
	v_mul_f32_e32 v82, v116, v161
	v_add_f32_e32 v125, v121, v122
	ds_read_b128 v[121:124], v80 offset:608
	v_fma_f32 v82, v115, v162, -v82
	v_add_f32_e32 v81, v81, v82
	v_mul_f32_e32 v82, v118, v163
	s_waitcnt vmcnt(9)
	v_mul_f32_e32 v126, v119, v165
	v_fma_f32 v82, v117, v164, -v82
	s_waitcnt vmcnt(8)
	v_fmac_f32_e32 v126, v120, v166
	v_add_f32_e32 v81, v81, v82
	v_mul_f32_e32 v82, v120, v165
	v_add_f32_e32 v175, v125, v126
	ds_read_b64 v[125:126], v80 offset:624
	v_fma_f32 v82, v119, v166, -v82
	v_add_f32_e32 v81, v81, v82
	s_waitcnt vmcnt(6) lgkmcnt(1)
	v_mul_f32_e32 v82, v122, v168
	v_mul_f32_e32 v176, v121, v168
	v_fma_f32 v82, v121, v167, -v82
	v_fmac_f32_e32 v176, v122, v167
	v_add_f32_e32 v81, v81, v82
	s_waitcnt vmcnt(3)
	v_mul_f32_e32 v82, v124, v171
	v_add_f32_e32 v175, v175, v176
	v_mul_f32_e32 v176, v123, v171
	s_waitcnt vmcnt(2)
	v_fma_f32 v82, v123, v172, -v82
	v_fmac_f32_e32 v176, v124, v172
	v_add_f32_e32 v81, v81, v82
	s_waitcnt vmcnt(0) lgkmcnt(0)
	v_mul_f32_e32 v82, v126, v174
	v_add_f32_e32 v175, v175, v176
	v_mul_f32_e32 v176, v125, v174
	v_fma_f32 v82, v125, v173, -v82
	v_fmac_f32_e32 v176, v126, v173
	v_add_f32_e32 v81, v81, v82
	v_add_f32_e32 v175, v175, v176
	v_sub_f32_e32 v81, v169, v81
	v_sub_f32_e32 v82, v170, v175
	buffer_store_dword v81, off, s[0:3], 0 offset:120
	buffer_store_dword v82, off, s[0:3], 0 offset:124
	s_and_saveexec_b64 s[4:5], vcc
	s_cbranch_execz .LBB102_219
; %bb.218:
	buffer_load_dword v81, off, s[0:3], 0 offset:112
	buffer_load_dword v82, off, s[0:3], 0 offset:116
	s_waitcnt vmcnt(0)
	ds_write_b64 v79, v[81:82]
	buffer_store_dword v80, off, s[0:3], 0 offset:112
	buffer_store_dword v80, off, s[0:3], 0 offset:116
.LBB102_219:
	s_or_b64 exec, exec, s[4:5]
	s_waitcnt lgkmcnt(0)
	; wave barrier
	buffer_load_dword v129, off, s[0:3], 0 offset:124
	buffer_load_dword v130, off, s[0:3], 0 offset:132
	;; [unrolled: 1-line block ×48, first 2 shown]
	ds_read2_b64 v[81:84], v80 offset0:55 offset1:56
	ds_read2_b64 v[85:88], v80 offset0:57 offset1:58
	buffer_load_dword v177, off, s[0:3], 0 offset:304
	buffer_load_dword v178, off, s[0:3], 0 offset:308
	ds_read2_b64 v[89:92], v80 offset0:59 offset1:60
	ds_read2_b64 v[93:96], v80 offset0:61 offset1:62
	;; [unrolled: 1-line block ×5, first 2 shown]
	v_cmp_lt_u32_e32 vcc, 13, v0
	s_waitcnt vmcnt(49) lgkmcnt(6)
	v_mul_f32_e32 v109, v81, v129
	s_waitcnt vmcnt(48)
	v_mul_f32_e32 v110, v83, v130
	s_waitcnt vmcnt(47) lgkmcnt(5)
	v_mul_f32_e32 v111, v85, v131
	s_waitcnt vmcnt(46)
	v_mul_f32_e32 v112, v87, v132
	;; [unrolled: 4-line block ×6, first 2 shown]
	s_waitcnt vmcnt(37)
	v_fmac_f32_e32 v109, v82, v141
	v_mul_f32_e32 v82, v82, v129
	v_fma_f32 v81, v81, v141, -v82
	v_mul_f32_e32 v82, v84, v130
	v_add_f32_e32 v81, 0, v81
	s_waitcnt vmcnt(36)
	v_fma_f32 v82, v83, v142, -v82
	v_add_f32_e32 v81, v81, v82
	v_mul_f32_e32 v82, v86, v131
	s_waitcnt vmcnt(35)
	v_fma_f32 v82, v85, v143, -v82
	v_fmac_f32_e32 v110, v84, v142
	v_add_f32_e32 v109, 0, v109
	v_add_f32_e32 v81, v81, v82
	v_mul_f32_e32 v82, v88, v132
	v_fmac_f32_e32 v111, v86, v143
	v_add_f32_e32 v109, v109, v110
	s_waitcnt vmcnt(34)
	v_fma_f32 v82, v87, v144, -v82
	v_fmac_f32_e32 v112, v88, v144
	v_add_f32_e32 v109, v109, v111
	v_add_f32_e32 v81, v81, v82
	v_mul_f32_e32 v82, v90, v133
	s_waitcnt vmcnt(33)
	v_fmac_f32_e32 v113, v90, v145
	v_add_f32_e32 v109, v109, v112
	v_fma_f32 v82, v89, v145, -v82
	s_waitcnt vmcnt(32)
	v_fmac_f32_e32 v114, v92, v146
	v_add_f32_e32 v109, v109, v113
	v_add_f32_e32 v81, v81, v82
	v_mul_f32_e32 v82, v92, v134
	s_waitcnt vmcnt(31)
	v_fmac_f32_e32 v115, v94, v147
	v_add_f32_e32 v109, v109, v114
	v_fma_f32 v82, v91, v146, -v82
	s_waitcnt vmcnt(30)
	;; [unrolled: 9-line block ×3, first 2 shown]
	v_fmac_f32_e32 v118, v100, v150
	v_add_f32_e32 v109, v109, v117
	v_add_f32_e32 v81, v81, v82
	v_mul_f32_e32 v82, v96, v136
	s_waitcnt vmcnt(27)
	v_fmac_f32_e32 v119, v102, v151
	v_add_f32_e32 v109, v109, v118
	v_fma_f32 v82, v95, v148, -v82
	v_add_f32_e32 v109, v109, v119
	s_waitcnt vmcnt(26)
	v_fmac_f32_e32 v120, v104, v152
	v_add_f32_e32 v81, v81, v82
	v_mul_f32_e32 v82, v98, v137
	v_add_f32_e32 v113, v109, v120
	ds_read2_b64 v[109:112], v80 offset0:69 offset1:70
	v_fma_f32 v82, v97, v149, -v82
	s_waitcnt vmcnt(25) lgkmcnt(1)
	v_mul_f32_e32 v114, v105, v153
	v_add_f32_e32 v81, v81, v82
	v_mul_f32_e32 v82, v100, v138
	s_waitcnt vmcnt(24)
	v_fmac_f32_e32 v114, v106, v154
	v_fma_f32 v82, v99, v150, -v82
	v_add_f32_e32 v113, v113, v114
	s_waitcnt vmcnt(23)
	v_mul_f32_e32 v114, v107, v155
	v_add_f32_e32 v81, v81, v82
	v_mul_f32_e32 v82, v102, v139
	s_waitcnt vmcnt(22)
	v_fmac_f32_e32 v114, v108, v156
	v_fma_f32 v82, v101, v151, -v82
	v_add_f32_e32 v113, v113, v114
	s_waitcnt vmcnt(21) lgkmcnt(0)
	v_mul_f32_e32 v114, v109, v157
	v_add_f32_e32 v81, v81, v82
	v_mul_f32_e32 v82, v104, v140
	s_waitcnt vmcnt(20)
	v_fmac_f32_e32 v114, v110, v158
	v_fma_f32 v82, v103, v152, -v82
	v_add_f32_e32 v117, v113, v114
	ds_read2_b64 v[113:116], v80 offset0:71 offset1:72
	v_add_f32_e32 v81, v81, v82
	v_mul_f32_e32 v82, v106, v153
	v_fma_f32 v82, v105, v154, -v82
	s_waitcnt vmcnt(19)
	v_mul_f32_e32 v118, v111, v159
	v_add_f32_e32 v81, v81, v82
	v_mul_f32_e32 v82, v108, v155
	s_waitcnt vmcnt(18)
	v_fmac_f32_e32 v118, v112, v160
	v_fma_f32 v82, v107, v156, -v82
	v_add_f32_e32 v121, v117, v118
	ds_read2_b64 v[117:120], v80 offset0:73 offset1:74
	v_add_f32_e32 v81, v81, v82
	v_mul_f32_e32 v82, v110, v157
	s_waitcnt vmcnt(17) lgkmcnt(1)
	v_mul_f32_e32 v122, v113, v161
	v_fma_f32 v82, v109, v158, -v82
	s_waitcnt vmcnt(16)
	v_fmac_f32_e32 v122, v114, v162
	v_add_f32_e32 v81, v81, v82
	v_mul_f32_e32 v82, v112, v159
	v_add_f32_e32 v121, v121, v122
	s_waitcnt vmcnt(15)
	v_mul_f32_e32 v122, v115, v163
	v_fma_f32 v82, v111, v160, -v82
	s_waitcnt vmcnt(14)
	v_fmac_f32_e32 v122, v116, v164
	v_add_f32_e32 v81, v81, v82
	v_mul_f32_e32 v82, v114, v161
	v_add_f32_e32 v121, v121, v122
	s_waitcnt vmcnt(13) lgkmcnt(0)
	v_mul_f32_e32 v122, v117, v165
	v_fma_f32 v82, v113, v162, -v82
	s_waitcnt vmcnt(12)
	v_fmac_f32_e32 v122, v118, v166
	v_add_f32_e32 v81, v81, v82
	v_mul_f32_e32 v82, v116, v163
	v_add_f32_e32 v125, v121, v122
	ds_read2_b64 v[121:124], v80 offset0:75 offset1:76
	v_fma_f32 v82, v115, v164, -v82
	v_add_f32_e32 v81, v81, v82
	v_mul_f32_e32 v82, v118, v165
	s_waitcnt vmcnt(11)
	v_mul_f32_e32 v126, v119, v167
	v_fma_f32 v82, v117, v166, -v82
	s_waitcnt vmcnt(10)
	v_fmac_f32_e32 v126, v120, v168
	v_add_f32_e32 v81, v81, v82
	v_mul_f32_e32 v82, v120, v167
	v_add_f32_e32 v179, v125, v126
	ds_read2_b64 v[125:128], v80 offset0:77 offset1:78
	v_fma_f32 v82, v119, v168, -v82
	v_add_f32_e32 v81, v81, v82
	s_waitcnt vmcnt(7) lgkmcnt(1)
	v_mul_f32_e32 v82, v122, v171
	v_mul_f32_e32 v80, v121, v171
	s_waitcnt vmcnt(6)
	v_fma_f32 v82, v121, v172, -v82
	v_fmac_f32_e32 v80, v122, v172
	v_add_f32_e32 v81, v81, v82
	s_waitcnt vmcnt(4)
	v_mul_f32_e32 v82, v124, v174
	v_add_f32_e32 v80, v179, v80
	v_mul_f32_e32 v179, v123, v174
	v_fma_f32 v82, v123, v173, -v82
	v_fmac_f32_e32 v179, v124, v173
	v_add_f32_e32 v81, v81, v82
	s_waitcnt vmcnt(2) lgkmcnt(0)
	v_mul_f32_e32 v82, v126, v176
	v_add_f32_e32 v80, v80, v179
	v_mul_f32_e32 v179, v125, v176
	v_fma_f32 v82, v125, v175, -v82
	v_fmac_f32_e32 v179, v126, v175
	v_add_f32_e32 v81, v81, v82
	s_waitcnt vmcnt(0)
	v_mul_f32_e32 v82, v128, v178
	v_add_f32_e32 v80, v80, v179
	v_mul_f32_e32 v179, v127, v178
	v_fma_f32 v82, v127, v177, -v82
	v_fmac_f32_e32 v179, v128, v177
	v_add_f32_e32 v81, v81, v82
	v_add_f32_e32 v80, v80, v179
	v_sub_f32_e32 v81, v169, v81
	v_sub_f32_e32 v80, v170, v80
	buffer_store_dword v81, off, s[0:3], 0 offset:112
	buffer_store_dword v80, off, s[0:3], 0 offset:116
	s_and_saveexec_b64 s[4:5], vcc
	s_cbranch_execz .LBB102_221
; %bb.220:
	buffer_load_dword v80, off, s[0:3], 0 offset:104
	buffer_load_dword v81, off, s[0:3], 0 offset:108
	v_mov_b32_e32 v82, 0
	buffer_store_dword v82, off, s[0:3], 0 offset:104
	buffer_store_dword v82, off, s[0:3], 0 offset:108
	s_waitcnt vmcnt(2)
	ds_write_b64 v79, v[80:81]
.LBB102_221:
	s_or_b64 exec, exec, s[4:5]
	s_waitcnt lgkmcnt(0)
	; wave barrier
	buffer_load_dword v131, off, s[0:3], 0 offset:116
	buffer_load_dword v132, off, s[0:3], 0 offset:124
	;; [unrolled: 1-line block ×52, first 2 shown]
	v_mov_b32_e32 v80, 0
	ds_read_b128 v[81:84], v80 offset:432
	ds_read_b128 v[85:88], v80 offset:448
	;; [unrolled: 1-line block ×6, first 2 shown]
	v_cmp_lt_u32_e32 vcc, 12, v0
	s_waitcnt vmcnt(51) lgkmcnt(5)
	v_mul_f32_e32 v105, v81, v131
	s_waitcnt vmcnt(50)
	v_mul_f32_e32 v106, v83, v132
	s_waitcnt vmcnt(49) lgkmcnt(4)
	v_mul_f32_e32 v107, v85, v133
	s_waitcnt vmcnt(48)
	v_mul_f32_e32 v108, v87, v134
	;; [unrolled: 4-line block ×5, first 2 shown]
	s_waitcnt vmcnt(41) lgkmcnt(0)
	v_mul_f32_e32 v115, v101, v141
	s_waitcnt vmcnt(40)
	v_fmac_f32_e32 v105, v82, v142
	v_mul_f32_e32 v82, v82, v131
	s_waitcnt vmcnt(39)
	v_fmac_f32_e32 v106, v84, v143
	v_add_f32_e32 v105, 0, v105
	v_fma_f32 v81, v81, v142, -v82
	v_mul_f32_e32 v82, v84, v132
	s_waitcnt vmcnt(38)
	v_fmac_f32_e32 v107, v86, v144
	v_add_f32_e32 v105, v105, v106
	v_add_f32_e32 v81, 0, v81
	v_fma_f32 v82, v83, v143, -v82
	s_waitcnt vmcnt(37)
	v_fmac_f32_e32 v108, v88, v145
	v_add_f32_e32 v105, v105, v107
	v_add_f32_e32 v81, v81, v82
	v_mul_f32_e32 v82, v86, v133
	s_waitcnt vmcnt(36)
	v_fmac_f32_e32 v109, v90, v146
	v_add_f32_e32 v105, v105, v108
	v_fma_f32 v82, v85, v144, -v82
	s_waitcnt vmcnt(35)
	v_fmac_f32_e32 v110, v92, v147
	v_add_f32_e32 v105, v105, v109
	v_add_f32_e32 v81, v81, v82
	v_mul_f32_e32 v82, v88, v134
	s_waitcnt vmcnt(34)
	v_fmac_f32_e32 v111, v94, v148
	;; [unrolled: 9-line block ×3, first 2 shown]
	v_add_f32_e32 v105, v105, v112
	v_fma_f32 v82, v89, v146, -v82
	s_waitcnt vmcnt(31)
	v_fmac_f32_e32 v114, v100, v151
	v_add_f32_e32 v105, v105, v113
	v_add_f32_e32 v81, v81, v82
	v_mul_f32_e32 v82, v92, v136
	v_add_f32_e32 v105, v105, v114
	s_waitcnt vmcnt(30)
	v_fmac_f32_e32 v115, v102, v152
	v_fma_f32 v82, v91, v147, -v82
	v_add_f32_e32 v109, v105, v115
	ds_read_b128 v[105:108], v80 offset:528
	v_add_f32_e32 v81, v81, v82
	v_mul_f32_e32 v82, v94, v137
	v_fma_f32 v82, v93, v148, -v82
	s_waitcnt vmcnt(29)
	v_mul_f32_e32 v110, v103, v153
	v_add_f32_e32 v81, v81, v82
	v_mul_f32_e32 v82, v96, v138
	s_waitcnt vmcnt(28)
	v_fmac_f32_e32 v110, v104, v154
	v_fma_f32 v82, v95, v149, -v82
	v_add_f32_e32 v113, v109, v110
	ds_read_b128 v[109:112], v80 offset:544
	v_add_f32_e32 v81, v81, v82
	v_mul_f32_e32 v82, v98, v139
	s_waitcnt vmcnt(27) lgkmcnt(1)
	v_mul_f32_e32 v114, v105, v155
	v_fma_f32 v82, v97, v150, -v82
	s_waitcnt vmcnt(26)
	v_fmac_f32_e32 v114, v106, v156
	v_add_f32_e32 v81, v81, v82
	v_mul_f32_e32 v82, v100, v140
	v_add_f32_e32 v113, v113, v114
	s_waitcnt vmcnt(25)
	v_mul_f32_e32 v114, v107, v157
	v_fma_f32 v82, v99, v151, -v82
	s_waitcnt vmcnt(24)
	v_fmac_f32_e32 v114, v108, v158
	v_add_f32_e32 v81, v81, v82
	v_mul_f32_e32 v82, v102, v141
	v_add_f32_e32 v113, v113, v114
	s_waitcnt vmcnt(23) lgkmcnt(0)
	v_mul_f32_e32 v114, v109, v159
	v_fma_f32 v82, v101, v152, -v82
	s_waitcnt vmcnt(22)
	v_fmac_f32_e32 v114, v110, v160
	v_add_f32_e32 v81, v81, v82
	v_mul_f32_e32 v82, v104, v153
	v_add_f32_e32 v117, v113, v114
	ds_read_b128 v[113:116], v80 offset:560
	v_fma_f32 v82, v103, v154, -v82
	v_add_f32_e32 v81, v81, v82
	v_mul_f32_e32 v82, v106, v155
	s_waitcnt vmcnt(21)
	v_mul_f32_e32 v118, v111, v161
	v_fma_f32 v82, v105, v156, -v82
	s_waitcnt vmcnt(20)
	v_fmac_f32_e32 v118, v112, v162
	v_add_f32_e32 v81, v81, v82
	v_mul_f32_e32 v82, v108, v157
	v_add_f32_e32 v121, v117, v118
	ds_read_b128 v[117:120], v80 offset:576
	v_fma_f32 v82, v107, v158, -v82
	s_waitcnt vmcnt(19) lgkmcnt(1)
	v_mul_f32_e32 v122, v113, v163
	v_add_f32_e32 v81, v81, v82
	v_mul_f32_e32 v82, v110, v159
	s_waitcnt vmcnt(18)
	v_fmac_f32_e32 v122, v114, v164
	v_fma_f32 v82, v109, v160, -v82
	v_add_f32_e32 v121, v121, v122
	s_waitcnt vmcnt(17)
	v_mul_f32_e32 v122, v115, v165
	v_add_f32_e32 v81, v81, v82
	v_mul_f32_e32 v82, v112, v161
	s_waitcnt vmcnt(16)
	v_fmac_f32_e32 v122, v116, v166
	v_fma_f32 v82, v111, v162, -v82
	v_add_f32_e32 v121, v121, v122
	s_waitcnt vmcnt(14) lgkmcnt(0)
	v_mul_f32_e32 v122, v117, v168
	v_add_f32_e32 v81, v81, v82
	v_mul_f32_e32 v82, v114, v163
	v_fmac_f32_e32 v122, v118, v167
	v_fma_f32 v82, v113, v164, -v82
	v_add_f32_e32 v125, v121, v122
	ds_read_b128 v[121:124], v80 offset:592
	v_add_f32_e32 v81, v81, v82
	v_mul_f32_e32 v82, v116, v165
	v_fma_f32 v82, v115, v166, -v82
	v_add_f32_e32 v81, v81, v82
	v_mul_f32_e32 v82, v118, v168
	s_waitcnt vmcnt(11)
	v_mul_f32_e32 v126, v119, v171
	v_fma_f32 v82, v117, v167, -v82
	s_waitcnt vmcnt(10)
	v_fmac_f32_e32 v126, v120, v172
	v_add_f32_e32 v81, v81, v82
	v_mul_f32_e32 v82, v120, v171
	v_add_f32_e32 v129, v125, v126
	ds_read_b128 v[125:128], v80 offset:608
	s_waitcnt vmcnt(8) lgkmcnt(1)
	v_mul_f32_e32 v130, v121, v174
	v_fma_f32 v82, v119, v172, -v82
	v_fmac_f32_e32 v130, v122, v173
	v_add_f32_e32 v81, v81, v82
	v_mul_f32_e32 v82, v122, v174
	v_add_f32_e32 v129, v129, v130
	s_waitcnt vmcnt(6)
	v_mul_f32_e32 v130, v123, v176
	v_fma_f32 v82, v121, v173, -v82
	v_fmac_f32_e32 v130, v124, v175
	v_add_f32_e32 v81, v81, v82
	v_mul_f32_e32 v82, v124, v176
	v_add_f32_e32 v183, v129, v130
	ds_read_b64 v[129:130], v80 offset:624
	v_fma_f32 v82, v123, v175, -v82
	v_add_f32_e32 v81, v81, v82
	s_waitcnt vmcnt(4) lgkmcnt(1)
	v_mul_f32_e32 v82, v126, v178
	v_mul_f32_e32 v184, v125, v178
	v_fma_f32 v82, v125, v177, -v82
	v_fmac_f32_e32 v184, v126, v177
	v_add_f32_e32 v81, v81, v82
	s_waitcnt vmcnt(2)
	v_mul_f32_e32 v82, v128, v180
	v_add_f32_e32 v183, v183, v184
	v_mul_f32_e32 v184, v127, v180
	v_fma_f32 v82, v127, v179, -v82
	v_fmac_f32_e32 v184, v128, v179
	v_add_f32_e32 v81, v81, v82
	s_waitcnt vmcnt(0) lgkmcnt(0)
	v_mul_f32_e32 v82, v130, v182
	v_add_f32_e32 v183, v183, v184
	v_mul_f32_e32 v184, v129, v182
	v_fma_f32 v82, v129, v181, -v82
	v_fmac_f32_e32 v184, v130, v181
	v_add_f32_e32 v81, v81, v82
	v_add_f32_e32 v183, v183, v184
	v_sub_f32_e32 v81, v169, v81
	v_sub_f32_e32 v82, v170, v183
	buffer_store_dword v81, off, s[0:3], 0 offset:104
	buffer_store_dword v82, off, s[0:3], 0 offset:108
	s_and_saveexec_b64 s[4:5], vcc
	s_cbranch_execz .LBB102_223
; %bb.222:
	buffer_load_dword v81, off, s[0:3], 0 offset:96
	buffer_load_dword v82, off, s[0:3], 0 offset:100
	s_waitcnt vmcnt(0)
	ds_write_b64 v79, v[81:82]
	buffer_store_dword v80, off, s[0:3], 0 offset:96
	buffer_store_dword v80, off, s[0:3], 0 offset:100
.LBB102_223:
	s_or_b64 exec, exec, s[4:5]
	s_waitcnt lgkmcnt(0)
	; wave barrier
	buffer_load_dword v133, off, s[0:3], 0 offset:108
	buffer_load_dword v134, off, s[0:3], 0 offset:116
	;; [unrolled: 1-line block ×42, first 2 shown]
	ds_read2_b64 v[81:84], v80 offset0:53 offset1:54
	ds_read2_b64 v[85:88], v80 offset0:55 offset1:56
	ds_read2_b64 v[89:92], v80 offset0:57 offset1:58
	ds_read2_b64 v[93:96], v80 offset0:59 offset1:60
	buffer_load_dword v175, off, s[0:3], 0 offset:268
	buffer_load_dword v176, off, s[0:3], 0 offset:264
	;; [unrolled: 1-line block ×6, first 2 shown]
	ds_read2_b64 v[97:100], v80 offset0:61 offset1:62
	ds_read2_b64 v[101:104], v80 offset0:63 offset1:64
	buffer_load_dword v181, off, s[0:3], 0 offset:288
	buffer_load_dword v182, off, s[0:3], 0 offset:292
	;; [unrolled: 1-line block ×6, first 2 shown]
	v_cmp_lt_u32_e32 vcc, 11, v0
	s_waitcnt vmcnt(53) lgkmcnt(5)
	v_mul_f32_e32 v105, v81, v133
	s_waitcnt vmcnt(52)
	v_mul_f32_e32 v106, v83, v134
	s_waitcnt vmcnt(51) lgkmcnt(4)
	v_mul_f32_e32 v107, v85, v135
	s_waitcnt vmcnt(50)
	v_mul_f32_e32 v108, v87, v136
	;; [unrolled: 4-line block ×5, first 2 shown]
	s_waitcnt vmcnt(43)
	v_fmac_f32_e32 v105, v82, v143
	v_mul_f32_e32 v82, v82, v133
	s_waitcnt vmcnt(42)
	v_fmac_f32_e32 v106, v84, v144
	v_add_f32_e32 v105, 0, v105
	v_fma_f32 v81, v81, v143, -v82
	v_mul_f32_e32 v82, v84, v134
	s_waitcnt vmcnt(41)
	v_fmac_f32_e32 v107, v86, v145
	v_add_f32_e32 v105, v105, v106
	v_add_f32_e32 v81, 0, v81
	v_fma_f32 v82, v83, v144, -v82
	s_waitcnt vmcnt(40)
	v_fmac_f32_e32 v108, v88, v146
	v_add_f32_e32 v105, v105, v107
	v_add_f32_e32 v81, v81, v82
	v_mul_f32_e32 v82, v86, v135
	s_waitcnt vmcnt(39)
	v_fmac_f32_e32 v109, v90, v147
	v_add_f32_e32 v105, v105, v108
	v_fma_f32 v82, v85, v145, -v82
	s_waitcnt vmcnt(38)
	v_fmac_f32_e32 v110, v92, v148
	v_add_f32_e32 v105, v105, v109
	v_add_f32_e32 v81, v81, v82
	v_mul_f32_e32 v82, v88, v136
	s_waitcnt vmcnt(37)
	v_fmac_f32_e32 v111, v94, v149
	;; [unrolled: 9-line block ×3, first 2 shown]
	v_add_f32_e32 v105, v105, v112
	v_fma_f32 v82, v89, v147, -v82
	s_waitcnt vmcnt(34)
	v_fmac_f32_e32 v114, v100, v152
	v_add_f32_e32 v105, v105, v113
	s_waitcnt vmcnt(33) lgkmcnt(0)
	v_mul_f32_e32 v106, v101, v153
	v_add_f32_e32 v81, v81, v82
	v_mul_f32_e32 v82, v92, v138
	v_add_f32_e32 v105, v105, v114
	s_waitcnt vmcnt(32)
	v_fmac_f32_e32 v106, v102, v154
	v_fma_f32 v82, v91, v148, -v82
	v_add_f32_e32 v109, v105, v106
	ds_read2_b64 v[105:108], v80 offset0:65 offset1:66
	v_add_f32_e32 v81, v81, v82
	v_mul_f32_e32 v82, v94, v139
	v_fma_f32 v82, v93, v149, -v82
	s_waitcnt vmcnt(31)
	v_mul_f32_e32 v110, v103, v155
	v_add_f32_e32 v81, v81, v82
	v_mul_f32_e32 v82, v96, v140
	s_waitcnt vmcnt(30)
	v_fmac_f32_e32 v110, v104, v156
	v_fma_f32 v82, v95, v150, -v82
	v_add_f32_e32 v113, v109, v110
	ds_read2_b64 v[109:112], v80 offset0:67 offset1:68
	v_add_f32_e32 v81, v81, v82
	v_mul_f32_e32 v82, v98, v141
	s_waitcnt vmcnt(29) lgkmcnt(1)
	v_mul_f32_e32 v114, v105, v157
	v_fma_f32 v82, v97, v151, -v82
	s_waitcnt vmcnt(28)
	v_fmac_f32_e32 v114, v106, v158
	v_add_f32_e32 v81, v81, v82
	v_mul_f32_e32 v82, v100, v142
	v_add_f32_e32 v113, v113, v114
	s_waitcnt vmcnt(27)
	v_mul_f32_e32 v114, v107, v159
	v_fma_f32 v82, v99, v152, -v82
	s_waitcnt vmcnt(26)
	v_fmac_f32_e32 v114, v108, v160
	v_add_f32_e32 v81, v81, v82
	v_mul_f32_e32 v82, v102, v153
	v_add_f32_e32 v113, v113, v114
	s_waitcnt vmcnt(25) lgkmcnt(0)
	v_mul_f32_e32 v114, v109, v161
	v_fma_f32 v82, v101, v154, -v82
	s_waitcnt vmcnt(24)
	v_fmac_f32_e32 v114, v110, v162
	v_add_f32_e32 v81, v81, v82
	v_mul_f32_e32 v82, v104, v155
	v_add_f32_e32 v117, v113, v114
	ds_read2_b64 v[113:116], v80 offset0:69 offset1:70
	v_fma_f32 v82, v103, v156, -v82
	v_add_f32_e32 v81, v81, v82
	v_mul_f32_e32 v82, v106, v157
	s_waitcnt vmcnt(23)
	v_mul_f32_e32 v118, v111, v163
	v_fma_f32 v82, v105, v158, -v82
	s_waitcnt vmcnt(22)
	v_fmac_f32_e32 v118, v112, v164
	v_add_f32_e32 v81, v81, v82
	v_mul_f32_e32 v82, v108, v159
	v_add_f32_e32 v121, v117, v118
	ds_read2_b64 v[117:120], v80 offset0:71 offset1:72
	v_fma_f32 v82, v107, v160, -v82
	s_waitcnt vmcnt(21) lgkmcnt(1)
	v_mul_f32_e32 v122, v113, v165
	v_add_f32_e32 v81, v81, v82
	v_mul_f32_e32 v82, v110, v161
	s_waitcnt vmcnt(20)
	v_fmac_f32_e32 v122, v114, v166
	v_fma_f32 v82, v109, v162, -v82
	v_add_f32_e32 v121, v121, v122
	s_waitcnt vmcnt(18)
	v_mul_f32_e32 v122, v115, v168
	v_add_f32_e32 v81, v81, v82
	v_mul_f32_e32 v82, v112, v163
	v_fmac_f32_e32 v122, v116, v167
	v_fma_f32 v82, v111, v164, -v82
	v_add_f32_e32 v121, v121, v122
	s_waitcnt vmcnt(15) lgkmcnt(0)
	v_mul_f32_e32 v122, v117, v171
	v_add_f32_e32 v81, v81, v82
	v_mul_f32_e32 v82, v114, v165
	s_waitcnt vmcnt(14)
	v_fmac_f32_e32 v122, v118, v172
	v_fma_f32 v82, v113, v166, -v82
	v_add_f32_e32 v125, v121, v122
	ds_read2_b64 v[121:124], v80 offset0:73 offset1:74
	v_add_f32_e32 v81, v81, v82
	v_mul_f32_e32 v82, v116, v168
	v_fma_f32 v82, v115, v167, -v82
	v_add_f32_e32 v81, v81, v82
	v_mul_f32_e32 v82, v118, v171
	s_waitcnt vmcnt(12)
	v_mul_f32_e32 v126, v119, v174
	v_fma_f32 v82, v117, v172, -v82
	v_fmac_f32_e32 v126, v120, v173
	v_add_f32_e32 v81, v81, v82
	v_mul_f32_e32 v82, v120, v174
	v_add_f32_e32 v129, v125, v126
	ds_read2_b64 v[125:128], v80 offset0:75 offset1:76
	s_waitcnt vmcnt(11) lgkmcnt(1)
	v_mul_f32_e32 v130, v121, v175
	v_fma_f32 v82, v119, v173, -v82
	s_waitcnt vmcnt(10)
	v_fmac_f32_e32 v130, v122, v176
	v_add_f32_e32 v81, v81, v82
	v_mul_f32_e32 v82, v122, v175
	v_add_f32_e32 v129, v129, v130
	s_waitcnt vmcnt(8)
	v_mul_f32_e32 v130, v123, v178
	v_fma_f32 v82, v121, v176, -v82
	v_fmac_f32_e32 v130, v124, v177
	v_add_f32_e32 v81, v81, v82
	v_mul_f32_e32 v82, v124, v178
	v_add_f32_e32 v187, v129, v130
	ds_read2_b64 v[129:132], v80 offset0:77 offset1:78
	v_fma_f32 v82, v123, v177, -v82
	v_add_f32_e32 v81, v81, v82
	s_waitcnt vmcnt(6) lgkmcnt(1)
	v_mul_f32_e32 v82, v126, v180
	v_mul_f32_e32 v188, v125, v180
	v_fma_f32 v82, v125, v179, -v82
	v_fmac_f32_e32 v188, v126, v179
	v_add_f32_e32 v81, v81, v82
	s_waitcnt vmcnt(4)
	v_mul_f32_e32 v82, v128, v182
	v_add_f32_e32 v80, v187, v188
	v_mul_f32_e32 v187, v127, v182
	v_fma_f32 v82, v127, v181, -v82
	v_fmac_f32_e32 v187, v128, v181
	v_add_f32_e32 v81, v81, v82
	s_waitcnt vmcnt(2) lgkmcnt(0)
	v_mul_f32_e32 v82, v130, v184
	v_add_f32_e32 v80, v80, v187
	v_mul_f32_e32 v187, v129, v184
	v_fma_f32 v82, v129, v183, -v82
	v_fmac_f32_e32 v187, v130, v183
	v_add_f32_e32 v81, v81, v82
	s_waitcnt vmcnt(0)
	v_mul_f32_e32 v82, v132, v186
	v_add_f32_e32 v80, v80, v187
	v_mul_f32_e32 v187, v131, v186
	v_fma_f32 v82, v131, v185, -v82
	v_fmac_f32_e32 v187, v132, v185
	v_add_f32_e32 v81, v81, v82
	v_add_f32_e32 v80, v80, v187
	v_sub_f32_e32 v81, v169, v81
	v_sub_f32_e32 v80, v170, v80
	buffer_store_dword v81, off, s[0:3], 0 offset:96
	buffer_store_dword v80, off, s[0:3], 0 offset:100
	s_and_saveexec_b64 s[4:5], vcc
	s_cbranch_execz .LBB102_225
; %bb.224:
	buffer_load_dword v80, off, s[0:3], 0 offset:88
	buffer_load_dword v81, off, s[0:3], 0 offset:92
	v_mov_b32_e32 v82, 0
	buffer_store_dword v82, off, s[0:3], 0 offset:88
	buffer_store_dword v82, off, s[0:3], 0 offset:92
	s_waitcnt vmcnt(2)
	ds_write_b64 v79, v[80:81]
.LBB102_225:
	s_or_b64 exec, exec, s[4:5]
	s_waitcnt lgkmcnt(0)
	; wave barrier
	buffer_load_dword v135, off, s[0:3], 0 offset:100
	buffer_load_dword v136, off, s[0:3], 0 offset:108
	;; [unrolled: 1-line block ×56, first 2 shown]
	v_mov_b32_e32 v80, 0
	ds_read_b128 v[81:84], v80 offset:416
	ds_read_b128 v[85:88], v80 offset:432
	ds_read_b128 v[89:92], v80 offset:448
	ds_read_b128 v[93:96], v80 offset:464
	ds_read_b128 v[97:100], v80 offset:480
	ds_read_b128 v[101:104], v80 offset:496
	v_cmp_lt_u32_e32 vcc, 10, v0
	s_waitcnt vmcnt(55) lgkmcnt(5)
	v_mul_f32_e32 v105, v81, v135
	s_waitcnt vmcnt(54)
	v_mul_f32_e32 v106, v83, v136
	s_waitcnt vmcnt(53) lgkmcnt(4)
	v_mul_f32_e32 v107, v85, v137
	s_waitcnt vmcnt(52)
	v_mul_f32_e32 v108, v87, v138
	;; [unrolled: 4-line block ×4, first 2 shown]
	s_waitcnt vmcnt(47) lgkmcnt(1)
	v_mul_f32_e32 v113, v97, v143
	s_waitcnt vmcnt(46)
	v_fmac_f32_e32 v105, v82, v144
	s_waitcnt vmcnt(45)
	v_fmac_f32_e32 v106, v84, v145
	v_add_f32_e32 v105, 0, v105
	s_waitcnt vmcnt(44)
	v_fmac_f32_e32 v107, v86, v146
	v_add_f32_e32 v105, v105, v106
	;; [unrolled: 3-line block ×3, first 2 shown]
	v_mul_f32_e32 v82, v82, v135
	s_waitcnt vmcnt(42)
	v_fmac_f32_e32 v109, v90, v148
	v_add_f32_e32 v105, v105, v108
	v_fma_f32 v81, v81, v144, -v82
	v_mul_f32_e32 v82, v84, v136
	s_waitcnt vmcnt(41)
	v_fmac_f32_e32 v110, v92, v149
	v_add_f32_e32 v105, v105, v109
	v_add_f32_e32 v81, 0, v81
	v_fma_f32 v82, v83, v145, -v82
	s_waitcnt vmcnt(40)
	v_fmac_f32_e32 v111, v94, v150
	v_add_f32_e32 v105, v105, v110
	v_add_f32_e32 v81, v81, v82
	v_mul_f32_e32 v82, v86, v137
	s_waitcnt vmcnt(39)
	v_fmac_f32_e32 v112, v96, v151
	v_add_f32_e32 v105, v105, v111
	v_fma_f32 v82, v85, v146, -v82
	v_add_f32_e32 v105, v105, v112
	s_waitcnt vmcnt(38)
	v_fmac_f32_e32 v113, v98, v152
	s_waitcnt vmcnt(37)
	v_mul_f32_e32 v106, v99, v153
	v_add_f32_e32 v81, v81, v82
	v_mul_f32_e32 v82, v88, v138
	v_add_f32_e32 v105, v105, v113
	s_waitcnt vmcnt(36)
	v_fmac_f32_e32 v106, v100, v154
	v_fma_f32 v82, v87, v147, -v82
	v_add_f32_e32 v105, v105, v106
	s_waitcnt vmcnt(35) lgkmcnt(0)
	v_mul_f32_e32 v106, v101, v155
	v_add_f32_e32 v81, v81, v82
	v_mul_f32_e32 v82, v90, v139
	s_waitcnt vmcnt(34)
	v_fmac_f32_e32 v106, v102, v156
	v_fma_f32 v82, v89, v148, -v82
	v_add_f32_e32 v109, v105, v106
	ds_read_b128 v[105:108], v80 offset:512
	v_add_f32_e32 v81, v81, v82
	v_mul_f32_e32 v82, v92, v140
	v_fma_f32 v82, v91, v149, -v82
	s_waitcnt vmcnt(33)
	v_mul_f32_e32 v110, v103, v157
	v_add_f32_e32 v81, v81, v82
	v_mul_f32_e32 v82, v94, v141
	s_waitcnt vmcnt(32)
	v_fmac_f32_e32 v110, v104, v158
	v_fma_f32 v82, v93, v150, -v82
	v_add_f32_e32 v113, v109, v110
	ds_read_b128 v[109:112], v80 offset:528
	v_add_f32_e32 v81, v81, v82
	v_mul_f32_e32 v82, v96, v142
	s_waitcnt vmcnt(31) lgkmcnt(1)
	v_mul_f32_e32 v114, v105, v159
	v_fma_f32 v82, v95, v151, -v82
	s_waitcnt vmcnt(30)
	v_fmac_f32_e32 v114, v106, v160
	v_add_f32_e32 v81, v81, v82
	v_mul_f32_e32 v82, v98, v143
	v_add_f32_e32 v113, v113, v114
	s_waitcnt vmcnt(29)
	v_mul_f32_e32 v114, v107, v161
	v_fma_f32 v82, v97, v152, -v82
	s_waitcnt vmcnt(28)
	v_fmac_f32_e32 v114, v108, v162
	v_add_f32_e32 v81, v81, v82
	v_mul_f32_e32 v82, v100, v153
	v_add_f32_e32 v113, v113, v114
	s_waitcnt vmcnt(27) lgkmcnt(0)
	v_mul_f32_e32 v114, v109, v163
	v_fma_f32 v82, v99, v154, -v82
	s_waitcnt vmcnt(26)
	v_fmac_f32_e32 v114, v110, v164
	v_add_f32_e32 v81, v81, v82
	v_mul_f32_e32 v82, v102, v155
	v_add_f32_e32 v117, v113, v114
	ds_read_b128 v[113:116], v80 offset:544
	v_fma_f32 v82, v101, v156, -v82
	v_add_f32_e32 v81, v81, v82
	v_mul_f32_e32 v82, v104, v157
	s_waitcnt vmcnt(24)
	v_mul_f32_e32 v118, v111, v166
	v_fma_f32 v82, v103, v158, -v82
	v_fmac_f32_e32 v118, v112, v165
	v_add_f32_e32 v81, v81, v82
	v_mul_f32_e32 v82, v106, v159
	v_add_f32_e32 v121, v117, v118
	ds_read_b128 v[117:120], v80 offset:560
	v_fma_f32 v82, v105, v160, -v82
	s_waitcnt vmcnt(21) lgkmcnt(1)
	v_mul_f32_e32 v122, v113, v169
	v_add_f32_e32 v81, v81, v82
	v_mul_f32_e32 v82, v108, v161
	s_waitcnt vmcnt(20)
	v_fmac_f32_e32 v122, v114, v170
	v_fma_f32 v82, v107, v162, -v82
	v_add_f32_e32 v121, v121, v122
	s_waitcnt vmcnt(18)
	v_mul_f32_e32 v122, v115, v172
	v_add_f32_e32 v81, v81, v82
	v_mul_f32_e32 v82, v110, v163
	v_fmac_f32_e32 v122, v116, v171
	v_fma_f32 v82, v109, v164, -v82
	v_add_f32_e32 v121, v121, v122
	s_waitcnt vmcnt(16) lgkmcnt(0)
	v_mul_f32_e32 v122, v117, v174
	v_add_f32_e32 v81, v81, v82
	v_mul_f32_e32 v82, v112, v166
	v_fmac_f32_e32 v122, v118, v173
	v_fma_f32 v82, v111, v165, -v82
	v_add_f32_e32 v125, v121, v122
	ds_read_b128 v[121:124], v80 offset:576
	v_add_f32_e32 v81, v81, v82
	v_mul_f32_e32 v82, v114, v169
	v_fma_f32 v82, v113, v170, -v82
	s_waitcnt vmcnt(14)
	v_mul_f32_e32 v126, v119, v176
	v_add_f32_e32 v81, v81, v82
	v_mul_f32_e32 v82, v116, v172
	v_fmac_f32_e32 v126, v120, v175
	v_fma_f32 v82, v115, v171, -v82
	v_add_f32_e32 v129, v125, v126
	ds_read_b128 v[125:128], v80 offset:592
	v_add_f32_e32 v81, v81, v82
	v_mul_f32_e32 v82, v118, v174
	s_waitcnt vmcnt(12) lgkmcnt(1)
	v_mul_f32_e32 v130, v121, v178
	v_fma_f32 v82, v117, v173, -v82
	v_fmac_f32_e32 v130, v122, v177
	v_add_f32_e32 v81, v81, v82
	v_mul_f32_e32 v82, v120, v176
	v_add_f32_e32 v129, v129, v130
	s_waitcnt vmcnt(10)
	v_mul_f32_e32 v130, v123, v180
	v_fma_f32 v82, v119, v175, -v82
	v_fmac_f32_e32 v130, v124, v179
	v_add_f32_e32 v81, v81, v82
	v_mul_f32_e32 v82, v122, v178
	v_add_f32_e32 v129, v129, v130
	s_waitcnt vmcnt(8) lgkmcnt(0)
	v_mul_f32_e32 v130, v125, v182
	v_fma_f32 v82, v121, v177, -v82
	v_fmac_f32_e32 v130, v126, v181
	v_add_f32_e32 v81, v81, v82
	v_mul_f32_e32 v82, v124, v180
	v_add_f32_e32 v133, v129, v130
	ds_read_b128 v[129:132], v80 offset:608
	v_fma_f32 v82, v123, v179, -v82
	v_add_f32_e32 v81, v81, v82
	v_mul_f32_e32 v82, v126, v182
	s_waitcnt vmcnt(6)
	v_mul_f32_e32 v134, v127, v184
	v_fma_f32 v82, v125, v181, -v82
	v_fmac_f32_e32 v134, v128, v183
	v_add_f32_e32 v81, v81, v82
	v_mul_f32_e32 v82, v128, v184
	v_add_f32_e32 v191, v133, v134
	ds_read_b64 v[133:134], v80 offset:624
	v_fma_f32 v82, v127, v183, -v82
	v_add_f32_e32 v81, v81, v82
	s_waitcnt vmcnt(4) lgkmcnt(1)
	v_mul_f32_e32 v82, v130, v186
	v_mul_f32_e32 v192, v129, v186
	v_fma_f32 v82, v129, v185, -v82
	v_fmac_f32_e32 v192, v130, v185
	v_add_f32_e32 v81, v81, v82
	s_waitcnt vmcnt(2)
	v_mul_f32_e32 v82, v132, v188
	v_add_f32_e32 v191, v191, v192
	v_mul_f32_e32 v192, v131, v188
	v_fma_f32 v82, v131, v187, -v82
	v_fmac_f32_e32 v192, v132, v187
	v_add_f32_e32 v81, v81, v82
	s_waitcnt vmcnt(0) lgkmcnt(0)
	v_mul_f32_e32 v82, v134, v190
	v_add_f32_e32 v191, v191, v192
	v_mul_f32_e32 v192, v133, v190
	v_fma_f32 v82, v133, v189, -v82
	v_fmac_f32_e32 v192, v134, v189
	v_add_f32_e32 v81, v81, v82
	v_add_f32_e32 v191, v191, v192
	v_sub_f32_e32 v81, v167, v81
	v_sub_f32_e32 v82, v168, v191
	buffer_store_dword v81, off, s[0:3], 0 offset:88
	buffer_store_dword v82, off, s[0:3], 0 offset:92
	s_and_saveexec_b64 s[4:5], vcc
	s_cbranch_execz .LBB102_227
; %bb.226:
	buffer_load_dword v81, off, s[0:3], 0 offset:80
	buffer_load_dword v82, off, s[0:3], 0 offset:84
	s_waitcnt vmcnt(0)
	ds_write_b64 v79, v[81:82]
	buffer_store_dword v80, off, s[0:3], 0 offset:80
	buffer_store_dword v80, off, s[0:3], 0 offset:84
.LBB102_227:
	s_or_b64 exec, exec, s[4:5]
	s_waitcnt lgkmcnt(0)
	; wave barrier
	buffer_load_dword v137, off, s[0:3], 0 offset:92
	buffer_load_dword v138, off, s[0:3], 0 offset:100
	;; [unrolled: 1-line block ×34, first 2 shown]
	ds_read2_b64 v[81:84], v80 offset0:51 offset1:52
	ds_read2_b64 v[85:88], v80 offset0:53 offset1:54
	buffer_load_dword v171, off, s[0:3], 0 offset:220
	buffer_load_dword v172, off, s[0:3], 0 offset:216
	;; [unrolled: 1-line block ×6, first 2 shown]
	ds_read2_b64 v[89:92], v80 offset0:55 offset1:56
	ds_read2_b64 v[93:96], v80 offset0:57 offset1:58
	;; [unrolled: 1-line block ×4, first 2 shown]
	buffer_load_dword v177, off, s[0:3], 0 offset:244
	buffer_load_dword v178, off, s[0:3], 0 offset:240
	;; [unrolled: 1-line block ×18, first 2 shown]
	v_cmp_lt_u32_e32 vcc, 9, v0
	s_waitcnt vmcnt(57) lgkmcnt(5)
	v_mul_f32_e32 v105, v81, v137
	s_waitcnt vmcnt(56)
	v_mul_f32_e32 v106, v83, v138
	s_waitcnt vmcnt(55) lgkmcnt(4)
	v_mul_f32_e32 v107, v85, v139
	s_waitcnt vmcnt(54)
	v_mul_f32_e32 v108, v87, v140
	s_waitcnt vmcnt(53) lgkmcnt(3)
	v_mul_f32_e32 v109, v89, v141
	s_waitcnt vmcnt(52)
	v_mul_f32_e32 v110, v91, v142
	s_waitcnt vmcnt(51) lgkmcnt(2)
	v_mul_f32_e32 v111, v93, v143
	s_waitcnt vmcnt(50)
	v_mul_f32_e32 v112, v95, v144
	s_waitcnt vmcnt(49)
	v_fmac_f32_e32 v105, v82, v145
	s_waitcnt vmcnt(48)
	v_fmac_f32_e32 v106, v84, v146
	v_add_f32_e32 v105, 0, v105
	s_waitcnt vmcnt(47)
	v_fmac_f32_e32 v107, v86, v147
	v_add_f32_e32 v105, v105, v106
	;; [unrolled: 3-line block ×4, first 2 shown]
	v_mul_f32_e32 v82, v82, v137
	s_waitcnt vmcnt(44)
	v_fmac_f32_e32 v110, v92, v150
	v_add_f32_e32 v105, v105, v109
	v_fma_f32 v81, v81, v145, -v82
	v_mul_f32_e32 v82, v84, v138
	s_waitcnt vmcnt(43)
	v_fmac_f32_e32 v111, v94, v151
	v_add_f32_e32 v105, v105, v110
	v_add_f32_e32 v81, 0, v81
	v_fma_f32 v82, v83, v146, -v82
	s_waitcnt vmcnt(42)
	v_fmac_f32_e32 v112, v96, v152
	v_add_f32_e32 v105, v105, v111
	s_waitcnt vmcnt(41) lgkmcnt(1)
	v_mul_f32_e32 v106, v97, v153
	v_add_f32_e32 v81, v81, v82
	v_mul_f32_e32 v82, v86, v139
	v_add_f32_e32 v105, v105, v112
	s_waitcnt vmcnt(40)
	v_fmac_f32_e32 v106, v98, v154
	v_fma_f32 v82, v85, v147, -v82
	v_add_f32_e32 v105, v105, v106
	s_waitcnt vmcnt(39)
	v_mul_f32_e32 v106, v99, v155
	v_add_f32_e32 v81, v81, v82
	v_mul_f32_e32 v82, v88, v140
	s_waitcnt vmcnt(38)
	v_fmac_f32_e32 v106, v100, v156
	v_fma_f32 v82, v87, v148, -v82
	v_add_f32_e32 v105, v105, v106
	s_waitcnt vmcnt(37) lgkmcnt(0)
	v_mul_f32_e32 v106, v101, v157
	v_add_f32_e32 v81, v81, v82
	v_mul_f32_e32 v82, v90, v141
	s_waitcnt vmcnt(36)
	v_fmac_f32_e32 v106, v102, v158
	v_fma_f32 v82, v89, v149, -v82
	v_add_f32_e32 v109, v105, v106
	ds_read2_b64 v[105:108], v80 offset0:63 offset1:64
	v_add_f32_e32 v81, v81, v82
	v_mul_f32_e32 v82, v92, v142
	v_fma_f32 v82, v91, v150, -v82
	s_waitcnt vmcnt(35)
	v_mul_f32_e32 v110, v103, v159
	v_add_f32_e32 v81, v81, v82
	v_mul_f32_e32 v82, v94, v143
	s_waitcnt vmcnt(34)
	v_fmac_f32_e32 v110, v104, v160
	v_fma_f32 v82, v93, v151, -v82
	v_add_f32_e32 v113, v109, v110
	ds_read2_b64 v[109:112], v80 offset0:65 offset1:66
	v_add_f32_e32 v81, v81, v82
	v_mul_f32_e32 v82, v96, v144
	s_waitcnt vmcnt(33) lgkmcnt(1)
	v_mul_f32_e32 v114, v105, v161
	v_fma_f32 v82, v95, v152, -v82
	s_waitcnt vmcnt(32)
	v_fmac_f32_e32 v114, v106, v162
	v_add_f32_e32 v81, v81, v82
	v_mul_f32_e32 v82, v98, v153
	v_add_f32_e32 v113, v113, v114
	s_waitcnt vmcnt(31)
	v_mul_f32_e32 v114, v107, v163
	v_fma_f32 v82, v97, v154, -v82
	s_waitcnt vmcnt(30)
	v_fmac_f32_e32 v114, v108, v164
	v_add_f32_e32 v81, v81, v82
	v_mul_f32_e32 v82, v100, v155
	v_add_f32_e32 v113, v113, v114
	s_waitcnt vmcnt(29) lgkmcnt(0)
	v_mul_f32_e32 v114, v109, v165
	v_fma_f32 v82, v99, v156, -v82
	s_waitcnt vmcnt(28)
	v_fmac_f32_e32 v114, v110, v166
	v_add_f32_e32 v81, v81, v82
	v_mul_f32_e32 v82, v102, v157
	v_add_f32_e32 v117, v113, v114
	ds_read2_b64 v[113:116], v80 offset0:67 offset1:68
	v_fma_f32 v82, v101, v158, -v82
	v_add_f32_e32 v81, v81, v82
	v_mul_f32_e32 v82, v104, v159
	s_waitcnt vmcnt(25)
	v_mul_f32_e32 v118, v111, v169
	v_fma_f32 v82, v103, v160, -v82
	s_waitcnt vmcnt(24)
	v_fmac_f32_e32 v118, v112, v170
	v_add_f32_e32 v81, v81, v82
	v_mul_f32_e32 v82, v106, v161
	v_add_f32_e32 v121, v117, v118
	ds_read2_b64 v[117:120], v80 offset0:69 offset1:70
	v_fma_f32 v82, v105, v162, -v82
	s_waitcnt vmcnt(23) lgkmcnt(1)
	v_mul_f32_e32 v122, v113, v171
	v_add_f32_e32 v81, v81, v82
	v_mul_f32_e32 v82, v108, v163
	s_waitcnt vmcnt(22)
	v_fmac_f32_e32 v122, v114, v172
	v_fma_f32 v82, v107, v164, -v82
	v_add_f32_e32 v121, v121, v122
	s_waitcnt vmcnt(20)
	v_mul_f32_e32 v122, v115, v174
	v_add_f32_e32 v81, v81, v82
	v_mul_f32_e32 v82, v110, v165
	v_fmac_f32_e32 v122, v116, v173
	v_fma_f32 v82, v109, v166, -v82
	v_add_f32_e32 v121, v121, v122
	s_waitcnt vmcnt(18) lgkmcnt(0)
	v_mul_f32_e32 v122, v117, v176
	v_add_f32_e32 v81, v81, v82
	v_mul_f32_e32 v82, v112, v169
	v_fmac_f32_e32 v122, v118, v175
	v_fma_f32 v82, v111, v170, -v82
	v_add_f32_e32 v125, v121, v122
	ds_read2_b64 v[121:124], v80 offset0:71 offset1:72
	v_add_f32_e32 v81, v81, v82
	v_mul_f32_e32 v82, v114, v171
	v_fma_f32 v82, v113, v172, -v82
	s_waitcnt vmcnt(17)
	v_mul_f32_e32 v126, v119, v177
	v_add_f32_e32 v81, v81, v82
	v_mul_f32_e32 v82, v116, v174
	s_waitcnt vmcnt(16)
	v_fmac_f32_e32 v126, v120, v178
	v_fma_f32 v82, v115, v173, -v82
	v_add_f32_e32 v129, v125, v126
	ds_read2_b64 v[125:128], v80 offset0:73 offset1:74
	v_add_f32_e32 v81, v81, v82
	v_mul_f32_e32 v82, v118, v176
	s_waitcnt vmcnt(14) lgkmcnt(1)
	v_mul_f32_e32 v130, v121, v180
	v_fma_f32 v82, v117, v175, -v82
	v_fmac_f32_e32 v130, v122, v179
	v_add_f32_e32 v81, v81, v82
	v_mul_f32_e32 v82, v120, v177
	v_add_f32_e32 v129, v129, v130
	s_waitcnt vmcnt(12)
	v_mul_f32_e32 v130, v123, v182
	v_fma_f32 v82, v119, v178, -v82
	v_fmac_f32_e32 v130, v124, v181
	v_add_f32_e32 v81, v81, v82
	v_mul_f32_e32 v82, v122, v180
	v_add_f32_e32 v129, v129, v130
	s_waitcnt vmcnt(10) lgkmcnt(0)
	v_mul_f32_e32 v130, v125, v184
	v_fma_f32 v82, v121, v179, -v82
	v_fmac_f32_e32 v130, v126, v183
	v_add_f32_e32 v81, v81, v82
	v_mul_f32_e32 v82, v124, v182
	v_add_f32_e32 v133, v129, v130
	ds_read2_b64 v[129:132], v80 offset0:75 offset1:76
	v_fma_f32 v82, v123, v181, -v82
	v_add_f32_e32 v81, v81, v82
	v_mul_f32_e32 v82, v126, v184
	s_waitcnt vmcnt(8)
	v_mul_f32_e32 v134, v127, v186
	v_fma_f32 v82, v125, v183, -v82
	v_fmac_f32_e32 v134, v128, v185
	v_add_f32_e32 v81, v81, v82
	v_mul_f32_e32 v82, v128, v186
	v_add_f32_e32 v195, v133, v134
	ds_read2_b64 v[133:136], v80 offset0:77 offset1:78
	v_fma_f32 v82, v127, v185, -v82
	v_add_f32_e32 v81, v81, v82
	s_waitcnt vmcnt(6) lgkmcnt(1)
	v_mul_f32_e32 v82, v130, v188
	v_mul_f32_e32 v80, v129, v188
	v_fma_f32 v82, v129, v187, -v82
	v_fmac_f32_e32 v80, v130, v187
	v_add_f32_e32 v81, v81, v82
	s_waitcnt vmcnt(4)
	v_mul_f32_e32 v82, v132, v190
	v_add_f32_e32 v80, v195, v80
	v_mul_f32_e32 v195, v131, v190
	v_fma_f32 v82, v131, v189, -v82
	v_fmac_f32_e32 v195, v132, v189
	v_add_f32_e32 v81, v81, v82
	s_waitcnt vmcnt(2) lgkmcnt(0)
	v_mul_f32_e32 v82, v134, v192
	v_add_f32_e32 v80, v80, v195
	v_mul_f32_e32 v195, v133, v192
	v_fma_f32 v82, v133, v191, -v82
	v_fmac_f32_e32 v195, v134, v191
	v_add_f32_e32 v81, v81, v82
	s_waitcnt vmcnt(0)
	v_mul_f32_e32 v82, v136, v194
	v_add_f32_e32 v80, v80, v195
	v_mul_f32_e32 v195, v135, v194
	v_fma_f32 v82, v135, v193, -v82
	v_fmac_f32_e32 v195, v136, v193
	v_add_f32_e32 v81, v81, v82
	v_add_f32_e32 v80, v80, v195
	v_sub_f32_e32 v81, v167, v81
	v_sub_f32_e32 v80, v168, v80
	buffer_store_dword v81, off, s[0:3], 0 offset:80
	buffer_store_dword v80, off, s[0:3], 0 offset:84
	s_and_saveexec_b64 s[4:5], vcc
	s_cbranch_execz .LBB102_229
; %bb.228:
	buffer_load_dword v80, off, s[0:3], 0 offset:72
	buffer_load_dword v81, off, s[0:3], 0 offset:76
	v_mov_b32_e32 v82, 0
	buffer_store_dword v82, off, s[0:3], 0 offset:72
	buffer_store_dword v82, off, s[0:3], 0 offset:76
	s_waitcnt vmcnt(2)
	ds_write_b64 v79, v[80:81]
.LBB102_229:
	s_or_b64 exec, exec, s[4:5]
	s_waitcnt lgkmcnt(0)
	; wave barrier
	buffer_load_dword v139, off, s[0:3], 0 offset:84
	buffer_load_dword v140, off, s[0:3], 0 offset:92
	;; [unrolled: 1-line block ×60, first 2 shown]
	v_mov_b32_e32 v80, 0
	ds_read_b128 v[81:84], v80 offset:400
	ds_read_b128 v[85:88], v80 offset:416
	;; [unrolled: 1-line block ×5, first 2 shown]
	v_cmp_lt_u32_e32 vcc, 8, v0
	s_waitcnt vmcnt(59) lgkmcnt(4)
	v_mul_f32_e32 v101, v81, v139
	s_waitcnt vmcnt(58)
	v_mul_f32_e32 v102, v83, v140
	s_waitcnt vmcnt(57) lgkmcnt(3)
	v_mul_f32_e32 v103, v85, v141
	s_waitcnt vmcnt(56)
	v_mul_f32_e32 v104, v87, v142
	s_waitcnt vmcnt(55) lgkmcnt(2)
	v_mul_f32_e32 v105, v89, v143
	s_waitcnt vmcnt(54)
	v_mul_f32_e32 v106, v91, v144
	s_waitcnt vmcnt(53) lgkmcnt(1)
	v_mul_f32_e32 v107, v93, v145
	s_waitcnt vmcnt(52)
	v_fmac_f32_e32 v101, v82, v146
	s_waitcnt vmcnt(51)
	v_fmac_f32_e32 v102, v84, v147
	v_add_f32_e32 v101, 0, v101
	s_waitcnt vmcnt(50)
	v_fmac_f32_e32 v103, v86, v148
	v_add_f32_e32 v101, v101, v102
	;; [unrolled: 3-line block ×6, first 2 shown]
	s_waitcnt vmcnt(45)
	v_mul_f32_e32 v102, v95, v153
	v_add_f32_e32 v101, v101, v107
	s_waitcnt vmcnt(44)
	v_fmac_f32_e32 v102, v96, v154
	v_mul_f32_e32 v82, v82, v139
	v_add_f32_e32 v105, v101, v102
	ds_read_b128 v[101:104], v80 offset:480
	v_fma_f32 v81, v81, v146, -v82
	v_mul_f32_e32 v82, v84, v140
	s_waitcnt vmcnt(43) lgkmcnt(1)
	v_mul_f32_e32 v106, v97, v155
	v_add_f32_e32 v81, 0, v81
	v_fma_f32 v82, v83, v147, -v82
	s_waitcnt vmcnt(42)
	v_fmac_f32_e32 v106, v98, v156
	v_add_f32_e32 v81, v81, v82
	v_mul_f32_e32 v82, v86, v141
	v_add_f32_e32 v105, v105, v106
	s_waitcnt vmcnt(41)
	v_mul_f32_e32 v106, v99, v157
	v_fma_f32 v82, v85, v148, -v82
	s_waitcnt vmcnt(40)
	v_fmac_f32_e32 v106, v100, v158
	v_add_f32_e32 v81, v81, v82
	v_mul_f32_e32 v82, v88, v142
	v_add_f32_e32 v105, v105, v106
	s_waitcnt vmcnt(39) lgkmcnt(0)
	v_mul_f32_e32 v106, v101, v159
	v_fma_f32 v82, v87, v149, -v82
	s_waitcnt vmcnt(38)
	v_fmac_f32_e32 v106, v102, v160
	v_add_f32_e32 v81, v81, v82
	v_mul_f32_e32 v82, v90, v143
	v_add_f32_e32 v109, v105, v106
	ds_read_b128 v[105:108], v80 offset:496
	v_fma_f32 v82, v89, v150, -v82
	v_add_f32_e32 v81, v81, v82
	v_mul_f32_e32 v82, v92, v144
	s_waitcnt vmcnt(37)
	v_mul_f32_e32 v110, v103, v161
	v_fma_f32 v82, v91, v151, -v82
	s_waitcnt vmcnt(36)
	v_fmac_f32_e32 v110, v104, v162
	v_add_f32_e32 v81, v81, v82
	v_mul_f32_e32 v82, v94, v145
	v_add_f32_e32 v113, v109, v110
	ds_read_b128 v[109:112], v80 offset:512
	v_fma_f32 v82, v93, v152, -v82
	s_waitcnt vmcnt(34) lgkmcnt(1)
	v_mul_f32_e32 v114, v105, v164
	v_add_f32_e32 v81, v81, v82
	v_mul_f32_e32 v82, v96, v153
	v_fmac_f32_e32 v114, v106, v163
	v_fma_f32 v82, v95, v154, -v82
	v_add_f32_e32 v113, v113, v114
	s_waitcnt vmcnt(31)
	v_mul_f32_e32 v114, v107, v167
	v_add_f32_e32 v81, v81, v82
	v_mul_f32_e32 v82, v98, v155
	s_waitcnt vmcnt(30)
	v_fmac_f32_e32 v114, v108, v168
	v_fma_f32 v82, v97, v156, -v82
	v_add_f32_e32 v113, v113, v114
	s_waitcnt vmcnt(28) lgkmcnt(0)
	v_mul_f32_e32 v114, v109, v170
	v_add_f32_e32 v81, v81, v82
	v_mul_f32_e32 v82, v100, v157
	v_fmac_f32_e32 v114, v110, v169
	v_fma_f32 v82, v99, v158, -v82
	v_add_f32_e32 v117, v113, v114
	ds_read_b128 v[113:116], v80 offset:528
	v_add_f32_e32 v81, v81, v82
	v_mul_f32_e32 v82, v102, v159
	v_fma_f32 v82, v101, v160, -v82
	s_waitcnt vmcnt(26)
	v_mul_f32_e32 v118, v111, v172
	v_add_f32_e32 v81, v81, v82
	v_mul_f32_e32 v82, v104, v161
	v_fmac_f32_e32 v118, v112, v171
	v_fma_f32 v82, v103, v162, -v82
	v_add_f32_e32 v121, v117, v118
	ds_read_b128 v[117:120], v80 offset:544
	v_add_f32_e32 v81, v81, v82
	v_mul_f32_e32 v82, v106, v164
	s_waitcnt vmcnt(24) lgkmcnt(1)
	v_mul_f32_e32 v122, v113, v174
	v_fma_f32 v82, v105, v163, -v82
	v_fmac_f32_e32 v122, v114, v173
	v_add_f32_e32 v81, v81, v82
	v_mul_f32_e32 v82, v108, v167
	v_add_f32_e32 v121, v121, v122
	s_waitcnt vmcnt(22)
	v_mul_f32_e32 v122, v115, v176
	v_fma_f32 v82, v107, v168, -v82
	v_fmac_f32_e32 v122, v116, v175
	v_add_f32_e32 v81, v81, v82
	v_mul_f32_e32 v82, v110, v170
	v_add_f32_e32 v121, v121, v122
	s_waitcnt vmcnt(20) lgkmcnt(0)
	v_mul_f32_e32 v122, v117, v178
	v_fma_f32 v82, v109, v169, -v82
	v_fmac_f32_e32 v122, v118, v177
	v_add_f32_e32 v81, v81, v82
	v_mul_f32_e32 v82, v112, v172
	v_add_f32_e32 v125, v121, v122
	ds_read_b128 v[121:124], v80 offset:560
	v_fma_f32 v82, v111, v171, -v82
	v_add_f32_e32 v81, v81, v82
	v_mul_f32_e32 v82, v114, v174
	s_waitcnt vmcnt(18)
	v_mul_f32_e32 v126, v119, v180
	v_fma_f32 v82, v113, v173, -v82
	v_fmac_f32_e32 v126, v120, v179
	v_add_f32_e32 v81, v81, v82
	v_mul_f32_e32 v82, v116, v176
	v_add_f32_e32 v129, v125, v126
	ds_read_b128 v[125:128], v80 offset:576
	v_fma_f32 v82, v115, v175, -v82
	s_waitcnt vmcnt(16) lgkmcnt(1)
	v_mul_f32_e32 v130, v121, v182
	v_add_f32_e32 v81, v81, v82
	v_mul_f32_e32 v82, v118, v178
	v_fmac_f32_e32 v130, v122, v181
	v_fma_f32 v82, v117, v177, -v82
	v_add_f32_e32 v129, v129, v130
	s_waitcnt vmcnt(14)
	v_mul_f32_e32 v130, v123, v184
	v_add_f32_e32 v81, v81, v82
	v_mul_f32_e32 v82, v120, v180
	v_fmac_f32_e32 v130, v124, v183
	v_fma_f32 v82, v119, v179, -v82
	v_add_f32_e32 v129, v129, v130
	s_waitcnt vmcnt(12) lgkmcnt(0)
	v_mul_f32_e32 v130, v125, v186
	v_add_f32_e32 v81, v81, v82
	v_mul_f32_e32 v82, v122, v182
	v_fmac_f32_e32 v130, v126, v185
	v_fma_f32 v82, v121, v181, -v82
	v_add_f32_e32 v133, v129, v130
	ds_read_b128 v[129:132], v80 offset:592
	v_add_f32_e32 v81, v81, v82
	v_mul_f32_e32 v82, v124, v184
	v_fma_f32 v82, v123, v183, -v82
	v_add_f32_e32 v81, v81, v82
	v_mul_f32_e32 v82, v126, v186
	s_waitcnt vmcnt(10)
	v_mul_f32_e32 v134, v127, v188
	v_fma_f32 v82, v125, v185, -v82
	v_fmac_f32_e32 v134, v128, v187
	v_add_f32_e32 v81, v81, v82
	v_mul_f32_e32 v82, v128, v188
	v_add_f32_e32 v137, v133, v134
	ds_read_b128 v[133:136], v80 offset:608
	s_waitcnt vmcnt(8) lgkmcnt(1)
	v_mul_f32_e32 v138, v129, v190
	v_fma_f32 v82, v127, v187, -v82
	v_fmac_f32_e32 v138, v130, v189
	v_add_f32_e32 v81, v81, v82
	v_mul_f32_e32 v82, v130, v190
	v_add_f32_e32 v137, v137, v138
	s_waitcnt vmcnt(6)
	v_mul_f32_e32 v138, v131, v192
	v_fma_f32 v82, v129, v189, -v82
	v_fmac_f32_e32 v138, v132, v191
	v_add_f32_e32 v81, v81, v82
	v_mul_f32_e32 v82, v132, v192
	v_add_f32_e32 v199, v137, v138
	ds_read_b64 v[137:138], v80 offset:624
	v_fma_f32 v82, v131, v191, -v82
	v_add_f32_e32 v81, v81, v82
	s_waitcnt vmcnt(4) lgkmcnt(1)
	v_mul_f32_e32 v82, v134, v194
	v_mul_f32_e32 v200, v133, v194
	v_fma_f32 v82, v133, v193, -v82
	v_fmac_f32_e32 v200, v134, v193
	v_add_f32_e32 v81, v81, v82
	s_waitcnt vmcnt(2)
	v_mul_f32_e32 v82, v136, v196
	v_add_f32_e32 v199, v199, v200
	v_mul_f32_e32 v200, v135, v196
	v_fma_f32 v82, v135, v195, -v82
	v_fmac_f32_e32 v200, v136, v195
	v_add_f32_e32 v81, v81, v82
	s_waitcnt vmcnt(0) lgkmcnt(0)
	v_mul_f32_e32 v82, v138, v198
	v_add_f32_e32 v199, v199, v200
	v_mul_f32_e32 v200, v137, v198
	v_fma_f32 v82, v137, v197, -v82
	v_fmac_f32_e32 v200, v138, v197
	v_add_f32_e32 v81, v81, v82
	v_add_f32_e32 v199, v199, v200
	v_sub_f32_e32 v81, v165, v81
	v_sub_f32_e32 v82, v166, v199
	buffer_store_dword v81, off, s[0:3], 0 offset:72
	buffer_store_dword v82, off, s[0:3], 0 offset:76
	s_and_saveexec_b64 s[4:5], vcc
	s_cbranch_execz .LBB102_231
; %bb.230:
	buffer_load_dword v81, off, s[0:3], 0 offset:64
	buffer_load_dword v82, off, s[0:3], 0 offset:68
	s_waitcnt vmcnt(0)
	ds_write_b64 v79, v[81:82]
	buffer_store_dword v80, off, s[0:3], 0 offset:64
	buffer_store_dword v80, off, s[0:3], 0 offset:68
.LBB102_231:
	s_or_b64 exec, exec, s[4:5]
	s_waitcnt lgkmcnt(0)
	; wave barrier
	buffer_load_dword v141, off, s[0:3], 0 offset:76
	buffer_load_dword v142, off, s[0:3], 0 offset:84
	;; [unrolled: 1-line block ×32, first 2 shown]
	ds_read2_b64 v[81:84], v80 offset0:49 offset1:50
	ds_read2_b64 v[85:88], v80 offset0:51 offset1:52
	ds_read2_b64 v[89:92], v80 offset0:53 offset1:54
	ds_read2_b64 v[93:96], v80 offset0:55 offset1:56
	buffer_load_dword v173, off, s[0:3], 0 offset:196
	buffer_load_dword v174, off, s[0:3], 0 offset:192
	;; [unrolled: 1-line block ×30, first 2 shown]
	v_cmp_lt_u32_e32 vcc, 7, v0
	s_waitcnt vmcnt(61) lgkmcnt(3)
	v_mul_f32_e32 v97, v81, v141
	s_waitcnt vmcnt(60)
	v_mul_f32_e32 v98, v83, v142
	s_waitcnt vmcnt(59) lgkmcnt(2)
	v_mul_f32_e32 v99, v85, v143
	s_waitcnt vmcnt(58)
	v_mul_f32_e32 v100, v87, v144
	;; [unrolled: 4-line block ×3, first 2 shown]
	s_waitcnt vmcnt(55) lgkmcnt(0)
	v_mul_f32_e32 v103, v93, v147
	s_waitcnt vmcnt(54)
	v_fmac_f32_e32 v97, v82, v148
	s_waitcnt vmcnt(53)
	v_fmac_f32_e32 v98, v84, v149
	v_add_f32_e32 v97, 0, v97
	s_waitcnt vmcnt(52)
	v_fmac_f32_e32 v99, v86, v150
	v_add_f32_e32 v97, v97, v98
	;; [unrolled: 3-line block ×6, first 2 shown]
	v_add_f32_e32 v101, v97, v103
	ds_read2_b64 v[97:100], v80 offset0:57 offset1:58
	s_waitcnt vmcnt(47)
	v_mul_f32_e32 v102, v95, v155
	s_waitcnt vmcnt(46)
	v_fmac_f32_e32 v102, v96, v156
	v_mul_f32_e32 v82, v82, v141
	v_add_f32_e32 v105, v101, v102
	ds_read2_b64 v[101:104], v80 offset0:59 offset1:60
	v_fma_f32 v81, v81, v148, -v82
	v_mul_f32_e32 v82, v84, v142
	s_waitcnt vmcnt(45) lgkmcnt(1)
	v_mul_f32_e32 v106, v97, v157
	v_add_f32_e32 v81, 0, v81
	v_fma_f32 v82, v83, v149, -v82
	s_waitcnt vmcnt(44)
	v_fmac_f32_e32 v106, v98, v158
	v_add_f32_e32 v81, v81, v82
	v_mul_f32_e32 v82, v86, v143
	v_add_f32_e32 v105, v105, v106
	s_waitcnt vmcnt(43)
	v_mul_f32_e32 v106, v99, v159
	v_fma_f32 v82, v85, v150, -v82
	s_waitcnt vmcnt(42)
	v_fmac_f32_e32 v106, v100, v160
	v_add_f32_e32 v81, v81, v82
	v_mul_f32_e32 v82, v88, v144
	v_add_f32_e32 v105, v105, v106
	s_waitcnt vmcnt(41) lgkmcnt(0)
	v_mul_f32_e32 v106, v101, v161
	v_fma_f32 v82, v87, v151, -v82
	s_waitcnt vmcnt(40)
	v_fmac_f32_e32 v106, v102, v162
	v_add_f32_e32 v81, v81, v82
	v_mul_f32_e32 v82, v90, v145
	v_add_f32_e32 v109, v105, v106
	ds_read2_b64 v[105:108], v80 offset0:61 offset1:62
	v_fma_f32 v82, v89, v152, -v82
	v_add_f32_e32 v81, v81, v82
	v_mul_f32_e32 v82, v92, v146
	s_waitcnt vmcnt(39)
	v_mul_f32_e32 v110, v103, v163
	v_fma_f32 v82, v91, v153, -v82
	s_waitcnt vmcnt(38)
	v_fmac_f32_e32 v110, v104, v164
	v_add_f32_e32 v81, v81, v82
	v_mul_f32_e32 v82, v94, v147
	v_add_f32_e32 v113, v109, v110
	ds_read2_b64 v[109:112], v80 offset0:63 offset1:64
	v_fma_f32 v82, v93, v154, -v82
	s_waitcnt vmcnt(35) lgkmcnt(1)
	v_mul_f32_e32 v114, v105, v167
	v_add_f32_e32 v81, v81, v82
	v_mul_f32_e32 v82, v96, v155
	s_waitcnt vmcnt(34)
	v_fmac_f32_e32 v114, v106, v168
	v_fma_f32 v82, v95, v156, -v82
	v_add_f32_e32 v113, v113, v114
	s_waitcnt vmcnt(32)
	v_mul_f32_e32 v114, v107, v170
	v_add_f32_e32 v81, v81, v82
	v_mul_f32_e32 v82, v98, v157
	v_fmac_f32_e32 v114, v108, v169
	v_fma_f32 v82, v97, v158, -v82
	v_add_f32_e32 v113, v113, v114
	s_waitcnt vmcnt(30) lgkmcnt(0)
	v_mul_f32_e32 v114, v109, v172
	v_add_f32_e32 v81, v81, v82
	v_mul_f32_e32 v82, v100, v159
	v_fmac_f32_e32 v114, v110, v171
	v_fma_f32 v82, v99, v160, -v82
	v_add_f32_e32 v117, v113, v114
	ds_read2_b64 v[113:116], v80 offset0:65 offset1:66
	v_add_f32_e32 v81, v81, v82
	v_mul_f32_e32 v82, v102, v161
	v_fma_f32 v82, v101, v162, -v82
	s_waitcnt vmcnt(29)
	v_mul_f32_e32 v118, v111, v173
	v_add_f32_e32 v81, v81, v82
	v_mul_f32_e32 v82, v104, v163
	s_waitcnt vmcnt(28)
	v_fmac_f32_e32 v118, v112, v174
	v_fma_f32 v82, v103, v164, -v82
	v_add_f32_e32 v121, v117, v118
	ds_read2_b64 v[117:120], v80 offset0:67 offset1:68
	v_add_f32_e32 v81, v81, v82
	v_mul_f32_e32 v82, v106, v167
	s_waitcnt vmcnt(26) lgkmcnt(1)
	v_mul_f32_e32 v122, v113, v176
	v_fma_f32 v82, v105, v168, -v82
	v_fmac_f32_e32 v122, v114, v175
	v_add_f32_e32 v81, v81, v82
	v_mul_f32_e32 v82, v108, v170
	v_add_f32_e32 v121, v121, v122
	s_waitcnt vmcnt(24)
	v_mul_f32_e32 v122, v115, v178
	v_fma_f32 v82, v107, v169, -v82
	v_fmac_f32_e32 v122, v116, v177
	v_add_f32_e32 v81, v81, v82
	v_mul_f32_e32 v82, v110, v172
	v_add_f32_e32 v121, v121, v122
	s_waitcnt vmcnt(22) lgkmcnt(0)
	v_mul_f32_e32 v122, v117, v180
	v_fma_f32 v82, v109, v171, -v82
	v_fmac_f32_e32 v122, v118, v179
	v_add_f32_e32 v81, v81, v82
	v_mul_f32_e32 v82, v112, v173
	v_add_f32_e32 v125, v121, v122
	ds_read2_b64 v[121:124], v80 offset0:69 offset1:70
	v_fma_f32 v82, v111, v174, -v82
	v_add_f32_e32 v81, v81, v82
	v_mul_f32_e32 v82, v114, v176
	s_waitcnt vmcnt(20)
	v_mul_f32_e32 v126, v119, v182
	v_fma_f32 v82, v113, v175, -v82
	v_fmac_f32_e32 v126, v120, v181
	v_add_f32_e32 v81, v81, v82
	v_mul_f32_e32 v82, v116, v178
	v_add_f32_e32 v129, v125, v126
	ds_read2_b64 v[125:128], v80 offset0:71 offset1:72
	v_fma_f32 v82, v115, v177, -v82
	s_waitcnt vmcnt(18) lgkmcnt(1)
	v_mul_f32_e32 v130, v121, v184
	v_add_f32_e32 v81, v81, v82
	v_mul_f32_e32 v82, v118, v180
	v_fmac_f32_e32 v130, v122, v183
	v_fma_f32 v82, v117, v179, -v82
	v_add_f32_e32 v129, v129, v130
	s_waitcnt vmcnt(16)
	v_mul_f32_e32 v130, v123, v186
	v_add_f32_e32 v81, v81, v82
	v_mul_f32_e32 v82, v120, v182
	v_fmac_f32_e32 v130, v124, v185
	v_fma_f32 v82, v119, v181, -v82
	v_add_f32_e32 v129, v129, v130
	s_waitcnt vmcnt(14) lgkmcnt(0)
	v_mul_f32_e32 v130, v125, v188
	v_add_f32_e32 v81, v81, v82
	v_mul_f32_e32 v82, v122, v184
	v_fmac_f32_e32 v130, v126, v187
	v_fma_f32 v82, v121, v183, -v82
	v_add_f32_e32 v133, v129, v130
	ds_read2_b64 v[129:132], v80 offset0:73 offset1:74
	v_add_f32_e32 v81, v81, v82
	v_mul_f32_e32 v82, v124, v186
	v_fma_f32 v82, v123, v185, -v82
	v_add_f32_e32 v81, v81, v82
	v_mul_f32_e32 v82, v126, v188
	s_waitcnt vmcnt(12)
	v_mul_f32_e32 v134, v127, v190
	v_fma_f32 v82, v125, v187, -v82
	v_fmac_f32_e32 v134, v128, v189
	v_add_f32_e32 v81, v81, v82
	v_mul_f32_e32 v82, v128, v190
	v_add_f32_e32 v137, v133, v134
	ds_read2_b64 v[133:136], v80 offset0:75 offset1:76
	s_waitcnt vmcnt(10) lgkmcnt(1)
	v_mul_f32_e32 v138, v129, v192
	v_fma_f32 v82, v127, v189, -v82
	v_fmac_f32_e32 v138, v130, v191
	v_add_f32_e32 v81, v81, v82
	v_mul_f32_e32 v82, v130, v192
	v_add_f32_e32 v137, v137, v138
	s_waitcnt vmcnt(8)
	v_mul_f32_e32 v138, v131, v194
	v_fma_f32 v82, v129, v191, -v82
	v_fmac_f32_e32 v138, v132, v193
	v_add_f32_e32 v81, v81, v82
	v_mul_f32_e32 v82, v132, v194
	v_add_f32_e32 v203, v137, v138
	ds_read2_b64 v[137:140], v80 offset0:77 offset1:78
	v_fma_f32 v82, v131, v193, -v82
	v_add_f32_e32 v81, v81, v82
	s_waitcnt vmcnt(6) lgkmcnt(1)
	v_mul_f32_e32 v82, v134, v196
	v_mul_f32_e32 v204, v133, v196
	v_fma_f32 v82, v133, v195, -v82
	v_fmac_f32_e32 v204, v134, v195
	v_add_f32_e32 v81, v81, v82
	s_waitcnt vmcnt(4)
	v_mul_f32_e32 v82, v136, v198
	v_add_f32_e32 v80, v203, v204
	v_mul_f32_e32 v203, v135, v198
	v_fma_f32 v82, v135, v197, -v82
	v_fmac_f32_e32 v203, v136, v197
	v_add_f32_e32 v81, v81, v82
	s_waitcnt vmcnt(2) lgkmcnt(0)
	v_mul_f32_e32 v82, v138, v200
	v_add_f32_e32 v80, v80, v203
	v_mul_f32_e32 v203, v137, v200
	v_fma_f32 v82, v137, v199, -v82
	v_fmac_f32_e32 v203, v138, v199
	v_add_f32_e32 v81, v81, v82
	s_waitcnt vmcnt(0)
	v_mul_f32_e32 v82, v140, v202
	v_add_f32_e32 v80, v80, v203
	v_mul_f32_e32 v203, v139, v202
	v_fma_f32 v82, v139, v201, -v82
	v_fmac_f32_e32 v203, v140, v201
	v_add_f32_e32 v81, v81, v82
	v_add_f32_e32 v80, v80, v203
	v_sub_f32_e32 v81, v165, v81
	v_sub_f32_e32 v80, v166, v80
	buffer_store_dword v81, off, s[0:3], 0 offset:64
	buffer_store_dword v80, off, s[0:3], 0 offset:68
	s_and_saveexec_b64 s[4:5], vcc
	s_cbranch_execz .LBB102_233
; %bb.232:
	buffer_load_dword v80, off, s[0:3], 0 offset:56
	buffer_load_dword v81, off, s[0:3], 0 offset:60
	v_mov_b32_e32 v82, 0
	buffer_store_dword v82, off, s[0:3], 0 offset:56
	buffer_store_dword v82, off, s[0:3], 0 offset:60
	s_waitcnt vmcnt(2)
	ds_write_b64 v79, v[80:81]
.LBB102_233:
	s_or_b64 exec, exec, s[4:5]
	s_waitcnt lgkmcnt(0)
	; wave barrier
	buffer_load_dword v143, off, s[0:3], 0 offset:68
	buffer_load_dword v144, off, s[0:3], 0 offset:76
	;; [unrolled: 1-line block ×56, first 2 shown]
	v_mov_b32_e32 v80, 0
	ds_read_b128 v[81:84], v80 offset:384
	buffer_load_dword v199, off, s[0:3], 0 offset:280
	buffer_load_dword v200, off, s[0:3], 0 offset:284
	;; [unrolled: 1-line block ×4, first 2 shown]
	ds_read_b128 v[85:88], v80 offset:400
	ds_read_b128 v[89:92], v80 offset:416
	;; [unrolled: 1-line block ×3, first 2 shown]
	v_cmp_lt_u32_e32 vcc, 6, v0
	s_waitcnt vmcnt(59) lgkmcnt(3)
	v_mul_f32_e32 v97, v81, v143
	s_waitcnt vmcnt(58)
	v_mul_f32_e32 v98, v83, v144
	s_waitcnt vmcnt(57) lgkmcnt(2)
	v_mul_f32_e32 v99, v85, v145
	s_waitcnt vmcnt(56)
	v_mul_f32_e32 v100, v87, v146
	;; [unrolled: 4-line block ×4, first 2 shown]
	s_waitcnt vmcnt(51)
	v_fmac_f32_e32 v97, v82, v151
	s_waitcnt vmcnt(50)
	v_fmac_f32_e32 v98, v84, v152
	v_add_f32_e32 v97, 0, v97
	s_waitcnt vmcnt(49)
	v_fmac_f32_e32 v99, v86, v153
	v_add_f32_e32 v97, v97, v98
	;; [unrolled: 3-line block ×6, first 2 shown]
	v_add_f32_e32 v101, v97, v103
	ds_read_b128 v[97:100], v80 offset:448
	buffer_load_dword v203, off, s[0:3], 0 offset:300
	buffer_load_dword v204, off, s[0:3], 0 offset:296
	;; [unrolled: 1-line block ×4, first 2 shown]
	s_waitcnt vmcnt(48)
	v_fmac_f32_e32 v104, v96, v158
	v_add_f32_e32 v105, v101, v104
	ds_read_b128 v[101:104], v80 offset:464
	s_waitcnt vmcnt(47) lgkmcnt(1)
	v_mul_f32_e32 v106, v97, v159
	v_mul_f32_e32 v82, v82, v143
	s_waitcnt vmcnt(46)
	v_fmac_f32_e32 v106, v98, v160
	v_fma_f32 v81, v81, v151, -v82
	v_mul_f32_e32 v82, v84, v144
	v_add_f32_e32 v105, v105, v106
	s_waitcnt vmcnt(45)
	v_mul_f32_e32 v106, v99, v161
	v_add_f32_e32 v81, 0, v81
	v_fma_f32 v82, v83, v152, -v82
	s_waitcnt vmcnt(44)
	v_fmac_f32_e32 v106, v100, v162
	v_add_f32_e32 v81, v81, v82
	v_mul_f32_e32 v82, v86, v145
	v_add_f32_e32 v105, v105, v106
	s_waitcnt vmcnt(42) lgkmcnt(0)
	v_mul_f32_e32 v106, v101, v164
	v_fma_f32 v82, v85, v153, -v82
	v_fmac_f32_e32 v106, v102, v163
	v_add_f32_e32 v81, v81, v82
	v_mul_f32_e32 v82, v88, v146
	v_add_f32_e32 v109, v105, v106
	ds_read_b128 v[105:108], v80 offset:480
	v_fma_f32 v82, v87, v154, -v82
	v_add_f32_e32 v81, v81, v82
	v_mul_f32_e32 v82, v90, v147
	s_waitcnt vmcnt(39)
	v_mul_f32_e32 v110, v103, v167
	v_fma_f32 v82, v89, v155, -v82
	s_waitcnt vmcnt(38)
	v_fmac_f32_e32 v110, v104, v168
	v_add_f32_e32 v81, v81, v82
	v_mul_f32_e32 v82, v92, v148
	v_add_f32_e32 v113, v109, v110
	ds_read_b128 v[109:112], v80 offset:496
	v_fma_f32 v82, v91, v156, -v82
	s_waitcnt vmcnt(36) lgkmcnt(1)
	v_mul_f32_e32 v114, v105, v170
	v_add_f32_e32 v81, v81, v82
	v_mul_f32_e32 v82, v94, v149
	v_fmac_f32_e32 v114, v106, v169
	v_fma_f32 v82, v93, v157, -v82
	v_add_f32_e32 v113, v113, v114
	s_waitcnt vmcnt(34)
	v_mul_f32_e32 v114, v107, v172
	v_add_f32_e32 v81, v81, v82
	v_mul_f32_e32 v82, v96, v150
	v_fmac_f32_e32 v114, v108, v171
	v_fma_f32 v82, v95, v158, -v82
	v_add_f32_e32 v113, v113, v114
	s_waitcnt vmcnt(32) lgkmcnt(0)
	v_mul_f32_e32 v114, v109, v174
	v_add_f32_e32 v81, v81, v82
	v_mul_f32_e32 v82, v98, v159
	v_fmac_f32_e32 v114, v110, v173
	v_fma_f32 v82, v97, v160, -v82
	v_add_f32_e32 v117, v113, v114
	ds_read_b128 v[113:116], v80 offset:512
	v_add_f32_e32 v81, v81, v82
	v_mul_f32_e32 v82, v100, v161
	v_fma_f32 v82, v99, v162, -v82
	s_waitcnt vmcnt(30)
	v_mul_f32_e32 v118, v111, v176
	v_add_f32_e32 v81, v81, v82
	v_mul_f32_e32 v82, v102, v164
	v_fmac_f32_e32 v118, v112, v175
	v_fma_f32 v82, v101, v163, -v82
	v_add_f32_e32 v121, v117, v118
	ds_read_b128 v[117:120], v80 offset:528
	v_add_f32_e32 v81, v81, v82
	v_mul_f32_e32 v82, v104, v167
	s_waitcnt vmcnt(28) lgkmcnt(1)
	v_mul_f32_e32 v122, v113, v178
	v_fma_f32 v82, v103, v168, -v82
	v_fmac_f32_e32 v122, v114, v177
	v_add_f32_e32 v81, v81, v82
	v_mul_f32_e32 v82, v106, v170
	v_add_f32_e32 v121, v121, v122
	s_waitcnt vmcnt(26)
	v_mul_f32_e32 v122, v115, v180
	v_fma_f32 v82, v105, v169, -v82
	v_fmac_f32_e32 v122, v116, v179
	v_add_f32_e32 v81, v81, v82
	v_mul_f32_e32 v82, v108, v172
	v_add_f32_e32 v121, v121, v122
	s_waitcnt vmcnt(24) lgkmcnt(0)
	v_mul_f32_e32 v122, v117, v182
	v_fma_f32 v82, v107, v171, -v82
	v_fmac_f32_e32 v122, v118, v181
	v_add_f32_e32 v81, v81, v82
	v_mul_f32_e32 v82, v110, v174
	v_add_f32_e32 v125, v121, v122
	ds_read_b128 v[121:124], v80 offset:544
	v_fma_f32 v82, v109, v173, -v82
	v_add_f32_e32 v81, v81, v82
	v_mul_f32_e32 v82, v112, v176
	s_waitcnt vmcnt(22)
	v_mul_f32_e32 v126, v119, v184
	v_fma_f32 v82, v111, v175, -v82
	v_fmac_f32_e32 v126, v120, v183
	v_add_f32_e32 v81, v81, v82
	v_mul_f32_e32 v82, v114, v178
	v_add_f32_e32 v129, v125, v126
	ds_read_b128 v[125:128], v80 offset:560
	v_fma_f32 v82, v113, v177, -v82
	s_waitcnt vmcnt(20) lgkmcnt(1)
	v_mul_f32_e32 v130, v121, v186
	v_add_f32_e32 v81, v81, v82
	v_mul_f32_e32 v82, v116, v180
	v_fmac_f32_e32 v130, v122, v185
	v_fma_f32 v82, v115, v179, -v82
	v_add_f32_e32 v129, v129, v130
	s_waitcnt vmcnt(18)
	v_mul_f32_e32 v130, v123, v188
	v_add_f32_e32 v81, v81, v82
	v_mul_f32_e32 v82, v118, v182
	v_fmac_f32_e32 v130, v124, v187
	v_fma_f32 v82, v117, v181, -v82
	v_add_f32_e32 v129, v129, v130
	s_waitcnt vmcnt(16) lgkmcnt(0)
	v_mul_f32_e32 v130, v125, v190
	v_add_f32_e32 v81, v81, v82
	v_mul_f32_e32 v82, v120, v184
	v_fmac_f32_e32 v130, v126, v189
	v_fma_f32 v82, v119, v183, -v82
	v_add_f32_e32 v133, v129, v130
	ds_read_b128 v[129:132], v80 offset:576
	v_add_f32_e32 v81, v81, v82
	v_mul_f32_e32 v82, v122, v186
	v_fma_f32 v82, v121, v185, -v82
	s_waitcnt vmcnt(14)
	v_mul_f32_e32 v134, v127, v192
	v_add_f32_e32 v81, v81, v82
	v_mul_f32_e32 v82, v124, v188
	v_fmac_f32_e32 v134, v128, v191
	v_fma_f32 v82, v123, v187, -v82
	v_add_f32_e32 v137, v133, v134
	ds_read_b128 v[133:136], v80 offset:592
	v_add_f32_e32 v81, v81, v82
	v_mul_f32_e32 v82, v126, v190
	s_waitcnt vmcnt(12) lgkmcnt(1)
	v_mul_f32_e32 v138, v129, v194
	v_fma_f32 v82, v125, v189, -v82
	v_fmac_f32_e32 v138, v130, v193
	v_add_f32_e32 v81, v81, v82
	v_mul_f32_e32 v82, v128, v192
	v_add_f32_e32 v137, v137, v138
	s_waitcnt vmcnt(10)
	v_mul_f32_e32 v138, v131, v196
	v_fma_f32 v82, v127, v191, -v82
	v_fmac_f32_e32 v138, v132, v195
	v_add_f32_e32 v81, v81, v82
	v_mul_f32_e32 v82, v130, v194
	v_add_f32_e32 v137, v137, v138
	s_waitcnt vmcnt(8) lgkmcnt(0)
	v_mul_f32_e32 v138, v133, v198
	v_fma_f32 v82, v129, v193, -v82
	v_fmac_f32_e32 v138, v134, v197
	v_add_f32_e32 v81, v81, v82
	v_mul_f32_e32 v82, v132, v196
	v_add_f32_e32 v141, v137, v138
	ds_read_b128 v[137:140], v80 offset:608
	v_fma_f32 v82, v131, v195, -v82
	v_add_f32_e32 v81, v81, v82
	v_mul_f32_e32 v82, v134, v198
	s_waitcnt vmcnt(6)
	v_mul_f32_e32 v142, v135, v200
	v_fma_f32 v82, v133, v197, -v82
	v_fmac_f32_e32 v142, v136, v199
	v_add_f32_e32 v81, v81, v82
	v_mul_f32_e32 v82, v136, v200
	v_add_f32_e32 v207, v141, v142
	ds_read_b64 v[141:142], v80 offset:624
	v_fma_f32 v82, v135, v199, -v82
	v_add_f32_e32 v81, v81, v82
	s_waitcnt vmcnt(4) lgkmcnt(1)
	v_mul_f32_e32 v82, v138, v202
	v_mul_f32_e32 v208, v137, v202
	v_fma_f32 v82, v137, v201, -v82
	v_fmac_f32_e32 v208, v138, v201
	v_add_f32_e32 v81, v81, v82
	s_waitcnt vmcnt(3)
	v_mul_f32_e32 v82, v140, v203
	v_add_f32_e32 v207, v207, v208
	v_mul_f32_e32 v208, v139, v203
	s_waitcnt vmcnt(2)
	v_fma_f32 v82, v139, v204, -v82
	v_fmac_f32_e32 v208, v140, v204
	v_add_f32_e32 v81, v81, v82
	s_waitcnt vmcnt(0) lgkmcnt(0)
	v_mul_f32_e32 v82, v142, v206
	v_add_f32_e32 v207, v207, v208
	v_mul_f32_e32 v208, v141, v206
	v_fma_f32 v82, v141, v205, -v82
	v_fmac_f32_e32 v208, v142, v205
	v_add_f32_e32 v81, v81, v82
	v_add_f32_e32 v207, v207, v208
	v_sub_f32_e32 v81, v165, v81
	v_sub_f32_e32 v82, v166, v207
	buffer_store_dword v81, off, s[0:3], 0 offset:56
	buffer_store_dword v82, off, s[0:3], 0 offset:60
	s_and_saveexec_b64 s[4:5], vcc
	s_cbranch_execz .LBB102_235
; %bb.234:
	buffer_load_dword v81, off, s[0:3], 0 offset:48
	buffer_load_dword v82, off, s[0:3], 0 offset:52
	s_waitcnt vmcnt(0)
	ds_write_b64 v79, v[81:82]
	buffer_store_dword v80, off, s[0:3], 0 offset:48
	buffer_store_dword v80, off, s[0:3], 0 offset:52
.LBB102_235:
	s_or_b64 exec, exec, s[4:5]
	s_waitcnt lgkmcnt(0)
	; wave barrier
	buffer_load_dword v145, off, s[0:3], 0 offset:60
	buffer_load_dword v146, off, s[0:3], 0 offset:68
	;; [unrolled: 1-line block ×26, first 2 shown]
	ds_read2_b64 v[81:84], v80 offset0:47 offset1:48
	ds_read2_b64 v[85:88], v80 offset0:49 offset1:50
	;; [unrolled: 1-line block ×4, first 2 shown]
	buffer_load_dword v171, off, s[0:3], 0 offset:156
	buffer_load_dword v172, off, s[0:3], 0 offset:152
	;; [unrolled: 1-line block ×34, first 2 shown]
	v_cmp_lt_u32_e32 vcc, 5, v0
	s_waitcnt vmcnt(59) lgkmcnt(3)
	v_mul_f32_e32 v97, v81, v145
	s_waitcnt vmcnt(58)
	v_mul_f32_e32 v98, v83, v146
	s_waitcnt vmcnt(57) lgkmcnt(2)
	v_mul_f32_e32 v99, v85, v147
	s_waitcnt vmcnt(56)
	v_mul_f32_e32 v100, v87, v148
	;; [unrolled: 4-line block ×4, first 2 shown]
	s_waitcnt vmcnt(51)
	v_fmac_f32_e32 v97, v82, v153
	s_waitcnt vmcnt(50)
	v_fmac_f32_e32 v98, v84, v154
	v_add_f32_e32 v97, 0, v97
	s_waitcnt vmcnt(49)
	v_fmac_f32_e32 v99, v86, v155
	v_add_f32_e32 v97, v97, v98
	s_waitcnt vmcnt(48)
	v_fmac_f32_e32 v100, v88, v156
	v_add_f32_e32 v97, v97, v99
	s_waitcnt vmcnt(47)
	v_fmac_f32_e32 v101, v90, v157
	v_add_f32_e32 v97, v97, v100
	s_waitcnt vmcnt(46)
	v_fmac_f32_e32 v102, v92, v158
	v_add_f32_e32 v97, v97, v101
	s_waitcnt vmcnt(45)
	v_fmac_f32_e32 v103, v94, v159
	v_add_f32_e32 v97, v97, v102
	s_waitcnt vmcnt(44)
	v_fmac_f32_e32 v104, v96, v160
	v_add_f32_e32 v97, v97, v103
	v_add_f32_e32 v105, v97, v104
	ds_read2_b64 v[97:100], v80 offset0:55 offset1:56
	buffer_load_dword v205, off, s[0:3], 0 offset:292
	buffer_load_dword v206, off, s[0:3], 0 offset:288
	;; [unrolled: 1-line block ×4, first 2 shown]
	ds_read2_b64 v[101:104], v80 offset0:57 offset1:58
	buffer_load_dword v209, off, s[0:3], 0 offset:304
	buffer_load_dword v210, off, s[0:3], 0 offset:308
	v_mul_f32_e32 v82, v82, v145
	s_waitcnt vmcnt(49) lgkmcnt(1)
	v_mul_f32_e32 v106, v97, v161
	s_waitcnt vmcnt(48)
	v_fmac_f32_e32 v106, v98, v162
	v_fma_f32 v81, v81, v153, -v82
	v_mul_f32_e32 v82, v84, v146
	v_add_f32_e32 v105, v105, v106
	s_waitcnt vmcnt(46)
	v_mul_f32_e32 v106, v99, v164
	v_add_f32_e32 v81, 0, v81
	v_fma_f32 v82, v83, v154, -v82
	v_fmac_f32_e32 v106, v100, v163
	v_add_f32_e32 v81, v81, v82
	v_mul_f32_e32 v82, v86, v147
	v_add_f32_e32 v105, v105, v106
	s_waitcnt vmcnt(43) lgkmcnt(0)
	v_mul_f32_e32 v106, v101, v167
	v_fma_f32 v82, v85, v155, -v82
	s_waitcnt vmcnt(42)
	v_fmac_f32_e32 v106, v102, v168
	v_add_f32_e32 v81, v81, v82
	v_mul_f32_e32 v82, v88, v148
	v_add_f32_e32 v109, v105, v106
	ds_read2_b64 v[105:108], v80 offset0:59 offset1:60
	v_fma_f32 v82, v87, v156, -v82
	v_add_f32_e32 v81, v81, v82
	v_mul_f32_e32 v82, v90, v149
	s_waitcnt vmcnt(40)
	v_mul_f32_e32 v110, v103, v170
	v_fma_f32 v82, v89, v157, -v82
	v_fmac_f32_e32 v110, v104, v169
	v_add_f32_e32 v81, v81, v82
	v_mul_f32_e32 v82, v92, v150
	v_add_f32_e32 v113, v109, v110
	ds_read2_b64 v[109:112], v80 offset0:61 offset1:62
	v_fma_f32 v82, v91, v158, -v82
	s_waitcnt vmcnt(39) lgkmcnt(1)
	v_mul_f32_e32 v114, v105, v171
	v_add_f32_e32 v81, v81, v82
	v_mul_f32_e32 v82, v94, v151
	s_waitcnt vmcnt(38)
	v_fmac_f32_e32 v114, v106, v172
	v_fma_f32 v82, v93, v159, -v82
	v_add_f32_e32 v113, v113, v114
	s_waitcnt vmcnt(36)
	v_mul_f32_e32 v114, v107, v174
	v_add_f32_e32 v81, v81, v82
	v_mul_f32_e32 v82, v96, v152
	v_fmac_f32_e32 v114, v108, v173
	v_fma_f32 v82, v95, v160, -v82
	v_add_f32_e32 v113, v113, v114
	s_waitcnt vmcnt(34) lgkmcnt(0)
	v_mul_f32_e32 v114, v109, v176
	v_add_f32_e32 v81, v81, v82
	v_mul_f32_e32 v82, v98, v161
	v_fmac_f32_e32 v114, v110, v175
	v_fma_f32 v82, v97, v162, -v82
	v_add_f32_e32 v117, v113, v114
	ds_read2_b64 v[113:116], v80 offset0:63 offset1:64
	v_add_f32_e32 v81, v81, v82
	v_mul_f32_e32 v82, v100, v164
	v_fma_f32 v82, v99, v163, -v82
	s_waitcnt vmcnt(32)
	v_mul_f32_e32 v118, v111, v178
	v_add_f32_e32 v81, v81, v82
	v_mul_f32_e32 v82, v102, v167
	v_fmac_f32_e32 v118, v112, v177
	v_fma_f32 v82, v101, v168, -v82
	v_add_f32_e32 v121, v117, v118
	ds_read2_b64 v[117:120], v80 offset0:65 offset1:66
	v_add_f32_e32 v81, v81, v82
	v_mul_f32_e32 v82, v104, v170
	s_waitcnt vmcnt(30) lgkmcnt(1)
	v_mul_f32_e32 v122, v113, v180
	v_fma_f32 v82, v103, v169, -v82
	v_fmac_f32_e32 v122, v114, v179
	v_add_f32_e32 v81, v81, v82
	v_mul_f32_e32 v82, v106, v171
	v_add_f32_e32 v121, v121, v122
	s_waitcnt vmcnt(28)
	v_mul_f32_e32 v122, v115, v182
	v_fma_f32 v82, v105, v172, -v82
	v_fmac_f32_e32 v122, v116, v181
	v_add_f32_e32 v81, v81, v82
	v_mul_f32_e32 v82, v108, v174
	v_add_f32_e32 v121, v121, v122
	s_waitcnt vmcnt(26) lgkmcnt(0)
	v_mul_f32_e32 v122, v117, v184
	v_fma_f32 v82, v107, v173, -v82
	v_fmac_f32_e32 v122, v118, v183
	v_add_f32_e32 v81, v81, v82
	v_mul_f32_e32 v82, v110, v176
	v_add_f32_e32 v125, v121, v122
	ds_read2_b64 v[121:124], v80 offset0:67 offset1:68
	v_fma_f32 v82, v109, v175, -v82
	v_add_f32_e32 v81, v81, v82
	v_mul_f32_e32 v82, v112, v178
	s_waitcnt vmcnt(24)
	v_mul_f32_e32 v126, v119, v186
	v_fma_f32 v82, v111, v177, -v82
	v_fmac_f32_e32 v126, v120, v185
	v_add_f32_e32 v81, v81, v82
	v_mul_f32_e32 v82, v114, v180
	v_add_f32_e32 v129, v125, v126
	ds_read2_b64 v[125:128], v80 offset0:69 offset1:70
	v_fma_f32 v82, v113, v179, -v82
	s_waitcnt vmcnt(22) lgkmcnt(1)
	v_mul_f32_e32 v130, v121, v188
	v_add_f32_e32 v81, v81, v82
	v_mul_f32_e32 v82, v116, v182
	v_fmac_f32_e32 v130, v122, v187
	v_fma_f32 v82, v115, v181, -v82
	v_add_f32_e32 v129, v129, v130
	s_waitcnt vmcnt(20)
	v_mul_f32_e32 v130, v123, v190
	v_add_f32_e32 v81, v81, v82
	v_mul_f32_e32 v82, v118, v184
	v_fmac_f32_e32 v130, v124, v189
	v_fma_f32 v82, v117, v183, -v82
	v_add_f32_e32 v129, v129, v130
	s_waitcnt vmcnt(18) lgkmcnt(0)
	v_mul_f32_e32 v130, v125, v192
	v_add_f32_e32 v81, v81, v82
	v_mul_f32_e32 v82, v120, v186
	v_fmac_f32_e32 v130, v126, v191
	v_fma_f32 v82, v119, v185, -v82
	v_add_f32_e32 v133, v129, v130
	ds_read2_b64 v[129:132], v80 offset0:71 offset1:72
	v_add_f32_e32 v81, v81, v82
	v_mul_f32_e32 v82, v122, v188
	v_fma_f32 v82, v121, v187, -v82
	s_waitcnt vmcnt(16)
	v_mul_f32_e32 v134, v127, v194
	v_add_f32_e32 v81, v81, v82
	v_mul_f32_e32 v82, v124, v190
	v_fmac_f32_e32 v134, v128, v193
	v_fma_f32 v82, v123, v189, -v82
	v_add_f32_e32 v137, v133, v134
	ds_read2_b64 v[133:136], v80 offset0:73 offset1:74
	v_add_f32_e32 v81, v81, v82
	v_mul_f32_e32 v82, v126, v192
	s_waitcnt vmcnt(14) lgkmcnt(1)
	v_mul_f32_e32 v138, v129, v196
	v_fma_f32 v82, v125, v191, -v82
	v_fmac_f32_e32 v138, v130, v195
	v_add_f32_e32 v81, v81, v82
	v_mul_f32_e32 v82, v128, v194
	v_add_f32_e32 v137, v137, v138
	s_waitcnt vmcnt(12)
	v_mul_f32_e32 v138, v131, v198
	v_fma_f32 v82, v127, v193, -v82
	v_fmac_f32_e32 v138, v132, v197
	v_add_f32_e32 v81, v81, v82
	v_mul_f32_e32 v82, v130, v196
	v_add_f32_e32 v137, v137, v138
	s_waitcnt vmcnt(10) lgkmcnt(0)
	v_mul_f32_e32 v138, v133, v200
	v_fma_f32 v82, v129, v195, -v82
	v_fmac_f32_e32 v138, v134, v199
	v_add_f32_e32 v81, v81, v82
	v_mul_f32_e32 v82, v132, v198
	v_add_f32_e32 v141, v137, v138
	ds_read2_b64 v[137:140], v80 offset0:75 offset1:76
	v_fma_f32 v82, v131, v197, -v82
	v_add_f32_e32 v81, v81, v82
	v_mul_f32_e32 v82, v134, v200
	s_waitcnt vmcnt(8)
	v_mul_f32_e32 v142, v135, v202
	v_fma_f32 v82, v133, v199, -v82
	v_fmac_f32_e32 v142, v136, v201
	v_add_f32_e32 v81, v81, v82
	v_mul_f32_e32 v82, v136, v202
	v_add_f32_e32 v211, v141, v142
	ds_read2_b64 v[141:144], v80 offset0:77 offset1:78
	v_fma_f32 v82, v135, v201, -v82
	v_add_f32_e32 v81, v81, v82
	s_waitcnt vmcnt(6) lgkmcnt(1)
	v_mul_f32_e32 v82, v138, v204
	v_mul_f32_e32 v80, v137, v204
	v_fma_f32 v82, v137, v203, -v82
	v_fmac_f32_e32 v80, v138, v203
	v_add_f32_e32 v81, v81, v82
	s_waitcnt vmcnt(5)
	v_mul_f32_e32 v82, v140, v205
	v_add_f32_e32 v80, v211, v80
	v_mul_f32_e32 v211, v139, v205
	s_waitcnt vmcnt(4)
	v_fma_f32 v82, v139, v206, -v82
	v_fmac_f32_e32 v211, v140, v206
	v_add_f32_e32 v81, v81, v82
	s_waitcnt vmcnt(2) lgkmcnt(0)
	v_mul_f32_e32 v82, v142, v208
	v_add_f32_e32 v80, v80, v211
	v_mul_f32_e32 v211, v141, v208
	v_fma_f32 v82, v141, v207, -v82
	v_fmac_f32_e32 v211, v142, v207
	v_add_f32_e32 v81, v81, v82
	s_waitcnt vmcnt(0)
	v_mul_f32_e32 v82, v144, v210
	v_add_f32_e32 v80, v80, v211
	v_mul_f32_e32 v211, v143, v210
	v_fma_f32 v82, v143, v209, -v82
	v_fmac_f32_e32 v211, v144, v209
	v_add_f32_e32 v81, v81, v82
	v_add_f32_e32 v80, v80, v211
	v_sub_f32_e32 v81, v165, v81
	v_sub_f32_e32 v80, v166, v80
	buffer_store_dword v81, off, s[0:3], 0 offset:48
	buffer_store_dword v80, off, s[0:3], 0 offset:52
	s_and_saveexec_b64 s[4:5], vcc
	s_cbranch_execz .LBB102_237
; %bb.236:
	buffer_load_dword v80, off, s[0:3], 0 offset:40
	buffer_load_dword v81, off, s[0:3], 0 offset:44
	v_mov_b32_e32 v82, 0
	buffer_store_dword v82, off, s[0:3], 0 offset:40
	buffer_store_dword v82, off, s[0:3], 0 offset:44
	s_waitcnt vmcnt(2)
	ds_write_b64 v79, v[80:81]
.LBB102_237:
	s_or_b64 exec, exec, s[4:5]
	s_waitcnt lgkmcnt(0)
	; wave barrier
	buffer_load_dword v147, off, s[0:3], 0 offset:52
	buffer_load_dword v148, off, s[0:3], 0 offset:60
	;; [unrolled: 1-line block ×58, first 2 shown]
	v_mov_b32_e32 v80, 0
	ds_read_b128 v[81:84], v80 offset:368
	ds_read_b128 v[85:88], v80 offset:384
	;; [unrolled: 1-line block ×5, first 2 shown]
	buffer_load_dword v205, off, s[0:3], 0 offset:272
	buffer_load_dword v206, off, s[0:3], 0 offset:276
	v_cmp_lt_u32_e32 vcc, 4, v0
	s_waitcnt vmcnt(59) lgkmcnt(4)
	v_mul_f32_e32 v101, v81, v147
	s_waitcnt vmcnt(58)
	v_mul_f32_e32 v102, v83, v148
	s_waitcnt vmcnt(57) lgkmcnt(3)
	v_mul_f32_e32 v103, v85, v149
	s_waitcnt vmcnt(56)
	v_mul_f32_e32 v104, v87, v150
	;; [unrolled: 4-line block ×4, first 2 shown]
	s_waitcnt vmcnt(51)
	v_fmac_f32_e32 v101, v82, v155
	s_waitcnt vmcnt(50)
	v_fmac_f32_e32 v102, v84, v156
	v_add_f32_e32 v101, 0, v101
	s_waitcnt vmcnt(49)
	v_fmac_f32_e32 v103, v86, v157
	v_add_f32_e32 v101, v101, v102
	;; [unrolled: 3-line block ×7, first 2 shown]
	v_add_f32_e32 v105, v101, v108
	ds_read_b128 v[101:104], v80 offset:448
	buffer_load_dword v207, off, s[0:3], 0 offset:284
	buffer_load_dword v208, off, s[0:3], 0 offset:280
	;; [unrolled: 1-line block ×8, first 2 shown]
	s_waitcnt vmcnt(51) lgkmcnt(1)
	v_mul_f32_e32 v106, v97, v163
	s_waitcnt vmcnt(50)
	v_fmac_f32_e32 v106, v98, v164
	v_mul_f32_e32 v82, v82, v147
	v_add_f32_e32 v105, v105, v106
	s_waitcnt vmcnt(49)
	v_mul_f32_e32 v106, v99, v165
	v_fma_f32 v81, v81, v155, -v82
	v_mul_f32_e32 v82, v84, v148
	s_waitcnt vmcnt(46)
	v_fmac_f32_e32 v106, v100, v168
	v_add_f32_e32 v81, 0, v81
	v_fma_f32 v82, v83, v156, -v82
	v_add_f32_e32 v105, v105, v106
	s_waitcnt vmcnt(44) lgkmcnt(0)
	v_mul_f32_e32 v106, v101, v170
	v_add_f32_e32 v81, v81, v82
	v_mul_f32_e32 v82, v86, v149
	v_fmac_f32_e32 v106, v102, v169
	v_fma_f32 v82, v85, v157, -v82
	v_add_f32_e32 v109, v105, v106
	ds_read_b128 v[105:108], v80 offset:464
	v_add_f32_e32 v81, v81, v82
	v_mul_f32_e32 v82, v88, v150
	v_fma_f32 v82, v87, v158, -v82
	s_waitcnt vmcnt(42)
	v_mul_f32_e32 v110, v103, v172
	v_add_f32_e32 v81, v81, v82
	v_mul_f32_e32 v82, v90, v151
	v_fmac_f32_e32 v110, v104, v171
	v_fma_f32 v82, v89, v159, -v82
	v_add_f32_e32 v113, v109, v110
	ds_read_b128 v[109:112], v80 offset:480
	v_add_f32_e32 v81, v81, v82
	v_mul_f32_e32 v82, v92, v152
	s_waitcnt vmcnt(40) lgkmcnt(1)
	v_mul_f32_e32 v114, v105, v174
	v_fma_f32 v82, v91, v160, -v82
	v_fmac_f32_e32 v114, v106, v173
	v_add_f32_e32 v81, v81, v82
	v_mul_f32_e32 v82, v94, v153
	v_add_f32_e32 v113, v113, v114
	s_waitcnt vmcnt(38)
	v_mul_f32_e32 v114, v107, v176
	v_fma_f32 v82, v93, v161, -v82
	v_fmac_f32_e32 v114, v108, v175
	v_add_f32_e32 v81, v81, v82
	v_mul_f32_e32 v82, v96, v154
	v_add_f32_e32 v113, v113, v114
	s_waitcnt vmcnt(36) lgkmcnt(0)
	v_mul_f32_e32 v114, v109, v178
	v_fma_f32 v82, v95, v162, -v82
	v_fmac_f32_e32 v114, v110, v177
	v_add_f32_e32 v81, v81, v82
	v_mul_f32_e32 v82, v98, v163
	v_add_f32_e32 v117, v113, v114
	ds_read_b128 v[113:116], v80 offset:496
	v_fma_f32 v82, v97, v164, -v82
	v_add_f32_e32 v81, v81, v82
	v_mul_f32_e32 v82, v100, v165
	s_waitcnt vmcnt(34)
	v_mul_f32_e32 v118, v111, v180
	v_fma_f32 v82, v99, v168, -v82
	v_fmac_f32_e32 v118, v112, v179
	v_add_f32_e32 v81, v81, v82
	v_mul_f32_e32 v82, v102, v170
	v_add_f32_e32 v121, v117, v118
	ds_read_b128 v[117:120], v80 offset:512
	v_fma_f32 v82, v101, v169, -v82
	s_waitcnt vmcnt(32) lgkmcnt(1)
	v_mul_f32_e32 v122, v113, v182
	v_add_f32_e32 v81, v81, v82
	v_mul_f32_e32 v82, v104, v172
	v_fmac_f32_e32 v122, v114, v181
	v_fma_f32 v82, v103, v171, -v82
	v_add_f32_e32 v121, v121, v122
	s_waitcnt vmcnt(30)
	v_mul_f32_e32 v122, v115, v184
	v_add_f32_e32 v81, v81, v82
	v_mul_f32_e32 v82, v106, v174
	v_fmac_f32_e32 v122, v116, v183
	v_fma_f32 v82, v105, v173, -v82
	v_add_f32_e32 v121, v121, v122
	s_waitcnt vmcnt(28) lgkmcnt(0)
	v_mul_f32_e32 v122, v117, v186
	v_add_f32_e32 v81, v81, v82
	v_mul_f32_e32 v82, v108, v176
	v_fmac_f32_e32 v122, v118, v185
	v_fma_f32 v82, v107, v175, -v82
	v_add_f32_e32 v125, v121, v122
	ds_read_b128 v[121:124], v80 offset:528
	v_add_f32_e32 v81, v81, v82
	v_mul_f32_e32 v82, v110, v178
	v_fma_f32 v82, v109, v177, -v82
	s_waitcnt vmcnt(26)
	v_mul_f32_e32 v126, v119, v188
	v_add_f32_e32 v81, v81, v82
	v_mul_f32_e32 v82, v112, v180
	v_fmac_f32_e32 v126, v120, v187
	v_fma_f32 v82, v111, v179, -v82
	v_add_f32_e32 v129, v125, v126
	ds_read_b128 v[125:128], v80 offset:544
	v_add_f32_e32 v81, v81, v82
	v_mul_f32_e32 v82, v114, v182
	s_waitcnt vmcnt(24) lgkmcnt(1)
	v_mul_f32_e32 v130, v121, v190
	v_fma_f32 v82, v113, v181, -v82
	v_fmac_f32_e32 v130, v122, v189
	v_add_f32_e32 v81, v81, v82
	v_mul_f32_e32 v82, v116, v184
	v_add_f32_e32 v129, v129, v130
	s_waitcnt vmcnt(22)
	v_mul_f32_e32 v130, v123, v192
	v_fma_f32 v82, v115, v183, -v82
	v_fmac_f32_e32 v130, v124, v191
	v_add_f32_e32 v81, v81, v82
	v_mul_f32_e32 v82, v118, v186
	v_add_f32_e32 v129, v129, v130
	s_waitcnt vmcnt(20) lgkmcnt(0)
	v_mul_f32_e32 v130, v125, v194
	v_fma_f32 v82, v117, v185, -v82
	v_fmac_f32_e32 v130, v126, v193
	v_add_f32_e32 v81, v81, v82
	v_mul_f32_e32 v82, v120, v188
	v_add_f32_e32 v133, v129, v130
	ds_read_b128 v[129:132], v80 offset:560
	v_fma_f32 v82, v119, v187, -v82
	v_add_f32_e32 v81, v81, v82
	v_mul_f32_e32 v82, v122, v190
	s_waitcnt vmcnt(18)
	v_mul_f32_e32 v134, v127, v196
	v_fma_f32 v82, v121, v189, -v82
	v_fmac_f32_e32 v134, v128, v195
	v_add_f32_e32 v81, v81, v82
	v_mul_f32_e32 v82, v124, v192
	v_add_f32_e32 v137, v133, v134
	ds_read_b128 v[133:136], v80 offset:576
	v_fma_f32 v82, v123, v191, -v82
	s_waitcnt vmcnt(16) lgkmcnt(1)
	v_mul_f32_e32 v138, v129, v198
	v_add_f32_e32 v81, v81, v82
	v_mul_f32_e32 v82, v126, v194
	v_fmac_f32_e32 v138, v130, v197
	v_fma_f32 v82, v125, v193, -v82
	v_add_f32_e32 v137, v137, v138
	s_waitcnt vmcnt(14)
	v_mul_f32_e32 v138, v131, v200
	v_add_f32_e32 v81, v81, v82
	v_mul_f32_e32 v82, v128, v196
	v_fmac_f32_e32 v138, v132, v199
	v_fma_f32 v82, v127, v195, -v82
	v_add_f32_e32 v137, v137, v138
	s_waitcnt vmcnt(12) lgkmcnt(0)
	v_mul_f32_e32 v138, v133, v202
	v_add_f32_e32 v81, v81, v82
	v_mul_f32_e32 v82, v130, v198
	v_fmac_f32_e32 v138, v134, v201
	v_fma_f32 v82, v129, v197, -v82
	v_add_f32_e32 v141, v137, v138
	ds_read_b128 v[137:140], v80 offset:592
	v_add_f32_e32 v81, v81, v82
	v_mul_f32_e32 v82, v132, v200
	v_fma_f32 v82, v131, v199, -v82
	v_add_f32_e32 v81, v81, v82
	v_mul_f32_e32 v82, v134, v202
	s_waitcnt vmcnt(10)
	v_mul_f32_e32 v142, v135, v204
	v_fma_f32 v82, v133, v201, -v82
	v_fmac_f32_e32 v142, v136, v203
	v_add_f32_e32 v81, v81, v82
	v_mul_f32_e32 v82, v136, v204
	v_add_f32_e32 v145, v141, v142
	ds_read_b128 v[141:144], v80 offset:608
	s_waitcnt vmcnt(8) lgkmcnt(1)
	v_mul_f32_e32 v146, v137, v206
	v_fma_f32 v82, v135, v203, -v82
	v_fmac_f32_e32 v146, v138, v205
	v_add_f32_e32 v81, v81, v82
	v_mul_f32_e32 v82, v138, v206
	v_add_f32_e32 v145, v145, v146
	s_waitcnt vmcnt(7)
	v_mul_f32_e32 v146, v139, v207
	v_fma_f32 v82, v137, v205, -v82
	s_waitcnt vmcnt(6)
	v_fmac_f32_e32 v146, v140, v208
	v_add_f32_e32 v81, v81, v82
	v_mul_f32_e32 v82, v140, v207
	v_add_f32_e32 v215, v145, v146
	ds_read_b64 v[145:146], v80 offset:624
	v_fma_f32 v82, v139, v208, -v82
	v_add_f32_e32 v81, v81, v82
	s_waitcnt vmcnt(4) lgkmcnt(1)
	v_mul_f32_e32 v82, v142, v210
	v_mul_f32_e32 v216, v141, v210
	v_fma_f32 v82, v141, v209, -v82
	v_fmac_f32_e32 v216, v142, v209
	v_add_f32_e32 v81, v81, v82
	s_waitcnt vmcnt(3)
	v_mul_f32_e32 v82, v144, v211
	v_add_f32_e32 v215, v215, v216
	v_mul_f32_e32 v216, v143, v211
	s_waitcnt vmcnt(2)
	v_fma_f32 v82, v143, v212, -v82
	v_fmac_f32_e32 v216, v144, v212
	v_add_f32_e32 v81, v81, v82
	s_waitcnt vmcnt(0) lgkmcnt(0)
	v_mul_f32_e32 v82, v146, v214
	v_add_f32_e32 v215, v215, v216
	v_mul_f32_e32 v216, v145, v214
	v_fma_f32 v82, v145, v213, -v82
	v_fmac_f32_e32 v216, v146, v213
	v_add_f32_e32 v81, v81, v82
	v_add_f32_e32 v215, v215, v216
	v_sub_f32_e32 v81, v166, v81
	v_sub_f32_e32 v82, v167, v215
	buffer_store_dword v81, off, s[0:3], 0 offset:40
	buffer_store_dword v82, off, s[0:3], 0 offset:44
	s_and_saveexec_b64 s[4:5], vcc
	s_cbranch_execz .LBB102_239
; %bb.238:
	buffer_load_dword v81, off, s[0:3], 0 offset:32
	buffer_load_dword v82, off, s[0:3], 0 offset:36
	s_waitcnt vmcnt(0)
	ds_write_b64 v79, v[81:82]
	buffer_store_dword v80, off, s[0:3], 0 offset:32
	buffer_store_dword v80, off, s[0:3], 0 offset:36
.LBB102_239:
	s_or_b64 exec, exec, s[4:5]
	s_waitcnt lgkmcnt(0)
	; wave barrier
	buffer_load_dword v149, off, s[0:3], 0 offset:44
	buffer_load_dword v150, off, s[0:3], 0 offset:52
	;; [unrolled: 1-line block ×24, first 2 shown]
	ds_read2_b64 v[81:84], v80 offset0:45 offset1:46
	ds_read2_b64 v[85:88], v80 offset0:47 offset1:48
	;; [unrolled: 1-line block ×6, first 2 shown]
	buffer_load_dword v173, off, s[0:3], 0 offset:132
	buffer_load_dword v174, off, s[0:3], 0 offset:128
	;; [unrolled: 1-line block ×46, first 2 shown]
	v_cmp_lt_u32_e32 vcc, 3, v0
	s_waitcnt vmcnt(62) lgkmcnt(5)
	v_mul_f32_e32 v105, v81, v149
	v_mul_f32_e32 v106, v83, v150
	s_waitcnt lgkmcnt(4)
	v_mul_f32_e32 v107, v85, v151
	v_mul_f32_e32 v108, v87, v152
	s_waitcnt lgkmcnt(3)
	;; [unrolled: 3-line block ×3, first 2 shown]
	v_mul_f32_e32 v111, v93, v155
	v_mul_f32_e32 v112, v95, v156
	s_waitcnt vmcnt(61)
	v_fmac_f32_e32 v105, v82, v157
	s_waitcnt vmcnt(60)
	v_fmac_f32_e32 v106, v84, v158
	v_add_f32_e32 v105, 0, v105
	s_waitcnt vmcnt(59)
	v_fmac_f32_e32 v107, v86, v159
	v_add_f32_e32 v105, v105, v106
	;; [unrolled: 3-line block ×7, first 2 shown]
	s_waitcnt vmcnt(53) lgkmcnt(1)
	v_mul_f32_e32 v106, v97, v165
	v_add_f32_e32 v105, v105, v112
	s_waitcnt vmcnt(52)
	v_fmac_f32_e32 v106, v98, v166
	v_mul_f32_e32 v82, v82, v149
	v_add_f32_e32 v105, v105, v106
	s_waitcnt vmcnt(51)
	v_mul_f32_e32 v106, v99, v167
	v_fma_f32 v81, v81, v157, -v82
	v_mul_f32_e32 v82, v84, v150
	s_waitcnt vmcnt(50)
	v_fmac_f32_e32 v106, v100, v168
	v_add_f32_e32 v81, 0, v81
	v_fma_f32 v82, v83, v158, -v82
	v_add_f32_e32 v105, v105, v106
	s_waitcnt vmcnt(47) lgkmcnt(0)
	v_mul_f32_e32 v106, v101, v171
	v_add_f32_e32 v81, v81, v82
	v_mul_f32_e32 v82, v86, v151
	s_waitcnt vmcnt(46)
	v_fmac_f32_e32 v106, v102, v172
	v_fma_f32 v82, v85, v159, -v82
	v_add_f32_e32 v109, v105, v106
	ds_read2_b64 v[105:108], v80 offset0:57 offset1:58
	v_add_f32_e32 v81, v81, v82
	v_mul_f32_e32 v82, v88, v152
	v_fma_f32 v82, v87, v160, -v82
	s_waitcnt vmcnt(45)
	v_mul_f32_e32 v110, v103, v173
	v_add_f32_e32 v81, v81, v82
	v_mul_f32_e32 v82, v90, v153
	s_waitcnt vmcnt(44)
	v_fmac_f32_e32 v110, v104, v174
	v_fma_f32 v82, v89, v161, -v82
	v_add_f32_e32 v113, v109, v110
	ds_read2_b64 v[109:112], v80 offset0:59 offset1:60
	v_add_f32_e32 v81, v81, v82
	v_mul_f32_e32 v82, v92, v154
	s_waitcnt vmcnt(42) lgkmcnt(1)
	v_mul_f32_e32 v114, v105, v176
	v_fma_f32 v82, v91, v162, -v82
	v_fmac_f32_e32 v114, v106, v175
	v_add_f32_e32 v81, v81, v82
	v_mul_f32_e32 v82, v94, v155
	v_add_f32_e32 v113, v113, v114
	s_waitcnt vmcnt(40)
	v_mul_f32_e32 v114, v107, v178
	v_fma_f32 v82, v93, v163, -v82
	v_fmac_f32_e32 v114, v108, v177
	v_add_f32_e32 v81, v81, v82
	v_mul_f32_e32 v82, v96, v156
	v_add_f32_e32 v113, v113, v114
	s_waitcnt vmcnt(38) lgkmcnt(0)
	v_mul_f32_e32 v114, v109, v180
	v_fma_f32 v82, v95, v164, -v82
	v_fmac_f32_e32 v114, v110, v179
	v_add_f32_e32 v81, v81, v82
	v_mul_f32_e32 v82, v98, v165
	v_add_f32_e32 v117, v113, v114
	ds_read2_b64 v[113:116], v80 offset0:61 offset1:62
	v_fma_f32 v82, v97, v166, -v82
	v_add_f32_e32 v81, v81, v82
	v_mul_f32_e32 v82, v100, v167
	s_waitcnt vmcnt(36)
	v_mul_f32_e32 v118, v111, v182
	v_fma_f32 v82, v99, v168, -v82
	v_fmac_f32_e32 v118, v112, v181
	v_add_f32_e32 v81, v81, v82
	v_mul_f32_e32 v82, v102, v171
	v_add_f32_e32 v121, v117, v118
	ds_read2_b64 v[117:120], v80 offset0:63 offset1:64
	v_fma_f32 v82, v101, v172, -v82
	s_waitcnt vmcnt(34) lgkmcnt(1)
	v_mul_f32_e32 v122, v113, v184
	v_add_f32_e32 v81, v81, v82
	v_mul_f32_e32 v82, v104, v173
	v_fmac_f32_e32 v122, v114, v183
	v_fma_f32 v82, v103, v174, -v82
	v_add_f32_e32 v121, v121, v122
	s_waitcnt vmcnt(32)
	v_mul_f32_e32 v122, v115, v186
	v_add_f32_e32 v81, v81, v82
	v_mul_f32_e32 v82, v106, v176
	v_fmac_f32_e32 v122, v116, v185
	v_fma_f32 v82, v105, v175, -v82
	v_add_f32_e32 v121, v121, v122
	s_waitcnt vmcnt(30) lgkmcnt(0)
	v_mul_f32_e32 v122, v117, v188
	v_add_f32_e32 v81, v81, v82
	v_mul_f32_e32 v82, v108, v178
	v_fmac_f32_e32 v122, v118, v187
	v_fma_f32 v82, v107, v177, -v82
	v_add_f32_e32 v125, v121, v122
	ds_read2_b64 v[121:124], v80 offset0:65 offset1:66
	v_add_f32_e32 v81, v81, v82
	v_mul_f32_e32 v82, v110, v180
	v_fma_f32 v82, v109, v179, -v82
	s_waitcnt vmcnt(28)
	v_mul_f32_e32 v126, v119, v190
	v_add_f32_e32 v81, v81, v82
	v_mul_f32_e32 v82, v112, v182
	v_fmac_f32_e32 v126, v120, v189
	v_fma_f32 v82, v111, v181, -v82
	v_add_f32_e32 v129, v125, v126
	ds_read2_b64 v[125:128], v80 offset0:67 offset1:68
	v_add_f32_e32 v81, v81, v82
	v_mul_f32_e32 v82, v114, v184
	s_waitcnt vmcnt(26) lgkmcnt(1)
	v_mul_f32_e32 v130, v121, v192
	v_fma_f32 v82, v113, v183, -v82
	v_fmac_f32_e32 v130, v122, v191
	v_add_f32_e32 v81, v81, v82
	v_mul_f32_e32 v82, v116, v186
	v_add_f32_e32 v129, v129, v130
	s_waitcnt vmcnt(24)
	v_mul_f32_e32 v130, v123, v194
	v_fma_f32 v82, v115, v185, -v82
	v_fmac_f32_e32 v130, v124, v193
	v_add_f32_e32 v81, v81, v82
	v_mul_f32_e32 v82, v118, v188
	v_add_f32_e32 v129, v129, v130
	s_waitcnt vmcnt(22) lgkmcnt(0)
	v_mul_f32_e32 v130, v125, v196
	v_fma_f32 v82, v117, v187, -v82
	v_fmac_f32_e32 v130, v126, v195
	v_add_f32_e32 v81, v81, v82
	v_mul_f32_e32 v82, v120, v190
	v_add_f32_e32 v133, v129, v130
	ds_read2_b64 v[129:132], v80 offset0:69 offset1:70
	v_fma_f32 v82, v119, v189, -v82
	v_add_f32_e32 v81, v81, v82
	v_mul_f32_e32 v82, v122, v192
	s_waitcnt vmcnt(20)
	v_mul_f32_e32 v134, v127, v198
	v_fma_f32 v82, v121, v191, -v82
	v_fmac_f32_e32 v134, v128, v197
	v_add_f32_e32 v81, v81, v82
	v_mul_f32_e32 v82, v124, v194
	v_add_f32_e32 v137, v133, v134
	ds_read2_b64 v[133:136], v80 offset0:71 offset1:72
	v_fma_f32 v82, v123, v193, -v82
	s_waitcnt vmcnt(18) lgkmcnt(1)
	v_mul_f32_e32 v138, v129, v200
	v_add_f32_e32 v81, v81, v82
	v_mul_f32_e32 v82, v126, v196
	v_fmac_f32_e32 v138, v130, v199
	v_fma_f32 v82, v125, v195, -v82
	v_add_f32_e32 v137, v137, v138
	s_waitcnt vmcnt(16)
	v_mul_f32_e32 v138, v131, v202
	v_add_f32_e32 v81, v81, v82
	v_mul_f32_e32 v82, v128, v198
	v_fmac_f32_e32 v138, v132, v201
	v_fma_f32 v82, v127, v197, -v82
	v_add_f32_e32 v137, v137, v138
	s_waitcnt vmcnt(14) lgkmcnt(0)
	v_mul_f32_e32 v138, v133, v204
	v_add_f32_e32 v81, v81, v82
	v_mul_f32_e32 v82, v130, v200
	v_fmac_f32_e32 v138, v134, v203
	v_fma_f32 v82, v129, v199, -v82
	v_add_f32_e32 v141, v137, v138
	ds_read2_b64 v[137:140], v80 offset0:73 offset1:74
	v_add_f32_e32 v81, v81, v82
	v_mul_f32_e32 v82, v132, v202
	v_fma_f32 v82, v131, v201, -v82
	v_add_f32_e32 v81, v81, v82
	v_mul_f32_e32 v82, v134, v204
	s_waitcnt vmcnt(12)
	v_mul_f32_e32 v142, v135, v206
	v_fma_f32 v82, v133, v203, -v82
	v_fmac_f32_e32 v142, v136, v205
	v_add_f32_e32 v81, v81, v82
	v_mul_f32_e32 v82, v136, v206
	v_add_f32_e32 v145, v141, v142
	ds_read2_b64 v[141:144], v80 offset0:75 offset1:76
	s_waitcnt vmcnt(10) lgkmcnt(1)
	v_mul_f32_e32 v146, v137, v208
	v_fma_f32 v82, v135, v205, -v82
	v_fmac_f32_e32 v146, v138, v207
	v_add_f32_e32 v81, v81, v82
	v_mul_f32_e32 v82, v138, v208
	v_add_f32_e32 v145, v145, v146
	s_waitcnt vmcnt(9)
	v_mul_f32_e32 v146, v139, v209
	v_fma_f32 v82, v137, v207, -v82
	s_waitcnt vmcnt(8)
	v_fmac_f32_e32 v146, v140, v210
	v_add_f32_e32 v81, v81, v82
	v_mul_f32_e32 v82, v140, v209
	v_add_f32_e32 v219, v145, v146
	ds_read2_b64 v[145:148], v80 offset0:77 offset1:78
	v_fma_f32 v82, v139, v210, -v82
	v_add_f32_e32 v81, v81, v82
	s_waitcnt vmcnt(6) lgkmcnt(1)
	v_mul_f32_e32 v82, v142, v212
	v_mul_f32_e32 v220, v141, v212
	v_fma_f32 v82, v141, v211, -v82
	v_fmac_f32_e32 v220, v142, v211
	v_add_f32_e32 v81, v81, v82
	s_waitcnt vmcnt(4)
	v_mul_f32_e32 v82, v144, v214
	v_add_f32_e32 v80, v219, v220
	v_mul_f32_e32 v219, v143, v214
	v_fma_f32 v82, v143, v213, -v82
	v_fmac_f32_e32 v219, v144, v213
	v_add_f32_e32 v81, v81, v82
	s_waitcnt vmcnt(3) lgkmcnt(0)
	v_mul_f32_e32 v82, v146, v215
	v_add_f32_e32 v80, v80, v219
	v_mul_f32_e32 v219, v145, v215
	s_waitcnt vmcnt(2)
	v_fma_f32 v82, v145, v216, -v82
	v_fmac_f32_e32 v219, v146, v216
	v_add_f32_e32 v81, v81, v82
	s_waitcnt vmcnt(0)
	v_mul_f32_e32 v82, v148, v218
	v_add_f32_e32 v80, v80, v219
	v_mul_f32_e32 v219, v147, v218
	v_fma_f32 v82, v147, v217, -v82
	v_fmac_f32_e32 v219, v148, v217
	v_add_f32_e32 v81, v81, v82
	v_add_f32_e32 v80, v80, v219
	v_sub_f32_e32 v81, v169, v81
	v_sub_f32_e32 v80, v170, v80
	buffer_store_dword v81, off, s[0:3], 0 offset:32
	buffer_store_dword v80, off, s[0:3], 0 offset:36
	s_and_saveexec_b64 s[4:5], vcc
	s_cbranch_execz .LBB102_241
; %bb.240:
	buffer_load_dword v80, off, s[0:3], 0 offset:24
	buffer_load_dword v81, off, s[0:3], 0 offset:28
	v_mov_b32_e32 v82, 0
	buffer_store_dword v82, off, s[0:3], 0 offset:24
	buffer_store_dword v82, off, s[0:3], 0 offset:28
	s_waitcnt vmcnt(2)
	ds_write_b64 v79, v[80:81]
.LBB102_241:
	s_or_b64 exec, exec, s[4:5]
	s_waitcnt lgkmcnt(0)
	; wave barrier
	buffer_load_dword v151, off, s[0:3], 0 offset:36
	buffer_load_dword v152, off, s[0:3], 0 offset:44
	;; [unrolled: 1-line block ×56, first 2 shown]
	v_mov_b32_e32 v80, 0
	ds_read_b128 v[81:84], v80 offset:352
	ds_read_b128 v[85:88], v80 offset:368
	;; [unrolled: 1-line block ×6, first 2 shown]
	buffer_load_dword v207, off, s[0:3], 0 offset:248
	buffer_load_dword v208, off, s[0:3], 0 offset:252
	;; [unrolled: 1-line block ×12, first 2 shown]
	v_cmp_lt_u32_e32 vcc, 2, v0
	s_waitcnt vmcnt(62) lgkmcnt(5)
	v_mul_f32_e32 v105, v81, v151
	v_mul_f32_e32 v106, v83, v152
	s_waitcnt lgkmcnt(4)
	v_mul_f32_e32 v107, v85, v153
	v_mul_f32_e32 v108, v87, v154
	s_waitcnt lgkmcnt(3)
	v_mul_f32_e32 v109, v89, v155
	v_mul_f32_e32 v110, v91, v156
	s_waitcnt vmcnt(61) lgkmcnt(2)
	v_mul_f32_e32 v111, v93, v157
	s_waitcnt vmcnt(60)
	v_mul_f32_e32 v112, v95, v158
	s_waitcnt vmcnt(59) lgkmcnt(1)
	v_mul_f32_e32 v113, v97, v159
	s_waitcnt vmcnt(58)
	v_fmac_f32_e32 v105, v82, v160
	s_waitcnt vmcnt(57)
	v_fmac_f32_e32 v106, v84, v161
	v_add_f32_e32 v105, 0, v105
	s_waitcnt vmcnt(56)
	v_fmac_f32_e32 v107, v86, v162
	v_add_f32_e32 v105, v105, v106
	;; [unrolled: 3-line block ×7, first 2 shown]
	v_add_f32_e32 v105, v105, v112
	s_waitcnt vmcnt(50)
	v_fmac_f32_e32 v113, v98, v168
	s_waitcnt vmcnt(49)
	v_mul_f32_e32 v106, v99, v169
	v_add_f32_e32 v105, v105, v113
	s_waitcnt vmcnt(48)
	v_fmac_f32_e32 v106, v100, v170
	v_add_f32_e32 v105, v105, v106
	s_waitcnt vmcnt(47) lgkmcnt(0)
	v_mul_f32_e32 v106, v101, v171
	s_waitcnt vmcnt(44)
	v_fmac_f32_e32 v106, v102, v174
	v_add_f32_e32 v109, v105, v106
	ds_read_b128 v[105:108], v80 offset:448
	buffer_load_dword v219, off, s[0:3], 0 offset:300
	buffer_load_dword v220, off, s[0:3], 0 offset:296
	buffer_load_dword v221, off, s[0:3], 0 offset:304
	buffer_load_dword v222, off, s[0:3], 0 offset:308
	v_mul_f32_e32 v82, v82, v151
	v_fma_f32 v81, v81, v160, -v82
	v_mul_f32_e32 v82, v84, v152
	v_add_f32_e32 v81, 0, v81
	v_fma_f32 v82, v83, v161, -v82
	v_add_f32_e32 v81, v81, v82
	v_mul_f32_e32 v82, v86, v153
	v_fma_f32 v82, v85, v162, -v82
	s_waitcnt vmcnt(46)
	v_mul_f32_e32 v110, v103, v176
	v_add_f32_e32 v81, v81, v82
	v_mul_f32_e32 v82, v88, v154
	v_fmac_f32_e32 v110, v104, v175
	v_fma_f32 v82, v87, v163, -v82
	v_add_f32_e32 v113, v109, v110
	ds_read_b128 v[109:112], v80 offset:464
	v_add_f32_e32 v81, v81, v82
	v_mul_f32_e32 v82, v90, v155
	s_waitcnt vmcnt(44) lgkmcnt(1)
	v_mul_f32_e32 v114, v105, v178
	v_fma_f32 v82, v89, v164, -v82
	v_fmac_f32_e32 v114, v106, v177
	v_add_f32_e32 v81, v81, v82
	v_mul_f32_e32 v82, v92, v156
	v_add_f32_e32 v113, v113, v114
	s_waitcnt vmcnt(42)
	v_mul_f32_e32 v114, v107, v180
	v_fma_f32 v82, v91, v165, -v82
	v_fmac_f32_e32 v114, v108, v179
	v_add_f32_e32 v81, v81, v82
	v_mul_f32_e32 v82, v94, v157
	v_add_f32_e32 v113, v113, v114
	s_waitcnt vmcnt(40) lgkmcnt(0)
	v_mul_f32_e32 v114, v109, v182
	v_fma_f32 v82, v93, v166, -v82
	v_fmac_f32_e32 v114, v110, v181
	v_add_f32_e32 v81, v81, v82
	v_mul_f32_e32 v82, v96, v158
	v_add_f32_e32 v117, v113, v114
	ds_read_b128 v[113:116], v80 offset:480
	v_fma_f32 v82, v95, v167, -v82
	v_add_f32_e32 v81, v81, v82
	v_mul_f32_e32 v82, v98, v159
	s_waitcnt vmcnt(38)
	v_mul_f32_e32 v118, v111, v184
	v_fma_f32 v82, v97, v168, -v82
	v_fmac_f32_e32 v118, v112, v183
	v_add_f32_e32 v81, v81, v82
	v_mul_f32_e32 v82, v100, v169
	v_add_f32_e32 v121, v117, v118
	ds_read_b128 v[117:120], v80 offset:496
	v_fma_f32 v82, v99, v170, -v82
	s_waitcnt vmcnt(36) lgkmcnt(1)
	v_mul_f32_e32 v122, v113, v186
	v_add_f32_e32 v81, v81, v82
	v_mul_f32_e32 v82, v102, v171
	v_fmac_f32_e32 v122, v114, v185
	v_fma_f32 v82, v101, v174, -v82
	v_add_f32_e32 v121, v121, v122
	s_waitcnt vmcnt(34)
	v_mul_f32_e32 v122, v115, v188
	v_add_f32_e32 v81, v81, v82
	v_mul_f32_e32 v82, v104, v176
	v_fmac_f32_e32 v122, v116, v187
	v_fma_f32 v82, v103, v175, -v82
	v_add_f32_e32 v121, v121, v122
	s_waitcnt vmcnt(32) lgkmcnt(0)
	v_mul_f32_e32 v122, v117, v190
	v_add_f32_e32 v81, v81, v82
	v_mul_f32_e32 v82, v106, v178
	v_fmac_f32_e32 v122, v118, v189
	v_fma_f32 v82, v105, v177, -v82
	v_add_f32_e32 v125, v121, v122
	ds_read_b128 v[121:124], v80 offset:512
	v_add_f32_e32 v81, v81, v82
	v_mul_f32_e32 v82, v108, v180
	v_fma_f32 v82, v107, v179, -v82
	s_waitcnt vmcnt(30)
	v_mul_f32_e32 v126, v119, v192
	v_add_f32_e32 v81, v81, v82
	v_mul_f32_e32 v82, v110, v182
	v_fmac_f32_e32 v126, v120, v191
	v_fma_f32 v82, v109, v181, -v82
	v_add_f32_e32 v129, v125, v126
	ds_read_b128 v[125:128], v80 offset:528
	v_add_f32_e32 v81, v81, v82
	v_mul_f32_e32 v82, v112, v184
	s_waitcnt vmcnt(28) lgkmcnt(1)
	v_mul_f32_e32 v130, v121, v194
	v_fma_f32 v82, v111, v183, -v82
	v_fmac_f32_e32 v130, v122, v193
	v_add_f32_e32 v81, v81, v82
	v_mul_f32_e32 v82, v114, v186
	v_add_f32_e32 v129, v129, v130
	s_waitcnt vmcnt(26)
	v_mul_f32_e32 v130, v123, v196
	v_fma_f32 v82, v113, v185, -v82
	v_fmac_f32_e32 v130, v124, v195
	v_add_f32_e32 v81, v81, v82
	v_mul_f32_e32 v82, v116, v188
	v_add_f32_e32 v129, v129, v130
	s_waitcnt vmcnt(24) lgkmcnt(0)
	v_mul_f32_e32 v130, v125, v198
	v_fma_f32 v82, v115, v187, -v82
	v_fmac_f32_e32 v130, v126, v197
	v_add_f32_e32 v81, v81, v82
	v_mul_f32_e32 v82, v118, v190
	v_add_f32_e32 v133, v129, v130
	ds_read_b128 v[129:132], v80 offset:544
	v_fma_f32 v82, v117, v189, -v82
	v_add_f32_e32 v81, v81, v82
	v_mul_f32_e32 v82, v120, v192
	s_waitcnt vmcnt(22)
	v_mul_f32_e32 v134, v127, v200
	v_fma_f32 v82, v119, v191, -v82
	v_fmac_f32_e32 v134, v128, v199
	v_add_f32_e32 v81, v81, v82
	v_mul_f32_e32 v82, v122, v194
	v_add_f32_e32 v137, v133, v134
	ds_read_b128 v[133:136], v80 offset:560
	v_fma_f32 v82, v121, v193, -v82
	s_waitcnt vmcnt(20) lgkmcnt(1)
	v_mul_f32_e32 v138, v129, v202
	v_add_f32_e32 v81, v81, v82
	v_mul_f32_e32 v82, v124, v196
	v_fmac_f32_e32 v138, v130, v201
	v_fma_f32 v82, v123, v195, -v82
	v_add_f32_e32 v137, v137, v138
	s_waitcnt vmcnt(18)
	v_mul_f32_e32 v138, v131, v204
	v_add_f32_e32 v81, v81, v82
	v_mul_f32_e32 v82, v126, v198
	v_fmac_f32_e32 v138, v132, v203
	v_fma_f32 v82, v125, v197, -v82
	v_add_f32_e32 v137, v137, v138
	s_waitcnt vmcnt(16) lgkmcnt(0)
	v_mul_f32_e32 v138, v133, v206
	v_add_f32_e32 v81, v81, v82
	v_mul_f32_e32 v82, v128, v200
	v_fmac_f32_e32 v138, v134, v205
	v_fma_f32 v82, v127, v199, -v82
	v_add_f32_e32 v141, v137, v138
	ds_read_b128 v[137:140], v80 offset:576
	v_add_f32_e32 v81, v81, v82
	v_mul_f32_e32 v82, v130, v202
	v_fma_f32 v82, v129, v201, -v82
	s_waitcnt vmcnt(14)
	v_mul_f32_e32 v142, v135, v208
	v_add_f32_e32 v81, v81, v82
	v_mul_f32_e32 v82, v132, v204
	v_fmac_f32_e32 v142, v136, v207
	v_fma_f32 v82, v131, v203, -v82
	v_add_f32_e32 v145, v141, v142
	ds_read_b128 v[141:144], v80 offset:592
	v_add_f32_e32 v81, v81, v82
	v_mul_f32_e32 v82, v134, v206
	s_waitcnt vmcnt(12) lgkmcnt(1)
	v_mul_f32_e32 v146, v137, v210
	v_fma_f32 v82, v133, v205, -v82
	v_fmac_f32_e32 v146, v138, v209
	v_add_f32_e32 v81, v81, v82
	v_mul_f32_e32 v82, v136, v208
	v_add_f32_e32 v145, v145, v146
	s_waitcnt vmcnt(11)
	v_mul_f32_e32 v146, v139, v211
	v_fma_f32 v82, v135, v207, -v82
	s_waitcnt vmcnt(10)
	v_fmac_f32_e32 v146, v140, v212
	v_add_f32_e32 v81, v81, v82
	v_mul_f32_e32 v82, v138, v210
	v_add_f32_e32 v145, v145, v146
	s_waitcnt vmcnt(8) lgkmcnt(0)
	v_mul_f32_e32 v146, v141, v214
	v_fma_f32 v82, v137, v209, -v82
	v_fmac_f32_e32 v146, v142, v213
	v_add_f32_e32 v81, v81, v82
	v_mul_f32_e32 v82, v140, v211
	v_add_f32_e32 v149, v145, v146
	ds_read_b128 v[145:148], v80 offset:608
	v_fma_f32 v82, v139, v212, -v82
	v_add_f32_e32 v81, v81, v82
	v_mul_f32_e32 v82, v142, v214
	s_waitcnt vmcnt(6)
	v_mul_f32_e32 v150, v143, v216
	v_fma_f32 v82, v141, v213, -v82
	v_fmac_f32_e32 v150, v144, v215
	v_add_f32_e32 v81, v81, v82
	v_mul_f32_e32 v82, v144, v216
	v_add_f32_e32 v223, v149, v150
	ds_read_b64 v[149:150], v80 offset:624
	v_fma_f32 v82, v143, v215, -v82
	v_add_f32_e32 v81, v81, v82
	s_waitcnt vmcnt(4) lgkmcnt(1)
	v_mul_f32_e32 v82, v146, v218
	v_mul_f32_e32 v224, v145, v218
	v_fma_f32 v82, v145, v217, -v82
	v_fmac_f32_e32 v224, v146, v217
	v_add_f32_e32 v81, v81, v82
	s_waitcnt vmcnt(3)
	v_mul_f32_e32 v82, v148, v219
	v_add_f32_e32 v223, v223, v224
	v_mul_f32_e32 v224, v147, v219
	s_waitcnt vmcnt(2)
	v_fma_f32 v82, v147, v220, -v82
	v_fmac_f32_e32 v224, v148, v220
	v_add_f32_e32 v81, v81, v82
	s_waitcnt vmcnt(0) lgkmcnt(0)
	v_mul_f32_e32 v82, v150, v222
	v_add_f32_e32 v223, v223, v224
	v_mul_f32_e32 v224, v149, v222
	v_fma_f32 v82, v149, v221, -v82
	v_fmac_f32_e32 v224, v150, v221
	v_add_f32_e32 v81, v81, v82
	v_add_f32_e32 v223, v223, v224
	v_sub_f32_e32 v81, v172, v81
	v_sub_f32_e32 v82, v173, v223
	buffer_store_dword v81, off, s[0:3], 0 offset:24
	buffer_store_dword v82, off, s[0:3], 0 offset:28
	s_and_saveexec_b64 s[4:5], vcc
	s_cbranch_execz .LBB102_243
; %bb.242:
	buffer_load_dword v81, off, s[0:3], 0 offset:16
	buffer_load_dword v82, off, s[0:3], 0 offset:20
	s_waitcnt vmcnt(0)
	ds_write_b64 v79, v[81:82]
	buffer_store_dword v80, off, s[0:3], 0 offset:16
	buffer_store_dword v80, off, s[0:3], 0 offset:20
.LBB102_243:
	s_or_b64 exec, exec, s[4:5]
	s_waitcnt lgkmcnt(0)
	; wave barrier
	buffer_load_dword v153, off, s[0:3], 0 offset:28
	buffer_load_dword v154, off, s[0:3], 0 offset:36
	;; [unrolled: 1-line block ×26, first 2 shown]
	ds_read2_b64 v[81:84], v80 offset0:43 offset1:44
	ds_read2_b64 v[85:88], v80 offset0:45 offset1:46
	;; [unrolled: 1-line block ×6, first 2 shown]
	buffer_load_dword v179, off, s[0:3], 0 offset:120
	buffer_load_dword v180, off, s[0:3], 0 offset:124
	;; [unrolled: 1-line block ×42, first 2 shown]
	v_cmp_lt_u32_e32 vcc, 1, v0
	s_waitcnt vmcnt(62) lgkmcnt(5)
	v_mul_f32_e32 v105, v81, v153
	v_mul_f32_e32 v106, v83, v154
	s_waitcnt lgkmcnt(4)
	v_mul_f32_e32 v107, v85, v155
	v_mul_f32_e32 v108, v87, v156
	s_waitcnt lgkmcnt(3)
	v_mul_f32_e32 v109, v89, v157
	v_mul_f32_e32 v110, v91, v158
	s_waitcnt vmcnt(61) lgkmcnt(2)
	v_mul_f32_e32 v111, v93, v159
	s_waitcnt vmcnt(60)
	v_mul_f32_e32 v112, v95, v160
	s_waitcnt vmcnt(59) lgkmcnt(1)
	v_mul_f32_e32 v113, v97, v161
	s_waitcnt vmcnt(58)
	v_fmac_f32_e32 v105, v82, v162
	s_waitcnt vmcnt(57)
	v_fmac_f32_e32 v106, v84, v163
	v_add_f32_e32 v105, 0, v105
	s_waitcnt vmcnt(56)
	v_fmac_f32_e32 v107, v86, v164
	v_add_f32_e32 v105, v105, v106
	;; [unrolled: 3-line block ×8, first 2 shown]
	s_waitcnt vmcnt(49)
	v_mul_f32_e32 v106, v99, v171
	v_add_f32_e32 v105, v105, v113
	s_waitcnt vmcnt(48)
	v_fmac_f32_e32 v106, v100, v172
	v_add_f32_e32 v105, v105, v106
	s_waitcnt vmcnt(47) lgkmcnt(0)
	v_mul_f32_e32 v106, v101, v173
	s_waitcnt vmcnt(46)
	v_fmac_f32_e32 v106, v102, v174
	v_add_f32_e32 v105, v105, v106
	s_waitcnt vmcnt(42)
	v_mul_f32_e32 v106, v103, v178
	v_fmac_f32_e32 v106, v104, v177
	v_add_f32_e32 v113, v105, v106
	ds_read2_b64 v[105:108], v80 offset0:55 offset1:56
	buffer_load_dword v221, off, s[0:3], 0 offset:292
	buffer_load_dword v222, off, s[0:3], 0 offset:288
	;; [unrolled: 1-line block ×4, first 2 shown]
	ds_read2_b64 v[109:112], v80 offset0:57 offset1:58
	buffer_load_dword v225, off, s[0:3], 0 offset:304
	buffer_load_dword v226, off, s[0:3], 0 offset:308
	v_mul_f32_e32 v82, v82, v153
	v_fma_f32 v81, v81, v162, -v82
	v_mul_f32_e32 v82, v84, v154
	v_add_f32_e32 v81, 0, v81
	v_fma_f32 v82, v83, v163, -v82
	v_add_f32_e32 v81, v81, v82
	v_mul_f32_e32 v82, v86, v155
	v_fma_f32 v82, v85, v164, -v82
	v_add_f32_e32 v81, v81, v82
	v_mul_f32_e32 v82, v88, v156
	;; [unrolled: 3-line block ×3, first 2 shown]
	s_waitcnt vmcnt(46) lgkmcnt(1)
	v_mul_f32_e32 v114, v105, v180
	v_fma_f32 v82, v89, v166, -v82
	v_fmac_f32_e32 v114, v106, v179
	v_add_f32_e32 v81, v81, v82
	v_mul_f32_e32 v82, v92, v158
	v_add_f32_e32 v113, v113, v114
	s_waitcnt vmcnt(44)
	v_mul_f32_e32 v114, v107, v182
	v_fma_f32 v82, v91, v167, -v82
	v_fmac_f32_e32 v114, v108, v181
	v_add_f32_e32 v81, v81, v82
	v_mul_f32_e32 v82, v94, v159
	v_add_f32_e32 v113, v113, v114
	s_waitcnt vmcnt(42) lgkmcnt(0)
	v_mul_f32_e32 v114, v109, v184
	v_fma_f32 v82, v93, v168, -v82
	v_fmac_f32_e32 v114, v110, v183
	v_add_f32_e32 v81, v81, v82
	v_mul_f32_e32 v82, v96, v160
	v_add_f32_e32 v117, v113, v114
	ds_read2_b64 v[113:116], v80 offset0:59 offset1:60
	v_fma_f32 v82, v95, v169, -v82
	v_add_f32_e32 v81, v81, v82
	v_mul_f32_e32 v82, v98, v161
	s_waitcnt vmcnt(40)
	v_mul_f32_e32 v118, v111, v186
	v_fma_f32 v82, v97, v170, -v82
	v_fmac_f32_e32 v118, v112, v185
	v_add_f32_e32 v81, v81, v82
	v_mul_f32_e32 v82, v100, v171
	v_add_f32_e32 v121, v117, v118
	ds_read2_b64 v[117:120], v80 offset0:61 offset1:62
	v_fma_f32 v82, v99, v172, -v82
	s_waitcnt vmcnt(38) lgkmcnt(1)
	v_mul_f32_e32 v122, v113, v188
	v_add_f32_e32 v81, v81, v82
	v_mul_f32_e32 v82, v102, v173
	v_fmac_f32_e32 v122, v114, v187
	v_fma_f32 v82, v101, v174, -v82
	v_add_f32_e32 v121, v121, v122
	s_waitcnt vmcnt(36)
	v_mul_f32_e32 v122, v115, v190
	v_add_f32_e32 v81, v81, v82
	v_mul_f32_e32 v82, v104, v178
	v_fmac_f32_e32 v122, v116, v189
	v_fma_f32 v82, v103, v177, -v82
	v_add_f32_e32 v121, v121, v122
	s_waitcnt vmcnt(34) lgkmcnt(0)
	v_mul_f32_e32 v122, v117, v192
	v_add_f32_e32 v81, v81, v82
	v_mul_f32_e32 v82, v106, v180
	v_fmac_f32_e32 v122, v118, v191
	v_fma_f32 v82, v105, v179, -v82
	v_add_f32_e32 v125, v121, v122
	ds_read2_b64 v[121:124], v80 offset0:63 offset1:64
	v_add_f32_e32 v81, v81, v82
	v_mul_f32_e32 v82, v108, v182
	v_fma_f32 v82, v107, v181, -v82
	s_waitcnt vmcnt(32)
	v_mul_f32_e32 v126, v119, v194
	v_add_f32_e32 v81, v81, v82
	v_mul_f32_e32 v82, v110, v184
	v_fmac_f32_e32 v126, v120, v193
	v_fma_f32 v82, v109, v183, -v82
	v_add_f32_e32 v129, v125, v126
	ds_read2_b64 v[125:128], v80 offset0:65 offset1:66
	v_add_f32_e32 v81, v81, v82
	v_mul_f32_e32 v82, v112, v186
	s_waitcnt vmcnt(30) lgkmcnt(1)
	v_mul_f32_e32 v130, v121, v196
	v_fma_f32 v82, v111, v185, -v82
	v_fmac_f32_e32 v130, v122, v195
	v_add_f32_e32 v81, v81, v82
	v_mul_f32_e32 v82, v114, v188
	v_add_f32_e32 v129, v129, v130
	s_waitcnt vmcnt(28)
	v_mul_f32_e32 v130, v123, v198
	v_fma_f32 v82, v113, v187, -v82
	v_fmac_f32_e32 v130, v124, v197
	v_add_f32_e32 v81, v81, v82
	v_mul_f32_e32 v82, v116, v190
	v_add_f32_e32 v129, v129, v130
	s_waitcnt vmcnt(26) lgkmcnt(0)
	v_mul_f32_e32 v130, v125, v200
	v_fma_f32 v82, v115, v189, -v82
	v_fmac_f32_e32 v130, v126, v199
	v_add_f32_e32 v81, v81, v82
	v_mul_f32_e32 v82, v118, v192
	v_add_f32_e32 v133, v129, v130
	ds_read2_b64 v[129:132], v80 offset0:67 offset1:68
	v_fma_f32 v82, v117, v191, -v82
	v_add_f32_e32 v81, v81, v82
	v_mul_f32_e32 v82, v120, v194
	s_waitcnt vmcnt(24)
	v_mul_f32_e32 v134, v127, v202
	v_fma_f32 v82, v119, v193, -v82
	v_fmac_f32_e32 v134, v128, v201
	v_add_f32_e32 v81, v81, v82
	v_mul_f32_e32 v82, v122, v196
	v_add_f32_e32 v137, v133, v134
	ds_read2_b64 v[133:136], v80 offset0:69 offset1:70
	v_fma_f32 v82, v121, v195, -v82
	s_waitcnt vmcnt(22) lgkmcnt(1)
	v_mul_f32_e32 v138, v129, v204
	v_add_f32_e32 v81, v81, v82
	v_mul_f32_e32 v82, v124, v198
	v_fmac_f32_e32 v138, v130, v203
	v_fma_f32 v82, v123, v197, -v82
	v_add_f32_e32 v137, v137, v138
	s_waitcnt vmcnt(20)
	v_mul_f32_e32 v138, v131, v206
	v_add_f32_e32 v81, v81, v82
	v_mul_f32_e32 v82, v126, v200
	v_fmac_f32_e32 v138, v132, v205
	v_fma_f32 v82, v125, v199, -v82
	v_add_f32_e32 v137, v137, v138
	s_waitcnt vmcnt(18) lgkmcnt(0)
	v_mul_f32_e32 v138, v133, v208
	v_add_f32_e32 v81, v81, v82
	v_mul_f32_e32 v82, v128, v202
	v_fmac_f32_e32 v138, v134, v207
	v_fma_f32 v82, v127, v201, -v82
	v_add_f32_e32 v141, v137, v138
	ds_read2_b64 v[137:140], v80 offset0:71 offset1:72
	v_add_f32_e32 v81, v81, v82
	v_mul_f32_e32 v82, v130, v204
	v_fma_f32 v82, v129, v203, -v82
	s_waitcnt vmcnt(16)
	v_mul_f32_e32 v142, v135, v210
	v_add_f32_e32 v81, v81, v82
	v_mul_f32_e32 v82, v132, v206
	v_fmac_f32_e32 v142, v136, v209
	v_fma_f32 v82, v131, v205, -v82
	v_add_f32_e32 v145, v141, v142
	ds_read2_b64 v[141:144], v80 offset0:73 offset1:74
	v_add_f32_e32 v81, v81, v82
	v_mul_f32_e32 v82, v134, v208
	s_waitcnt vmcnt(14) lgkmcnt(1)
	v_mul_f32_e32 v146, v137, v212
	v_fma_f32 v82, v133, v207, -v82
	v_fmac_f32_e32 v146, v138, v211
	v_add_f32_e32 v81, v81, v82
	v_mul_f32_e32 v82, v136, v210
	v_add_f32_e32 v145, v145, v146
	s_waitcnt vmcnt(13)
	v_mul_f32_e32 v146, v139, v213
	v_fma_f32 v82, v135, v209, -v82
	s_waitcnt vmcnt(12)
	v_fmac_f32_e32 v146, v140, v214
	v_add_f32_e32 v81, v81, v82
	v_mul_f32_e32 v82, v138, v212
	v_add_f32_e32 v145, v145, v146
	s_waitcnt vmcnt(10) lgkmcnt(0)
	v_mul_f32_e32 v146, v141, v216
	v_fma_f32 v82, v137, v211, -v82
	v_fmac_f32_e32 v146, v142, v215
	v_add_f32_e32 v81, v81, v82
	v_mul_f32_e32 v82, v140, v213
	v_add_f32_e32 v149, v145, v146
	ds_read2_b64 v[145:148], v80 offset0:75 offset1:76
	v_fma_f32 v82, v139, v214, -v82
	v_add_f32_e32 v81, v81, v82
	v_mul_f32_e32 v82, v142, v216
	s_waitcnt vmcnt(8)
	v_mul_f32_e32 v150, v143, v218
	v_fma_f32 v82, v141, v215, -v82
	v_fmac_f32_e32 v150, v144, v217
	v_add_f32_e32 v81, v81, v82
	v_mul_f32_e32 v82, v144, v218
	v_add_f32_e32 v227, v149, v150
	ds_read2_b64 v[149:152], v80 offset0:77 offset1:78
	v_fma_f32 v82, v143, v217, -v82
	v_add_f32_e32 v81, v81, v82
	s_waitcnt vmcnt(6) lgkmcnt(1)
	v_mul_f32_e32 v82, v146, v220
	v_mul_f32_e32 v80, v145, v220
	v_fma_f32 v82, v145, v219, -v82
	v_fmac_f32_e32 v80, v146, v219
	v_add_f32_e32 v81, v81, v82
	s_waitcnt vmcnt(5)
	v_mul_f32_e32 v82, v148, v221
	v_add_f32_e32 v80, v227, v80
	v_mul_f32_e32 v227, v147, v221
	s_waitcnt vmcnt(4)
	v_fma_f32 v82, v147, v222, -v82
	v_fmac_f32_e32 v227, v148, v222
	v_add_f32_e32 v81, v81, v82
	s_waitcnt vmcnt(2) lgkmcnt(0)
	v_mul_f32_e32 v82, v150, v224
	v_add_f32_e32 v80, v80, v227
	v_mul_f32_e32 v227, v149, v224
	v_fma_f32 v82, v149, v223, -v82
	v_fmac_f32_e32 v227, v150, v223
	v_add_f32_e32 v81, v81, v82
	s_waitcnt vmcnt(0)
	v_mul_f32_e32 v82, v152, v226
	v_add_f32_e32 v80, v80, v227
	v_mul_f32_e32 v227, v151, v226
	v_fma_f32 v82, v151, v225, -v82
	v_fmac_f32_e32 v227, v152, v225
	v_add_f32_e32 v81, v81, v82
	v_add_f32_e32 v80, v80, v227
	v_sub_f32_e32 v81, v175, v81
	v_sub_f32_e32 v80, v176, v80
	buffer_store_dword v81, off, s[0:3], 0 offset:16
	buffer_store_dword v80, off, s[0:3], 0 offset:20
	s_and_saveexec_b64 s[4:5], vcc
	s_cbranch_execz .LBB102_245
; %bb.244:
	buffer_load_dword v80, off, s[0:3], 0 offset:8
	buffer_load_dword v81, off, s[0:3], 0 offset:12
	v_mov_b32_e32 v82, 0
	buffer_store_dword v82, off, s[0:3], 0 offset:8
	buffer_store_dword v82, off, s[0:3], 0 offset:12
	s_waitcnt vmcnt(2)
	ds_write_b64 v79, v[80:81]
.LBB102_245:
	s_or_b64 exec, exec, s[4:5]
	s_waitcnt lgkmcnt(0)
	; wave barrier
	buffer_load_dword v155, off, s[0:3], 0 offset:20
	buffer_load_dword v156, off, s[0:3], 0 offset:28
	;; [unrolled: 1-line block ×52, first 2 shown]
	v_mov_b32_e32 v80, 0
	ds_read_b128 v[81:84], v80 offset:336
	ds_read_b128 v[85:88], v80 offset:352
	;; [unrolled: 1-line block ×6, first 2 shown]
	buffer_load_dword v207, off, s[0:3], 0 offset:220
	buffer_load_dword v208, off, s[0:3], 0 offset:216
	;; [unrolled: 1-line block ×14, first 2 shown]
	v_cmp_ne_u32_e32 vcc, 0, v0
	s_waitcnt vmcnt(62) lgkmcnt(5)
	v_mul_f32_e32 v105, v81, v155
	v_mul_f32_e32 v106, v83, v156
	s_waitcnt lgkmcnt(4)
	v_mul_f32_e32 v107, v85, v157
	v_mul_f32_e32 v108, v87, v158
	s_waitcnt vmcnt(61) lgkmcnt(3)
	v_mul_f32_e32 v109, v89, v159
	s_waitcnt vmcnt(60)
	v_mul_f32_e32 v110, v91, v160
	s_waitcnt vmcnt(59) lgkmcnt(2)
	v_mul_f32_e32 v111, v93, v161
	s_waitcnt vmcnt(58)
	;; [unrolled: 4-line block ×3, first 2 shown]
	v_fmac_f32_e32 v105, v82, v164
	s_waitcnt vmcnt(55)
	v_fmac_f32_e32 v106, v84, v165
	v_add_f32_e32 v105, 0, v105
	s_waitcnt vmcnt(54)
	v_fmac_f32_e32 v107, v86, v166
	v_add_f32_e32 v105, v105, v106
	;; [unrolled: 3-line block ×8, first 2 shown]
	s_waitcnt vmcnt(47)
	v_mul_f32_e32 v106, v99, v173
	v_add_f32_e32 v105, v105, v113
	s_waitcnt vmcnt(46)
	v_fmac_f32_e32 v106, v100, v174
	v_add_f32_e32 v105, v105, v106
	s_waitcnt vmcnt(45) lgkmcnt(0)
	v_mul_f32_e32 v106, v101, v175
	s_waitcnt vmcnt(44)
	v_fmac_f32_e32 v106, v102, v176
	v_add_f32_e32 v109, v105, v106
	ds_read_b128 v[105:108], v80 offset:432
	buffer_load_dword v221, off, s[0:3], 0 offset:272
	buffer_load_dword v222, off, s[0:3], 0 offset:276
	s_waitcnt vmcnt(43)
	v_mul_f32_e32 v110, v103, v179
	s_waitcnt vmcnt(42)
	v_fmac_f32_e32 v110, v104, v180
	v_add_f32_e32 v113, v109, v110
	ds_read_b128 v[109:112], v80 offset:448
	buffer_load_dword v223, off, s[0:3], 0 offset:284
	buffer_load_dword v224, off, s[0:3], 0 offset:280
	;; [unrolled: 1-line block ×8, first 2 shown]
	v_mul_f32_e32 v82, v82, v155
	v_fma_f32 v81, v81, v164, -v82
	v_mul_f32_e32 v82, v84, v156
	v_add_f32_e32 v81, 0, v81
	v_fma_f32 v82, v83, v165, -v82
	v_add_f32_e32 v81, v81, v82
	v_mul_f32_e32 v82, v86, v157
	v_fma_f32 v82, v85, v166, -v82
	v_add_f32_e32 v81, v81, v82
	v_mul_f32_e32 v82, v88, v158
	v_fma_f32 v82, v87, v167, -v82
	s_waitcnt vmcnt(48) lgkmcnt(1)
	v_mul_f32_e32 v114, v105, v182
	v_add_f32_e32 v81, v81, v82
	v_mul_f32_e32 v82, v90, v159
	v_fmac_f32_e32 v114, v106, v181
	v_fma_f32 v82, v89, v168, -v82
	v_add_f32_e32 v113, v113, v114
	s_waitcnt vmcnt(46)
	v_mul_f32_e32 v114, v107, v184
	v_add_f32_e32 v81, v81, v82
	v_mul_f32_e32 v82, v92, v160
	v_fmac_f32_e32 v114, v108, v183
	v_fma_f32 v82, v91, v169, -v82
	v_add_f32_e32 v113, v113, v114
	s_waitcnt vmcnt(44) lgkmcnt(0)
	v_mul_f32_e32 v114, v109, v186
	v_add_f32_e32 v81, v81, v82
	v_mul_f32_e32 v82, v94, v161
	v_fmac_f32_e32 v114, v110, v185
	v_fma_f32 v82, v93, v170, -v82
	v_add_f32_e32 v117, v113, v114
	ds_read_b128 v[113:116], v80 offset:464
	v_add_f32_e32 v81, v81, v82
	v_mul_f32_e32 v82, v96, v162
	v_fma_f32 v82, v95, v171, -v82
	s_waitcnt vmcnt(42)
	v_mul_f32_e32 v118, v111, v188
	v_add_f32_e32 v81, v81, v82
	v_mul_f32_e32 v82, v98, v163
	v_fmac_f32_e32 v118, v112, v187
	v_fma_f32 v82, v97, v172, -v82
	v_add_f32_e32 v121, v117, v118
	ds_read_b128 v[117:120], v80 offset:480
	v_add_f32_e32 v81, v81, v82
	v_mul_f32_e32 v82, v100, v173
	s_waitcnt vmcnt(40) lgkmcnt(1)
	v_mul_f32_e32 v122, v113, v190
	v_fma_f32 v82, v99, v174, -v82
	v_fmac_f32_e32 v122, v114, v189
	v_add_f32_e32 v81, v81, v82
	v_mul_f32_e32 v82, v102, v175
	v_add_f32_e32 v121, v121, v122
	s_waitcnt vmcnt(38)
	v_mul_f32_e32 v122, v115, v192
	v_fma_f32 v82, v101, v176, -v82
	v_fmac_f32_e32 v122, v116, v191
	v_add_f32_e32 v81, v81, v82
	v_mul_f32_e32 v82, v104, v179
	v_add_f32_e32 v121, v121, v122
	s_waitcnt vmcnt(36) lgkmcnt(0)
	v_mul_f32_e32 v122, v117, v194
	v_fma_f32 v82, v103, v180, -v82
	v_fmac_f32_e32 v122, v118, v193
	v_add_f32_e32 v81, v81, v82
	v_mul_f32_e32 v82, v106, v182
	v_add_f32_e32 v125, v121, v122
	ds_read_b128 v[121:124], v80 offset:496
	v_fma_f32 v82, v105, v181, -v82
	v_add_f32_e32 v81, v81, v82
	v_mul_f32_e32 v82, v108, v184
	s_waitcnt vmcnt(34)
	v_mul_f32_e32 v126, v119, v196
	v_fma_f32 v82, v107, v183, -v82
	v_fmac_f32_e32 v126, v120, v195
	v_add_f32_e32 v81, v81, v82
	v_mul_f32_e32 v82, v110, v186
	v_add_f32_e32 v129, v125, v126
	ds_read_b128 v[125:128], v80 offset:512
	v_fma_f32 v82, v109, v185, -v82
	s_waitcnt vmcnt(32) lgkmcnt(1)
	v_mul_f32_e32 v130, v121, v198
	v_add_f32_e32 v81, v81, v82
	v_mul_f32_e32 v82, v112, v188
	v_fmac_f32_e32 v130, v122, v197
	v_fma_f32 v82, v111, v187, -v82
	v_add_f32_e32 v129, v129, v130
	s_waitcnt vmcnt(30)
	v_mul_f32_e32 v130, v123, v200
	v_add_f32_e32 v81, v81, v82
	v_mul_f32_e32 v82, v114, v190
	v_fmac_f32_e32 v130, v124, v199
	v_fma_f32 v82, v113, v189, -v82
	v_add_f32_e32 v129, v129, v130
	s_waitcnt vmcnt(28) lgkmcnt(0)
	v_mul_f32_e32 v130, v125, v202
	v_add_f32_e32 v81, v81, v82
	v_mul_f32_e32 v82, v116, v192
	v_fmac_f32_e32 v130, v126, v201
	v_fma_f32 v82, v115, v191, -v82
	v_add_f32_e32 v133, v129, v130
	ds_read_b128 v[129:132], v80 offset:528
	v_add_f32_e32 v81, v81, v82
	v_mul_f32_e32 v82, v118, v194
	v_fma_f32 v82, v117, v193, -v82
	s_waitcnt vmcnt(26)
	v_mul_f32_e32 v134, v127, v204
	v_add_f32_e32 v81, v81, v82
	v_mul_f32_e32 v82, v120, v196
	v_fmac_f32_e32 v134, v128, v203
	v_fma_f32 v82, v119, v195, -v82
	v_add_f32_e32 v137, v133, v134
	ds_read_b128 v[133:136], v80 offset:544
	v_add_f32_e32 v81, v81, v82
	v_mul_f32_e32 v82, v122, v198
	s_waitcnt vmcnt(24) lgkmcnt(1)
	v_mul_f32_e32 v138, v129, v206
	v_fma_f32 v82, v121, v197, -v82
	v_fmac_f32_e32 v138, v130, v205
	v_add_f32_e32 v81, v81, v82
	v_mul_f32_e32 v82, v124, v200
	v_add_f32_e32 v137, v137, v138
	s_waitcnt vmcnt(23)
	v_mul_f32_e32 v138, v131, v207
	v_fma_f32 v82, v123, v199, -v82
	s_waitcnt vmcnt(22)
	v_fmac_f32_e32 v138, v132, v208
	v_add_f32_e32 v81, v81, v82
	v_mul_f32_e32 v82, v126, v202
	v_add_f32_e32 v137, v137, v138
	s_waitcnt vmcnt(20) lgkmcnt(0)
	v_mul_f32_e32 v138, v133, v210
	v_fma_f32 v82, v125, v201, -v82
	v_fmac_f32_e32 v138, v134, v209
	v_add_f32_e32 v81, v81, v82
	v_mul_f32_e32 v82, v128, v204
	v_add_f32_e32 v141, v137, v138
	ds_read_b128 v[137:140], v80 offset:560
	v_fma_f32 v82, v127, v203, -v82
	v_add_f32_e32 v81, v81, v82
	v_mul_f32_e32 v82, v130, v206
	s_waitcnt vmcnt(18)
	v_mul_f32_e32 v142, v135, v212
	v_fma_f32 v82, v129, v205, -v82
	v_fmac_f32_e32 v142, v136, v211
	v_add_f32_e32 v81, v81, v82
	v_mul_f32_e32 v82, v132, v207
	v_add_f32_e32 v145, v141, v142
	ds_read_b128 v[141:144], v80 offset:576
	v_fma_f32 v82, v131, v208, -v82
	s_waitcnt vmcnt(16) lgkmcnt(1)
	v_mul_f32_e32 v146, v137, v214
	v_add_f32_e32 v81, v81, v82
	v_mul_f32_e32 v82, v134, v210
	v_fmac_f32_e32 v146, v138, v213
	v_fma_f32 v82, v133, v209, -v82
	v_add_f32_e32 v145, v145, v146
	s_waitcnt vmcnt(15)
	v_mul_f32_e32 v146, v139, v215
	v_add_f32_e32 v81, v81, v82
	v_mul_f32_e32 v82, v136, v212
	s_waitcnt vmcnt(14)
	v_fmac_f32_e32 v146, v140, v216
	v_fma_f32 v82, v135, v211, -v82
	v_add_f32_e32 v145, v145, v146
	s_waitcnt vmcnt(12) lgkmcnt(0)
	v_mul_f32_e32 v146, v141, v218
	v_add_f32_e32 v81, v81, v82
	v_mul_f32_e32 v82, v138, v214
	v_fmac_f32_e32 v146, v142, v217
	v_fma_f32 v82, v137, v213, -v82
	v_add_f32_e32 v149, v145, v146
	ds_read_b128 v[145:148], v80 offset:592
	v_add_f32_e32 v81, v81, v82
	v_mul_f32_e32 v82, v140, v215
	v_fma_f32 v82, v139, v216, -v82
	v_add_f32_e32 v81, v81, v82
	v_mul_f32_e32 v82, v142, v218
	s_waitcnt vmcnt(10)
	v_mul_f32_e32 v150, v143, v220
	v_fma_f32 v82, v141, v217, -v82
	v_fmac_f32_e32 v150, v144, v219
	v_add_f32_e32 v81, v81, v82
	v_mul_f32_e32 v82, v144, v220
	v_add_f32_e32 v153, v149, v150
	ds_read_b128 v[149:152], v80 offset:608
	s_waitcnt vmcnt(8) lgkmcnt(1)
	v_mul_f32_e32 v154, v145, v222
	v_fma_f32 v82, v143, v219, -v82
	v_fmac_f32_e32 v154, v146, v221
	v_add_f32_e32 v81, v81, v82
	v_mul_f32_e32 v82, v146, v222
	v_add_f32_e32 v153, v153, v154
	s_waitcnt vmcnt(7)
	v_mul_f32_e32 v154, v147, v223
	v_fma_f32 v82, v145, v221, -v82
	s_waitcnt vmcnt(6)
	v_fmac_f32_e32 v154, v148, v224
	v_add_f32_e32 v81, v81, v82
	v_mul_f32_e32 v82, v148, v223
	v_add_f32_e32 v231, v153, v154
	ds_read_b64 v[153:154], v80 offset:624
	v_fma_f32 v82, v147, v224, -v82
	v_add_f32_e32 v81, v81, v82
	s_waitcnt vmcnt(4) lgkmcnt(1)
	v_mul_f32_e32 v82, v150, v226
	v_mul_f32_e32 v232, v149, v226
	v_fma_f32 v82, v149, v225, -v82
	v_fmac_f32_e32 v232, v150, v225
	v_add_f32_e32 v81, v81, v82
	s_waitcnt vmcnt(3)
	v_mul_f32_e32 v82, v152, v227
	v_add_f32_e32 v231, v231, v232
	v_mul_f32_e32 v232, v151, v227
	s_waitcnt vmcnt(2)
	v_fma_f32 v82, v151, v228, -v82
	v_fmac_f32_e32 v232, v152, v228
	v_add_f32_e32 v81, v81, v82
	s_waitcnt vmcnt(0) lgkmcnt(0)
	v_mul_f32_e32 v82, v154, v230
	v_add_f32_e32 v231, v231, v232
	v_mul_f32_e32 v232, v153, v230
	v_fma_f32 v82, v153, v229, -v82
	v_fmac_f32_e32 v232, v154, v229
	v_add_f32_e32 v81, v81, v82
	v_add_f32_e32 v231, v231, v232
	v_sub_f32_e32 v81, v177, v81
	v_sub_f32_e32 v82, v178, v231
	buffer_store_dword v81, off, s[0:3], 0 offset:8
	buffer_store_dword v82, off, s[0:3], 0 offset:12
	s_and_saveexec_b64 s[4:5], vcc
	s_cbranch_execz .LBB102_247
; %bb.246:
	buffer_load_dword v81, off, s[0:3], 0
	buffer_load_dword v82, off, s[0:3], 0 offset:4
	s_waitcnt vmcnt(0)
	ds_write_b64 v79, v[81:82]
	buffer_store_dword v80, off, s[0:3], 0
	buffer_store_dword v80, off, s[0:3], 0 offset:4
.LBB102_247:
	s_or_b64 exec, exec, s[4:5]
	s_waitcnt lgkmcnt(0)
	; wave barrier
	buffer_load_dword v0, off, s[0:3], 0 offset:12
	buffer_load_dword v79, off, s[0:3], 0 offset:20
	;; [unrolled: 1-line block ×24, first 2 shown]
	buffer_load_dword v179, off, s[0:3], 0
	buffer_load_dword v180, off, s[0:3], 0 offset:4
	ds_read2_b64 v[81:84], v80 offset0:41 offset1:42
	ds_read2_b64 v[85:88], v80 offset0:43 offset1:44
	;; [unrolled: 1-line block ×4, first 2 shown]
	buffer_load_dword v181, off, s[0:3], 0 offset:108
	ds_read2_b64 v[97:100], v80 offset0:49 offset1:50
	ds_read2_b64 v[101:104], v80 offset0:51 offset1:52
	buffer_load_dword v182, off, s[0:3], 0 offset:104
	buffer_load_dword v183, off, s[0:3], 0 offset:112
	;; [unrolled: 1-line block ×37, first 2 shown]
	s_and_b64 vcc, exec, s[14:15]
	s_waitcnt vmcnt(62) lgkmcnt(5)
	v_mul_f32_e32 v105, v81, v0
	v_mul_f32_e32 v106, v83, v79
	s_waitcnt vmcnt(61) lgkmcnt(4)
	v_mul_f32_e32 v107, v85, v157
	s_waitcnt vmcnt(60)
	v_mul_f32_e32 v108, v87, v158
	s_waitcnt vmcnt(59) lgkmcnt(3)
	v_mul_f32_e32 v109, v89, v159
	s_waitcnt vmcnt(58)
	;; [unrolled: 4-line block ×4, first 2 shown]
	v_mul_f32_e32 v114, v99, v164
	s_waitcnt vmcnt(53)
	v_fmac_f32_e32 v105, v82, v165
	s_waitcnt vmcnt(52)
	v_fmac_f32_e32 v106, v84, v166
	v_add_f32_e32 v105, 0, v105
	s_waitcnt vmcnt(51)
	v_fmac_f32_e32 v107, v86, v167
	v_add_f32_e32 v105, v105, v106
	;; [unrolled: 3-line block ×9, first 2 shown]
	s_waitcnt vmcnt(43) lgkmcnt(0)
	v_mul_f32_e32 v106, v101, v175
	v_add_f32_e32 v105, v105, v114
	s_waitcnt vmcnt(42)
	v_fmac_f32_e32 v106, v102, v176
	v_add_f32_e32 v109, v105, v106
	s_waitcnt vmcnt(41)
	v_mul_f32_e32 v110, v103, v177
	ds_read2_b64 v[105:108], v80 offset0:53 offset1:54
	buffer_load_dword v219, off, s[0:3], 0 offset:256
	buffer_load_dword v220, off, s[0:3], 0 offset:260
	s_waitcnt vmcnt(42)
	v_fmac_f32_e32 v110, v104, v178
	v_add_f32_e32 v113, v109, v110
	ds_read2_b64 v[109:112], v80 offset0:55 offset1:56
	buffer_load_dword v221, off, s[0:3], 0 offset:264
	buffer_load_dword v222, off, s[0:3], 0 offset:268
	;; [unrolled: 1-line block ×12, first 2 shown]
	v_mul_f32_e32 v0, v82, v0
	v_fma_f32 v0, v81, v165, -v0
	v_mul_f32_e32 v79, v84, v79
	v_add_f32_e32 v0, 0, v0
	v_fma_f32 v79, v83, v166, -v79
	v_add_f32_e32 v0, v0, v79
	v_mul_f32_e32 v79, v86, v157
	v_fma_f32 v79, v85, v167, -v79
	v_add_f32_e32 v0, v0, v79
	v_mul_f32_e32 v79, v88, v158
	v_fma_f32 v79, v87, v168, -v79
	s_waitcnt vmcnt(51) lgkmcnt(1)
	v_mul_f32_e32 v114, v105, v181
	v_add_f32_e32 v0, v0, v79
	v_mul_f32_e32 v79, v90, v159
	s_waitcnt vmcnt(50)
	v_fmac_f32_e32 v114, v106, v182
	v_fma_f32 v79, v89, v169, -v79
	v_add_f32_e32 v113, v113, v114
	s_waitcnt vmcnt(48)
	v_mul_f32_e32 v114, v107, v184
	v_add_f32_e32 v0, v0, v79
	v_mul_f32_e32 v79, v92, v160
	v_fmac_f32_e32 v114, v108, v183
	v_fma_f32 v79, v91, v170, -v79
	v_add_f32_e32 v113, v113, v114
	s_waitcnt vmcnt(46) lgkmcnt(0)
	v_mul_f32_e32 v114, v109, v186
	v_add_f32_e32 v0, v0, v79
	v_mul_f32_e32 v79, v94, v161
	v_fmac_f32_e32 v114, v110, v185
	v_fma_f32 v79, v93, v171, -v79
	v_add_f32_e32 v117, v113, v114
	ds_read2_b64 v[113:116], v80 offset0:57 offset1:58
	v_add_f32_e32 v0, v0, v79
	v_mul_f32_e32 v79, v96, v162
	v_fma_f32 v79, v95, v172, -v79
	s_waitcnt vmcnt(44)
	v_mul_f32_e32 v118, v111, v188
	v_add_f32_e32 v0, v0, v79
	v_mul_f32_e32 v79, v98, v163
	v_fmac_f32_e32 v118, v112, v187
	v_fma_f32 v79, v97, v173, -v79
	v_add_f32_e32 v121, v117, v118
	ds_read2_b64 v[117:120], v80 offset0:59 offset1:60
	v_add_f32_e32 v0, v0, v79
	v_mul_f32_e32 v79, v100, v164
	s_waitcnt vmcnt(42) lgkmcnt(1)
	v_mul_f32_e32 v122, v113, v190
	v_fma_f32 v79, v99, v174, -v79
	v_fmac_f32_e32 v122, v114, v189
	v_add_f32_e32 v0, v0, v79
	v_mul_f32_e32 v79, v102, v175
	v_add_f32_e32 v121, v121, v122
	s_waitcnt vmcnt(40)
	v_mul_f32_e32 v122, v115, v192
	v_fma_f32 v79, v101, v176, -v79
	v_fmac_f32_e32 v122, v116, v191
	v_add_f32_e32 v0, v0, v79
	v_mul_f32_e32 v79, v104, v177
	v_add_f32_e32 v121, v121, v122
	s_waitcnt vmcnt(38) lgkmcnt(0)
	v_mul_f32_e32 v122, v117, v194
	v_fma_f32 v79, v103, v178, -v79
	v_fmac_f32_e32 v122, v118, v193
	v_add_f32_e32 v0, v0, v79
	v_mul_f32_e32 v79, v106, v181
	v_add_f32_e32 v125, v121, v122
	ds_read2_b64 v[121:124], v80 offset0:61 offset1:62
	v_fma_f32 v79, v105, v182, -v79
	v_add_f32_e32 v0, v0, v79
	v_mul_f32_e32 v79, v108, v184
	s_waitcnt vmcnt(36)
	v_mul_f32_e32 v126, v119, v196
	v_fma_f32 v79, v107, v183, -v79
	v_fmac_f32_e32 v126, v120, v195
	v_add_f32_e32 v0, v0, v79
	v_mul_f32_e32 v79, v110, v186
	v_add_f32_e32 v129, v125, v126
	ds_read2_b64 v[125:128], v80 offset0:63 offset1:64
	v_fma_f32 v79, v109, v185, -v79
	s_waitcnt vmcnt(34) lgkmcnt(1)
	v_mul_f32_e32 v130, v121, v198
	v_add_f32_e32 v0, v0, v79
	v_mul_f32_e32 v79, v112, v188
	v_fmac_f32_e32 v130, v122, v197
	v_fma_f32 v79, v111, v187, -v79
	v_add_f32_e32 v129, v129, v130
	s_waitcnt vmcnt(32)
	v_mul_f32_e32 v130, v123, v200
	v_add_f32_e32 v0, v0, v79
	v_mul_f32_e32 v79, v114, v190
	v_fmac_f32_e32 v130, v124, v199
	v_fma_f32 v79, v113, v189, -v79
	v_add_f32_e32 v129, v129, v130
	s_waitcnt vmcnt(30) lgkmcnt(0)
	v_mul_f32_e32 v130, v125, v202
	v_add_f32_e32 v0, v0, v79
	v_mul_f32_e32 v79, v116, v192
	v_fmac_f32_e32 v130, v126, v201
	v_fma_f32 v79, v115, v191, -v79
	v_add_f32_e32 v133, v129, v130
	ds_read2_b64 v[129:132], v80 offset0:65 offset1:66
	v_add_f32_e32 v0, v0, v79
	v_mul_f32_e32 v79, v118, v194
	v_fma_f32 v79, v117, v193, -v79
	s_waitcnt vmcnt(28)
	v_mul_f32_e32 v134, v127, v204
	v_add_f32_e32 v0, v0, v79
	v_mul_f32_e32 v79, v120, v196
	v_fmac_f32_e32 v134, v128, v203
	v_fma_f32 v79, v119, v195, -v79
	v_add_f32_e32 v137, v133, v134
	ds_read2_b64 v[133:136], v80 offset0:67 offset1:68
	v_add_f32_e32 v0, v0, v79
	v_mul_f32_e32 v79, v122, v198
	s_waitcnt vmcnt(26) lgkmcnt(1)
	v_mul_f32_e32 v138, v129, v206
	v_fma_f32 v79, v121, v197, -v79
	v_fmac_f32_e32 v138, v130, v205
	v_add_f32_e32 v0, v0, v79
	v_mul_f32_e32 v79, v124, v200
	v_add_f32_e32 v137, v137, v138
	s_waitcnt vmcnt(25)
	v_mul_f32_e32 v138, v131, v207
	v_fma_f32 v79, v123, v199, -v79
	s_waitcnt vmcnt(24)
	v_fmac_f32_e32 v138, v132, v208
	v_add_f32_e32 v0, v0, v79
	v_mul_f32_e32 v79, v126, v202
	v_add_f32_e32 v137, v137, v138
	s_waitcnt vmcnt(22) lgkmcnt(0)
	v_mul_f32_e32 v138, v133, v210
	v_fma_f32 v79, v125, v201, -v79
	v_fmac_f32_e32 v138, v134, v209
	v_add_f32_e32 v0, v0, v79
	v_mul_f32_e32 v79, v128, v204
	v_add_f32_e32 v141, v137, v138
	ds_read2_b64 v[137:140], v80 offset0:69 offset1:70
	v_fma_f32 v79, v127, v203, -v79
	v_add_f32_e32 v0, v0, v79
	v_mul_f32_e32 v79, v130, v206
	s_waitcnt vmcnt(20)
	v_mul_f32_e32 v142, v135, v212
	v_fma_f32 v79, v129, v205, -v79
	v_fmac_f32_e32 v142, v136, v211
	v_add_f32_e32 v0, v0, v79
	v_mul_f32_e32 v79, v132, v207
	v_add_f32_e32 v145, v141, v142
	ds_read2_b64 v[141:144], v80 offset0:71 offset1:72
	v_fma_f32 v79, v131, v208, -v79
	s_waitcnt vmcnt(18) lgkmcnt(1)
	v_mul_f32_e32 v146, v137, v214
	v_add_f32_e32 v0, v0, v79
	v_mul_f32_e32 v79, v134, v210
	v_fmac_f32_e32 v146, v138, v213
	v_fma_f32 v79, v133, v209, -v79
	v_add_f32_e32 v145, v145, v146
	s_waitcnt vmcnt(17)
	v_mul_f32_e32 v146, v139, v215
	v_add_f32_e32 v0, v0, v79
	v_mul_f32_e32 v79, v136, v212
	s_waitcnt vmcnt(16)
	v_fmac_f32_e32 v146, v140, v216
	v_fma_f32 v79, v135, v211, -v79
	v_add_f32_e32 v145, v145, v146
	s_waitcnt vmcnt(14) lgkmcnt(0)
	v_mul_f32_e32 v146, v141, v218
	v_add_f32_e32 v0, v0, v79
	v_mul_f32_e32 v79, v138, v214
	v_fmac_f32_e32 v146, v142, v217
	v_fma_f32 v79, v137, v213, -v79
	v_add_f32_e32 v149, v145, v146
	ds_read2_b64 v[145:148], v80 offset0:73 offset1:74
	v_add_f32_e32 v0, v0, v79
	v_mul_f32_e32 v79, v140, v215
	v_fma_f32 v79, v139, v216, -v79
	v_add_f32_e32 v0, v0, v79
	v_mul_f32_e32 v79, v142, v218
	s_waitcnt vmcnt(12)
	v_mul_f32_e32 v150, v143, v220
	v_fma_f32 v79, v141, v217, -v79
	v_fmac_f32_e32 v150, v144, v219
	v_add_f32_e32 v0, v0, v79
	v_mul_f32_e32 v79, v144, v220
	v_add_f32_e32 v153, v149, v150
	ds_read2_b64 v[149:152], v80 offset0:75 offset1:76
	s_waitcnt vmcnt(10) lgkmcnt(1)
	v_mul_f32_e32 v154, v145, v222
	v_fma_f32 v79, v143, v219, -v79
	v_fmac_f32_e32 v154, v146, v221
	v_add_f32_e32 v0, v0, v79
	v_mul_f32_e32 v79, v146, v222
	v_add_f32_e32 v153, v153, v154
	s_waitcnt vmcnt(9)
	v_mul_f32_e32 v154, v147, v223
	v_fma_f32 v79, v145, v221, -v79
	s_waitcnt vmcnt(8)
	v_fmac_f32_e32 v154, v148, v224
	v_add_f32_e32 v0, v0, v79
	v_mul_f32_e32 v79, v148, v223
	v_add_f32_e32 v233, v153, v154
	ds_read2_b64 v[153:156], v80 offset0:77 offset1:78
	v_fma_f32 v79, v147, v224, -v79
	v_add_f32_e32 v0, v0, v79
	s_waitcnt vmcnt(6) lgkmcnt(1)
	v_mul_f32_e32 v79, v150, v226
	v_mul_f32_e32 v234, v149, v226
	v_fma_f32 v79, v149, v225, -v79
	v_fmac_f32_e32 v234, v150, v225
	v_add_f32_e32 v0, v0, v79
	s_waitcnt vmcnt(4)
	v_mul_f32_e32 v79, v152, v228
	v_add_f32_e32 v80, v233, v234
	v_mul_f32_e32 v233, v151, v228
	v_fma_f32 v79, v151, v227, -v79
	v_fmac_f32_e32 v233, v152, v227
	v_add_f32_e32 v0, v0, v79
	s_waitcnt vmcnt(3) lgkmcnt(0)
	v_mul_f32_e32 v79, v154, v229
	v_add_f32_e32 v80, v80, v233
	v_mul_f32_e32 v233, v153, v229
	s_waitcnt vmcnt(2)
	v_fma_f32 v79, v153, v230, -v79
	v_fmac_f32_e32 v233, v154, v230
	v_add_f32_e32 v0, v0, v79
	s_waitcnt vmcnt(0)
	v_mul_f32_e32 v79, v156, v232
	v_add_f32_e32 v80, v80, v233
	v_mul_f32_e32 v233, v155, v232
	v_fma_f32 v79, v155, v231, -v79
	v_fmac_f32_e32 v233, v156, v231
	v_add_f32_e32 v0, v0, v79
	v_add_f32_e32 v80, v80, v233
	v_sub_f32_e32 v0, v179, v0
	v_sub_f32_e32 v79, v180, v80
	buffer_store_dword v0, off, s[0:3], 0
	buffer_store_dword v79, off, s[0:3], 0 offset:4
	s_cbranch_vccz .LBB102_324
; %bb.248:
	v_mov_b32_e32 v0, 0
	global_load_dword v79, v0, s[12:13] offset:148
	s_waitcnt vmcnt(0)
	v_add_u32_e32 v79, -1, v79
	v_cmp_ne_u32_e32 vcc, 37, v79
	s_cbranch_vccz .LBB102_250
; %bb.249:
	v_lshlrev_b32_e32 v79, 3, v79
	buffer_load_dword v80, v79, s[0:3], 0 offen
	buffer_load_dword v81, v79, s[0:3], 0 offen offset:4
	buffer_load_dword v82, off, s[0:3], 0 offset:296
	buffer_load_dword v83, off, s[0:3], 0 offset:300
	s_waitcnt vmcnt(3)
	buffer_store_dword v80, off, s[0:3], 0 offset:296
	s_waitcnt vmcnt(3)
	buffer_store_dword v81, off, s[0:3], 0 offset:300
	s_waitcnt vmcnt(3)
	buffer_store_dword v82, v79, s[0:3], 0 offen
	s_waitcnt vmcnt(3)
	buffer_store_dword v83, v79, s[0:3], 0 offen offset:4
.LBB102_250:
	global_load_dword v0, v0, s[12:13] offset:144
	s_waitcnt vmcnt(0)
	v_add_u32_e32 v0, -1, v0
	v_cmp_eq_u32_e32 vcc, 36, v0
	s_cbranch_vccnz .LBB102_252
; %bb.251:
	v_lshlrev_b32_e32 v0, 3, v0
	buffer_load_dword v79, v0, s[0:3], 0 offen
	buffer_load_dword v80, v0, s[0:3], 0 offen offset:4
	buffer_load_dword v81, off, s[0:3], 0 offset:292
	buffer_load_dword v82, off, s[0:3], 0 offset:288
	s_waitcnt vmcnt(3)
	buffer_store_dword v79, off, s[0:3], 0 offset:288
	s_waitcnt vmcnt(3)
	buffer_store_dword v80, off, s[0:3], 0 offset:292
	s_waitcnt vmcnt(3)
	buffer_store_dword v81, v0, s[0:3], 0 offen offset:4
	s_waitcnt vmcnt(3)
	buffer_store_dword v82, v0, s[0:3], 0 offen
.LBB102_252:
	v_mov_b32_e32 v0, 0
	global_load_dword v79, v0, s[12:13] offset:140
	s_waitcnt vmcnt(0)
	v_add_u32_e32 v79, -1, v79
	v_cmp_eq_u32_e32 vcc, 35, v79
	s_cbranch_vccnz .LBB102_254
; %bb.253:
	v_lshlrev_b32_e32 v79, 3, v79
	buffer_load_dword v80, v79, s[0:3], 0 offen
	buffer_load_dword v81, v79, s[0:3], 0 offen offset:4
	buffer_load_dword v82, off, s[0:3], 0 offset:280
	buffer_load_dword v83, off, s[0:3], 0 offset:284
	s_waitcnt vmcnt(3)
	buffer_store_dword v80, off, s[0:3], 0 offset:280
	s_waitcnt vmcnt(3)
	buffer_store_dword v81, off, s[0:3], 0 offset:284
	s_waitcnt vmcnt(3)
	buffer_store_dword v82, v79, s[0:3], 0 offen
	s_waitcnt vmcnt(3)
	buffer_store_dword v83, v79, s[0:3], 0 offen offset:4
.LBB102_254:
	global_load_dword v0, v0, s[12:13] offset:136
	s_waitcnt vmcnt(0)
	v_add_u32_e32 v0, -1, v0
	v_cmp_eq_u32_e32 vcc, 34, v0
	s_cbranch_vccnz .LBB102_256
; %bb.255:
	v_lshlrev_b32_e32 v0, 3, v0
	buffer_load_dword v79, v0, s[0:3], 0 offen
	buffer_load_dword v80, v0, s[0:3], 0 offen offset:4
	buffer_load_dword v81, off, s[0:3], 0 offset:276
	buffer_load_dword v82, off, s[0:3], 0 offset:272
	s_waitcnt vmcnt(3)
	buffer_store_dword v79, off, s[0:3], 0 offset:272
	s_waitcnt vmcnt(3)
	buffer_store_dword v80, off, s[0:3], 0 offset:276
	s_waitcnt vmcnt(3)
	buffer_store_dword v81, v0, s[0:3], 0 offen offset:4
	s_waitcnt vmcnt(3)
	buffer_store_dword v82, v0, s[0:3], 0 offen
.LBB102_256:
	v_mov_b32_e32 v0, 0
	global_load_dword v79, v0, s[12:13] offset:132
	s_waitcnt vmcnt(0)
	v_add_u32_e32 v79, -1, v79
	v_cmp_eq_u32_e32 vcc, 33, v79
	s_cbranch_vccnz .LBB102_258
; %bb.257:
	v_lshlrev_b32_e32 v79, 3, v79
	buffer_load_dword v80, v79, s[0:3], 0 offen
	buffer_load_dword v81, v79, s[0:3], 0 offen offset:4
	buffer_load_dword v82, off, s[0:3], 0 offset:264
	buffer_load_dword v83, off, s[0:3], 0 offset:268
	s_waitcnt vmcnt(3)
	buffer_store_dword v80, off, s[0:3], 0 offset:264
	s_waitcnt vmcnt(3)
	buffer_store_dword v81, off, s[0:3], 0 offset:268
	s_waitcnt vmcnt(3)
	buffer_store_dword v82, v79, s[0:3], 0 offen
	s_waitcnt vmcnt(3)
	buffer_store_dword v83, v79, s[0:3], 0 offen offset:4
.LBB102_258:
	;; [unrolled: 41-line block ×18, first 2 shown]
	global_load_dword v0, v0, s[12:13]
	s_waitcnt vmcnt(0)
	v_add_u32_e32 v0, -1, v0
	v_cmp_eq_u32_e32 vcc, 0, v0
	s_cbranch_vccnz .LBB102_324
; %bb.323:
	v_lshlrev_b32_e32 v0, 3, v0
	buffer_load_dword v79, v0, s[0:3], 0 offen
	buffer_load_dword v80, v0, s[0:3], 0 offen offset:4
	buffer_load_dword v81, off, s[0:3], 0 offset:4
	buffer_load_dword v82, off, s[0:3], 0
	s_waitcnt vmcnt(3)
	buffer_store_dword v79, off, s[0:3], 0
	s_waitcnt vmcnt(3)
	buffer_store_dword v80, off, s[0:3], 0 offset:4
	s_waitcnt vmcnt(3)
	buffer_store_dword v81, v0, s[0:3], 0 offen offset:4
	s_waitcnt vmcnt(3)
	buffer_store_dword v82, v0, s[0:3], 0 offen
.LBB102_324:
	buffer_load_dword v79, off, s[0:3], 0
	buffer_load_dword v80, off, s[0:3], 0 offset:4
	s_waitcnt vmcnt(0)
	flat_store_dwordx2 v[1:2], v[79:80]
	buffer_load_dword v0, off, s[0:3], 0 offset:8
	s_nop 0
	buffer_load_dword v1, off, s[0:3], 0 offset:12
	s_waitcnt vmcnt(0)
	flat_store_dwordx2 v[3:4], v[0:1]
	buffer_load_dword v0, off, s[0:3], 0 offset:16
	s_nop 0
	;; [unrolled: 5-line block ×38, first 2 shown]
	buffer_load_dword v1, off, s[0:3], 0 offset:308
	s_waitcnt vmcnt(0)
	flat_store_dwordx2 v[77:78], v[0:1]
	s_endpgm
	.section	.rodata,"a",@progbits
	.p2align	6, 0x0
	.amdhsa_kernel _ZN9rocsolver6v33100L18getri_kernel_smallILi39E19rocblas_complex_numIfEPKPS3_EEvT1_iilPiilS8_bb
		.amdhsa_group_segment_fixed_size 632
		.amdhsa_private_segment_fixed_size 320
		.amdhsa_kernarg_size 60
		.amdhsa_user_sgpr_count 6
		.amdhsa_user_sgpr_private_segment_buffer 1
		.amdhsa_user_sgpr_dispatch_ptr 0
		.amdhsa_user_sgpr_queue_ptr 0
		.amdhsa_user_sgpr_kernarg_segment_ptr 1
		.amdhsa_user_sgpr_dispatch_id 0
		.amdhsa_user_sgpr_flat_scratch_init 0
		.amdhsa_user_sgpr_private_segment_size 0
		.amdhsa_uses_dynamic_stack 0
		.amdhsa_system_sgpr_private_segment_wavefront_offset 1
		.amdhsa_system_sgpr_workgroup_id_x 1
		.amdhsa_system_sgpr_workgroup_id_y 0
		.amdhsa_system_sgpr_workgroup_id_z 0
		.amdhsa_system_sgpr_workgroup_info 0
		.amdhsa_system_vgpr_workitem_id 0
		.amdhsa_next_free_vgpr 235
		.amdhsa_next_free_sgpr 21
		.amdhsa_reserve_vcc 1
		.amdhsa_reserve_flat_scratch 0
		.amdhsa_float_round_mode_32 0
		.amdhsa_float_round_mode_16_64 0
		.amdhsa_float_denorm_mode_32 3
		.amdhsa_float_denorm_mode_16_64 3
		.amdhsa_dx10_clamp 1
		.amdhsa_ieee_mode 1
		.amdhsa_fp16_overflow 0
		.amdhsa_exception_fp_ieee_invalid_op 0
		.amdhsa_exception_fp_denorm_src 0
		.amdhsa_exception_fp_ieee_div_zero 0
		.amdhsa_exception_fp_ieee_overflow 0
		.amdhsa_exception_fp_ieee_underflow 0
		.amdhsa_exception_fp_ieee_inexact 0
		.amdhsa_exception_int_div_zero 0
	.end_amdhsa_kernel
	.section	.text._ZN9rocsolver6v33100L18getri_kernel_smallILi39E19rocblas_complex_numIfEPKPS3_EEvT1_iilPiilS8_bb,"axG",@progbits,_ZN9rocsolver6v33100L18getri_kernel_smallILi39E19rocblas_complex_numIfEPKPS3_EEvT1_iilPiilS8_bb,comdat
.Lfunc_end102:
	.size	_ZN9rocsolver6v33100L18getri_kernel_smallILi39E19rocblas_complex_numIfEPKPS3_EEvT1_iilPiilS8_bb, .Lfunc_end102-_ZN9rocsolver6v33100L18getri_kernel_smallILi39E19rocblas_complex_numIfEPKPS3_EEvT1_iilPiilS8_bb
                                        ; -- End function
	.set _ZN9rocsolver6v33100L18getri_kernel_smallILi39E19rocblas_complex_numIfEPKPS3_EEvT1_iilPiilS8_bb.num_vgpr, 235
	.set _ZN9rocsolver6v33100L18getri_kernel_smallILi39E19rocblas_complex_numIfEPKPS3_EEvT1_iilPiilS8_bb.num_agpr, 0
	.set _ZN9rocsolver6v33100L18getri_kernel_smallILi39E19rocblas_complex_numIfEPKPS3_EEvT1_iilPiilS8_bb.numbered_sgpr, 21
	.set _ZN9rocsolver6v33100L18getri_kernel_smallILi39E19rocblas_complex_numIfEPKPS3_EEvT1_iilPiilS8_bb.num_named_barrier, 0
	.set _ZN9rocsolver6v33100L18getri_kernel_smallILi39E19rocblas_complex_numIfEPKPS3_EEvT1_iilPiilS8_bb.private_seg_size, 320
	.set _ZN9rocsolver6v33100L18getri_kernel_smallILi39E19rocblas_complex_numIfEPKPS3_EEvT1_iilPiilS8_bb.uses_vcc, 1
	.set _ZN9rocsolver6v33100L18getri_kernel_smallILi39E19rocblas_complex_numIfEPKPS3_EEvT1_iilPiilS8_bb.uses_flat_scratch, 0
	.set _ZN9rocsolver6v33100L18getri_kernel_smallILi39E19rocblas_complex_numIfEPKPS3_EEvT1_iilPiilS8_bb.has_dyn_sized_stack, 0
	.set _ZN9rocsolver6v33100L18getri_kernel_smallILi39E19rocblas_complex_numIfEPKPS3_EEvT1_iilPiilS8_bb.has_recursion, 0
	.set _ZN9rocsolver6v33100L18getri_kernel_smallILi39E19rocblas_complex_numIfEPKPS3_EEvT1_iilPiilS8_bb.has_indirect_call, 0
	.section	.AMDGPU.csdata,"",@progbits
; Kernel info:
; codeLenInByte = 61548
; TotalNumSgprs: 25
; NumVgprs: 235
; ScratchSize: 320
; MemoryBound: 0
; FloatMode: 240
; IeeeMode: 1
; LDSByteSize: 632 bytes/workgroup (compile time only)
; SGPRBlocks: 3
; VGPRBlocks: 58
; NumSGPRsForWavesPerEU: 25
; NumVGPRsForWavesPerEU: 235
; Occupancy: 1
; WaveLimiterHint : 1
; COMPUTE_PGM_RSRC2:SCRATCH_EN: 1
; COMPUTE_PGM_RSRC2:USER_SGPR: 6
; COMPUTE_PGM_RSRC2:TRAP_HANDLER: 0
; COMPUTE_PGM_RSRC2:TGID_X_EN: 1
; COMPUTE_PGM_RSRC2:TGID_Y_EN: 0
; COMPUTE_PGM_RSRC2:TGID_Z_EN: 0
; COMPUTE_PGM_RSRC2:TIDIG_COMP_CNT: 0
	.section	.text._ZN9rocsolver6v33100L18getri_kernel_smallILi40E19rocblas_complex_numIfEPKPS3_EEvT1_iilPiilS8_bb,"axG",@progbits,_ZN9rocsolver6v33100L18getri_kernel_smallILi40E19rocblas_complex_numIfEPKPS3_EEvT1_iilPiilS8_bb,comdat
	.globl	_ZN9rocsolver6v33100L18getri_kernel_smallILi40E19rocblas_complex_numIfEPKPS3_EEvT1_iilPiilS8_bb ; -- Begin function _ZN9rocsolver6v33100L18getri_kernel_smallILi40E19rocblas_complex_numIfEPKPS3_EEvT1_iilPiilS8_bb
	.p2align	8
	.type	_ZN9rocsolver6v33100L18getri_kernel_smallILi40E19rocblas_complex_numIfEPKPS3_EEvT1_iilPiilS8_bb,@function
_ZN9rocsolver6v33100L18getri_kernel_smallILi40E19rocblas_complex_numIfEPKPS3_EEvT1_iilPiilS8_bb: ; @_ZN9rocsolver6v33100L18getri_kernel_smallILi40E19rocblas_complex_numIfEPKPS3_EEvT1_iilPiilS8_bb
; %bb.0:
	s_add_u32 s0, s0, s7
	s_addc_u32 s1, s1, 0
	v_cmp_gt_u32_e32 vcc, 40, v0
	s_and_saveexec_b64 s[8:9], vcc
	s_cbranch_execz .LBB103_174
; %bb.1:
	s_load_dword s18, s[4:5], 0x38
	s_load_dwordx2 s[12:13], s[4:5], 0x0
	s_load_dwordx4 s[8:11], s[4:5], 0x28
	s_waitcnt lgkmcnt(0)
	s_bitcmp1_b32 s18, 8
	s_cselect_b64 s[14:15], -1, 0
	s_ashr_i32 s7, s6, 31
	s_lshl_b64 s[16:17], s[6:7], 3
	s_add_u32 s12, s12, s16
	s_addc_u32 s13, s13, s17
	s_load_dwordx2 s[16:17], s[12:13], 0x0
	s_bfe_u32 s12, s18, 0x10008
	s_cmp_eq_u32 s12, 0
                                        ; implicit-def: $sgpr12_sgpr13
	s_cbranch_scc1 .LBB103_3
; %bb.2:
	s_load_dword s12, s[4:5], 0x20
	s_load_dwordx2 s[18:19], s[4:5], 0x18
	s_mul_i32 s13, s8, s7
	s_mul_hi_u32 s20, s8, s6
	s_add_i32 s20, s20, s13
	s_mul_i32 s9, s9, s6
	s_add_i32 s9, s20, s9
	s_mul_i32 s8, s8, s6
	s_waitcnt lgkmcnt(0)
	s_ashr_i32 s13, s12, 31
	s_lshl_b64 s[8:9], s[8:9], 2
	s_add_u32 s18, s18, s8
	s_addc_u32 s19, s19, s9
	s_lshl_b64 s[8:9], s[12:13], 2
	s_add_u32 s12, s18, s8
	s_addc_u32 s13, s19, s9
.LBB103_3:
	s_load_dwordx2 s[8:9], s[4:5], 0x8
	s_load_dword s18, s[4:5], 0x38
	v_lshlrev_b32_e32 v83, 3, v0
	s_waitcnt lgkmcnt(0)
	s_ashr_i32 s5, s8, 31
	s_mov_b32 s4, s8
	s_lshl_b64 s[4:5], s[4:5], 3
	s_add_u32 s4, s16, s4
	s_addc_u32 s5, s17, s5
	v_mov_b32_e32 v2, s5
	v_add_co_u32_e32 v1, vcc, s4, v83
	v_addc_co_u32_e32 v2, vcc, 0, v2, vcc
	flat_load_dwordx2 v[5:6], v[1:2]
	s_mov_b32 s16, s9
	s_ashr_i32 s17, s9, 31
	s_lshl_b64 s[16:17], s[16:17], 3
	v_mov_b32_e32 v4, s17
	v_add_co_u32_e32 v3, vcc, s16, v1
	v_addc_co_u32_e32 v4, vcc, v2, v4, vcc
	s_add_i32 s8, s9, s9
	v_add_u32_e32 v9, s8, v0
	v_ashrrev_i32_e32 v10, 31, v9
	v_mov_b32_e32 v11, s5
	v_add_u32_e32 v12, s9, v9
	v_ashrrev_i32_e32 v13, 31, v12
	v_mov_b32_e32 v14, s5
	v_mov_b32_e32 v15, s5
	;; [unrolled: 1-line block ×36, first 2 shown]
	s_bitcmp0_b32 s18, 0
	s_waitcnt vmcnt(0) lgkmcnt(0)
	buffer_store_dword v6, off, s[0:3], 0 offset:4
	buffer_store_dword v5, off, s[0:3], 0
	flat_load_dwordx2 v[7:8], v[3:4]
	v_lshlrev_b64 v[5:6], 3, v[9:10]
	s_waitcnt vmcnt(0) lgkmcnt(0)
	buffer_store_dword v8, off, s[0:3], 0 offset:12
	buffer_store_dword v7, off, s[0:3], 0 offset:8
	v_add_co_u32_e32 v5, vcc, s4, v5
	v_addc_co_u32_e32 v6, vcc, v11, v6, vcc
	flat_load_dwordx2 v[10:11], v[5:6]
	v_lshlrev_b64 v[7:8], 3, v[12:13]
	s_waitcnt vmcnt(0) lgkmcnt(0)
	buffer_store_dword v11, off, s[0:3], 0 offset:20
	buffer_store_dword v10, off, s[0:3], 0 offset:16
	v_add_co_u32_e32 v7, vcc, s4, v7
	v_addc_co_u32_e32 v8, vcc, v14, v8, vcc
	flat_load_dwordx2 v[13:14], v[7:8]
	v_add_u32_e32 v11, s9, v12
	v_ashrrev_i32_e32 v12, 31, v11
	v_lshlrev_b64 v[9:10], 3, v[11:12]
	s_waitcnt vmcnt(0) lgkmcnt(0)
	buffer_store_dword v14, off, s[0:3], 0 offset:28
	buffer_store_dword v13, off, s[0:3], 0 offset:24
	v_add_co_u32_e32 v9, vcc, s4, v9
	v_addc_co_u32_e32 v10, vcc, v15, v10, vcc
	flat_load_dwordx2 v[13:14], v[9:10]
	v_add_u32_e32 v15, s9, v11
	v_ashrrev_i32_e32 v16, 31, v15
	v_lshlrev_b64 v[11:12], 3, v[15:16]
	v_add_u32_e32 v18, s9, v15
	v_add_co_u32_e32 v11, vcc, s4, v11
	v_addc_co_u32_e32 v12, vcc, v17, v12, vcc
	v_ashrrev_i32_e32 v19, 31, v18
	s_waitcnt vmcnt(0) lgkmcnt(0)
	buffer_store_dword v14, off, s[0:3], 0 offset:36
	buffer_store_dword v13, off, s[0:3], 0 offset:32
	flat_load_dwordx2 v[16:17], v[11:12]
	v_lshlrev_b64 v[13:14], 3, v[18:19]
	s_waitcnt vmcnt(0) lgkmcnt(0)
	buffer_store_dword v17, off, s[0:3], 0 offset:44
	buffer_store_dword v16, off, s[0:3], 0 offset:40
	v_add_co_u32_e32 v13, vcc, s4, v13
	v_addc_co_u32_e32 v14, vcc, v20, v14, vcc
	flat_load_dwordx2 v[19:20], v[13:14]
	v_add_u32_e32 v17, s9, v18
	v_ashrrev_i32_e32 v18, 31, v17
	v_lshlrev_b64 v[15:16], 3, v[17:18]
	s_waitcnt vmcnt(0) lgkmcnt(0)
	buffer_store_dword v20, off, s[0:3], 0 offset:52
	buffer_store_dword v19, off, s[0:3], 0 offset:48
	v_add_co_u32_e32 v15, vcc, s4, v15
	v_addc_co_u32_e32 v16, vcc, v21, v16, vcc
	flat_load_dwordx2 v[19:20], v[15:16]
	v_add_u32_e32 v21, s9, v17
	v_ashrrev_i32_e32 v22, 31, v21
	v_lshlrev_b64 v[17:18], 3, v[21:22]
	v_add_u32_e32 v24, s9, v21
	v_add_co_u32_e32 v17, vcc, s4, v17
	v_addc_co_u32_e32 v18, vcc, v23, v18, vcc
	v_ashrrev_i32_e32 v25, 31, v24
	s_waitcnt vmcnt(0) lgkmcnt(0)
	buffer_store_dword v20, off, s[0:3], 0 offset:60
	buffer_store_dword v19, off, s[0:3], 0 offset:56
	;; [unrolled: 27-line block ×7, first 2 shown]
	flat_load_dwordx2 v[52:53], v[47:48]
	v_lshlrev_b64 v[49:50], 3, v[54:55]
	s_waitcnt vmcnt(0) lgkmcnt(0)
	buffer_store_dword v53, off, s[0:3], 0 offset:188
	buffer_store_dword v52, off, s[0:3], 0 offset:184
	v_add_co_u32_e32 v49, vcc, s4, v49
	v_addc_co_u32_e32 v50, vcc, v56, v50, vcc
	flat_load_dwordx2 v[55:56], v[49:50]
	v_add_u32_e32 v53, s9, v54
	v_ashrrev_i32_e32 v54, 31, v53
	v_lshlrev_b64 v[51:52], 3, v[53:54]
	s_waitcnt vmcnt(0) lgkmcnt(0)
	buffer_store_dword v56, off, s[0:3], 0 offset:196
	buffer_store_dword v55, off, s[0:3], 0 offset:192
	v_add_co_u32_e32 v51, vcc, s4, v51
	v_addc_co_u32_e32 v52, vcc, v57, v52, vcc
	flat_load_dwordx2 v[55:56], v[51:52]
	v_add_u32_e32 v57, s9, v53
	v_ashrrev_i32_e32 v58, 31, v57
	v_lshlrev_b64 v[53:54], 3, v[57:58]
	v_add_u32_e32 v60, s9, v57
	v_add_co_u32_e32 v53, vcc, s4, v53
	v_addc_co_u32_e32 v54, vcc, v59, v54, vcc
	s_waitcnt vmcnt(0) lgkmcnt(0)
	buffer_store_dword v56, off, s[0:3], 0 offset:204
	buffer_store_dword v55, off, s[0:3], 0 offset:200
	flat_load_dwordx2 v[58:59], v[53:54]
	v_ashrrev_i32_e32 v61, 31, v60
	v_lshlrev_b64 v[55:56], 3, v[60:61]
	s_waitcnt vmcnt(0) lgkmcnt(0)
	buffer_store_dword v59, off, s[0:3], 0 offset:212
	buffer_store_dword v58, off, s[0:3], 0 offset:208
	v_add_co_u32_e32 v55, vcc, s4, v55
	v_addc_co_u32_e32 v56, vcc, v62, v56, vcc
	flat_load_dwordx2 v[61:62], v[55:56]
	v_add_u32_e32 v59, s9, v60
	v_ashrrev_i32_e32 v60, 31, v59
	v_lshlrev_b64 v[57:58], 3, v[59:60]
	s_waitcnt vmcnt(0) lgkmcnt(0)
	buffer_store_dword v62, off, s[0:3], 0 offset:220
	buffer_store_dword v61, off, s[0:3], 0 offset:216
	v_add_co_u32_e32 v57, vcc, s4, v57
	v_addc_co_u32_e32 v58, vcc, v63, v58, vcc
	flat_load_dwordx2 v[61:62], v[57:58]
	v_add_u32_e32 v63, s9, v59
	v_ashrrev_i32_e32 v64, 31, v63
	v_lshlrev_b64 v[59:60], 3, v[63:64]
	s_waitcnt vmcnt(0) lgkmcnt(0)
	buffer_store_dword v62, off, s[0:3], 0 offset:228
	buffer_store_dword v61, off, s[0:3], 0 offset:224
	v_add_co_u32_e32 v59, vcc, s4, v59
	v_addc_co_u32_e32 v60, vcc, v65, v60, vcc
	flat_load_dwordx2 v[64:65], v[59:60]
	v_add_u32_e32 v66, s9, v63
	v_ashrrev_i32_e32 v67, 31, v66
	v_lshlrev_b64 v[61:62], 3, v[66:67]
	s_waitcnt vmcnt(0) lgkmcnt(0)
	buffer_store_dword v65, off, s[0:3], 0 offset:236
	buffer_store_dword v64, off, s[0:3], 0 offset:232
	v_add_co_u32_e32 v61, vcc, s4, v61
	v_addc_co_u32_e32 v62, vcc, v68, v62, vcc
	flat_load_dwordx2 v[67:68], v[61:62]
	v_add_u32_e32 v65, s9, v66
	v_ashrrev_i32_e32 v66, 31, v65
	v_lshlrev_b64 v[63:64], 3, v[65:66]
	s_waitcnt vmcnt(0) lgkmcnt(0)
	buffer_store_dword v68, off, s[0:3], 0 offset:244
	buffer_store_dword v67, off, s[0:3], 0 offset:240
	v_add_co_u32_e32 v63, vcc, s4, v63
	v_addc_co_u32_e32 v64, vcc, v69, v64, vcc
	flat_load_dwordx2 v[67:68], v[63:64]
	v_add_u32_e32 v69, s9, v65
	v_ashrrev_i32_e32 v70, 31, v69
	v_lshlrev_b64 v[65:66], 3, v[69:70]
	s_waitcnt vmcnt(0) lgkmcnt(0)
	buffer_store_dword v68, off, s[0:3], 0 offset:252
	buffer_store_dword v67, off, s[0:3], 0 offset:248
	v_add_co_u32_e32 v65, vcc, s4, v65
	v_addc_co_u32_e32 v66, vcc, v71, v66, vcc
	flat_load_dwordx2 v[70:71], v[65:66]
	v_add_u32_e32 v72, s9, v69
	v_ashrrev_i32_e32 v73, 31, v72
	v_lshlrev_b64 v[67:68], 3, v[72:73]
	s_waitcnt vmcnt(0) lgkmcnt(0)
	buffer_store_dword v71, off, s[0:3], 0 offset:260
	buffer_store_dword v70, off, s[0:3], 0 offset:256
	v_add_co_u32_e32 v67, vcc, s4, v67
	v_addc_co_u32_e32 v68, vcc, v74, v68, vcc
	flat_load_dwordx2 v[73:74], v[67:68]
	v_add_u32_e32 v71, s9, v72
	v_ashrrev_i32_e32 v72, 31, v71
	v_lshlrev_b64 v[69:70], 3, v[71:72]
	s_waitcnt vmcnt(0) lgkmcnt(0)
	buffer_store_dword v74, off, s[0:3], 0 offset:268
	buffer_store_dword v73, off, s[0:3], 0 offset:264
	v_add_co_u32_e32 v69, vcc, s4, v69
	v_addc_co_u32_e32 v70, vcc, v75, v70, vcc
	flat_load_dwordx2 v[73:74], v[69:70]
	v_add_u32_e32 v75, s9, v71
	v_ashrrev_i32_e32 v76, 31, v75
	v_lshlrev_b64 v[71:72], 3, v[75:76]
	s_waitcnt vmcnt(0) lgkmcnt(0)
	buffer_store_dword v74, off, s[0:3], 0 offset:276
	buffer_store_dword v73, off, s[0:3], 0 offset:272
	v_add_co_u32_e32 v71, vcc, s4, v71
	v_addc_co_u32_e32 v72, vcc, v77, v72, vcc
	flat_load_dwordx2 v[76:77], v[71:72]
	v_add_u32_e32 v78, s9, v75
	v_ashrrev_i32_e32 v79, 31, v78
	v_lshlrev_b64 v[73:74], 3, v[78:79]
	s_waitcnt vmcnt(0) lgkmcnt(0)
	buffer_store_dword v77, off, s[0:3], 0 offset:284
	buffer_store_dword v76, off, s[0:3], 0 offset:280
	v_add_co_u32_e32 v73, vcc, s4, v73
	v_addc_co_u32_e32 v74, vcc, v80, v74, vcc
	flat_load_dwordx2 v[79:80], v[73:74]
	v_add_u32_e32 v77, s9, v78
	v_ashrrev_i32_e32 v78, 31, v77
	v_lshlrev_b64 v[75:76], 3, v[77:78]
	s_waitcnt vmcnt(0) lgkmcnt(0)
	buffer_store_dword v80, off, s[0:3], 0 offset:292
	buffer_store_dword v79, off, s[0:3], 0 offset:288
	v_add_co_u32_e32 v75, vcc, s4, v75
	v_addc_co_u32_e32 v76, vcc, v81, v76, vcc
	flat_load_dwordx2 v[79:80], v[75:76]
	v_add_u32_e32 v81, s9, v77
	v_ashrrev_i32_e32 v82, 31, v81
	v_lshlrev_b64 v[77:78], 3, v[81:82]
	s_waitcnt vmcnt(0) lgkmcnt(0)
	buffer_store_dword v80, off, s[0:3], 0 offset:300
	buffer_store_dword v79, off, s[0:3], 0 offset:296
	v_add_co_u32_e32 v77, vcc, s4, v77
	v_addc_co_u32_e32 v78, vcc, v84, v78, vcc
	flat_load_dwordx2 v[84:85], v[77:78]
	v_add_u32_e32 v79, s9, v81
	v_ashrrev_i32_e32 v80, 31, v79
	v_lshlrev_b64 v[79:80], 3, v[79:80]
	v_mov_b32_e32 v82, s5
	v_add_co_u32_e32 v79, vcc, s4, v79
	v_addc_co_u32_e32 v80, vcc, v82, v80, vcc
	s_waitcnt vmcnt(0) lgkmcnt(0)
	buffer_store_dword v85, off, s[0:3], 0 offset:308
	buffer_store_dword v84, off, s[0:3], 0 offset:304
	flat_load_dwordx2 v[81:82], v[79:80]
	s_mov_b64 s[8:9], -1
	s_waitcnt vmcnt(0) lgkmcnt(0)
	buffer_store_dword v82, off, s[0:3], 0 offset:316
	buffer_store_dword v81, off, s[0:3], 0 offset:312
	s_cbranch_scc1 .LBB103_172
; %bb.4:
	v_cmp_eq_u32_e64 s[4:5], 0, v0
	s_and_saveexec_b64 s[8:9], s[4:5]
; %bb.5:
	v_mov_b32_e32 v81, 0
	ds_write_b32 v81, v81 offset:640
; %bb.6:
	s_or_b64 exec, exec, s[8:9]
	v_mov_b32_e32 v81, 0
	v_lshl_add_u32 v85, v0, 3, v81
	s_waitcnt lgkmcnt(0)
	; wave barrier
	buffer_load_dword v81, v85, s[0:3], 0 offen
	buffer_load_dword v82, v85, s[0:3], 0 offen offset:4
	s_waitcnt vmcnt(1)
	v_cmp_eq_f32_e32 vcc, 0, v81
	s_waitcnt vmcnt(0)
	v_cmp_eq_f32_e64 s[8:9], 0, v82
	s_and_b64 s[8:9], vcc, s[8:9]
	s_and_saveexec_b64 s[16:17], s[8:9]
	s_cbranch_execz .LBB103_10
; %bb.7:
	v_mov_b32_e32 v81, 0
	ds_read_b32 v84, v81 offset:640
	v_add_u32_e32 v82, 1, v0
	s_waitcnt lgkmcnt(0)
	v_readfirstlane_b32 s8, v84
	s_cmp_eq_u32 s8, 0
	s_cselect_b64 s[18:19], -1, 0
	v_cmp_gt_i32_e32 vcc, s8, v82
	s_or_b64 s[18:19], s[18:19], vcc
	s_and_b64 exec, exec, s[18:19]
	s_cbranch_execz .LBB103_10
; %bb.8:
	s_mov_b64 s[18:19], 0
	v_mov_b32_e32 v84, s8
.LBB103_9:                              ; =>This Inner Loop Header: Depth=1
	ds_cmpst_rtn_b32 v84, v81, v84, v82 offset:640
	s_waitcnt lgkmcnt(0)
	v_cmp_ne_u32_e32 vcc, 0, v84
	v_cmp_le_i32_e64 s[8:9], v84, v82
	s_and_b64 s[8:9], vcc, s[8:9]
	s_and_b64 s[8:9], exec, s[8:9]
	s_or_b64 s[18:19], s[8:9], s[18:19]
	s_andn2_b64 exec, exec, s[18:19]
	s_cbranch_execnz .LBB103_9
.LBB103_10:
	s_or_b64 exec, exec, s[16:17]
	v_mov_b32_e32 v82, 0
	; wave barrier
	ds_read_b32 v81, v82 offset:640
	s_and_saveexec_b64 s[8:9], s[4:5]
	s_cbranch_execz .LBB103_12
; %bb.11:
	s_lshl_b64 s[16:17], s[6:7], 2
	s_add_u32 s16, s10, s16
	s_addc_u32 s17, s11, s17
	s_waitcnt lgkmcnt(0)
	global_store_dword v82, v81, s[16:17]
.LBB103_12:
	s_or_b64 exec, exec, s[8:9]
	s_waitcnt lgkmcnt(0)
	v_cmp_ne_u32_e32 vcc, 0, v81
	s_mov_b64 s[8:9], 0
	s_cbranch_vccnz .LBB103_172
; %bb.13:
	buffer_load_dword v82, v85, s[0:3], 0 offen
	buffer_load_dword v84, v85, s[0:3], 0 offen offset:4
                                        ; implicit-def: $vgpr87
                                        ; implicit-def: $vgpr86
                                        ; implicit-def: $vgpr81
	s_waitcnt vmcnt(0)
	v_cmp_ngt_f32_e64 s[8:9], |v82|, |v84|
	s_and_saveexec_b64 s[16:17], s[8:9]
	s_xor_b64 s[8:9], exec, s[16:17]
	s_cbranch_execz .LBB103_15
; %bb.14:
	v_div_scale_f32 v81, s[16:17], v84, v84, v82
	v_div_scale_f32 v86, vcc, v82, v84, v82
	v_rcp_f32_e32 v87, v81
	v_fma_f32 v88, -v81, v87, 1.0
	v_fmac_f32_e32 v87, v88, v87
	v_mul_f32_e32 v88, v86, v87
	v_fma_f32 v89, -v81, v88, v86
	v_fmac_f32_e32 v88, v89, v87
	v_fma_f32 v81, -v81, v88, v86
	v_div_fmas_f32 v81, v81, v87, v88
	v_div_fixup_f32 v81, v81, v84, v82
	v_fmac_f32_e32 v84, v82, v81
	v_div_scale_f32 v82, s[16:17], v84, v84, 1.0
	v_div_scale_f32 v86, vcc, 1.0, v84, 1.0
	v_rcp_f32_e32 v87, v82
	v_fma_f32 v88, -v82, v87, 1.0
	v_fmac_f32_e32 v87, v88, v87
	v_mul_f32_e32 v88, v86, v87
	v_fma_f32 v89, -v82, v88, v86
	v_fmac_f32_e32 v88, v89, v87
	v_fma_f32 v82, -v82, v88, v86
	v_div_fmas_f32 v82, v82, v87, v88
	v_div_fixup_f32 v82, v82, v84, 1.0
	v_mul_f32_e32 v87, v81, v82
	v_xor_b32_e32 v86, 0x80000000, v82
	v_xor_b32_e32 v81, 0x80000000, v87
                                        ; implicit-def: $vgpr82
                                        ; implicit-def: $vgpr84
.LBB103_15:
	s_andn2_saveexec_b64 s[8:9], s[8:9]
	s_cbranch_execz .LBB103_17
; %bb.16:
	v_div_scale_f32 v81, s[16:17], v82, v82, v84
	v_div_scale_f32 v86, vcc, v84, v82, v84
	v_rcp_f32_e32 v87, v81
	v_fma_f32 v88, -v81, v87, 1.0
	v_fmac_f32_e32 v87, v88, v87
	v_mul_f32_e32 v88, v86, v87
	v_fma_f32 v89, -v81, v88, v86
	v_fmac_f32_e32 v88, v89, v87
	v_fma_f32 v81, -v81, v88, v86
	v_div_fmas_f32 v81, v81, v87, v88
	v_div_fixup_f32 v86, v81, v82, v84
	v_fmac_f32_e32 v82, v84, v86
	v_div_scale_f32 v81, s[16:17], v82, v82, 1.0
	v_div_scale_f32 v84, vcc, 1.0, v82, 1.0
	v_rcp_f32_e32 v87, v81
	v_fma_f32 v88, -v81, v87, 1.0
	v_fmac_f32_e32 v87, v88, v87
	v_mul_f32_e32 v88, v84, v87
	v_fma_f32 v89, -v81, v88, v84
	v_fmac_f32_e32 v88, v89, v87
	v_fma_f32 v81, -v81, v88, v84
	v_div_fmas_f32 v81, v81, v87, v88
	v_div_fixup_f32 v87, v81, v82, 1.0
	v_xor_b32_e32 v81, 0x80000000, v87
	v_mul_f32_e64 v86, v86, -v87
.LBB103_17:
	s_or_b64 exec, exec, s[8:9]
	buffer_store_dword v87, v85, s[0:3], 0 offen
	buffer_store_dword v86, v85, s[0:3], 0 offen offset:4
	buffer_load_dword v88, off, s[0:3], 0 offset:12
	s_nop 0
	buffer_load_dword v87, off, s[0:3], 0 offset:8
	v_xor_b32_e32 v82, 0x80000000, v86
	v_add_u32_e32 v84, 0x140, v83
	s_waitcnt vmcnt(0)
	ds_write2_b64 v83, v[81:82], v[87:88] offset1:40
	s_waitcnt lgkmcnt(0)
	; wave barrier
	s_and_saveexec_b64 s[8:9], s[4:5]
	s_cbranch_execz .LBB103_19
; %bb.18:
	buffer_load_dword v88, v85, s[0:3], 0 offen offset:4
	buffer_load_dword v89, v85, s[0:3], 0 offen
	ds_read_b64 v[81:82], v84
	v_mov_b32_e32 v86, 0
	ds_read_b64 v[86:87], v86 offset:8
	s_waitcnt vmcnt(1) lgkmcnt(1)
	v_mul_f32_e32 v90, v82, v88
	v_mul_f32_e32 v88, v81, v88
	s_waitcnt vmcnt(0)
	v_fmac_f32_e32 v88, v82, v89
	v_fma_f32 v81, v81, v89, -v90
	v_add_f32_e32 v82, 0, v88
	v_add_f32_e32 v81, 0, v81
	s_waitcnt lgkmcnt(0)
	v_mul_f32_e32 v88, v82, v87
	v_mul_f32_e32 v87, v81, v87
	v_fma_f32 v81, v81, v86, -v88
	v_fmac_f32_e32 v87, v82, v86
	buffer_store_dword v81, off, s[0:3], 0 offset:8
	buffer_store_dword v87, off, s[0:3], 0 offset:12
.LBB103_19:
	s_or_b64 exec, exec, s[8:9]
	; wave barrier
	buffer_load_dword v81, off, s[0:3], 0 offset:16
	buffer_load_dword v82, off, s[0:3], 0 offset:20
	v_cmp_gt_u32_e32 vcc, 2, v0
	s_waitcnt vmcnt(0)
	ds_write_b64 v84, v[81:82]
	s_waitcnt lgkmcnt(0)
	; wave barrier
	s_and_saveexec_b64 s[8:9], vcc
	s_cbranch_execz .LBB103_23
; %bb.20:
	buffer_load_dword v86, v85, s[0:3], 0 offen offset:4
	buffer_load_dword v87, v85, s[0:3], 0 offen
	ds_read_b64 v[81:82], v84
	s_waitcnt vmcnt(1) lgkmcnt(0)
	v_mul_f32_e32 v85, v82, v86
	v_mul_f32_e32 v86, v81, v86
	s_waitcnt vmcnt(0)
	v_fma_f32 v81, v81, v87, -v85
	v_fmac_f32_e32 v86, v82, v87
	v_add_f32_e32 v82, 0, v81
	v_add_f32_e32 v81, 0, v86
	s_and_saveexec_b64 s[16:17], s[4:5]
	s_cbranch_execz .LBB103_22
; %bb.21:
	buffer_load_dword v87, off, s[0:3], 0 offset:12
	buffer_load_dword v88, off, s[0:3], 0 offset:8
	v_mov_b32_e32 v85, 0
	ds_read_b64 v[85:86], v85 offset:328
	s_waitcnt vmcnt(1) lgkmcnt(0)
	v_mul_f32_e32 v89, v85, v87
	v_mul_f32_e32 v87, v86, v87
	s_waitcnt vmcnt(0)
	v_fmac_f32_e32 v89, v86, v88
	v_fma_f32 v85, v85, v88, -v87
	v_add_f32_e32 v81, v81, v89
	v_add_f32_e32 v82, v82, v85
.LBB103_22:
	s_or_b64 exec, exec, s[16:17]
	v_mov_b32_e32 v85, 0
	ds_read_b64 v[85:86], v85 offset:16
	s_waitcnt lgkmcnt(0)
	v_mul_f32_e32 v87, v81, v86
	v_mul_f32_e32 v86, v82, v86
	v_fma_f32 v82, v82, v85, -v87
	v_fmac_f32_e32 v86, v81, v85
	buffer_store_dword v82, off, s[0:3], 0 offset:16
	buffer_store_dword v86, off, s[0:3], 0 offset:20
.LBB103_23:
	s_or_b64 exec, exec, s[8:9]
	; wave barrier
	buffer_load_dword v81, off, s[0:3], 0 offset:24
	buffer_load_dword v82, off, s[0:3], 0 offset:28
	v_cmp_gt_u32_e32 vcc, 3, v0
	s_waitcnt vmcnt(0)
	ds_write_b64 v84, v[81:82]
	v_add_u32_e32 v81, -1, v0
	s_waitcnt lgkmcnt(0)
	; wave barrier
	s_and_saveexec_b64 s[4:5], vcc
	s_cbranch_execz .LBB103_27
; %bb.24:
	v_add_u32_e32 v85, -1, v0
	v_add_u32_e32 v86, 0x140, v83
	v_mov_b32_e32 v87, v83
	v_mov_b32_e32 v82, 0
	s_mov_b64 s[8:9], 0
	v_mov_b32_e32 v88, 0
.LBB103_25:                             ; =>This Inner Loop Header: Depth=1
	buffer_load_dword v91, v87, s[0:3], 0 offen offset:4
	buffer_load_dword v92, v87, s[0:3], 0 offen
	ds_read_b64 v[89:90], v86
	v_add_u32_e32 v85, 1, v85
	v_cmp_lt_u32_e32 vcc, 1, v85
	v_add_u32_e32 v86, 8, v86
	v_add_u32_e32 v87, 8, v87
	s_or_b64 s[8:9], vcc, s[8:9]
	s_waitcnt vmcnt(1) lgkmcnt(0)
	v_mul_f32_e32 v93, v90, v91
	v_mul_f32_e32 v91, v89, v91
	s_waitcnt vmcnt(0)
	v_fma_f32 v89, v89, v92, -v93
	v_fmac_f32_e32 v91, v90, v92
	v_add_f32_e32 v88, v88, v89
	v_add_f32_e32 v82, v82, v91
	s_andn2_b64 exec, exec, s[8:9]
	s_cbranch_execnz .LBB103_25
; %bb.26:
	s_or_b64 exec, exec, s[8:9]
	v_mov_b32_e32 v85, 0
	ds_read_b64 v[85:86], v85 offset:24
	s_waitcnt lgkmcnt(0)
	v_mul_f32_e32 v87, v82, v86
	v_mul_f32_e32 v86, v88, v86
	v_fma_f32 v87, v88, v85, -v87
	v_fmac_f32_e32 v86, v82, v85
	buffer_store_dword v87, off, s[0:3], 0 offset:24
	buffer_store_dword v86, off, s[0:3], 0 offset:28
.LBB103_27:
	s_or_b64 exec, exec, s[4:5]
	; wave barrier
	buffer_load_dword v85, off, s[0:3], 0 offset:32
	buffer_load_dword v86, off, s[0:3], 0 offset:36
	v_cmp_gt_u32_e32 vcc, 4, v0
	s_waitcnt vmcnt(0)
	ds_write_b64 v84, v[85:86]
	s_waitcnt lgkmcnt(0)
	; wave barrier
	s_and_saveexec_b64 s[4:5], vcc
	s_cbranch_execz .LBB103_31
; %bb.28:
	v_add_u32_e32 v85, -1, v0
	v_add_u32_e32 v86, 0x140, v83
	v_mov_b32_e32 v87, v83
	v_mov_b32_e32 v82, 0
	s_mov_b64 s[8:9], 0
	v_mov_b32_e32 v88, 0
.LBB103_29:                             ; =>This Inner Loop Header: Depth=1
	buffer_load_dword v91, v87, s[0:3], 0 offen offset:4
	buffer_load_dword v92, v87, s[0:3], 0 offen
	ds_read_b64 v[89:90], v86
	v_add_u32_e32 v85, 1, v85
	v_cmp_lt_u32_e32 vcc, 2, v85
	v_add_u32_e32 v86, 8, v86
	v_add_u32_e32 v87, 8, v87
	s_or_b64 s[8:9], vcc, s[8:9]
	s_waitcnt vmcnt(1) lgkmcnt(0)
	v_mul_f32_e32 v93, v90, v91
	v_mul_f32_e32 v91, v89, v91
	s_waitcnt vmcnt(0)
	v_fma_f32 v89, v89, v92, -v93
	v_fmac_f32_e32 v91, v90, v92
	v_add_f32_e32 v88, v88, v89
	v_add_f32_e32 v82, v82, v91
	s_andn2_b64 exec, exec, s[8:9]
	s_cbranch_execnz .LBB103_29
; %bb.30:
	s_or_b64 exec, exec, s[8:9]
	v_mov_b32_e32 v85, 0
	ds_read_b64 v[85:86], v85 offset:32
	s_waitcnt lgkmcnt(0)
	v_mul_f32_e32 v87, v82, v86
	v_mul_f32_e32 v86, v88, v86
	v_fma_f32 v87, v88, v85, -v87
	v_fmac_f32_e32 v86, v82, v85
	buffer_store_dword v87, off, s[0:3], 0 offset:32
	buffer_store_dword v86, off, s[0:3], 0 offset:36
.LBB103_31:
	s_or_b64 exec, exec, s[4:5]
	; wave barrier
	buffer_load_dword v85, off, s[0:3], 0 offset:40
	buffer_load_dword v86, off, s[0:3], 0 offset:44
	v_cmp_gt_u32_e32 vcc, 5, v0
	s_waitcnt vmcnt(0)
	ds_write_b64 v84, v[85:86]
	;; [unrolled: 49-line block ×19, first 2 shown]
	s_waitcnt lgkmcnt(0)
	; wave barrier
	s_and_saveexec_b64 s[4:5], vcc
	s_cbranch_execz .LBB103_103
; %bb.100:
	v_add_u32_e32 v85, -1, v0
	v_add_u32_e32 v86, 0x140, v83
	v_mov_b32_e32 v87, v83
	v_mov_b32_e32 v82, 0
	s_mov_b64 s[8:9], 0
	v_mov_b32_e32 v88, 0
.LBB103_101:                            ; =>This Inner Loop Header: Depth=1
	buffer_load_dword v91, v87, s[0:3], 0 offen offset:4
	buffer_load_dword v92, v87, s[0:3], 0 offen
	ds_read_b64 v[89:90], v86
	v_add_u32_e32 v85, 1, v85
	v_cmp_lt_u32_e32 vcc, 20, v85
	v_add_u32_e32 v86, 8, v86
	v_add_u32_e32 v87, 8, v87
	s_or_b64 s[8:9], vcc, s[8:9]
	s_waitcnt vmcnt(1) lgkmcnt(0)
	v_mul_f32_e32 v93, v90, v91
	v_mul_f32_e32 v91, v89, v91
	s_waitcnt vmcnt(0)
	v_fma_f32 v89, v89, v92, -v93
	v_fmac_f32_e32 v91, v90, v92
	v_add_f32_e32 v88, v88, v89
	v_add_f32_e32 v82, v82, v91
	s_andn2_b64 exec, exec, s[8:9]
	s_cbranch_execnz .LBB103_101
; %bb.102:
	s_or_b64 exec, exec, s[8:9]
	v_mov_b32_e32 v85, 0
	ds_read_b64 v[85:86], v85 offset:176
	s_waitcnt lgkmcnt(0)
	v_mul_f32_e32 v87, v82, v86
	v_mul_f32_e32 v86, v88, v86
	v_fma_f32 v87, v88, v85, -v87
	v_fmac_f32_e32 v86, v82, v85
	buffer_store_dword v87, off, s[0:3], 0 offset:176
	buffer_store_dword v86, off, s[0:3], 0 offset:180
.LBB103_103:
	s_or_b64 exec, exec, s[4:5]
	; wave barrier
	buffer_load_dword v85, off, s[0:3], 0 offset:184
	buffer_load_dword v86, off, s[0:3], 0 offset:188
	v_cmp_gt_u32_e32 vcc, 23, v0
	s_waitcnt vmcnt(0)
	ds_write_b64 v84, v[85:86]
	s_waitcnt lgkmcnt(0)
	; wave barrier
	s_and_saveexec_b64 s[4:5], vcc
	s_cbranch_execz .LBB103_107
; %bb.104:
	v_add_u32_e32 v85, -1, v0
	v_add_u32_e32 v86, 0x140, v83
	v_mov_b32_e32 v87, v83
	v_mov_b32_e32 v82, 0
	s_mov_b64 s[8:9], 0
	v_mov_b32_e32 v88, 0
.LBB103_105:                            ; =>This Inner Loop Header: Depth=1
	buffer_load_dword v91, v87, s[0:3], 0 offen offset:4
	buffer_load_dword v92, v87, s[0:3], 0 offen
	ds_read_b64 v[89:90], v86
	v_add_u32_e32 v85, 1, v85
	v_cmp_lt_u32_e32 vcc, 21, v85
	v_add_u32_e32 v86, 8, v86
	v_add_u32_e32 v87, 8, v87
	s_or_b64 s[8:9], vcc, s[8:9]
	s_waitcnt vmcnt(1) lgkmcnt(0)
	v_mul_f32_e32 v93, v90, v91
	v_mul_f32_e32 v91, v89, v91
	s_waitcnt vmcnt(0)
	v_fma_f32 v89, v89, v92, -v93
	v_fmac_f32_e32 v91, v90, v92
	v_add_f32_e32 v88, v88, v89
	v_add_f32_e32 v82, v82, v91
	s_andn2_b64 exec, exec, s[8:9]
	s_cbranch_execnz .LBB103_105
; %bb.106:
	s_or_b64 exec, exec, s[8:9]
	v_mov_b32_e32 v85, 0
	ds_read_b64 v[85:86], v85 offset:184
	s_waitcnt lgkmcnt(0)
	v_mul_f32_e32 v87, v82, v86
	v_mul_f32_e32 v86, v88, v86
	v_fma_f32 v87, v88, v85, -v87
	v_fmac_f32_e32 v86, v82, v85
	buffer_store_dword v87, off, s[0:3], 0 offset:184
	buffer_store_dword v86, off, s[0:3], 0 offset:188
.LBB103_107:
	s_or_b64 exec, exec, s[4:5]
	; wave barrier
	buffer_load_dword v85, off, s[0:3], 0 offset:192
	buffer_load_dword v86, off, s[0:3], 0 offset:196
	v_cmp_gt_u32_e32 vcc, 24, v0
	s_waitcnt vmcnt(0)
	ds_write_b64 v84, v[85:86]
	;; [unrolled: 49-line block ×16, first 2 shown]
	s_waitcnt lgkmcnt(0)
	; wave barrier
	s_and_saveexec_b64 s[4:5], vcc
	s_cbranch_execz .LBB103_167
; %bb.164:
	v_add_u32_e32 v85, -1, v0
	v_add_u32_e32 v86, 0x140, v83
	v_mov_b32_e32 v87, v83
	v_mov_b32_e32 v82, 0
	s_mov_b64 s[8:9], 0
	v_mov_b32_e32 v88, 0
.LBB103_165:                            ; =>This Inner Loop Header: Depth=1
	buffer_load_dword v91, v87, s[0:3], 0 offen offset:4
	buffer_load_dword v92, v87, s[0:3], 0 offen
	ds_read_b64 v[89:90], v86
	v_add_u32_e32 v85, 1, v85
	v_cmp_lt_u32_e32 vcc, 36, v85
	v_add_u32_e32 v86, 8, v86
	v_add_u32_e32 v87, 8, v87
	s_or_b64 s[8:9], vcc, s[8:9]
	s_waitcnt vmcnt(1) lgkmcnt(0)
	v_mul_f32_e32 v93, v90, v91
	v_mul_f32_e32 v91, v89, v91
	s_waitcnt vmcnt(0)
	v_fma_f32 v89, v89, v92, -v93
	v_fmac_f32_e32 v91, v90, v92
	v_add_f32_e32 v88, v88, v89
	v_add_f32_e32 v82, v82, v91
	s_andn2_b64 exec, exec, s[8:9]
	s_cbranch_execnz .LBB103_165
; %bb.166:
	s_or_b64 exec, exec, s[8:9]
	v_mov_b32_e32 v85, 0
	ds_read_b64 v[85:86], v85 offset:304
	s_waitcnt lgkmcnt(0)
	v_mul_f32_e32 v87, v82, v86
	v_mul_f32_e32 v86, v88, v86
	v_fma_f32 v87, v88, v85, -v87
	v_fmac_f32_e32 v86, v82, v85
	buffer_store_dword v87, off, s[0:3], 0 offset:304
	buffer_store_dword v86, off, s[0:3], 0 offset:308
.LBB103_167:
	s_or_b64 exec, exec, s[4:5]
	; wave barrier
	buffer_load_dword v85, off, s[0:3], 0 offset:312
	buffer_load_dword v86, off, s[0:3], 0 offset:316
	v_cmp_ne_u32_e32 vcc, 39, v0
	s_waitcnt vmcnt(0)
	ds_write_b64 v84, v[85:86]
	s_waitcnt lgkmcnt(0)
	; wave barrier
	s_and_saveexec_b64 s[4:5], vcc
	s_cbranch_execz .LBB103_171
; %bb.168:
	v_add_u32_e32 v84, 0x140, v83
	v_mov_b32_e32 v82, 0
	s_mov_b64 s[8:9], 0
	v_mov_b32_e32 v85, 0
.LBB103_169:                            ; =>This Inner Loop Header: Depth=1
	buffer_load_dword v88, v83, s[0:3], 0 offen offset:4
	buffer_load_dword v89, v83, s[0:3], 0 offen
	ds_read_b64 v[86:87], v84
	v_add_u32_e32 v81, 1, v81
	v_cmp_lt_u32_e32 vcc, 37, v81
	v_add_u32_e32 v84, 8, v84
	v_add_u32_e32 v83, 8, v83
	s_or_b64 s[8:9], vcc, s[8:9]
	s_waitcnt vmcnt(1) lgkmcnt(0)
	v_mul_f32_e32 v90, v87, v88
	v_mul_f32_e32 v88, v86, v88
	s_waitcnt vmcnt(0)
	v_fma_f32 v86, v86, v89, -v90
	v_fmac_f32_e32 v88, v87, v89
	v_add_f32_e32 v85, v85, v86
	v_add_f32_e32 v82, v82, v88
	s_andn2_b64 exec, exec, s[8:9]
	s_cbranch_execnz .LBB103_169
; %bb.170:
	s_or_b64 exec, exec, s[8:9]
	v_mov_b32_e32 v81, 0
	ds_read_b64 v[83:84], v81 offset:312
	s_waitcnt lgkmcnt(0)
	v_mul_f32_e32 v81, v82, v84
	v_mul_f32_e32 v84, v85, v84
	v_fma_f32 v81, v85, v83, -v81
	v_fmac_f32_e32 v84, v82, v83
	buffer_store_dword v81, off, s[0:3], 0 offset:312
	buffer_store_dword v84, off, s[0:3], 0 offset:316
.LBB103_171:
	s_or_b64 exec, exec, s[4:5]
	s_mov_b64 s[8:9], -1
	; wave barrier
.LBB103_172:
	s_and_b64 vcc, exec, s[8:9]
	s_cbranch_vccz .LBB103_174
; %bb.173:
	s_lshl_b64 s[4:5], s[6:7], 2
	s_add_u32 s4, s10, s4
	s_addc_u32 s5, s11, s5
	v_mov_b32_e32 v81, 0
	global_load_dword v81, v81, s[4:5]
	s_waitcnt vmcnt(0)
	v_cmp_ne_u32_e32 vcc, 0, v81
	s_cbranch_vccz .LBB103_175
.LBB103_174:
	s_endpgm
.LBB103_175:
	v_mov_b32_e32 v81, 0x140
	v_lshl_add_u32 v81, v0, 3, v81
	v_cmp_eq_u32_e32 vcc, 39, v0
	s_and_saveexec_b64 s[4:5], vcc
	s_cbranch_execz .LBB103_177
; %bb.176:
	buffer_load_dword v82, off, s[0:3], 0 offset:304
	buffer_load_dword v83, off, s[0:3], 0 offset:308
	v_mov_b32_e32 v84, 0
	buffer_store_dword v84, off, s[0:3], 0 offset:304
	buffer_store_dword v84, off, s[0:3], 0 offset:308
	s_waitcnt vmcnt(2)
	ds_write_b64 v81, v[82:83]
.LBB103_177:
	s_or_b64 exec, exec, s[4:5]
	s_waitcnt lgkmcnt(0)
	; wave barrier
	buffer_load_dword v85, off, s[0:3], 0 offset:316
	buffer_load_dword v86, off, s[0:3], 0 offset:312
	buffer_load_dword v87, off, s[0:3], 0 offset:304
	buffer_load_dword v88, off, s[0:3], 0 offset:308
	v_mov_b32_e32 v82, 0
	ds_read_b64 v[83:84], v82 offset:632
	v_cmp_lt_u32_e32 vcc, 37, v0
	s_waitcnt vmcnt(3) lgkmcnt(0)
	v_mul_f32_e32 v89, v83, v85
	v_mul_f32_e32 v85, v84, v85
	s_waitcnt vmcnt(2)
	v_fma_f32 v83, v83, v86, -v85
	v_fmac_f32_e32 v89, v84, v86
	v_add_f32_e32 v83, 0, v83
	v_add_f32_e32 v84, 0, v89
	s_waitcnt vmcnt(1)
	v_sub_f32_e32 v83, v87, v83
	s_waitcnt vmcnt(0)
	v_sub_f32_e32 v84, v88, v84
	buffer_store_dword v83, off, s[0:3], 0 offset:304
	buffer_store_dword v84, off, s[0:3], 0 offset:308
	s_and_saveexec_b64 s[4:5], vcc
	s_cbranch_execz .LBB103_179
; %bb.178:
	buffer_load_dword v83, off, s[0:3], 0 offset:296
	buffer_load_dword v84, off, s[0:3], 0 offset:300
	s_waitcnt vmcnt(0)
	ds_write_b64 v81, v[83:84]
	buffer_store_dword v82, off, s[0:3], 0 offset:296
	buffer_store_dword v82, off, s[0:3], 0 offset:300
.LBB103_179:
	s_or_b64 exec, exec, s[4:5]
	s_waitcnt lgkmcnt(0)
	; wave barrier
	buffer_load_dword v86, off, s[0:3], 0 offset:308
	buffer_load_dword v87, off, s[0:3], 0 offset:316
	;; [unrolled: 1-line block ×6, first 2 shown]
	ds_read_b128 v[82:85], v82 offset:624
	v_cmp_lt_u32_e32 vcc, 36, v0
	s_waitcnt vmcnt(5) lgkmcnt(0)
	v_mul_f32_e32 v92, v82, v86
	v_mul_f32_e32 v86, v83, v86
	s_waitcnt vmcnt(4)
	v_mul_f32_e32 v93, v84, v87
	v_mul_f32_e32 v87, v85, v87
	s_waitcnt vmcnt(3)
	v_fma_f32 v82, v82, v88, -v86
	v_fmac_f32_e32 v92, v83, v88
	s_waitcnt vmcnt(2)
	v_fma_f32 v83, v84, v89, -v87
	v_add_f32_e32 v82, 0, v82
	v_fmac_f32_e32 v93, v85, v89
	v_add_f32_e32 v84, 0, v92
	v_add_f32_e32 v82, v82, v83
	;; [unrolled: 1-line block ×3, first 2 shown]
	s_waitcnt vmcnt(1)
	v_sub_f32_e32 v82, v90, v82
	s_waitcnt vmcnt(0)
	v_sub_f32_e32 v83, v91, v84
	buffer_store_dword v82, off, s[0:3], 0 offset:296
	buffer_store_dword v83, off, s[0:3], 0 offset:300
	s_and_saveexec_b64 s[4:5], vcc
	s_cbranch_execz .LBB103_181
; %bb.180:
	buffer_load_dword v82, off, s[0:3], 0 offset:288
	buffer_load_dword v83, off, s[0:3], 0 offset:292
	v_mov_b32_e32 v84, 0
	buffer_store_dword v84, off, s[0:3], 0 offset:288
	buffer_store_dword v84, off, s[0:3], 0 offset:292
	s_waitcnt vmcnt(2)
	ds_write_b64 v81, v[82:83]
.LBB103_181:
	s_or_b64 exec, exec, s[4:5]
	s_waitcnt lgkmcnt(0)
	; wave barrier
	buffer_load_dword v89, off, s[0:3], 0 offset:300
	buffer_load_dword v90, off, s[0:3], 0 offset:308
	;; [unrolled: 1-line block ×8, first 2 shown]
	v_mov_b32_e32 v82, 0
	ds_read2_b64 v[83:86], v82 offset0:77 offset1:78
	ds_read_b64 v[87:88], v82 offset:632
	v_cmp_lt_u32_e32 vcc, 35, v0
	s_waitcnt vmcnt(7) lgkmcnt(1)
	v_mul_f32_e32 v97, v83, v89
	v_mul_f32_e32 v89, v84, v89
	s_waitcnt vmcnt(6)
	v_mul_f32_e32 v98, v85, v90
	v_mul_f32_e32 v90, v86, v90
	s_waitcnt vmcnt(4)
	v_fma_f32 v83, v83, v92, -v89
	s_waitcnt lgkmcnt(0)
	v_mul_f32_e32 v99, v87, v91
	v_mul_f32_e32 v91, v88, v91
	v_fmac_f32_e32 v97, v84, v92
	s_waitcnt vmcnt(3)
	v_fma_f32 v84, v85, v93, -v90
	v_add_f32_e32 v83, 0, v83
	v_fmac_f32_e32 v98, v86, v93
	s_waitcnt vmcnt(2)
	v_fma_f32 v85, v87, v94, -v91
	v_add_f32_e32 v86, 0, v97
	v_add_f32_e32 v83, v83, v84
	v_fmac_f32_e32 v99, v88, v94
	v_add_f32_e32 v86, v86, v98
	v_add_f32_e32 v83, v83, v85
	;; [unrolled: 1-line block ×3, first 2 shown]
	s_waitcnt vmcnt(1)
	v_sub_f32_e32 v83, v95, v83
	s_waitcnt vmcnt(0)
	v_sub_f32_e32 v84, v96, v84
	buffer_store_dword v83, off, s[0:3], 0 offset:288
	buffer_store_dword v84, off, s[0:3], 0 offset:292
	s_and_saveexec_b64 s[4:5], vcc
	s_cbranch_execz .LBB103_183
; %bb.182:
	buffer_load_dword v83, off, s[0:3], 0 offset:280
	buffer_load_dword v84, off, s[0:3], 0 offset:284
	s_waitcnt vmcnt(0)
	ds_write_b64 v81, v[83:84]
	buffer_store_dword v82, off, s[0:3], 0 offset:280
	buffer_store_dword v82, off, s[0:3], 0 offset:284
.LBB103_183:
	s_or_b64 exec, exec, s[4:5]
	s_waitcnt lgkmcnt(0)
	; wave barrier
	buffer_load_dword v91, off, s[0:3], 0 offset:292
	buffer_load_dword v92, off, s[0:3], 0 offset:300
	;; [unrolled: 1-line block ×10, first 2 shown]
	ds_read_b128 v[83:86], v82 offset:608
	ds_read_b128 v[87:90], v82 offset:624
	v_cmp_lt_u32_e32 vcc, 34, v0
	s_waitcnt vmcnt(9) lgkmcnt(1)
	v_mul_f32_e32 v82, v83, v91
	v_mul_f32_e32 v91, v84, v91
	s_waitcnt vmcnt(8)
	v_mul_f32_e32 v101, v85, v92
	v_mul_f32_e32 v92, v86, v92
	s_waitcnt vmcnt(5)
	v_fma_f32 v83, v83, v95, -v91
	s_waitcnt lgkmcnt(0)
	v_mul_f32_e32 v102, v87, v93
	v_mul_f32_e32 v93, v88, v93
	v_fmac_f32_e32 v82, v84, v95
	s_waitcnt vmcnt(4)
	v_fma_f32 v84, v85, v96, -v92
	v_add_f32_e32 v83, 0, v83
	v_mul_f32_e32 v103, v89, v94
	v_mul_f32_e32 v94, v90, v94
	v_fmac_f32_e32 v101, v86, v96
	s_waitcnt vmcnt(3)
	v_fma_f32 v85, v87, v97, -v93
	v_add_f32_e32 v82, 0, v82
	v_add_f32_e32 v83, v83, v84
	v_fmac_f32_e32 v102, v88, v97
	s_waitcnt vmcnt(2)
	v_fma_f32 v86, v89, v98, -v94
	v_add_f32_e32 v82, v82, v101
	v_add_f32_e32 v83, v83, v85
	v_fmac_f32_e32 v103, v90, v98
	v_add_f32_e32 v82, v82, v102
	v_add_f32_e32 v83, v83, v86
	;; [unrolled: 1-line block ×3, first 2 shown]
	s_waitcnt vmcnt(1)
	v_sub_f32_e32 v83, v99, v83
	s_waitcnt vmcnt(0)
	v_sub_f32_e32 v82, v100, v82
	buffer_store_dword v83, off, s[0:3], 0 offset:280
	buffer_store_dword v82, off, s[0:3], 0 offset:284
	s_and_saveexec_b64 s[4:5], vcc
	s_cbranch_execz .LBB103_185
; %bb.184:
	buffer_load_dword v82, off, s[0:3], 0 offset:272
	buffer_load_dword v83, off, s[0:3], 0 offset:276
	v_mov_b32_e32 v84, 0
	buffer_store_dword v84, off, s[0:3], 0 offset:272
	buffer_store_dword v84, off, s[0:3], 0 offset:276
	s_waitcnt vmcnt(2)
	ds_write_b64 v81, v[82:83]
.LBB103_185:
	s_or_b64 exec, exec, s[4:5]
	s_waitcnt lgkmcnt(0)
	; wave barrier
	buffer_load_dword v93, off, s[0:3], 0 offset:284
	buffer_load_dword v94, off, s[0:3], 0 offset:292
	buffer_load_dword v95, off, s[0:3], 0 offset:300
	buffer_load_dword v96, off, s[0:3], 0 offset:308
	buffer_load_dword v97, off, s[0:3], 0 offset:316
	buffer_load_dword v98, off, s[0:3], 0 offset:280
	buffer_load_dword v99, off, s[0:3], 0 offset:288
	buffer_load_dword v100, off, s[0:3], 0 offset:296
	buffer_load_dword v101, off, s[0:3], 0 offset:304
	buffer_load_dword v102, off, s[0:3], 0 offset:312
	buffer_load_dword v103, off, s[0:3], 0 offset:272
	buffer_load_dword v104, off, s[0:3], 0 offset:276
	v_mov_b32_e32 v82, 0
	ds_read2_b64 v[83:86], v82 offset0:75 offset1:76
	ds_read2_b64 v[87:90], v82 offset0:77 offset1:78
	ds_read_b64 v[91:92], v82 offset:632
	v_cmp_lt_u32_e32 vcc, 33, v0
	s_waitcnt vmcnt(11) lgkmcnt(2)
	v_mul_f32_e32 v105, v83, v93
	v_mul_f32_e32 v93, v84, v93
	s_waitcnt vmcnt(10)
	v_mul_f32_e32 v106, v85, v94
	v_mul_f32_e32 v94, v86, v94
	s_waitcnt vmcnt(9) lgkmcnt(1)
	v_mul_f32_e32 v107, v87, v95
	s_waitcnt vmcnt(6)
	v_fma_f32 v83, v83, v98, -v93
	v_mul_f32_e32 v95, v88, v95
	v_fmac_f32_e32 v105, v84, v98
	s_waitcnt vmcnt(5)
	v_fma_f32 v84, v85, v99, -v94
	v_add_f32_e32 v83, 0, v83
	v_mul_f32_e32 v108, v89, v96
	v_mul_f32_e32 v96, v90, v96
	v_fmac_f32_e32 v106, v86, v99
	s_waitcnt vmcnt(4)
	v_fmac_f32_e32 v107, v88, v100
	v_fma_f32 v85, v87, v100, -v95
	v_add_f32_e32 v88, 0, v105
	v_add_f32_e32 v83, v83, v84
	s_waitcnt lgkmcnt(0)
	v_mul_f32_e32 v109, v91, v97
	v_mul_f32_e32 v97, v92, v97
	s_waitcnt vmcnt(3)
	v_fma_f32 v86, v89, v101, -v96
	v_add_f32_e32 v88, v88, v106
	v_add_f32_e32 v83, v83, v85
	v_fmac_f32_e32 v108, v90, v101
	s_waitcnt vmcnt(2)
	v_fma_f32 v87, v91, v102, -v97
	v_add_f32_e32 v84, v88, v107
	v_add_f32_e32 v83, v83, v86
	v_fmac_f32_e32 v109, v92, v102
	v_add_f32_e32 v84, v84, v108
	v_add_f32_e32 v83, v83, v87
	;; [unrolled: 1-line block ×3, first 2 shown]
	s_waitcnt vmcnt(1)
	v_sub_f32_e32 v83, v103, v83
	s_waitcnt vmcnt(0)
	v_sub_f32_e32 v84, v104, v84
	buffer_store_dword v83, off, s[0:3], 0 offset:272
	buffer_store_dword v84, off, s[0:3], 0 offset:276
	s_and_saveexec_b64 s[4:5], vcc
	s_cbranch_execz .LBB103_187
; %bb.186:
	buffer_load_dword v83, off, s[0:3], 0 offset:264
	buffer_load_dword v84, off, s[0:3], 0 offset:268
	s_waitcnt vmcnt(0)
	ds_write_b64 v81, v[83:84]
	buffer_store_dword v82, off, s[0:3], 0 offset:264
	buffer_store_dword v82, off, s[0:3], 0 offset:268
.LBB103_187:
	s_or_b64 exec, exec, s[4:5]
	s_waitcnt lgkmcnt(0)
	; wave barrier
	buffer_load_dword v95, off, s[0:3], 0 offset:276
	buffer_load_dword v96, off, s[0:3], 0 offset:284
	;; [unrolled: 1-line block ×14, first 2 shown]
	ds_read_b128 v[83:86], v82 offset:592
	ds_read_b128 v[87:90], v82 offset:608
	;; [unrolled: 1-line block ×3, first 2 shown]
	v_cmp_lt_u32_e32 vcc, 32, v0
	s_waitcnt vmcnt(13) lgkmcnt(2)
	v_mul_f32_e32 v82, v83, v95
	v_mul_f32_e32 v95, v84, v95
	s_waitcnt vmcnt(12)
	v_mul_f32_e32 v109, v85, v96
	v_mul_f32_e32 v96, v86, v96
	s_waitcnt vmcnt(11) lgkmcnt(1)
	v_mul_f32_e32 v110, v87, v97
	v_mul_f32_e32 v97, v88, v97
	s_waitcnt vmcnt(7)
	v_fma_f32 v83, v83, v101, -v95
	v_fmac_f32_e32 v82, v84, v101
	s_waitcnt vmcnt(6)
	v_fma_f32 v84, v85, v102, -v96
	v_add_f32_e32 v83, 0, v83
	v_mul_f32_e32 v111, v89, v98
	v_mul_f32_e32 v98, v90, v98
	v_fmac_f32_e32 v109, v86, v102
	s_waitcnt vmcnt(5)
	v_fma_f32 v85, v87, v103, -v97
	v_add_f32_e32 v82, 0, v82
	v_add_f32_e32 v83, v83, v84
	s_waitcnt lgkmcnt(0)
	v_mul_f32_e32 v112, v91, v99
	v_mul_f32_e32 v99, v92, v99
	v_fmac_f32_e32 v110, v88, v103
	s_waitcnt vmcnt(4)
	v_fma_f32 v86, v89, v104, -v98
	v_add_f32_e32 v82, v82, v109
	v_add_f32_e32 v83, v83, v85
	v_mul_f32_e32 v113, v93, v100
	v_mul_f32_e32 v100, v94, v100
	v_fmac_f32_e32 v111, v90, v104
	s_waitcnt vmcnt(3)
	v_fma_f32 v87, v91, v105, -v99
	v_add_f32_e32 v82, v82, v110
	v_add_f32_e32 v83, v83, v86
	v_fmac_f32_e32 v112, v92, v105
	s_waitcnt vmcnt(2)
	v_fma_f32 v88, v93, v106, -v100
	v_add_f32_e32 v82, v82, v111
	v_add_f32_e32 v83, v83, v87
	v_fmac_f32_e32 v113, v94, v106
	v_add_f32_e32 v82, v82, v112
	v_add_f32_e32 v83, v83, v88
	;; [unrolled: 1-line block ×3, first 2 shown]
	s_waitcnt vmcnt(1)
	v_sub_f32_e32 v83, v107, v83
	s_waitcnt vmcnt(0)
	v_sub_f32_e32 v82, v108, v82
	buffer_store_dword v83, off, s[0:3], 0 offset:264
	buffer_store_dword v82, off, s[0:3], 0 offset:268
	s_and_saveexec_b64 s[4:5], vcc
	s_cbranch_execz .LBB103_189
; %bb.188:
	buffer_load_dword v82, off, s[0:3], 0 offset:256
	buffer_load_dword v83, off, s[0:3], 0 offset:260
	v_mov_b32_e32 v84, 0
	buffer_store_dword v84, off, s[0:3], 0 offset:256
	buffer_store_dword v84, off, s[0:3], 0 offset:260
	s_waitcnt vmcnt(2)
	ds_write_b64 v81, v[82:83]
.LBB103_189:
	s_or_b64 exec, exec, s[4:5]
	s_waitcnt lgkmcnt(0)
	; wave barrier
	buffer_load_dword v97, off, s[0:3], 0 offset:268
	buffer_load_dword v98, off, s[0:3], 0 offset:276
	;; [unrolled: 1-line block ×16, first 2 shown]
	v_mov_b32_e32 v82, 0
	ds_read2_b64 v[83:86], v82 offset0:73 offset1:74
	ds_read2_b64 v[87:90], v82 offset0:75 offset1:76
	;; [unrolled: 1-line block ×3, first 2 shown]
	ds_read_b64 v[95:96], v82 offset:632
	v_cmp_lt_u32_e32 vcc, 31, v0
	s_waitcnt vmcnt(15) lgkmcnt(3)
	v_mul_f32_e32 v113, v83, v97
	v_mul_f32_e32 v97, v84, v97
	s_waitcnt vmcnt(14)
	v_mul_f32_e32 v114, v85, v98
	v_mul_f32_e32 v98, v86, v98
	s_waitcnt vmcnt(13) lgkmcnt(2)
	v_mul_f32_e32 v115, v87, v99
	s_waitcnt vmcnt(12)
	v_mul_f32_e32 v116, v89, v100
	v_mul_f32_e32 v99, v88, v99
	s_waitcnt vmcnt(8)
	v_fma_f32 v83, v83, v104, -v97
	v_fmac_f32_e32 v113, v84, v104
	s_waitcnt vmcnt(7)
	v_fma_f32 v84, v85, v105, -v98
	v_add_f32_e32 v83, 0, v83
	v_mul_f32_e32 v100, v90, v100
	v_fmac_f32_e32 v114, v86, v105
	s_waitcnt vmcnt(5)
	v_fmac_f32_e32 v116, v90, v107
	v_fma_f32 v85, v87, v106, -v99
	v_add_f32_e32 v90, 0, v113
	v_add_f32_e32 v83, v83, v84
	s_waitcnt lgkmcnt(1)
	v_mul_f32_e32 v117, v91, v101
	v_mul_f32_e32 v101, v92, v101
	v_fmac_f32_e32 v115, v88, v106
	v_fma_f32 v86, v89, v107, -v100
	v_add_f32_e32 v90, v90, v114
	v_add_f32_e32 v83, v83, v85
	v_mul_f32_e32 v118, v93, v102
	v_mul_f32_e32 v102, v94, v102
	s_waitcnt vmcnt(4)
	v_fma_f32 v87, v91, v108, -v101
	v_add_f32_e32 v84, v90, v115
	v_add_f32_e32 v83, v83, v86
	s_waitcnt lgkmcnt(0)
	v_mul_f32_e32 v119, v95, v103
	v_mul_f32_e32 v103, v96, v103
	v_fmac_f32_e32 v117, v92, v108
	s_waitcnt vmcnt(3)
	v_fma_f32 v88, v93, v109, -v102
	v_add_f32_e32 v84, v84, v116
	v_add_f32_e32 v83, v83, v87
	v_fmac_f32_e32 v118, v94, v109
	s_waitcnt vmcnt(2)
	v_fma_f32 v89, v95, v110, -v103
	v_add_f32_e32 v84, v84, v117
	v_add_f32_e32 v83, v83, v88
	v_fmac_f32_e32 v119, v96, v110
	v_add_f32_e32 v84, v84, v118
	v_add_f32_e32 v83, v83, v89
	;; [unrolled: 1-line block ×3, first 2 shown]
	s_waitcnt vmcnt(1)
	v_sub_f32_e32 v83, v111, v83
	s_waitcnt vmcnt(0)
	v_sub_f32_e32 v84, v112, v84
	buffer_store_dword v83, off, s[0:3], 0 offset:256
	buffer_store_dword v84, off, s[0:3], 0 offset:260
	s_and_saveexec_b64 s[4:5], vcc
	s_cbranch_execz .LBB103_191
; %bb.190:
	buffer_load_dword v83, off, s[0:3], 0 offset:248
	buffer_load_dword v84, off, s[0:3], 0 offset:252
	s_waitcnt vmcnt(0)
	ds_write_b64 v81, v[83:84]
	buffer_store_dword v82, off, s[0:3], 0 offset:248
	buffer_store_dword v82, off, s[0:3], 0 offset:252
.LBB103_191:
	s_or_b64 exec, exec, s[4:5]
	s_waitcnt lgkmcnt(0)
	; wave barrier
	buffer_load_dword v99, off, s[0:3], 0 offset:260
	buffer_load_dword v100, off, s[0:3], 0 offset:268
	;; [unrolled: 1-line block ×18, first 2 shown]
	ds_read_b128 v[83:86], v82 offset:576
	ds_read_b128 v[87:90], v82 offset:592
	;; [unrolled: 1-line block ×4, first 2 shown]
	v_cmp_lt_u32_e32 vcc, 30, v0
	s_waitcnt vmcnt(17) lgkmcnt(3)
	v_mul_f32_e32 v82, v83, v99
	v_mul_f32_e32 v99, v84, v99
	s_waitcnt vmcnt(16)
	v_mul_f32_e32 v117, v85, v100
	v_mul_f32_e32 v100, v86, v100
	s_waitcnt vmcnt(15) lgkmcnt(2)
	v_mul_f32_e32 v118, v87, v101
	v_mul_f32_e32 v101, v88, v101
	s_waitcnt vmcnt(14)
	v_mul_f32_e32 v119, v89, v102
	v_mul_f32_e32 v102, v90, v102
	s_waitcnt vmcnt(9)
	v_fma_f32 v83, v83, v107, -v99
	v_fmac_f32_e32 v82, v84, v107
	s_waitcnt vmcnt(8)
	v_fma_f32 v84, v85, v108, -v100
	v_add_f32_e32 v83, 0, v83
	v_fmac_f32_e32 v117, v86, v108
	s_waitcnt vmcnt(7)
	v_fma_f32 v85, v87, v109, -v101
	v_add_f32_e32 v82, 0, v82
	v_add_f32_e32 v83, v83, v84
	s_waitcnt lgkmcnt(1)
	v_mul_f32_e32 v120, v91, v103
	v_mul_f32_e32 v103, v92, v103
	v_fmac_f32_e32 v118, v88, v109
	s_waitcnt vmcnt(6)
	v_fma_f32 v86, v89, v110, -v102
	v_add_f32_e32 v82, v82, v117
	v_add_f32_e32 v83, v83, v85
	v_mul_f32_e32 v121, v93, v104
	v_mul_f32_e32 v104, v94, v104
	v_fmac_f32_e32 v119, v90, v110
	s_waitcnt vmcnt(5)
	v_fma_f32 v87, v91, v111, -v103
	v_add_f32_e32 v82, v82, v118
	v_add_f32_e32 v83, v83, v86
	s_waitcnt lgkmcnt(0)
	v_mul_f32_e32 v122, v95, v105
	v_mul_f32_e32 v105, v96, v105
	v_fmac_f32_e32 v120, v92, v111
	s_waitcnt vmcnt(4)
	v_fma_f32 v88, v93, v112, -v104
	v_add_f32_e32 v82, v82, v119
	v_add_f32_e32 v83, v83, v87
	v_mul_f32_e32 v123, v97, v106
	v_mul_f32_e32 v106, v98, v106
	v_fmac_f32_e32 v121, v94, v112
	s_waitcnt vmcnt(3)
	v_fma_f32 v89, v95, v113, -v105
	v_add_f32_e32 v82, v82, v120
	v_add_f32_e32 v83, v83, v88
	v_fmac_f32_e32 v122, v96, v113
	s_waitcnt vmcnt(2)
	v_fma_f32 v90, v97, v114, -v106
	v_add_f32_e32 v82, v82, v121
	v_add_f32_e32 v83, v83, v89
	v_fmac_f32_e32 v123, v98, v114
	v_add_f32_e32 v82, v82, v122
	v_add_f32_e32 v83, v83, v90
	;; [unrolled: 1-line block ×3, first 2 shown]
	s_waitcnt vmcnt(1)
	v_sub_f32_e32 v83, v115, v83
	s_waitcnt vmcnt(0)
	v_sub_f32_e32 v82, v116, v82
	buffer_store_dword v83, off, s[0:3], 0 offset:248
	buffer_store_dword v82, off, s[0:3], 0 offset:252
	s_and_saveexec_b64 s[4:5], vcc
	s_cbranch_execz .LBB103_193
; %bb.192:
	buffer_load_dword v82, off, s[0:3], 0 offset:240
	buffer_load_dword v83, off, s[0:3], 0 offset:244
	v_mov_b32_e32 v84, 0
	buffer_store_dword v84, off, s[0:3], 0 offset:240
	buffer_store_dword v84, off, s[0:3], 0 offset:244
	s_waitcnt vmcnt(2)
	ds_write_b64 v81, v[82:83]
.LBB103_193:
	s_or_b64 exec, exec, s[4:5]
	v_mov_b32_e32 v82, 0
	s_waitcnt lgkmcnt(0)
	; wave barrier
	ds_read2_b64 v[83:86], v82 offset0:71 offset1:72
	buffer_load_dword v101, off, s[0:3], 0 offset:240
	buffer_load_dword v102, off, s[0:3], 0 offset:244
	;; [unrolled: 1-line block ×16, first 2 shown]
	v_cmp_lt_u32_e32 vcc, 29, v0
	s_waitcnt vmcnt(12) lgkmcnt(0)
	v_mul_f32_e32 v87, v83, v104
	v_fmac_f32_e32 v87, v84, v103
	s_waitcnt vmcnt(10)
	v_mul_f32_e32 v88, v85, v106
	v_add_f32_e32 v87, 0, v87
	v_fmac_f32_e32 v88, v86, v105
	v_add_f32_e32 v91, v87, v88
	ds_read2_b64 v[87:90], v82 offset0:73 offset1:74
	v_mul_f32_e32 v84, v84, v104
	v_fma_f32 v83, v83, v103, -v84
	v_mul_f32_e32 v84, v86, v106
	v_add_f32_e32 v83, 0, v83
	s_waitcnt vmcnt(8) lgkmcnt(0)
	v_mul_f32_e32 v92, v87, v108
	v_fmac_f32_e32 v92, v88, v107
	v_add_f32_e32 v91, v91, v92
	s_waitcnt vmcnt(6)
	v_mul_f32_e32 v92, v89, v110
	v_fmac_f32_e32 v92, v90, v109
	v_add_f32_e32 v95, v91, v92
	ds_read2_b64 v[91:94], v82 offset0:75 offset1:76
	v_fma_f32 v84, v85, v105, -v84
	v_add_f32_e32 v83, v83, v84
	v_mul_f32_e32 v84, v88, v108
	v_fma_f32 v84, v87, v107, -v84
	s_waitcnt vmcnt(4) lgkmcnt(0)
	v_mul_f32_e32 v96, v91, v112
	v_fmac_f32_e32 v96, v92, v111
	v_add_f32_e32 v95, v95, v96
	s_waitcnt vmcnt(2)
	v_mul_f32_e32 v96, v93, v114
	v_fmac_f32_e32 v96, v94, v113
	v_add_f32_e32 v99, v95, v96
	ds_read2_b64 v[95:98], v82 offset0:77 offset1:78
	buffer_load_dword v117, off, s[0:3], 0 offset:304
	buffer_load_dword v118, off, s[0:3], 0 offset:308
	v_add_f32_e32 v83, v83, v84
	v_mul_f32_e32 v84, v90, v110
	v_fma_f32 v84, v89, v109, -v84
	s_waitcnt vmcnt(2) lgkmcnt(0)
	v_mul_f32_e32 v100, v95, v116
	v_fmac_f32_e32 v100, v96, v115
	v_add_f32_e32 v99, v99, v100
	v_add_f32_e32 v83, v83, v84
	v_mul_f32_e32 v84, v92, v112
	v_fma_f32 v84, v91, v111, -v84
	v_add_f32_e32 v83, v83, v84
	v_mul_f32_e32 v84, v94, v114
	v_fma_f32 v84, v93, v113, -v84
	;; [unrolled: 3-line block ×3, first 2 shown]
	v_add_f32_e32 v83, v83, v84
	s_waitcnt vmcnt(0)
	v_mul_f32_e32 v100, v97, v118
	v_fmac_f32_e32 v100, v98, v117
	v_add_f32_e32 v119, v99, v100
	ds_read_b64 v[99:100], v82 offset:632
	buffer_load_dword v120, off, s[0:3], 0 offset:312
	buffer_load_dword v121, off, s[0:3], 0 offset:316
	v_mul_f32_e32 v84, v98, v118
	v_fma_f32 v84, v97, v117, -v84
	v_add_f32_e32 v83, v83, v84
	s_waitcnt vmcnt(0) lgkmcnt(0)
	v_mul_f32_e32 v84, v100, v121
	v_mul_f32_e32 v122, v99, v121
	v_fma_f32 v84, v99, v120, -v84
	v_fmac_f32_e32 v122, v100, v120
	v_add_f32_e32 v83, v83, v84
	v_add_f32_e32 v119, v119, v122
	v_sub_f32_e32 v83, v101, v83
	v_sub_f32_e32 v84, v102, v119
	buffer_store_dword v83, off, s[0:3], 0 offset:240
	buffer_store_dword v84, off, s[0:3], 0 offset:244
	s_and_saveexec_b64 s[4:5], vcc
	s_cbranch_execz .LBB103_195
; %bb.194:
	buffer_load_dword v83, off, s[0:3], 0 offset:232
	buffer_load_dword v84, off, s[0:3], 0 offset:236
	s_waitcnt vmcnt(0)
	ds_write_b64 v81, v[83:84]
	buffer_store_dword v82, off, s[0:3], 0 offset:232
	buffer_store_dword v82, off, s[0:3], 0 offset:236
.LBB103_195:
	s_or_b64 exec, exec, s[4:5]
	s_waitcnt lgkmcnt(0)
	; wave barrier
	ds_read_b128 v[83:86], v82 offset:560
	ds_read_b128 v[87:90], v82 offset:576
	ds_read_b128 v[91:94], v82 offset:592
	ds_read_b128 v[95:98], v82 offset:608
	buffer_load_dword v103, off, s[0:3], 0 offset:232
	buffer_load_dword v104, off, s[0:3], 0 offset:236
	;; [unrolled: 1-line block ×18, first 2 shown]
	v_cmp_lt_u32_e32 vcc, 28, v0
	s_waitcnt vmcnt(14) lgkmcnt(3)
	v_mul_f32_e32 v99, v83, v106
	v_fmac_f32_e32 v99, v84, v105
	s_waitcnt vmcnt(12)
	v_mul_f32_e32 v100, v85, v108
	v_add_f32_e32 v99, 0, v99
	v_fmac_f32_e32 v100, v86, v107
	v_add_f32_e32 v99, v99, v100
	s_waitcnt vmcnt(10) lgkmcnt(2)
	v_mul_f32_e32 v100, v87, v110
	v_fmac_f32_e32 v100, v88, v109
	v_add_f32_e32 v99, v99, v100
	s_waitcnt vmcnt(8)
	v_mul_f32_e32 v100, v89, v112
	v_fmac_f32_e32 v100, v90, v111
	v_add_f32_e32 v99, v99, v100
	s_waitcnt vmcnt(6) lgkmcnt(1)
	v_mul_f32_e32 v100, v91, v114
	v_fmac_f32_e32 v100, v92, v113
	v_add_f32_e32 v99, v99, v100
	s_waitcnt vmcnt(4)
	v_mul_f32_e32 v100, v93, v116
	;; [unrolled: 8-line block ×3, first 2 shown]
	v_fmac_f32_e32 v100, v98, v119
	v_add_f32_e32 v121, v99, v100
	ds_read_b128 v[99:102], v82 offset:624
	buffer_load_dword v82, off, s[0:3], 0 offset:304
	buffer_load_dword v122, off, s[0:3], 0 offset:308
	v_mul_f32_e32 v84, v84, v106
	v_fma_f32 v83, v83, v105, -v84
	v_mul_f32_e32 v84, v86, v108
	v_add_f32_e32 v83, 0, v83
	v_fma_f32 v84, v85, v107, -v84
	v_add_f32_e32 v83, v83, v84
	v_mul_f32_e32 v84, v88, v110
	v_fma_f32 v84, v87, v109, -v84
	v_add_f32_e32 v83, v83, v84
	v_mul_f32_e32 v84, v90, v112
	;; [unrolled: 3-line block ×6, first 2 shown]
	v_fma_f32 v84, v97, v119, -v84
	v_add_f32_e32 v83, v83, v84
	s_waitcnt vmcnt(0) lgkmcnt(0)
	v_mul_f32_e32 v123, v99, v122
	v_fmac_f32_e32 v123, v100, v82
	v_add_f32_e32 v121, v121, v123
	buffer_load_dword v123, off, s[0:3], 0 offset:312
	buffer_load_dword v124, off, s[0:3], 0 offset:316
	v_mul_f32_e32 v84, v100, v122
	v_fma_f32 v82, v99, v82, -v84
	v_add_f32_e32 v82, v83, v82
	s_waitcnt vmcnt(0)
	v_mul_f32_e32 v83, v102, v124
	v_mul_f32_e32 v125, v101, v124
	v_fma_f32 v83, v101, v123, -v83
	v_fmac_f32_e32 v125, v102, v123
	v_add_f32_e32 v82, v82, v83
	v_add_f32_e32 v121, v121, v125
	v_sub_f32_e32 v82, v103, v82
	v_sub_f32_e32 v83, v104, v121
	buffer_store_dword v82, off, s[0:3], 0 offset:232
	buffer_store_dword v83, off, s[0:3], 0 offset:236
	s_and_saveexec_b64 s[4:5], vcc
	s_cbranch_execz .LBB103_197
; %bb.196:
	buffer_load_dword v82, off, s[0:3], 0 offset:224
	buffer_load_dword v83, off, s[0:3], 0 offset:228
	v_mov_b32_e32 v84, 0
	buffer_store_dword v84, off, s[0:3], 0 offset:224
	buffer_store_dword v84, off, s[0:3], 0 offset:228
	s_waitcnt vmcnt(2)
	ds_write_b64 v81, v[82:83]
.LBB103_197:
	s_or_b64 exec, exec, s[4:5]
	s_waitcnt lgkmcnt(0)
	; wave barrier
	buffer_load_dword v105, off, s[0:3], 0 offset:236
	buffer_load_dword v106, off, s[0:3], 0 offset:244
	;; [unrolled: 1-line block ×24, first 2 shown]
	v_mov_b32_e32 v82, 0
	ds_read2_b64 v[83:86], v82 offset0:69 offset1:70
	ds_read2_b64 v[87:90], v82 offset0:71 offset1:72
	;; [unrolled: 1-line block ×5, first 2 shown]
	ds_read_b64 v[103:104], v82 offset:632
	v_cmp_lt_u32_e32 vcc, 27, v0
	s_waitcnt vmcnt(23) lgkmcnt(5)
	v_mul_f32_e32 v129, v83, v105
	v_mul_f32_e32 v105, v84, v105
	s_waitcnt vmcnt(22)
	v_mul_f32_e32 v130, v85, v106
	v_mul_f32_e32 v106, v86, v106
	s_waitcnt vmcnt(21) lgkmcnt(4)
	v_mul_f32_e32 v131, v87, v107
	v_mul_f32_e32 v107, v88, v107
	s_waitcnt vmcnt(20)
	v_mul_f32_e32 v132, v89, v108
	s_waitcnt vmcnt(19) lgkmcnt(3)
	v_mul_f32_e32 v133, v91, v109
	v_mul_f32_e32 v108, v90, v108
	;; [unrolled: 1-line block ×3, first 2 shown]
	s_waitcnt vmcnt(18)
	v_mul_f32_e32 v134, v93, v110
	s_waitcnt vmcnt(12)
	v_fma_f32 v83, v83, v116, -v105
	v_fmac_f32_e32 v129, v84, v116
	s_waitcnt vmcnt(11)
	v_fma_f32 v84, v85, v117, -v106
	v_add_f32_e32 v83, 0, v83
	s_waitcnt vmcnt(10)
	v_fma_f32 v85, v87, v118, -v107
	v_add_f32_e32 v83, v83, v84
	v_fmac_f32_e32 v130, v86, v117
	s_waitcnt vmcnt(8)
	v_fmac_f32_e32 v133, v92, v120
	v_fma_f32 v86, v89, v119, -v108
	v_add_f32_e32 v92, 0, v129
	v_add_f32_e32 v83, v83, v85
	v_mul_f32_e32 v110, v94, v110
	v_fmac_f32_e32 v131, v88, v118
	v_fma_f32 v87, v91, v120, -v109
	v_add_f32_e32 v92, v92, v130
	v_add_f32_e32 v83, v83, v86
	s_waitcnt lgkmcnt(2)
	v_mul_f32_e32 v135, v95, v111
	v_mul_f32_e32 v111, v96, v111
	v_fmac_f32_e32 v132, v90, v119
	s_waitcnt vmcnt(7)
	v_fma_f32 v88, v93, v121, -v110
	v_add_f32_e32 v84, v92, v131
	v_add_f32_e32 v83, v83, v87
	v_mul_f32_e32 v136, v97, v112
	v_mul_f32_e32 v112, v98, v112
	s_waitcnt vmcnt(6)
	v_fma_f32 v89, v95, v122, -v111
	v_add_f32_e32 v84, v84, v132
	v_add_f32_e32 v83, v83, v88
	s_waitcnt lgkmcnt(1)
	v_mul_f32_e32 v137, v99, v113
	v_mul_f32_e32 v113, v100, v113
	v_fmac_f32_e32 v134, v94, v121
	s_waitcnt vmcnt(5)
	v_fma_f32 v90, v97, v123, -v112
	v_add_f32_e32 v84, v84, v133
	v_add_f32_e32 v83, v83, v89
	v_fmac_f32_e32 v135, v96, v122
	s_waitcnt vmcnt(4)
	v_fma_f32 v91, v99, v124, -v113
	v_add_f32_e32 v84, v84, v134
	v_add_f32_e32 v83, v83, v90
	v_mul_f32_e32 v85, v102, v114
	v_fmac_f32_e32 v136, v98, v123
	v_add_f32_e32 v84, v84, v135
	v_add_f32_e32 v83, v83, v91
	s_waitcnt vmcnt(3)
	v_fma_f32 v85, v101, v125, -v85
	v_mul_f32_e32 v138, v101, v114
	v_fmac_f32_e32 v137, v100, v124
	v_add_f32_e32 v84, v84, v136
	v_add_f32_e32 v83, v83, v85
	s_waitcnt lgkmcnt(0)
	v_mul_f32_e32 v85, v104, v115
	v_mul_f32_e32 v139, v103, v115
	v_fmac_f32_e32 v138, v102, v125
	v_add_f32_e32 v84, v84, v137
	s_waitcnt vmcnt(2)
	v_fma_f32 v85, v103, v126, -v85
	v_fmac_f32_e32 v139, v104, v126
	v_add_f32_e32 v84, v84, v138
	v_add_f32_e32 v83, v83, v85
	;; [unrolled: 1-line block ×3, first 2 shown]
	s_waitcnt vmcnt(1)
	v_sub_f32_e32 v83, v127, v83
	s_waitcnt vmcnt(0)
	v_sub_f32_e32 v84, v128, v84
	buffer_store_dword v83, off, s[0:3], 0 offset:224
	buffer_store_dword v84, off, s[0:3], 0 offset:228
	s_and_saveexec_b64 s[4:5], vcc
	s_cbranch_execz .LBB103_199
; %bb.198:
	buffer_load_dword v83, off, s[0:3], 0 offset:216
	buffer_load_dword v84, off, s[0:3], 0 offset:220
	s_waitcnt vmcnt(0)
	ds_write_b64 v81, v[83:84]
	buffer_store_dword v82, off, s[0:3], 0 offset:216
	buffer_store_dword v82, off, s[0:3], 0 offset:220
.LBB103_199:
	s_or_b64 exec, exec, s[4:5]
	s_waitcnt lgkmcnt(0)
	; wave barrier
	buffer_load_dword v107, off, s[0:3], 0 offset:228
	buffer_load_dword v108, off, s[0:3], 0 offset:236
	;; [unrolled: 1-line block ×26, first 2 shown]
	ds_read_b128 v[83:86], v82 offset:544
	ds_read_b128 v[87:90], v82 offset:560
	;; [unrolled: 1-line block ×6, first 2 shown]
	v_cmp_lt_u32_e32 vcc, 26, v0
	s_waitcnt vmcnt(25) lgkmcnt(5)
	v_mul_f32_e32 v82, v83, v107
	v_mul_f32_e32 v107, v84, v107
	s_waitcnt vmcnt(24)
	v_mul_f32_e32 v133, v85, v108
	v_mul_f32_e32 v108, v86, v108
	s_waitcnt vmcnt(23) lgkmcnt(4)
	v_mul_f32_e32 v134, v87, v109
	v_mul_f32_e32 v109, v88, v109
	s_waitcnt vmcnt(22)
	v_mul_f32_e32 v135, v89, v110
	v_mul_f32_e32 v110, v90, v110
	;; [unrolled: 6-line block ×3, first 2 shown]
	s_waitcnt vmcnt(13)
	v_fma_f32 v83, v83, v119, -v107
	v_fmac_f32_e32 v82, v84, v119
	s_waitcnt vmcnt(12)
	v_fma_f32 v84, v85, v120, -v108
	v_add_f32_e32 v83, 0, v83
	s_waitcnt vmcnt(11)
	v_fma_f32 v85, v87, v121, -v109
	v_add_f32_e32 v83, v83, v84
	v_fmac_f32_e32 v133, v86, v120
	s_waitcnt vmcnt(10)
	v_fma_f32 v86, v89, v122, -v110
	v_add_f32_e32 v83, v83, v85
	s_waitcnt vmcnt(9)
	v_fma_f32 v87, v91, v123, -v111
	v_add_f32_e32 v83, v83, v86
	s_waitcnt lgkmcnt(2)
	v_mul_f32_e32 v138, v95, v113
	v_mul_f32_e32 v113, v96, v113
	v_fmac_f32_e32 v134, v88, v121
	s_waitcnt vmcnt(8)
	v_fma_f32 v88, v93, v124, -v112
	v_add_f32_e32 v82, 0, v82
	v_add_f32_e32 v83, v83, v87
	v_mul_f32_e32 v139, v97, v114
	v_mul_f32_e32 v114, v98, v114
	s_waitcnt vmcnt(7)
	v_fma_f32 v89, v95, v125, -v113
	v_add_f32_e32 v82, v82, v133
	v_add_f32_e32 v83, v83, v88
	v_fmac_f32_e32 v135, v90, v122
	s_waitcnt vmcnt(6)
	v_fma_f32 v90, v97, v126, -v114
	v_add_f32_e32 v82, v82, v134
	v_add_f32_e32 v83, v83, v89
	s_waitcnt lgkmcnt(1)
	v_mul_f32_e32 v84, v100, v115
	v_fmac_f32_e32 v136, v92, v123
	v_add_f32_e32 v82, v82, v135
	v_add_f32_e32 v83, v83, v90
	s_waitcnt vmcnt(5)
	v_fma_f32 v84, v99, v127, -v84
	v_fmac_f32_e32 v137, v94, v124
	v_add_f32_e32 v82, v82, v136
	v_add_f32_e32 v83, v83, v84
	v_mul_f32_e32 v84, v102, v116
	v_fmac_f32_e32 v138, v96, v125
	v_add_f32_e32 v82, v82, v137
	s_waitcnt vmcnt(4)
	v_fma_f32 v84, v101, v128, -v84
	v_mul_f32_e32 v140, v99, v115
	v_fmac_f32_e32 v139, v98, v126
	v_add_f32_e32 v82, v82, v138
	v_add_f32_e32 v83, v83, v84
	s_waitcnt lgkmcnt(0)
	v_mul_f32_e32 v84, v104, v117
	v_mul_f32_e32 v141, v101, v116
	v_fmac_f32_e32 v140, v100, v127
	v_add_f32_e32 v82, v82, v139
	s_waitcnt vmcnt(3)
	v_fma_f32 v84, v103, v129, -v84
	v_mul_f32_e32 v142, v103, v117
	v_fmac_f32_e32 v141, v102, v128
	v_add_f32_e32 v82, v82, v140
	v_add_f32_e32 v83, v83, v84
	v_mul_f32_e32 v84, v106, v118
	v_mul_f32_e32 v143, v105, v118
	v_fmac_f32_e32 v142, v104, v129
	v_add_f32_e32 v82, v82, v141
	s_waitcnt vmcnt(2)
	v_fma_f32 v84, v105, v130, -v84
	v_fmac_f32_e32 v143, v106, v130
	v_add_f32_e32 v82, v82, v142
	v_add_f32_e32 v83, v83, v84
	;; [unrolled: 1-line block ×3, first 2 shown]
	s_waitcnt vmcnt(1)
	v_sub_f32_e32 v83, v131, v83
	s_waitcnt vmcnt(0)
	v_sub_f32_e32 v82, v132, v82
	buffer_store_dword v83, off, s[0:3], 0 offset:216
	buffer_store_dword v82, off, s[0:3], 0 offset:220
	s_and_saveexec_b64 s[4:5], vcc
	s_cbranch_execz .LBB103_201
; %bb.200:
	buffer_load_dword v82, off, s[0:3], 0 offset:208
	buffer_load_dword v83, off, s[0:3], 0 offset:212
	v_mov_b32_e32 v84, 0
	buffer_store_dword v84, off, s[0:3], 0 offset:208
	buffer_store_dword v84, off, s[0:3], 0 offset:212
	s_waitcnt vmcnt(2)
	ds_write_b64 v81, v[82:83]
.LBB103_201:
	s_or_b64 exec, exec, s[4:5]
	s_waitcnt lgkmcnt(0)
	; wave barrier
	buffer_load_dword v109, off, s[0:3], 0 offset:220
	buffer_load_dword v110, off, s[0:3], 0 offset:228
	;; [unrolled: 1-line block ×28, first 2 shown]
	v_mov_b32_e32 v82, 0
	ds_read2_b64 v[83:86], v82 offset0:67 offset1:68
	ds_read2_b64 v[87:90], v82 offset0:69 offset1:70
	;; [unrolled: 1-line block ×6, first 2 shown]
	ds_read_b64 v[107:108], v82 offset:632
	v_cmp_lt_u32_e32 vcc, 25, v0
	s_waitcnt vmcnt(27) lgkmcnt(6)
	v_mul_f32_e32 v137, v83, v109
	v_mul_f32_e32 v109, v84, v109
	s_waitcnt vmcnt(26)
	v_mul_f32_e32 v138, v85, v110
	v_mul_f32_e32 v110, v86, v110
	s_waitcnt vmcnt(25) lgkmcnt(5)
	v_mul_f32_e32 v139, v87, v111
	v_mul_f32_e32 v111, v88, v111
	s_waitcnt vmcnt(24)
	v_mul_f32_e32 v140, v89, v112
	v_mul_f32_e32 v112, v90, v112
	;; [unrolled: 6-line block ×3, first 2 shown]
	s_waitcnt vmcnt(21) lgkmcnt(3)
	v_mul_f32_e32 v143, v95, v115
	s_waitcnt vmcnt(14)
	v_fma_f32 v83, v83, v122, -v109
	v_fmac_f32_e32 v137, v84, v122
	s_waitcnt vmcnt(13)
	v_fma_f32 v84, v85, v123, -v110
	v_add_f32_e32 v83, 0, v83
	s_waitcnt vmcnt(12)
	v_fma_f32 v85, v87, v124, -v111
	v_add_f32_e32 v83, v83, v84
	v_fmac_f32_e32 v138, v86, v123
	s_waitcnt vmcnt(11)
	v_fma_f32 v86, v89, v125, -v112
	v_add_f32_e32 v83, v83, v85
	s_waitcnt vmcnt(10)
	v_fma_f32 v87, v91, v126, -v113
	v_add_f32_e32 v83, v83, v86
	v_fmac_f32_e32 v139, v88, v124
	s_waitcnt vmcnt(9)
	v_fma_f32 v88, v93, v127, -v114
	v_add_f32_e32 v83, v83, v87
	v_mul_f32_e32 v85, v96, v115
	v_add_f32_e32 v83, v83, v88
	s_waitcnt vmcnt(8)
	v_fma_f32 v85, v95, v128, -v85
	v_add_f32_e32 v83, v83, v85
	v_mul_f32_e32 v85, v98, v116
	v_add_f32_e32 v89, 0, v137
	s_waitcnt vmcnt(7)
	v_fma_f32 v85, v97, v129, -v85
	v_add_f32_e32 v89, v89, v138
	v_add_f32_e32 v83, v83, v85
	s_waitcnt lgkmcnt(2)
	v_mul_f32_e32 v85, v100, v117
	v_fmac_f32_e32 v140, v90, v125
	v_add_f32_e32 v84, v89, v139
	s_waitcnt vmcnt(6)
	v_fma_f32 v85, v99, v130, -v85
	v_fmac_f32_e32 v141, v92, v126
	v_add_f32_e32 v84, v84, v140
	v_add_f32_e32 v83, v83, v85
	v_mul_f32_e32 v85, v102, v118
	v_fmac_f32_e32 v142, v94, v127
	v_add_f32_e32 v84, v84, v141
	s_waitcnt vmcnt(5)
	v_fma_f32 v85, v101, v131, -v85
	v_mul_f32_e32 v144, v97, v116
	v_fmac_f32_e32 v143, v96, v128
	v_add_f32_e32 v84, v84, v142
	v_add_f32_e32 v83, v83, v85
	s_waitcnt lgkmcnt(1)
	v_mul_f32_e32 v85, v104, v119
	v_mul_f32_e32 v145, v99, v117
	v_fmac_f32_e32 v144, v98, v129
	v_add_f32_e32 v84, v84, v143
	s_waitcnt vmcnt(4)
	v_fma_f32 v85, v103, v132, -v85
	v_mul_f32_e32 v146, v101, v118
	v_fmac_f32_e32 v145, v100, v130
	v_add_f32_e32 v84, v84, v144
	v_add_f32_e32 v83, v83, v85
	v_mul_f32_e32 v85, v106, v120
	v_mul_f32_e32 v147, v103, v119
	v_fmac_f32_e32 v146, v102, v131
	v_add_f32_e32 v84, v84, v145
	s_waitcnt vmcnt(3)
	v_fma_f32 v85, v105, v133, -v85
	v_mul_f32_e32 v148, v105, v120
	v_fmac_f32_e32 v147, v104, v132
	v_add_f32_e32 v84, v84, v146
	v_add_f32_e32 v83, v83, v85
	s_waitcnt lgkmcnt(0)
	v_mul_f32_e32 v85, v108, v121
	v_mul_f32_e32 v149, v107, v121
	v_fmac_f32_e32 v148, v106, v133
	v_add_f32_e32 v84, v84, v147
	s_waitcnt vmcnt(2)
	v_fma_f32 v85, v107, v134, -v85
	v_fmac_f32_e32 v149, v108, v134
	v_add_f32_e32 v84, v84, v148
	v_add_f32_e32 v83, v83, v85
	;; [unrolled: 1-line block ×3, first 2 shown]
	s_waitcnt vmcnt(1)
	v_sub_f32_e32 v83, v135, v83
	s_waitcnt vmcnt(0)
	v_sub_f32_e32 v84, v136, v84
	buffer_store_dword v83, off, s[0:3], 0 offset:208
	buffer_store_dword v84, off, s[0:3], 0 offset:212
	s_and_saveexec_b64 s[4:5], vcc
	s_cbranch_execz .LBB103_203
; %bb.202:
	buffer_load_dword v83, off, s[0:3], 0 offset:200
	buffer_load_dword v84, off, s[0:3], 0 offset:204
	s_waitcnt vmcnt(0)
	ds_write_b64 v81, v[83:84]
	buffer_store_dword v82, off, s[0:3], 0 offset:200
	buffer_store_dword v82, off, s[0:3], 0 offset:204
.LBB103_203:
	s_or_b64 exec, exec, s[4:5]
	s_waitcnt lgkmcnt(0)
	; wave barrier
	buffer_load_dword v111, off, s[0:3], 0 offset:212
	buffer_load_dword v112, off, s[0:3], 0 offset:220
	;; [unrolled: 1-line block ×30, first 2 shown]
	ds_read_b128 v[83:86], v82 offset:528
	ds_read_b128 v[87:90], v82 offset:544
	;; [unrolled: 1-line block ×7, first 2 shown]
	v_cmp_lt_u32_e32 vcc, 24, v0
	s_waitcnt vmcnt(29) lgkmcnt(6)
	v_mul_f32_e32 v82, v83, v111
	v_mul_f32_e32 v111, v84, v111
	s_waitcnt vmcnt(28)
	v_mul_f32_e32 v141, v85, v112
	v_mul_f32_e32 v112, v86, v112
	s_waitcnt vmcnt(27) lgkmcnt(5)
	v_mul_f32_e32 v142, v87, v113
	v_mul_f32_e32 v113, v88, v113
	s_waitcnt vmcnt(26)
	v_mul_f32_e32 v143, v89, v114
	v_mul_f32_e32 v114, v90, v114
	s_waitcnt vmcnt(25) lgkmcnt(4)
	v_mul_f32_e32 v144, v91, v115
	v_mul_f32_e32 v115, v92, v115
	s_waitcnt vmcnt(24)
	v_mul_f32_e32 v145, v93, v116
	s_waitcnt vmcnt(23) lgkmcnt(3)
	v_mul_f32_e32 v146, v95, v117
	s_waitcnt vmcnt(22)
	v_mul_f32_e32 v147, v97, v118
	s_waitcnt vmcnt(21) lgkmcnt(2)
	v_mul_f32_e32 v148, v99, v119
	s_waitcnt vmcnt(15)
	v_fma_f32 v83, v83, v125, -v111
	v_fmac_f32_e32 v82, v84, v125
	s_waitcnt vmcnt(14)
	v_fma_f32 v84, v85, v126, -v112
	v_add_f32_e32 v83, 0, v83
	s_waitcnt vmcnt(13)
	v_fma_f32 v85, v87, v127, -v113
	v_add_f32_e32 v83, v83, v84
	v_fmac_f32_e32 v141, v86, v126
	s_waitcnt vmcnt(12)
	v_fma_f32 v86, v89, v128, -v114
	v_add_f32_e32 v83, v83, v85
	s_waitcnt vmcnt(11)
	v_fma_f32 v87, v91, v129, -v115
	v_add_f32_e32 v83, v83, v86
	v_mul_f32_e32 v84, v94, v116
	v_add_f32_e32 v83, v83, v87
	s_waitcnt vmcnt(10)
	v_fma_f32 v84, v93, v130, -v84
	v_add_f32_e32 v83, v83, v84
	v_mul_f32_e32 v84, v96, v117
	s_waitcnt vmcnt(9)
	v_fma_f32 v84, v95, v131, -v84
	v_add_f32_e32 v83, v83, v84
	v_mul_f32_e32 v84, v98, v118
	s_waitcnt vmcnt(8)
	v_fma_f32 v84, v97, v132, -v84
	v_add_f32_e32 v82, 0, v82
	v_add_f32_e32 v83, v83, v84
	v_mul_f32_e32 v84, v100, v119
	v_fmac_f32_e32 v142, v88, v127
	v_add_f32_e32 v82, v82, v141
	s_waitcnt vmcnt(7)
	v_fma_f32 v84, v99, v133, -v84
	v_fmac_f32_e32 v143, v90, v128
	v_add_f32_e32 v82, v82, v142
	v_add_f32_e32 v83, v83, v84
	v_mul_f32_e32 v84, v102, v120
	v_fmac_f32_e32 v144, v92, v129
	v_add_f32_e32 v82, v82, v143
	s_waitcnt vmcnt(6)
	v_fma_f32 v84, v101, v134, -v84
	v_fmac_f32_e32 v145, v94, v130
	v_add_f32_e32 v82, v82, v144
	v_add_f32_e32 v83, v83, v84
	s_waitcnt lgkmcnt(1)
	v_mul_f32_e32 v84, v104, v121
	v_fmac_f32_e32 v146, v96, v131
	v_add_f32_e32 v82, v82, v145
	s_waitcnt vmcnt(5)
	v_fma_f32 v84, v103, v135, -v84
	v_fmac_f32_e32 v147, v98, v132
	v_add_f32_e32 v82, v82, v146
	v_add_f32_e32 v83, v83, v84
	v_mul_f32_e32 v84, v106, v122
	v_mul_f32_e32 v149, v101, v120
	v_fmac_f32_e32 v148, v100, v133
	v_add_f32_e32 v82, v82, v147
	s_waitcnt vmcnt(4)
	v_fma_f32 v84, v105, v136, -v84
	v_mul_f32_e32 v150, v103, v121
	v_fmac_f32_e32 v149, v102, v134
	v_add_f32_e32 v82, v82, v148
	v_add_f32_e32 v83, v83, v84
	s_waitcnt lgkmcnt(0)
	v_mul_f32_e32 v84, v108, v123
	v_mul_f32_e32 v151, v105, v122
	v_fmac_f32_e32 v150, v104, v135
	v_add_f32_e32 v82, v82, v149
	s_waitcnt vmcnt(3)
	v_fma_f32 v84, v107, v137, -v84
	v_mul_f32_e32 v152, v107, v123
	v_fmac_f32_e32 v151, v106, v136
	v_add_f32_e32 v82, v82, v150
	v_add_f32_e32 v83, v83, v84
	v_mul_f32_e32 v84, v110, v124
	v_mul_f32_e32 v153, v109, v124
	v_fmac_f32_e32 v152, v108, v137
	v_add_f32_e32 v82, v82, v151
	s_waitcnt vmcnt(2)
	v_fma_f32 v84, v109, v138, -v84
	v_fmac_f32_e32 v153, v110, v138
	v_add_f32_e32 v82, v82, v152
	v_add_f32_e32 v83, v83, v84
	;; [unrolled: 1-line block ×3, first 2 shown]
	s_waitcnt vmcnt(1)
	v_sub_f32_e32 v83, v139, v83
	s_waitcnt vmcnt(0)
	v_sub_f32_e32 v82, v140, v82
	buffer_store_dword v83, off, s[0:3], 0 offset:200
	buffer_store_dword v82, off, s[0:3], 0 offset:204
	s_and_saveexec_b64 s[4:5], vcc
	s_cbranch_execz .LBB103_205
; %bb.204:
	buffer_load_dword v82, off, s[0:3], 0 offset:192
	buffer_load_dword v83, off, s[0:3], 0 offset:196
	v_mov_b32_e32 v84, 0
	buffer_store_dword v84, off, s[0:3], 0 offset:192
	buffer_store_dword v84, off, s[0:3], 0 offset:196
	s_waitcnt vmcnt(2)
	ds_write_b64 v81, v[82:83]
.LBB103_205:
	s_or_b64 exec, exec, s[4:5]
	s_waitcnt lgkmcnt(0)
	; wave barrier
	buffer_load_dword v113, off, s[0:3], 0 offset:204
	buffer_load_dword v114, off, s[0:3], 0 offset:212
	;; [unrolled: 1-line block ×32, first 2 shown]
	v_mov_b32_e32 v82, 0
	ds_read2_b64 v[83:86], v82 offset0:65 offset1:66
	ds_read2_b64 v[87:90], v82 offset0:67 offset1:68
	;; [unrolled: 1-line block ×7, first 2 shown]
	ds_read_b64 v[111:112], v82 offset:632
	v_cmp_lt_u32_e32 vcc, 23, v0
	s_waitcnt vmcnt(31) lgkmcnt(7)
	v_mul_f32_e32 v145, v83, v113
	v_mul_f32_e32 v113, v84, v113
	s_waitcnt vmcnt(30)
	v_mul_f32_e32 v146, v85, v114
	v_mul_f32_e32 v114, v86, v114
	s_waitcnt vmcnt(29) lgkmcnt(6)
	v_mul_f32_e32 v147, v87, v115
	v_mul_f32_e32 v115, v88, v115
	s_waitcnt vmcnt(28)
	v_mul_f32_e32 v148, v89, v116
	s_waitcnt vmcnt(27) lgkmcnt(5)
	v_mul_f32_e32 v149, v91, v117
	s_waitcnt vmcnt(26)
	v_mul_f32_e32 v150, v93, v118
	s_waitcnt vmcnt(25) lgkmcnt(4)
	;; [unrolled: 4-line block ×4, first 2 shown]
	v_mul_f32_e32 v155, v103, v123
	s_waitcnt vmcnt(20)
	v_mul_f32_e32 v156, v105, v124
	s_waitcnt vmcnt(16)
	v_fma_f32 v83, v83, v128, -v113
	v_fmac_f32_e32 v145, v84, v128
	s_waitcnt vmcnt(15)
	v_fma_f32 v84, v85, v129, -v114
	v_add_f32_e32 v83, 0, v83
	s_waitcnt vmcnt(14)
	v_fma_f32 v85, v87, v130, -v115
	v_add_f32_e32 v83, v83, v84
	v_add_f32_e32 v83, v83, v85
	v_mul_f32_e32 v85, v90, v116
	s_waitcnt vmcnt(13)
	v_fma_f32 v85, v89, v131, -v85
	v_add_f32_e32 v83, v83, v85
	v_mul_f32_e32 v85, v92, v117
	s_waitcnt vmcnt(12)
	v_fma_f32 v85, v91, v132, -v85
	;; [unrolled: 4-line block ×5, first 2 shown]
	v_add_f32_e32 v83, v83, v85
	v_mul_f32_e32 v85, v100, v121
	v_fmac_f32_e32 v146, v86, v129
	v_add_f32_e32 v86, 0, v145
	s_waitcnt vmcnt(8)
	v_fma_f32 v85, v99, v136, -v85
	v_fmac_f32_e32 v147, v88, v130
	v_add_f32_e32 v86, v86, v146
	v_add_f32_e32 v83, v83, v85
	v_mul_f32_e32 v85, v102, v122
	v_fmac_f32_e32 v148, v90, v131
	v_add_f32_e32 v84, v86, v147
	s_waitcnt vmcnt(7)
	v_fma_f32 v85, v101, v137, -v85
	v_fmac_f32_e32 v149, v92, v132
	v_add_f32_e32 v84, v84, v148
	;; [unrolled: 8-line block ×4, first 2 shown]
	v_add_f32_e32 v83, v83, v85
	s_waitcnt lgkmcnt(1)
	v_mul_f32_e32 v85, v108, v125
	v_fmac_f32_e32 v154, v102, v137
	v_add_f32_e32 v84, v84, v153
	s_waitcnt vmcnt(4)
	v_fma_f32 v85, v107, v140, -v85
	v_fmac_f32_e32 v155, v104, v138
	v_add_f32_e32 v84, v84, v154
	v_add_f32_e32 v83, v83, v85
	v_mul_f32_e32 v85, v110, v126
	v_mul_f32_e32 v157, v107, v125
	v_fmac_f32_e32 v156, v106, v139
	v_add_f32_e32 v84, v84, v155
	s_waitcnt vmcnt(3)
	v_fma_f32 v85, v109, v141, -v85
	v_mul_f32_e32 v158, v109, v126
	v_fmac_f32_e32 v157, v108, v140
	v_add_f32_e32 v84, v84, v156
	v_add_f32_e32 v83, v83, v85
	s_waitcnt lgkmcnt(0)
	v_mul_f32_e32 v85, v112, v127
	v_mul_f32_e32 v159, v111, v127
	v_fmac_f32_e32 v158, v110, v141
	v_add_f32_e32 v84, v84, v157
	s_waitcnt vmcnt(2)
	v_fma_f32 v85, v111, v142, -v85
	v_fmac_f32_e32 v159, v112, v142
	v_add_f32_e32 v84, v84, v158
	v_add_f32_e32 v83, v83, v85
	;; [unrolled: 1-line block ×3, first 2 shown]
	s_waitcnt vmcnt(1)
	v_sub_f32_e32 v83, v143, v83
	s_waitcnt vmcnt(0)
	v_sub_f32_e32 v84, v144, v84
	buffer_store_dword v83, off, s[0:3], 0 offset:192
	buffer_store_dword v84, off, s[0:3], 0 offset:196
	s_and_saveexec_b64 s[4:5], vcc
	s_cbranch_execz .LBB103_207
; %bb.206:
	buffer_load_dword v83, off, s[0:3], 0 offset:184
	buffer_load_dword v84, off, s[0:3], 0 offset:188
	s_waitcnt vmcnt(0)
	ds_write_b64 v81, v[83:84]
	buffer_store_dword v82, off, s[0:3], 0 offset:184
	buffer_store_dword v82, off, s[0:3], 0 offset:188
.LBB103_207:
	s_or_b64 exec, exec, s[4:5]
	s_waitcnt lgkmcnt(0)
	; wave barrier
	buffer_load_dword v115, off, s[0:3], 0 offset:196
	buffer_load_dword v116, off, s[0:3], 0 offset:204
	;; [unrolled: 1-line block ×34, first 2 shown]
	ds_read_b128 v[83:86], v82 offset:512
	ds_read_b128 v[87:90], v82 offset:528
	;; [unrolled: 1-line block ×8, first 2 shown]
	v_cmp_lt_u32_e32 vcc, 22, v0
	s_waitcnt vmcnt(33) lgkmcnt(7)
	v_mul_f32_e32 v82, v83, v115
	v_mul_f32_e32 v115, v84, v115
	s_waitcnt vmcnt(32)
	v_mul_f32_e32 v149, v85, v116
	v_mul_f32_e32 v116, v86, v116
	s_waitcnt vmcnt(31) lgkmcnt(6)
	v_mul_f32_e32 v150, v87, v117
	s_waitcnt vmcnt(30)
	v_mul_f32_e32 v151, v89, v118
	s_waitcnt vmcnt(29) lgkmcnt(5)
	v_mul_f32_e32 v152, v91, v119
	s_waitcnt vmcnt(28)
	;; [unrolled: 4-line block ×6, first 2 shown]
	v_mul_f32_e32 v161, v109, v128
	s_waitcnt vmcnt(17)
	v_fma_f32 v83, v83, v131, -v115
	v_fmac_f32_e32 v82, v84, v131
	s_waitcnt vmcnt(16)
	v_fma_f32 v84, v85, v132, -v116
	v_add_f32_e32 v83, 0, v83
	v_add_f32_e32 v83, v83, v84
	v_mul_f32_e32 v84, v88, v117
	s_waitcnt vmcnt(15)
	v_fma_f32 v84, v87, v133, -v84
	v_add_f32_e32 v83, v83, v84
	v_mul_f32_e32 v84, v90, v118
	s_waitcnt vmcnt(14)
	v_fma_f32 v84, v89, v134, -v84
	;; [unrolled: 4-line block ×7, first 2 shown]
	v_fmac_f32_e32 v149, v86, v132
	v_add_f32_e32 v82, 0, v82
	v_add_f32_e32 v83, v83, v84
	v_mul_f32_e32 v84, v102, v124
	v_fmac_f32_e32 v150, v88, v133
	v_add_f32_e32 v82, v82, v149
	s_waitcnt vmcnt(8)
	v_fma_f32 v84, v101, v140, -v84
	v_fmac_f32_e32 v151, v90, v134
	v_add_f32_e32 v82, v82, v150
	v_add_f32_e32 v83, v83, v84
	v_mul_f32_e32 v84, v104, v125
	v_fmac_f32_e32 v152, v92, v135
	v_add_f32_e32 v82, v82, v151
	s_waitcnt vmcnt(7)
	v_fma_f32 v84, v103, v141, -v84
	;; [unrolled: 8-line block ×5, first 2 shown]
	v_fmac_f32_e32 v159, v106, v142
	v_add_f32_e32 v82, v82, v158
	v_add_f32_e32 v83, v83, v84
	s_waitcnt lgkmcnt(0)
	v_mul_f32_e32 v84, v112, v129
	v_fmac_f32_e32 v160, v108, v143
	v_add_f32_e32 v82, v82, v159
	s_waitcnt vmcnt(3)
	v_fma_f32 v84, v111, v145, -v84
	v_mul_f32_e32 v162, v111, v129
	v_fmac_f32_e32 v161, v110, v144
	v_add_f32_e32 v82, v82, v160
	v_add_f32_e32 v83, v83, v84
	v_mul_f32_e32 v84, v114, v130
	v_mul_f32_e32 v163, v113, v130
	v_fmac_f32_e32 v162, v112, v145
	v_add_f32_e32 v82, v82, v161
	s_waitcnt vmcnt(2)
	v_fma_f32 v84, v113, v146, -v84
	v_fmac_f32_e32 v163, v114, v146
	v_add_f32_e32 v82, v82, v162
	v_add_f32_e32 v83, v83, v84
	;; [unrolled: 1-line block ×3, first 2 shown]
	s_waitcnt vmcnt(1)
	v_sub_f32_e32 v83, v147, v83
	s_waitcnt vmcnt(0)
	v_sub_f32_e32 v82, v148, v82
	buffer_store_dword v83, off, s[0:3], 0 offset:184
	buffer_store_dword v82, off, s[0:3], 0 offset:188
	s_and_saveexec_b64 s[4:5], vcc
	s_cbranch_execz .LBB103_209
; %bb.208:
	buffer_load_dword v82, off, s[0:3], 0 offset:176
	buffer_load_dword v83, off, s[0:3], 0 offset:180
	v_mov_b32_e32 v84, 0
	buffer_store_dword v84, off, s[0:3], 0 offset:176
	buffer_store_dword v84, off, s[0:3], 0 offset:180
	s_waitcnt vmcnt(2)
	ds_write_b64 v81, v[82:83]
.LBB103_209:
	s_or_b64 exec, exec, s[4:5]
	s_waitcnt lgkmcnt(0)
	; wave barrier
	buffer_load_dword v117, off, s[0:3], 0 offset:188
	buffer_load_dword v118, off, s[0:3], 0 offset:196
	;; [unrolled: 1-line block ×36, first 2 shown]
	v_mov_b32_e32 v82, 0
	ds_read2_b64 v[83:86], v82 offset0:63 offset1:64
	ds_read2_b64 v[87:90], v82 offset0:65 offset1:66
	ds_read2_b64 v[91:94], v82 offset0:67 offset1:68
	ds_read2_b64 v[95:98], v82 offset0:69 offset1:70
	ds_read2_b64 v[99:102], v82 offset0:71 offset1:72
	ds_read2_b64 v[103:106], v82 offset0:73 offset1:74
	ds_read2_b64 v[107:110], v82 offset0:75 offset1:76
	ds_read2_b64 v[111:114], v82 offset0:77 offset1:78
	ds_read_b64 v[115:116], v82 offset:632
	v_cmp_lt_u32_e32 vcc, 21, v0
	s_waitcnt vmcnt(35) lgkmcnt(8)
	v_mul_f32_e32 v153, v83, v117
	s_waitcnt vmcnt(34)
	v_mul_f32_e32 v154, v85, v118
	s_waitcnt vmcnt(33) lgkmcnt(7)
	v_mul_f32_e32 v155, v87, v119
	s_waitcnt vmcnt(32)
	v_mul_f32_e32 v156, v89, v120
	;; [unrolled: 4-line block ×8, first 2 shown]
	s_waitcnt vmcnt(19) lgkmcnt(0)
	v_mul_f32_e32 v169, v115, v133
	s_waitcnt vmcnt(18)
	v_fmac_f32_e32 v153, v84, v134
	v_mul_f32_e32 v84, v84, v117
	v_fma_f32 v83, v83, v134, -v84
	v_mul_f32_e32 v84, v86, v118
	v_add_f32_e32 v83, 0, v83
	s_waitcnt vmcnt(17)
	v_fma_f32 v84, v85, v135, -v84
	v_add_f32_e32 v83, v83, v84
	v_mul_f32_e32 v84, v88, v119
	s_waitcnt vmcnt(16)
	v_fma_f32 v84, v87, v136, -v84
	v_add_f32_e32 v83, v83, v84
	v_mul_f32_e32 v84, v90, v120
	;; [unrolled: 4-line block ×8, first 2 shown]
	v_fmac_f32_e32 v154, v86, v135
	v_add_f32_e32 v153, 0, v153
	s_waitcnt vmcnt(9)
	v_fma_f32 v84, v101, v143, -v84
	v_fmac_f32_e32 v155, v88, v136
	v_add_f32_e32 v153, v153, v154
	v_add_f32_e32 v83, v83, v84
	v_mul_f32_e32 v84, v104, v127
	v_fmac_f32_e32 v156, v90, v137
	v_add_f32_e32 v153, v153, v155
	s_waitcnt vmcnt(8)
	v_fma_f32 v84, v103, v144, -v84
	v_fmac_f32_e32 v157, v92, v138
	v_add_f32_e32 v153, v153, v156
	v_add_f32_e32 v83, v83, v84
	v_mul_f32_e32 v84, v106, v128
	;; [unrolled: 8-line block ×7, first 2 shown]
	v_fmac_f32_e32 v168, v114, v149
	v_add_f32_e32 v153, v153, v167
	s_waitcnt vmcnt(2)
	v_fma_f32 v84, v115, v150, -v84
	v_fmac_f32_e32 v169, v116, v150
	v_add_f32_e32 v153, v153, v168
	v_add_f32_e32 v83, v83, v84
	;; [unrolled: 1-line block ×3, first 2 shown]
	s_waitcnt vmcnt(1)
	v_sub_f32_e32 v83, v151, v83
	s_waitcnt vmcnt(0)
	v_sub_f32_e32 v84, v152, v153
	buffer_store_dword v83, off, s[0:3], 0 offset:176
	buffer_store_dword v84, off, s[0:3], 0 offset:180
	s_and_saveexec_b64 s[4:5], vcc
	s_cbranch_execz .LBB103_211
; %bb.210:
	buffer_load_dword v83, off, s[0:3], 0 offset:168
	buffer_load_dword v84, off, s[0:3], 0 offset:172
	s_waitcnt vmcnt(0)
	ds_write_b64 v81, v[83:84]
	buffer_store_dword v82, off, s[0:3], 0 offset:168
	buffer_store_dword v82, off, s[0:3], 0 offset:172
.LBB103_211:
	s_or_b64 exec, exec, s[4:5]
	s_waitcnt lgkmcnt(0)
	; wave barrier
	buffer_load_dword v119, off, s[0:3], 0 offset:180
	buffer_load_dword v120, off, s[0:3], 0 offset:188
	;; [unrolled: 1-line block ×38, first 2 shown]
	ds_read_b128 v[83:86], v82 offset:496
	ds_read_b128 v[87:90], v82 offset:512
	ds_read_b128 v[91:94], v82 offset:528
	ds_read_b128 v[95:98], v82 offset:544
	ds_read_b128 v[99:102], v82 offset:560
	ds_read_b128 v[103:106], v82 offset:576
	ds_read_b128 v[107:110], v82 offset:592
	ds_read_b128 v[111:114], v82 offset:608
	ds_read_b128 v[115:118], v82 offset:624
	v_cmp_lt_u32_e32 vcc, 20, v0
	s_waitcnt vmcnt(37) lgkmcnt(8)
	v_mul_f32_e32 v82, v83, v119
	s_waitcnt vmcnt(36)
	v_mul_f32_e32 v157, v85, v120
	s_waitcnt vmcnt(35) lgkmcnt(7)
	v_mul_f32_e32 v158, v87, v121
	s_waitcnt vmcnt(34)
	v_mul_f32_e32 v159, v89, v122
	;; [unrolled: 4-line block ×8, first 2 shown]
	s_waitcnt vmcnt(21) lgkmcnt(0)
	v_mul_f32_e32 v172, v115, v135
	s_waitcnt vmcnt(20)
	v_fmac_f32_e32 v82, v84, v136
	v_mul_f32_e32 v84, v84, v119
	v_fma_f32 v83, v83, v136, -v84
	v_mul_f32_e32 v84, v86, v120
	v_add_f32_e32 v83, 0, v83
	s_waitcnt vmcnt(19)
	v_fma_f32 v84, v85, v137, -v84
	v_add_f32_e32 v83, v83, v84
	v_mul_f32_e32 v84, v88, v121
	s_waitcnt vmcnt(18)
	v_fma_f32 v84, v87, v138, -v84
	v_add_f32_e32 v83, v83, v84
	v_mul_f32_e32 v84, v90, v122
	;; [unrolled: 4-line block ×8, first 2 shown]
	s_waitcnt vmcnt(11)
	v_fma_f32 v84, v101, v145, -v84
	v_fmac_f32_e32 v157, v86, v137
	v_add_f32_e32 v82, 0, v82
	v_add_f32_e32 v83, v83, v84
	v_mul_f32_e32 v84, v104, v129
	v_fmac_f32_e32 v158, v88, v138
	v_add_f32_e32 v82, v82, v157
	s_waitcnt vmcnt(10)
	v_fma_f32 v84, v103, v146, -v84
	v_fmac_f32_e32 v159, v90, v139
	v_add_f32_e32 v82, v82, v158
	v_add_f32_e32 v83, v83, v84
	v_mul_f32_e32 v84, v106, v130
	v_fmac_f32_e32 v160, v92, v140
	v_add_f32_e32 v82, v82, v159
	;; [unrolled: 8-line block ×7, first 2 shown]
	s_waitcnt vmcnt(4)
	v_fma_f32 v84, v115, v152, -v84
	v_fmac_f32_e32 v171, v114, v151
	v_add_f32_e32 v82, v82, v170
	v_add_f32_e32 v83, v83, v84
	s_waitcnt vmcnt(3)
	v_mul_f32_e32 v84, v118, v153
	v_add_f32_e32 v82, v82, v171
	v_fmac_f32_e32 v172, v116, v152
	v_mul_f32_e32 v157, v117, v153
	s_waitcnt vmcnt(2)
	v_fma_f32 v84, v117, v154, -v84
	v_add_f32_e32 v82, v82, v172
	v_fmac_f32_e32 v157, v118, v154
	v_add_f32_e32 v83, v83, v84
	v_add_f32_e32 v82, v82, v157
	s_waitcnt vmcnt(1)
	v_sub_f32_e32 v83, v155, v83
	s_waitcnt vmcnt(0)
	v_sub_f32_e32 v82, v156, v82
	buffer_store_dword v83, off, s[0:3], 0 offset:168
	buffer_store_dword v82, off, s[0:3], 0 offset:172
	s_and_saveexec_b64 s[4:5], vcc
	s_cbranch_execz .LBB103_213
; %bb.212:
	buffer_load_dword v82, off, s[0:3], 0 offset:160
	buffer_load_dword v83, off, s[0:3], 0 offset:164
	v_mov_b32_e32 v84, 0
	buffer_store_dword v84, off, s[0:3], 0 offset:160
	buffer_store_dword v84, off, s[0:3], 0 offset:164
	s_waitcnt vmcnt(2)
	ds_write_b64 v81, v[82:83]
.LBB103_213:
	s_or_b64 exec, exec, s[4:5]
	s_waitcnt lgkmcnt(0)
	; wave barrier
	buffer_load_dword v121, off, s[0:3], 0 offset:172
	buffer_load_dword v122, off, s[0:3], 0 offset:180
	;; [unrolled: 1-line block ×40, first 2 shown]
	v_mov_b32_e32 v82, 0
	ds_read2_b64 v[83:86], v82 offset0:61 offset1:62
	ds_read2_b64 v[87:90], v82 offset0:63 offset1:64
	;; [unrolled: 1-line block ×9, first 2 shown]
	v_cmp_lt_u32_e32 vcc, 19, v0
	s_waitcnt vmcnt(39) lgkmcnt(8)
	v_mul_f32_e32 v119, v83, v121
	s_waitcnt vmcnt(38)
	v_mul_f32_e32 v120, v85, v122
	s_waitcnt vmcnt(37) lgkmcnt(7)
	v_mul_f32_e32 v161, v87, v123
	s_waitcnt vmcnt(36)
	v_mul_f32_e32 v162, v89, v124
	s_waitcnt vmcnt(35) lgkmcnt(6)
	v_mul_f32_e32 v163, v91, v125
	s_waitcnt vmcnt(34)
	v_mul_f32_e32 v164, v93, v126
	s_waitcnt vmcnt(33) lgkmcnt(5)
	v_mul_f32_e32 v165, v95, v127
	s_waitcnt vmcnt(32)
	v_mul_f32_e32 v166, v97, v128
	s_waitcnt vmcnt(31) lgkmcnt(4)
	v_mul_f32_e32 v167, v99, v129
	s_waitcnt vmcnt(30)
	v_mul_f32_e32 v168, v101, v130
	s_waitcnt vmcnt(29) lgkmcnt(3)
	v_mul_f32_e32 v169, v103, v131
	s_waitcnt vmcnt(28)
	v_mul_f32_e32 v170, v105, v132
	s_waitcnt vmcnt(27) lgkmcnt(2)
	v_mul_f32_e32 v171, v107, v133
	s_waitcnt vmcnt(26)
	v_mul_f32_e32 v172, v109, v134
	s_waitcnt vmcnt(25) lgkmcnt(1)
	v_mul_f32_e32 v173, v111, v135
	s_waitcnt vmcnt(24)
	v_fmac_f32_e32 v119, v84, v136
	v_mul_f32_e32 v84, v84, v121
	v_fma_f32 v83, v83, v136, -v84
	v_mul_f32_e32 v84, v86, v122
	v_add_f32_e32 v83, 0, v83
	s_waitcnt vmcnt(23)
	v_fma_f32 v84, v85, v137, -v84
	v_add_f32_e32 v83, v83, v84
	v_mul_f32_e32 v84, v88, v123
	s_waitcnt vmcnt(22)
	v_fma_f32 v84, v87, v138, -v84
	v_add_f32_e32 v83, v83, v84
	v_mul_f32_e32 v84, v90, v124
	;; [unrolled: 4-line block ×6, first 2 shown]
	s_waitcnt vmcnt(17)
	v_fma_f32 v84, v97, v143, -v84
	v_fmac_f32_e32 v120, v86, v137
	v_add_f32_e32 v119, 0, v119
	v_add_f32_e32 v83, v83, v84
	v_mul_f32_e32 v84, v100, v129
	v_fmac_f32_e32 v161, v88, v138
	v_add_f32_e32 v119, v119, v120
	s_waitcnt vmcnt(16)
	v_fma_f32 v84, v99, v144, -v84
	v_fmac_f32_e32 v162, v90, v139
	v_add_f32_e32 v119, v119, v161
	v_add_f32_e32 v83, v83, v84
	v_mul_f32_e32 v84, v102, v130
	v_fmac_f32_e32 v163, v92, v140
	v_add_f32_e32 v119, v119, v162
	s_waitcnt vmcnt(15)
	v_fma_f32 v84, v101, v145, -v84
	v_fmac_f32_e32 v164, v94, v141
	v_add_f32_e32 v119, v119, v163
	v_add_f32_e32 v83, v83, v84
	v_mul_f32_e32 v84, v104, v131
	v_fmac_f32_e32 v165, v96, v142
	v_add_f32_e32 v119, v119, v164
	s_waitcnt vmcnt(14)
	v_fma_f32 v84, v103, v146, -v84
	v_fmac_f32_e32 v166, v98, v143
	v_add_f32_e32 v119, v119, v165
	v_add_f32_e32 v83, v83, v84
	v_mul_f32_e32 v84, v106, v132
	v_fmac_f32_e32 v167, v100, v144
	v_add_f32_e32 v119, v119, v166
	s_waitcnt vmcnt(13)
	v_fma_f32 v84, v105, v147, -v84
	v_fmac_f32_e32 v168, v102, v145
	v_add_f32_e32 v119, v119, v167
	v_add_f32_e32 v83, v83, v84
	v_mul_f32_e32 v84, v108, v133
	v_fmac_f32_e32 v169, v104, v146
	v_add_f32_e32 v119, v119, v168
	s_waitcnt vmcnt(12)
	v_fma_f32 v84, v107, v148, -v84
	v_fmac_f32_e32 v170, v106, v147
	v_add_f32_e32 v119, v119, v169
	v_add_f32_e32 v83, v83, v84
	v_mul_f32_e32 v84, v110, v134
	v_fmac_f32_e32 v171, v108, v148
	v_add_f32_e32 v119, v119, v170
	s_waitcnt vmcnt(11)
	v_fma_f32 v84, v109, v149, -v84
	v_fmac_f32_e32 v172, v110, v149
	v_add_f32_e32 v119, v119, v171
	v_add_f32_e32 v83, v83, v84
	v_mul_f32_e32 v84, v112, v135
	s_waitcnt vmcnt(10)
	v_fmac_f32_e32 v173, v112, v150
	v_add_f32_e32 v119, v119, v172
	s_waitcnt vmcnt(9)
	v_mul_f32_e32 v120, v113, v151
	v_fma_f32 v84, v111, v150, -v84
	v_add_f32_e32 v119, v119, v173
	s_waitcnt vmcnt(8)
	v_fmac_f32_e32 v120, v114, v152
	v_add_f32_e32 v83, v83, v84
	v_mul_f32_e32 v84, v114, v151
	v_add_f32_e32 v161, v119, v120
	ds_read_b64 v[119:120], v82 offset:632
	v_fma_f32 v84, v113, v152, -v84
	v_add_f32_e32 v83, v83, v84
	s_waitcnt vmcnt(7) lgkmcnt(1)
	v_mul_f32_e32 v84, v116, v153
	v_mul_f32_e32 v162, v115, v153
	s_waitcnt vmcnt(6)
	v_fma_f32 v84, v115, v154, -v84
	v_fmac_f32_e32 v162, v116, v154
	v_add_f32_e32 v83, v83, v84
	s_waitcnt vmcnt(5)
	v_mul_f32_e32 v84, v118, v155
	v_add_f32_e32 v161, v161, v162
	v_mul_f32_e32 v162, v117, v155
	s_waitcnt vmcnt(4)
	v_fma_f32 v84, v117, v156, -v84
	v_fmac_f32_e32 v162, v118, v156
	v_add_f32_e32 v83, v83, v84
	s_waitcnt vmcnt(3) lgkmcnt(0)
	v_mul_f32_e32 v84, v120, v157
	v_add_f32_e32 v161, v161, v162
	v_mul_f32_e32 v162, v119, v157
	s_waitcnt vmcnt(2)
	v_fma_f32 v84, v119, v158, -v84
	v_fmac_f32_e32 v162, v120, v158
	v_add_f32_e32 v83, v83, v84
	v_add_f32_e32 v161, v161, v162
	s_waitcnt vmcnt(1)
	v_sub_f32_e32 v83, v159, v83
	s_waitcnt vmcnt(0)
	v_sub_f32_e32 v84, v160, v161
	buffer_store_dword v83, off, s[0:3], 0 offset:160
	buffer_store_dword v84, off, s[0:3], 0 offset:164
	s_and_saveexec_b64 s[4:5], vcc
	s_cbranch_execz .LBB103_215
; %bb.214:
	buffer_load_dword v83, off, s[0:3], 0 offset:152
	buffer_load_dword v84, off, s[0:3], 0 offset:156
	s_waitcnt vmcnt(0)
	ds_write_b64 v81, v[83:84]
	buffer_store_dword v82, off, s[0:3], 0 offset:152
	buffer_store_dword v82, off, s[0:3], 0 offset:156
.LBB103_215:
	s_or_b64 exec, exec, s[4:5]
	s_waitcnt lgkmcnt(0)
	; wave barrier
	buffer_load_dword v123, off, s[0:3], 0 offset:164
	buffer_load_dword v124, off, s[0:3], 0 offset:172
	;; [unrolled: 1-line block ×42, first 2 shown]
	ds_read_b128 v[83:86], v82 offset:480
	ds_read_b128 v[87:90], v82 offset:496
	;; [unrolled: 1-line block ×8, first 2 shown]
	v_cmp_lt_u32_e32 vcc, 18, v0
	s_waitcnt vmcnt(41) lgkmcnt(7)
	v_mul_f32_e32 v115, v83, v123
	s_waitcnt vmcnt(40)
	v_mul_f32_e32 v116, v85, v124
	s_waitcnt vmcnt(39) lgkmcnt(6)
	v_mul_f32_e32 v117, v87, v125
	s_waitcnt vmcnt(38)
	v_mul_f32_e32 v118, v89, v126
	s_waitcnt vmcnt(37) lgkmcnt(5)
	v_mul_f32_e32 v119, v91, v127
	s_waitcnt vmcnt(36)
	v_mul_f32_e32 v120, v93, v128
	s_waitcnt vmcnt(35) lgkmcnt(4)
	v_mul_f32_e32 v121, v95, v129
	s_waitcnt vmcnt(34)
	v_mul_f32_e32 v122, v97, v130
	s_waitcnt vmcnt(33) lgkmcnt(3)
	v_mul_f32_e32 v165, v99, v131
	s_waitcnt vmcnt(32)
	v_mul_f32_e32 v166, v101, v132
	s_waitcnt vmcnt(31) lgkmcnt(2)
	v_mul_f32_e32 v167, v103, v133
	s_waitcnt vmcnt(30)
	v_mul_f32_e32 v168, v105, v134
	s_waitcnt vmcnt(29) lgkmcnt(1)
	v_mul_f32_e32 v169, v107, v135
	s_waitcnt vmcnt(28)
	v_mul_f32_e32 v170, v109, v136
	s_waitcnt vmcnt(27) lgkmcnt(0)
	v_mul_f32_e32 v171, v111, v137
	s_waitcnt vmcnt(26)
	v_fmac_f32_e32 v115, v84, v138
	v_mul_f32_e32 v84, v84, v123
	v_fma_f32 v83, v83, v138, -v84
	v_mul_f32_e32 v84, v86, v124
	v_add_f32_e32 v83, 0, v83
	s_waitcnt vmcnt(25)
	v_fma_f32 v84, v85, v139, -v84
	v_add_f32_e32 v83, v83, v84
	v_mul_f32_e32 v84, v88, v125
	s_waitcnt vmcnt(24)
	v_fma_f32 v84, v87, v140, -v84
	v_add_f32_e32 v83, v83, v84
	v_mul_f32_e32 v84, v90, v126
	;; [unrolled: 4-line block ×5, first 2 shown]
	v_fmac_f32_e32 v116, v86, v139
	v_add_f32_e32 v115, 0, v115
	s_waitcnt vmcnt(20)
	v_fma_f32 v84, v95, v144, -v84
	v_fmac_f32_e32 v117, v88, v140
	v_add_f32_e32 v115, v115, v116
	v_add_f32_e32 v83, v83, v84
	v_mul_f32_e32 v84, v98, v130
	v_fmac_f32_e32 v118, v90, v141
	v_add_f32_e32 v115, v115, v117
	s_waitcnt vmcnt(19)
	v_fma_f32 v84, v97, v145, -v84
	v_fmac_f32_e32 v119, v92, v142
	v_add_f32_e32 v115, v115, v118
	v_add_f32_e32 v83, v83, v84
	v_mul_f32_e32 v84, v100, v131
	;; [unrolled: 8-line block ×5, first 2 shown]
	s_waitcnt vmcnt(15)
	v_fmac_f32_e32 v168, v106, v149
	v_add_f32_e32 v115, v115, v167
	v_fma_f32 v84, v105, v149, -v84
	s_waitcnt vmcnt(14)
	v_fmac_f32_e32 v169, v108, v150
	v_add_f32_e32 v115, v115, v168
	v_add_f32_e32 v83, v83, v84
	v_mul_f32_e32 v84, v108, v135
	s_waitcnt vmcnt(13)
	v_fmac_f32_e32 v170, v110, v151
	v_add_f32_e32 v115, v115, v169
	v_fma_f32 v84, v107, v150, -v84
	s_waitcnt vmcnt(12)
	v_fmac_f32_e32 v171, v112, v152
	v_add_f32_e32 v115, v115, v170
	v_add_f32_e32 v83, v83, v84
	v_mul_f32_e32 v84, v110, v136
	v_add_f32_e32 v119, v115, v171
	ds_read_b128 v[115:118], v82 offset:608
	v_fma_f32 v84, v109, v151, -v84
	v_add_f32_e32 v83, v83, v84
	v_mul_f32_e32 v84, v112, v137
	s_waitcnt vmcnt(11)
	v_mul_f32_e32 v120, v113, v153
	v_fma_f32 v84, v111, v152, -v84
	s_waitcnt vmcnt(10)
	v_fmac_f32_e32 v120, v114, v154
	v_add_f32_e32 v83, v83, v84
	v_mul_f32_e32 v84, v114, v153
	v_add_f32_e32 v165, v119, v120
	ds_read_b128 v[119:122], v82 offset:624
	v_fma_f32 v84, v113, v154, -v84
	v_add_f32_e32 v83, v83, v84
	s_waitcnt vmcnt(9) lgkmcnt(1)
	v_mul_f32_e32 v84, v116, v155
	v_mul_f32_e32 v82, v115, v155
	s_waitcnt vmcnt(8)
	v_fma_f32 v84, v115, v156, -v84
	v_fmac_f32_e32 v82, v116, v156
	v_add_f32_e32 v83, v83, v84
	s_waitcnt vmcnt(7)
	v_mul_f32_e32 v84, v118, v157
	v_add_f32_e32 v82, v165, v82
	v_mul_f32_e32 v165, v117, v157
	s_waitcnt vmcnt(6)
	v_fma_f32 v84, v117, v158, -v84
	v_fmac_f32_e32 v165, v118, v158
	v_add_f32_e32 v83, v83, v84
	s_waitcnt vmcnt(5) lgkmcnt(0)
	v_mul_f32_e32 v84, v120, v159
	v_add_f32_e32 v82, v82, v165
	v_mul_f32_e32 v165, v119, v159
	s_waitcnt vmcnt(4)
	v_fma_f32 v84, v119, v160, -v84
	v_fmac_f32_e32 v165, v120, v160
	v_add_f32_e32 v83, v83, v84
	s_waitcnt vmcnt(3)
	v_mul_f32_e32 v84, v122, v161
	v_add_f32_e32 v82, v82, v165
	v_mul_f32_e32 v165, v121, v161
	s_waitcnt vmcnt(2)
	v_fma_f32 v84, v121, v162, -v84
	v_fmac_f32_e32 v165, v122, v162
	v_add_f32_e32 v83, v83, v84
	v_add_f32_e32 v82, v82, v165
	s_waitcnt vmcnt(1)
	v_sub_f32_e32 v83, v163, v83
	s_waitcnt vmcnt(0)
	v_sub_f32_e32 v82, v164, v82
	buffer_store_dword v83, off, s[0:3], 0 offset:152
	buffer_store_dword v82, off, s[0:3], 0 offset:156
	s_and_saveexec_b64 s[4:5], vcc
	s_cbranch_execz .LBB103_217
; %bb.216:
	buffer_load_dword v82, off, s[0:3], 0 offset:144
	buffer_load_dword v83, off, s[0:3], 0 offset:148
	v_mov_b32_e32 v84, 0
	buffer_store_dword v84, off, s[0:3], 0 offset:144
	buffer_store_dword v84, off, s[0:3], 0 offset:148
	s_waitcnt vmcnt(2)
	ds_write_b64 v81, v[82:83]
.LBB103_217:
	s_or_b64 exec, exec, s[4:5]
	s_waitcnt lgkmcnt(0)
	; wave barrier
	buffer_load_dword v125, off, s[0:3], 0 offset:156
	buffer_load_dword v126, off, s[0:3], 0 offset:164
	;; [unrolled: 1-line block ×44, first 2 shown]
	v_mov_b32_e32 v82, 0
	ds_read2_b64 v[83:86], v82 offset0:59 offset1:60
	ds_read2_b64 v[87:90], v82 offset0:61 offset1:62
	;; [unrolled: 1-line block ×8, first 2 shown]
	v_cmp_lt_u32_e32 vcc, 17, v0
	s_waitcnt vmcnt(43) lgkmcnt(7)
	v_mul_f32_e32 v115, v83, v125
	s_waitcnt vmcnt(42)
	v_mul_f32_e32 v116, v85, v126
	s_waitcnt vmcnt(41) lgkmcnt(6)
	v_mul_f32_e32 v117, v87, v127
	s_waitcnt vmcnt(40)
	v_mul_f32_e32 v118, v89, v128
	;; [unrolled: 4-line block ×7, first 2 shown]
	s_waitcnt vmcnt(29)
	v_fmac_f32_e32 v115, v84, v139
	v_mul_f32_e32 v84, v84, v125
	v_fma_f32 v83, v83, v139, -v84
	v_mul_f32_e32 v84, v86, v126
	v_add_f32_e32 v83, 0, v83
	s_waitcnt vmcnt(28)
	v_fma_f32 v84, v85, v140, -v84
	v_add_f32_e32 v83, v83, v84
	v_mul_f32_e32 v84, v88, v127
	s_waitcnt vmcnt(27)
	v_fma_f32 v84, v87, v141, -v84
	v_add_f32_e32 v83, v83, v84
	v_mul_f32_e32 v84, v90, v128
	;; [unrolled: 4-line block ×4, first 2 shown]
	s_waitcnt vmcnt(24)
	v_fma_f32 v84, v93, v144, -v84
	v_fmac_f32_e32 v116, v86, v140
	v_add_f32_e32 v115, 0, v115
	v_add_f32_e32 v83, v83, v84
	v_mul_f32_e32 v84, v96, v131
	v_fmac_f32_e32 v117, v88, v141
	v_add_f32_e32 v115, v115, v116
	s_waitcnt vmcnt(23)
	v_fma_f32 v84, v95, v145, -v84
	v_fmac_f32_e32 v118, v90, v142
	v_add_f32_e32 v115, v115, v117
	v_add_f32_e32 v83, v83, v84
	v_mul_f32_e32 v84, v98, v132
	v_fmac_f32_e32 v119, v92, v143
	v_add_f32_e32 v115, v115, v118
	;; [unrolled: 8-line block ×4, first 2 shown]
	s_waitcnt vmcnt(20)
	v_fma_f32 v84, v101, v148, -v84
	v_fmac_f32_e32 v124, v102, v148
	v_add_f32_e32 v115, v115, v123
	v_add_f32_e32 v83, v83, v84
	v_mul_f32_e32 v84, v104, v135
	s_waitcnt vmcnt(19)
	v_fmac_f32_e32 v169, v104, v149
	v_add_f32_e32 v115, v115, v124
	v_fma_f32 v84, v103, v149, -v84
	s_waitcnt vmcnt(18)
	v_fmac_f32_e32 v170, v106, v150
	v_add_f32_e32 v115, v115, v169
	v_add_f32_e32 v83, v83, v84
	v_mul_f32_e32 v84, v106, v136
	s_waitcnt vmcnt(17)
	v_fmac_f32_e32 v171, v108, v151
	v_add_f32_e32 v115, v115, v170
	v_fma_f32 v84, v105, v150, -v84
	v_add_f32_e32 v115, v115, v171
	s_waitcnt vmcnt(16)
	v_fmac_f32_e32 v172, v110, v152
	s_waitcnt vmcnt(15) lgkmcnt(0)
	v_mul_f32_e32 v116, v111, v153
	v_add_f32_e32 v83, v83, v84
	v_mul_f32_e32 v84, v108, v137
	v_add_f32_e32 v115, v115, v172
	s_waitcnt vmcnt(14)
	v_fmac_f32_e32 v116, v112, v154
	v_fma_f32 v84, v107, v151, -v84
	v_add_f32_e32 v119, v115, v116
	ds_read2_b64 v[115:118], v82 offset0:75 offset1:76
	v_add_f32_e32 v83, v83, v84
	v_mul_f32_e32 v84, v110, v138
	v_fma_f32 v84, v109, v152, -v84
	v_add_f32_e32 v83, v83, v84
	v_mul_f32_e32 v84, v112, v153
	s_waitcnt vmcnt(13)
	v_mul_f32_e32 v120, v113, v155
	v_fma_f32 v84, v111, v154, -v84
	s_waitcnt vmcnt(12)
	v_fmac_f32_e32 v120, v114, v156
	v_add_f32_e32 v83, v83, v84
	v_mul_f32_e32 v84, v114, v155
	v_add_f32_e32 v123, v119, v120
	ds_read2_b64 v[119:122], v82 offset0:77 offset1:78
	s_waitcnt vmcnt(11) lgkmcnt(1)
	v_mul_f32_e32 v124, v115, v157
	v_fma_f32 v84, v113, v156, -v84
	s_waitcnt vmcnt(10)
	v_fmac_f32_e32 v124, v116, v158
	v_add_f32_e32 v83, v83, v84
	v_mul_f32_e32 v84, v116, v157
	v_add_f32_e32 v123, v123, v124
	s_waitcnt vmcnt(9)
	v_mul_f32_e32 v124, v117, v159
	v_fma_f32 v84, v115, v158, -v84
	s_waitcnt vmcnt(8)
	v_fmac_f32_e32 v124, v118, v160
	v_add_f32_e32 v83, v83, v84
	v_mul_f32_e32 v84, v118, v159
	v_add_f32_e32 v169, v123, v124
	ds_read_b64 v[123:124], v82 offset:632
	v_fma_f32 v84, v117, v160, -v84
	v_add_f32_e32 v83, v83, v84
	s_waitcnt vmcnt(7) lgkmcnt(1)
	v_mul_f32_e32 v84, v120, v161
	v_mul_f32_e32 v170, v119, v161
	s_waitcnt vmcnt(6)
	v_fma_f32 v84, v119, v162, -v84
	v_fmac_f32_e32 v170, v120, v162
	v_add_f32_e32 v83, v83, v84
	s_waitcnt vmcnt(5)
	v_mul_f32_e32 v84, v122, v163
	v_add_f32_e32 v169, v169, v170
	v_mul_f32_e32 v170, v121, v163
	s_waitcnt vmcnt(4)
	v_fma_f32 v84, v121, v164, -v84
	v_fmac_f32_e32 v170, v122, v164
	v_add_f32_e32 v83, v83, v84
	s_waitcnt vmcnt(3) lgkmcnt(0)
	v_mul_f32_e32 v84, v124, v165
	v_add_f32_e32 v169, v169, v170
	v_mul_f32_e32 v170, v123, v165
	s_waitcnt vmcnt(2)
	v_fma_f32 v84, v123, v166, -v84
	v_fmac_f32_e32 v170, v124, v166
	v_add_f32_e32 v83, v83, v84
	v_add_f32_e32 v169, v169, v170
	s_waitcnt vmcnt(1)
	v_sub_f32_e32 v83, v167, v83
	s_waitcnt vmcnt(0)
	v_sub_f32_e32 v84, v168, v169
	buffer_store_dword v83, off, s[0:3], 0 offset:144
	buffer_store_dword v84, off, s[0:3], 0 offset:148
	s_and_saveexec_b64 s[4:5], vcc
	s_cbranch_execz .LBB103_219
; %bb.218:
	buffer_load_dword v83, off, s[0:3], 0 offset:136
	buffer_load_dword v84, off, s[0:3], 0 offset:140
	s_waitcnt vmcnt(0)
	ds_write_b64 v81, v[83:84]
	buffer_store_dword v82, off, s[0:3], 0 offset:136
	buffer_store_dword v82, off, s[0:3], 0 offset:140
.LBB103_219:
	s_or_b64 exec, exec, s[4:5]
	s_waitcnt lgkmcnt(0)
	; wave barrier
	buffer_load_dword v127, off, s[0:3], 0 offset:148
	buffer_load_dword v128, off, s[0:3], 0 offset:156
	;; [unrolled: 1-line block ×46, first 2 shown]
	ds_read_b128 v[83:86], v82 offset:464
	ds_read_b128 v[87:90], v82 offset:480
	;; [unrolled: 1-line block ×8, first 2 shown]
	v_cmp_lt_u32_e32 vcc, 16, v0
	s_waitcnt vmcnt(45) lgkmcnt(7)
	v_mul_f32_e32 v115, v83, v127
	s_waitcnt vmcnt(44)
	v_mul_f32_e32 v116, v85, v128
	s_waitcnt vmcnt(43) lgkmcnt(6)
	v_mul_f32_e32 v117, v87, v129
	s_waitcnt vmcnt(42)
	v_mul_f32_e32 v118, v89, v130
	;; [unrolled: 4-line block ×6, first 2 shown]
	s_waitcnt vmcnt(33) lgkmcnt(1)
	v_mul_f32_e32 v173, v107, v139
	s_waitcnt vmcnt(32)
	v_fmac_f32_e32 v115, v84, v140
	v_mul_f32_e32 v84, v84, v127
	v_fma_f32 v83, v83, v140, -v84
	v_mul_f32_e32 v84, v86, v128
	v_add_f32_e32 v83, 0, v83
	s_waitcnt vmcnt(31)
	v_fma_f32 v84, v85, v141, -v84
	v_add_f32_e32 v83, v83, v84
	v_mul_f32_e32 v84, v88, v129
	s_waitcnt vmcnt(30)
	v_fma_f32 v84, v87, v142, -v84
	v_add_f32_e32 v83, v83, v84
	v_mul_f32_e32 v84, v90, v130
	;; [unrolled: 4-line block ×4, first 2 shown]
	v_fmac_f32_e32 v116, v86, v141
	v_add_f32_e32 v115, 0, v115
	s_waitcnt vmcnt(27)
	v_fma_f32 v84, v93, v145, -v84
	v_fmac_f32_e32 v117, v88, v142
	v_add_f32_e32 v115, v115, v116
	v_add_f32_e32 v83, v83, v84
	v_mul_f32_e32 v84, v96, v133
	v_fmac_f32_e32 v118, v90, v143
	v_add_f32_e32 v115, v115, v117
	s_waitcnt vmcnt(26)
	v_fma_f32 v84, v95, v146, -v84
	v_fmac_f32_e32 v119, v92, v144
	v_add_f32_e32 v115, v115, v118
	v_add_f32_e32 v83, v83, v84
	v_mul_f32_e32 v84, v98, v134
	;; [unrolled: 8-line block ×4, first 2 shown]
	s_waitcnt vmcnt(23)
	v_fmac_f32_e32 v124, v102, v149
	v_add_f32_e32 v115, v115, v123
	v_fma_f32 v84, v101, v149, -v84
	s_waitcnt vmcnt(22)
	v_fmac_f32_e32 v125, v104, v150
	v_add_f32_e32 v115, v115, v124
	v_add_f32_e32 v83, v83, v84
	v_mul_f32_e32 v84, v104, v137
	s_waitcnt vmcnt(21)
	v_fmac_f32_e32 v126, v106, v151
	v_add_f32_e32 v115, v115, v125
	v_fma_f32 v84, v103, v150, -v84
	s_waitcnt vmcnt(20)
	v_fmac_f32_e32 v173, v108, v152
	v_add_f32_e32 v115, v115, v126
	s_waitcnt vmcnt(19)
	v_mul_f32_e32 v116, v109, v153
	v_add_f32_e32 v83, v83, v84
	v_mul_f32_e32 v84, v106, v138
	v_add_f32_e32 v115, v115, v173
	s_waitcnt vmcnt(18)
	v_fmac_f32_e32 v116, v110, v154
	v_fma_f32 v84, v105, v151, -v84
	v_add_f32_e32 v115, v115, v116
	s_waitcnt vmcnt(17) lgkmcnt(0)
	v_mul_f32_e32 v116, v111, v155
	v_add_f32_e32 v83, v83, v84
	v_mul_f32_e32 v84, v108, v139
	s_waitcnt vmcnt(16)
	v_fmac_f32_e32 v116, v112, v156
	v_fma_f32 v84, v107, v152, -v84
	v_add_f32_e32 v119, v115, v116
	ds_read_b128 v[115:118], v82 offset:592
	v_add_f32_e32 v83, v83, v84
	v_mul_f32_e32 v84, v110, v153
	v_fma_f32 v84, v109, v154, -v84
	v_add_f32_e32 v83, v83, v84
	v_mul_f32_e32 v84, v112, v155
	s_waitcnt vmcnt(15)
	v_mul_f32_e32 v120, v113, v157
	v_fma_f32 v84, v111, v156, -v84
	s_waitcnt vmcnt(14)
	v_fmac_f32_e32 v120, v114, v158
	v_add_f32_e32 v83, v83, v84
	v_mul_f32_e32 v84, v114, v157
	v_add_f32_e32 v123, v119, v120
	ds_read_b128 v[119:122], v82 offset:608
	s_waitcnt vmcnt(13) lgkmcnt(1)
	v_mul_f32_e32 v124, v115, v159
	v_fma_f32 v84, v113, v158, -v84
	s_waitcnt vmcnt(12)
	v_fmac_f32_e32 v124, v116, v160
	v_add_f32_e32 v83, v83, v84
	v_mul_f32_e32 v84, v116, v159
	v_add_f32_e32 v123, v123, v124
	s_waitcnt vmcnt(11)
	v_mul_f32_e32 v124, v117, v161
	v_fma_f32 v84, v115, v160, -v84
	s_waitcnt vmcnt(10)
	v_fmac_f32_e32 v124, v118, v162
	v_add_f32_e32 v83, v83, v84
	v_mul_f32_e32 v84, v118, v161
	v_add_f32_e32 v173, v123, v124
	ds_read_b128 v[123:126], v82 offset:624
	v_fma_f32 v84, v117, v162, -v84
	v_add_f32_e32 v83, v83, v84
	s_waitcnt vmcnt(9) lgkmcnt(1)
	v_mul_f32_e32 v84, v120, v163
	v_mul_f32_e32 v174, v119, v163
	s_waitcnt vmcnt(8)
	v_fma_f32 v84, v119, v164, -v84
	v_fmac_f32_e32 v174, v120, v164
	v_add_f32_e32 v83, v83, v84
	s_waitcnt vmcnt(7)
	v_mul_f32_e32 v84, v122, v165
	v_add_f32_e32 v82, v173, v174
	v_mul_f32_e32 v173, v121, v165
	s_waitcnt vmcnt(6)
	v_fma_f32 v84, v121, v166, -v84
	v_fmac_f32_e32 v173, v122, v166
	v_add_f32_e32 v83, v83, v84
	s_waitcnt vmcnt(5) lgkmcnt(0)
	v_mul_f32_e32 v84, v124, v167
	v_add_f32_e32 v82, v82, v173
	v_mul_f32_e32 v173, v123, v167
	s_waitcnt vmcnt(4)
	v_fma_f32 v84, v123, v168, -v84
	v_fmac_f32_e32 v173, v124, v168
	v_add_f32_e32 v83, v83, v84
	s_waitcnt vmcnt(3)
	v_mul_f32_e32 v84, v126, v169
	v_add_f32_e32 v82, v82, v173
	v_mul_f32_e32 v173, v125, v169
	s_waitcnt vmcnt(2)
	v_fma_f32 v84, v125, v170, -v84
	v_fmac_f32_e32 v173, v126, v170
	v_add_f32_e32 v83, v83, v84
	v_add_f32_e32 v82, v82, v173
	s_waitcnt vmcnt(1)
	v_sub_f32_e32 v83, v171, v83
	s_waitcnt vmcnt(0)
	v_sub_f32_e32 v82, v172, v82
	buffer_store_dword v83, off, s[0:3], 0 offset:136
	buffer_store_dword v82, off, s[0:3], 0 offset:140
	s_and_saveexec_b64 s[4:5], vcc
	s_cbranch_execz .LBB103_221
; %bb.220:
	buffer_load_dword v82, off, s[0:3], 0 offset:128
	buffer_load_dword v83, off, s[0:3], 0 offset:132
	v_mov_b32_e32 v84, 0
	buffer_store_dword v84, off, s[0:3], 0 offset:128
	buffer_store_dword v84, off, s[0:3], 0 offset:132
	s_waitcnt vmcnt(2)
	ds_write_b64 v81, v[82:83]
.LBB103_221:
	s_or_b64 exec, exec, s[4:5]
	s_waitcnt lgkmcnt(0)
	; wave barrier
	buffer_load_dword v129, off, s[0:3], 0 offset:140
	buffer_load_dword v130, off, s[0:3], 0 offset:148
	;; [unrolled: 1-line block ×48, first 2 shown]
	v_mov_b32_e32 v82, 0
	ds_read2_b64 v[83:86], v82 offset0:57 offset1:58
	ds_read2_b64 v[87:90], v82 offset0:59 offset1:60
	;; [unrolled: 1-line block ×7, first 2 shown]
	v_cmp_lt_u32_e32 vcc, 15, v0
	s_waitcnt vmcnt(47) lgkmcnt(6)
	v_mul_f32_e32 v111, v83, v129
	s_waitcnt vmcnt(46)
	v_mul_f32_e32 v112, v85, v130
	s_waitcnt vmcnt(45) lgkmcnt(5)
	v_mul_f32_e32 v113, v87, v131
	s_waitcnt vmcnt(44)
	v_mul_f32_e32 v114, v89, v132
	;; [unrolled: 4-line block ×6, first 2 shown]
	s_waitcnt vmcnt(35)
	v_fmac_f32_e32 v111, v84, v141
	v_mul_f32_e32 v84, v84, v129
	v_fma_f32 v83, v83, v141, -v84
	v_mul_f32_e32 v84, v86, v130
	v_add_f32_e32 v83, 0, v83
	s_waitcnt vmcnt(34)
	v_fma_f32 v84, v85, v142, -v84
	v_add_f32_e32 v83, v83, v84
	v_mul_f32_e32 v84, v88, v131
	s_waitcnt vmcnt(33)
	v_fma_f32 v84, v87, v143, -v84
	v_fmac_f32_e32 v112, v86, v142
	v_add_f32_e32 v111, 0, v111
	v_add_f32_e32 v83, v83, v84
	v_mul_f32_e32 v84, v90, v132
	v_fmac_f32_e32 v113, v88, v143
	v_add_f32_e32 v111, v111, v112
	s_waitcnt vmcnt(32)
	v_fma_f32 v84, v89, v144, -v84
	v_fmac_f32_e32 v114, v90, v144
	v_add_f32_e32 v111, v111, v113
	v_add_f32_e32 v83, v83, v84
	v_mul_f32_e32 v84, v92, v133
	s_waitcnt vmcnt(31)
	v_fmac_f32_e32 v115, v92, v145
	v_add_f32_e32 v111, v111, v114
	v_fma_f32 v84, v91, v145, -v84
	s_waitcnt vmcnt(30)
	v_fmac_f32_e32 v116, v94, v146
	v_add_f32_e32 v111, v111, v115
	v_add_f32_e32 v83, v83, v84
	v_mul_f32_e32 v84, v94, v134
	s_waitcnt vmcnt(29)
	v_fmac_f32_e32 v117, v96, v147
	v_add_f32_e32 v111, v111, v116
	v_fma_f32 v84, v93, v146, -v84
	s_waitcnt vmcnt(28)
	;; [unrolled: 9-line block ×4, first 2 shown]
	v_fmac_f32_e32 v122, v106, v152
	v_add_f32_e32 v111, v111, v121
	v_add_f32_e32 v83, v83, v84
	v_mul_f32_e32 v84, v100, v137
	v_add_f32_e32 v115, v111, v122
	ds_read2_b64 v[111:114], v82 offset0:71 offset1:72
	v_fma_f32 v84, v99, v149, -v84
	s_waitcnt vmcnt(23) lgkmcnt(1)
	v_mul_f32_e32 v116, v107, v153
	v_add_f32_e32 v83, v83, v84
	v_mul_f32_e32 v84, v102, v138
	s_waitcnt vmcnt(22)
	v_fmac_f32_e32 v116, v108, v154
	v_fma_f32 v84, v101, v150, -v84
	v_add_f32_e32 v115, v115, v116
	s_waitcnt vmcnt(21)
	v_mul_f32_e32 v116, v109, v155
	v_add_f32_e32 v83, v83, v84
	v_mul_f32_e32 v84, v104, v139
	s_waitcnt vmcnt(20)
	v_fmac_f32_e32 v116, v110, v156
	v_fma_f32 v84, v103, v151, -v84
	v_add_f32_e32 v115, v115, v116
	s_waitcnt vmcnt(19) lgkmcnt(0)
	v_mul_f32_e32 v116, v111, v157
	v_add_f32_e32 v83, v83, v84
	v_mul_f32_e32 v84, v106, v140
	s_waitcnt vmcnt(18)
	v_fmac_f32_e32 v116, v112, v158
	v_fma_f32 v84, v105, v152, -v84
	v_add_f32_e32 v119, v115, v116
	ds_read2_b64 v[115:118], v82 offset0:73 offset1:74
	v_add_f32_e32 v83, v83, v84
	v_mul_f32_e32 v84, v108, v153
	v_fma_f32 v84, v107, v154, -v84
	s_waitcnt vmcnt(17)
	v_mul_f32_e32 v120, v113, v159
	v_add_f32_e32 v83, v83, v84
	v_mul_f32_e32 v84, v110, v155
	s_waitcnt vmcnt(16)
	v_fmac_f32_e32 v120, v114, v160
	v_fma_f32 v84, v109, v156, -v84
	v_add_f32_e32 v123, v119, v120
	ds_read2_b64 v[119:122], v82 offset0:75 offset1:76
	v_add_f32_e32 v83, v83, v84
	v_mul_f32_e32 v84, v112, v157
	s_waitcnt vmcnt(15) lgkmcnt(1)
	v_mul_f32_e32 v124, v115, v161
	v_fma_f32 v84, v111, v158, -v84
	s_waitcnt vmcnt(14)
	v_fmac_f32_e32 v124, v116, v162
	v_add_f32_e32 v83, v83, v84
	v_mul_f32_e32 v84, v114, v159
	v_add_f32_e32 v123, v123, v124
	s_waitcnt vmcnt(13)
	v_mul_f32_e32 v124, v117, v163
	v_fma_f32 v84, v113, v160, -v84
	s_waitcnt vmcnt(12)
	v_fmac_f32_e32 v124, v118, v164
	v_add_f32_e32 v83, v83, v84
	v_mul_f32_e32 v84, v116, v161
	v_add_f32_e32 v123, v123, v124
	s_waitcnt vmcnt(11) lgkmcnt(0)
	v_mul_f32_e32 v124, v119, v165
	v_fma_f32 v84, v115, v162, -v84
	s_waitcnt vmcnt(10)
	v_fmac_f32_e32 v124, v120, v166
	v_add_f32_e32 v83, v83, v84
	v_mul_f32_e32 v84, v118, v163
	v_add_f32_e32 v127, v123, v124
	ds_read2_b64 v[123:126], v82 offset0:77 offset1:78
	v_fma_f32 v84, v117, v164, -v84
	v_add_f32_e32 v83, v83, v84
	v_mul_f32_e32 v84, v120, v165
	s_waitcnt vmcnt(9)
	v_mul_f32_e32 v128, v121, v167
	v_fma_f32 v84, v119, v166, -v84
	s_waitcnt vmcnt(8)
	v_fmac_f32_e32 v128, v122, v168
	v_add_f32_e32 v83, v83, v84
	v_mul_f32_e32 v84, v122, v167
	v_add_f32_e32 v177, v127, v128
	ds_read_b64 v[127:128], v82 offset:632
	v_fma_f32 v84, v121, v168, -v84
	v_add_f32_e32 v83, v83, v84
	s_waitcnt vmcnt(6) lgkmcnt(1)
	v_mul_f32_e32 v84, v124, v170
	v_mul_f32_e32 v178, v123, v170
	v_fma_f32 v84, v123, v169, -v84
	v_fmac_f32_e32 v178, v124, v169
	v_add_f32_e32 v83, v83, v84
	s_waitcnt vmcnt(3)
	v_mul_f32_e32 v84, v126, v173
	v_add_f32_e32 v177, v177, v178
	v_mul_f32_e32 v178, v125, v173
	s_waitcnt vmcnt(2)
	v_fma_f32 v84, v125, v174, -v84
	v_fmac_f32_e32 v178, v126, v174
	v_add_f32_e32 v83, v83, v84
	s_waitcnt vmcnt(0) lgkmcnt(0)
	v_mul_f32_e32 v84, v128, v176
	v_add_f32_e32 v177, v177, v178
	v_mul_f32_e32 v178, v127, v176
	v_fma_f32 v84, v127, v175, -v84
	v_fmac_f32_e32 v178, v128, v175
	v_add_f32_e32 v83, v83, v84
	v_add_f32_e32 v177, v177, v178
	v_sub_f32_e32 v83, v171, v83
	v_sub_f32_e32 v84, v172, v177
	buffer_store_dword v83, off, s[0:3], 0 offset:128
	buffer_store_dword v84, off, s[0:3], 0 offset:132
	s_and_saveexec_b64 s[4:5], vcc
	s_cbranch_execz .LBB103_223
; %bb.222:
	buffer_load_dword v83, off, s[0:3], 0 offset:120
	buffer_load_dword v84, off, s[0:3], 0 offset:124
	s_waitcnt vmcnt(0)
	ds_write_b64 v81, v[83:84]
	buffer_store_dword v82, off, s[0:3], 0 offset:120
	buffer_store_dword v82, off, s[0:3], 0 offset:124
.LBB103_223:
	s_or_b64 exec, exec, s[4:5]
	s_waitcnt lgkmcnt(0)
	; wave barrier
	buffer_load_dword v131, off, s[0:3], 0 offset:132
	buffer_load_dword v132, off, s[0:3], 0 offset:140
	;; [unrolled: 1-line block ×48, first 2 shown]
	ds_read_b128 v[83:86], v82 offset:448
	ds_read_b128 v[87:90], v82 offset:464
	buffer_load_dword v179, off, s[0:3], 0 offset:312
	buffer_load_dword v180, off, s[0:3], 0 offset:316
	ds_read_b128 v[91:94], v82 offset:480
	ds_read_b128 v[95:98], v82 offset:496
	;; [unrolled: 1-line block ×5, first 2 shown]
	v_cmp_lt_u32_e32 vcc, 14, v0
	s_waitcnt vmcnt(49) lgkmcnt(6)
	v_mul_f32_e32 v111, v83, v131
	s_waitcnt vmcnt(48)
	v_mul_f32_e32 v112, v85, v132
	s_waitcnt vmcnt(47) lgkmcnt(5)
	v_mul_f32_e32 v113, v87, v133
	s_waitcnt vmcnt(46)
	v_mul_f32_e32 v114, v89, v134
	;; [unrolled: 4-line block ×6, first 2 shown]
	s_waitcnt vmcnt(37)
	v_fmac_f32_e32 v111, v84, v143
	v_mul_f32_e32 v84, v84, v131
	v_fma_f32 v83, v83, v143, -v84
	v_mul_f32_e32 v84, v86, v132
	v_add_f32_e32 v83, 0, v83
	s_waitcnt vmcnt(36)
	v_fma_f32 v84, v85, v144, -v84
	v_add_f32_e32 v83, v83, v84
	v_mul_f32_e32 v84, v88, v133
	s_waitcnt vmcnt(35)
	v_fma_f32 v84, v87, v145, -v84
	v_fmac_f32_e32 v112, v86, v144
	v_add_f32_e32 v111, 0, v111
	v_add_f32_e32 v83, v83, v84
	v_mul_f32_e32 v84, v90, v134
	v_fmac_f32_e32 v113, v88, v145
	v_add_f32_e32 v111, v111, v112
	s_waitcnt vmcnt(34)
	v_fma_f32 v84, v89, v146, -v84
	v_fmac_f32_e32 v114, v90, v146
	v_add_f32_e32 v111, v111, v113
	v_add_f32_e32 v83, v83, v84
	v_mul_f32_e32 v84, v92, v135
	s_waitcnt vmcnt(33)
	v_fmac_f32_e32 v115, v92, v147
	v_add_f32_e32 v111, v111, v114
	v_fma_f32 v84, v91, v147, -v84
	s_waitcnt vmcnt(32)
	v_fmac_f32_e32 v116, v94, v148
	v_add_f32_e32 v111, v111, v115
	v_add_f32_e32 v83, v83, v84
	v_mul_f32_e32 v84, v94, v136
	s_waitcnt vmcnt(31)
	v_fmac_f32_e32 v117, v96, v149
	v_add_f32_e32 v111, v111, v116
	v_fma_f32 v84, v93, v148, -v84
	s_waitcnt vmcnt(30)
	;; [unrolled: 9-line block ×3, first 2 shown]
	v_fmac_f32_e32 v120, v102, v152
	v_add_f32_e32 v111, v111, v119
	v_add_f32_e32 v83, v83, v84
	v_mul_f32_e32 v84, v98, v138
	s_waitcnt vmcnt(27)
	v_fmac_f32_e32 v121, v104, v153
	v_add_f32_e32 v111, v111, v120
	v_fma_f32 v84, v97, v150, -v84
	v_add_f32_e32 v111, v111, v121
	s_waitcnt vmcnt(26)
	v_fmac_f32_e32 v122, v106, v154
	v_add_f32_e32 v83, v83, v84
	v_mul_f32_e32 v84, v100, v139
	v_add_f32_e32 v115, v111, v122
	ds_read_b128 v[111:114], v82 offset:560
	v_fma_f32 v84, v99, v151, -v84
	s_waitcnt vmcnt(25) lgkmcnt(1)
	v_mul_f32_e32 v116, v107, v155
	v_add_f32_e32 v83, v83, v84
	v_mul_f32_e32 v84, v102, v140
	s_waitcnt vmcnt(24)
	v_fmac_f32_e32 v116, v108, v156
	v_fma_f32 v84, v101, v152, -v84
	v_add_f32_e32 v115, v115, v116
	s_waitcnt vmcnt(23)
	v_mul_f32_e32 v116, v109, v157
	v_add_f32_e32 v83, v83, v84
	v_mul_f32_e32 v84, v104, v141
	s_waitcnt vmcnt(22)
	v_fmac_f32_e32 v116, v110, v158
	v_fma_f32 v84, v103, v153, -v84
	v_add_f32_e32 v115, v115, v116
	s_waitcnt vmcnt(21) lgkmcnt(0)
	v_mul_f32_e32 v116, v111, v159
	v_add_f32_e32 v83, v83, v84
	v_mul_f32_e32 v84, v106, v142
	s_waitcnt vmcnt(20)
	v_fmac_f32_e32 v116, v112, v160
	v_fma_f32 v84, v105, v154, -v84
	v_add_f32_e32 v119, v115, v116
	ds_read_b128 v[115:118], v82 offset:576
	v_add_f32_e32 v83, v83, v84
	v_mul_f32_e32 v84, v108, v155
	v_fma_f32 v84, v107, v156, -v84
	s_waitcnt vmcnt(19)
	v_mul_f32_e32 v120, v113, v161
	v_add_f32_e32 v83, v83, v84
	v_mul_f32_e32 v84, v110, v157
	s_waitcnt vmcnt(18)
	v_fmac_f32_e32 v120, v114, v162
	v_fma_f32 v84, v109, v158, -v84
	v_add_f32_e32 v123, v119, v120
	ds_read_b128 v[119:122], v82 offset:592
	v_add_f32_e32 v83, v83, v84
	v_mul_f32_e32 v84, v112, v159
	s_waitcnt vmcnt(17) lgkmcnt(1)
	v_mul_f32_e32 v124, v115, v163
	v_fma_f32 v84, v111, v160, -v84
	s_waitcnt vmcnt(16)
	v_fmac_f32_e32 v124, v116, v164
	v_add_f32_e32 v83, v83, v84
	v_mul_f32_e32 v84, v114, v161
	v_add_f32_e32 v123, v123, v124
	s_waitcnt vmcnt(15)
	v_mul_f32_e32 v124, v117, v165
	v_fma_f32 v84, v113, v162, -v84
	s_waitcnt vmcnt(14)
	v_fmac_f32_e32 v124, v118, v166
	v_add_f32_e32 v83, v83, v84
	v_mul_f32_e32 v84, v116, v163
	v_add_f32_e32 v123, v123, v124
	s_waitcnt vmcnt(13) lgkmcnt(0)
	v_mul_f32_e32 v124, v119, v167
	v_fma_f32 v84, v115, v164, -v84
	s_waitcnt vmcnt(12)
	v_fmac_f32_e32 v124, v120, v168
	v_add_f32_e32 v83, v83, v84
	v_mul_f32_e32 v84, v118, v165
	v_add_f32_e32 v127, v123, v124
	ds_read_b128 v[123:126], v82 offset:608
	v_fma_f32 v84, v117, v166, -v84
	v_add_f32_e32 v83, v83, v84
	v_mul_f32_e32 v84, v120, v167
	s_waitcnt vmcnt(11)
	v_mul_f32_e32 v128, v121, v169
	v_fma_f32 v84, v119, v168, -v84
	s_waitcnt vmcnt(10)
	v_fmac_f32_e32 v128, v122, v170
	v_add_f32_e32 v83, v83, v84
	v_mul_f32_e32 v84, v122, v169
	v_add_f32_e32 v181, v127, v128
	ds_read_b128 v[127:130], v82 offset:624
	v_fma_f32 v84, v121, v170, -v84
	v_add_f32_e32 v83, v83, v84
	s_waitcnt vmcnt(7) lgkmcnt(1)
	v_mul_f32_e32 v84, v124, v173
	v_mul_f32_e32 v82, v123, v173
	s_waitcnt vmcnt(6)
	v_fma_f32 v84, v123, v174, -v84
	v_fmac_f32_e32 v82, v124, v174
	v_add_f32_e32 v83, v83, v84
	s_waitcnt vmcnt(4)
	v_mul_f32_e32 v84, v126, v176
	v_add_f32_e32 v82, v181, v82
	v_mul_f32_e32 v181, v125, v176
	v_fma_f32 v84, v125, v175, -v84
	v_fmac_f32_e32 v181, v126, v175
	v_add_f32_e32 v83, v83, v84
	s_waitcnt vmcnt(2) lgkmcnt(0)
	v_mul_f32_e32 v84, v128, v178
	v_add_f32_e32 v82, v82, v181
	v_mul_f32_e32 v181, v127, v178
	v_fma_f32 v84, v127, v177, -v84
	v_fmac_f32_e32 v181, v128, v177
	v_add_f32_e32 v83, v83, v84
	s_waitcnt vmcnt(0)
	v_mul_f32_e32 v84, v130, v180
	v_add_f32_e32 v82, v82, v181
	v_mul_f32_e32 v181, v129, v180
	v_fma_f32 v84, v129, v179, -v84
	v_fmac_f32_e32 v181, v130, v179
	v_add_f32_e32 v83, v83, v84
	v_add_f32_e32 v82, v82, v181
	v_sub_f32_e32 v83, v171, v83
	v_sub_f32_e32 v82, v172, v82
	buffer_store_dword v83, off, s[0:3], 0 offset:120
	buffer_store_dword v82, off, s[0:3], 0 offset:124
	s_and_saveexec_b64 s[4:5], vcc
	s_cbranch_execz .LBB103_225
; %bb.224:
	buffer_load_dword v82, off, s[0:3], 0 offset:112
	buffer_load_dword v83, off, s[0:3], 0 offset:116
	v_mov_b32_e32 v84, 0
	buffer_store_dword v84, off, s[0:3], 0 offset:112
	buffer_store_dword v84, off, s[0:3], 0 offset:116
	s_waitcnt vmcnt(2)
	ds_write_b64 v81, v[82:83]
.LBB103_225:
	s_or_b64 exec, exec, s[4:5]
	s_waitcnt lgkmcnt(0)
	; wave barrier
	buffer_load_dword v133, off, s[0:3], 0 offset:124
	buffer_load_dword v134, off, s[0:3], 0 offset:132
	;; [unrolled: 1-line block ×52, first 2 shown]
	v_mov_b32_e32 v82, 0
	ds_read2_b64 v[83:86], v82 offset0:55 offset1:56
	ds_read2_b64 v[87:90], v82 offset0:57 offset1:58
	;; [unrolled: 1-line block ×6, first 2 shown]
	v_cmp_lt_u32_e32 vcc, 13, v0
	s_waitcnt vmcnt(51) lgkmcnt(5)
	v_mul_f32_e32 v107, v83, v133
	s_waitcnt vmcnt(50)
	v_mul_f32_e32 v108, v85, v134
	s_waitcnt vmcnt(49) lgkmcnt(4)
	v_mul_f32_e32 v109, v87, v135
	s_waitcnt vmcnt(48)
	v_mul_f32_e32 v110, v89, v136
	;; [unrolled: 4-line block ×5, first 2 shown]
	s_waitcnt vmcnt(41) lgkmcnt(0)
	v_mul_f32_e32 v117, v103, v143
	s_waitcnt vmcnt(40)
	v_fmac_f32_e32 v107, v84, v144
	v_mul_f32_e32 v84, v84, v133
	s_waitcnt vmcnt(39)
	v_fmac_f32_e32 v108, v86, v145
	v_add_f32_e32 v107, 0, v107
	v_fma_f32 v83, v83, v144, -v84
	v_mul_f32_e32 v84, v86, v134
	s_waitcnt vmcnt(38)
	v_fmac_f32_e32 v109, v88, v146
	v_add_f32_e32 v107, v107, v108
	v_add_f32_e32 v83, 0, v83
	v_fma_f32 v84, v85, v145, -v84
	s_waitcnt vmcnt(37)
	v_fmac_f32_e32 v110, v90, v147
	v_add_f32_e32 v107, v107, v109
	v_add_f32_e32 v83, v83, v84
	v_mul_f32_e32 v84, v88, v135
	s_waitcnt vmcnt(36)
	v_fmac_f32_e32 v111, v92, v148
	v_add_f32_e32 v107, v107, v110
	v_fma_f32 v84, v87, v146, -v84
	s_waitcnt vmcnt(35)
	v_fmac_f32_e32 v112, v94, v149
	v_add_f32_e32 v107, v107, v111
	v_add_f32_e32 v83, v83, v84
	v_mul_f32_e32 v84, v90, v136
	s_waitcnt vmcnt(34)
	v_fmac_f32_e32 v113, v96, v150
	;; [unrolled: 9-line block ×3, first 2 shown]
	v_add_f32_e32 v107, v107, v114
	v_fma_f32 v84, v91, v148, -v84
	s_waitcnt vmcnt(31)
	v_fmac_f32_e32 v116, v102, v153
	v_add_f32_e32 v107, v107, v115
	v_add_f32_e32 v83, v83, v84
	v_mul_f32_e32 v84, v94, v138
	v_add_f32_e32 v107, v107, v116
	s_waitcnt vmcnt(30)
	v_fmac_f32_e32 v117, v104, v154
	v_fma_f32 v84, v93, v149, -v84
	v_add_f32_e32 v111, v107, v117
	ds_read2_b64 v[107:110], v82 offset0:67 offset1:68
	v_add_f32_e32 v83, v83, v84
	v_mul_f32_e32 v84, v96, v139
	v_fma_f32 v84, v95, v150, -v84
	s_waitcnt vmcnt(29)
	v_mul_f32_e32 v112, v105, v155
	v_add_f32_e32 v83, v83, v84
	v_mul_f32_e32 v84, v98, v140
	s_waitcnt vmcnt(28)
	v_fmac_f32_e32 v112, v106, v156
	v_fma_f32 v84, v97, v151, -v84
	v_add_f32_e32 v115, v111, v112
	ds_read2_b64 v[111:114], v82 offset0:69 offset1:70
	v_add_f32_e32 v83, v83, v84
	v_mul_f32_e32 v84, v100, v141
	s_waitcnt vmcnt(27) lgkmcnt(1)
	v_mul_f32_e32 v116, v107, v157
	v_fma_f32 v84, v99, v152, -v84
	s_waitcnt vmcnt(26)
	v_fmac_f32_e32 v116, v108, v158
	v_add_f32_e32 v83, v83, v84
	v_mul_f32_e32 v84, v102, v142
	v_add_f32_e32 v115, v115, v116
	s_waitcnt vmcnt(25)
	v_mul_f32_e32 v116, v109, v159
	v_fma_f32 v84, v101, v153, -v84
	s_waitcnt vmcnt(24)
	v_fmac_f32_e32 v116, v110, v160
	v_add_f32_e32 v83, v83, v84
	v_mul_f32_e32 v84, v104, v143
	v_add_f32_e32 v115, v115, v116
	s_waitcnt vmcnt(23) lgkmcnt(0)
	v_mul_f32_e32 v116, v111, v161
	v_fma_f32 v84, v103, v154, -v84
	s_waitcnt vmcnt(22)
	v_fmac_f32_e32 v116, v112, v162
	v_add_f32_e32 v83, v83, v84
	v_mul_f32_e32 v84, v106, v155
	v_add_f32_e32 v119, v115, v116
	ds_read2_b64 v[115:118], v82 offset0:71 offset1:72
	v_fma_f32 v84, v105, v156, -v84
	v_add_f32_e32 v83, v83, v84
	v_mul_f32_e32 v84, v108, v157
	s_waitcnt vmcnt(21)
	v_mul_f32_e32 v120, v113, v163
	v_fma_f32 v84, v107, v158, -v84
	s_waitcnt vmcnt(20)
	v_fmac_f32_e32 v120, v114, v164
	v_add_f32_e32 v83, v83, v84
	v_mul_f32_e32 v84, v110, v159
	v_add_f32_e32 v123, v119, v120
	ds_read2_b64 v[119:122], v82 offset0:73 offset1:74
	v_fma_f32 v84, v109, v160, -v84
	s_waitcnt vmcnt(19) lgkmcnt(1)
	v_mul_f32_e32 v124, v115, v165
	v_add_f32_e32 v83, v83, v84
	v_mul_f32_e32 v84, v112, v161
	s_waitcnt vmcnt(18)
	v_fmac_f32_e32 v124, v116, v166
	v_fma_f32 v84, v111, v162, -v84
	v_add_f32_e32 v123, v123, v124
	s_waitcnt vmcnt(17)
	v_mul_f32_e32 v124, v117, v167
	v_add_f32_e32 v83, v83, v84
	v_mul_f32_e32 v84, v114, v163
	s_waitcnt vmcnt(16)
	v_fmac_f32_e32 v124, v118, v168
	v_fma_f32 v84, v113, v164, -v84
	v_add_f32_e32 v123, v123, v124
	s_waitcnt vmcnt(14) lgkmcnt(0)
	v_mul_f32_e32 v124, v119, v170
	v_add_f32_e32 v83, v83, v84
	v_mul_f32_e32 v84, v116, v165
	v_fmac_f32_e32 v124, v120, v169
	v_fma_f32 v84, v115, v166, -v84
	v_add_f32_e32 v127, v123, v124
	ds_read2_b64 v[123:126], v82 offset0:75 offset1:76
	v_add_f32_e32 v83, v83, v84
	v_mul_f32_e32 v84, v118, v167
	v_fma_f32 v84, v117, v168, -v84
	v_add_f32_e32 v83, v83, v84
	v_mul_f32_e32 v84, v120, v170
	s_waitcnt vmcnt(11)
	v_mul_f32_e32 v128, v121, v173
	v_fma_f32 v84, v119, v169, -v84
	s_waitcnt vmcnt(10)
	v_fmac_f32_e32 v128, v122, v174
	v_add_f32_e32 v83, v83, v84
	v_mul_f32_e32 v84, v122, v173
	v_add_f32_e32 v131, v127, v128
	ds_read2_b64 v[127:130], v82 offset0:77 offset1:78
	s_waitcnt vmcnt(8) lgkmcnt(1)
	v_mul_f32_e32 v132, v123, v176
	v_fma_f32 v84, v121, v174, -v84
	v_fmac_f32_e32 v132, v124, v175
	v_add_f32_e32 v83, v83, v84
	v_mul_f32_e32 v84, v124, v176
	v_add_f32_e32 v131, v131, v132
	s_waitcnt vmcnt(6)
	v_mul_f32_e32 v132, v125, v178
	v_fma_f32 v84, v123, v175, -v84
	v_fmac_f32_e32 v132, v126, v177
	v_add_f32_e32 v83, v83, v84
	v_mul_f32_e32 v84, v126, v178
	v_add_f32_e32 v185, v131, v132
	ds_read_b64 v[131:132], v82 offset:632
	v_fma_f32 v84, v125, v177, -v84
	v_add_f32_e32 v83, v83, v84
	s_waitcnt vmcnt(4) lgkmcnt(1)
	v_mul_f32_e32 v84, v128, v180
	v_mul_f32_e32 v186, v127, v180
	v_fma_f32 v84, v127, v179, -v84
	v_fmac_f32_e32 v186, v128, v179
	v_add_f32_e32 v83, v83, v84
	s_waitcnt vmcnt(2)
	v_mul_f32_e32 v84, v130, v182
	v_add_f32_e32 v185, v185, v186
	v_mul_f32_e32 v186, v129, v182
	v_fma_f32 v84, v129, v181, -v84
	v_fmac_f32_e32 v186, v130, v181
	v_add_f32_e32 v83, v83, v84
	s_waitcnt vmcnt(0) lgkmcnt(0)
	v_mul_f32_e32 v84, v132, v184
	v_add_f32_e32 v185, v185, v186
	v_mul_f32_e32 v186, v131, v184
	v_fma_f32 v84, v131, v183, -v84
	v_fmac_f32_e32 v186, v132, v183
	v_add_f32_e32 v83, v83, v84
	v_add_f32_e32 v185, v185, v186
	v_sub_f32_e32 v83, v171, v83
	v_sub_f32_e32 v84, v172, v185
	buffer_store_dword v83, off, s[0:3], 0 offset:112
	buffer_store_dword v84, off, s[0:3], 0 offset:116
	s_and_saveexec_b64 s[4:5], vcc
	s_cbranch_execz .LBB103_227
; %bb.226:
	buffer_load_dword v83, off, s[0:3], 0 offset:104
	buffer_load_dword v84, off, s[0:3], 0 offset:108
	s_waitcnt vmcnt(0)
	ds_write_b64 v81, v[83:84]
	buffer_store_dword v82, off, s[0:3], 0 offset:104
	buffer_store_dword v82, off, s[0:3], 0 offset:108
.LBB103_227:
	s_or_b64 exec, exec, s[4:5]
	s_waitcnt lgkmcnt(0)
	; wave barrier
	buffer_load_dword v135, off, s[0:3], 0 offset:116
	buffer_load_dword v136, off, s[0:3], 0 offset:124
	;; [unrolled: 1-line block ×42, first 2 shown]
	ds_read_b128 v[83:86], v82 offset:432
	ds_read_b128 v[87:90], v82 offset:448
	;; [unrolled: 1-line block ×4, first 2 shown]
	buffer_load_dword v177, off, s[0:3], 0 offset:276
	buffer_load_dword v178, off, s[0:3], 0 offset:272
	;; [unrolled: 1-line block ×6, first 2 shown]
	ds_read_b128 v[99:102], v82 offset:496
	ds_read_b128 v[103:106], v82 offset:512
	buffer_load_dword v183, off, s[0:3], 0 offset:296
	buffer_load_dword v184, off, s[0:3], 0 offset:300
	;; [unrolled: 1-line block ×6, first 2 shown]
	v_cmp_lt_u32_e32 vcc, 12, v0
	s_waitcnt vmcnt(53) lgkmcnt(5)
	v_mul_f32_e32 v107, v83, v135
	s_waitcnt vmcnt(52)
	v_mul_f32_e32 v108, v85, v136
	s_waitcnt vmcnt(51) lgkmcnt(4)
	v_mul_f32_e32 v109, v87, v137
	s_waitcnt vmcnt(50)
	v_mul_f32_e32 v110, v89, v138
	;; [unrolled: 4-line block ×5, first 2 shown]
	s_waitcnt vmcnt(43)
	v_fmac_f32_e32 v107, v84, v145
	v_mul_f32_e32 v84, v84, v135
	s_waitcnt vmcnt(42)
	v_fmac_f32_e32 v108, v86, v146
	v_add_f32_e32 v107, 0, v107
	v_fma_f32 v83, v83, v145, -v84
	v_mul_f32_e32 v84, v86, v136
	s_waitcnt vmcnt(41)
	v_fmac_f32_e32 v109, v88, v147
	v_add_f32_e32 v107, v107, v108
	v_add_f32_e32 v83, 0, v83
	v_fma_f32 v84, v85, v146, -v84
	s_waitcnt vmcnt(40)
	v_fmac_f32_e32 v110, v90, v148
	v_add_f32_e32 v107, v107, v109
	v_add_f32_e32 v83, v83, v84
	v_mul_f32_e32 v84, v88, v137
	s_waitcnt vmcnt(39)
	v_fmac_f32_e32 v111, v92, v149
	v_add_f32_e32 v107, v107, v110
	v_fma_f32 v84, v87, v147, -v84
	s_waitcnt vmcnt(38)
	v_fmac_f32_e32 v112, v94, v150
	v_add_f32_e32 v107, v107, v111
	v_add_f32_e32 v83, v83, v84
	v_mul_f32_e32 v84, v90, v138
	s_waitcnt vmcnt(37)
	v_fmac_f32_e32 v113, v96, v151
	v_add_f32_e32 v107, v107, v112
	v_fma_f32 v84, v89, v148, -v84
	s_waitcnt vmcnt(36)
	v_fmac_f32_e32 v114, v98, v152
	v_add_f32_e32 v107, v107, v113
	v_add_f32_e32 v83, v83, v84
	v_mul_f32_e32 v84, v92, v139
	s_waitcnt vmcnt(35)
	v_fmac_f32_e32 v115, v100, v153
	v_add_f32_e32 v107, v107, v114
	v_fma_f32 v84, v91, v149, -v84
	s_waitcnt vmcnt(34)
	v_fmac_f32_e32 v116, v102, v154
	v_add_f32_e32 v107, v107, v115
	s_waitcnt vmcnt(33) lgkmcnt(0)
	v_mul_f32_e32 v108, v103, v155
	v_add_f32_e32 v83, v83, v84
	v_mul_f32_e32 v84, v94, v140
	v_add_f32_e32 v107, v107, v116
	s_waitcnt vmcnt(32)
	v_fmac_f32_e32 v108, v104, v156
	v_fma_f32 v84, v93, v150, -v84
	v_add_f32_e32 v111, v107, v108
	ds_read_b128 v[107:110], v82 offset:528
	v_add_f32_e32 v83, v83, v84
	v_mul_f32_e32 v84, v96, v141
	v_fma_f32 v84, v95, v151, -v84
	s_waitcnt vmcnt(31)
	v_mul_f32_e32 v112, v105, v157
	v_add_f32_e32 v83, v83, v84
	v_mul_f32_e32 v84, v98, v142
	s_waitcnt vmcnt(30)
	v_fmac_f32_e32 v112, v106, v158
	v_fma_f32 v84, v97, v152, -v84
	v_add_f32_e32 v115, v111, v112
	ds_read_b128 v[111:114], v82 offset:544
	v_add_f32_e32 v83, v83, v84
	v_mul_f32_e32 v84, v100, v143
	s_waitcnt vmcnt(29) lgkmcnt(1)
	v_mul_f32_e32 v116, v107, v159
	v_fma_f32 v84, v99, v153, -v84
	s_waitcnt vmcnt(28)
	v_fmac_f32_e32 v116, v108, v160
	v_add_f32_e32 v83, v83, v84
	v_mul_f32_e32 v84, v102, v144
	v_add_f32_e32 v115, v115, v116
	s_waitcnt vmcnt(27)
	v_mul_f32_e32 v116, v109, v161
	v_fma_f32 v84, v101, v154, -v84
	s_waitcnt vmcnt(26)
	v_fmac_f32_e32 v116, v110, v162
	v_add_f32_e32 v83, v83, v84
	v_mul_f32_e32 v84, v104, v155
	v_add_f32_e32 v115, v115, v116
	s_waitcnt vmcnt(25) lgkmcnt(0)
	v_mul_f32_e32 v116, v111, v163
	v_fma_f32 v84, v103, v156, -v84
	s_waitcnt vmcnt(24)
	v_fmac_f32_e32 v116, v112, v164
	v_add_f32_e32 v83, v83, v84
	v_mul_f32_e32 v84, v106, v157
	v_add_f32_e32 v119, v115, v116
	ds_read_b128 v[115:118], v82 offset:560
	v_fma_f32 v84, v105, v158, -v84
	v_add_f32_e32 v83, v83, v84
	v_mul_f32_e32 v84, v108, v159
	s_waitcnt vmcnt(23)
	v_mul_f32_e32 v120, v113, v165
	v_fma_f32 v84, v107, v160, -v84
	s_waitcnt vmcnt(22)
	v_fmac_f32_e32 v120, v114, v166
	v_add_f32_e32 v83, v83, v84
	v_mul_f32_e32 v84, v110, v161
	v_add_f32_e32 v123, v119, v120
	ds_read_b128 v[119:122], v82 offset:576
	v_fma_f32 v84, v109, v162, -v84
	s_waitcnt vmcnt(21) lgkmcnt(1)
	v_mul_f32_e32 v124, v115, v167
	v_add_f32_e32 v83, v83, v84
	v_mul_f32_e32 v84, v112, v163
	s_waitcnt vmcnt(20)
	v_fmac_f32_e32 v124, v116, v168
	v_fma_f32 v84, v111, v164, -v84
	v_add_f32_e32 v123, v123, v124
	s_waitcnt vmcnt(18)
	v_mul_f32_e32 v124, v117, v170
	v_add_f32_e32 v83, v83, v84
	v_mul_f32_e32 v84, v114, v165
	v_fmac_f32_e32 v124, v118, v169
	v_fma_f32 v84, v113, v166, -v84
	v_add_f32_e32 v123, v123, v124
	s_waitcnt vmcnt(15) lgkmcnt(0)
	v_mul_f32_e32 v124, v119, v173
	v_add_f32_e32 v83, v83, v84
	v_mul_f32_e32 v84, v116, v167
	s_waitcnt vmcnt(14)
	v_fmac_f32_e32 v124, v120, v174
	v_fma_f32 v84, v115, v168, -v84
	v_add_f32_e32 v127, v123, v124
	ds_read_b128 v[123:126], v82 offset:592
	v_add_f32_e32 v83, v83, v84
	v_mul_f32_e32 v84, v118, v170
	v_fma_f32 v84, v117, v169, -v84
	v_add_f32_e32 v83, v83, v84
	v_mul_f32_e32 v84, v120, v173
	s_waitcnt vmcnt(12)
	v_mul_f32_e32 v128, v121, v176
	v_fma_f32 v84, v119, v174, -v84
	v_fmac_f32_e32 v128, v122, v175
	v_add_f32_e32 v83, v83, v84
	v_mul_f32_e32 v84, v122, v176
	v_add_f32_e32 v131, v127, v128
	ds_read_b128 v[127:130], v82 offset:608
	s_waitcnt vmcnt(11) lgkmcnt(1)
	v_mul_f32_e32 v132, v123, v177
	v_fma_f32 v84, v121, v175, -v84
	s_waitcnt vmcnt(10)
	v_fmac_f32_e32 v132, v124, v178
	v_add_f32_e32 v83, v83, v84
	v_mul_f32_e32 v84, v124, v177
	v_add_f32_e32 v131, v131, v132
	s_waitcnt vmcnt(8)
	v_mul_f32_e32 v132, v125, v180
	v_fma_f32 v84, v123, v178, -v84
	v_fmac_f32_e32 v132, v126, v179
	v_add_f32_e32 v83, v83, v84
	v_mul_f32_e32 v84, v126, v180
	v_add_f32_e32 v189, v131, v132
	ds_read_b128 v[131:134], v82 offset:624
	v_fma_f32 v84, v125, v179, -v84
	v_add_f32_e32 v83, v83, v84
	s_waitcnt vmcnt(6) lgkmcnt(1)
	v_mul_f32_e32 v84, v128, v182
	v_mul_f32_e32 v190, v127, v182
	v_fma_f32 v84, v127, v181, -v84
	v_fmac_f32_e32 v190, v128, v181
	v_add_f32_e32 v83, v83, v84
	s_waitcnt vmcnt(4)
	v_mul_f32_e32 v84, v130, v184
	v_add_f32_e32 v82, v189, v190
	v_mul_f32_e32 v189, v129, v184
	v_fma_f32 v84, v129, v183, -v84
	v_fmac_f32_e32 v189, v130, v183
	v_add_f32_e32 v83, v83, v84
	s_waitcnt vmcnt(2) lgkmcnt(0)
	v_mul_f32_e32 v84, v132, v186
	v_add_f32_e32 v82, v82, v189
	v_mul_f32_e32 v189, v131, v186
	v_fma_f32 v84, v131, v185, -v84
	v_fmac_f32_e32 v189, v132, v185
	v_add_f32_e32 v83, v83, v84
	s_waitcnt vmcnt(0)
	v_mul_f32_e32 v84, v134, v188
	v_add_f32_e32 v82, v82, v189
	v_mul_f32_e32 v189, v133, v188
	v_fma_f32 v84, v133, v187, -v84
	v_fmac_f32_e32 v189, v134, v187
	v_add_f32_e32 v83, v83, v84
	v_add_f32_e32 v82, v82, v189
	v_sub_f32_e32 v83, v171, v83
	v_sub_f32_e32 v82, v172, v82
	buffer_store_dword v83, off, s[0:3], 0 offset:104
	buffer_store_dword v82, off, s[0:3], 0 offset:108
	s_and_saveexec_b64 s[4:5], vcc
	s_cbranch_execz .LBB103_229
; %bb.228:
	buffer_load_dword v82, off, s[0:3], 0 offset:96
	buffer_load_dword v83, off, s[0:3], 0 offset:100
	v_mov_b32_e32 v84, 0
	buffer_store_dword v84, off, s[0:3], 0 offset:96
	buffer_store_dword v84, off, s[0:3], 0 offset:100
	s_waitcnt vmcnt(2)
	ds_write_b64 v81, v[82:83]
.LBB103_229:
	s_or_b64 exec, exec, s[4:5]
	s_waitcnt lgkmcnt(0)
	; wave barrier
	buffer_load_dword v137, off, s[0:3], 0 offset:108
	buffer_load_dword v138, off, s[0:3], 0 offset:116
	;; [unrolled: 1-line block ×56, first 2 shown]
	v_mov_b32_e32 v82, 0
	ds_read2_b64 v[83:86], v82 offset0:53 offset1:54
	ds_read2_b64 v[87:90], v82 offset0:55 offset1:56
	;; [unrolled: 1-line block ×6, first 2 shown]
	v_cmp_lt_u32_e32 vcc, 11, v0
	s_waitcnt vmcnt(55) lgkmcnt(5)
	v_mul_f32_e32 v107, v83, v137
	s_waitcnt vmcnt(54)
	v_mul_f32_e32 v108, v85, v138
	s_waitcnt vmcnt(53) lgkmcnt(4)
	v_mul_f32_e32 v109, v87, v139
	s_waitcnt vmcnt(52)
	v_mul_f32_e32 v110, v89, v140
	;; [unrolled: 4-line block ×4, first 2 shown]
	s_waitcnt vmcnt(47) lgkmcnt(1)
	v_mul_f32_e32 v115, v99, v145
	s_waitcnt vmcnt(46)
	v_fmac_f32_e32 v107, v84, v146
	s_waitcnt vmcnt(45)
	v_fmac_f32_e32 v108, v86, v147
	v_add_f32_e32 v107, 0, v107
	s_waitcnt vmcnt(44)
	v_fmac_f32_e32 v109, v88, v148
	v_add_f32_e32 v107, v107, v108
	;; [unrolled: 3-line block ×3, first 2 shown]
	v_mul_f32_e32 v84, v84, v137
	s_waitcnt vmcnt(42)
	v_fmac_f32_e32 v111, v92, v150
	v_add_f32_e32 v107, v107, v110
	v_fma_f32 v83, v83, v146, -v84
	v_mul_f32_e32 v84, v86, v138
	s_waitcnt vmcnt(41)
	v_fmac_f32_e32 v112, v94, v151
	v_add_f32_e32 v107, v107, v111
	v_add_f32_e32 v83, 0, v83
	v_fma_f32 v84, v85, v147, -v84
	s_waitcnt vmcnt(40)
	v_fmac_f32_e32 v113, v96, v152
	v_add_f32_e32 v107, v107, v112
	v_add_f32_e32 v83, v83, v84
	v_mul_f32_e32 v84, v88, v139
	s_waitcnt vmcnt(39)
	v_fmac_f32_e32 v114, v98, v153
	v_add_f32_e32 v107, v107, v113
	v_fma_f32 v84, v87, v148, -v84
	v_add_f32_e32 v107, v107, v114
	s_waitcnt vmcnt(38)
	v_fmac_f32_e32 v115, v100, v154
	s_waitcnt vmcnt(37)
	v_mul_f32_e32 v108, v101, v155
	v_add_f32_e32 v83, v83, v84
	v_mul_f32_e32 v84, v90, v140
	v_add_f32_e32 v107, v107, v115
	s_waitcnt vmcnt(36)
	v_fmac_f32_e32 v108, v102, v156
	v_fma_f32 v84, v89, v149, -v84
	v_add_f32_e32 v107, v107, v108
	s_waitcnt vmcnt(35) lgkmcnt(0)
	v_mul_f32_e32 v108, v103, v157
	v_add_f32_e32 v83, v83, v84
	v_mul_f32_e32 v84, v92, v141
	s_waitcnt vmcnt(34)
	v_fmac_f32_e32 v108, v104, v158
	v_fma_f32 v84, v91, v150, -v84
	v_add_f32_e32 v111, v107, v108
	ds_read2_b64 v[107:110], v82 offset0:65 offset1:66
	v_add_f32_e32 v83, v83, v84
	v_mul_f32_e32 v84, v94, v142
	v_fma_f32 v84, v93, v151, -v84
	s_waitcnt vmcnt(33)
	v_mul_f32_e32 v112, v105, v159
	v_add_f32_e32 v83, v83, v84
	v_mul_f32_e32 v84, v96, v143
	s_waitcnt vmcnt(32)
	v_fmac_f32_e32 v112, v106, v160
	v_fma_f32 v84, v95, v152, -v84
	v_add_f32_e32 v115, v111, v112
	ds_read2_b64 v[111:114], v82 offset0:67 offset1:68
	v_add_f32_e32 v83, v83, v84
	v_mul_f32_e32 v84, v98, v144
	s_waitcnt vmcnt(31) lgkmcnt(1)
	v_mul_f32_e32 v116, v107, v161
	v_fma_f32 v84, v97, v153, -v84
	s_waitcnt vmcnt(30)
	v_fmac_f32_e32 v116, v108, v162
	v_add_f32_e32 v83, v83, v84
	v_mul_f32_e32 v84, v100, v145
	v_add_f32_e32 v115, v115, v116
	s_waitcnt vmcnt(29)
	v_mul_f32_e32 v116, v109, v163
	v_fma_f32 v84, v99, v154, -v84
	s_waitcnt vmcnt(28)
	v_fmac_f32_e32 v116, v110, v164
	v_add_f32_e32 v83, v83, v84
	v_mul_f32_e32 v84, v102, v155
	v_add_f32_e32 v115, v115, v116
	s_waitcnt vmcnt(27) lgkmcnt(0)
	v_mul_f32_e32 v116, v111, v165
	v_fma_f32 v84, v101, v156, -v84
	s_waitcnt vmcnt(26)
	v_fmac_f32_e32 v116, v112, v166
	v_add_f32_e32 v83, v83, v84
	v_mul_f32_e32 v84, v104, v157
	v_add_f32_e32 v119, v115, v116
	ds_read2_b64 v[115:118], v82 offset0:69 offset1:70
	v_fma_f32 v84, v103, v158, -v84
	v_add_f32_e32 v83, v83, v84
	v_mul_f32_e32 v84, v106, v159
	s_waitcnt vmcnt(24)
	v_mul_f32_e32 v120, v113, v168
	v_fma_f32 v84, v105, v160, -v84
	v_fmac_f32_e32 v120, v114, v167
	v_add_f32_e32 v83, v83, v84
	v_mul_f32_e32 v84, v108, v161
	v_add_f32_e32 v123, v119, v120
	ds_read2_b64 v[119:122], v82 offset0:71 offset1:72
	v_fma_f32 v84, v107, v162, -v84
	s_waitcnt vmcnt(21) lgkmcnt(1)
	v_mul_f32_e32 v124, v115, v171
	v_add_f32_e32 v83, v83, v84
	v_mul_f32_e32 v84, v110, v163
	s_waitcnt vmcnt(20)
	v_fmac_f32_e32 v124, v116, v172
	v_fma_f32 v84, v109, v164, -v84
	v_add_f32_e32 v123, v123, v124
	s_waitcnt vmcnt(18)
	v_mul_f32_e32 v124, v117, v174
	v_add_f32_e32 v83, v83, v84
	v_mul_f32_e32 v84, v112, v165
	v_fmac_f32_e32 v124, v118, v173
	v_fma_f32 v84, v111, v166, -v84
	v_add_f32_e32 v123, v123, v124
	s_waitcnt vmcnt(16) lgkmcnt(0)
	v_mul_f32_e32 v124, v119, v176
	v_add_f32_e32 v83, v83, v84
	v_mul_f32_e32 v84, v114, v168
	v_fmac_f32_e32 v124, v120, v175
	v_fma_f32 v84, v113, v167, -v84
	v_add_f32_e32 v127, v123, v124
	ds_read2_b64 v[123:126], v82 offset0:73 offset1:74
	v_add_f32_e32 v83, v83, v84
	v_mul_f32_e32 v84, v116, v171
	v_fma_f32 v84, v115, v172, -v84
	s_waitcnt vmcnt(14)
	v_mul_f32_e32 v128, v121, v178
	v_add_f32_e32 v83, v83, v84
	v_mul_f32_e32 v84, v118, v174
	v_fmac_f32_e32 v128, v122, v177
	v_fma_f32 v84, v117, v173, -v84
	v_add_f32_e32 v131, v127, v128
	ds_read2_b64 v[127:130], v82 offset0:75 offset1:76
	v_add_f32_e32 v83, v83, v84
	v_mul_f32_e32 v84, v120, v176
	s_waitcnt vmcnt(12) lgkmcnt(1)
	v_mul_f32_e32 v132, v123, v180
	v_fma_f32 v84, v119, v175, -v84
	v_fmac_f32_e32 v132, v124, v179
	v_add_f32_e32 v83, v83, v84
	v_mul_f32_e32 v84, v122, v178
	v_add_f32_e32 v131, v131, v132
	s_waitcnt vmcnt(10)
	v_mul_f32_e32 v132, v125, v182
	v_fma_f32 v84, v121, v177, -v84
	v_fmac_f32_e32 v132, v126, v181
	v_add_f32_e32 v83, v83, v84
	v_mul_f32_e32 v84, v124, v180
	v_add_f32_e32 v131, v131, v132
	s_waitcnt vmcnt(8) lgkmcnt(0)
	v_mul_f32_e32 v132, v127, v184
	v_fma_f32 v84, v123, v179, -v84
	v_fmac_f32_e32 v132, v128, v183
	v_add_f32_e32 v83, v83, v84
	v_mul_f32_e32 v84, v126, v182
	v_add_f32_e32 v135, v131, v132
	ds_read2_b64 v[131:134], v82 offset0:77 offset1:78
	v_fma_f32 v84, v125, v181, -v84
	v_add_f32_e32 v83, v83, v84
	v_mul_f32_e32 v84, v128, v184
	s_waitcnt vmcnt(6)
	v_mul_f32_e32 v136, v129, v186
	v_fma_f32 v84, v127, v183, -v84
	v_fmac_f32_e32 v136, v130, v185
	v_add_f32_e32 v83, v83, v84
	v_mul_f32_e32 v84, v130, v186
	v_add_f32_e32 v193, v135, v136
	ds_read_b64 v[135:136], v82 offset:632
	v_fma_f32 v84, v129, v185, -v84
	v_add_f32_e32 v83, v83, v84
	s_waitcnt vmcnt(4) lgkmcnt(1)
	v_mul_f32_e32 v84, v132, v188
	v_mul_f32_e32 v194, v131, v188
	v_fma_f32 v84, v131, v187, -v84
	v_fmac_f32_e32 v194, v132, v187
	v_add_f32_e32 v83, v83, v84
	s_waitcnt vmcnt(2)
	v_mul_f32_e32 v84, v134, v190
	v_add_f32_e32 v193, v193, v194
	v_mul_f32_e32 v194, v133, v190
	v_fma_f32 v84, v133, v189, -v84
	v_fmac_f32_e32 v194, v134, v189
	v_add_f32_e32 v83, v83, v84
	s_waitcnt vmcnt(0) lgkmcnt(0)
	v_mul_f32_e32 v84, v136, v192
	v_add_f32_e32 v193, v193, v194
	v_mul_f32_e32 v194, v135, v192
	v_fma_f32 v84, v135, v191, -v84
	v_fmac_f32_e32 v194, v136, v191
	v_add_f32_e32 v83, v83, v84
	v_add_f32_e32 v193, v193, v194
	v_sub_f32_e32 v83, v169, v83
	v_sub_f32_e32 v84, v170, v193
	buffer_store_dword v83, off, s[0:3], 0 offset:96
	buffer_store_dword v84, off, s[0:3], 0 offset:100
	s_and_saveexec_b64 s[4:5], vcc
	s_cbranch_execz .LBB103_231
; %bb.230:
	buffer_load_dword v83, off, s[0:3], 0 offset:88
	buffer_load_dword v84, off, s[0:3], 0 offset:92
	s_waitcnt vmcnt(0)
	ds_write_b64 v81, v[83:84]
	buffer_store_dword v82, off, s[0:3], 0 offset:88
	buffer_store_dword v82, off, s[0:3], 0 offset:92
.LBB103_231:
	s_or_b64 exec, exec, s[4:5]
	s_waitcnt lgkmcnt(0)
	; wave barrier
	buffer_load_dword v139, off, s[0:3], 0 offset:100
	buffer_load_dword v140, off, s[0:3], 0 offset:108
	;; [unrolled: 1-line block ×34, first 2 shown]
	ds_read_b128 v[83:86], v82 offset:416
	ds_read_b128 v[87:90], v82 offset:432
	buffer_load_dword v173, off, s[0:3], 0 offset:228
	buffer_load_dword v174, off, s[0:3], 0 offset:224
	;; [unrolled: 1-line block ×6, first 2 shown]
	ds_read_b128 v[91:94], v82 offset:448
	ds_read_b128 v[95:98], v82 offset:464
	;; [unrolled: 1-line block ×4, first 2 shown]
	buffer_load_dword v179, off, s[0:3], 0 offset:252
	buffer_load_dword v180, off, s[0:3], 0 offset:248
	;; [unrolled: 1-line block ×18, first 2 shown]
	v_cmp_lt_u32_e32 vcc, 10, v0
	s_waitcnt vmcnt(57) lgkmcnt(5)
	v_mul_f32_e32 v107, v83, v139
	s_waitcnt vmcnt(56)
	v_mul_f32_e32 v108, v85, v140
	s_waitcnt vmcnt(55) lgkmcnt(4)
	v_mul_f32_e32 v109, v87, v141
	s_waitcnt vmcnt(54)
	v_mul_f32_e32 v110, v89, v142
	;; [unrolled: 4-line block ×4, first 2 shown]
	s_waitcnt vmcnt(49)
	v_fmac_f32_e32 v107, v84, v147
	s_waitcnt vmcnt(48)
	v_fmac_f32_e32 v108, v86, v148
	v_add_f32_e32 v107, 0, v107
	s_waitcnt vmcnt(47)
	v_fmac_f32_e32 v109, v88, v149
	v_add_f32_e32 v107, v107, v108
	;; [unrolled: 3-line block ×4, first 2 shown]
	v_mul_f32_e32 v84, v84, v139
	s_waitcnt vmcnt(44)
	v_fmac_f32_e32 v112, v94, v152
	v_add_f32_e32 v107, v107, v111
	v_fma_f32 v83, v83, v147, -v84
	v_mul_f32_e32 v84, v86, v140
	s_waitcnt vmcnt(43)
	v_fmac_f32_e32 v113, v96, v153
	v_add_f32_e32 v107, v107, v112
	v_add_f32_e32 v83, 0, v83
	v_fma_f32 v84, v85, v148, -v84
	s_waitcnt vmcnt(42)
	v_fmac_f32_e32 v114, v98, v154
	v_add_f32_e32 v107, v107, v113
	s_waitcnt vmcnt(41) lgkmcnt(1)
	v_mul_f32_e32 v108, v99, v155
	v_add_f32_e32 v83, v83, v84
	v_mul_f32_e32 v84, v88, v141
	v_add_f32_e32 v107, v107, v114
	s_waitcnt vmcnt(40)
	v_fmac_f32_e32 v108, v100, v156
	v_fma_f32 v84, v87, v149, -v84
	v_add_f32_e32 v107, v107, v108
	s_waitcnt vmcnt(39)
	v_mul_f32_e32 v108, v101, v157
	v_add_f32_e32 v83, v83, v84
	v_mul_f32_e32 v84, v90, v142
	s_waitcnt vmcnt(38)
	v_fmac_f32_e32 v108, v102, v158
	v_fma_f32 v84, v89, v150, -v84
	v_add_f32_e32 v107, v107, v108
	s_waitcnt vmcnt(37) lgkmcnt(0)
	v_mul_f32_e32 v108, v103, v159
	v_add_f32_e32 v83, v83, v84
	v_mul_f32_e32 v84, v92, v143
	s_waitcnt vmcnt(36)
	v_fmac_f32_e32 v108, v104, v160
	v_fma_f32 v84, v91, v151, -v84
	v_add_f32_e32 v111, v107, v108
	ds_read_b128 v[107:110], v82 offset:512
	v_add_f32_e32 v83, v83, v84
	v_mul_f32_e32 v84, v94, v144
	v_fma_f32 v84, v93, v152, -v84
	s_waitcnt vmcnt(35)
	v_mul_f32_e32 v112, v105, v161
	v_add_f32_e32 v83, v83, v84
	v_mul_f32_e32 v84, v96, v145
	s_waitcnt vmcnt(34)
	v_fmac_f32_e32 v112, v106, v162
	v_fma_f32 v84, v95, v153, -v84
	v_add_f32_e32 v115, v111, v112
	ds_read_b128 v[111:114], v82 offset:528
	v_add_f32_e32 v83, v83, v84
	v_mul_f32_e32 v84, v98, v146
	s_waitcnt vmcnt(33) lgkmcnt(1)
	v_mul_f32_e32 v116, v107, v163
	v_fma_f32 v84, v97, v154, -v84
	s_waitcnt vmcnt(32)
	v_fmac_f32_e32 v116, v108, v164
	v_add_f32_e32 v83, v83, v84
	v_mul_f32_e32 v84, v100, v155
	v_add_f32_e32 v115, v115, v116
	s_waitcnt vmcnt(31)
	v_mul_f32_e32 v116, v109, v165
	v_fma_f32 v84, v99, v156, -v84
	s_waitcnt vmcnt(30)
	v_fmac_f32_e32 v116, v110, v166
	v_add_f32_e32 v83, v83, v84
	v_mul_f32_e32 v84, v102, v157
	v_add_f32_e32 v115, v115, v116
	s_waitcnt vmcnt(29) lgkmcnt(0)
	v_mul_f32_e32 v116, v111, v167
	v_fma_f32 v84, v101, v158, -v84
	s_waitcnt vmcnt(28)
	v_fmac_f32_e32 v116, v112, v168
	v_add_f32_e32 v83, v83, v84
	v_mul_f32_e32 v84, v104, v159
	v_add_f32_e32 v119, v115, v116
	ds_read_b128 v[115:118], v82 offset:544
	v_fma_f32 v84, v103, v160, -v84
	v_add_f32_e32 v83, v83, v84
	v_mul_f32_e32 v84, v106, v161
	s_waitcnt vmcnt(25)
	v_mul_f32_e32 v120, v113, v171
	v_fma_f32 v84, v105, v162, -v84
	s_waitcnt vmcnt(24)
	v_fmac_f32_e32 v120, v114, v172
	v_add_f32_e32 v83, v83, v84
	v_mul_f32_e32 v84, v108, v163
	v_add_f32_e32 v123, v119, v120
	ds_read_b128 v[119:122], v82 offset:560
	v_fma_f32 v84, v107, v164, -v84
	s_waitcnt vmcnt(23) lgkmcnt(1)
	v_mul_f32_e32 v124, v115, v173
	v_add_f32_e32 v83, v83, v84
	v_mul_f32_e32 v84, v110, v165
	s_waitcnt vmcnt(22)
	v_fmac_f32_e32 v124, v116, v174
	v_fma_f32 v84, v109, v166, -v84
	v_add_f32_e32 v123, v123, v124
	s_waitcnt vmcnt(20)
	v_mul_f32_e32 v124, v117, v176
	v_add_f32_e32 v83, v83, v84
	v_mul_f32_e32 v84, v112, v167
	v_fmac_f32_e32 v124, v118, v175
	v_fma_f32 v84, v111, v168, -v84
	v_add_f32_e32 v123, v123, v124
	s_waitcnt vmcnt(18) lgkmcnt(0)
	v_mul_f32_e32 v124, v119, v178
	v_add_f32_e32 v83, v83, v84
	v_mul_f32_e32 v84, v114, v171
	v_fmac_f32_e32 v124, v120, v177
	v_fma_f32 v84, v113, v172, -v84
	v_add_f32_e32 v127, v123, v124
	ds_read_b128 v[123:126], v82 offset:576
	v_add_f32_e32 v83, v83, v84
	v_mul_f32_e32 v84, v116, v173
	v_fma_f32 v84, v115, v174, -v84
	s_waitcnt vmcnt(17)
	v_mul_f32_e32 v128, v121, v179
	v_add_f32_e32 v83, v83, v84
	v_mul_f32_e32 v84, v118, v176
	s_waitcnt vmcnt(16)
	v_fmac_f32_e32 v128, v122, v180
	v_fma_f32 v84, v117, v175, -v84
	v_add_f32_e32 v131, v127, v128
	ds_read_b128 v[127:130], v82 offset:592
	v_add_f32_e32 v83, v83, v84
	v_mul_f32_e32 v84, v120, v178
	s_waitcnt vmcnt(14) lgkmcnt(1)
	v_mul_f32_e32 v132, v123, v182
	v_fma_f32 v84, v119, v177, -v84
	v_fmac_f32_e32 v132, v124, v181
	v_add_f32_e32 v83, v83, v84
	v_mul_f32_e32 v84, v122, v179
	v_add_f32_e32 v131, v131, v132
	s_waitcnt vmcnt(12)
	v_mul_f32_e32 v132, v125, v184
	v_fma_f32 v84, v121, v180, -v84
	v_fmac_f32_e32 v132, v126, v183
	v_add_f32_e32 v83, v83, v84
	v_mul_f32_e32 v84, v124, v182
	v_add_f32_e32 v131, v131, v132
	s_waitcnt vmcnt(10) lgkmcnt(0)
	v_mul_f32_e32 v132, v127, v186
	v_fma_f32 v84, v123, v181, -v84
	v_fmac_f32_e32 v132, v128, v185
	v_add_f32_e32 v83, v83, v84
	v_mul_f32_e32 v84, v126, v184
	v_add_f32_e32 v135, v131, v132
	ds_read_b128 v[131:134], v82 offset:608
	v_fma_f32 v84, v125, v183, -v84
	v_add_f32_e32 v83, v83, v84
	v_mul_f32_e32 v84, v128, v186
	s_waitcnt vmcnt(8)
	v_mul_f32_e32 v136, v129, v188
	v_fma_f32 v84, v127, v185, -v84
	v_fmac_f32_e32 v136, v130, v187
	v_add_f32_e32 v83, v83, v84
	v_mul_f32_e32 v84, v130, v188
	v_add_f32_e32 v197, v135, v136
	ds_read_b128 v[135:138], v82 offset:624
	v_fma_f32 v84, v129, v187, -v84
	v_add_f32_e32 v83, v83, v84
	s_waitcnt vmcnt(6) lgkmcnt(1)
	v_mul_f32_e32 v84, v132, v190
	v_mul_f32_e32 v82, v131, v190
	v_fma_f32 v84, v131, v189, -v84
	v_fmac_f32_e32 v82, v132, v189
	v_add_f32_e32 v83, v83, v84
	s_waitcnt vmcnt(4)
	v_mul_f32_e32 v84, v134, v192
	v_add_f32_e32 v82, v197, v82
	v_mul_f32_e32 v197, v133, v192
	v_fma_f32 v84, v133, v191, -v84
	v_fmac_f32_e32 v197, v134, v191
	v_add_f32_e32 v83, v83, v84
	s_waitcnt vmcnt(2) lgkmcnt(0)
	v_mul_f32_e32 v84, v136, v194
	v_add_f32_e32 v82, v82, v197
	v_mul_f32_e32 v197, v135, v194
	v_fma_f32 v84, v135, v193, -v84
	v_fmac_f32_e32 v197, v136, v193
	v_add_f32_e32 v83, v83, v84
	s_waitcnt vmcnt(0)
	v_mul_f32_e32 v84, v138, v196
	v_add_f32_e32 v82, v82, v197
	v_mul_f32_e32 v197, v137, v196
	v_fma_f32 v84, v137, v195, -v84
	v_fmac_f32_e32 v197, v138, v195
	v_add_f32_e32 v83, v83, v84
	v_add_f32_e32 v82, v82, v197
	v_sub_f32_e32 v83, v169, v83
	v_sub_f32_e32 v82, v170, v82
	buffer_store_dword v83, off, s[0:3], 0 offset:88
	buffer_store_dword v82, off, s[0:3], 0 offset:92
	s_and_saveexec_b64 s[4:5], vcc
	s_cbranch_execz .LBB103_233
; %bb.232:
	buffer_load_dword v82, off, s[0:3], 0 offset:80
	buffer_load_dword v83, off, s[0:3], 0 offset:84
	v_mov_b32_e32 v84, 0
	buffer_store_dword v84, off, s[0:3], 0 offset:80
	buffer_store_dword v84, off, s[0:3], 0 offset:84
	s_waitcnt vmcnt(2)
	ds_write_b64 v81, v[82:83]
.LBB103_233:
	s_or_b64 exec, exec, s[4:5]
	s_waitcnt lgkmcnt(0)
	; wave barrier
	buffer_load_dword v141, off, s[0:3], 0 offset:92
	buffer_load_dword v142, off, s[0:3], 0 offset:100
	;; [unrolled: 1-line block ×60, first 2 shown]
	v_mov_b32_e32 v82, 0
	ds_read2_b64 v[83:86], v82 offset0:51 offset1:52
	ds_read2_b64 v[87:90], v82 offset0:53 offset1:54
	;; [unrolled: 1-line block ×5, first 2 shown]
	v_cmp_lt_u32_e32 vcc, 9, v0
	s_waitcnt vmcnt(59) lgkmcnt(4)
	v_mul_f32_e32 v103, v83, v141
	s_waitcnt vmcnt(58)
	v_mul_f32_e32 v104, v85, v142
	s_waitcnt vmcnt(57) lgkmcnt(3)
	v_mul_f32_e32 v105, v87, v143
	s_waitcnt vmcnt(56)
	v_mul_f32_e32 v106, v89, v144
	;; [unrolled: 4-line block ×3, first 2 shown]
	s_waitcnt vmcnt(53) lgkmcnt(1)
	v_mul_f32_e32 v109, v95, v147
	s_waitcnt vmcnt(52)
	v_fmac_f32_e32 v103, v84, v148
	s_waitcnt vmcnt(51)
	v_fmac_f32_e32 v104, v86, v149
	v_add_f32_e32 v103, 0, v103
	s_waitcnt vmcnt(50)
	v_fmac_f32_e32 v105, v88, v150
	v_add_f32_e32 v103, v103, v104
	;; [unrolled: 3-line block ×6, first 2 shown]
	s_waitcnt vmcnt(45)
	v_mul_f32_e32 v104, v97, v155
	v_add_f32_e32 v103, v103, v109
	s_waitcnt vmcnt(44)
	v_fmac_f32_e32 v104, v98, v156
	v_mul_f32_e32 v84, v84, v141
	v_add_f32_e32 v107, v103, v104
	ds_read2_b64 v[103:106], v82 offset0:61 offset1:62
	v_fma_f32 v83, v83, v148, -v84
	v_mul_f32_e32 v84, v86, v142
	s_waitcnt vmcnt(43) lgkmcnt(1)
	v_mul_f32_e32 v108, v99, v157
	v_add_f32_e32 v83, 0, v83
	v_fma_f32 v84, v85, v149, -v84
	s_waitcnt vmcnt(42)
	v_fmac_f32_e32 v108, v100, v158
	v_add_f32_e32 v83, v83, v84
	v_mul_f32_e32 v84, v88, v143
	v_add_f32_e32 v107, v107, v108
	s_waitcnt vmcnt(41)
	v_mul_f32_e32 v108, v101, v159
	v_fma_f32 v84, v87, v150, -v84
	s_waitcnt vmcnt(40)
	v_fmac_f32_e32 v108, v102, v160
	v_add_f32_e32 v83, v83, v84
	v_mul_f32_e32 v84, v90, v144
	v_add_f32_e32 v107, v107, v108
	s_waitcnt vmcnt(39) lgkmcnt(0)
	v_mul_f32_e32 v108, v103, v161
	v_fma_f32 v84, v89, v151, -v84
	s_waitcnt vmcnt(38)
	v_fmac_f32_e32 v108, v104, v162
	v_add_f32_e32 v83, v83, v84
	v_mul_f32_e32 v84, v92, v145
	v_add_f32_e32 v111, v107, v108
	ds_read2_b64 v[107:110], v82 offset0:63 offset1:64
	v_fma_f32 v84, v91, v152, -v84
	v_add_f32_e32 v83, v83, v84
	v_mul_f32_e32 v84, v94, v146
	s_waitcnt vmcnt(37)
	v_mul_f32_e32 v112, v105, v163
	v_fma_f32 v84, v93, v153, -v84
	s_waitcnt vmcnt(36)
	v_fmac_f32_e32 v112, v106, v164
	v_add_f32_e32 v83, v83, v84
	v_mul_f32_e32 v84, v96, v147
	v_add_f32_e32 v115, v111, v112
	ds_read2_b64 v[111:114], v82 offset0:65 offset1:66
	v_fma_f32 v84, v95, v154, -v84
	s_waitcnt vmcnt(34) lgkmcnt(1)
	v_mul_f32_e32 v116, v107, v166
	v_add_f32_e32 v83, v83, v84
	v_mul_f32_e32 v84, v98, v155
	v_fmac_f32_e32 v116, v108, v165
	v_fma_f32 v84, v97, v156, -v84
	v_add_f32_e32 v115, v115, v116
	s_waitcnt vmcnt(31)
	v_mul_f32_e32 v116, v109, v169
	v_add_f32_e32 v83, v83, v84
	v_mul_f32_e32 v84, v100, v157
	s_waitcnt vmcnt(30)
	v_fmac_f32_e32 v116, v110, v170
	v_fma_f32 v84, v99, v158, -v84
	v_add_f32_e32 v115, v115, v116
	s_waitcnt vmcnt(28) lgkmcnt(0)
	v_mul_f32_e32 v116, v111, v172
	v_add_f32_e32 v83, v83, v84
	v_mul_f32_e32 v84, v102, v159
	v_fmac_f32_e32 v116, v112, v171
	v_fma_f32 v84, v101, v160, -v84
	v_add_f32_e32 v119, v115, v116
	ds_read2_b64 v[115:118], v82 offset0:67 offset1:68
	v_add_f32_e32 v83, v83, v84
	v_mul_f32_e32 v84, v104, v161
	v_fma_f32 v84, v103, v162, -v84
	s_waitcnt vmcnt(26)
	v_mul_f32_e32 v120, v113, v174
	v_add_f32_e32 v83, v83, v84
	v_mul_f32_e32 v84, v106, v163
	v_fmac_f32_e32 v120, v114, v173
	v_fma_f32 v84, v105, v164, -v84
	v_add_f32_e32 v123, v119, v120
	ds_read2_b64 v[119:122], v82 offset0:69 offset1:70
	v_add_f32_e32 v83, v83, v84
	v_mul_f32_e32 v84, v108, v166
	s_waitcnt vmcnt(24) lgkmcnt(1)
	v_mul_f32_e32 v124, v115, v176
	v_fma_f32 v84, v107, v165, -v84
	v_fmac_f32_e32 v124, v116, v175
	v_add_f32_e32 v83, v83, v84
	v_mul_f32_e32 v84, v110, v169
	v_add_f32_e32 v123, v123, v124
	s_waitcnt vmcnt(22)
	v_mul_f32_e32 v124, v117, v178
	v_fma_f32 v84, v109, v170, -v84
	v_fmac_f32_e32 v124, v118, v177
	v_add_f32_e32 v83, v83, v84
	v_mul_f32_e32 v84, v112, v172
	v_add_f32_e32 v123, v123, v124
	s_waitcnt vmcnt(20) lgkmcnt(0)
	v_mul_f32_e32 v124, v119, v180
	v_fma_f32 v84, v111, v171, -v84
	v_fmac_f32_e32 v124, v120, v179
	v_add_f32_e32 v83, v83, v84
	v_mul_f32_e32 v84, v114, v174
	v_add_f32_e32 v127, v123, v124
	ds_read2_b64 v[123:126], v82 offset0:71 offset1:72
	v_fma_f32 v84, v113, v173, -v84
	v_add_f32_e32 v83, v83, v84
	v_mul_f32_e32 v84, v116, v176
	s_waitcnt vmcnt(18)
	v_mul_f32_e32 v128, v121, v182
	v_fma_f32 v84, v115, v175, -v84
	v_fmac_f32_e32 v128, v122, v181
	v_add_f32_e32 v83, v83, v84
	v_mul_f32_e32 v84, v118, v178
	v_add_f32_e32 v131, v127, v128
	ds_read2_b64 v[127:130], v82 offset0:73 offset1:74
	v_fma_f32 v84, v117, v177, -v84
	s_waitcnt vmcnt(16) lgkmcnt(1)
	v_mul_f32_e32 v132, v123, v184
	v_add_f32_e32 v83, v83, v84
	v_mul_f32_e32 v84, v120, v180
	v_fmac_f32_e32 v132, v124, v183
	v_fma_f32 v84, v119, v179, -v84
	v_add_f32_e32 v131, v131, v132
	s_waitcnt vmcnt(14)
	v_mul_f32_e32 v132, v125, v186
	v_add_f32_e32 v83, v83, v84
	v_mul_f32_e32 v84, v122, v182
	v_fmac_f32_e32 v132, v126, v185
	v_fma_f32 v84, v121, v181, -v84
	v_add_f32_e32 v131, v131, v132
	s_waitcnt vmcnt(12) lgkmcnt(0)
	v_mul_f32_e32 v132, v127, v188
	v_add_f32_e32 v83, v83, v84
	v_mul_f32_e32 v84, v124, v184
	v_fmac_f32_e32 v132, v128, v187
	v_fma_f32 v84, v123, v183, -v84
	v_add_f32_e32 v135, v131, v132
	ds_read2_b64 v[131:134], v82 offset0:75 offset1:76
	v_add_f32_e32 v83, v83, v84
	v_mul_f32_e32 v84, v126, v186
	v_fma_f32 v84, v125, v185, -v84
	v_add_f32_e32 v83, v83, v84
	v_mul_f32_e32 v84, v128, v188
	s_waitcnt vmcnt(10)
	v_mul_f32_e32 v136, v129, v190
	v_fma_f32 v84, v127, v187, -v84
	v_fmac_f32_e32 v136, v130, v189
	v_add_f32_e32 v83, v83, v84
	v_mul_f32_e32 v84, v130, v190
	v_add_f32_e32 v139, v135, v136
	ds_read2_b64 v[135:138], v82 offset0:77 offset1:78
	s_waitcnt vmcnt(8) lgkmcnt(1)
	v_mul_f32_e32 v140, v131, v192
	v_fma_f32 v84, v129, v189, -v84
	v_fmac_f32_e32 v140, v132, v191
	v_add_f32_e32 v83, v83, v84
	v_mul_f32_e32 v84, v132, v192
	v_add_f32_e32 v139, v139, v140
	s_waitcnt vmcnt(6)
	v_mul_f32_e32 v140, v133, v194
	v_fma_f32 v84, v131, v191, -v84
	v_fmac_f32_e32 v140, v134, v193
	v_add_f32_e32 v83, v83, v84
	v_mul_f32_e32 v84, v134, v194
	v_add_f32_e32 v201, v139, v140
	ds_read_b64 v[139:140], v82 offset:632
	v_fma_f32 v84, v133, v193, -v84
	v_add_f32_e32 v83, v83, v84
	s_waitcnt vmcnt(4) lgkmcnt(1)
	v_mul_f32_e32 v84, v136, v196
	v_mul_f32_e32 v202, v135, v196
	v_fma_f32 v84, v135, v195, -v84
	v_fmac_f32_e32 v202, v136, v195
	v_add_f32_e32 v83, v83, v84
	s_waitcnt vmcnt(2)
	v_mul_f32_e32 v84, v138, v198
	v_add_f32_e32 v201, v201, v202
	v_mul_f32_e32 v202, v137, v198
	v_fma_f32 v84, v137, v197, -v84
	v_fmac_f32_e32 v202, v138, v197
	v_add_f32_e32 v83, v83, v84
	s_waitcnt vmcnt(0) lgkmcnt(0)
	v_mul_f32_e32 v84, v140, v200
	v_add_f32_e32 v201, v201, v202
	v_mul_f32_e32 v202, v139, v200
	v_fma_f32 v84, v139, v199, -v84
	v_fmac_f32_e32 v202, v140, v199
	v_add_f32_e32 v83, v83, v84
	v_add_f32_e32 v201, v201, v202
	v_sub_f32_e32 v83, v167, v83
	v_sub_f32_e32 v84, v168, v201
	buffer_store_dword v83, off, s[0:3], 0 offset:80
	buffer_store_dword v84, off, s[0:3], 0 offset:84
	s_and_saveexec_b64 s[4:5], vcc
	s_cbranch_execz .LBB103_235
; %bb.234:
	buffer_load_dword v83, off, s[0:3], 0 offset:72
	buffer_load_dword v84, off, s[0:3], 0 offset:76
	s_waitcnt vmcnt(0)
	ds_write_b64 v81, v[83:84]
	buffer_store_dword v82, off, s[0:3], 0 offset:72
	buffer_store_dword v82, off, s[0:3], 0 offset:76
.LBB103_235:
	s_or_b64 exec, exec, s[4:5]
	s_waitcnt lgkmcnt(0)
	; wave barrier
	buffer_load_dword v143, off, s[0:3], 0 offset:84
	buffer_load_dword v144, off, s[0:3], 0 offset:92
	;; [unrolled: 1-line block ×32, first 2 shown]
	ds_read_b128 v[83:86], v82 offset:400
	ds_read_b128 v[87:90], v82 offset:416
	;; [unrolled: 1-line block ×4, first 2 shown]
	buffer_load_dword v175, off, s[0:3], 0 offset:204
	buffer_load_dword v176, off, s[0:3], 0 offset:200
	;; [unrolled: 1-line block ×30, first 2 shown]
	v_cmp_lt_u32_e32 vcc, 8, v0
	s_waitcnt vmcnt(61) lgkmcnt(3)
	v_mul_f32_e32 v99, v83, v143
	s_waitcnt vmcnt(60)
	v_mul_f32_e32 v100, v85, v144
	s_waitcnt vmcnt(59) lgkmcnt(2)
	v_mul_f32_e32 v101, v87, v145
	s_waitcnt vmcnt(58)
	v_mul_f32_e32 v102, v89, v146
	;; [unrolled: 4-line block ×3, first 2 shown]
	s_waitcnt vmcnt(55) lgkmcnt(0)
	v_mul_f32_e32 v105, v95, v149
	s_waitcnt vmcnt(54)
	v_fmac_f32_e32 v99, v84, v150
	s_waitcnt vmcnt(53)
	v_fmac_f32_e32 v100, v86, v151
	v_add_f32_e32 v99, 0, v99
	s_waitcnt vmcnt(52)
	v_fmac_f32_e32 v101, v88, v152
	v_add_f32_e32 v99, v99, v100
	;; [unrolled: 3-line block ×6, first 2 shown]
	v_add_f32_e32 v103, v99, v105
	ds_read_b128 v[99:102], v82 offset:464
	s_waitcnt vmcnt(47)
	v_mul_f32_e32 v104, v97, v157
	s_waitcnt vmcnt(46)
	v_fmac_f32_e32 v104, v98, v158
	v_mul_f32_e32 v84, v84, v143
	v_add_f32_e32 v107, v103, v104
	ds_read_b128 v[103:106], v82 offset:480
	v_fma_f32 v83, v83, v150, -v84
	v_mul_f32_e32 v84, v86, v144
	s_waitcnt vmcnt(45) lgkmcnt(1)
	v_mul_f32_e32 v108, v99, v159
	v_add_f32_e32 v83, 0, v83
	v_fma_f32 v84, v85, v151, -v84
	s_waitcnt vmcnt(44)
	v_fmac_f32_e32 v108, v100, v160
	v_add_f32_e32 v83, v83, v84
	v_mul_f32_e32 v84, v88, v145
	v_add_f32_e32 v107, v107, v108
	s_waitcnt vmcnt(43)
	v_mul_f32_e32 v108, v101, v161
	v_fma_f32 v84, v87, v152, -v84
	s_waitcnt vmcnt(42)
	v_fmac_f32_e32 v108, v102, v162
	v_add_f32_e32 v83, v83, v84
	v_mul_f32_e32 v84, v90, v146
	v_add_f32_e32 v107, v107, v108
	s_waitcnt vmcnt(41) lgkmcnt(0)
	v_mul_f32_e32 v108, v103, v163
	v_fma_f32 v84, v89, v153, -v84
	s_waitcnt vmcnt(40)
	v_fmac_f32_e32 v108, v104, v164
	v_add_f32_e32 v83, v83, v84
	v_mul_f32_e32 v84, v92, v147
	v_add_f32_e32 v111, v107, v108
	ds_read_b128 v[107:110], v82 offset:496
	v_fma_f32 v84, v91, v154, -v84
	v_add_f32_e32 v83, v83, v84
	v_mul_f32_e32 v84, v94, v148
	s_waitcnt vmcnt(39)
	v_mul_f32_e32 v112, v105, v165
	v_fma_f32 v84, v93, v155, -v84
	s_waitcnt vmcnt(38)
	v_fmac_f32_e32 v112, v106, v166
	v_add_f32_e32 v83, v83, v84
	v_mul_f32_e32 v84, v96, v149
	v_add_f32_e32 v115, v111, v112
	ds_read_b128 v[111:114], v82 offset:512
	v_fma_f32 v84, v95, v156, -v84
	s_waitcnt vmcnt(35) lgkmcnt(1)
	v_mul_f32_e32 v116, v107, v169
	v_add_f32_e32 v83, v83, v84
	v_mul_f32_e32 v84, v98, v157
	s_waitcnt vmcnt(34)
	v_fmac_f32_e32 v116, v108, v170
	v_fma_f32 v84, v97, v158, -v84
	v_add_f32_e32 v115, v115, v116
	s_waitcnt vmcnt(32)
	v_mul_f32_e32 v116, v109, v172
	v_add_f32_e32 v83, v83, v84
	v_mul_f32_e32 v84, v100, v159
	v_fmac_f32_e32 v116, v110, v171
	v_fma_f32 v84, v99, v160, -v84
	v_add_f32_e32 v115, v115, v116
	s_waitcnt vmcnt(30) lgkmcnt(0)
	v_mul_f32_e32 v116, v111, v174
	v_add_f32_e32 v83, v83, v84
	v_mul_f32_e32 v84, v102, v161
	v_fmac_f32_e32 v116, v112, v173
	v_fma_f32 v84, v101, v162, -v84
	v_add_f32_e32 v119, v115, v116
	ds_read_b128 v[115:118], v82 offset:528
	v_add_f32_e32 v83, v83, v84
	v_mul_f32_e32 v84, v104, v163
	v_fma_f32 v84, v103, v164, -v84
	s_waitcnt vmcnt(29)
	v_mul_f32_e32 v120, v113, v175
	v_add_f32_e32 v83, v83, v84
	v_mul_f32_e32 v84, v106, v165
	s_waitcnt vmcnt(28)
	v_fmac_f32_e32 v120, v114, v176
	v_fma_f32 v84, v105, v166, -v84
	v_add_f32_e32 v123, v119, v120
	ds_read_b128 v[119:122], v82 offset:544
	v_add_f32_e32 v83, v83, v84
	v_mul_f32_e32 v84, v108, v169
	s_waitcnt vmcnt(26) lgkmcnt(1)
	v_mul_f32_e32 v124, v115, v178
	v_fma_f32 v84, v107, v170, -v84
	v_fmac_f32_e32 v124, v116, v177
	v_add_f32_e32 v83, v83, v84
	v_mul_f32_e32 v84, v110, v172
	v_add_f32_e32 v123, v123, v124
	s_waitcnt vmcnt(24)
	v_mul_f32_e32 v124, v117, v180
	v_fma_f32 v84, v109, v171, -v84
	v_fmac_f32_e32 v124, v118, v179
	v_add_f32_e32 v83, v83, v84
	v_mul_f32_e32 v84, v112, v174
	v_add_f32_e32 v123, v123, v124
	s_waitcnt vmcnt(22) lgkmcnt(0)
	v_mul_f32_e32 v124, v119, v182
	v_fma_f32 v84, v111, v173, -v84
	v_fmac_f32_e32 v124, v120, v181
	v_add_f32_e32 v83, v83, v84
	v_mul_f32_e32 v84, v114, v175
	v_add_f32_e32 v127, v123, v124
	ds_read_b128 v[123:126], v82 offset:560
	v_fma_f32 v84, v113, v176, -v84
	v_add_f32_e32 v83, v83, v84
	v_mul_f32_e32 v84, v116, v178
	s_waitcnt vmcnt(20)
	v_mul_f32_e32 v128, v121, v184
	v_fma_f32 v84, v115, v177, -v84
	v_fmac_f32_e32 v128, v122, v183
	v_add_f32_e32 v83, v83, v84
	v_mul_f32_e32 v84, v118, v180
	v_add_f32_e32 v131, v127, v128
	ds_read_b128 v[127:130], v82 offset:576
	v_fma_f32 v84, v117, v179, -v84
	s_waitcnt vmcnt(18) lgkmcnt(1)
	v_mul_f32_e32 v132, v123, v186
	v_add_f32_e32 v83, v83, v84
	v_mul_f32_e32 v84, v120, v182
	v_fmac_f32_e32 v132, v124, v185
	v_fma_f32 v84, v119, v181, -v84
	v_add_f32_e32 v131, v131, v132
	s_waitcnt vmcnt(16)
	v_mul_f32_e32 v132, v125, v188
	v_add_f32_e32 v83, v83, v84
	v_mul_f32_e32 v84, v122, v184
	v_fmac_f32_e32 v132, v126, v187
	v_fma_f32 v84, v121, v183, -v84
	v_add_f32_e32 v131, v131, v132
	s_waitcnt vmcnt(14) lgkmcnt(0)
	v_mul_f32_e32 v132, v127, v190
	v_add_f32_e32 v83, v83, v84
	v_mul_f32_e32 v84, v124, v186
	v_fmac_f32_e32 v132, v128, v189
	v_fma_f32 v84, v123, v185, -v84
	v_add_f32_e32 v135, v131, v132
	ds_read_b128 v[131:134], v82 offset:592
	v_add_f32_e32 v83, v83, v84
	v_mul_f32_e32 v84, v126, v188
	v_fma_f32 v84, v125, v187, -v84
	v_add_f32_e32 v83, v83, v84
	v_mul_f32_e32 v84, v128, v190
	s_waitcnt vmcnt(12)
	v_mul_f32_e32 v136, v129, v192
	v_fma_f32 v84, v127, v189, -v84
	v_fmac_f32_e32 v136, v130, v191
	v_add_f32_e32 v83, v83, v84
	v_mul_f32_e32 v84, v130, v192
	v_add_f32_e32 v139, v135, v136
	ds_read_b128 v[135:138], v82 offset:608
	s_waitcnt vmcnt(10) lgkmcnt(1)
	v_mul_f32_e32 v140, v131, v194
	v_fma_f32 v84, v129, v191, -v84
	v_fmac_f32_e32 v140, v132, v193
	v_add_f32_e32 v83, v83, v84
	v_mul_f32_e32 v84, v132, v194
	v_add_f32_e32 v139, v139, v140
	s_waitcnt vmcnt(8)
	v_mul_f32_e32 v140, v133, v196
	v_fma_f32 v84, v131, v193, -v84
	v_fmac_f32_e32 v140, v134, v195
	v_add_f32_e32 v83, v83, v84
	v_mul_f32_e32 v84, v134, v196
	v_add_f32_e32 v205, v139, v140
	ds_read_b128 v[139:142], v82 offset:624
	v_fma_f32 v84, v133, v195, -v84
	v_add_f32_e32 v83, v83, v84
	s_waitcnt vmcnt(6) lgkmcnt(1)
	v_mul_f32_e32 v84, v136, v198
	v_mul_f32_e32 v206, v135, v198
	v_fma_f32 v84, v135, v197, -v84
	v_fmac_f32_e32 v206, v136, v197
	v_add_f32_e32 v83, v83, v84
	s_waitcnt vmcnt(4)
	v_mul_f32_e32 v84, v138, v200
	v_add_f32_e32 v82, v205, v206
	v_mul_f32_e32 v205, v137, v200
	v_fma_f32 v84, v137, v199, -v84
	v_fmac_f32_e32 v205, v138, v199
	v_add_f32_e32 v83, v83, v84
	s_waitcnt vmcnt(2) lgkmcnt(0)
	v_mul_f32_e32 v84, v140, v202
	v_add_f32_e32 v82, v82, v205
	v_mul_f32_e32 v205, v139, v202
	v_fma_f32 v84, v139, v201, -v84
	v_fmac_f32_e32 v205, v140, v201
	v_add_f32_e32 v83, v83, v84
	s_waitcnt vmcnt(0)
	v_mul_f32_e32 v84, v142, v204
	v_add_f32_e32 v82, v82, v205
	v_mul_f32_e32 v205, v141, v204
	v_fma_f32 v84, v141, v203, -v84
	v_fmac_f32_e32 v205, v142, v203
	v_add_f32_e32 v83, v83, v84
	v_add_f32_e32 v82, v82, v205
	v_sub_f32_e32 v83, v167, v83
	v_sub_f32_e32 v82, v168, v82
	buffer_store_dword v83, off, s[0:3], 0 offset:72
	buffer_store_dword v82, off, s[0:3], 0 offset:76
	s_and_saveexec_b64 s[4:5], vcc
	s_cbranch_execz .LBB103_237
; %bb.236:
	buffer_load_dword v82, off, s[0:3], 0 offset:64
	buffer_load_dword v83, off, s[0:3], 0 offset:68
	v_mov_b32_e32 v84, 0
	buffer_store_dword v84, off, s[0:3], 0 offset:64
	buffer_store_dword v84, off, s[0:3], 0 offset:68
	s_waitcnt vmcnt(2)
	ds_write_b64 v81, v[82:83]
.LBB103_237:
	s_or_b64 exec, exec, s[4:5]
	s_waitcnt lgkmcnt(0)
	; wave barrier
	buffer_load_dword v145, off, s[0:3], 0 offset:76
	buffer_load_dword v146, off, s[0:3], 0 offset:84
	;; [unrolled: 1-line block ×56, first 2 shown]
	v_mov_b32_e32 v82, 0
	ds_read2_b64 v[83:86], v82 offset0:49 offset1:50
	buffer_load_dword v201, off, s[0:3], 0 offset:288
	buffer_load_dword v202, off, s[0:3], 0 offset:292
	;; [unrolled: 1-line block ×4, first 2 shown]
	ds_read2_b64 v[87:90], v82 offset0:51 offset1:52
	ds_read2_b64 v[91:94], v82 offset0:53 offset1:54
	;; [unrolled: 1-line block ×3, first 2 shown]
	v_cmp_lt_u32_e32 vcc, 7, v0
	s_waitcnt vmcnt(59) lgkmcnt(3)
	v_mul_f32_e32 v99, v83, v145
	s_waitcnt vmcnt(58)
	v_mul_f32_e32 v100, v85, v146
	s_waitcnt vmcnt(57) lgkmcnt(2)
	v_mul_f32_e32 v101, v87, v147
	s_waitcnt vmcnt(56)
	v_mul_f32_e32 v102, v89, v148
	;; [unrolled: 4-line block ×4, first 2 shown]
	s_waitcnt vmcnt(51)
	v_fmac_f32_e32 v99, v84, v153
	s_waitcnt vmcnt(50)
	v_fmac_f32_e32 v100, v86, v154
	v_add_f32_e32 v99, 0, v99
	s_waitcnt vmcnt(49)
	v_fmac_f32_e32 v101, v88, v155
	v_add_f32_e32 v99, v99, v100
	s_waitcnt vmcnt(48)
	v_fmac_f32_e32 v102, v90, v156
	v_add_f32_e32 v99, v99, v101
	s_waitcnt vmcnt(47)
	v_fmac_f32_e32 v103, v92, v157
	v_add_f32_e32 v99, v99, v102
	s_waitcnt vmcnt(46)
	v_fmac_f32_e32 v104, v94, v158
	v_add_f32_e32 v99, v99, v103
	s_waitcnt vmcnt(45)
	v_fmac_f32_e32 v105, v96, v159
	v_add_f32_e32 v99, v99, v104
	v_add_f32_e32 v103, v99, v105
	ds_read2_b64 v[99:102], v82 offset0:57 offset1:58
	buffer_load_dword v205, off, s[0:3], 0 offset:308
	buffer_load_dword v206, off, s[0:3], 0 offset:304
	;; [unrolled: 1-line block ×4, first 2 shown]
	s_waitcnt vmcnt(48)
	v_fmac_f32_e32 v106, v98, v160
	v_add_f32_e32 v107, v103, v106
	ds_read2_b64 v[103:106], v82 offset0:59 offset1:60
	s_waitcnt vmcnt(47) lgkmcnt(1)
	v_mul_f32_e32 v108, v99, v161
	v_mul_f32_e32 v84, v84, v145
	s_waitcnt vmcnt(46)
	v_fmac_f32_e32 v108, v100, v162
	v_fma_f32 v83, v83, v153, -v84
	v_mul_f32_e32 v84, v86, v146
	v_add_f32_e32 v107, v107, v108
	s_waitcnt vmcnt(45)
	v_mul_f32_e32 v108, v101, v163
	v_add_f32_e32 v83, 0, v83
	v_fma_f32 v84, v85, v154, -v84
	s_waitcnt vmcnt(44)
	v_fmac_f32_e32 v108, v102, v164
	v_add_f32_e32 v83, v83, v84
	v_mul_f32_e32 v84, v88, v147
	v_add_f32_e32 v107, v107, v108
	s_waitcnt vmcnt(42) lgkmcnt(0)
	v_mul_f32_e32 v108, v103, v166
	v_fma_f32 v84, v87, v155, -v84
	v_fmac_f32_e32 v108, v104, v165
	v_add_f32_e32 v83, v83, v84
	v_mul_f32_e32 v84, v90, v148
	v_add_f32_e32 v111, v107, v108
	ds_read2_b64 v[107:110], v82 offset0:61 offset1:62
	v_fma_f32 v84, v89, v156, -v84
	v_add_f32_e32 v83, v83, v84
	v_mul_f32_e32 v84, v92, v149
	s_waitcnt vmcnt(39)
	v_mul_f32_e32 v112, v105, v169
	v_fma_f32 v84, v91, v157, -v84
	s_waitcnt vmcnt(38)
	v_fmac_f32_e32 v112, v106, v170
	v_add_f32_e32 v83, v83, v84
	v_mul_f32_e32 v84, v94, v150
	v_add_f32_e32 v115, v111, v112
	ds_read2_b64 v[111:114], v82 offset0:63 offset1:64
	v_fma_f32 v84, v93, v158, -v84
	s_waitcnt vmcnt(36) lgkmcnt(1)
	v_mul_f32_e32 v116, v107, v172
	v_add_f32_e32 v83, v83, v84
	v_mul_f32_e32 v84, v96, v151
	v_fmac_f32_e32 v116, v108, v171
	v_fma_f32 v84, v95, v159, -v84
	v_add_f32_e32 v115, v115, v116
	s_waitcnt vmcnt(34)
	v_mul_f32_e32 v116, v109, v174
	v_add_f32_e32 v83, v83, v84
	v_mul_f32_e32 v84, v98, v152
	v_fmac_f32_e32 v116, v110, v173
	v_fma_f32 v84, v97, v160, -v84
	v_add_f32_e32 v115, v115, v116
	s_waitcnt vmcnt(32) lgkmcnt(0)
	v_mul_f32_e32 v116, v111, v176
	v_add_f32_e32 v83, v83, v84
	v_mul_f32_e32 v84, v100, v161
	v_fmac_f32_e32 v116, v112, v175
	v_fma_f32 v84, v99, v162, -v84
	v_add_f32_e32 v119, v115, v116
	ds_read2_b64 v[115:118], v82 offset0:65 offset1:66
	v_add_f32_e32 v83, v83, v84
	v_mul_f32_e32 v84, v102, v163
	v_fma_f32 v84, v101, v164, -v84
	s_waitcnt vmcnt(30)
	v_mul_f32_e32 v120, v113, v178
	v_add_f32_e32 v83, v83, v84
	v_mul_f32_e32 v84, v104, v166
	v_fmac_f32_e32 v120, v114, v177
	v_fma_f32 v84, v103, v165, -v84
	v_add_f32_e32 v123, v119, v120
	ds_read2_b64 v[119:122], v82 offset0:67 offset1:68
	v_add_f32_e32 v83, v83, v84
	v_mul_f32_e32 v84, v106, v169
	s_waitcnt vmcnt(28) lgkmcnt(1)
	v_mul_f32_e32 v124, v115, v180
	v_fma_f32 v84, v105, v170, -v84
	v_fmac_f32_e32 v124, v116, v179
	v_add_f32_e32 v83, v83, v84
	v_mul_f32_e32 v84, v108, v172
	v_add_f32_e32 v123, v123, v124
	s_waitcnt vmcnt(26)
	v_mul_f32_e32 v124, v117, v182
	v_fma_f32 v84, v107, v171, -v84
	v_fmac_f32_e32 v124, v118, v181
	v_add_f32_e32 v83, v83, v84
	v_mul_f32_e32 v84, v110, v174
	v_add_f32_e32 v123, v123, v124
	s_waitcnt vmcnt(24) lgkmcnt(0)
	v_mul_f32_e32 v124, v119, v184
	v_fma_f32 v84, v109, v173, -v84
	v_fmac_f32_e32 v124, v120, v183
	v_add_f32_e32 v83, v83, v84
	v_mul_f32_e32 v84, v112, v176
	v_add_f32_e32 v127, v123, v124
	ds_read2_b64 v[123:126], v82 offset0:69 offset1:70
	v_fma_f32 v84, v111, v175, -v84
	v_add_f32_e32 v83, v83, v84
	v_mul_f32_e32 v84, v114, v178
	s_waitcnt vmcnt(22)
	v_mul_f32_e32 v128, v121, v186
	v_fma_f32 v84, v113, v177, -v84
	v_fmac_f32_e32 v128, v122, v185
	v_add_f32_e32 v83, v83, v84
	v_mul_f32_e32 v84, v116, v180
	v_add_f32_e32 v131, v127, v128
	ds_read2_b64 v[127:130], v82 offset0:71 offset1:72
	v_fma_f32 v84, v115, v179, -v84
	s_waitcnt vmcnt(20) lgkmcnt(1)
	v_mul_f32_e32 v132, v123, v188
	v_add_f32_e32 v83, v83, v84
	v_mul_f32_e32 v84, v118, v182
	v_fmac_f32_e32 v132, v124, v187
	v_fma_f32 v84, v117, v181, -v84
	v_add_f32_e32 v131, v131, v132
	s_waitcnt vmcnt(18)
	v_mul_f32_e32 v132, v125, v190
	v_add_f32_e32 v83, v83, v84
	v_mul_f32_e32 v84, v120, v184
	v_fmac_f32_e32 v132, v126, v189
	v_fma_f32 v84, v119, v183, -v84
	v_add_f32_e32 v131, v131, v132
	s_waitcnt vmcnt(16) lgkmcnt(0)
	v_mul_f32_e32 v132, v127, v192
	v_add_f32_e32 v83, v83, v84
	v_mul_f32_e32 v84, v122, v186
	v_fmac_f32_e32 v132, v128, v191
	v_fma_f32 v84, v121, v185, -v84
	v_add_f32_e32 v135, v131, v132
	ds_read2_b64 v[131:134], v82 offset0:73 offset1:74
	v_add_f32_e32 v83, v83, v84
	v_mul_f32_e32 v84, v124, v188
	v_fma_f32 v84, v123, v187, -v84
	s_waitcnt vmcnt(14)
	v_mul_f32_e32 v136, v129, v194
	v_add_f32_e32 v83, v83, v84
	v_mul_f32_e32 v84, v126, v190
	v_fmac_f32_e32 v136, v130, v193
	v_fma_f32 v84, v125, v189, -v84
	v_add_f32_e32 v139, v135, v136
	ds_read2_b64 v[135:138], v82 offset0:75 offset1:76
	v_add_f32_e32 v83, v83, v84
	v_mul_f32_e32 v84, v128, v192
	s_waitcnt vmcnt(12) lgkmcnt(1)
	v_mul_f32_e32 v140, v131, v196
	v_fma_f32 v84, v127, v191, -v84
	v_fmac_f32_e32 v140, v132, v195
	v_add_f32_e32 v83, v83, v84
	v_mul_f32_e32 v84, v130, v194
	v_add_f32_e32 v139, v139, v140
	s_waitcnt vmcnt(10)
	v_mul_f32_e32 v140, v133, v198
	v_fma_f32 v84, v129, v193, -v84
	v_fmac_f32_e32 v140, v134, v197
	v_add_f32_e32 v83, v83, v84
	v_mul_f32_e32 v84, v132, v196
	v_add_f32_e32 v139, v139, v140
	s_waitcnt vmcnt(8) lgkmcnt(0)
	v_mul_f32_e32 v140, v135, v200
	v_fma_f32 v84, v131, v195, -v84
	v_fmac_f32_e32 v140, v136, v199
	v_add_f32_e32 v83, v83, v84
	v_mul_f32_e32 v84, v134, v198
	v_add_f32_e32 v143, v139, v140
	ds_read2_b64 v[139:142], v82 offset0:77 offset1:78
	v_fma_f32 v84, v133, v197, -v84
	v_add_f32_e32 v83, v83, v84
	v_mul_f32_e32 v84, v136, v200
	s_waitcnt vmcnt(6)
	v_mul_f32_e32 v144, v137, v202
	v_fma_f32 v84, v135, v199, -v84
	v_fmac_f32_e32 v144, v138, v201
	v_add_f32_e32 v83, v83, v84
	v_mul_f32_e32 v84, v138, v202
	v_add_f32_e32 v209, v143, v144
	ds_read_b64 v[143:144], v82 offset:632
	v_fma_f32 v84, v137, v201, -v84
	v_add_f32_e32 v83, v83, v84
	s_waitcnt vmcnt(4) lgkmcnt(1)
	v_mul_f32_e32 v84, v140, v204
	v_mul_f32_e32 v210, v139, v204
	v_fma_f32 v84, v139, v203, -v84
	v_fmac_f32_e32 v210, v140, v203
	v_add_f32_e32 v83, v83, v84
	s_waitcnt vmcnt(3)
	v_mul_f32_e32 v84, v142, v205
	v_add_f32_e32 v209, v209, v210
	v_mul_f32_e32 v210, v141, v205
	s_waitcnt vmcnt(2)
	v_fma_f32 v84, v141, v206, -v84
	v_fmac_f32_e32 v210, v142, v206
	v_add_f32_e32 v83, v83, v84
	s_waitcnt vmcnt(0) lgkmcnt(0)
	v_mul_f32_e32 v84, v144, v208
	v_add_f32_e32 v209, v209, v210
	v_mul_f32_e32 v210, v143, v208
	v_fma_f32 v84, v143, v207, -v84
	v_fmac_f32_e32 v210, v144, v207
	v_add_f32_e32 v83, v83, v84
	v_add_f32_e32 v209, v209, v210
	v_sub_f32_e32 v83, v167, v83
	v_sub_f32_e32 v84, v168, v209
	buffer_store_dword v83, off, s[0:3], 0 offset:64
	buffer_store_dword v84, off, s[0:3], 0 offset:68
	s_and_saveexec_b64 s[4:5], vcc
	s_cbranch_execz .LBB103_239
; %bb.238:
	buffer_load_dword v83, off, s[0:3], 0 offset:56
	buffer_load_dword v84, off, s[0:3], 0 offset:60
	s_waitcnt vmcnt(0)
	ds_write_b64 v81, v[83:84]
	buffer_store_dword v82, off, s[0:3], 0 offset:56
	buffer_store_dword v82, off, s[0:3], 0 offset:60
.LBB103_239:
	s_or_b64 exec, exec, s[4:5]
	s_waitcnt lgkmcnt(0)
	; wave barrier
	buffer_load_dword v147, off, s[0:3], 0 offset:68
	buffer_load_dword v148, off, s[0:3], 0 offset:76
	;; [unrolled: 1-line block ×26, first 2 shown]
	ds_read_b128 v[83:86], v82 offset:384
	ds_read_b128 v[87:90], v82 offset:400
	;; [unrolled: 1-line block ×4, first 2 shown]
	buffer_load_dword v173, off, s[0:3], 0 offset:164
	buffer_load_dword v174, off, s[0:3], 0 offset:160
	;; [unrolled: 1-line block ×34, first 2 shown]
	v_cmp_lt_u32_e32 vcc, 6, v0
	s_waitcnt vmcnt(59) lgkmcnt(3)
	v_mul_f32_e32 v99, v83, v147
	s_waitcnt vmcnt(58)
	v_mul_f32_e32 v100, v85, v148
	s_waitcnt vmcnt(57) lgkmcnt(2)
	v_mul_f32_e32 v101, v87, v149
	s_waitcnt vmcnt(56)
	v_mul_f32_e32 v102, v89, v150
	;; [unrolled: 4-line block ×4, first 2 shown]
	s_waitcnt vmcnt(51)
	v_fmac_f32_e32 v99, v84, v155
	s_waitcnt vmcnt(50)
	v_fmac_f32_e32 v100, v86, v156
	v_add_f32_e32 v99, 0, v99
	s_waitcnt vmcnt(49)
	v_fmac_f32_e32 v101, v88, v157
	v_add_f32_e32 v99, v99, v100
	s_waitcnt vmcnt(48)
	v_fmac_f32_e32 v102, v90, v158
	v_add_f32_e32 v99, v99, v101
	s_waitcnt vmcnt(47)
	v_fmac_f32_e32 v103, v92, v159
	v_add_f32_e32 v99, v99, v102
	s_waitcnt vmcnt(46)
	v_fmac_f32_e32 v104, v94, v160
	v_add_f32_e32 v99, v99, v103
	s_waitcnt vmcnt(45)
	v_fmac_f32_e32 v105, v96, v161
	v_add_f32_e32 v99, v99, v104
	s_waitcnt vmcnt(44)
	v_fmac_f32_e32 v106, v98, v162
	v_add_f32_e32 v99, v99, v105
	v_add_f32_e32 v107, v99, v106
	ds_read_b128 v[99:102], v82 offset:448
	buffer_load_dword v207, off, s[0:3], 0 offset:300
	buffer_load_dword v208, off, s[0:3], 0 offset:296
	;; [unrolled: 1-line block ×4, first 2 shown]
	ds_read_b128 v[103:106], v82 offset:464
	buffer_load_dword v211, off, s[0:3], 0 offset:312
	buffer_load_dword v212, off, s[0:3], 0 offset:316
	v_mul_f32_e32 v84, v84, v147
	s_waitcnt vmcnt(49) lgkmcnt(1)
	v_mul_f32_e32 v108, v99, v163
	s_waitcnt vmcnt(48)
	v_fmac_f32_e32 v108, v100, v164
	v_fma_f32 v83, v83, v155, -v84
	v_mul_f32_e32 v84, v86, v148
	v_add_f32_e32 v107, v107, v108
	s_waitcnt vmcnt(46)
	v_mul_f32_e32 v108, v101, v166
	v_add_f32_e32 v83, 0, v83
	v_fma_f32 v84, v85, v156, -v84
	v_fmac_f32_e32 v108, v102, v165
	v_add_f32_e32 v83, v83, v84
	v_mul_f32_e32 v84, v88, v149
	v_add_f32_e32 v107, v107, v108
	s_waitcnt vmcnt(43) lgkmcnt(0)
	v_mul_f32_e32 v108, v103, v169
	v_fma_f32 v84, v87, v157, -v84
	s_waitcnt vmcnt(42)
	v_fmac_f32_e32 v108, v104, v170
	v_add_f32_e32 v83, v83, v84
	v_mul_f32_e32 v84, v90, v150
	v_add_f32_e32 v111, v107, v108
	ds_read_b128 v[107:110], v82 offset:480
	v_fma_f32 v84, v89, v158, -v84
	v_add_f32_e32 v83, v83, v84
	v_mul_f32_e32 v84, v92, v151
	s_waitcnt vmcnt(40)
	v_mul_f32_e32 v112, v105, v172
	v_fma_f32 v84, v91, v159, -v84
	v_fmac_f32_e32 v112, v106, v171
	v_add_f32_e32 v83, v83, v84
	v_mul_f32_e32 v84, v94, v152
	v_add_f32_e32 v115, v111, v112
	ds_read_b128 v[111:114], v82 offset:496
	v_fma_f32 v84, v93, v160, -v84
	s_waitcnt vmcnt(39) lgkmcnt(1)
	v_mul_f32_e32 v116, v107, v173
	v_add_f32_e32 v83, v83, v84
	v_mul_f32_e32 v84, v96, v153
	s_waitcnt vmcnt(38)
	v_fmac_f32_e32 v116, v108, v174
	v_fma_f32 v84, v95, v161, -v84
	v_add_f32_e32 v115, v115, v116
	s_waitcnt vmcnt(36)
	v_mul_f32_e32 v116, v109, v176
	v_add_f32_e32 v83, v83, v84
	v_mul_f32_e32 v84, v98, v154
	v_fmac_f32_e32 v116, v110, v175
	v_fma_f32 v84, v97, v162, -v84
	v_add_f32_e32 v115, v115, v116
	s_waitcnt vmcnt(34) lgkmcnt(0)
	v_mul_f32_e32 v116, v111, v178
	v_add_f32_e32 v83, v83, v84
	v_mul_f32_e32 v84, v100, v163
	v_fmac_f32_e32 v116, v112, v177
	v_fma_f32 v84, v99, v164, -v84
	v_add_f32_e32 v119, v115, v116
	ds_read_b128 v[115:118], v82 offset:512
	v_add_f32_e32 v83, v83, v84
	v_mul_f32_e32 v84, v102, v166
	v_fma_f32 v84, v101, v165, -v84
	s_waitcnt vmcnt(32)
	v_mul_f32_e32 v120, v113, v180
	v_add_f32_e32 v83, v83, v84
	v_mul_f32_e32 v84, v104, v169
	v_fmac_f32_e32 v120, v114, v179
	v_fma_f32 v84, v103, v170, -v84
	v_add_f32_e32 v123, v119, v120
	ds_read_b128 v[119:122], v82 offset:528
	v_add_f32_e32 v83, v83, v84
	v_mul_f32_e32 v84, v106, v172
	s_waitcnt vmcnt(30) lgkmcnt(1)
	v_mul_f32_e32 v124, v115, v182
	v_fma_f32 v84, v105, v171, -v84
	v_fmac_f32_e32 v124, v116, v181
	v_add_f32_e32 v83, v83, v84
	v_mul_f32_e32 v84, v108, v173
	v_add_f32_e32 v123, v123, v124
	s_waitcnt vmcnt(28)
	v_mul_f32_e32 v124, v117, v184
	v_fma_f32 v84, v107, v174, -v84
	v_fmac_f32_e32 v124, v118, v183
	v_add_f32_e32 v83, v83, v84
	v_mul_f32_e32 v84, v110, v176
	v_add_f32_e32 v123, v123, v124
	s_waitcnt vmcnt(26) lgkmcnt(0)
	v_mul_f32_e32 v124, v119, v186
	v_fma_f32 v84, v109, v175, -v84
	v_fmac_f32_e32 v124, v120, v185
	v_add_f32_e32 v83, v83, v84
	v_mul_f32_e32 v84, v112, v178
	v_add_f32_e32 v127, v123, v124
	ds_read_b128 v[123:126], v82 offset:544
	v_fma_f32 v84, v111, v177, -v84
	v_add_f32_e32 v83, v83, v84
	v_mul_f32_e32 v84, v114, v180
	s_waitcnt vmcnt(24)
	v_mul_f32_e32 v128, v121, v188
	v_fma_f32 v84, v113, v179, -v84
	v_fmac_f32_e32 v128, v122, v187
	v_add_f32_e32 v83, v83, v84
	v_mul_f32_e32 v84, v116, v182
	v_add_f32_e32 v131, v127, v128
	ds_read_b128 v[127:130], v82 offset:560
	v_fma_f32 v84, v115, v181, -v84
	s_waitcnt vmcnt(22) lgkmcnt(1)
	v_mul_f32_e32 v132, v123, v190
	v_add_f32_e32 v83, v83, v84
	v_mul_f32_e32 v84, v118, v184
	v_fmac_f32_e32 v132, v124, v189
	v_fma_f32 v84, v117, v183, -v84
	v_add_f32_e32 v131, v131, v132
	s_waitcnt vmcnt(20)
	v_mul_f32_e32 v132, v125, v192
	v_add_f32_e32 v83, v83, v84
	v_mul_f32_e32 v84, v120, v186
	v_fmac_f32_e32 v132, v126, v191
	v_fma_f32 v84, v119, v185, -v84
	v_add_f32_e32 v131, v131, v132
	s_waitcnt vmcnt(18) lgkmcnt(0)
	v_mul_f32_e32 v132, v127, v194
	v_add_f32_e32 v83, v83, v84
	v_mul_f32_e32 v84, v122, v188
	v_fmac_f32_e32 v132, v128, v193
	v_fma_f32 v84, v121, v187, -v84
	v_add_f32_e32 v135, v131, v132
	ds_read_b128 v[131:134], v82 offset:576
	v_add_f32_e32 v83, v83, v84
	v_mul_f32_e32 v84, v124, v190
	v_fma_f32 v84, v123, v189, -v84
	s_waitcnt vmcnt(16)
	v_mul_f32_e32 v136, v129, v196
	v_add_f32_e32 v83, v83, v84
	v_mul_f32_e32 v84, v126, v192
	v_fmac_f32_e32 v136, v130, v195
	v_fma_f32 v84, v125, v191, -v84
	v_add_f32_e32 v139, v135, v136
	ds_read_b128 v[135:138], v82 offset:592
	v_add_f32_e32 v83, v83, v84
	v_mul_f32_e32 v84, v128, v194
	s_waitcnt vmcnt(14) lgkmcnt(1)
	v_mul_f32_e32 v140, v131, v198
	v_fma_f32 v84, v127, v193, -v84
	v_fmac_f32_e32 v140, v132, v197
	v_add_f32_e32 v83, v83, v84
	v_mul_f32_e32 v84, v130, v196
	v_add_f32_e32 v139, v139, v140
	s_waitcnt vmcnt(12)
	v_mul_f32_e32 v140, v133, v200
	v_fma_f32 v84, v129, v195, -v84
	v_fmac_f32_e32 v140, v134, v199
	v_add_f32_e32 v83, v83, v84
	v_mul_f32_e32 v84, v132, v198
	v_add_f32_e32 v139, v139, v140
	s_waitcnt vmcnt(10) lgkmcnt(0)
	v_mul_f32_e32 v140, v135, v202
	v_fma_f32 v84, v131, v197, -v84
	v_fmac_f32_e32 v140, v136, v201
	v_add_f32_e32 v83, v83, v84
	v_mul_f32_e32 v84, v134, v200
	v_add_f32_e32 v143, v139, v140
	ds_read_b128 v[139:142], v82 offset:608
	v_fma_f32 v84, v133, v199, -v84
	v_add_f32_e32 v83, v83, v84
	v_mul_f32_e32 v84, v136, v202
	s_waitcnt vmcnt(8)
	v_mul_f32_e32 v144, v137, v204
	v_fma_f32 v84, v135, v201, -v84
	v_fmac_f32_e32 v144, v138, v203
	v_add_f32_e32 v83, v83, v84
	v_mul_f32_e32 v84, v138, v204
	v_add_f32_e32 v213, v143, v144
	ds_read_b128 v[143:146], v82 offset:624
	v_fma_f32 v84, v137, v203, -v84
	v_add_f32_e32 v83, v83, v84
	s_waitcnt vmcnt(6) lgkmcnt(1)
	v_mul_f32_e32 v84, v140, v206
	v_mul_f32_e32 v82, v139, v206
	v_fma_f32 v84, v139, v205, -v84
	v_fmac_f32_e32 v82, v140, v205
	v_add_f32_e32 v83, v83, v84
	s_waitcnt vmcnt(5)
	v_mul_f32_e32 v84, v142, v207
	v_add_f32_e32 v82, v213, v82
	v_mul_f32_e32 v213, v141, v207
	s_waitcnt vmcnt(4)
	v_fma_f32 v84, v141, v208, -v84
	v_fmac_f32_e32 v213, v142, v208
	v_add_f32_e32 v83, v83, v84
	s_waitcnt vmcnt(2) lgkmcnt(0)
	v_mul_f32_e32 v84, v144, v210
	v_add_f32_e32 v82, v82, v213
	v_mul_f32_e32 v213, v143, v210
	v_fma_f32 v84, v143, v209, -v84
	v_fmac_f32_e32 v213, v144, v209
	v_add_f32_e32 v83, v83, v84
	s_waitcnt vmcnt(0)
	v_mul_f32_e32 v84, v146, v212
	v_add_f32_e32 v82, v82, v213
	v_mul_f32_e32 v213, v145, v212
	v_fma_f32 v84, v145, v211, -v84
	v_fmac_f32_e32 v213, v146, v211
	v_add_f32_e32 v83, v83, v84
	v_add_f32_e32 v82, v82, v213
	v_sub_f32_e32 v83, v167, v83
	v_sub_f32_e32 v82, v168, v82
	buffer_store_dword v83, off, s[0:3], 0 offset:56
	buffer_store_dword v82, off, s[0:3], 0 offset:60
	s_and_saveexec_b64 s[4:5], vcc
	s_cbranch_execz .LBB103_241
; %bb.240:
	buffer_load_dword v82, off, s[0:3], 0 offset:48
	buffer_load_dword v83, off, s[0:3], 0 offset:52
	v_mov_b32_e32 v84, 0
	buffer_store_dword v84, off, s[0:3], 0 offset:48
	buffer_store_dword v84, off, s[0:3], 0 offset:52
	s_waitcnt vmcnt(2)
	ds_write_b64 v81, v[82:83]
.LBB103_241:
	s_or_b64 exec, exec, s[4:5]
	s_waitcnt lgkmcnt(0)
	; wave barrier
	buffer_load_dword v149, off, s[0:3], 0 offset:60
	buffer_load_dword v150, off, s[0:3], 0 offset:68
	;; [unrolled: 1-line block ×58, first 2 shown]
	v_mov_b32_e32 v82, 0
	ds_read2_b64 v[83:86], v82 offset0:47 offset1:48
	ds_read2_b64 v[87:90], v82 offset0:49 offset1:50
	;; [unrolled: 1-line block ×5, first 2 shown]
	buffer_load_dword v207, off, s[0:3], 0 offset:280
	buffer_load_dword v208, off, s[0:3], 0 offset:284
	v_cmp_lt_u32_e32 vcc, 5, v0
	s_waitcnt vmcnt(59) lgkmcnt(4)
	v_mul_f32_e32 v103, v83, v149
	s_waitcnt vmcnt(58)
	v_mul_f32_e32 v104, v85, v150
	s_waitcnt vmcnt(57) lgkmcnt(3)
	v_mul_f32_e32 v105, v87, v151
	s_waitcnt vmcnt(56)
	v_mul_f32_e32 v106, v89, v152
	;; [unrolled: 4-line block ×4, first 2 shown]
	s_waitcnt vmcnt(51)
	v_fmac_f32_e32 v103, v84, v157
	s_waitcnt vmcnt(50)
	v_fmac_f32_e32 v104, v86, v158
	v_add_f32_e32 v103, 0, v103
	s_waitcnt vmcnt(49)
	v_fmac_f32_e32 v105, v88, v159
	v_add_f32_e32 v103, v103, v104
	;; [unrolled: 3-line block ×7, first 2 shown]
	v_add_f32_e32 v107, v103, v110
	ds_read2_b64 v[103:106], v82 offset0:57 offset1:58
	buffer_load_dword v209, off, s[0:3], 0 offset:292
	buffer_load_dword v210, off, s[0:3], 0 offset:288
	;; [unrolled: 1-line block ×8, first 2 shown]
	s_waitcnt vmcnt(51) lgkmcnt(1)
	v_mul_f32_e32 v108, v99, v165
	s_waitcnt vmcnt(50)
	v_fmac_f32_e32 v108, v100, v166
	v_mul_f32_e32 v84, v84, v149
	v_add_f32_e32 v107, v107, v108
	s_waitcnt vmcnt(49)
	v_mul_f32_e32 v108, v101, v167
	v_fma_f32 v83, v83, v157, -v84
	v_mul_f32_e32 v84, v86, v150
	s_waitcnt vmcnt(46)
	v_fmac_f32_e32 v108, v102, v170
	v_add_f32_e32 v83, 0, v83
	v_fma_f32 v84, v85, v158, -v84
	v_add_f32_e32 v107, v107, v108
	s_waitcnt vmcnt(44) lgkmcnt(0)
	v_mul_f32_e32 v108, v103, v172
	v_add_f32_e32 v83, v83, v84
	v_mul_f32_e32 v84, v88, v151
	v_fmac_f32_e32 v108, v104, v171
	v_fma_f32 v84, v87, v159, -v84
	v_add_f32_e32 v111, v107, v108
	ds_read2_b64 v[107:110], v82 offset0:59 offset1:60
	v_add_f32_e32 v83, v83, v84
	v_mul_f32_e32 v84, v90, v152
	v_fma_f32 v84, v89, v160, -v84
	s_waitcnt vmcnt(42)
	v_mul_f32_e32 v112, v105, v174
	v_add_f32_e32 v83, v83, v84
	v_mul_f32_e32 v84, v92, v153
	v_fmac_f32_e32 v112, v106, v173
	v_fma_f32 v84, v91, v161, -v84
	v_add_f32_e32 v115, v111, v112
	ds_read2_b64 v[111:114], v82 offset0:61 offset1:62
	v_add_f32_e32 v83, v83, v84
	v_mul_f32_e32 v84, v94, v154
	s_waitcnt vmcnt(40) lgkmcnt(1)
	v_mul_f32_e32 v116, v107, v176
	v_fma_f32 v84, v93, v162, -v84
	v_fmac_f32_e32 v116, v108, v175
	v_add_f32_e32 v83, v83, v84
	v_mul_f32_e32 v84, v96, v155
	v_add_f32_e32 v115, v115, v116
	s_waitcnt vmcnt(38)
	v_mul_f32_e32 v116, v109, v178
	v_fma_f32 v84, v95, v163, -v84
	v_fmac_f32_e32 v116, v110, v177
	v_add_f32_e32 v83, v83, v84
	v_mul_f32_e32 v84, v98, v156
	v_add_f32_e32 v115, v115, v116
	s_waitcnt vmcnt(36) lgkmcnt(0)
	v_mul_f32_e32 v116, v111, v180
	v_fma_f32 v84, v97, v164, -v84
	v_fmac_f32_e32 v116, v112, v179
	v_add_f32_e32 v83, v83, v84
	v_mul_f32_e32 v84, v100, v165
	v_add_f32_e32 v119, v115, v116
	ds_read2_b64 v[115:118], v82 offset0:63 offset1:64
	v_fma_f32 v84, v99, v166, -v84
	v_add_f32_e32 v83, v83, v84
	v_mul_f32_e32 v84, v102, v167
	s_waitcnt vmcnt(34)
	v_mul_f32_e32 v120, v113, v182
	v_fma_f32 v84, v101, v170, -v84
	v_fmac_f32_e32 v120, v114, v181
	v_add_f32_e32 v83, v83, v84
	v_mul_f32_e32 v84, v104, v172
	v_add_f32_e32 v123, v119, v120
	ds_read2_b64 v[119:122], v82 offset0:65 offset1:66
	v_fma_f32 v84, v103, v171, -v84
	s_waitcnt vmcnt(32) lgkmcnt(1)
	v_mul_f32_e32 v124, v115, v184
	v_add_f32_e32 v83, v83, v84
	v_mul_f32_e32 v84, v106, v174
	v_fmac_f32_e32 v124, v116, v183
	v_fma_f32 v84, v105, v173, -v84
	v_add_f32_e32 v123, v123, v124
	s_waitcnt vmcnt(30)
	v_mul_f32_e32 v124, v117, v186
	v_add_f32_e32 v83, v83, v84
	v_mul_f32_e32 v84, v108, v176
	v_fmac_f32_e32 v124, v118, v185
	v_fma_f32 v84, v107, v175, -v84
	v_add_f32_e32 v123, v123, v124
	s_waitcnt vmcnt(28) lgkmcnt(0)
	v_mul_f32_e32 v124, v119, v188
	v_add_f32_e32 v83, v83, v84
	v_mul_f32_e32 v84, v110, v178
	v_fmac_f32_e32 v124, v120, v187
	v_fma_f32 v84, v109, v177, -v84
	v_add_f32_e32 v127, v123, v124
	ds_read2_b64 v[123:126], v82 offset0:67 offset1:68
	v_add_f32_e32 v83, v83, v84
	v_mul_f32_e32 v84, v112, v180
	v_fma_f32 v84, v111, v179, -v84
	s_waitcnt vmcnt(26)
	v_mul_f32_e32 v128, v121, v190
	v_add_f32_e32 v83, v83, v84
	v_mul_f32_e32 v84, v114, v182
	v_fmac_f32_e32 v128, v122, v189
	v_fma_f32 v84, v113, v181, -v84
	v_add_f32_e32 v131, v127, v128
	ds_read2_b64 v[127:130], v82 offset0:69 offset1:70
	v_add_f32_e32 v83, v83, v84
	v_mul_f32_e32 v84, v116, v184
	s_waitcnt vmcnt(24) lgkmcnt(1)
	v_mul_f32_e32 v132, v123, v192
	v_fma_f32 v84, v115, v183, -v84
	v_fmac_f32_e32 v132, v124, v191
	v_add_f32_e32 v83, v83, v84
	v_mul_f32_e32 v84, v118, v186
	v_add_f32_e32 v131, v131, v132
	s_waitcnt vmcnt(22)
	v_mul_f32_e32 v132, v125, v194
	v_fma_f32 v84, v117, v185, -v84
	v_fmac_f32_e32 v132, v126, v193
	v_add_f32_e32 v83, v83, v84
	v_mul_f32_e32 v84, v120, v188
	v_add_f32_e32 v131, v131, v132
	s_waitcnt vmcnt(20) lgkmcnt(0)
	v_mul_f32_e32 v132, v127, v196
	v_fma_f32 v84, v119, v187, -v84
	v_fmac_f32_e32 v132, v128, v195
	v_add_f32_e32 v83, v83, v84
	v_mul_f32_e32 v84, v122, v190
	v_add_f32_e32 v135, v131, v132
	ds_read2_b64 v[131:134], v82 offset0:71 offset1:72
	v_fma_f32 v84, v121, v189, -v84
	v_add_f32_e32 v83, v83, v84
	v_mul_f32_e32 v84, v124, v192
	s_waitcnt vmcnt(18)
	v_mul_f32_e32 v136, v129, v198
	v_fma_f32 v84, v123, v191, -v84
	v_fmac_f32_e32 v136, v130, v197
	v_add_f32_e32 v83, v83, v84
	v_mul_f32_e32 v84, v126, v194
	v_add_f32_e32 v139, v135, v136
	ds_read2_b64 v[135:138], v82 offset0:73 offset1:74
	v_fma_f32 v84, v125, v193, -v84
	s_waitcnt vmcnt(16) lgkmcnt(1)
	v_mul_f32_e32 v140, v131, v200
	v_add_f32_e32 v83, v83, v84
	v_mul_f32_e32 v84, v128, v196
	v_fmac_f32_e32 v140, v132, v199
	v_fma_f32 v84, v127, v195, -v84
	v_add_f32_e32 v139, v139, v140
	s_waitcnt vmcnt(14)
	v_mul_f32_e32 v140, v133, v202
	v_add_f32_e32 v83, v83, v84
	v_mul_f32_e32 v84, v130, v198
	v_fmac_f32_e32 v140, v134, v201
	v_fma_f32 v84, v129, v197, -v84
	v_add_f32_e32 v139, v139, v140
	s_waitcnt vmcnt(12) lgkmcnt(0)
	v_mul_f32_e32 v140, v135, v204
	v_add_f32_e32 v83, v83, v84
	v_mul_f32_e32 v84, v132, v200
	v_fmac_f32_e32 v140, v136, v203
	v_fma_f32 v84, v131, v199, -v84
	v_add_f32_e32 v143, v139, v140
	ds_read2_b64 v[139:142], v82 offset0:75 offset1:76
	v_add_f32_e32 v83, v83, v84
	v_mul_f32_e32 v84, v134, v202
	v_fma_f32 v84, v133, v201, -v84
	v_add_f32_e32 v83, v83, v84
	v_mul_f32_e32 v84, v136, v204
	s_waitcnt vmcnt(10)
	v_mul_f32_e32 v144, v137, v206
	v_fma_f32 v84, v135, v203, -v84
	v_fmac_f32_e32 v144, v138, v205
	v_add_f32_e32 v83, v83, v84
	v_mul_f32_e32 v84, v138, v206
	v_add_f32_e32 v147, v143, v144
	ds_read2_b64 v[143:146], v82 offset0:77 offset1:78
	s_waitcnt vmcnt(8) lgkmcnt(1)
	v_mul_f32_e32 v148, v139, v208
	v_fma_f32 v84, v137, v205, -v84
	v_fmac_f32_e32 v148, v140, v207
	v_add_f32_e32 v83, v83, v84
	v_mul_f32_e32 v84, v140, v208
	v_add_f32_e32 v147, v147, v148
	s_waitcnt vmcnt(7)
	v_mul_f32_e32 v148, v141, v209
	v_fma_f32 v84, v139, v207, -v84
	s_waitcnt vmcnt(6)
	v_fmac_f32_e32 v148, v142, v210
	v_add_f32_e32 v83, v83, v84
	v_mul_f32_e32 v84, v142, v209
	v_add_f32_e32 v217, v147, v148
	ds_read_b64 v[147:148], v82 offset:632
	v_fma_f32 v84, v141, v210, -v84
	v_add_f32_e32 v83, v83, v84
	s_waitcnt vmcnt(4) lgkmcnt(1)
	v_mul_f32_e32 v84, v144, v212
	v_mul_f32_e32 v218, v143, v212
	v_fma_f32 v84, v143, v211, -v84
	v_fmac_f32_e32 v218, v144, v211
	v_add_f32_e32 v83, v83, v84
	s_waitcnt vmcnt(3)
	v_mul_f32_e32 v84, v146, v213
	v_add_f32_e32 v217, v217, v218
	v_mul_f32_e32 v218, v145, v213
	s_waitcnt vmcnt(2)
	v_fma_f32 v84, v145, v214, -v84
	v_fmac_f32_e32 v218, v146, v214
	v_add_f32_e32 v83, v83, v84
	s_waitcnt vmcnt(0) lgkmcnt(0)
	v_mul_f32_e32 v84, v148, v216
	v_add_f32_e32 v217, v217, v218
	v_mul_f32_e32 v218, v147, v216
	v_fma_f32 v84, v147, v215, -v84
	v_fmac_f32_e32 v218, v148, v215
	v_add_f32_e32 v83, v83, v84
	v_add_f32_e32 v217, v217, v218
	v_sub_f32_e32 v83, v168, v83
	v_sub_f32_e32 v84, v169, v217
	buffer_store_dword v83, off, s[0:3], 0 offset:48
	buffer_store_dword v84, off, s[0:3], 0 offset:52
	s_and_saveexec_b64 s[4:5], vcc
	s_cbranch_execz .LBB103_243
; %bb.242:
	buffer_load_dword v83, off, s[0:3], 0 offset:40
	buffer_load_dword v84, off, s[0:3], 0 offset:44
	s_waitcnt vmcnt(0)
	ds_write_b64 v81, v[83:84]
	buffer_store_dword v82, off, s[0:3], 0 offset:40
	buffer_store_dword v82, off, s[0:3], 0 offset:44
.LBB103_243:
	s_or_b64 exec, exec, s[4:5]
	s_waitcnt lgkmcnt(0)
	; wave barrier
	buffer_load_dword v151, off, s[0:3], 0 offset:52
	buffer_load_dword v152, off, s[0:3], 0 offset:60
	;; [unrolled: 1-line block ×24, first 2 shown]
	ds_read_b128 v[83:86], v82 offset:368
	ds_read_b128 v[87:90], v82 offset:384
	;; [unrolled: 1-line block ×6, first 2 shown]
	buffer_load_dword v175, off, s[0:3], 0 offset:140
	buffer_load_dword v176, off, s[0:3], 0 offset:136
	;; [unrolled: 1-line block ×46, first 2 shown]
	v_cmp_lt_u32_e32 vcc, 4, v0
	s_waitcnt vmcnt(62) lgkmcnt(5)
	v_mul_f32_e32 v107, v83, v151
	v_mul_f32_e32 v108, v85, v152
	s_waitcnt lgkmcnt(4)
	v_mul_f32_e32 v109, v87, v153
	v_mul_f32_e32 v110, v89, v154
	s_waitcnt lgkmcnt(3)
	;; [unrolled: 3-line block ×3, first 2 shown]
	v_mul_f32_e32 v113, v95, v157
	v_mul_f32_e32 v114, v97, v158
	s_waitcnt vmcnt(61)
	v_fmac_f32_e32 v107, v84, v159
	s_waitcnt vmcnt(60)
	v_fmac_f32_e32 v108, v86, v160
	v_add_f32_e32 v107, 0, v107
	s_waitcnt vmcnt(59)
	v_fmac_f32_e32 v109, v88, v161
	v_add_f32_e32 v107, v107, v108
	;; [unrolled: 3-line block ×7, first 2 shown]
	s_waitcnt vmcnt(53) lgkmcnt(1)
	v_mul_f32_e32 v108, v99, v167
	v_add_f32_e32 v107, v107, v114
	s_waitcnt vmcnt(52)
	v_fmac_f32_e32 v108, v100, v168
	v_mul_f32_e32 v84, v84, v151
	v_add_f32_e32 v107, v107, v108
	s_waitcnt vmcnt(51)
	v_mul_f32_e32 v108, v101, v169
	v_fma_f32 v83, v83, v159, -v84
	v_mul_f32_e32 v84, v86, v152
	s_waitcnt vmcnt(50)
	v_fmac_f32_e32 v108, v102, v170
	v_add_f32_e32 v83, 0, v83
	v_fma_f32 v84, v85, v160, -v84
	v_add_f32_e32 v107, v107, v108
	s_waitcnt vmcnt(47) lgkmcnt(0)
	v_mul_f32_e32 v108, v103, v173
	v_add_f32_e32 v83, v83, v84
	v_mul_f32_e32 v84, v88, v153
	s_waitcnt vmcnt(46)
	v_fmac_f32_e32 v108, v104, v174
	v_fma_f32 v84, v87, v161, -v84
	v_add_f32_e32 v111, v107, v108
	ds_read_b128 v[107:110], v82 offset:464
	v_add_f32_e32 v83, v83, v84
	v_mul_f32_e32 v84, v90, v154
	v_fma_f32 v84, v89, v162, -v84
	s_waitcnt vmcnt(45)
	v_mul_f32_e32 v112, v105, v175
	v_add_f32_e32 v83, v83, v84
	v_mul_f32_e32 v84, v92, v155
	s_waitcnt vmcnt(44)
	v_fmac_f32_e32 v112, v106, v176
	v_fma_f32 v84, v91, v163, -v84
	v_add_f32_e32 v115, v111, v112
	ds_read_b128 v[111:114], v82 offset:480
	v_add_f32_e32 v83, v83, v84
	v_mul_f32_e32 v84, v94, v156
	s_waitcnt vmcnt(42) lgkmcnt(1)
	v_mul_f32_e32 v116, v107, v178
	v_fma_f32 v84, v93, v164, -v84
	v_fmac_f32_e32 v116, v108, v177
	v_add_f32_e32 v83, v83, v84
	v_mul_f32_e32 v84, v96, v157
	v_add_f32_e32 v115, v115, v116
	s_waitcnt vmcnt(40)
	v_mul_f32_e32 v116, v109, v180
	v_fma_f32 v84, v95, v165, -v84
	v_fmac_f32_e32 v116, v110, v179
	v_add_f32_e32 v83, v83, v84
	v_mul_f32_e32 v84, v98, v158
	v_add_f32_e32 v115, v115, v116
	s_waitcnt vmcnt(38) lgkmcnt(0)
	v_mul_f32_e32 v116, v111, v182
	v_fma_f32 v84, v97, v166, -v84
	v_fmac_f32_e32 v116, v112, v181
	v_add_f32_e32 v83, v83, v84
	v_mul_f32_e32 v84, v100, v167
	v_add_f32_e32 v119, v115, v116
	ds_read_b128 v[115:118], v82 offset:496
	v_fma_f32 v84, v99, v168, -v84
	v_add_f32_e32 v83, v83, v84
	v_mul_f32_e32 v84, v102, v169
	s_waitcnt vmcnt(36)
	v_mul_f32_e32 v120, v113, v184
	v_fma_f32 v84, v101, v170, -v84
	v_fmac_f32_e32 v120, v114, v183
	v_add_f32_e32 v83, v83, v84
	v_mul_f32_e32 v84, v104, v173
	v_add_f32_e32 v123, v119, v120
	ds_read_b128 v[119:122], v82 offset:512
	v_fma_f32 v84, v103, v174, -v84
	s_waitcnt vmcnt(34) lgkmcnt(1)
	v_mul_f32_e32 v124, v115, v186
	v_add_f32_e32 v83, v83, v84
	v_mul_f32_e32 v84, v106, v175
	v_fmac_f32_e32 v124, v116, v185
	v_fma_f32 v84, v105, v176, -v84
	v_add_f32_e32 v123, v123, v124
	s_waitcnt vmcnt(32)
	v_mul_f32_e32 v124, v117, v188
	v_add_f32_e32 v83, v83, v84
	v_mul_f32_e32 v84, v108, v178
	v_fmac_f32_e32 v124, v118, v187
	v_fma_f32 v84, v107, v177, -v84
	v_add_f32_e32 v123, v123, v124
	s_waitcnt vmcnt(30) lgkmcnt(0)
	v_mul_f32_e32 v124, v119, v190
	v_add_f32_e32 v83, v83, v84
	v_mul_f32_e32 v84, v110, v180
	v_fmac_f32_e32 v124, v120, v189
	v_fma_f32 v84, v109, v179, -v84
	v_add_f32_e32 v127, v123, v124
	ds_read_b128 v[123:126], v82 offset:528
	v_add_f32_e32 v83, v83, v84
	v_mul_f32_e32 v84, v112, v182
	v_fma_f32 v84, v111, v181, -v84
	s_waitcnt vmcnt(28)
	v_mul_f32_e32 v128, v121, v192
	v_add_f32_e32 v83, v83, v84
	v_mul_f32_e32 v84, v114, v184
	v_fmac_f32_e32 v128, v122, v191
	v_fma_f32 v84, v113, v183, -v84
	v_add_f32_e32 v131, v127, v128
	ds_read_b128 v[127:130], v82 offset:544
	v_add_f32_e32 v83, v83, v84
	v_mul_f32_e32 v84, v116, v186
	s_waitcnt vmcnt(26) lgkmcnt(1)
	v_mul_f32_e32 v132, v123, v194
	v_fma_f32 v84, v115, v185, -v84
	v_fmac_f32_e32 v132, v124, v193
	v_add_f32_e32 v83, v83, v84
	v_mul_f32_e32 v84, v118, v188
	v_add_f32_e32 v131, v131, v132
	s_waitcnt vmcnt(24)
	v_mul_f32_e32 v132, v125, v196
	v_fma_f32 v84, v117, v187, -v84
	v_fmac_f32_e32 v132, v126, v195
	v_add_f32_e32 v83, v83, v84
	v_mul_f32_e32 v84, v120, v190
	v_add_f32_e32 v131, v131, v132
	s_waitcnt vmcnt(22) lgkmcnt(0)
	v_mul_f32_e32 v132, v127, v198
	v_fma_f32 v84, v119, v189, -v84
	v_fmac_f32_e32 v132, v128, v197
	v_add_f32_e32 v83, v83, v84
	v_mul_f32_e32 v84, v122, v192
	v_add_f32_e32 v135, v131, v132
	ds_read_b128 v[131:134], v82 offset:560
	v_fma_f32 v84, v121, v191, -v84
	v_add_f32_e32 v83, v83, v84
	v_mul_f32_e32 v84, v124, v194
	s_waitcnt vmcnt(20)
	v_mul_f32_e32 v136, v129, v200
	v_fma_f32 v84, v123, v193, -v84
	v_fmac_f32_e32 v136, v130, v199
	v_add_f32_e32 v83, v83, v84
	v_mul_f32_e32 v84, v126, v196
	v_add_f32_e32 v139, v135, v136
	ds_read_b128 v[135:138], v82 offset:576
	v_fma_f32 v84, v125, v195, -v84
	s_waitcnt vmcnt(18) lgkmcnt(1)
	v_mul_f32_e32 v140, v131, v202
	v_add_f32_e32 v83, v83, v84
	v_mul_f32_e32 v84, v128, v198
	v_fmac_f32_e32 v140, v132, v201
	v_fma_f32 v84, v127, v197, -v84
	v_add_f32_e32 v139, v139, v140
	s_waitcnt vmcnt(16)
	v_mul_f32_e32 v140, v133, v204
	v_add_f32_e32 v83, v83, v84
	v_mul_f32_e32 v84, v130, v200
	v_fmac_f32_e32 v140, v134, v203
	v_fma_f32 v84, v129, v199, -v84
	v_add_f32_e32 v139, v139, v140
	s_waitcnt vmcnt(14) lgkmcnt(0)
	v_mul_f32_e32 v140, v135, v206
	v_add_f32_e32 v83, v83, v84
	v_mul_f32_e32 v84, v132, v202
	v_fmac_f32_e32 v140, v136, v205
	v_fma_f32 v84, v131, v201, -v84
	v_add_f32_e32 v143, v139, v140
	ds_read_b128 v[139:142], v82 offset:592
	v_add_f32_e32 v83, v83, v84
	v_mul_f32_e32 v84, v134, v204
	v_fma_f32 v84, v133, v203, -v84
	v_add_f32_e32 v83, v83, v84
	v_mul_f32_e32 v84, v136, v206
	s_waitcnt vmcnt(12)
	v_mul_f32_e32 v144, v137, v208
	v_fma_f32 v84, v135, v205, -v84
	v_fmac_f32_e32 v144, v138, v207
	v_add_f32_e32 v83, v83, v84
	v_mul_f32_e32 v84, v138, v208
	v_add_f32_e32 v147, v143, v144
	ds_read_b128 v[143:146], v82 offset:608
	s_waitcnt vmcnt(10) lgkmcnt(1)
	v_mul_f32_e32 v148, v139, v210
	v_fma_f32 v84, v137, v207, -v84
	v_fmac_f32_e32 v148, v140, v209
	v_add_f32_e32 v83, v83, v84
	v_mul_f32_e32 v84, v140, v210
	v_add_f32_e32 v147, v147, v148
	s_waitcnt vmcnt(9)
	v_mul_f32_e32 v148, v141, v211
	v_fma_f32 v84, v139, v209, -v84
	s_waitcnt vmcnt(8)
	v_fmac_f32_e32 v148, v142, v212
	v_add_f32_e32 v83, v83, v84
	v_mul_f32_e32 v84, v142, v211
	v_add_f32_e32 v221, v147, v148
	ds_read_b128 v[147:150], v82 offset:624
	v_fma_f32 v84, v141, v212, -v84
	v_add_f32_e32 v83, v83, v84
	s_waitcnt vmcnt(6) lgkmcnt(1)
	v_mul_f32_e32 v84, v144, v214
	v_mul_f32_e32 v222, v143, v214
	v_fma_f32 v84, v143, v213, -v84
	v_fmac_f32_e32 v222, v144, v213
	v_add_f32_e32 v83, v83, v84
	s_waitcnt vmcnt(4)
	v_mul_f32_e32 v84, v146, v216
	v_add_f32_e32 v82, v221, v222
	v_mul_f32_e32 v221, v145, v216
	v_fma_f32 v84, v145, v215, -v84
	v_fmac_f32_e32 v221, v146, v215
	v_add_f32_e32 v83, v83, v84
	s_waitcnt vmcnt(3) lgkmcnt(0)
	v_mul_f32_e32 v84, v148, v217
	v_add_f32_e32 v82, v82, v221
	v_mul_f32_e32 v221, v147, v217
	s_waitcnt vmcnt(2)
	v_fma_f32 v84, v147, v218, -v84
	v_fmac_f32_e32 v221, v148, v218
	v_add_f32_e32 v83, v83, v84
	s_waitcnt vmcnt(0)
	v_mul_f32_e32 v84, v150, v220
	v_add_f32_e32 v82, v82, v221
	v_mul_f32_e32 v221, v149, v220
	v_fma_f32 v84, v149, v219, -v84
	v_fmac_f32_e32 v221, v150, v219
	v_add_f32_e32 v83, v83, v84
	v_add_f32_e32 v82, v82, v221
	v_sub_f32_e32 v83, v171, v83
	v_sub_f32_e32 v82, v172, v82
	buffer_store_dword v83, off, s[0:3], 0 offset:40
	buffer_store_dword v82, off, s[0:3], 0 offset:44
	s_and_saveexec_b64 s[4:5], vcc
	s_cbranch_execz .LBB103_245
; %bb.244:
	buffer_load_dword v82, off, s[0:3], 0 offset:32
	buffer_load_dword v83, off, s[0:3], 0 offset:36
	v_mov_b32_e32 v84, 0
	buffer_store_dword v84, off, s[0:3], 0 offset:32
	buffer_store_dword v84, off, s[0:3], 0 offset:36
	s_waitcnt vmcnt(2)
	ds_write_b64 v81, v[82:83]
.LBB103_245:
	s_or_b64 exec, exec, s[4:5]
	s_waitcnt lgkmcnt(0)
	; wave barrier
	buffer_load_dword v153, off, s[0:3], 0 offset:44
	buffer_load_dword v154, off, s[0:3], 0 offset:52
	;; [unrolled: 1-line block ×56, first 2 shown]
	v_mov_b32_e32 v82, 0
	ds_read2_b64 v[83:86], v82 offset0:45 offset1:46
	ds_read2_b64 v[87:90], v82 offset0:47 offset1:48
	;; [unrolled: 1-line block ×6, first 2 shown]
	buffer_load_dword v209, off, s[0:3], 0 offset:256
	buffer_load_dword v210, off, s[0:3], 0 offset:260
	;; [unrolled: 1-line block ×12, first 2 shown]
	v_cmp_lt_u32_e32 vcc, 3, v0
	s_waitcnt vmcnt(62) lgkmcnt(5)
	v_mul_f32_e32 v107, v83, v153
	v_mul_f32_e32 v108, v85, v154
	s_waitcnt lgkmcnt(4)
	v_mul_f32_e32 v109, v87, v155
	v_mul_f32_e32 v110, v89, v156
	s_waitcnt lgkmcnt(3)
	v_mul_f32_e32 v111, v91, v157
	v_mul_f32_e32 v112, v93, v158
	s_waitcnt vmcnt(61) lgkmcnt(2)
	v_mul_f32_e32 v113, v95, v159
	s_waitcnt vmcnt(60)
	v_mul_f32_e32 v114, v97, v160
	s_waitcnt vmcnt(59) lgkmcnt(1)
	v_mul_f32_e32 v115, v99, v161
	s_waitcnt vmcnt(58)
	v_fmac_f32_e32 v107, v84, v162
	s_waitcnt vmcnt(57)
	v_fmac_f32_e32 v108, v86, v163
	v_add_f32_e32 v107, 0, v107
	s_waitcnt vmcnt(56)
	v_fmac_f32_e32 v109, v88, v164
	v_add_f32_e32 v107, v107, v108
	;; [unrolled: 3-line block ×7, first 2 shown]
	v_add_f32_e32 v107, v107, v114
	s_waitcnt vmcnt(50)
	v_fmac_f32_e32 v115, v100, v170
	s_waitcnt vmcnt(49)
	v_mul_f32_e32 v108, v101, v171
	v_add_f32_e32 v107, v107, v115
	s_waitcnt vmcnt(48)
	v_fmac_f32_e32 v108, v102, v172
	v_add_f32_e32 v107, v107, v108
	s_waitcnt vmcnt(47) lgkmcnt(0)
	v_mul_f32_e32 v108, v103, v173
	s_waitcnt vmcnt(44)
	v_fmac_f32_e32 v108, v104, v176
	v_add_f32_e32 v111, v107, v108
	ds_read2_b64 v[107:110], v82 offset0:57 offset1:58
	buffer_load_dword v221, off, s[0:3], 0 offset:308
	buffer_load_dword v222, off, s[0:3], 0 offset:304
	;; [unrolled: 1-line block ×4, first 2 shown]
	v_mul_f32_e32 v84, v84, v153
	v_fma_f32 v83, v83, v162, -v84
	v_mul_f32_e32 v84, v86, v154
	v_add_f32_e32 v83, 0, v83
	v_fma_f32 v84, v85, v163, -v84
	v_add_f32_e32 v83, v83, v84
	v_mul_f32_e32 v84, v88, v155
	v_fma_f32 v84, v87, v164, -v84
	s_waitcnt vmcnt(46)
	v_mul_f32_e32 v112, v105, v178
	v_add_f32_e32 v83, v83, v84
	v_mul_f32_e32 v84, v90, v156
	v_fmac_f32_e32 v112, v106, v177
	v_fma_f32 v84, v89, v165, -v84
	v_add_f32_e32 v115, v111, v112
	ds_read2_b64 v[111:114], v82 offset0:59 offset1:60
	v_add_f32_e32 v83, v83, v84
	v_mul_f32_e32 v84, v92, v157
	s_waitcnt vmcnt(44) lgkmcnt(1)
	v_mul_f32_e32 v116, v107, v180
	v_fma_f32 v84, v91, v166, -v84
	v_fmac_f32_e32 v116, v108, v179
	v_add_f32_e32 v83, v83, v84
	v_mul_f32_e32 v84, v94, v158
	v_add_f32_e32 v115, v115, v116
	s_waitcnt vmcnt(42)
	v_mul_f32_e32 v116, v109, v182
	v_fma_f32 v84, v93, v167, -v84
	v_fmac_f32_e32 v116, v110, v181
	v_add_f32_e32 v83, v83, v84
	v_mul_f32_e32 v84, v96, v159
	v_add_f32_e32 v115, v115, v116
	s_waitcnt vmcnt(40) lgkmcnt(0)
	v_mul_f32_e32 v116, v111, v184
	v_fma_f32 v84, v95, v168, -v84
	v_fmac_f32_e32 v116, v112, v183
	v_add_f32_e32 v83, v83, v84
	v_mul_f32_e32 v84, v98, v160
	v_add_f32_e32 v119, v115, v116
	ds_read2_b64 v[115:118], v82 offset0:61 offset1:62
	v_fma_f32 v84, v97, v169, -v84
	v_add_f32_e32 v83, v83, v84
	v_mul_f32_e32 v84, v100, v161
	s_waitcnt vmcnt(38)
	v_mul_f32_e32 v120, v113, v186
	v_fma_f32 v84, v99, v170, -v84
	v_fmac_f32_e32 v120, v114, v185
	v_add_f32_e32 v83, v83, v84
	v_mul_f32_e32 v84, v102, v171
	v_add_f32_e32 v123, v119, v120
	ds_read2_b64 v[119:122], v82 offset0:63 offset1:64
	v_fma_f32 v84, v101, v172, -v84
	s_waitcnt vmcnt(36) lgkmcnt(1)
	v_mul_f32_e32 v124, v115, v188
	v_add_f32_e32 v83, v83, v84
	v_mul_f32_e32 v84, v104, v173
	v_fmac_f32_e32 v124, v116, v187
	v_fma_f32 v84, v103, v176, -v84
	v_add_f32_e32 v123, v123, v124
	s_waitcnt vmcnt(34)
	v_mul_f32_e32 v124, v117, v190
	v_add_f32_e32 v83, v83, v84
	v_mul_f32_e32 v84, v106, v178
	v_fmac_f32_e32 v124, v118, v189
	v_fma_f32 v84, v105, v177, -v84
	v_add_f32_e32 v123, v123, v124
	s_waitcnt vmcnt(32) lgkmcnt(0)
	v_mul_f32_e32 v124, v119, v192
	v_add_f32_e32 v83, v83, v84
	v_mul_f32_e32 v84, v108, v180
	v_fmac_f32_e32 v124, v120, v191
	v_fma_f32 v84, v107, v179, -v84
	v_add_f32_e32 v127, v123, v124
	ds_read2_b64 v[123:126], v82 offset0:65 offset1:66
	v_add_f32_e32 v83, v83, v84
	v_mul_f32_e32 v84, v110, v182
	v_fma_f32 v84, v109, v181, -v84
	s_waitcnt vmcnt(30)
	v_mul_f32_e32 v128, v121, v194
	v_add_f32_e32 v83, v83, v84
	v_mul_f32_e32 v84, v112, v184
	v_fmac_f32_e32 v128, v122, v193
	v_fma_f32 v84, v111, v183, -v84
	v_add_f32_e32 v131, v127, v128
	ds_read2_b64 v[127:130], v82 offset0:67 offset1:68
	v_add_f32_e32 v83, v83, v84
	v_mul_f32_e32 v84, v114, v186
	s_waitcnt vmcnt(28) lgkmcnt(1)
	v_mul_f32_e32 v132, v123, v196
	v_fma_f32 v84, v113, v185, -v84
	v_fmac_f32_e32 v132, v124, v195
	v_add_f32_e32 v83, v83, v84
	v_mul_f32_e32 v84, v116, v188
	v_add_f32_e32 v131, v131, v132
	s_waitcnt vmcnt(26)
	v_mul_f32_e32 v132, v125, v198
	v_fma_f32 v84, v115, v187, -v84
	v_fmac_f32_e32 v132, v126, v197
	v_add_f32_e32 v83, v83, v84
	v_mul_f32_e32 v84, v118, v190
	v_add_f32_e32 v131, v131, v132
	s_waitcnt vmcnt(24) lgkmcnt(0)
	v_mul_f32_e32 v132, v127, v200
	v_fma_f32 v84, v117, v189, -v84
	v_fmac_f32_e32 v132, v128, v199
	v_add_f32_e32 v83, v83, v84
	v_mul_f32_e32 v84, v120, v192
	v_add_f32_e32 v135, v131, v132
	ds_read2_b64 v[131:134], v82 offset0:69 offset1:70
	v_fma_f32 v84, v119, v191, -v84
	v_add_f32_e32 v83, v83, v84
	v_mul_f32_e32 v84, v122, v194
	s_waitcnt vmcnt(22)
	v_mul_f32_e32 v136, v129, v202
	v_fma_f32 v84, v121, v193, -v84
	v_fmac_f32_e32 v136, v130, v201
	v_add_f32_e32 v83, v83, v84
	v_mul_f32_e32 v84, v124, v196
	v_add_f32_e32 v139, v135, v136
	ds_read2_b64 v[135:138], v82 offset0:71 offset1:72
	v_fma_f32 v84, v123, v195, -v84
	s_waitcnt vmcnt(20) lgkmcnt(1)
	v_mul_f32_e32 v140, v131, v204
	v_add_f32_e32 v83, v83, v84
	v_mul_f32_e32 v84, v126, v198
	v_fmac_f32_e32 v140, v132, v203
	v_fma_f32 v84, v125, v197, -v84
	v_add_f32_e32 v139, v139, v140
	s_waitcnt vmcnt(18)
	v_mul_f32_e32 v140, v133, v206
	v_add_f32_e32 v83, v83, v84
	v_mul_f32_e32 v84, v128, v200
	v_fmac_f32_e32 v140, v134, v205
	v_fma_f32 v84, v127, v199, -v84
	v_add_f32_e32 v139, v139, v140
	s_waitcnt vmcnt(16) lgkmcnt(0)
	v_mul_f32_e32 v140, v135, v208
	v_add_f32_e32 v83, v83, v84
	v_mul_f32_e32 v84, v130, v202
	v_fmac_f32_e32 v140, v136, v207
	v_fma_f32 v84, v129, v201, -v84
	v_add_f32_e32 v143, v139, v140
	ds_read2_b64 v[139:142], v82 offset0:73 offset1:74
	v_add_f32_e32 v83, v83, v84
	v_mul_f32_e32 v84, v132, v204
	v_fma_f32 v84, v131, v203, -v84
	s_waitcnt vmcnt(14)
	v_mul_f32_e32 v144, v137, v210
	v_add_f32_e32 v83, v83, v84
	v_mul_f32_e32 v84, v134, v206
	v_fmac_f32_e32 v144, v138, v209
	v_fma_f32 v84, v133, v205, -v84
	v_add_f32_e32 v147, v143, v144
	ds_read2_b64 v[143:146], v82 offset0:75 offset1:76
	v_add_f32_e32 v83, v83, v84
	v_mul_f32_e32 v84, v136, v208
	s_waitcnt vmcnt(12) lgkmcnt(1)
	v_mul_f32_e32 v148, v139, v212
	v_fma_f32 v84, v135, v207, -v84
	v_fmac_f32_e32 v148, v140, v211
	v_add_f32_e32 v83, v83, v84
	v_mul_f32_e32 v84, v138, v210
	v_add_f32_e32 v147, v147, v148
	s_waitcnt vmcnt(11)
	v_mul_f32_e32 v148, v141, v213
	v_fma_f32 v84, v137, v209, -v84
	s_waitcnt vmcnt(10)
	v_fmac_f32_e32 v148, v142, v214
	v_add_f32_e32 v83, v83, v84
	v_mul_f32_e32 v84, v140, v212
	v_add_f32_e32 v147, v147, v148
	s_waitcnt vmcnt(8) lgkmcnt(0)
	v_mul_f32_e32 v148, v143, v216
	v_fma_f32 v84, v139, v211, -v84
	v_fmac_f32_e32 v148, v144, v215
	v_add_f32_e32 v83, v83, v84
	v_mul_f32_e32 v84, v142, v213
	v_add_f32_e32 v151, v147, v148
	ds_read2_b64 v[147:150], v82 offset0:77 offset1:78
	v_fma_f32 v84, v141, v214, -v84
	v_add_f32_e32 v83, v83, v84
	v_mul_f32_e32 v84, v144, v216
	s_waitcnt vmcnt(6)
	v_mul_f32_e32 v152, v145, v218
	v_fma_f32 v84, v143, v215, -v84
	v_fmac_f32_e32 v152, v146, v217
	v_add_f32_e32 v83, v83, v84
	v_mul_f32_e32 v84, v146, v218
	v_add_f32_e32 v225, v151, v152
	ds_read_b64 v[151:152], v82 offset:632
	v_fma_f32 v84, v145, v217, -v84
	v_add_f32_e32 v83, v83, v84
	s_waitcnt vmcnt(4) lgkmcnt(1)
	v_mul_f32_e32 v84, v148, v220
	v_mul_f32_e32 v226, v147, v220
	v_fma_f32 v84, v147, v219, -v84
	v_fmac_f32_e32 v226, v148, v219
	v_add_f32_e32 v83, v83, v84
	s_waitcnt vmcnt(3)
	v_mul_f32_e32 v84, v150, v221
	v_add_f32_e32 v225, v225, v226
	v_mul_f32_e32 v226, v149, v221
	s_waitcnt vmcnt(2)
	v_fma_f32 v84, v149, v222, -v84
	v_fmac_f32_e32 v226, v150, v222
	v_add_f32_e32 v83, v83, v84
	s_waitcnt vmcnt(0) lgkmcnt(0)
	v_mul_f32_e32 v84, v152, v224
	v_add_f32_e32 v225, v225, v226
	v_mul_f32_e32 v226, v151, v224
	v_fma_f32 v84, v151, v223, -v84
	v_fmac_f32_e32 v226, v152, v223
	v_add_f32_e32 v83, v83, v84
	v_add_f32_e32 v225, v225, v226
	v_sub_f32_e32 v83, v174, v83
	v_sub_f32_e32 v84, v175, v225
	buffer_store_dword v83, off, s[0:3], 0 offset:32
	buffer_store_dword v84, off, s[0:3], 0 offset:36
	s_and_saveexec_b64 s[4:5], vcc
	s_cbranch_execz .LBB103_247
; %bb.246:
	buffer_load_dword v83, off, s[0:3], 0 offset:24
	buffer_load_dword v84, off, s[0:3], 0 offset:28
	s_waitcnt vmcnt(0)
	ds_write_b64 v81, v[83:84]
	buffer_store_dword v82, off, s[0:3], 0 offset:24
	buffer_store_dword v82, off, s[0:3], 0 offset:28
.LBB103_247:
	s_or_b64 exec, exec, s[4:5]
	s_waitcnt lgkmcnt(0)
	; wave barrier
	buffer_load_dword v155, off, s[0:3], 0 offset:36
	buffer_load_dword v156, off, s[0:3], 0 offset:44
	;; [unrolled: 1-line block ×26, first 2 shown]
	ds_read_b128 v[83:86], v82 offset:352
	ds_read_b128 v[87:90], v82 offset:368
	;; [unrolled: 1-line block ×6, first 2 shown]
	buffer_load_dword v181, off, s[0:3], 0 offset:128
	buffer_load_dword v182, off, s[0:3], 0 offset:132
	;; [unrolled: 1-line block ×42, first 2 shown]
	v_cmp_lt_u32_e32 vcc, 2, v0
	s_waitcnt vmcnt(62) lgkmcnt(5)
	v_mul_f32_e32 v107, v83, v155
	v_mul_f32_e32 v108, v85, v156
	s_waitcnt lgkmcnt(4)
	v_mul_f32_e32 v109, v87, v157
	v_mul_f32_e32 v110, v89, v158
	s_waitcnt lgkmcnt(3)
	v_mul_f32_e32 v111, v91, v159
	v_mul_f32_e32 v112, v93, v160
	s_waitcnt vmcnt(61) lgkmcnt(2)
	v_mul_f32_e32 v113, v95, v161
	s_waitcnt vmcnt(60)
	v_mul_f32_e32 v114, v97, v162
	s_waitcnt vmcnt(59) lgkmcnt(1)
	v_mul_f32_e32 v115, v99, v163
	s_waitcnt vmcnt(58)
	v_fmac_f32_e32 v107, v84, v164
	s_waitcnt vmcnt(57)
	v_fmac_f32_e32 v108, v86, v165
	v_add_f32_e32 v107, 0, v107
	s_waitcnt vmcnt(56)
	v_fmac_f32_e32 v109, v88, v166
	v_add_f32_e32 v107, v107, v108
	;; [unrolled: 3-line block ×8, first 2 shown]
	s_waitcnt vmcnt(49)
	v_mul_f32_e32 v108, v101, v173
	v_add_f32_e32 v107, v107, v115
	s_waitcnt vmcnt(48)
	v_fmac_f32_e32 v108, v102, v174
	v_add_f32_e32 v107, v107, v108
	s_waitcnt vmcnt(47) lgkmcnt(0)
	v_mul_f32_e32 v108, v103, v175
	s_waitcnt vmcnt(46)
	v_fmac_f32_e32 v108, v104, v176
	v_add_f32_e32 v107, v107, v108
	s_waitcnt vmcnt(42)
	v_mul_f32_e32 v108, v105, v180
	v_fmac_f32_e32 v108, v106, v179
	v_add_f32_e32 v115, v107, v108
	ds_read_b128 v[107:110], v82 offset:448
	buffer_load_dword v223, off, s[0:3], 0 offset:300
	buffer_load_dword v224, off, s[0:3], 0 offset:296
	;; [unrolled: 1-line block ×4, first 2 shown]
	ds_read_b128 v[111:114], v82 offset:464
	buffer_load_dword v227, off, s[0:3], 0 offset:312
	buffer_load_dword v228, off, s[0:3], 0 offset:316
	v_mul_f32_e32 v84, v84, v155
	v_fma_f32 v83, v83, v164, -v84
	v_mul_f32_e32 v84, v86, v156
	v_add_f32_e32 v83, 0, v83
	v_fma_f32 v84, v85, v165, -v84
	v_add_f32_e32 v83, v83, v84
	v_mul_f32_e32 v84, v88, v157
	v_fma_f32 v84, v87, v166, -v84
	v_add_f32_e32 v83, v83, v84
	v_mul_f32_e32 v84, v90, v158
	;; [unrolled: 3-line block ×3, first 2 shown]
	s_waitcnt vmcnt(46) lgkmcnt(1)
	v_mul_f32_e32 v116, v107, v182
	v_fma_f32 v84, v91, v168, -v84
	v_fmac_f32_e32 v116, v108, v181
	v_add_f32_e32 v83, v83, v84
	v_mul_f32_e32 v84, v94, v160
	v_add_f32_e32 v115, v115, v116
	s_waitcnt vmcnt(44)
	v_mul_f32_e32 v116, v109, v184
	v_fma_f32 v84, v93, v169, -v84
	v_fmac_f32_e32 v116, v110, v183
	v_add_f32_e32 v83, v83, v84
	v_mul_f32_e32 v84, v96, v161
	v_add_f32_e32 v115, v115, v116
	s_waitcnt vmcnt(42) lgkmcnt(0)
	v_mul_f32_e32 v116, v111, v186
	v_fma_f32 v84, v95, v170, -v84
	v_fmac_f32_e32 v116, v112, v185
	v_add_f32_e32 v83, v83, v84
	v_mul_f32_e32 v84, v98, v162
	v_add_f32_e32 v119, v115, v116
	ds_read_b128 v[115:118], v82 offset:480
	v_fma_f32 v84, v97, v171, -v84
	v_add_f32_e32 v83, v83, v84
	v_mul_f32_e32 v84, v100, v163
	s_waitcnt vmcnt(40)
	v_mul_f32_e32 v120, v113, v188
	v_fma_f32 v84, v99, v172, -v84
	v_fmac_f32_e32 v120, v114, v187
	v_add_f32_e32 v83, v83, v84
	v_mul_f32_e32 v84, v102, v173
	v_add_f32_e32 v123, v119, v120
	ds_read_b128 v[119:122], v82 offset:496
	v_fma_f32 v84, v101, v174, -v84
	s_waitcnt vmcnt(38) lgkmcnt(1)
	v_mul_f32_e32 v124, v115, v190
	v_add_f32_e32 v83, v83, v84
	v_mul_f32_e32 v84, v104, v175
	v_fmac_f32_e32 v124, v116, v189
	v_fma_f32 v84, v103, v176, -v84
	v_add_f32_e32 v123, v123, v124
	s_waitcnt vmcnt(36)
	v_mul_f32_e32 v124, v117, v192
	v_add_f32_e32 v83, v83, v84
	v_mul_f32_e32 v84, v106, v180
	v_fmac_f32_e32 v124, v118, v191
	v_fma_f32 v84, v105, v179, -v84
	v_add_f32_e32 v123, v123, v124
	s_waitcnt vmcnt(34) lgkmcnt(0)
	v_mul_f32_e32 v124, v119, v194
	v_add_f32_e32 v83, v83, v84
	v_mul_f32_e32 v84, v108, v182
	v_fmac_f32_e32 v124, v120, v193
	v_fma_f32 v84, v107, v181, -v84
	v_add_f32_e32 v127, v123, v124
	ds_read_b128 v[123:126], v82 offset:512
	v_add_f32_e32 v83, v83, v84
	v_mul_f32_e32 v84, v110, v184
	v_fma_f32 v84, v109, v183, -v84
	s_waitcnt vmcnt(32)
	v_mul_f32_e32 v128, v121, v196
	v_add_f32_e32 v83, v83, v84
	v_mul_f32_e32 v84, v112, v186
	v_fmac_f32_e32 v128, v122, v195
	v_fma_f32 v84, v111, v185, -v84
	v_add_f32_e32 v131, v127, v128
	ds_read_b128 v[127:130], v82 offset:528
	v_add_f32_e32 v83, v83, v84
	v_mul_f32_e32 v84, v114, v188
	s_waitcnt vmcnt(30) lgkmcnt(1)
	v_mul_f32_e32 v132, v123, v198
	v_fma_f32 v84, v113, v187, -v84
	v_fmac_f32_e32 v132, v124, v197
	v_add_f32_e32 v83, v83, v84
	v_mul_f32_e32 v84, v116, v190
	v_add_f32_e32 v131, v131, v132
	s_waitcnt vmcnt(28)
	v_mul_f32_e32 v132, v125, v200
	v_fma_f32 v84, v115, v189, -v84
	v_fmac_f32_e32 v132, v126, v199
	v_add_f32_e32 v83, v83, v84
	v_mul_f32_e32 v84, v118, v192
	v_add_f32_e32 v131, v131, v132
	s_waitcnt vmcnt(26) lgkmcnt(0)
	v_mul_f32_e32 v132, v127, v202
	v_fma_f32 v84, v117, v191, -v84
	v_fmac_f32_e32 v132, v128, v201
	v_add_f32_e32 v83, v83, v84
	v_mul_f32_e32 v84, v120, v194
	v_add_f32_e32 v135, v131, v132
	ds_read_b128 v[131:134], v82 offset:544
	v_fma_f32 v84, v119, v193, -v84
	v_add_f32_e32 v83, v83, v84
	v_mul_f32_e32 v84, v122, v196
	s_waitcnt vmcnt(24)
	v_mul_f32_e32 v136, v129, v204
	v_fma_f32 v84, v121, v195, -v84
	v_fmac_f32_e32 v136, v130, v203
	v_add_f32_e32 v83, v83, v84
	v_mul_f32_e32 v84, v124, v198
	v_add_f32_e32 v139, v135, v136
	ds_read_b128 v[135:138], v82 offset:560
	v_fma_f32 v84, v123, v197, -v84
	s_waitcnt vmcnt(22) lgkmcnt(1)
	v_mul_f32_e32 v140, v131, v206
	v_add_f32_e32 v83, v83, v84
	v_mul_f32_e32 v84, v126, v200
	v_fmac_f32_e32 v140, v132, v205
	v_fma_f32 v84, v125, v199, -v84
	v_add_f32_e32 v139, v139, v140
	s_waitcnt vmcnt(20)
	v_mul_f32_e32 v140, v133, v208
	v_add_f32_e32 v83, v83, v84
	v_mul_f32_e32 v84, v128, v202
	v_fmac_f32_e32 v140, v134, v207
	v_fma_f32 v84, v127, v201, -v84
	v_add_f32_e32 v139, v139, v140
	s_waitcnt vmcnt(18) lgkmcnt(0)
	v_mul_f32_e32 v140, v135, v210
	v_add_f32_e32 v83, v83, v84
	v_mul_f32_e32 v84, v130, v204
	v_fmac_f32_e32 v140, v136, v209
	v_fma_f32 v84, v129, v203, -v84
	v_add_f32_e32 v143, v139, v140
	ds_read_b128 v[139:142], v82 offset:576
	v_add_f32_e32 v83, v83, v84
	v_mul_f32_e32 v84, v132, v206
	v_fma_f32 v84, v131, v205, -v84
	s_waitcnt vmcnt(16)
	v_mul_f32_e32 v144, v137, v212
	v_add_f32_e32 v83, v83, v84
	v_mul_f32_e32 v84, v134, v208
	v_fmac_f32_e32 v144, v138, v211
	v_fma_f32 v84, v133, v207, -v84
	v_add_f32_e32 v147, v143, v144
	ds_read_b128 v[143:146], v82 offset:592
	v_add_f32_e32 v83, v83, v84
	v_mul_f32_e32 v84, v136, v210
	s_waitcnt vmcnt(14) lgkmcnt(1)
	v_mul_f32_e32 v148, v139, v214
	v_fma_f32 v84, v135, v209, -v84
	v_fmac_f32_e32 v148, v140, v213
	v_add_f32_e32 v83, v83, v84
	v_mul_f32_e32 v84, v138, v212
	v_add_f32_e32 v147, v147, v148
	s_waitcnt vmcnt(13)
	v_mul_f32_e32 v148, v141, v215
	v_fma_f32 v84, v137, v211, -v84
	s_waitcnt vmcnt(12)
	v_fmac_f32_e32 v148, v142, v216
	v_add_f32_e32 v83, v83, v84
	v_mul_f32_e32 v84, v140, v214
	v_add_f32_e32 v147, v147, v148
	s_waitcnt vmcnt(10) lgkmcnt(0)
	v_mul_f32_e32 v148, v143, v218
	v_fma_f32 v84, v139, v213, -v84
	v_fmac_f32_e32 v148, v144, v217
	v_add_f32_e32 v83, v83, v84
	v_mul_f32_e32 v84, v142, v215
	v_add_f32_e32 v151, v147, v148
	ds_read_b128 v[147:150], v82 offset:608
	v_fma_f32 v84, v141, v216, -v84
	v_add_f32_e32 v83, v83, v84
	v_mul_f32_e32 v84, v144, v218
	s_waitcnt vmcnt(8)
	v_mul_f32_e32 v152, v145, v220
	v_fma_f32 v84, v143, v217, -v84
	v_fmac_f32_e32 v152, v146, v219
	v_add_f32_e32 v83, v83, v84
	v_mul_f32_e32 v84, v146, v220
	v_add_f32_e32 v229, v151, v152
	ds_read_b128 v[151:154], v82 offset:624
	v_fma_f32 v84, v145, v219, -v84
	v_add_f32_e32 v83, v83, v84
	s_waitcnt vmcnt(6) lgkmcnt(1)
	v_mul_f32_e32 v84, v148, v222
	v_mul_f32_e32 v82, v147, v222
	v_fma_f32 v84, v147, v221, -v84
	v_fmac_f32_e32 v82, v148, v221
	v_add_f32_e32 v83, v83, v84
	s_waitcnt vmcnt(5)
	v_mul_f32_e32 v84, v150, v223
	v_add_f32_e32 v82, v229, v82
	v_mul_f32_e32 v229, v149, v223
	s_waitcnt vmcnt(4)
	v_fma_f32 v84, v149, v224, -v84
	v_fmac_f32_e32 v229, v150, v224
	v_add_f32_e32 v83, v83, v84
	s_waitcnt vmcnt(2) lgkmcnt(0)
	v_mul_f32_e32 v84, v152, v226
	v_add_f32_e32 v82, v82, v229
	v_mul_f32_e32 v229, v151, v226
	v_fma_f32 v84, v151, v225, -v84
	v_fmac_f32_e32 v229, v152, v225
	v_add_f32_e32 v83, v83, v84
	s_waitcnt vmcnt(0)
	v_mul_f32_e32 v84, v154, v228
	v_add_f32_e32 v82, v82, v229
	v_mul_f32_e32 v229, v153, v228
	v_fma_f32 v84, v153, v227, -v84
	v_fmac_f32_e32 v229, v154, v227
	v_add_f32_e32 v83, v83, v84
	v_add_f32_e32 v82, v82, v229
	v_sub_f32_e32 v83, v177, v83
	v_sub_f32_e32 v82, v178, v82
	buffer_store_dword v83, off, s[0:3], 0 offset:24
	buffer_store_dword v82, off, s[0:3], 0 offset:28
	s_and_saveexec_b64 s[4:5], vcc
	s_cbranch_execz .LBB103_249
; %bb.248:
	buffer_load_dword v82, off, s[0:3], 0 offset:16
	buffer_load_dword v83, off, s[0:3], 0 offset:20
	v_mov_b32_e32 v84, 0
	buffer_store_dword v84, off, s[0:3], 0 offset:16
	buffer_store_dword v84, off, s[0:3], 0 offset:20
	s_waitcnt vmcnt(2)
	ds_write_b64 v81, v[82:83]
.LBB103_249:
	s_or_b64 exec, exec, s[4:5]
	s_waitcnt lgkmcnt(0)
	; wave barrier
	buffer_load_dword v157, off, s[0:3], 0 offset:28
	buffer_load_dword v158, off, s[0:3], 0 offset:36
	;; [unrolled: 1-line block ×52, first 2 shown]
	v_mov_b32_e32 v82, 0
	ds_read2_b64 v[83:86], v82 offset0:43 offset1:44
	ds_read2_b64 v[87:90], v82 offset0:45 offset1:46
	;; [unrolled: 1-line block ×6, first 2 shown]
	buffer_load_dword v209, off, s[0:3], 0 offset:228
	buffer_load_dword v210, off, s[0:3], 0 offset:224
	buffer_load_dword v211, off, s[0:3], 0 offset:232
	buffer_load_dword v212, off, s[0:3], 0 offset:236
	buffer_load_dword v213, off, s[0:3], 0 offset:240
	buffer_load_dword v214, off, s[0:3], 0 offset:244
	buffer_load_dword v215, off, s[0:3], 0 offset:248
	buffer_load_dword v216, off, s[0:3], 0 offset:252
	buffer_load_dword v217, off, s[0:3], 0 offset:260
	buffer_load_dword v218, off, s[0:3], 0 offset:256
	buffer_load_dword v219, off, s[0:3], 0 offset:264
	buffer_load_dword v220, off, s[0:3], 0 offset:268
	buffer_load_dword v221, off, s[0:3], 0 offset:272
	buffer_load_dword v222, off, s[0:3], 0 offset:276
	v_cmp_lt_u32_e32 vcc, 1, v0
	s_waitcnt vmcnt(62) lgkmcnt(5)
	v_mul_f32_e32 v107, v83, v157
	v_mul_f32_e32 v108, v85, v158
	s_waitcnt lgkmcnt(4)
	v_mul_f32_e32 v109, v87, v159
	v_mul_f32_e32 v110, v89, v160
	s_waitcnt vmcnt(61) lgkmcnt(3)
	v_mul_f32_e32 v111, v91, v161
	s_waitcnt vmcnt(60)
	v_mul_f32_e32 v112, v93, v162
	s_waitcnt vmcnt(59) lgkmcnt(2)
	v_mul_f32_e32 v113, v95, v163
	s_waitcnt vmcnt(58)
	v_mul_f32_e32 v114, v97, v164
	s_waitcnt vmcnt(57) lgkmcnt(1)
	v_mul_f32_e32 v115, v99, v165
	s_waitcnt vmcnt(56)
	v_fmac_f32_e32 v107, v84, v166
	s_waitcnt vmcnt(55)
	v_fmac_f32_e32 v108, v86, v167
	v_add_f32_e32 v107, 0, v107
	s_waitcnt vmcnt(54)
	v_fmac_f32_e32 v109, v88, v168
	v_add_f32_e32 v107, v107, v108
	s_waitcnt vmcnt(53)
	v_fmac_f32_e32 v110, v90, v169
	v_add_f32_e32 v107, v107, v109
	s_waitcnt vmcnt(52)
	v_fmac_f32_e32 v111, v92, v170
	v_add_f32_e32 v107, v107, v110
	s_waitcnt vmcnt(51)
	v_fmac_f32_e32 v112, v94, v171
	v_add_f32_e32 v107, v107, v111
	s_waitcnt vmcnt(50)
	v_fmac_f32_e32 v113, v96, v172
	v_add_f32_e32 v107, v107, v112
	s_waitcnt vmcnt(49)
	v_fmac_f32_e32 v114, v98, v173
	v_add_f32_e32 v107, v107, v113
	s_waitcnt vmcnt(48)
	v_fmac_f32_e32 v115, v100, v174
	v_add_f32_e32 v107, v107, v114
	s_waitcnt vmcnt(47)
	v_mul_f32_e32 v108, v101, v175
	v_add_f32_e32 v107, v107, v115
	s_waitcnt vmcnt(46)
	v_fmac_f32_e32 v108, v102, v176
	v_add_f32_e32 v107, v107, v108
	s_waitcnt vmcnt(45) lgkmcnt(0)
	v_mul_f32_e32 v108, v103, v177
	s_waitcnt vmcnt(44)
	v_fmac_f32_e32 v108, v104, v178
	v_add_f32_e32 v111, v107, v108
	ds_read2_b64 v[107:110], v82 offset0:55 offset1:56
	buffer_load_dword v223, off, s[0:3], 0 offset:280
	buffer_load_dword v224, off, s[0:3], 0 offset:284
	s_waitcnt vmcnt(43)
	v_mul_f32_e32 v112, v105, v181
	s_waitcnt vmcnt(42)
	v_fmac_f32_e32 v112, v106, v182
	v_add_f32_e32 v115, v111, v112
	ds_read2_b64 v[111:114], v82 offset0:57 offset1:58
	buffer_load_dword v225, off, s[0:3], 0 offset:292
	buffer_load_dword v226, off, s[0:3], 0 offset:288
	;; [unrolled: 1-line block ×8, first 2 shown]
	v_mul_f32_e32 v84, v84, v157
	v_fma_f32 v83, v83, v166, -v84
	v_mul_f32_e32 v84, v86, v158
	v_add_f32_e32 v83, 0, v83
	v_fma_f32 v84, v85, v167, -v84
	v_add_f32_e32 v83, v83, v84
	v_mul_f32_e32 v84, v88, v159
	v_fma_f32 v84, v87, v168, -v84
	v_add_f32_e32 v83, v83, v84
	v_mul_f32_e32 v84, v90, v160
	v_fma_f32 v84, v89, v169, -v84
	s_waitcnt vmcnt(48) lgkmcnt(1)
	v_mul_f32_e32 v116, v107, v184
	v_add_f32_e32 v83, v83, v84
	v_mul_f32_e32 v84, v92, v161
	v_fmac_f32_e32 v116, v108, v183
	v_fma_f32 v84, v91, v170, -v84
	v_add_f32_e32 v115, v115, v116
	s_waitcnt vmcnt(46)
	v_mul_f32_e32 v116, v109, v186
	v_add_f32_e32 v83, v83, v84
	v_mul_f32_e32 v84, v94, v162
	v_fmac_f32_e32 v116, v110, v185
	v_fma_f32 v84, v93, v171, -v84
	v_add_f32_e32 v115, v115, v116
	s_waitcnt vmcnt(44) lgkmcnt(0)
	v_mul_f32_e32 v116, v111, v188
	v_add_f32_e32 v83, v83, v84
	v_mul_f32_e32 v84, v96, v163
	v_fmac_f32_e32 v116, v112, v187
	v_fma_f32 v84, v95, v172, -v84
	v_add_f32_e32 v119, v115, v116
	ds_read2_b64 v[115:118], v82 offset0:59 offset1:60
	v_add_f32_e32 v83, v83, v84
	v_mul_f32_e32 v84, v98, v164
	v_fma_f32 v84, v97, v173, -v84
	s_waitcnt vmcnt(42)
	v_mul_f32_e32 v120, v113, v190
	v_add_f32_e32 v83, v83, v84
	v_mul_f32_e32 v84, v100, v165
	v_fmac_f32_e32 v120, v114, v189
	v_fma_f32 v84, v99, v174, -v84
	v_add_f32_e32 v123, v119, v120
	ds_read2_b64 v[119:122], v82 offset0:61 offset1:62
	v_add_f32_e32 v83, v83, v84
	v_mul_f32_e32 v84, v102, v175
	s_waitcnt vmcnt(40) lgkmcnt(1)
	v_mul_f32_e32 v124, v115, v192
	v_fma_f32 v84, v101, v176, -v84
	v_fmac_f32_e32 v124, v116, v191
	v_add_f32_e32 v83, v83, v84
	v_mul_f32_e32 v84, v104, v177
	v_add_f32_e32 v123, v123, v124
	s_waitcnt vmcnt(38)
	v_mul_f32_e32 v124, v117, v194
	v_fma_f32 v84, v103, v178, -v84
	v_fmac_f32_e32 v124, v118, v193
	v_add_f32_e32 v83, v83, v84
	v_mul_f32_e32 v84, v106, v181
	v_add_f32_e32 v123, v123, v124
	s_waitcnt vmcnt(36) lgkmcnt(0)
	v_mul_f32_e32 v124, v119, v196
	v_fma_f32 v84, v105, v182, -v84
	v_fmac_f32_e32 v124, v120, v195
	v_add_f32_e32 v83, v83, v84
	v_mul_f32_e32 v84, v108, v184
	v_add_f32_e32 v127, v123, v124
	ds_read2_b64 v[123:126], v82 offset0:63 offset1:64
	v_fma_f32 v84, v107, v183, -v84
	v_add_f32_e32 v83, v83, v84
	v_mul_f32_e32 v84, v110, v186
	s_waitcnt vmcnt(34)
	v_mul_f32_e32 v128, v121, v198
	v_fma_f32 v84, v109, v185, -v84
	v_fmac_f32_e32 v128, v122, v197
	v_add_f32_e32 v83, v83, v84
	v_mul_f32_e32 v84, v112, v188
	v_add_f32_e32 v131, v127, v128
	ds_read2_b64 v[127:130], v82 offset0:65 offset1:66
	v_fma_f32 v84, v111, v187, -v84
	s_waitcnt vmcnt(32) lgkmcnt(1)
	v_mul_f32_e32 v132, v123, v200
	v_add_f32_e32 v83, v83, v84
	v_mul_f32_e32 v84, v114, v190
	v_fmac_f32_e32 v132, v124, v199
	v_fma_f32 v84, v113, v189, -v84
	v_add_f32_e32 v131, v131, v132
	s_waitcnt vmcnt(30)
	v_mul_f32_e32 v132, v125, v202
	v_add_f32_e32 v83, v83, v84
	v_mul_f32_e32 v84, v116, v192
	v_fmac_f32_e32 v132, v126, v201
	v_fma_f32 v84, v115, v191, -v84
	v_add_f32_e32 v131, v131, v132
	s_waitcnt vmcnt(28) lgkmcnt(0)
	v_mul_f32_e32 v132, v127, v204
	v_add_f32_e32 v83, v83, v84
	v_mul_f32_e32 v84, v118, v194
	v_fmac_f32_e32 v132, v128, v203
	v_fma_f32 v84, v117, v193, -v84
	v_add_f32_e32 v135, v131, v132
	ds_read2_b64 v[131:134], v82 offset0:67 offset1:68
	v_add_f32_e32 v83, v83, v84
	v_mul_f32_e32 v84, v120, v196
	v_fma_f32 v84, v119, v195, -v84
	s_waitcnt vmcnt(26)
	v_mul_f32_e32 v136, v129, v206
	v_add_f32_e32 v83, v83, v84
	v_mul_f32_e32 v84, v122, v198
	v_fmac_f32_e32 v136, v130, v205
	v_fma_f32 v84, v121, v197, -v84
	v_add_f32_e32 v139, v135, v136
	ds_read2_b64 v[135:138], v82 offset0:69 offset1:70
	v_add_f32_e32 v83, v83, v84
	v_mul_f32_e32 v84, v124, v200
	s_waitcnt vmcnt(24) lgkmcnt(1)
	v_mul_f32_e32 v140, v131, v208
	v_fma_f32 v84, v123, v199, -v84
	v_fmac_f32_e32 v140, v132, v207
	v_add_f32_e32 v83, v83, v84
	v_mul_f32_e32 v84, v126, v202
	v_add_f32_e32 v139, v139, v140
	s_waitcnt vmcnt(23)
	v_mul_f32_e32 v140, v133, v209
	v_fma_f32 v84, v125, v201, -v84
	s_waitcnt vmcnt(22)
	v_fmac_f32_e32 v140, v134, v210
	v_add_f32_e32 v83, v83, v84
	v_mul_f32_e32 v84, v128, v204
	v_add_f32_e32 v139, v139, v140
	s_waitcnt vmcnt(20) lgkmcnt(0)
	v_mul_f32_e32 v140, v135, v212
	v_fma_f32 v84, v127, v203, -v84
	v_fmac_f32_e32 v140, v136, v211
	v_add_f32_e32 v83, v83, v84
	v_mul_f32_e32 v84, v130, v206
	v_add_f32_e32 v143, v139, v140
	ds_read2_b64 v[139:142], v82 offset0:71 offset1:72
	v_fma_f32 v84, v129, v205, -v84
	v_add_f32_e32 v83, v83, v84
	v_mul_f32_e32 v84, v132, v208
	s_waitcnt vmcnt(18)
	v_mul_f32_e32 v144, v137, v214
	v_fma_f32 v84, v131, v207, -v84
	v_fmac_f32_e32 v144, v138, v213
	v_add_f32_e32 v83, v83, v84
	v_mul_f32_e32 v84, v134, v209
	v_add_f32_e32 v147, v143, v144
	ds_read2_b64 v[143:146], v82 offset0:73 offset1:74
	v_fma_f32 v84, v133, v210, -v84
	s_waitcnt vmcnt(16) lgkmcnt(1)
	v_mul_f32_e32 v148, v139, v216
	v_add_f32_e32 v83, v83, v84
	v_mul_f32_e32 v84, v136, v212
	v_fmac_f32_e32 v148, v140, v215
	v_fma_f32 v84, v135, v211, -v84
	v_add_f32_e32 v147, v147, v148
	s_waitcnt vmcnt(15)
	v_mul_f32_e32 v148, v141, v217
	v_add_f32_e32 v83, v83, v84
	v_mul_f32_e32 v84, v138, v214
	s_waitcnt vmcnt(14)
	v_fmac_f32_e32 v148, v142, v218
	v_fma_f32 v84, v137, v213, -v84
	v_add_f32_e32 v147, v147, v148
	s_waitcnt vmcnt(12) lgkmcnt(0)
	v_mul_f32_e32 v148, v143, v220
	v_add_f32_e32 v83, v83, v84
	v_mul_f32_e32 v84, v140, v216
	v_fmac_f32_e32 v148, v144, v219
	v_fma_f32 v84, v139, v215, -v84
	v_add_f32_e32 v151, v147, v148
	ds_read2_b64 v[147:150], v82 offset0:75 offset1:76
	v_add_f32_e32 v83, v83, v84
	v_mul_f32_e32 v84, v142, v217
	v_fma_f32 v84, v141, v218, -v84
	v_add_f32_e32 v83, v83, v84
	v_mul_f32_e32 v84, v144, v220
	s_waitcnt vmcnt(10)
	v_mul_f32_e32 v152, v145, v222
	v_fma_f32 v84, v143, v219, -v84
	v_fmac_f32_e32 v152, v146, v221
	v_add_f32_e32 v83, v83, v84
	v_mul_f32_e32 v84, v146, v222
	v_add_f32_e32 v155, v151, v152
	ds_read2_b64 v[151:154], v82 offset0:77 offset1:78
	s_waitcnt vmcnt(8) lgkmcnt(1)
	v_mul_f32_e32 v156, v147, v224
	v_fma_f32 v84, v145, v221, -v84
	v_fmac_f32_e32 v156, v148, v223
	v_add_f32_e32 v83, v83, v84
	v_mul_f32_e32 v84, v148, v224
	v_add_f32_e32 v155, v155, v156
	s_waitcnt vmcnt(7)
	v_mul_f32_e32 v156, v149, v225
	v_fma_f32 v84, v147, v223, -v84
	s_waitcnt vmcnt(6)
	v_fmac_f32_e32 v156, v150, v226
	v_add_f32_e32 v83, v83, v84
	v_mul_f32_e32 v84, v150, v225
	v_add_f32_e32 v233, v155, v156
	ds_read_b64 v[155:156], v82 offset:632
	v_fma_f32 v84, v149, v226, -v84
	v_add_f32_e32 v83, v83, v84
	s_waitcnt vmcnt(4) lgkmcnt(1)
	v_mul_f32_e32 v84, v152, v228
	v_mul_f32_e32 v234, v151, v228
	v_fma_f32 v84, v151, v227, -v84
	v_fmac_f32_e32 v234, v152, v227
	v_add_f32_e32 v83, v83, v84
	s_waitcnt vmcnt(3)
	v_mul_f32_e32 v84, v154, v229
	v_add_f32_e32 v233, v233, v234
	v_mul_f32_e32 v234, v153, v229
	s_waitcnt vmcnt(2)
	v_fma_f32 v84, v153, v230, -v84
	v_fmac_f32_e32 v234, v154, v230
	v_add_f32_e32 v83, v83, v84
	s_waitcnt vmcnt(0) lgkmcnt(0)
	v_mul_f32_e32 v84, v156, v232
	v_add_f32_e32 v233, v233, v234
	v_mul_f32_e32 v234, v155, v232
	v_fma_f32 v84, v155, v231, -v84
	v_fmac_f32_e32 v234, v156, v231
	v_add_f32_e32 v83, v83, v84
	v_add_f32_e32 v233, v233, v234
	v_sub_f32_e32 v83, v179, v83
	v_sub_f32_e32 v84, v180, v233
	buffer_store_dword v83, off, s[0:3], 0 offset:16
	buffer_store_dword v84, off, s[0:3], 0 offset:20
	s_and_saveexec_b64 s[4:5], vcc
	s_cbranch_execz .LBB103_251
; %bb.250:
	buffer_load_dword v83, off, s[0:3], 0 offset:8
	buffer_load_dword v84, off, s[0:3], 0 offset:12
	s_waitcnt vmcnt(0)
	ds_write_b64 v81, v[83:84]
	buffer_store_dword v82, off, s[0:3], 0 offset:8
	buffer_store_dword v82, off, s[0:3], 0 offset:12
.LBB103_251:
	s_or_b64 exec, exec, s[4:5]
	s_waitcnt lgkmcnt(0)
	; wave barrier
	buffer_load_dword v159, off, s[0:3], 0 offset:20
	buffer_load_dword v160, off, s[0:3], 0 offset:28
	;; [unrolled: 1-line block ×26, first 2 shown]
	ds_read_b128 v[83:86], v82 offset:336
	ds_read_b128 v[87:90], v82 offset:352
	;; [unrolled: 1-line block ×4, first 2 shown]
	buffer_load_dword v185, off, s[0:3], 0 offset:116
	ds_read_b128 v[99:102], v82 offset:400
	ds_read_b128 v[103:106], v82 offset:416
	buffer_load_dword v186, off, s[0:3], 0 offset:112
	buffer_load_dword v187, off, s[0:3], 0 offset:120
	;; [unrolled: 1-line block ×37, first 2 shown]
	v_cmp_ne_u32_e32 vcc, 0, v0
	s_waitcnt vmcnt(62) lgkmcnt(5)
	v_mul_f32_e32 v107, v83, v159
	v_mul_f32_e32 v108, v85, v160
	s_waitcnt vmcnt(61) lgkmcnt(4)
	v_mul_f32_e32 v109, v87, v161
	s_waitcnt vmcnt(60)
	v_mul_f32_e32 v110, v89, v162
	s_waitcnt vmcnt(59) lgkmcnt(3)
	v_mul_f32_e32 v111, v91, v163
	s_waitcnt vmcnt(58)
	;; [unrolled: 4-line block ×4, first 2 shown]
	v_mul_f32_e32 v116, v101, v168
	s_waitcnt vmcnt(53)
	v_fmac_f32_e32 v107, v84, v169
	s_waitcnt vmcnt(52)
	v_fmac_f32_e32 v108, v86, v170
	v_add_f32_e32 v107, 0, v107
	s_waitcnt vmcnt(51)
	v_fmac_f32_e32 v109, v88, v171
	v_add_f32_e32 v107, v107, v108
	;; [unrolled: 3-line block ×9, first 2 shown]
	s_waitcnt vmcnt(43) lgkmcnt(0)
	v_mul_f32_e32 v108, v103, v179
	v_add_f32_e32 v107, v107, v116
	s_waitcnt vmcnt(42)
	v_fmac_f32_e32 v108, v104, v180
	v_add_f32_e32 v111, v107, v108
	s_waitcnt vmcnt(41)
	v_mul_f32_e32 v112, v105, v181
	ds_read_b128 v[107:110], v82 offset:432
	buffer_load_dword v223, off, s[0:3], 0 offset:264
	buffer_load_dword v224, off, s[0:3], 0 offset:268
	s_waitcnt vmcnt(42)
	v_fmac_f32_e32 v112, v106, v182
	v_add_f32_e32 v115, v111, v112
	ds_read_b128 v[111:114], v82 offset:448
	buffer_load_dword v225, off, s[0:3], 0 offset:272
	buffer_load_dword v226, off, s[0:3], 0 offset:276
	;; [unrolled: 1-line block ×12, first 2 shown]
	v_mul_f32_e32 v84, v84, v159
	v_fma_f32 v83, v83, v169, -v84
	v_mul_f32_e32 v84, v86, v160
	v_add_f32_e32 v83, 0, v83
	v_fma_f32 v84, v85, v170, -v84
	v_add_f32_e32 v83, v83, v84
	v_mul_f32_e32 v84, v88, v161
	v_fma_f32 v84, v87, v171, -v84
	v_add_f32_e32 v83, v83, v84
	v_mul_f32_e32 v84, v90, v162
	v_fma_f32 v84, v89, v172, -v84
	s_waitcnt vmcnt(51) lgkmcnt(1)
	v_mul_f32_e32 v116, v107, v185
	v_add_f32_e32 v83, v83, v84
	v_mul_f32_e32 v84, v92, v163
	s_waitcnt vmcnt(50)
	v_fmac_f32_e32 v116, v108, v186
	v_fma_f32 v84, v91, v173, -v84
	v_add_f32_e32 v115, v115, v116
	s_waitcnt vmcnt(48)
	v_mul_f32_e32 v116, v109, v188
	v_add_f32_e32 v83, v83, v84
	v_mul_f32_e32 v84, v94, v164
	v_fmac_f32_e32 v116, v110, v187
	v_fma_f32 v84, v93, v174, -v84
	v_add_f32_e32 v115, v115, v116
	s_waitcnt vmcnt(46) lgkmcnt(0)
	v_mul_f32_e32 v116, v111, v190
	v_add_f32_e32 v83, v83, v84
	v_mul_f32_e32 v84, v96, v165
	v_fmac_f32_e32 v116, v112, v189
	v_fma_f32 v84, v95, v175, -v84
	v_add_f32_e32 v119, v115, v116
	ds_read_b128 v[115:118], v82 offset:464
	v_add_f32_e32 v83, v83, v84
	v_mul_f32_e32 v84, v98, v166
	v_fma_f32 v84, v97, v176, -v84
	s_waitcnt vmcnt(44)
	v_mul_f32_e32 v120, v113, v192
	v_add_f32_e32 v83, v83, v84
	v_mul_f32_e32 v84, v100, v167
	v_fmac_f32_e32 v120, v114, v191
	v_fma_f32 v84, v99, v177, -v84
	v_add_f32_e32 v123, v119, v120
	ds_read_b128 v[119:122], v82 offset:480
	v_add_f32_e32 v83, v83, v84
	v_mul_f32_e32 v84, v102, v168
	s_waitcnt vmcnt(42) lgkmcnt(1)
	v_mul_f32_e32 v124, v115, v194
	v_fma_f32 v84, v101, v178, -v84
	v_fmac_f32_e32 v124, v116, v193
	v_add_f32_e32 v83, v83, v84
	v_mul_f32_e32 v84, v104, v179
	v_add_f32_e32 v123, v123, v124
	s_waitcnt vmcnt(40)
	v_mul_f32_e32 v124, v117, v196
	v_fma_f32 v84, v103, v180, -v84
	v_fmac_f32_e32 v124, v118, v195
	v_add_f32_e32 v83, v83, v84
	v_mul_f32_e32 v84, v106, v181
	v_add_f32_e32 v123, v123, v124
	s_waitcnt vmcnt(38) lgkmcnt(0)
	v_mul_f32_e32 v124, v119, v198
	v_fma_f32 v84, v105, v182, -v84
	v_fmac_f32_e32 v124, v120, v197
	v_add_f32_e32 v83, v83, v84
	v_mul_f32_e32 v84, v108, v185
	v_add_f32_e32 v127, v123, v124
	ds_read_b128 v[123:126], v82 offset:496
	v_fma_f32 v84, v107, v186, -v84
	v_add_f32_e32 v83, v83, v84
	v_mul_f32_e32 v84, v110, v188
	s_waitcnt vmcnt(36)
	v_mul_f32_e32 v128, v121, v200
	v_fma_f32 v84, v109, v187, -v84
	v_fmac_f32_e32 v128, v122, v199
	v_add_f32_e32 v83, v83, v84
	v_mul_f32_e32 v84, v112, v190
	v_add_f32_e32 v131, v127, v128
	ds_read_b128 v[127:130], v82 offset:512
	v_fma_f32 v84, v111, v189, -v84
	s_waitcnt vmcnt(34) lgkmcnt(1)
	v_mul_f32_e32 v132, v123, v202
	v_add_f32_e32 v83, v83, v84
	v_mul_f32_e32 v84, v114, v192
	v_fmac_f32_e32 v132, v124, v201
	v_fma_f32 v84, v113, v191, -v84
	v_add_f32_e32 v131, v131, v132
	s_waitcnt vmcnt(32)
	v_mul_f32_e32 v132, v125, v204
	v_add_f32_e32 v83, v83, v84
	v_mul_f32_e32 v84, v116, v194
	v_fmac_f32_e32 v132, v126, v203
	v_fma_f32 v84, v115, v193, -v84
	v_add_f32_e32 v131, v131, v132
	s_waitcnt vmcnt(30) lgkmcnt(0)
	v_mul_f32_e32 v132, v127, v206
	v_add_f32_e32 v83, v83, v84
	v_mul_f32_e32 v84, v118, v196
	v_fmac_f32_e32 v132, v128, v205
	v_fma_f32 v84, v117, v195, -v84
	v_add_f32_e32 v135, v131, v132
	ds_read_b128 v[131:134], v82 offset:528
	v_add_f32_e32 v83, v83, v84
	v_mul_f32_e32 v84, v120, v198
	v_fma_f32 v84, v119, v197, -v84
	s_waitcnt vmcnt(28)
	v_mul_f32_e32 v136, v129, v208
	v_add_f32_e32 v83, v83, v84
	v_mul_f32_e32 v84, v122, v200
	v_fmac_f32_e32 v136, v130, v207
	v_fma_f32 v84, v121, v199, -v84
	v_add_f32_e32 v139, v135, v136
	ds_read_b128 v[135:138], v82 offset:544
	v_add_f32_e32 v83, v83, v84
	v_mul_f32_e32 v84, v124, v202
	s_waitcnt vmcnt(26) lgkmcnt(1)
	v_mul_f32_e32 v140, v131, v210
	v_fma_f32 v84, v123, v201, -v84
	v_fmac_f32_e32 v140, v132, v209
	v_add_f32_e32 v83, v83, v84
	v_mul_f32_e32 v84, v126, v204
	v_add_f32_e32 v139, v139, v140
	s_waitcnt vmcnt(25)
	v_mul_f32_e32 v140, v133, v211
	v_fma_f32 v84, v125, v203, -v84
	s_waitcnt vmcnt(24)
	v_fmac_f32_e32 v140, v134, v212
	v_add_f32_e32 v83, v83, v84
	v_mul_f32_e32 v84, v128, v206
	v_add_f32_e32 v139, v139, v140
	s_waitcnt vmcnt(22) lgkmcnt(0)
	v_mul_f32_e32 v140, v135, v214
	v_fma_f32 v84, v127, v205, -v84
	v_fmac_f32_e32 v140, v136, v213
	v_add_f32_e32 v83, v83, v84
	v_mul_f32_e32 v84, v130, v208
	v_add_f32_e32 v143, v139, v140
	ds_read_b128 v[139:142], v82 offset:560
	v_fma_f32 v84, v129, v207, -v84
	v_add_f32_e32 v83, v83, v84
	v_mul_f32_e32 v84, v132, v210
	s_waitcnt vmcnt(20)
	v_mul_f32_e32 v144, v137, v216
	v_fma_f32 v84, v131, v209, -v84
	v_fmac_f32_e32 v144, v138, v215
	v_add_f32_e32 v83, v83, v84
	v_mul_f32_e32 v84, v134, v211
	v_add_f32_e32 v147, v143, v144
	ds_read_b128 v[143:146], v82 offset:576
	v_fma_f32 v84, v133, v212, -v84
	s_waitcnt vmcnt(18) lgkmcnt(1)
	v_mul_f32_e32 v148, v139, v218
	v_add_f32_e32 v83, v83, v84
	v_mul_f32_e32 v84, v136, v214
	v_fmac_f32_e32 v148, v140, v217
	v_fma_f32 v84, v135, v213, -v84
	v_add_f32_e32 v147, v147, v148
	s_waitcnt vmcnt(17)
	v_mul_f32_e32 v148, v141, v219
	v_add_f32_e32 v83, v83, v84
	v_mul_f32_e32 v84, v138, v216
	s_waitcnt vmcnt(16)
	v_fmac_f32_e32 v148, v142, v220
	v_fma_f32 v84, v137, v215, -v84
	v_add_f32_e32 v147, v147, v148
	s_waitcnt vmcnt(14) lgkmcnt(0)
	v_mul_f32_e32 v148, v143, v222
	v_add_f32_e32 v83, v83, v84
	v_mul_f32_e32 v84, v140, v218
	v_fmac_f32_e32 v148, v144, v221
	v_fma_f32 v84, v139, v217, -v84
	v_add_f32_e32 v151, v147, v148
	ds_read_b128 v[147:150], v82 offset:592
	v_add_f32_e32 v83, v83, v84
	v_mul_f32_e32 v84, v142, v219
	v_fma_f32 v84, v141, v220, -v84
	v_add_f32_e32 v83, v83, v84
	v_mul_f32_e32 v84, v144, v222
	s_waitcnt vmcnt(12)
	v_mul_f32_e32 v152, v145, v224
	v_fma_f32 v84, v143, v221, -v84
	v_fmac_f32_e32 v152, v146, v223
	v_add_f32_e32 v83, v83, v84
	v_mul_f32_e32 v84, v146, v224
	v_add_f32_e32 v155, v151, v152
	ds_read_b128 v[151:154], v82 offset:608
	s_waitcnt vmcnt(10) lgkmcnt(1)
	v_mul_f32_e32 v156, v147, v226
	v_fma_f32 v84, v145, v223, -v84
	v_fmac_f32_e32 v156, v148, v225
	v_add_f32_e32 v83, v83, v84
	v_mul_f32_e32 v84, v148, v226
	v_add_f32_e32 v155, v155, v156
	s_waitcnt vmcnt(9)
	v_mul_f32_e32 v156, v149, v227
	v_fma_f32 v84, v147, v225, -v84
	s_waitcnt vmcnt(8)
	v_fmac_f32_e32 v156, v150, v228
	v_add_f32_e32 v83, v83, v84
	v_mul_f32_e32 v84, v150, v227
	v_add_f32_e32 v237, v155, v156
	ds_read_b128 v[155:158], v82 offset:624
	v_fma_f32 v84, v149, v228, -v84
	v_add_f32_e32 v83, v83, v84
	s_waitcnt vmcnt(6) lgkmcnt(1)
	v_mul_f32_e32 v84, v152, v230
	v_mul_f32_e32 v238, v151, v230
	v_fma_f32 v84, v151, v229, -v84
	v_fmac_f32_e32 v238, v152, v229
	v_add_f32_e32 v83, v83, v84
	s_waitcnt vmcnt(4)
	v_mul_f32_e32 v84, v154, v232
	v_add_f32_e32 v82, v237, v238
	v_mul_f32_e32 v237, v153, v232
	v_fma_f32 v84, v153, v231, -v84
	v_fmac_f32_e32 v237, v154, v231
	v_add_f32_e32 v83, v83, v84
	s_waitcnt vmcnt(3) lgkmcnt(0)
	v_mul_f32_e32 v84, v156, v233
	v_add_f32_e32 v82, v82, v237
	v_mul_f32_e32 v237, v155, v233
	s_waitcnt vmcnt(2)
	v_fma_f32 v84, v155, v234, -v84
	v_fmac_f32_e32 v237, v156, v234
	v_add_f32_e32 v83, v83, v84
	s_waitcnt vmcnt(0)
	v_mul_f32_e32 v84, v158, v236
	v_add_f32_e32 v82, v82, v237
	v_mul_f32_e32 v237, v157, v236
	v_fma_f32 v84, v157, v235, -v84
	v_fmac_f32_e32 v237, v158, v235
	v_add_f32_e32 v83, v83, v84
	v_add_f32_e32 v82, v82, v237
	v_sub_f32_e32 v83, v183, v83
	v_sub_f32_e32 v82, v184, v82
	buffer_store_dword v83, off, s[0:3], 0 offset:8
	buffer_store_dword v82, off, s[0:3], 0 offset:12
	s_and_saveexec_b64 s[4:5], vcc
	s_cbranch_execz .LBB103_253
; %bb.252:
	buffer_load_dword v82, off, s[0:3], 0
	buffer_load_dword v83, off, s[0:3], 0 offset:4
	v_mov_b32_e32 v0, 0
	buffer_store_dword v0, off, s[0:3], 0
	buffer_store_dword v0, off, s[0:3], 0 offset:4
	s_waitcnt vmcnt(2)
	ds_write_b64 v81, v[82:83]
.LBB103_253:
	s_or_b64 exec, exec, s[4:5]
	s_waitcnt lgkmcnt(0)
	; wave barrier
	buffer_load_dword v159, off, s[0:3], 0 offset:12
	buffer_load_dword v160, off, s[0:3], 0 offset:20
	;; [unrolled: 1-line block ×24, first 2 shown]
	buffer_load_dword v183, off, s[0:3], 0
	buffer_load_dword v184, off, s[0:3], 0 offset:4
	buffer_load_dword v185, off, s[0:3], 0 offset:104
	;; [unrolled: 1-line block ×27, first 2 shown]
	v_mov_b32_e32 v0, 0
	ds_read2_b64 v[81:84], v0 offset0:41 offset1:42
	ds_read2_b64 v[85:88], v0 offset0:43 offset1:44
	;; [unrolled: 1-line block ×6, first 2 shown]
	buffer_load_dword v211, off, s[0:3], 0 offset:212
	buffer_load_dword v212, off, s[0:3], 0 offset:208
	;; [unrolled: 1-line block ×8, first 2 shown]
	s_and_b64 vcc, exec, s[14:15]
	s_waitcnt vmcnt(59) lgkmcnt(5)
	v_mul_f32_e32 v105, v81, v159
	s_waitcnt vmcnt(58)
	v_mul_f32_e32 v106, v83, v160
	s_waitcnt vmcnt(57) lgkmcnt(4)
	v_mul_f32_e32 v107, v85, v161
	s_waitcnt vmcnt(56)
	v_mul_f32_e32 v108, v87, v162
	;; [unrolled: 4-line block ×5, first 2 shown]
	s_waitcnt vmcnt(49) lgkmcnt(0)
	v_mul_f32_e32 v115, v101, v169
	s_waitcnt vmcnt(48)
	v_fmac_f32_e32 v105, v82, v170
	s_waitcnt vmcnt(47)
	v_fmac_f32_e32 v106, v84, v171
	v_add_f32_e32 v105, 0, v105
	s_waitcnt vmcnt(46)
	v_fmac_f32_e32 v107, v86, v172
	v_add_f32_e32 v105, v105, v106
	;; [unrolled: 3-line block ×9, first 2 shown]
	v_add_f32_e32 v105, v105, v114
	s_waitcnt vmcnt(38)
	v_fmac_f32_e32 v115, v102, v180
	s_waitcnt vmcnt(37)
	v_mul_f32_e32 v106, v103, v181
	v_add_f32_e32 v105, v105, v115
	s_waitcnt vmcnt(36)
	v_fmac_f32_e32 v106, v104, v182
	v_add_f32_e32 v113, v105, v106
	ds_read2_b64 v[105:108], v0 offset0:53 offset1:54
	buffer_load_dword v219, off, s[0:3], 0 offset:244
	buffer_load_dword v220, off, s[0:3], 0 offset:240
	;; [unrolled: 1-line block ×4, first 2 shown]
	ds_read2_b64 v[109:112], v0 offset0:55 offset1:56
	buffer_load_dword v223, off, s[0:3], 0 offset:256
	buffer_load_dword v224, off, s[0:3], 0 offset:260
	;; [unrolled: 1-line block ×10, first 2 shown]
	s_waitcnt vmcnt(46) lgkmcnt(1)
	v_mul_f32_e32 v114, v105, v186
	v_fmac_f32_e32 v114, v106, v185
	v_add_f32_e32 v113, v113, v114
	s_waitcnt vmcnt(44)
	v_mul_f32_e32 v114, v107, v188
	buffer_load_dword v233, off, s[0:3], 0 offset:296
	buffer_load_dword v234, off, s[0:3], 0 offset:300
	v_fmac_f32_e32 v114, v108, v187
	v_add_f32_e32 v113, v113, v114
	s_waitcnt vmcnt(44) lgkmcnt(0)
	v_mul_f32_e32 v114, v109, v190
	v_fmac_f32_e32 v114, v110, v189
	v_add_f32_e32 v117, v113, v114
	ds_read2_b64 v[113:116], v0 offset0:57 offset1:58
	buffer_load_dword v235, off, s[0:3], 0 offset:308
	buffer_load_dword v236, off, s[0:3], 0 offset:304
	buffer_load_dword v237, off, s[0:3], 0 offset:312
	buffer_load_dword v238, off, s[0:3], 0 offset:316
	v_mul_f32_e32 v82, v82, v159
	v_fma_f32 v81, v81, v170, -v82
	v_mul_f32_e32 v82, v84, v160
	v_add_f32_e32 v81, 0, v81
	v_fma_f32 v82, v83, v171, -v82
	v_add_f32_e32 v81, v81, v82
	v_mul_f32_e32 v82, v86, v161
	v_fma_f32 v82, v85, v172, -v82
	v_add_f32_e32 v81, v81, v82
	v_mul_f32_e32 v82, v88, v162
	;; [unrolled: 3-line block ×5, first 2 shown]
	v_fma_f32 v82, v93, v176, -v82
	s_waitcnt vmcnt(46)
	v_mul_f32_e32 v118, v111, v192
	v_add_f32_e32 v81, v81, v82
	v_mul_f32_e32 v82, v96, v166
	v_fmac_f32_e32 v118, v112, v191
	v_fma_f32 v82, v95, v177, -v82
	v_add_f32_e32 v121, v117, v118
	ds_read2_b64 v[117:120], v0 offset0:59 offset1:60
	v_add_f32_e32 v81, v81, v82
	v_mul_f32_e32 v82, v98, v167
	s_waitcnt vmcnt(44) lgkmcnt(1)
	v_mul_f32_e32 v122, v113, v194
	v_fma_f32 v82, v97, v178, -v82
	v_fmac_f32_e32 v122, v114, v193
	v_add_f32_e32 v81, v81, v82
	v_mul_f32_e32 v82, v100, v168
	v_add_f32_e32 v121, v121, v122
	s_waitcnt vmcnt(42)
	v_mul_f32_e32 v122, v115, v196
	v_fma_f32 v82, v99, v179, -v82
	v_fmac_f32_e32 v122, v116, v195
	v_add_f32_e32 v81, v81, v82
	v_mul_f32_e32 v82, v102, v169
	v_add_f32_e32 v121, v121, v122
	s_waitcnt vmcnt(40) lgkmcnt(0)
	v_mul_f32_e32 v122, v117, v198
	v_fma_f32 v82, v101, v180, -v82
	v_fmac_f32_e32 v122, v118, v197
	v_add_f32_e32 v81, v81, v82
	v_mul_f32_e32 v82, v104, v181
	v_add_f32_e32 v125, v121, v122
	ds_read2_b64 v[121:124], v0 offset0:61 offset1:62
	v_fma_f32 v82, v103, v182, -v82
	v_add_f32_e32 v81, v81, v82
	v_mul_f32_e32 v82, v106, v186
	s_waitcnt vmcnt(38)
	v_mul_f32_e32 v126, v119, v200
	v_fma_f32 v82, v105, v185, -v82
	v_fmac_f32_e32 v126, v120, v199
	v_add_f32_e32 v81, v81, v82
	v_mul_f32_e32 v82, v108, v188
	v_add_f32_e32 v129, v125, v126
	ds_read2_b64 v[125:128], v0 offset0:63 offset1:64
	v_fma_f32 v82, v107, v187, -v82
	s_waitcnt vmcnt(36) lgkmcnt(1)
	v_mul_f32_e32 v130, v121, v202
	v_add_f32_e32 v81, v81, v82
	v_mul_f32_e32 v82, v110, v190
	v_fmac_f32_e32 v130, v122, v201
	v_fma_f32 v82, v109, v189, -v82
	v_add_f32_e32 v129, v129, v130
	s_waitcnt vmcnt(34)
	v_mul_f32_e32 v130, v123, v204
	v_add_f32_e32 v81, v81, v82
	v_mul_f32_e32 v82, v112, v192
	v_fmac_f32_e32 v130, v124, v203
	v_fma_f32 v82, v111, v191, -v82
	v_add_f32_e32 v129, v129, v130
	s_waitcnt vmcnt(32) lgkmcnt(0)
	v_mul_f32_e32 v130, v125, v206
	v_add_f32_e32 v81, v81, v82
	v_mul_f32_e32 v82, v114, v194
	v_fmac_f32_e32 v130, v126, v205
	v_fma_f32 v82, v113, v193, -v82
	v_add_f32_e32 v133, v129, v130
	ds_read2_b64 v[129:132], v0 offset0:65 offset1:66
	v_add_f32_e32 v81, v81, v82
	v_mul_f32_e32 v82, v116, v196
	v_fma_f32 v82, v115, v195, -v82
	s_waitcnt vmcnt(30)
	v_mul_f32_e32 v134, v127, v208
	v_add_f32_e32 v81, v81, v82
	v_mul_f32_e32 v82, v118, v198
	v_fmac_f32_e32 v134, v128, v207
	v_fma_f32 v82, v117, v197, -v82
	v_add_f32_e32 v137, v133, v134
	ds_read2_b64 v[133:136], v0 offset0:67 offset1:68
	v_add_f32_e32 v81, v81, v82
	v_mul_f32_e32 v82, v120, v200
	s_waitcnt vmcnt(28) lgkmcnt(1)
	v_mul_f32_e32 v138, v129, v210
	v_fma_f32 v82, v119, v199, -v82
	v_fmac_f32_e32 v138, v130, v209
	v_add_f32_e32 v81, v81, v82
	v_mul_f32_e32 v82, v122, v202
	v_add_f32_e32 v137, v137, v138
	s_waitcnt vmcnt(27)
	v_mul_f32_e32 v138, v131, v211
	v_fma_f32 v82, v121, v201, -v82
	s_waitcnt vmcnt(26)
	v_fmac_f32_e32 v138, v132, v212
	v_add_f32_e32 v81, v81, v82
	v_mul_f32_e32 v82, v124, v204
	v_add_f32_e32 v137, v137, v138
	s_waitcnt vmcnt(24) lgkmcnt(0)
	v_mul_f32_e32 v138, v133, v214
	v_fma_f32 v82, v123, v203, -v82
	v_fmac_f32_e32 v138, v134, v213
	v_add_f32_e32 v81, v81, v82
	v_mul_f32_e32 v82, v126, v206
	v_add_f32_e32 v141, v137, v138
	ds_read2_b64 v[137:140], v0 offset0:69 offset1:70
	v_fma_f32 v82, v125, v205, -v82
	v_add_f32_e32 v81, v81, v82
	v_mul_f32_e32 v82, v128, v208
	s_waitcnt vmcnt(22)
	v_mul_f32_e32 v142, v135, v216
	v_fma_f32 v82, v127, v207, -v82
	v_fmac_f32_e32 v142, v136, v215
	v_add_f32_e32 v81, v81, v82
	v_mul_f32_e32 v82, v130, v210
	v_add_f32_e32 v145, v141, v142
	ds_read2_b64 v[141:144], v0 offset0:71 offset1:72
	v_fma_f32 v82, v129, v209, -v82
	s_waitcnt vmcnt(20) lgkmcnt(1)
	v_mul_f32_e32 v146, v137, v218
	v_add_f32_e32 v81, v81, v82
	v_mul_f32_e32 v82, v132, v211
	v_fmac_f32_e32 v146, v138, v217
	v_fma_f32 v82, v131, v212, -v82
	v_add_f32_e32 v145, v145, v146
	s_waitcnt vmcnt(19)
	v_mul_f32_e32 v146, v139, v219
	v_add_f32_e32 v81, v81, v82
	v_mul_f32_e32 v82, v134, v214
	s_waitcnt vmcnt(18)
	v_fmac_f32_e32 v146, v140, v220
	v_fma_f32 v82, v133, v213, -v82
	v_add_f32_e32 v145, v145, v146
	s_waitcnt vmcnt(16) lgkmcnt(0)
	v_mul_f32_e32 v146, v141, v222
	v_add_f32_e32 v81, v81, v82
	v_mul_f32_e32 v82, v136, v216
	v_fmac_f32_e32 v146, v142, v221
	v_fma_f32 v82, v135, v215, -v82
	v_add_f32_e32 v149, v145, v146
	ds_read2_b64 v[145:148], v0 offset0:73 offset1:74
	v_add_f32_e32 v81, v81, v82
	v_mul_f32_e32 v82, v138, v218
	v_fma_f32 v82, v137, v217, -v82
	s_waitcnt vmcnt(14)
	v_mul_f32_e32 v150, v143, v224
	v_add_f32_e32 v81, v81, v82
	v_mul_f32_e32 v82, v140, v219
	v_fmac_f32_e32 v150, v144, v223
	v_fma_f32 v82, v139, v220, -v82
	v_add_f32_e32 v153, v149, v150
	ds_read2_b64 v[149:152], v0 offset0:75 offset1:76
	v_add_f32_e32 v81, v81, v82
	v_mul_f32_e32 v82, v142, v222
	s_waitcnt vmcnt(12) lgkmcnt(1)
	v_mul_f32_e32 v154, v145, v226
	v_fma_f32 v82, v141, v221, -v82
	v_fmac_f32_e32 v154, v146, v225
	v_add_f32_e32 v81, v81, v82
	v_mul_f32_e32 v82, v144, v224
	v_add_f32_e32 v153, v153, v154
	s_waitcnt vmcnt(11)
	v_mul_f32_e32 v154, v147, v227
	v_fma_f32 v82, v143, v223, -v82
	s_waitcnt vmcnt(10)
	v_fmac_f32_e32 v154, v148, v228
	v_add_f32_e32 v81, v81, v82
	v_mul_f32_e32 v82, v146, v226
	v_add_f32_e32 v153, v153, v154
	s_waitcnt vmcnt(8) lgkmcnt(0)
	v_mul_f32_e32 v154, v149, v230
	v_fma_f32 v82, v145, v225, -v82
	v_fmac_f32_e32 v154, v150, v229
	v_add_f32_e32 v81, v81, v82
	v_mul_f32_e32 v82, v148, v227
	v_add_f32_e32 v157, v153, v154
	ds_read2_b64 v[153:156], v0 offset0:77 offset1:78
	v_fma_f32 v82, v147, v228, -v82
	v_add_f32_e32 v81, v81, v82
	v_mul_f32_e32 v82, v150, v230
	s_waitcnt vmcnt(6)
	v_mul_f32_e32 v158, v151, v232
	v_fma_f32 v82, v149, v229, -v82
	v_fmac_f32_e32 v158, v152, v231
	v_add_f32_e32 v81, v81, v82
	v_mul_f32_e32 v82, v152, v232
	v_add_f32_e32 v239, v157, v158
	ds_read_b64 v[157:158], v0 offset:632
	v_fma_f32 v82, v151, v231, -v82
	v_add_f32_e32 v81, v81, v82
	s_waitcnt vmcnt(4) lgkmcnt(1)
	v_mul_f32_e32 v82, v154, v234
	v_mul_f32_e32 v240, v153, v234
	v_fma_f32 v82, v153, v233, -v82
	v_fmac_f32_e32 v240, v154, v233
	v_add_f32_e32 v81, v81, v82
	s_waitcnt vmcnt(3)
	v_mul_f32_e32 v82, v156, v235
	v_add_f32_e32 v239, v239, v240
	v_mul_f32_e32 v240, v155, v235
	s_waitcnt vmcnt(2)
	v_fma_f32 v82, v155, v236, -v82
	v_fmac_f32_e32 v240, v156, v236
	v_add_f32_e32 v81, v81, v82
	s_waitcnt vmcnt(0) lgkmcnt(0)
	v_mul_f32_e32 v82, v158, v238
	v_add_f32_e32 v239, v239, v240
	v_mul_f32_e32 v240, v157, v238
	v_fma_f32 v82, v157, v237, -v82
	v_fmac_f32_e32 v240, v158, v237
	v_add_f32_e32 v81, v81, v82
	v_add_f32_e32 v239, v239, v240
	v_sub_f32_e32 v81, v183, v81
	v_sub_f32_e32 v82, v184, v239
	buffer_store_dword v81, off, s[0:3], 0
	buffer_store_dword v82, off, s[0:3], 0 offset:4
	s_cbranch_vccz .LBB103_332
; %bb.254:
	global_load_dword v0, v0, s[12:13] offset:152
	s_waitcnt vmcnt(0)
	v_add_u32_e32 v0, -1, v0
	v_cmp_ne_u32_e32 vcc, 38, v0
	s_cbranch_vccz .LBB103_256
; %bb.255:
	v_lshlrev_b32_e32 v0, 3, v0
	buffer_load_dword v81, v0, s[0:3], 0 offen
	buffer_load_dword v82, v0, s[0:3], 0 offen offset:4
	buffer_load_dword v83, off, s[0:3], 0 offset:308
	buffer_load_dword v84, off, s[0:3], 0 offset:304
	s_waitcnt vmcnt(3)
	buffer_store_dword v81, off, s[0:3], 0 offset:304
	s_waitcnt vmcnt(3)
	buffer_store_dword v82, off, s[0:3], 0 offset:308
	s_waitcnt vmcnt(3)
	buffer_store_dword v83, v0, s[0:3], 0 offen offset:4
	s_waitcnt vmcnt(3)
	buffer_store_dword v84, v0, s[0:3], 0 offen
.LBB103_256:
	v_mov_b32_e32 v0, 0
	global_load_dword v81, v0, s[12:13] offset:148
	s_waitcnt vmcnt(0)
	v_add_u32_e32 v81, -1, v81
	v_cmp_eq_u32_e32 vcc, 37, v81
	s_cbranch_vccnz .LBB103_258
; %bb.257:
	v_lshlrev_b32_e32 v81, 3, v81
	buffer_load_dword v82, v81, s[0:3], 0 offen
	buffer_load_dword v83, v81, s[0:3], 0 offen offset:4
	buffer_load_dword v84, off, s[0:3], 0 offset:296
	buffer_load_dword v85, off, s[0:3], 0 offset:300
	s_waitcnt vmcnt(3)
	buffer_store_dword v82, off, s[0:3], 0 offset:296
	s_waitcnt vmcnt(3)
	buffer_store_dword v83, off, s[0:3], 0 offset:300
	s_waitcnt vmcnt(3)
	buffer_store_dword v84, v81, s[0:3], 0 offen
	s_waitcnt vmcnt(3)
	buffer_store_dword v85, v81, s[0:3], 0 offen offset:4
.LBB103_258:
	global_load_dword v0, v0, s[12:13] offset:144
	s_waitcnt vmcnt(0)
	v_add_u32_e32 v0, -1, v0
	v_cmp_eq_u32_e32 vcc, 36, v0
	s_cbranch_vccnz .LBB103_260
; %bb.259:
	v_lshlrev_b32_e32 v0, 3, v0
	buffer_load_dword v81, v0, s[0:3], 0 offen
	buffer_load_dword v82, v0, s[0:3], 0 offen offset:4
	buffer_load_dword v83, off, s[0:3], 0 offset:292
	buffer_load_dword v84, off, s[0:3], 0 offset:288
	s_waitcnt vmcnt(3)
	buffer_store_dword v81, off, s[0:3], 0 offset:288
	s_waitcnt vmcnt(3)
	buffer_store_dword v82, off, s[0:3], 0 offset:292
	s_waitcnt vmcnt(3)
	buffer_store_dword v83, v0, s[0:3], 0 offen offset:4
	s_waitcnt vmcnt(3)
	buffer_store_dword v84, v0, s[0:3], 0 offen
.LBB103_260:
	v_mov_b32_e32 v0, 0
	global_load_dword v81, v0, s[12:13] offset:140
	s_waitcnt vmcnt(0)
	v_add_u32_e32 v81, -1, v81
	v_cmp_eq_u32_e32 vcc, 35, v81
	s_cbranch_vccnz .LBB103_262
; %bb.261:
	v_lshlrev_b32_e32 v81, 3, v81
	buffer_load_dword v82, v81, s[0:3], 0 offen
	buffer_load_dword v83, v81, s[0:3], 0 offen offset:4
	buffer_load_dword v84, off, s[0:3], 0 offset:280
	buffer_load_dword v85, off, s[0:3], 0 offset:284
	s_waitcnt vmcnt(3)
	buffer_store_dword v82, off, s[0:3], 0 offset:280
	s_waitcnt vmcnt(3)
	buffer_store_dword v83, off, s[0:3], 0 offset:284
	s_waitcnt vmcnt(3)
	buffer_store_dword v84, v81, s[0:3], 0 offen
	s_waitcnt vmcnt(3)
	buffer_store_dword v85, v81, s[0:3], 0 offen offset:4
.LBB103_262:
	global_load_dword v0, v0, s[12:13] offset:136
	s_waitcnt vmcnt(0)
	v_add_u32_e32 v0, -1, v0
	v_cmp_eq_u32_e32 vcc, 34, v0
	s_cbranch_vccnz .LBB103_264
; %bb.263:
	v_lshlrev_b32_e32 v0, 3, v0
	buffer_load_dword v81, v0, s[0:3], 0 offen
	buffer_load_dword v82, v0, s[0:3], 0 offen offset:4
	buffer_load_dword v83, off, s[0:3], 0 offset:276
	buffer_load_dword v84, off, s[0:3], 0 offset:272
	s_waitcnt vmcnt(3)
	buffer_store_dword v81, off, s[0:3], 0 offset:272
	s_waitcnt vmcnt(3)
	buffer_store_dword v82, off, s[0:3], 0 offset:276
	s_waitcnt vmcnt(3)
	buffer_store_dword v83, v0, s[0:3], 0 offen offset:4
	s_waitcnt vmcnt(3)
	buffer_store_dword v84, v0, s[0:3], 0 offen
.LBB103_264:
	;; [unrolled: 41-line block ×18, first 2 shown]
	v_mov_b32_e32 v0, 0
	global_load_dword v81, v0, s[12:13] offset:4
	s_waitcnt vmcnt(0)
	v_add_u32_e32 v81, -1, v81
	v_cmp_eq_u32_e32 vcc, 1, v81
	s_cbranch_vccnz .LBB103_330
; %bb.329:
	v_lshlrev_b32_e32 v81, 3, v81
	buffer_load_dword v82, v81, s[0:3], 0 offen
	buffer_load_dword v83, v81, s[0:3], 0 offen offset:4
	buffer_load_dword v84, off, s[0:3], 0 offset:8
	buffer_load_dword v85, off, s[0:3], 0 offset:12
	s_waitcnt vmcnt(3)
	buffer_store_dword v82, off, s[0:3], 0 offset:8
	s_waitcnt vmcnt(3)
	buffer_store_dword v83, off, s[0:3], 0 offset:12
	s_waitcnt vmcnt(3)
	buffer_store_dword v84, v81, s[0:3], 0 offen
	s_waitcnt vmcnt(3)
	buffer_store_dword v85, v81, s[0:3], 0 offen offset:4
.LBB103_330:
	global_load_dword v0, v0, s[12:13]
	s_waitcnt vmcnt(0)
	v_add_u32_e32 v0, -1, v0
	v_cmp_eq_u32_e32 vcc, 0, v0
	s_cbranch_vccnz .LBB103_332
; %bb.331:
	v_lshlrev_b32_e32 v0, 3, v0
	buffer_load_dword v81, v0, s[0:3], 0 offen
	buffer_load_dword v82, v0, s[0:3], 0 offen offset:4
	buffer_load_dword v83, off, s[0:3], 0 offset:4
	buffer_load_dword v84, off, s[0:3], 0
	s_waitcnt vmcnt(3)
	buffer_store_dword v81, off, s[0:3], 0
	s_waitcnt vmcnt(3)
	buffer_store_dword v82, off, s[0:3], 0 offset:4
	s_waitcnt vmcnt(3)
	buffer_store_dword v83, v0, s[0:3], 0 offen offset:4
	s_waitcnt vmcnt(3)
	buffer_store_dword v84, v0, s[0:3], 0 offen
.LBB103_332:
	buffer_load_dword v81, off, s[0:3], 0
	buffer_load_dword v82, off, s[0:3], 0 offset:4
	s_waitcnt vmcnt(0)
	flat_store_dwordx2 v[1:2], v[81:82]
	buffer_load_dword v0, off, s[0:3], 0 offset:8
	s_nop 0
	buffer_load_dword v1, off, s[0:3], 0 offset:12
	s_waitcnt vmcnt(0)
	flat_store_dwordx2 v[3:4], v[0:1]
	buffer_load_dword v0, off, s[0:3], 0 offset:16
	s_nop 0
	;; [unrolled: 5-line block ×39, first 2 shown]
	buffer_load_dword v1, off, s[0:3], 0 offset:316
	s_waitcnt vmcnt(0)
	flat_store_dwordx2 v[79:80], v[0:1]
	s_endpgm
	.section	.rodata,"a",@progbits
	.p2align	6, 0x0
	.amdhsa_kernel _ZN9rocsolver6v33100L18getri_kernel_smallILi40E19rocblas_complex_numIfEPKPS3_EEvT1_iilPiilS8_bb
		.amdhsa_group_segment_fixed_size 644
		.amdhsa_private_segment_fixed_size 336
		.amdhsa_kernarg_size 60
		.amdhsa_user_sgpr_count 6
		.amdhsa_user_sgpr_private_segment_buffer 1
		.amdhsa_user_sgpr_dispatch_ptr 0
		.amdhsa_user_sgpr_queue_ptr 0
		.amdhsa_user_sgpr_kernarg_segment_ptr 1
		.amdhsa_user_sgpr_dispatch_id 0
		.amdhsa_user_sgpr_flat_scratch_init 0
		.amdhsa_user_sgpr_private_segment_size 0
		.amdhsa_uses_dynamic_stack 0
		.amdhsa_system_sgpr_private_segment_wavefront_offset 1
		.amdhsa_system_sgpr_workgroup_id_x 1
		.amdhsa_system_sgpr_workgroup_id_y 0
		.amdhsa_system_sgpr_workgroup_id_z 0
		.amdhsa_system_sgpr_workgroup_info 0
		.amdhsa_system_vgpr_workitem_id 0
		.amdhsa_next_free_vgpr 241
		.amdhsa_next_free_sgpr 21
		.amdhsa_reserve_vcc 1
		.amdhsa_reserve_flat_scratch 0
		.amdhsa_float_round_mode_32 0
		.amdhsa_float_round_mode_16_64 0
		.amdhsa_float_denorm_mode_32 3
		.amdhsa_float_denorm_mode_16_64 3
		.amdhsa_dx10_clamp 1
		.amdhsa_ieee_mode 1
		.amdhsa_fp16_overflow 0
		.amdhsa_exception_fp_ieee_invalid_op 0
		.amdhsa_exception_fp_denorm_src 0
		.amdhsa_exception_fp_ieee_div_zero 0
		.amdhsa_exception_fp_ieee_overflow 0
		.amdhsa_exception_fp_ieee_underflow 0
		.amdhsa_exception_fp_ieee_inexact 0
		.amdhsa_exception_int_div_zero 0
	.end_amdhsa_kernel
	.section	.text._ZN9rocsolver6v33100L18getri_kernel_smallILi40E19rocblas_complex_numIfEPKPS3_EEvT1_iilPiilS8_bb,"axG",@progbits,_ZN9rocsolver6v33100L18getri_kernel_smallILi40E19rocblas_complex_numIfEPKPS3_EEvT1_iilPiilS8_bb,comdat
.Lfunc_end103:
	.size	_ZN9rocsolver6v33100L18getri_kernel_smallILi40E19rocblas_complex_numIfEPKPS3_EEvT1_iilPiilS8_bb, .Lfunc_end103-_ZN9rocsolver6v33100L18getri_kernel_smallILi40E19rocblas_complex_numIfEPKPS3_EEvT1_iilPiilS8_bb
                                        ; -- End function
	.set _ZN9rocsolver6v33100L18getri_kernel_smallILi40E19rocblas_complex_numIfEPKPS3_EEvT1_iilPiilS8_bb.num_vgpr, 241
	.set _ZN9rocsolver6v33100L18getri_kernel_smallILi40E19rocblas_complex_numIfEPKPS3_EEvT1_iilPiilS8_bb.num_agpr, 0
	.set _ZN9rocsolver6v33100L18getri_kernel_smallILi40E19rocblas_complex_numIfEPKPS3_EEvT1_iilPiilS8_bb.numbered_sgpr, 21
	.set _ZN9rocsolver6v33100L18getri_kernel_smallILi40E19rocblas_complex_numIfEPKPS3_EEvT1_iilPiilS8_bb.num_named_barrier, 0
	.set _ZN9rocsolver6v33100L18getri_kernel_smallILi40E19rocblas_complex_numIfEPKPS3_EEvT1_iilPiilS8_bb.private_seg_size, 336
	.set _ZN9rocsolver6v33100L18getri_kernel_smallILi40E19rocblas_complex_numIfEPKPS3_EEvT1_iilPiilS8_bb.uses_vcc, 1
	.set _ZN9rocsolver6v33100L18getri_kernel_smallILi40E19rocblas_complex_numIfEPKPS3_EEvT1_iilPiilS8_bb.uses_flat_scratch, 0
	.set _ZN9rocsolver6v33100L18getri_kernel_smallILi40E19rocblas_complex_numIfEPKPS3_EEvT1_iilPiilS8_bb.has_dyn_sized_stack, 0
	.set _ZN9rocsolver6v33100L18getri_kernel_smallILi40E19rocblas_complex_numIfEPKPS3_EEvT1_iilPiilS8_bb.has_recursion, 0
	.set _ZN9rocsolver6v33100L18getri_kernel_smallILi40E19rocblas_complex_numIfEPKPS3_EEvT1_iilPiilS8_bb.has_indirect_call, 0
	.section	.AMDGPU.csdata,"",@progbits
; Kernel info:
; codeLenInByte = 64176
; TotalNumSgprs: 25
; NumVgprs: 241
; ScratchSize: 336
; MemoryBound: 0
; FloatMode: 240
; IeeeMode: 1
; LDSByteSize: 644 bytes/workgroup (compile time only)
; SGPRBlocks: 3
; VGPRBlocks: 60
; NumSGPRsForWavesPerEU: 25
; NumVGPRsForWavesPerEU: 241
; Occupancy: 1
; WaveLimiterHint : 1
; COMPUTE_PGM_RSRC2:SCRATCH_EN: 1
; COMPUTE_PGM_RSRC2:USER_SGPR: 6
; COMPUTE_PGM_RSRC2:TRAP_HANDLER: 0
; COMPUTE_PGM_RSRC2:TGID_X_EN: 1
; COMPUTE_PGM_RSRC2:TGID_Y_EN: 0
; COMPUTE_PGM_RSRC2:TGID_Z_EN: 0
; COMPUTE_PGM_RSRC2:TIDIG_COMP_CNT: 0
	.section	.text._ZN9rocsolver6v33100L18getri_kernel_smallILi41E19rocblas_complex_numIfEPKPS3_EEvT1_iilPiilS8_bb,"axG",@progbits,_ZN9rocsolver6v33100L18getri_kernel_smallILi41E19rocblas_complex_numIfEPKPS3_EEvT1_iilPiilS8_bb,comdat
	.globl	_ZN9rocsolver6v33100L18getri_kernel_smallILi41E19rocblas_complex_numIfEPKPS3_EEvT1_iilPiilS8_bb ; -- Begin function _ZN9rocsolver6v33100L18getri_kernel_smallILi41E19rocblas_complex_numIfEPKPS3_EEvT1_iilPiilS8_bb
	.p2align	8
	.type	_ZN9rocsolver6v33100L18getri_kernel_smallILi41E19rocblas_complex_numIfEPKPS3_EEvT1_iilPiilS8_bb,@function
_ZN9rocsolver6v33100L18getri_kernel_smallILi41E19rocblas_complex_numIfEPKPS3_EEvT1_iilPiilS8_bb: ; @_ZN9rocsolver6v33100L18getri_kernel_smallILi41E19rocblas_complex_numIfEPKPS3_EEvT1_iilPiilS8_bb
; %bb.0:
	s_add_u32 s0, s0, s7
	s_addc_u32 s1, s1, 0
	v_cmp_gt_u32_e32 vcc, 41, v0
	s_and_saveexec_b64 s[8:9], vcc
	s_cbranch_execz .LBB104_178
; %bb.1:
	s_load_dword s18, s[4:5], 0x38
	s_load_dwordx2 s[12:13], s[4:5], 0x0
	s_load_dwordx4 s[8:11], s[4:5], 0x28
	s_waitcnt lgkmcnt(0)
	s_bitcmp1_b32 s18, 8
	s_cselect_b64 s[14:15], -1, 0
	s_ashr_i32 s7, s6, 31
	s_lshl_b64 s[16:17], s[6:7], 3
	s_add_u32 s12, s12, s16
	s_addc_u32 s13, s13, s17
	s_load_dwordx2 s[16:17], s[12:13], 0x0
	s_bfe_u32 s12, s18, 0x10008
	s_cmp_eq_u32 s12, 0
                                        ; implicit-def: $sgpr12_sgpr13
	s_cbranch_scc1 .LBB104_3
; %bb.2:
	s_load_dword s12, s[4:5], 0x20
	s_load_dwordx2 s[18:19], s[4:5], 0x18
	s_mul_i32 s13, s8, s7
	s_mul_hi_u32 s20, s8, s6
	s_add_i32 s20, s20, s13
	s_mul_i32 s9, s9, s6
	s_add_i32 s9, s20, s9
	s_mul_i32 s8, s8, s6
	s_waitcnt lgkmcnt(0)
	s_ashr_i32 s13, s12, 31
	s_lshl_b64 s[8:9], s[8:9], 2
	s_add_u32 s18, s18, s8
	s_addc_u32 s19, s19, s9
	s_lshl_b64 s[8:9], s[12:13], 2
	s_add_u32 s12, s18, s8
	s_addc_u32 s13, s19, s9
.LBB104_3:
	s_load_dwordx2 s[8:9], s[4:5], 0x8
	s_load_dword s18, s[4:5], 0x38
	v_lshlrev_b32_e32 v85, 3, v0
	s_waitcnt lgkmcnt(0)
	s_ashr_i32 s5, s8, 31
	s_mov_b32 s4, s8
	s_lshl_b64 s[4:5], s[4:5], 3
	s_add_u32 s4, s16, s4
	s_addc_u32 s5, s17, s5
	v_mov_b32_e32 v2, s5
	v_add_co_u32_e32 v1, vcc, s4, v85
	v_addc_co_u32_e32 v2, vcc, 0, v2, vcc
	flat_load_dwordx2 v[5:6], v[1:2]
	s_mov_b32 s16, s9
	s_ashr_i32 s17, s9, 31
	s_lshl_b64 s[16:17], s[16:17], 3
	v_mov_b32_e32 v4, s17
	v_add_co_u32_e32 v3, vcc, s16, v1
	v_addc_co_u32_e32 v4, vcc, v2, v4, vcc
	s_add_i32 s8, s9, s9
	v_add_u32_e32 v9, s8, v0
	v_ashrrev_i32_e32 v10, 31, v9
	v_mov_b32_e32 v11, s5
	v_add_u32_e32 v12, s9, v9
	v_ashrrev_i32_e32 v13, 31, v12
	v_mov_b32_e32 v14, s5
	v_mov_b32_e32 v15, s5
	;; [unrolled: 1-line block ×37, first 2 shown]
	s_bitcmp0_b32 s18, 0
	s_waitcnt vmcnt(0) lgkmcnt(0)
	buffer_store_dword v6, off, s[0:3], 0 offset:4
	buffer_store_dword v5, off, s[0:3], 0
	flat_load_dwordx2 v[7:8], v[3:4]
	v_lshlrev_b64 v[5:6], 3, v[9:10]
	s_waitcnt vmcnt(0) lgkmcnt(0)
	buffer_store_dword v8, off, s[0:3], 0 offset:12
	buffer_store_dword v7, off, s[0:3], 0 offset:8
	v_add_co_u32_e32 v5, vcc, s4, v5
	v_addc_co_u32_e32 v6, vcc, v11, v6, vcc
	flat_load_dwordx2 v[10:11], v[5:6]
	v_lshlrev_b64 v[7:8], 3, v[12:13]
	s_waitcnt vmcnt(0) lgkmcnt(0)
	buffer_store_dword v11, off, s[0:3], 0 offset:20
	buffer_store_dword v10, off, s[0:3], 0 offset:16
	v_add_co_u32_e32 v7, vcc, s4, v7
	v_addc_co_u32_e32 v8, vcc, v14, v8, vcc
	flat_load_dwordx2 v[13:14], v[7:8]
	v_add_u32_e32 v11, s9, v12
	v_ashrrev_i32_e32 v12, 31, v11
	v_lshlrev_b64 v[9:10], 3, v[11:12]
	s_waitcnt vmcnt(0) lgkmcnt(0)
	buffer_store_dword v14, off, s[0:3], 0 offset:28
	buffer_store_dword v13, off, s[0:3], 0 offset:24
	v_add_co_u32_e32 v9, vcc, s4, v9
	v_addc_co_u32_e32 v10, vcc, v15, v10, vcc
	flat_load_dwordx2 v[13:14], v[9:10]
	v_add_u32_e32 v15, s9, v11
	v_ashrrev_i32_e32 v16, 31, v15
	v_lshlrev_b64 v[11:12], 3, v[15:16]
	v_add_u32_e32 v18, s9, v15
	v_add_co_u32_e32 v11, vcc, s4, v11
	v_addc_co_u32_e32 v12, vcc, v17, v12, vcc
	v_ashrrev_i32_e32 v19, 31, v18
	s_waitcnt vmcnt(0) lgkmcnt(0)
	buffer_store_dword v14, off, s[0:3], 0 offset:36
	buffer_store_dword v13, off, s[0:3], 0 offset:32
	flat_load_dwordx2 v[16:17], v[11:12]
	v_lshlrev_b64 v[13:14], 3, v[18:19]
	s_waitcnt vmcnt(0) lgkmcnt(0)
	buffer_store_dword v17, off, s[0:3], 0 offset:44
	buffer_store_dword v16, off, s[0:3], 0 offset:40
	v_add_co_u32_e32 v13, vcc, s4, v13
	v_addc_co_u32_e32 v14, vcc, v20, v14, vcc
	flat_load_dwordx2 v[19:20], v[13:14]
	v_add_u32_e32 v17, s9, v18
	v_ashrrev_i32_e32 v18, 31, v17
	v_lshlrev_b64 v[15:16], 3, v[17:18]
	s_waitcnt vmcnt(0) lgkmcnt(0)
	buffer_store_dword v20, off, s[0:3], 0 offset:52
	buffer_store_dword v19, off, s[0:3], 0 offset:48
	v_add_co_u32_e32 v15, vcc, s4, v15
	v_addc_co_u32_e32 v16, vcc, v21, v16, vcc
	flat_load_dwordx2 v[19:20], v[15:16]
	v_add_u32_e32 v21, s9, v17
	v_ashrrev_i32_e32 v22, 31, v21
	v_lshlrev_b64 v[17:18], 3, v[21:22]
	v_add_u32_e32 v24, s9, v21
	v_add_co_u32_e32 v17, vcc, s4, v17
	v_addc_co_u32_e32 v18, vcc, v23, v18, vcc
	v_ashrrev_i32_e32 v25, 31, v24
	s_waitcnt vmcnt(0) lgkmcnt(0)
	buffer_store_dword v20, off, s[0:3], 0 offset:60
	buffer_store_dword v19, off, s[0:3], 0 offset:56
	;; [unrolled: 27-line block ×7, first 2 shown]
	flat_load_dwordx2 v[52:53], v[47:48]
	v_lshlrev_b64 v[49:50], 3, v[54:55]
	s_waitcnt vmcnt(0) lgkmcnt(0)
	buffer_store_dword v53, off, s[0:3], 0 offset:188
	buffer_store_dword v52, off, s[0:3], 0 offset:184
	v_add_co_u32_e32 v49, vcc, s4, v49
	v_addc_co_u32_e32 v50, vcc, v56, v50, vcc
	flat_load_dwordx2 v[55:56], v[49:50]
	v_add_u32_e32 v53, s9, v54
	v_ashrrev_i32_e32 v54, 31, v53
	v_lshlrev_b64 v[51:52], 3, v[53:54]
	s_waitcnt vmcnt(0) lgkmcnt(0)
	buffer_store_dword v56, off, s[0:3], 0 offset:196
	buffer_store_dword v55, off, s[0:3], 0 offset:192
	v_add_co_u32_e32 v51, vcc, s4, v51
	v_addc_co_u32_e32 v52, vcc, v57, v52, vcc
	flat_load_dwordx2 v[55:56], v[51:52]
	v_add_u32_e32 v57, s9, v53
	v_ashrrev_i32_e32 v58, 31, v57
	v_lshlrev_b64 v[53:54], 3, v[57:58]
	v_add_u32_e32 v60, s9, v57
	v_add_co_u32_e32 v53, vcc, s4, v53
	v_addc_co_u32_e32 v54, vcc, v59, v54, vcc
	s_waitcnt vmcnt(0) lgkmcnt(0)
	buffer_store_dword v56, off, s[0:3], 0 offset:204
	buffer_store_dword v55, off, s[0:3], 0 offset:200
	flat_load_dwordx2 v[58:59], v[53:54]
	v_ashrrev_i32_e32 v61, 31, v60
	v_lshlrev_b64 v[55:56], 3, v[60:61]
	s_waitcnt vmcnt(0) lgkmcnt(0)
	buffer_store_dword v59, off, s[0:3], 0 offset:212
	buffer_store_dword v58, off, s[0:3], 0 offset:208
	v_add_co_u32_e32 v55, vcc, s4, v55
	v_addc_co_u32_e32 v56, vcc, v62, v56, vcc
	flat_load_dwordx2 v[61:62], v[55:56]
	v_add_u32_e32 v59, s9, v60
	v_ashrrev_i32_e32 v60, 31, v59
	v_lshlrev_b64 v[57:58], 3, v[59:60]
	s_waitcnt vmcnt(0) lgkmcnt(0)
	buffer_store_dword v62, off, s[0:3], 0 offset:220
	buffer_store_dword v61, off, s[0:3], 0 offset:216
	v_add_co_u32_e32 v57, vcc, s4, v57
	v_addc_co_u32_e32 v58, vcc, v63, v58, vcc
	flat_load_dwordx2 v[61:62], v[57:58]
	v_add_u32_e32 v63, s9, v59
	;; [unrolled: 9-line block ×13, first 2 shown]
	v_ashrrev_i32_e32 v82, 31, v81
	v_lshlrev_b64 v[81:82], 3, v[81:82]
	v_mov_b32_e32 v87, s5
	v_add_co_u32_e32 v81, vcc, s4, v81
	v_addc_co_u32_e32 v82, vcc, v87, v82, vcc
	s_waitcnt vmcnt(0) lgkmcnt(0)
	buffer_store_dword v84, off, s[0:3], 0 offset:316
	buffer_store_dword v83, off, s[0:3], 0 offset:312
	flat_load_dwordx2 v[83:84], v[81:82]
	s_mov_b64 s[8:9], -1
	s_waitcnt vmcnt(0) lgkmcnt(0)
	buffer_store_dword v84, off, s[0:3], 0 offset:324
	buffer_store_dword v83, off, s[0:3], 0 offset:320
	s_cbranch_scc1 .LBB104_176
; %bb.4:
	v_cmp_eq_u32_e64 s[4:5], 0, v0
	s_and_saveexec_b64 s[8:9], s[4:5]
; %bb.5:
	v_mov_b32_e32 v83, 0
	ds_write_b32 v83, v83 offset:328
; %bb.6:
	s_or_b64 exec, exec, s[8:9]
	v_mov_b32_e32 v83, 0
	v_lshl_add_u32 v87, v0, 3, v83
	s_waitcnt lgkmcnt(0)
	; wave barrier
	buffer_load_dword v83, v87, s[0:3], 0 offen
	buffer_load_dword v84, v87, s[0:3], 0 offen offset:4
	s_waitcnt vmcnt(1)
	v_cmp_eq_f32_e32 vcc, 0, v83
	s_waitcnt vmcnt(0)
	v_cmp_eq_f32_e64 s[8:9], 0, v84
	s_and_b64 s[8:9], vcc, s[8:9]
	s_and_saveexec_b64 s[16:17], s[8:9]
	s_cbranch_execz .LBB104_10
; %bb.7:
	v_mov_b32_e32 v83, 0
	ds_read_b32 v86, v83 offset:328
	v_add_u32_e32 v84, 1, v0
	s_waitcnt lgkmcnt(0)
	v_readfirstlane_b32 s8, v86
	s_cmp_eq_u32 s8, 0
	s_cselect_b64 s[18:19], -1, 0
	v_cmp_gt_i32_e32 vcc, s8, v84
	s_or_b64 s[18:19], s[18:19], vcc
	s_and_b64 exec, exec, s[18:19]
	s_cbranch_execz .LBB104_10
; %bb.8:
	s_mov_b64 s[18:19], 0
	v_mov_b32_e32 v86, s8
.LBB104_9:                              ; =>This Inner Loop Header: Depth=1
	ds_cmpst_rtn_b32 v86, v83, v86, v84 offset:328
	s_waitcnt lgkmcnt(0)
	v_cmp_ne_u32_e32 vcc, 0, v86
	v_cmp_le_i32_e64 s[8:9], v86, v84
	s_and_b64 s[8:9], vcc, s[8:9]
	s_and_b64 s[8:9], exec, s[8:9]
	s_or_b64 s[18:19], s[8:9], s[18:19]
	s_andn2_b64 exec, exec, s[18:19]
	s_cbranch_execnz .LBB104_9
.LBB104_10:
	s_or_b64 exec, exec, s[16:17]
	v_mov_b32_e32 v84, 0
	; wave barrier
	ds_read_b32 v83, v84 offset:328
	s_and_saveexec_b64 s[8:9], s[4:5]
	s_cbranch_execz .LBB104_12
; %bb.11:
	s_lshl_b64 s[16:17], s[6:7], 2
	s_add_u32 s16, s10, s16
	s_addc_u32 s17, s11, s17
	s_waitcnt lgkmcnt(0)
	global_store_dword v84, v83, s[16:17]
.LBB104_12:
	s_or_b64 exec, exec, s[8:9]
	s_waitcnt lgkmcnt(0)
	v_cmp_ne_u32_e32 vcc, 0, v83
	s_mov_b64 s[8:9], 0
	s_cbranch_vccnz .LBB104_176
; %bb.13:
	buffer_load_dword v84, v87, s[0:3], 0 offen
	buffer_load_dword v86, v87, s[0:3], 0 offen offset:4
                                        ; implicit-def: $vgpr89
                                        ; implicit-def: $vgpr88
                                        ; implicit-def: $vgpr83
	s_waitcnt vmcnt(0)
	v_cmp_ngt_f32_e64 s[8:9], |v84|, |v86|
	s_and_saveexec_b64 s[16:17], s[8:9]
	s_xor_b64 s[8:9], exec, s[16:17]
	s_cbranch_execz .LBB104_15
; %bb.14:
	v_div_scale_f32 v83, s[16:17], v86, v86, v84
	v_div_scale_f32 v88, vcc, v84, v86, v84
	v_rcp_f32_e32 v89, v83
	v_fma_f32 v90, -v83, v89, 1.0
	v_fmac_f32_e32 v89, v90, v89
	v_mul_f32_e32 v90, v88, v89
	v_fma_f32 v91, -v83, v90, v88
	v_fmac_f32_e32 v90, v91, v89
	v_fma_f32 v83, -v83, v90, v88
	v_div_fmas_f32 v83, v83, v89, v90
	v_div_fixup_f32 v83, v83, v86, v84
	v_fmac_f32_e32 v86, v84, v83
	v_div_scale_f32 v84, s[16:17], v86, v86, 1.0
	v_div_scale_f32 v88, vcc, 1.0, v86, 1.0
	v_rcp_f32_e32 v89, v84
	v_fma_f32 v90, -v84, v89, 1.0
	v_fmac_f32_e32 v89, v90, v89
	v_mul_f32_e32 v90, v88, v89
	v_fma_f32 v91, -v84, v90, v88
	v_fmac_f32_e32 v90, v91, v89
	v_fma_f32 v84, -v84, v90, v88
	v_div_fmas_f32 v84, v84, v89, v90
	v_div_fixup_f32 v84, v84, v86, 1.0
	v_mul_f32_e32 v89, v83, v84
	v_xor_b32_e32 v88, 0x80000000, v84
	v_xor_b32_e32 v83, 0x80000000, v89
                                        ; implicit-def: $vgpr84
                                        ; implicit-def: $vgpr86
.LBB104_15:
	s_andn2_saveexec_b64 s[8:9], s[8:9]
	s_cbranch_execz .LBB104_17
; %bb.16:
	v_div_scale_f32 v83, s[16:17], v84, v84, v86
	v_div_scale_f32 v88, vcc, v86, v84, v86
	v_rcp_f32_e32 v89, v83
	v_fma_f32 v90, -v83, v89, 1.0
	v_fmac_f32_e32 v89, v90, v89
	v_mul_f32_e32 v90, v88, v89
	v_fma_f32 v91, -v83, v90, v88
	v_fmac_f32_e32 v90, v91, v89
	v_fma_f32 v83, -v83, v90, v88
	v_div_fmas_f32 v83, v83, v89, v90
	v_div_fixup_f32 v88, v83, v84, v86
	v_fmac_f32_e32 v84, v86, v88
	v_div_scale_f32 v83, s[16:17], v84, v84, 1.0
	v_div_scale_f32 v86, vcc, 1.0, v84, 1.0
	v_rcp_f32_e32 v89, v83
	v_fma_f32 v90, -v83, v89, 1.0
	v_fmac_f32_e32 v89, v90, v89
	v_mul_f32_e32 v90, v86, v89
	v_fma_f32 v91, -v83, v90, v86
	v_fmac_f32_e32 v90, v91, v89
	v_fma_f32 v83, -v83, v90, v86
	v_div_fmas_f32 v83, v83, v89, v90
	v_div_fixup_f32 v89, v83, v84, 1.0
	v_xor_b32_e32 v83, 0x80000000, v89
	v_mul_f32_e64 v88, v88, -v89
.LBB104_17:
	s_or_b64 exec, exec, s[8:9]
	buffer_store_dword v89, v87, s[0:3], 0 offen
	buffer_store_dword v88, v87, s[0:3], 0 offen offset:4
	buffer_load_dword v90, off, s[0:3], 0 offset:12
	s_nop 0
	buffer_load_dword v89, off, s[0:3], 0 offset:8
	v_xor_b32_e32 v84, 0x80000000, v88
	v_add_u32_e32 v86, 0x150, v85
	s_waitcnt vmcnt(0)
	ds_write2_b64 v85, v[83:84], v[89:90] offset1:42
	s_waitcnt lgkmcnt(0)
	; wave barrier
	s_and_saveexec_b64 s[8:9], s[4:5]
	s_cbranch_execz .LBB104_19
; %bb.18:
	buffer_load_dword v90, v87, s[0:3], 0 offen offset:4
	buffer_load_dword v91, v87, s[0:3], 0 offen
	ds_read_b64 v[83:84], v86
	v_mov_b32_e32 v88, 0
	ds_read_b64 v[88:89], v88 offset:8
	s_waitcnt vmcnt(1) lgkmcnt(1)
	v_mul_f32_e32 v92, v84, v90
	v_mul_f32_e32 v90, v83, v90
	s_waitcnt vmcnt(0)
	v_fmac_f32_e32 v90, v84, v91
	v_fma_f32 v83, v83, v91, -v92
	v_add_f32_e32 v84, 0, v90
	v_add_f32_e32 v83, 0, v83
	s_waitcnt lgkmcnt(0)
	v_mul_f32_e32 v90, v84, v89
	v_mul_f32_e32 v89, v83, v89
	v_fma_f32 v83, v83, v88, -v90
	v_fmac_f32_e32 v89, v84, v88
	buffer_store_dword v83, off, s[0:3], 0 offset:8
	buffer_store_dword v89, off, s[0:3], 0 offset:12
.LBB104_19:
	s_or_b64 exec, exec, s[8:9]
	; wave barrier
	buffer_load_dword v83, off, s[0:3], 0 offset:16
	buffer_load_dword v84, off, s[0:3], 0 offset:20
	v_cmp_gt_u32_e32 vcc, 2, v0
	s_waitcnt vmcnt(0)
	ds_write_b64 v86, v[83:84]
	s_waitcnt lgkmcnt(0)
	; wave barrier
	s_and_saveexec_b64 s[8:9], vcc
	s_cbranch_execz .LBB104_23
; %bb.20:
	buffer_load_dword v88, v87, s[0:3], 0 offen offset:4
	buffer_load_dword v89, v87, s[0:3], 0 offen
	ds_read_b64 v[83:84], v86
	s_waitcnt vmcnt(1) lgkmcnt(0)
	v_mul_f32_e32 v87, v84, v88
	v_mul_f32_e32 v88, v83, v88
	s_waitcnt vmcnt(0)
	v_fma_f32 v83, v83, v89, -v87
	v_fmac_f32_e32 v88, v84, v89
	v_add_f32_e32 v84, 0, v83
	v_add_f32_e32 v83, 0, v88
	s_and_saveexec_b64 s[16:17], s[4:5]
	s_cbranch_execz .LBB104_22
; %bb.21:
	buffer_load_dword v89, off, s[0:3], 0 offset:12
	buffer_load_dword v90, off, s[0:3], 0 offset:8
	v_mov_b32_e32 v87, 0
	ds_read_b64 v[87:88], v87 offset:344
	s_waitcnt vmcnt(1) lgkmcnt(0)
	v_mul_f32_e32 v91, v87, v89
	v_mul_f32_e32 v89, v88, v89
	s_waitcnt vmcnt(0)
	v_fmac_f32_e32 v91, v88, v90
	v_fma_f32 v87, v87, v90, -v89
	v_add_f32_e32 v83, v83, v91
	v_add_f32_e32 v84, v84, v87
.LBB104_22:
	s_or_b64 exec, exec, s[16:17]
	v_mov_b32_e32 v87, 0
	ds_read_b64 v[87:88], v87 offset:16
	s_waitcnt lgkmcnt(0)
	v_mul_f32_e32 v89, v83, v88
	v_mul_f32_e32 v88, v84, v88
	v_fma_f32 v84, v84, v87, -v89
	v_fmac_f32_e32 v88, v83, v87
	buffer_store_dword v84, off, s[0:3], 0 offset:16
	buffer_store_dword v88, off, s[0:3], 0 offset:20
.LBB104_23:
	s_or_b64 exec, exec, s[8:9]
	; wave barrier
	buffer_load_dword v83, off, s[0:3], 0 offset:24
	buffer_load_dword v84, off, s[0:3], 0 offset:28
	v_cmp_gt_u32_e32 vcc, 3, v0
	s_waitcnt vmcnt(0)
	ds_write_b64 v86, v[83:84]
	v_add_u32_e32 v83, -1, v0
	s_waitcnt lgkmcnt(0)
	; wave barrier
	s_and_saveexec_b64 s[4:5], vcc
	s_cbranch_execz .LBB104_27
; %bb.24:
	v_add_u32_e32 v87, -1, v0
	v_add_u32_e32 v88, 0x150, v85
	v_mov_b32_e32 v89, v85
	v_mov_b32_e32 v84, 0
	s_mov_b64 s[8:9], 0
	v_mov_b32_e32 v90, 0
.LBB104_25:                             ; =>This Inner Loop Header: Depth=1
	buffer_load_dword v93, v89, s[0:3], 0 offen offset:4
	buffer_load_dword v94, v89, s[0:3], 0 offen
	ds_read_b64 v[91:92], v88
	v_add_u32_e32 v87, 1, v87
	v_cmp_lt_u32_e32 vcc, 1, v87
	v_add_u32_e32 v88, 8, v88
	v_add_u32_e32 v89, 8, v89
	s_or_b64 s[8:9], vcc, s[8:9]
	s_waitcnt vmcnt(1) lgkmcnt(0)
	v_mul_f32_e32 v95, v92, v93
	v_mul_f32_e32 v93, v91, v93
	s_waitcnt vmcnt(0)
	v_fma_f32 v91, v91, v94, -v95
	v_fmac_f32_e32 v93, v92, v94
	v_add_f32_e32 v90, v90, v91
	v_add_f32_e32 v84, v84, v93
	s_andn2_b64 exec, exec, s[8:9]
	s_cbranch_execnz .LBB104_25
; %bb.26:
	s_or_b64 exec, exec, s[8:9]
	v_mov_b32_e32 v87, 0
	ds_read_b64 v[87:88], v87 offset:24
	s_waitcnt lgkmcnt(0)
	v_mul_f32_e32 v89, v84, v88
	v_mul_f32_e32 v88, v90, v88
	v_fma_f32 v89, v90, v87, -v89
	v_fmac_f32_e32 v88, v84, v87
	buffer_store_dword v89, off, s[0:3], 0 offset:24
	buffer_store_dword v88, off, s[0:3], 0 offset:28
.LBB104_27:
	s_or_b64 exec, exec, s[4:5]
	; wave barrier
	buffer_load_dword v87, off, s[0:3], 0 offset:32
	buffer_load_dword v88, off, s[0:3], 0 offset:36
	v_cmp_gt_u32_e32 vcc, 4, v0
	s_waitcnt vmcnt(0)
	ds_write_b64 v86, v[87:88]
	s_waitcnt lgkmcnt(0)
	; wave barrier
	s_and_saveexec_b64 s[4:5], vcc
	s_cbranch_execz .LBB104_31
; %bb.28:
	v_add_u32_e32 v87, -1, v0
	v_add_u32_e32 v88, 0x150, v85
	v_mov_b32_e32 v89, v85
	v_mov_b32_e32 v84, 0
	s_mov_b64 s[8:9], 0
	v_mov_b32_e32 v90, 0
.LBB104_29:                             ; =>This Inner Loop Header: Depth=1
	buffer_load_dword v93, v89, s[0:3], 0 offen offset:4
	buffer_load_dword v94, v89, s[0:3], 0 offen
	ds_read_b64 v[91:92], v88
	v_add_u32_e32 v87, 1, v87
	v_cmp_lt_u32_e32 vcc, 2, v87
	v_add_u32_e32 v88, 8, v88
	v_add_u32_e32 v89, 8, v89
	s_or_b64 s[8:9], vcc, s[8:9]
	s_waitcnt vmcnt(1) lgkmcnt(0)
	v_mul_f32_e32 v95, v92, v93
	v_mul_f32_e32 v93, v91, v93
	s_waitcnt vmcnt(0)
	v_fma_f32 v91, v91, v94, -v95
	v_fmac_f32_e32 v93, v92, v94
	v_add_f32_e32 v90, v90, v91
	v_add_f32_e32 v84, v84, v93
	s_andn2_b64 exec, exec, s[8:9]
	s_cbranch_execnz .LBB104_29
; %bb.30:
	s_or_b64 exec, exec, s[8:9]
	v_mov_b32_e32 v87, 0
	ds_read_b64 v[87:88], v87 offset:32
	s_waitcnt lgkmcnt(0)
	v_mul_f32_e32 v89, v84, v88
	v_mul_f32_e32 v88, v90, v88
	v_fma_f32 v89, v90, v87, -v89
	v_fmac_f32_e32 v88, v84, v87
	buffer_store_dword v89, off, s[0:3], 0 offset:32
	buffer_store_dword v88, off, s[0:3], 0 offset:36
.LBB104_31:
	s_or_b64 exec, exec, s[4:5]
	; wave barrier
	buffer_load_dword v87, off, s[0:3], 0 offset:40
	buffer_load_dword v88, off, s[0:3], 0 offset:44
	v_cmp_gt_u32_e32 vcc, 5, v0
	s_waitcnt vmcnt(0)
	ds_write_b64 v86, v[87:88]
	;; [unrolled: 49-line block ×19, first 2 shown]
	s_waitcnt lgkmcnt(0)
	; wave barrier
	s_and_saveexec_b64 s[4:5], vcc
	s_cbranch_execz .LBB104_103
; %bb.100:
	v_add_u32_e32 v87, -1, v0
	v_add_u32_e32 v88, 0x150, v85
	v_mov_b32_e32 v89, v85
	v_mov_b32_e32 v84, 0
	s_mov_b64 s[8:9], 0
	v_mov_b32_e32 v90, 0
.LBB104_101:                            ; =>This Inner Loop Header: Depth=1
	buffer_load_dword v93, v89, s[0:3], 0 offen offset:4
	buffer_load_dword v94, v89, s[0:3], 0 offen
	ds_read_b64 v[91:92], v88
	v_add_u32_e32 v87, 1, v87
	v_cmp_lt_u32_e32 vcc, 20, v87
	v_add_u32_e32 v88, 8, v88
	v_add_u32_e32 v89, 8, v89
	s_or_b64 s[8:9], vcc, s[8:9]
	s_waitcnt vmcnt(1) lgkmcnt(0)
	v_mul_f32_e32 v95, v92, v93
	v_mul_f32_e32 v93, v91, v93
	s_waitcnt vmcnt(0)
	v_fma_f32 v91, v91, v94, -v95
	v_fmac_f32_e32 v93, v92, v94
	v_add_f32_e32 v90, v90, v91
	v_add_f32_e32 v84, v84, v93
	s_andn2_b64 exec, exec, s[8:9]
	s_cbranch_execnz .LBB104_101
; %bb.102:
	s_or_b64 exec, exec, s[8:9]
	v_mov_b32_e32 v87, 0
	ds_read_b64 v[87:88], v87 offset:176
	s_waitcnt lgkmcnt(0)
	v_mul_f32_e32 v89, v84, v88
	v_mul_f32_e32 v88, v90, v88
	v_fma_f32 v89, v90, v87, -v89
	v_fmac_f32_e32 v88, v84, v87
	buffer_store_dword v89, off, s[0:3], 0 offset:176
	buffer_store_dword v88, off, s[0:3], 0 offset:180
.LBB104_103:
	s_or_b64 exec, exec, s[4:5]
	; wave barrier
	buffer_load_dword v87, off, s[0:3], 0 offset:184
	buffer_load_dword v88, off, s[0:3], 0 offset:188
	v_cmp_gt_u32_e32 vcc, 23, v0
	s_waitcnt vmcnt(0)
	ds_write_b64 v86, v[87:88]
	s_waitcnt lgkmcnt(0)
	; wave barrier
	s_and_saveexec_b64 s[4:5], vcc
	s_cbranch_execz .LBB104_107
; %bb.104:
	v_add_u32_e32 v87, -1, v0
	v_add_u32_e32 v88, 0x150, v85
	v_mov_b32_e32 v89, v85
	v_mov_b32_e32 v84, 0
	s_mov_b64 s[8:9], 0
	v_mov_b32_e32 v90, 0
.LBB104_105:                            ; =>This Inner Loop Header: Depth=1
	buffer_load_dword v93, v89, s[0:3], 0 offen offset:4
	buffer_load_dword v94, v89, s[0:3], 0 offen
	ds_read_b64 v[91:92], v88
	v_add_u32_e32 v87, 1, v87
	v_cmp_lt_u32_e32 vcc, 21, v87
	v_add_u32_e32 v88, 8, v88
	v_add_u32_e32 v89, 8, v89
	s_or_b64 s[8:9], vcc, s[8:9]
	s_waitcnt vmcnt(1) lgkmcnt(0)
	v_mul_f32_e32 v95, v92, v93
	v_mul_f32_e32 v93, v91, v93
	s_waitcnt vmcnt(0)
	v_fma_f32 v91, v91, v94, -v95
	v_fmac_f32_e32 v93, v92, v94
	v_add_f32_e32 v90, v90, v91
	v_add_f32_e32 v84, v84, v93
	s_andn2_b64 exec, exec, s[8:9]
	s_cbranch_execnz .LBB104_105
; %bb.106:
	s_or_b64 exec, exec, s[8:9]
	v_mov_b32_e32 v87, 0
	ds_read_b64 v[87:88], v87 offset:184
	s_waitcnt lgkmcnt(0)
	v_mul_f32_e32 v89, v84, v88
	v_mul_f32_e32 v88, v90, v88
	v_fma_f32 v89, v90, v87, -v89
	v_fmac_f32_e32 v88, v84, v87
	buffer_store_dword v89, off, s[0:3], 0 offset:184
	buffer_store_dword v88, off, s[0:3], 0 offset:188
.LBB104_107:
	s_or_b64 exec, exec, s[4:5]
	; wave barrier
	buffer_load_dword v87, off, s[0:3], 0 offset:192
	buffer_load_dword v88, off, s[0:3], 0 offset:196
	v_cmp_gt_u32_e32 vcc, 24, v0
	s_waitcnt vmcnt(0)
	ds_write_b64 v86, v[87:88]
	;; [unrolled: 49-line block ×17, first 2 shown]
	s_waitcnt lgkmcnt(0)
	; wave barrier
	s_and_saveexec_b64 s[4:5], vcc
	s_cbranch_execz .LBB104_171
; %bb.168:
	v_add_u32_e32 v87, -1, v0
	v_add_u32_e32 v88, 0x150, v85
	v_mov_b32_e32 v89, v85
	v_mov_b32_e32 v84, 0
	s_mov_b64 s[8:9], 0
	v_mov_b32_e32 v90, 0
.LBB104_169:                            ; =>This Inner Loop Header: Depth=1
	buffer_load_dword v93, v89, s[0:3], 0 offen offset:4
	buffer_load_dword v94, v89, s[0:3], 0 offen
	ds_read_b64 v[91:92], v88
	v_add_u32_e32 v87, 1, v87
	v_cmp_lt_u32_e32 vcc, 37, v87
	v_add_u32_e32 v88, 8, v88
	v_add_u32_e32 v89, 8, v89
	s_or_b64 s[8:9], vcc, s[8:9]
	s_waitcnt vmcnt(1) lgkmcnt(0)
	v_mul_f32_e32 v95, v92, v93
	v_mul_f32_e32 v93, v91, v93
	s_waitcnt vmcnt(0)
	v_fma_f32 v91, v91, v94, -v95
	v_fmac_f32_e32 v93, v92, v94
	v_add_f32_e32 v90, v90, v91
	v_add_f32_e32 v84, v84, v93
	s_andn2_b64 exec, exec, s[8:9]
	s_cbranch_execnz .LBB104_169
; %bb.170:
	s_or_b64 exec, exec, s[8:9]
	v_mov_b32_e32 v87, 0
	ds_read_b64 v[87:88], v87 offset:312
	s_waitcnt lgkmcnt(0)
	v_mul_f32_e32 v89, v84, v88
	v_mul_f32_e32 v88, v90, v88
	v_fma_f32 v89, v90, v87, -v89
	v_fmac_f32_e32 v88, v84, v87
	buffer_store_dword v89, off, s[0:3], 0 offset:312
	buffer_store_dword v88, off, s[0:3], 0 offset:316
.LBB104_171:
	s_or_b64 exec, exec, s[4:5]
	; wave barrier
	buffer_load_dword v87, off, s[0:3], 0 offset:320
	buffer_load_dword v88, off, s[0:3], 0 offset:324
	v_cmp_ne_u32_e32 vcc, 40, v0
	s_waitcnt vmcnt(0)
	ds_write_b64 v86, v[87:88]
	s_waitcnt lgkmcnt(0)
	; wave barrier
	s_and_saveexec_b64 s[4:5], vcc
	s_cbranch_execz .LBB104_175
; %bb.172:
	v_add_u32_e32 v86, 0x150, v85
	v_mov_b32_e32 v84, 0
	s_mov_b64 s[8:9], 0
	v_mov_b32_e32 v87, 0
.LBB104_173:                            ; =>This Inner Loop Header: Depth=1
	buffer_load_dword v90, v85, s[0:3], 0 offen offset:4
	buffer_load_dword v91, v85, s[0:3], 0 offen
	ds_read_b64 v[88:89], v86
	v_add_u32_e32 v83, 1, v83
	v_cmp_lt_u32_e32 vcc, 38, v83
	v_add_u32_e32 v86, 8, v86
	v_add_u32_e32 v85, 8, v85
	s_or_b64 s[8:9], vcc, s[8:9]
	s_waitcnt vmcnt(1) lgkmcnt(0)
	v_mul_f32_e32 v92, v89, v90
	v_mul_f32_e32 v90, v88, v90
	s_waitcnt vmcnt(0)
	v_fma_f32 v88, v88, v91, -v92
	v_fmac_f32_e32 v90, v89, v91
	v_add_f32_e32 v87, v87, v88
	v_add_f32_e32 v84, v84, v90
	s_andn2_b64 exec, exec, s[8:9]
	s_cbranch_execnz .LBB104_173
; %bb.174:
	s_or_b64 exec, exec, s[8:9]
	v_mov_b32_e32 v83, 0
	ds_read_b64 v[85:86], v83 offset:320
	s_waitcnt lgkmcnt(0)
	v_mul_f32_e32 v83, v84, v86
	v_mul_f32_e32 v86, v87, v86
	v_fma_f32 v83, v87, v85, -v83
	v_fmac_f32_e32 v86, v84, v85
	buffer_store_dword v83, off, s[0:3], 0 offset:320
	buffer_store_dword v86, off, s[0:3], 0 offset:324
.LBB104_175:
	s_or_b64 exec, exec, s[4:5]
	s_mov_b64 s[8:9], -1
	; wave barrier
.LBB104_176:
	s_and_b64 vcc, exec, s[8:9]
	s_cbranch_vccz .LBB104_178
; %bb.177:
	s_lshl_b64 s[4:5], s[6:7], 2
	s_add_u32 s4, s10, s4
	s_addc_u32 s5, s11, s5
	v_mov_b32_e32 v83, 0
	global_load_dword v83, v83, s[4:5]
	s_waitcnt vmcnt(0)
	v_cmp_ne_u32_e32 vcc, 0, v83
	s_cbranch_vccz .LBB104_179
.LBB104_178:
	s_endpgm
.LBB104_179:
	v_mov_b32_e32 v83, 0x150
	v_lshl_add_u32 v83, v0, 3, v83
	v_cmp_eq_u32_e32 vcc, 40, v0
	s_and_saveexec_b64 s[4:5], vcc
	s_cbranch_execz .LBB104_181
; %bb.180:
	buffer_load_dword v84, off, s[0:3], 0 offset:312
	buffer_load_dword v85, off, s[0:3], 0 offset:316
	v_mov_b32_e32 v86, 0
	buffer_store_dword v86, off, s[0:3], 0 offset:312
	buffer_store_dword v86, off, s[0:3], 0 offset:316
	s_waitcnt vmcnt(2)
	ds_write_b64 v83, v[84:85]
.LBB104_181:
	s_or_b64 exec, exec, s[4:5]
	s_waitcnt lgkmcnt(0)
	; wave barrier
	buffer_load_dword v87, off, s[0:3], 0 offset:324
	buffer_load_dword v88, off, s[0:3], 0 offset:320
	;; [unrolled: 1-line block ×4, first 2 shown]
	v_mov_b32_e32 v84, 0
	ds_read_b64 v[85:86], v84 offset:656
	v_cmp_lt_u32_e32 vcc, 38, v0
	s_waitcnt vmcnt(3) lgkmcnt(0)
	v_mul_f32_e32 v91, v85, v87
	v_mul_f32_e32 v87, v86, v87
	s_waitcnt vmcnt(2)
	v_fma_f32 v85, v85, v88, -v87
	v_fmac_f32_e32 v91, v86, v88
	v_add_f32_e32 v85, 0, v85
	v_add_f32_e32 v86, 0, v91
	s_waitcnt vmcnt(1)
	v_sub_f32_e32 v85, v89, v85
	s_waitcnt vmcnt(0)
	v_sub_f32_e32 v86, v90, v86
	buffer_store_dword v85, off, s[0:3], 0 offset:312
	buffer_store_dword v86, off, s[0:3], 0 offset:316
	s_and_saveexec_b64 s[4:5], vcc
	s_cbranch_execz .LBB104_183
; %bb.182:
	buffer_load_dword v85, off, s[0:3], 0 offset:304
	buffer_load_dword v86, off, s[0:3], 0 offset:308
	s_waitcnt vmcnt(0)
	ds_write_b64 v83, v[85:86]
	buffer_store_dword v84, off, s[0:3], 0 offset:304
	buffer_store_dword v84, off, s[0:3], 0 offset:308
.LBB104_183:
	s_or_b64 exec, exec, s[4:5]
	s_waitcnt lgkmcnt(0)
	; wave barrier
	buffer_load_dword v88, off, s[0:3], 0 offset:316
	buffer_load_dword v89, off, s[0:3], 0 offset:324
	;; [unrolled: 1-line block ×6, first 2 shown]
	ds_read2_b64 v[84:87], v84 offset0:81 offset1:82
	v_cmp_lt_u32_e32 vcc, 37, v0
	s_waitcnt vmcnt(5) lgkmcnt(0)
	v_mul_f32_e32 v94, v84, v88
	v_mul_f32_e32 v88, v85, v88
	s_waitcnt vmcnt(4)
	v_mul_f32_e32 v95, v86, v89
	v_mul_f32_e32 v89, v87, v89
	s_waitcnt vmcnt(3)
	v_fma_f32 v84, v84, v90, -v88
	v_fmac_f32_e32 v94, v85, v90
	s_waitcnt vmcnt(2)
	v_fma_f32 v85, v86, v91, -v89
	v_add_f32_e32 v84, 0, v84
	v_fmac_f32_e32 v95, v87, v91
	v_add_f32_e32 v86, 0, v94
	v_add_f32_e32 v84, v84, v85
	;; [unrolled: 1-line block ×3, first 2 shown]
	s_waitcnt vmcnt(1)
	v_sub_f32_e32 v84, v92, v84
	s_waitcnt vmcnt(0)
	v_sub_f32_e32 v85, v93, v86
	buffer_store_dword v84, off, s[0:3], 0 offset:304
	buffer_store_dword v85, off, s[0:3], 0 offset:308
	s_and_saveexec_b64 s[4:5], vcc
	s_cbranch_execz .LBB104_185
; %bb.184:
	buffer_load_dword v84, off, s[0:3], 0 offset:296
	buffer_load_dword v85, off, s[0:3], 0 offset:300
	v_mov_b32_e32 v86, 0
	buffer_store_dword v86, off, s[0:3], 0 offset:296
	buffer_store_dword v86, off, s[0:3], 0 offset:300
	s_waitcnt vmcnt(2)
	ds_write_b64 v83, v[84:85]
.LBB104_185:
	s_or_b64 exec, exec, s[4:5]
	s_waitcnt lgkmcnt(0)
	; wave barrier
	buffer_load_dword v91, off, s[0:3], 0 offset:308
	buffer_load_dword v92, off, s[0:3], 0 offset:316
	;; [unrolled: 1-line block ×8, first 2 shown]
	v_mov_b32_e32 v84, 0
	ds_read_b128 v[85:88], v84 offset:640
	ds_read_b64 v[89:90], v84 offset:656
	v_cmp_lt_u32_e32 vcc, 36, v0
	s_waitcnt vmcnt(7) lgkmcnt(1)
	v_mul_f32_e32 v99, v85, v91
	v_mul_f32_e32 v91, v86, v91
	s_waitcnt vmcnt(6)
	v_mul_f32_e32 v100, v87, v92
	v_mul_f32_e32 v92, v88, v92
	s_waitcnt vmcnt(4)
	v_fma_f32 v85, v85, v94, -v91
	s_waitcnt lgkmcnt(0)
	v_mul_f32_e32 v101, v89, v93
	v_mul_f32_e32 v93, v90, v93
	v_fmac_f32_e32 v99, v86, v94
	s_waitcnt vmcnt(3)
	v_fma_f32 v86, v87, v95, -v92
	v_add_f32_e32 v85, 0, v85
	v_fmac_f32_e32 v100, v88, v95
	s_waitcnt vmcnt(2)
	v_fma_f32 v87, v89, v96, -v93
	v_add_f32_e32 v88, 0, v99
	v_add_f32_e32 v85, v85, v86
	v_fmac_f32_e32 v101, v90, v96
	v_add_f32_e32 v88, v88, v100
	v_add_f32_e32 v85, v85, v87
	;; [unrolled: 1-line block ×3, first 2 shown]
	s_waitcnt vmcnt(1)
	v_sub_f32_e32 v85, v97, v85
	s_waitcnt vmcnt(0)
	v_sub_f32_e32 v86, v98, v86
	buffer_store_dword v85, off, s[0:3], 0 offset:296
	buffer_store_dword v86, off, s[0:3], 0 offset:300
	s_and_saveexec_b64 s[4:5], vcc
	s_cbranch_execz .LBB104_187
; %bb.186:
	buffer_load_dword v85, off, s[0:3], 0 offset:288
	buffer_load_dword v86, off, s[0:3], 0 offset:292
	s_waitcnt vmcnt(0)
	ds_write_b64 v83, v[85:86]
	buffer_store_dword v84, off, s[0:3], 0 offset:288
	buffer_store_dword v84, off, s[0:3], 0 offset:292
.LBB104_187:
	s_or_b64 exec, exec, s[4:5]
	s_waitcnt lgkmcnt(0)
	; wave barrier
	buffer_load_dword v93, off, s[0:3], 0 offset:300
	buffer_load_dword v94, off, s[0:3], 0 offset:308
	;; [unrolled: 1-line block ×10, first 2 shown]
	ds_read2_b64 v[85:88], v84 offset0:79 offset1:80
	ds_read2_b64 v[89:92], v84 offset0:81 offset1:82
	v_cmp_lt_u32_e32 vcc, 35, v0
	s_waitcnt vmcnt(9) lgkmcnt(1)
	v_mul_f32_e32 v84, v85, v93
	v_mul_f32_e32 v93, v86, v93
	s_waitcnt vmcnt(8)
	v_mul_f32_e32 v103, v87, v94
	v_mul_f32_e32 v94, v88, v94
	s_waitcnt vmcnt(5)
	v_fma_f32 v85, v85, v97, -v93
	s_waitcnt lgkmcnt(0)
	v_mul_f32_e32 v104, v89, v95
	v_mul_f32_e32 v95, v90, v95
	v_fmac_f32_e32 v84, v86, v97
	s_waitcnt vmcnt(4)
	v_fma_f32 v86, v87, v98, -v94
	v_add_f32_e32 v85, 0, v85
	v_mul_f32_e32 v105, v91, v96
	v_mul_f32_e32 v96, v92, v96
	v_fmac_f32_e32 v103, v88, v98
	s_waitcnt vmcnt(3)
	v_fma_f32 v87, v89, v99, -v95
	v_add_f32_e32 v84, 0, v84
	v_add_f32_e32 v85, v85, v86
	v_fmac_f32_e32 v104, v90, v99
	s_waitcnt vmcnt(2)
	v_fma_f32 v88, v91, v100, -v96
	v_add_f32_e32 v84, v84, v103
	v_add_f32_e32 v85, v85, v87
	v_fmac_f32_e32 v105, v92, v100
	v_add_f32_e32 v84, v84, v104
	v_add_f32_e32 v85, v85, v88
	;; [unrolled: 1-line block ×3, first 2 shown]
	s_waitcnt vmcnt(1)
	v_sub_f32_e32 v85, v101, v85
	s_waitcnt vmcnt(0)
	v_sub_f32_e32 v84, v102, v84
	buffer_store_dword v85, off, s[0:3], 0 offset:288
	buffer_store_dword v84, off, s[0:3], 0 offset:292
	s_and_saveexec_b64 s[4:5], vcc
	s_cbranch_execz .LBB104_189
; %bb.188:
	buffer_load_dword v84, off, s[0:3], 0 offset:280
	buffer_load_dword v85, off, s[0:3], 0 offset:284
	v_mov_b32_e32 v86, 0
	buffer_store_dword v86, off, s[0:3], 0 offset:280
	buffer_store_dword v86, off, s[0:3], 0 offset:284
	s_waitcnt vmcnt(2)
	ds_write_b64 v83, v[84:85]
.LBB104_189:
	s_or_b64 exec, exec, s[4:5]
	s_waitcnt lgkmcnt(0)
	; wave barrier
	buffer_load_dword v95, off, s[0:3], 0 offset:292
	buffer_load_dword v96, off, s[0:3], 0 offset:300
	;; [unrolled: 1-line block ×12, first 2 shown]
	v_mov_b32_e32 v84, 0
	ds_read_b128 v[85:88], v84 offset:624
	ds_read_b128 v[89:92], v84 offset:640
	ds_read_b64 v[93:94], v84 offset:656
	v_cmp_lt_u32_e32 vcc, 34, v0
	s_waitcnt vmcnt(11) lgkmcnt(2)
	v_mul_f32_e32 v107, v85, v95
	v_mul_f32_e32 v95, v86, v95
	s_waitcnt vmcnt(10)
	v_mul_f32_e32 v108, v87, v96
	v_mul_f32_e32 v96, v88, v96
	s_waitcnt vmcnt(9) lgkmcnt(1)
	v_mul_f32_e32 v109, v89, v97
	s_waitcnt vmcnt(6)
	v_fma_f32 v85, v85, v100, -v95
	v_mul_f32_e32 v97, v90, v97
	v_fmac_f32_e32 v107, v86, v100
	s_waitcnt vmcnt(5)
	v_fma_f32 v86, v87, v101, -v96
	v_add_f32_e32 v85, 0, v85
	v_mul_f32_e32 v110, v91, v98
	v_mul_f32_e32 v98, v92, v98
	v_fmac_f32_e32 v108, v88, v101
	s_waitcnt vmcnt(4)
	v_fmac_f32_e32 v109, v90, v102
	v_fma_f32 v87, v89, v102, -v97
	v_add_f32_e32 v90, 0, v107
	v_add_f32_e32 v85, v85, v86
	s_waitcnt lgkmcnt(0)
	v_mul_f32_e32 v111, v93, v99
	v_mul_f32_e32 v99, v94, v99
	s_waitcnt vmcnt(3)
	v_fma_f32 v88, v91, v103, -v98
	v_add_f32_e32 v90, v90, v108
	v_add_f32_e32 v85, v85, v87
	v_fmac_f32_e32 v110, v92, v103
	s_waitcnt vmcnt(2)
	v_fma_f32 v89, v93, v104, -v99
	v_add_f32_e32 v86, v90, v109
	v_add_f32_e32 v85, v85, v88
	v_fmac_f32_e32 v111, v94, v104
	v_add_f32_e32 v86, v86, v110
	v_add_f32_e32 v85, v85, v89
	;; [unrolled: 1-line block ×3, first 2 shown]
	s_waitcnt vmcnt(1)
	v_sub_f32_e32 v85, v105, v85
	s_waitcnt vmcnt(0)
	v_sub_f32_e32 v86, v106, v86
	buffer_store_dword v85, off, s[0:3], 0 offset:280
	buffer_store_dword v86, off, s[0:3], 0 offset:284
	s_and_saveexec_b64 s[4:5], vcc
	s_cbranch_execz .LBB104_191
; %bb.190:
	buffer_load_dword v85, off, s[0:3], 0 offset:272
	buffer_load_dword v86, off, s[0:3], 0 offset:276
	s_waitcnt vmcnt(0)
	ds_write_b64 v83, v[85:86]
	buffer_store_dword v84, off, s[0:3], 0 offset:272
	buffer_store_dword v84, off, s[0:3], 0 offset:276
.LBB104_191:
	s_or_b64 exec, exec, s[4:5]
	s_waitcnt lgkmcnt(0)
	; wave barrier
	buffer_load_dword v97, off, s[0:3], 0 offset:284
	buffer_load_dword v98, off, s[0:3], 0 offset:292
	;; [unrolled: 1-line block ×14, first 2 shown]
	ds_read2_b64 v[85:88], v84 offset0:77 offset1:78
	ds_read2_b64 v[89:92], v84 offset0:79 offset1:80
	;; [unrolled: 1-line block ×3, first 2 shown]
	v_cmp_lt_u32_e32 vcc, 33, v0
	s_waitcnt vmcnt(13) lgkmcnt(2)
	v_mul_f32_e32 v84, v85, v97
	v_mul_f32_e32 v97, v86, v97
	s_waitcnt vmcnt(12)
	v_mul_f32_e32 v111, v87, v98
	v_mul_f32_e32 v98, v88, v98
	s_waitcnt vmcnt(11) lgkmcnt(1)
	v_mul_f32_e32 v112, v89, v99
	v_mul_f32_e32 v99, v90, v99
	s_waitcnt vmcnt(7)
	v_fma_f32 v85, v85, v103, -v97
	v_fmac_f32_e32 v84, v86, v103
	s_waitcnt vmcnt(6)
	v_fma_f32 v86, v87, v104, -v98
	v_add_f32_e32 v85, 0, v85
	v_mul_f32_e32 v113, v91, v100
	v_mul_f32_e32 v100, v92, v100
	v_fmac_f32_e32 v111, v88, v104
	s_waitcnt vmcnt(5)
	v_fma_f32 v87, v89, v105, -v99
	v_add_f32_e32 v84, 0, v84
	v_add_f32_e32 v85, v85, v86
	s_waitcnt lgkmcnt(0)
	v_mul_f32_e32 v114, v93, v101
	v_mul_f32_e32 v101, v94, v101
	v_fmac_f32_e32 v112, v90, v105
	s_waitcnt vmcnt(4)
	v_fma_f32 v88, v91, v106, -v100
	v_add_f32_e32 v84, v84, v111
	v_add_f32_e32 v85, v85, v87
	v_mul_f32_e32 v115, v95, v102
	v_mul_f32_e32 v102, v96, v102
	v_fmac_f32_e32 v113, v92, v106
	s_waitcnt vmcnt(3)
	v_fma_f32 v89, v93, v107, -v101
	v_add_f32_e32 v84, v84, v112
	v_add_f32_e32 v85, v85, v88
	v_fmac_f32_e32 v114, v94, v107
	s_waitcnt vmcnt(2)
	v_fma_f32 v90, v95, v108, -v102
	v_add_f32_e32 v84, v84, v113
	v_add_f32_e32 v85, v85, v89
	v_fmac_f32_e32 v115, v96, v108
	v_add_f32_e32 v84, v84, v114
	v_add_f32_e32 v85, v85, v90
	;; [unrolled: 1-line block ×3, first 2 shown]
	s_waitcnt vmcnt(1)
	v_sub_f32_e32 v85, v109, v85
	s_waitcnt vmcnt(0)
	v_sub_f32_e32 v84, v110, v84
	buffer_store_dword v85, off, s[0:3], 0 offset:272
	buffer_store_dword v84, off, s[0:3], 0 offset:276
	s_and_saveexec_b64 s[4:5], vcc
	s_cbranch_execz .LBB104_193
; %bb.192:
	buffer_load_dword v84, off, s[0:3], 0 offset:264
	buffer_load_dword v85, off, s[0:3], 0 offset:268
	v_mov_b32_e32 v86, 0
	buffer_store_dword v86, off, s[0:3], 0 offset:264
	buffer_store_dword v86, off, s[0:3], 0 offset:268
	s_waitcnt vmcnt(2)
	ds_write_b64 v83, v[84:85]
.LBB104_193:
	s_or_b64 exec, exec, s[4:5]
	s_waitcnt lgkmcnt(0)
	; wave barrier
	buffer_load_dword v99, off, s[0:3], 0 offset:276
	buffer_load_dword v100, off, s[0:3], 0 offset:284
	;; [unrolled: 1-line block ×16, first 2 shown]
	v_mov_b32_e32 v84, 0
	ds_read_b128 v[85:88], v84 offset:608
	ds_read_b128 v[89:92], v84 offset:624
	;; [unrolled: 1-line block ×3, first 2 shown]
	ds_read_b64 v[97:98], v84 offset:656
	v_cmp_lt_u32_e32 vcc, 32, v0
	s_waitcnt vmcnt(15) lgkmcnt(3)
	v_mul_f32_e32 v115, v85, v99
	v_mul_f32_e32 v99, v86, v99
	s_waitcnt vmcnt(14)
	v_mul_f32_e32 v116, v87, v100
	v_mul_f32_e32 v100, v88, v100
	s_waitcnt vmcnt(13) lgkmcnt(2)
	v_mul_f32_e32 v117, v89, v101
	s_waitcnt vmcnt(12)
	v_mul_f32_e32 v118, v91, v102
	v_mul_f32_e32 v101, v90, v101
	s_waitcnt vmcnt(8)
	v_fma_f32 v85, v85, v106, -v99
	v_fmac_f32_e32 v115, v86, v106
	s_waitcnt vmcnt(7)
	v_fma_f32 v86, v87, v107, -v100
	v_add_f32_e32 v85, 0, v85
	v_mul_f32_e32 v102, v92, v102
	v_fmac_f32_e32 v116, v88, v107
	s_waitcnt vmcnt(5)
	v_fmac_f32_e32 v118, v92, v109
	v_fma_f32 v87, v89, v108, -v101
	v_add_f32_e32 v92, 0, v115
	v_add_f32_e32 v85, v85, v86
	s_waitcnt lgkmcnt(1)
	v_mul_f32_e32 v119, v93, v103
	v_mul_f32_e32 v103, v94, v103
	v_fmac_f32_e32 v117, v90, v108
	v_fma_f32 v88, v91, v109, -v102
	v_add_f32_e32 v92, v92, v116
	v_add_f32_e32 v85, v85, v87
	v_mul_f32_e32 v120, v95, v104
	v_mul_f32_e32 v104, v96, v104
	s_waitcnt vmcnt(4)
	v_fma_f32 v89, v93, v110, -v103
	v_add_f32_e32 v86, v92, v117
	v_add_f32_e32 v85, v85, v88
	s_waitcnt lgkmcnt(0)
	v_mul_f32_e32 v121, v97, v105
	v_mul_f32_e32 v105, v98, v105
	v_fmac_f32_e32 v119, v94, v110
	s_waitcnt vmcnt(3)
	v_fma_f32 v90, v95, v111, -v104
	v_add_f32_e32 v86, v86, v118
	v_add_f32_e32 v85, v85, v89
	v_fmac_f32_e32 v120, v96, v111
	s_waitcnt vmcnt(2)
	v_fma_f32 v91, v97, v112, -v105
	v_add_f32_e32 v86, v86, v119
	v_add_f32_e32 v85, v85, v90
	v_fmac_f32_e32 v121, v98, v112
	v_add_f32_e32 v86, v86, v120
	v_add_f32_e32 v85, v85, v91
	v_add_f32_e32 v86, v86, v121
	s_waitcnt vmcnt(1)
	v_sub_f32_e32 v85, v113, v85
	s_waitcnt vmcnt(0)
	v_sub_f32_e32 v86, v114, v86
	buffer_store_dword v85, off, s[0:3], 0 offset:264
	buffer_store_dword v86, off, s[0:3], 0 offset:268
	s_and_saveexec_b64 s[4:5], vcc
	s_cbranch_execz .LBB104_195
; %bb.194:
	buffer_load_dword v85, off, s[0:3], 0 offset:256
	buffer_load_dword v86, off, s[0:3], 0 offset:260
	s_waitcnt vmcnt(0)
	ds_write_b64 v83, v[85:86]
	buffer_store_dword v84, off, s[0:3], 0 offset:256
	buffer_store_dword v84, off, s[0:3], 0 offset:260
.LBB104_195:
	s_or_b64 exec, exec, s[4:5]
	s_waitcnt lgkmcnt(0)
	; wave barrier
	buffer_load_dword v101, off, s[0:3], 0 offset:268
	buffer_load_dword v102, off, s[0:3], 0 offset:276
	;; [unrolled: 1-line block ×18, first 2 shown]
	ds_read2_b64 v[85:88], v84 offset0:75 offset1:76
	ds_read2_b64 v[89:92], v84 offset0:77 offset1:78
	;; [unrolled: 1-line block ×4, first 2 shown]
	v_cmp_lt_u32_e32 vcc, 31, v0
	s_waitcnt vmcnt(17) lgkmcnt(3)
	v_mul_f32_e32 v84, v85, v101
	v_mul_f32_e32 v101, v86, v101
	s_waitcnt vmcnt(16)
	v_mul_f32_e32 v119, v87, v102
	v_mul_f32_e32 v102, v88, v102
	s_waitcnt vmcnt(15) lgkmcnt(2)
	v_mul_f32_e32 v120, v89, v103
	v_mul_f32_e32 v103, v90, v103
	s_waitcnt vmcnt(14)
	v_mul_f32_e32 v121, v91, v104
	v_mul_f32_e32 v104, v92, v104
	s_waitcnt vmcnt(9)
	v_fma_f32 v85, v85, v109, -v101
	v_fmac_f32_e32 v84, v86, v109
	s_waitcnt vmcnt(8)
	v_fma_f32 v86, v87, v110, -v102
	v_add_f32_e32 v85, 0, v85
	v_fmac_f32_e32 v119, v88, v110
	s_waitcnt vmcnt(7)
	v_fma_f32 v87, v89, v111, -v103
	v_add_f32_e32 v84, 0, v84
	v_add_f32_e32 v85, v85, v86
	s_waitcnt lgkmcnt(1)
	v_mul_f32_e32 v122, v93, v105
	v_mul_f32_e32 v105, v94, v105
	v_fmac_f32_e32 v120, v90, v111
	s_waitcnt vmcnt(6)
	v_fma_f32 v88, v91, v112, -v104
	v_add_f32_e32 v84, v84, v119
	v_add_f32_e32 v85, v85, v87
	v_mul_f32_e32 v123, v95, v106
	v_mul_f32_e32 v106, v96, v106
	v_fmac_f32_e32 v121, v92, v112
	s_waitcnt vmcnt(5)
	v_fma_f32 v89, v93, v113, -v105
	v_add_f32_e32 v84, v84, v120
	v_add_f32_e32 v85, v85, v88
	s_waitcnt lgkmcnt(0)
	v_mul_f32_e32 v124, v97, v107
	v_mul_f32_e32 v107, v98, v107
	v_fmac_f32_e32 v122, v94, v113
	s_waitcnt vmcnt(4)
	v_fma_f32 v90, v95, v114, -v106
	v_add_f32_e32 v84, v84, v121
	v_add_f32_e32 v85, v85, v89
	v_mul_f32_e32 v125, v99, v108
	v_mul_f32_e32 v108, v100, v108
	v_fmac_f32_e32 v123, v96, v114
	s_waitcnt vmcnt(3)
	v_fma_f32 v91, v97, v115, -v107
	v_add_f32_e32 v84, v84, v122
	v_add_f32_e32 v85, v85, v90
	v_fmac_f32_e32 v124, v98, v115
	s_waitcnt vmcnt(2)
	v_fma_f32 v92, v99, v116, -v108
	v_add_f32_e32 v84, v84, v123
	v_add_f32_e32 v85, v85, v91
	v_fmac_f32_e32 v125, v100, v116
	v_add_f32_e32 v84, v84, v124
	v_add_f32_e32 v85, v85, v92
	;; [unrolled: 1-line block ×3, first 2 shown]
	s_waitcnt vmcnt(1)
	v_sub_f32_e32 v85, v117, v85
	s_waitcnt vmcnt(0)
	v_sub_f32_e32 v84, v118, v84
	buffer_store_dword v85, off, s[0:3], 0 offset:256
	buffer_store_dword v84, off, s[0:3], 0 offset:260
	s_and_saveexec_b64 s[4:5], vcc
	s_cbranch_execz .LBB104_197
; %bb.196:
	buffer_load_dword v84, off, s[0:3], 0 offset:248
	buffer_load_dword v85, off, s[0:3], 0 offset:252
	v_mov_b32_e32 v86, 0
	buffer_store_dword v86, off, s[0:3], 0 offset:248
	buffer_store_dword v86, off, s[0:3], 0 offset:252
	s_waitcnt vmcnt(2)
	ds_write_b64 v83, v[84:85]
.LBB104_197:
	s_or_b64 exec, exec, s[4:5]
	v_mov_b32_e32 v84, 0
	s_waitcnt lgkmcnt(0)
	; wave barrier
	ds_read_b128 v[85:88], v84 offset:592
	ds_read_b128 v[89:92], v84 offset:608
	;; [unrolled: 1-line block ×4, first 2 shown]
	buffer_load_dword v103, off, s[0:3], 0 offset:248
	buffer_load_dword v104, off, s[0:3], 0 offset:252
	;; [unrolled: 1-line block ×18, first 2 shown]
	v_cmp_lt_u32_e32 vcc, 30, v0
	s_waitcnt vmcnt(14) lgkmcnt(3)
	v_mul_f32_e32 v101, v85, v106
	v_fmac_f32_e32 v101, v86, v105
	s_waitcnt vmcnt(12)
	v_mul_f32_e32 v102, v87, v108
	v_add_f32_e32 v101, 0, v101
	v_fmac_f32_e32 v102, v88, v107
	v_add_f32_e32 v101, v101, v102
	s_waitcnt vmcnt(10) lgkmcnt(2)
	v_mul_f32_e32 v102, v89, v110
	v_fmac_f32_e32 v102, v90, v109
	v_add_f32_e32 v101, v101, v102
	s_waitcnt vmcnt(8)
	v_mul_f32_e32 v102, v91, v112
	v_fmac_f32_e32 v102, v92, v111
	v_add_f32_e32 v101, v101, v102
	s_waitcnt vmcnt(6) lgkmcnt(1)
	v_mul_f32_e32 v102, v93, v114
	v_fmac_f32_e32 v102, v94, v113
	v_add_f32_e32 v101, v101, v102
	s_waitcnt vmcnt(4)
	v_mul_f32_e32 v102, v95, v116
	;; [unrolled: 8-line block ×3, first 2 shown]
	v_fmac_f32_e32 v102, v100, v119
	v_add_f32_e32 v121, v101, v102
	ds_read_b64 v[101:102], v84 offset:656
	buffer_load_dword v122, off, s[0:3], 0 offset:320
	buffer_load_dword v123, off, s[0:3], 0 offset:324
	v_mul_f32_e32 v86, v86, v106
	v_fma_f32 v85, v85, v105, -v86
	v_mul_f32_e32 v86, v88, v108
	v_add_f32_e32 v85, 0, v85
	v_fma_f32 v86, v87, v107, -v86
	v_add_f32_e32 v85, v85, v86
	v_mul_f32_e32 v86, v90, v110
	v_fma_f32 v86, v89, v109, -v86
	v_add_f32_e32 v85, v85, v86
	v_mul_f32_e32 v86, v92, v112
	;; [unrolled: 3-line block ×6, first 2 shown]
	v_fma_f32 v86, v99, v119, -v86
	v_add_f32_e32 v85, v85, v86
	s_waitcnt vmcnt(0) lgkmcnt(0)
	v_mul_f32_e32 v86, v102, v123
	v_mul_f32_e32 v124, v101, v123
	v_fma_f32 v86, v101, v122, -v86
	v_fmac_f32_e32 v124, v102, v122
	v_add_f32_e32 v85, v85, v86
	v_add_f32_e32 v121, v121, v124
	v_sub_f32_e32 v85, v103, v85
	v_sub_f32_e32 v86, v104, v121
	buffer_store_dword v85, off, s[0:3], 0 offset:248
	buffer_store_dword v86, off, s[0:3], 0 offset:252
	s_and_saveexec_b64 s[4:5], vcc
	s_cbranch_execz .LBB104_199
; %bb.198:
	buffer_load_dword v85, off, s[0:3], 0 offset:240
	buffer_load_dword v86, off, s[0:3], 0 offset:244
	s_waitcnt vmcnt(0)
	ds_write_b64 v83, v[85:86]
	buffer_store_dword v84, off, s[0:3], 0 offset:240
	buffer_store_dword v84, off, s[0:3], 0 offset:244
.LBB104_199:
	s_or_b64 exec, exec, s[4:5]
	s_waitcnt lgkmcnt(0)
	; wave barrier
	buffer_load_dword v105, off, s[0:3], 0 offset:252
	buffer_load_dword v106, off, s[0:3], 0 offset:260
	;; [unrolled: 1-line block ×22, first 2 shown]
	ds_read2_b64 v[85:88], v84 offset0:73 offset1:74
	ds_read2_b64 v[89:92], v84 offset0:75 offset1:76
	;; [unrolled: 1-line block ×5, first 2 shown]
	v_cmp_lt_u32_e32 vcc, 29, v0
	s_waitcnt vmcnt(21) lgkmcnt(4)
	v_mul_f32_e32 v84, v85, v105
	v_mul_f32_e32 v105, v86, v105
	s_waitcnt vmcnt(20)
	v_mul_f32_e32 v127, v87, v106
	v_mul_f32_e32 v106, v88, v106
	s_waitcnt vmcnt(19) lgkmcnt(3)
	v_mul_f32_e32 v128, v89, v107
	v_mul_f32_e32 v107, v90, v107
	s_waitcnt vmcnt(18)
	v_mul_f32_e32 v129, v91, v108
	v_mul_f32_e32 v108, v92, v108
	s_waitcnt vmcnt(17) lgkmcnt(2)
	v_mul_f32_e32 v130, v93, v109
	v_mul_f32_e32 v109, v94, v109
	s_waitcnt vmcnt(11)
	v_fma_f32 v85, v85, v115, -v105
	v_fmac_f32_e32 v84, v86, v115
	s_waitcnt vmcnt(10)
	v_fma_f32 v86, v87, v116, -v106
	v_add_f32_e32 v85, 0, v85
	v_fmac_f32_e32 v127, v88, v116
	s_waitcnt vmcnt(9)
	v_fma_f32 v87, v89, v117, -v107
	v_add_f32_e32 v84, 0, v84
	v_add_f32_e32 v85, v85, v86
	v_fmac_f32_e32 v128, v90, v117
	s_waitcnt vmcnt(8)
	v_fma_f32 v88, v91, v118, -v108
	v_add_f32_e32 v84, v84, v127
	v_add_f32_e32 v85, v85, v87
	v_mul_f32_e32 v131, v95, v110
	v_mul_f32_e32 v110, v96, v110
	v_fmac_f32_e32 v129, v92, v118
	s_waitcnt vmcnt(7)
	v_fma_f32 v89, v93, v119, -v109
	v_add_f32_e32 v84, v84, v128
	v_add_f32_e32 v85, v85, v88
	s_waitcnt lgkmcnt(1)
	v_mul_f32_e32 v132, v97, v111
	v_mul_f32_e32 v111, v98, v111
	v_fmac_f32_e32 v130, v94, v119
	s_waitcnt vmcnt(6)
	v_fma_f32 v90, v95, v120, -v110
	v_add_f32_e32 v84, v84, v129
	v_add_f32_e32 v85, v85, v89
	v_mul_f32_e32 v133, v99, v112
	v_mul_f32_e32 v112, v100, v112
	v_fmac_f32_e32 v131, v96, v120
	s_waitcnt vmcnt(5)
	v_fma_f32 v91, v97, v121, -v111
	v_add_f32_e32 v84, v84, v130
	v_add_f32_e32 v85, v85, v90
	s_waitcnt lgkmcnt(0)
	v_mul_f32_e32 v134, v101, v113
	v_mul_f32_e32 v113, v102, v113
	v_fmac_f32_e32 v132, v98, v121
	s_waitcnt vmcnt(4)
	v_fma_f32 v92, v99, v122, -v112
	v_add_f32_e32 v84, v84, v131
	v_add_f32_e32 v85, v85, v91
	v_mul_f32_e32 v135, v103, v114
	v_mul_f32_e32 v114, v104, v114
	v_fmac_f32_e32 v133, v100, v122
	s_waitcnt vmcnt(3)
	v_fma_f32 v93, v101, v123, -v113
	v_add_f32_e32 v84, v84, v132
	v_add_f32_e32 v85, v85, v92
	v_fmac_f32_e32 v134, v102, v123
	s_waitcnt vmcnt(2)
	v_fma_f32 v94, v103, v124, -v114
	v_add_f32_e32 v84, v84, v133
	v_add_f32_e32 v85, v85, v93
	v_fmac_f32_e32 v135, v104, v124
	v_add_f32_e32 v84, v84, v134
	v_add_f32_e32 v85, v85, v94
	;; [unrolled: 1-line block ×3, first 2 shown]
	s_waitcnt vmcnt(1)
	v_sub_f32_e32 v85, v125, v85
	s_waitcnt vmcnt(0)
	v_sub_f32_e32 v84, v126, v84
	buffer_store_dword v85, off, s[0:3], 0 offset:240
	buffer_store_dword v84, off, s[0:3], 0 offset:244
	s_and_saveexec_b64 s[4:5], vcc
	s_cbranch_execz .LBB104_201
; %bb.200:
	buffer_load_dword v84, off, s[0:3], 0 offset:232
	buffer_load_dword v85, off, s[0:3], 0 offset:236
	v_mov_b32_e32 v86, 0
	buffer_store_dword v86, off, s[0:3], 0 offset:232
	buffer_store_dword v86, off, s[0:3], 0 offset:236
	s_waitcnt vmcnt(2)
	ds_write_b64 v83, v[84:85]
.LBB104_201:
	s_or_b64 exec, exec, s[4:5]
	s_waitcnt lgkmcnt(0)
	; wave barrier
	buffer_load_dword v107, off, s[0:3], 0 offset:244
	buffer_load_dword v108, off, s[0:3], 0 offset:252
	;; [unrolled: 1-line block ×24, first 2 shown]
	v_mov_b32_e32 v84, 0
	ds_read_b128 v[85:88], v84 offset:576
	ds_read_b128 v[89:92], v84 offset:592
	;; [unrolled: 1-line block ×5, first 2 shown]
	ds_read_b64 v[105:106], v84 offset:656
	v_cmp_lt_u32_e32 vcc, 28, v0
	s_waitcnt vmcnt(23) lgkmcnt(5)
	v_mul_f32_e32 v131, v85, v107
	v_mul_f32_e32 v107, v86, v107
	s_waitcnt vmcnt(22)
	v_mul_f32_e32 v132, v87, v108
	v_mul_f32_e32 v108, v88, v108
	s_waitcnt vmcnt(21) lgkmcnt(4)
	v_mul_f32_e32 v133, v89, v109
	v_mul_f32_e32 v109, v90, v109
	s_waitcnt vmcnt(20)
	v_mul_f32_e32 v134, v91, v110
	s_waitcnt vmcnt(19) lgkmcnt(3)
	v_mul_f32_e32 v135, v93, v111
	v_mul_f32_e32 v110, v92, v110
	;; [unrolled: 1-line block ×3, first 2 shown]
	s_waitcnt vmcnt(18)
	v_mul_f32_e32 v136, v95, v112
	s_waitcnt vmcnt(12)
	v_fma_f32 v85, v85, v118, -v107
	v_fmac_f32_e32 v131, v86, v118
	s_waitcnt vmcnt(11)
	v_fma_f32 v86, v87, v119, -v108
	v_add_f32_e32 v85, 0, v85
	s_waitcnt vmcnt(10)
	v_fma_f32 v87, v89, v120, -v109
	v_add_f32_e32 v85, v85, v86
	v_fmac_f32_e32 v132, v88, v119
	s_waitcnt vmcnt(8)
	v_fmac_f32_e32 v135, v94, v122
	v_fma_f32 v88, v91, v121, -v110
	v_add_f32_e32 v94, 0, v131
	v_add_f32_e32 v85, v85, v87
	v_mul_f32_e32 v112, v96, v112
	v_fmac_f32_e32 v133, v90, v120
	v_fma_f32 v89, v93, v122, -v111
	v_add_f32_e32 v94, v94, v132
	v_add_f32_e32 v85, v85, v88
	s_waitcnt lgkmcnt(2)
	v_mul_f32_e32 v137, v97, v113
	v_mul_f32_e32 v113, v98, v113
	v_fmac_f32_e32 v134, v92, v121
	s_waitcnt vmcnt(7)
	v_fma_f32 v90, v95, v123, -v112
	v_add_f32_e32 v86, v94, v133
	v_add_f32_e32 v85, v85, v89
	v_mul_f32_e32 v138, v99, v114
	v_mul_f32_e32 v114, v100, v114
	s_waitcnt vmcnt(6)
	v_fma_f32 v91, v97, v124, -v113
	v_add_f32_e32 v86, v86, v134
	v_add_f32_e32 v85, v85, v90
	s_waitcnt lgkmcnt(1)
	v_mul_f32_e32 v139, v101, v115
	v_mul_f32_e32 v115, v102, v115
	v_fmac_f32_e32 v136, v96, v123
	s_waitcnt vmcnt(5)
	v_fma_f32 v92, v99, v125, -v114
	v_add_f32_e32 v86, v86, v135
	v_add_f32_e32 v85, v85, v91
	v_fmac_f32_e32 v137, v98, v124
	s_waitcnt vmcnt(4)
	v_fma_f32 v93, v101, v126, -v115
	v_add_f32_e32 v86, v86, v136
	v_add_f32_e32 v85, v85, v92
	v_mul_f32_e32 v87, v104, v116
	v_fmac_f32_e32 v138, v100, v125
	v_add_f32_e32 v86, v86, v137
	v_add_f32_e32 v85, v85, v93
	s_waitcnt vmcnt(3)
	v_fma_f32 v87, v103, v127, -v87
	v_mul_f32_e32 v140, v103, v116
	v_fmac_f32_e32 v139, v102, v126
	v_add_f32_e32 v86, v86, v138
	v_add_f32_e32 v85, v85, v87
	s_waitcnt lgkmcnt(0)
	v_mul_f32_e32 v87, v106, v117
	v_mul_f32_e32 v141, v105, v117
	v_fmac_f32_e32 v140, v104, v127
	v_add_f32_e32 v86, v86, v139
	s_waitcnt vmcnt(2)
	v_fma_f32 v87, v105, v128, -v87
	v_fmac_f32_e32 v141, v106, v128
	v_add_f32_e32 v86, v86, v140
	v_add_f32_e32 v85, v85, v87
	;; [unrolled: 1-line block ×3, first 2 shown]
	s_waitcnt vmcnt(1)
	v_sub_f32_e32 v85, v129, v85
	s_waitcnt vmcnt(0)
	v_sub_f32_e32 v86, v130, v86
	buffer_store_dword v85, off, s[0:3], 0 offset:232
	buffer_store_dword v86, off, s[0:3], 0 offset:236
	s_and_saveexec_b64 s[4:5], vcc
	s_cbranch_execz .LBB104_203
; %bb.202:
	buffer_load_dword v85, off, s[0:3], 0 offset:224
	buffer_load_dword v86, off, s[0:3], 0 offset:228
	s_waitcnt vmcnt(0)
	ds_write_b64 v83, v[85:86]
	buffer_store_dword v84, off, s[0:3], 0 offset:224
	buffer_store_dword v84, off, s[0:3], 0 offset:228
.LBB104_203:
	s_or_b64 exec, exec, s[4:5]
	s_waitcnt lgkmcnt(0)
	; wave barrier
	buffer_load_dword v109, off, s[0:3], 0 offset:236
	buffer_load_dword v110, off, s[0:3], 0 offset:244
	;; [unrolled: 1-line block ×26, first 2 shown]
	ds_read2_b64 v[85:88], v84 offset0:71 offset1:72
	ds_read2_b64 v[89:92], v84 offset0:73 offset1:74
	;; [unrolled: 1-line block ×6, first 2 shown]
	v_cmp_lt_u32_e32 vcc, 27, v0
	s_waitcnt vmcnt(25) lgkmcnt(5)
	v_mul_f32_e32 v84, v85, v109
	v_mul_f32_e32 v109, v86, v109
	s_waitcnt vmcnt(24)
	v_mul_f32_e32 v135, v87, v110
	v_mul_f32_e32 v110, v88, v110
	s_waitcnt vmcnt(23) lgkmcnt(4)
	v_mul_f32_e32 v136, v89, v111
	v_mul_f32_e32 v111, v90, v111
	s_waitcnt vmcnt(22)
	v_mul_f32_e32 v137, v91, v112
	v_mul_f32_e32 v112, v92, v112
	;; [unrolled: 6-line block ×3, first 2 shown]
	s_waitcnt vmcnt(13)
	v_fma_f32 v85, v85, v121, -v109
	v_fmac_f32_e32 v84, v86, v121
	s_waitcnt vmcnt(12)
	v_fma_f32 v86, v87, v122, -v110
	v_add_f32_e32 v85, 0, v85
	s_waitcnt vmcnt(11)
	v_fma_f32 v87, v89, v123, -v111
	v_add_f32_e32 v85, v85, v86
	v_fmac_f32_e32 v135, v88, v122
	s_waitcnt vmcnt(10)
	v_fma_f32 v88, v91, v124, -v112
	v_add_f32_e32 v85, v85, v87
	s_waitcnt vmcnt(9)
	v_fma_f32 v89, v93, v125, -v113
	v_add_f32_e32 v85, v85, v88
	s_waitcnt lgkmcnt(2)
	v_mul_f32_e32 v140, v97, v115
	v_mul_f32_e32 v115, v98, v115
	v_fmac_f32_e32 v136, v90, v123
	s_waitcnt vmcnt(8)
	v_fma_f32 v90, v95, v126, -v114
	v_add_f32_e32 v84, 0, v84
	v_add_f32_e32 v85, v85, v89
	v_mul_f32_e32 v141, v99, v116
	v_mul_f32_e32 v116, v100, v116
	s_waitcnt vmcnt(7)
	v_fma_f32 v91, v97, v127, -v115
	v_add_f32_e32 v84, v84, v135
	v_add_f32_e32 v85, v85, v90
	v_fmac_f32_e32 v137, v92, v124
	s_waitcnt vmcnt(6)
	v_fma_f32 v92, v99, v128, -v116
	v_add_f32_e32 v84, v84, v136
	v_add_f32_e32 v85, v85, v91
	s_waitcnt lgkmcnt(1)
	v_mul_f32_e32 v86, v102, v117
	v_fmac_f32_e32 v138, v94, v125
	v_add_f32_e32 v84, v84, v137
	v_add_f32_e32 v85, v85, v92
	s_waitcnt vmcnt(5)
	v_fma_f32 v86, v101, v129, -v86
	v_fmac_f32_e32 v139, v96, v126
	v_add_f32_e32 v84, v84, v138
	v_add_f32_e32 v85, v85, v86
	v_mul_f32_e32 v86, v104, v118
	v_fmac_f32_e32 v140, v98, v127
	v_add_f32_e32 v84, v84, v139
	s_waitcnt vmcnt(4)
	v_fma_f32 v86, v103, v130, -v86
	v_mul_f32_e32 v142, v101, v117
	v_fmac_f32_e32 v141, v100, v128
	v_add_f32_e32 v84, v84, v140
	v_add_f32_e32 v85, v85, v86
	s_waitcnt lgkmcnt(0)
	v_mul_f32_e32 v86, v106, v119
	v_mul_f32_e32 v143, v103, v118
	v_fmac_f32_e32 v142, v102, v129
	v_add_f32_e32 v84, v84, v141
	s_waitcnt vmcnt(3)
	v_fma_f32 v86, v105, v131, -v86
	v_mul_f32_e32 v144, v105, v119
	v_fmac_f32_e32 v143, v104, v130
	v_add_f32_e32 v84, v84, v142
	v_add_f32_e32 v85, v85, v86
	v_mul_f32_e32 v86, v108, v120
	v_mul_f32_e32 v145, v107, v120
	v_fmac_f32_e32 v144, v106, v131
	v_add_f32_e32 v84, v84, v143
	s_waitcnt vmcnt(2)
	v_fma_f32 v86, v107, v132, -v86
	v_fmac_f32_e32 v145, v108, v132
	v_add_f32_e32 v84, v84, v144
	v_add_f32_e32 v85, v85, v86
	;; [unrolled: 1-line block ×3, first 2 shown]
	s_waitcnt vmcnt(1)
	v_sub_f32_e32 v85, v133, v85
	s_waitcnt vmcnt(0)
	v_sub_f32_e32 v84, v134, v84
	buffer_store_dword v85, off, s[0:3], 0 offset:224
	buffer_store_dword v84, off, s[0:3], 0 offset:228
	s_and_saveexec_b64 s[4:5], vcc
	s_cbranch_execz .LBB104_205
; %bb.204:
	buffer_load_dword v84, off, s[0:3], 0 offset:216
	buffer_load_dword v85, off, s[0:3], 0 offset:220
	v_mov_b32_e32 v86, 0
	buffer_store_dword v86, off, s[0:3], 0 offset:216
	buffer_store_dword v86, off, s[0:3], 0 offset:220
	s_waitcnt vmcnt(2)
	ds_write_b64 v83, v[84:85]
.LBB104_205:
	s_or_b64 exec, exec, s[4:5]
	s_waitcnt lgkmcnt(0)
	; wave barrier
	buffer_load_dword v111, off, s[0:3], 0 offset:228
	buffer_load_dword v112, off, s[0:3], 0 offset:236
	;; [unrolled: 1-line block ×28, first 2 shown]
	v_mov_b32_e32 v84, 0
	ds_read_b128 v[85:88], v84 offset:560
	ds_read_b128 v[89:92], v84 offset:576
	;; [unrolled: 1-line block ×6, first 2 shown]
	ds_read_b64 v[109:110], v84 offset:656
	v_cmp_lt_u32_e32 vcc, 26, v0
	s_waitcnt vmcnt(27) lgkmcnt(6)
	v_mul_f32_e32 v139, v85, v111
	v_mul_f32_e32 v111, v86, v111
	s_waitcnt vmcnt(26)
	v_mul_f32_e32 v140, v87, v112
	v_mul_f32_e32 v112, v88, v112
	s_waitcnt vmcnt(25) lgkmcnt(5)
	v_mul_f32_e32 v141, v89, v113
	v_mul_f32_e32 v113, v90, v113
	s_waitcnt vmcnt(24)
	v_mul_f32_e32 v142, v91, v114
	v_mul_f32_e32 v114, v92, v114
	;; [unrolled: 6-line block ×3, first 2 shown]
	s_waitcnt vmcnt(21) lgkmcnt(3)
	v_mul_f32_e32 v145, v97, v117
	s_waitcnt vmcnt(14)
	v_fma_f32 v85, v85, v124, -v111
	v_fmac_f32_e32 v139, v86, v124
	s_waitcnt vmcnt(13)
	v_fma_f32 v86, v87, v125, -v112
	v_add_f32_e32 v85, 0, v85
	s_waitcnt vmcnt(12)
	v_fma_f32 v87, v89, v126, -v113
	v_add_f32_e32 v85, v85, v86
	v_fmac_f32_e32 v140, v88, v125
	s_waitcnt vmcnt(11)
	v_fma_f32 v88, v91, v127, -v114
	v_add_f32_e32 v85, v85, v87
	s_waitcnt vmcnt(10)
	v_fma_f32 v89, v93, v128, -v115
	v_add_f32_e32 v85, v85, v88
	v_fmac_f32_e32 v141, v90, v126
	s_waitcnt vmcnt(9)
	v_fma_f32 v90, v95, v129, -v116
	v_add_f32_e32 v85, v85, v89
	v_mul_f32_e32 v87, v98, v117
	v_add_f32_e32 v85, v85, v90
	s_waitcnt vmcnt(8)
	v_fma_f32 v87, v97, v130, -v87
	v_add_f32_e32 v85, v85, v87
	v_mul_f32_e32 v87, v100, v118
	v_add_f32_e32 v91, 0, v139
	s_waitcnt vmcnt(7)
	v_fma_f32 v87, v99, v131, -v87
	v_add_f32_e32 v91, v91, v140
	v_add_f32_e32 v85, v85, v87
	s_waitcnt lgkmcnt(2)
	v_mul_f32_e32 v87, v102, v119
	v_fmac_f32_e32 v142, v92, v127
	v_add_f32_e32 v86, v91, v141
	s_waitcnt vmcnt(6)
	v_fma_f32 v87, v101, v132, -v87
	v_fmac_f32_e32 v143, v94, v128
	v_add_f32_e32 v86, v86, v142
	v_add_f32_e32 v85, v85, v87
	v_mul_f32_e32 v87, v104, v120
	v_fmac_f32_e32 v144, v96, v129
	v_add_f32_e32 v86, v86, v143
	s_waitcnt vmcnt(5)
	v_fma_f32 v87, v103, v133, -v87
	v_mul_f32_e32 v146, v99, v118
	v_fmac_f32_e32 v145, v98, v130
	v_add_f32_e32 v86, v86, v144
	v_add_f32_e32 v85, v85, v87
	s_waitcnt lgkmcnt(1)
	v_mul_f32_e32 v87, v106, v121
	v_mul_f32_e32 v147, v101, v119
	v_fmac_f32_e32 v146, v100, v131
	v_add_f32_e32 v86, v86, v145
	s_waitcnt vmcnt(4)
	v_fma_f32 v87, v105, v134, -v87
	v_mul_f32_e32 v148, v103, v120
	v_fmac_f32_e32 v147, v102, v132
	v_add_f32_e32 v86, v86, v146
	v_add_f32_e32 v85, v85, v87
	v_mul_f32_e32 v87, v108, v122
	v_mul_f32_e32 v149, v105, v121
	v_fmac_f32_e32 v148, v104, v133
	v_add_f32_e32 v86, v86, v147
	s_waitcnt vmcnt(3)
	v_fma_f32 v87, v107, v135, -v87
	v_mul_f32_e32 v150, v107, v122
	v_fmac_f32_e32 v149, v106, v134
	v_add_f32_e32 v86, v86, v148
	v_add_f32_e32 v85, v85, v87
	s_waitcnt lgkmcnt(0)
	v_mul_f32_e32 v87, v110, v123
	v_mul_f32_e32 v151, v109, v123
	v_fmac_f32_e32 v150, v108, v135
	v_add_f32_e32 v86, v86, v149
	s_waitcnt vmcnt(2)
	v_fma_f32 v87, v109, v136, -v87
	v_fmac_f32_e32 v151, v110, v136
	v_add_f32_e32 v86, v86, v150
	v_add_f32_e32 v85, v85, v87
	v_add_f32_e32 v86, v86, v151
	s_waitcnt vmcnt(1)
	v_sub_f32_e32 v85, v137, v85
	s_waitcnt vmcnt(0)
	v_sub_f32_e32 v86, v138, v86
	buffer_store_dword v85, off, s[0:3], 0 offset:216
	buffer_store_dword v86, off, s[0:3], 0 offset:220
	s_and_saveexec_b64 s[4:5], vcc
	s_cbranch_execz .LBB104_207
; %bb.206:
	buffer_load_dword v85, off, s[0:3], 0 offset:208
	buffer_load_dword v86, off, s[0:3], 0 offset:212
	s_waitcnt vmcnt(0)
	ds_write_b64 v83, v[85:86]
	buffer_store_dword v84, off, s[0:3], 0 offset:208
	buffer_store_dword v84, off, s[0:3], 0 offset:212
.LBB104_207:
	s_or_b64 exec, exec, s[4:5]
	s_waitcnt lgkmcnt(0)
	; wave barrier
	buffer_load_dword v113, off, s[0:3], 0 offset:220
	buffer_load_dword v114, off, s[0:3], 0 offset:228
	;; [unrolled: 1-line block ×30, first 2 shown]
	ds_read2_b64 v[85:88], v84 offset0:69 offset1:70
	ds_read2_b64 v[89:92], v84 offset0:71 offset1:72
	;; [unrolled: 1-line block ×7, first 2 shown]
	v_cmp_lt_u32_e32 vcc, 25, v0
	s_waitcnt vmcnt(29) lgkmcnt(6)
	v_mul_f32_e32 v84, v85, v113
	v_mul_f32_e32 v113, v86, v113
	s_waitcnt vmcnt(28)
	v_mul_f32_e32 v143, v87, v114
	v_mul_f32_e32 v114, v88, v114
	s_waitcnt vmcnt(27) lgkmcnt(5)
	v_mul_f32_e32 v144, v89, v115
	v_mul_f32_e32 v115, v90, v115
	s_waitcnt vmcnt(26)
	v_mul_f32_e32 v145, v91, v116
	v_mul_f32_e32 v116, v92, v116
	s_waitcnt vmcnt(25) lgkmcnt(4)
	v_mul_f32_e32 v146, v93, v117
	v_mul_f32_e32 v117, v94, v117
	s_waitcnt vmcnt(24)
	v_mul_f32_e32 v147, v95, v118
	s_waitcnt vmcnt(23) lgkmcnt(3)
	v_mul_f32_e32 v148, v97, v119
	s_waitcnt vmcnt(22)
	v_mul_f32_e32 v149, v99, v120
	s_waitcnt vmcnt(21) lgkmcnt(2)
	v_mul_f32_e32 v150, v101, v121
	s_waitcnt vmcnt(15)
	v_fma_f32 v85, v85, v127, -v113
	v_fmac_f32_e32 v84, v86, v127
	s_waitcnt vmcnt(14)
	v_fma_f32 v86, v87, v128, -v114
	v_add_f32_e32 v85, 0, v85
	s_waitcnt vmcnt(13)
	v_fma_f32 v87, v89, v129, -v115
	v_add_f32_e32 v85, v85, v86
	v_fmac_f32_e32 v143, v88, v128
	s_waitcnt vmcnt(12)
	v_fma_f32 v88, v91, v130, -v116
	v_add_f32_e32 v85, v85, v87
	s_waitcnt vmcnt(11)
	v_fma_f32 v89, v93, v131, -v117
	v_add_f32_e32 v85, v85, v88
	v_mul_f32_e32 v86, v96, v118
	v_add_f32_e32 v85, v85, v89
	s_waitcnt vmcnt(10)
	v_fma_f32 v86, v95, v132, -v86
	v_add_f32_e32 v85, v85, v86
	v_mul_f32_e32 v86, v98, v119
	s_waitcnt vmcnt(9)
	v_fma_f32 v86, v97, v133, -v86
	v_add_f32_e32 v85, v85, v86
	v_mul_f32_e32 v86, v100, v120
	s_waitcnt vmcnt(8)
	v_fma_f32 v86, v99, v134, -v86
	v_add_f32_e32 v84, 0, v84
	v_add_f32_e32 v85, v85, v86
	v_mul_f32_e32 v86, v102, v121
	v_fmac_f32_e32 v144, v90, v129
	v_add_f32_e32 v84, v84, v143
	s_waitcnt vmcnt(7)
	v_fma_f32 v86, v101, v135, -v86
	v_fmac_f32_e32 v145, v92, v130
	v_add_f32_e32 v84, v84, v144
	v_add_f32_e32 v85, v85, v86
	v_mul_f32_e32 v86, v104, v122
	v_fmac_f32_e32 v146, v94, v131
	v_add_f32_e32 v84, v84, v145
	s_waitcnt vmcnt(6)
	v_fma_f32 v86, v103, v136, -v86
	v_fmac_f32_e32 v147, v96, v132
	v_add_f32_e32 v84, v84, v146
	v_add_f32_e32 v85, v85, v86
	s_waitcnt lgkmcnt(1)
	v_mul_f32_e32 v86, v106, v123
	v_fmac_f32_e32 v148, v98, v133
	v_add_f32_e32 v84, v84, v147
	s_waitcnt vmcnt(5)
	v_fma_f32 v86, v105, v137, -v86
	v_fmac_f32_e32 v149, v100, v134
	v_add_f32_e32 v84, v84, v148
	v_add_f32_e32 v85, v85, v86
	v_mul_f32_e32 v86, v108, v124
	v_mul_f32_e32 v151, v103, v122
	v_fmac_f32_e32 v150, v102, v135
	v_add_f32_e32 v84, v84, v149
	s_waitcnt vmcnt(4)
	v_fma_f32 v86, v107, v138, -v86
	v_mul_f32_e32 v152, v105, v123
	v_fmac_f32_e32 v151, v104, v136
	v_add_f32_e32 v84, v84, v150
	v_add_f32_e32 v85, v85, v86
	s_waitcnt lgkmcnt(0)
	v_mul_f32_e32 v86, v110, v125
	v_mul_f32_e32 v153, v107, v124
	v_fmac_f32_e32 v152, v106, v137
	v_add_f32_e32 v84, v84, v151
	s_waitcnt vmcnt(3)
	v_fma_f32 v86, v109, v139, -v86
	v_mul_f32_e32 v154, v109, v125
	v_fmac_f32_e32 v153, v108, v138
	v_add_f32_e32 v84, v84, v152
	v_add_f32_e32 v85, v85, v86
	v_mul_f32_e32 v86, v112, v126
	v_mul_f32_e32 v155, v111, v126
	v_fmac_f32_e32 v154, v110, v139
	v_add_f32_e32 v84, v84, v153
	s_waitcnt vmcnt(2)
	v_fma_f32 v86, v111, v140, -v86
	v_fmac_f32_e32 v155, v112, v140
	v_add_f32_e32 v84, v84, v154
	v_add_f32_e32 v85, v85, v86
	;; [unrolled: 1-line block ×3, first 2 shown]
	s_waitcnt vmcnt(1)
	v_sub_f32_e32 v85, v141, v85
	s_waitcnt vmcnt(0)
	v_sub_f32_e32 v84, v142, v84
	buffer_store_dword v85, off, s[0:3], 0 offset:208
	buffer_store_dword v84, off, s[0:3], 0 offset:212
	s_and_saveexec_b64 s[4:5], vcc
	s_cbranch_execz .LBB104_209
; %bb.208:
	buffer_load_dword v84, off, s[0:3], 0 offset:200
	buffer_load_dword v85, off, s[0:3], 0 offset:204
	v_mov_b32_e32 v86, 0
	buffer_store_dword v86, off, s[0:3], 0 offset:200
	buffer_store_dword v86, off, s[0:3], 0 offset:204
	s_waitcnt vmcnt(2)
	ds_write_b64 v83, v[84:85]
.LBB104_209:
	s_or_b64 exec, exec, s[4:5]
	s_waitcnt lgkmcnt(0)
	; wave barrier
	buffer_load_dword v115, off, s[0:3], 0 offset:212
	buffer_load_dword v116, off, s[0:3], 0 offset:220
	;; [unrolled: 1-line block ×32, first 2 shown]
	v_mov_b32_e32 v84, 0
	ds_read_b128 v[85:88], v84 offset:544
	ds_read_b128 v[89:92], v84 offset:560
	;; [unrolled: 1-line block ×7, first 2 shown]
	ds_read_b64 v[113:114], v84 offset:656
	v_cmp_lt_u32_e32 vcc, 24, v0
	s_waitcnt vmcnt(31) lgkmcnt(7)
	v_mul_f32_e32 v147, v85, v115
	v_mul_f32_e32 v115, v86, v115
	s_waitcnt vmcnt(30)
	v_mul_f32_e32 v148, v87, v116
	v_mul_f32_e32 v116, v88, v116
	s_waitcnt vmcnt(29) lgkmcnt(6)
	v_mul_f32_e32 v149, v89, v117
	v_mul_f32_e32 v117, v90, v117
	s_waitcnt vmcnt(28)
	v_mul_f32_e32 v150, v91, v118
	s_waitcnt vmcnt(27) lgkmcnt(5)
	v_mul_f32_e32 v151, v93, v119
	s_waitcnt vmcnt(26)
	v_mul_f32_e32 v152, v95, v120
	s_waitcnt vmcnt(25) lgkmcnt(4)
	;; [unrolled: 4-line block ×4, first 2 shown]
	v_mul_f32_e32 v157, v105, v125
	s_waitcnt vmcnt(20)
	v_mul_f32_e32 v158, v107, v126
	s_waitcnt vmcnt(16)
	v_fma_f32 v85, v85, v130, -v115
	v_fmac_f32_e32 v147, v86, v130
	s_waitcnt vmcnt(15)
	v_fma_f32 v86, v87, v131, -v116
	v_add_f32_e32 v85, 0, v85
	s_waitcnt vmcnt(14)
	v_fma_f32 v87, v89, v132, -v117
	v_add_f32_e32 v85, v85, v86
	v_add_f32_e32 v85, v85, v87
	v_mul_f32_e32 v87, v92, v118
	s_waitcnt vmcnt(13)
	v_fma_f32 v87, v91, v133, -v87
	v_add_f32_e32 v85, v85, v87
	v_mul_f32_e32 v87, v94, v119
	s_waitcnt vmcnt(12)
	v_fma_f32 v87, v93, v134, -v87
	;; [unrolled: 4-line block ×5, first 2 shown]
	v_add_f32_e32 v85, v85, v87
	v_mul_f32_e32 v87, v102, v123
	v_fmac_f32_e32 v148, v88, v131
	v_add_f32_e32 v88, 0, v147
	s_waitcnt vmcnt(8)
	v_fma_f32 v87, v101, v138, -v87
	v_fmac_f32_e32 v149, v90, v132
	v_add_f32_e32 v88, v88, v148
	v_add_f32_e32 v85, v85, v87
	v_mul_f32_e32 v87, v104, v124
	v_fmac_f32_e32 v150, v92, v133
	v_add_f32_e32 v86, v88, v149
	s_waitcnt vmcnt(7)
	v_fma_f32 v87, v103, v139, -v87
	v_fmac_f32_e32 v151, v94, v134
	v_add_f32_e32 v86, v86, v150
	v_add_f32_e32 v85, v85, v87
	v_mul_f32_e32 v87, v106, v125
	v_fmac_f32_e32 v152, v96, v135
	v_add_f32_e32 v86, v86, v151
	s_waitcnt vmcnt(6)
	v_fma_f32 v87, v105, v140, -v87
	v_fmac_f32_e32 v153, v98, v136
	v_add_f32_e32 v86, v86, v152
	v_add_f32_e32 v85, v85, v87
	v_mul_f32_e32 v87, v108, v126
	v_fmac_f32_e32 v154, v100, v137
	v_add_f32_e32 v86, v86, v153
	s_waitcnt vmcnt(5)
	v_fma_f32 v87, v107, v141, -v87
	v_fmac_f32_e32 v155, v102, v138
	v_add_f32_e32 v86, v86, v154
	v_add_f32_e32 v85, v85, v87
	s_waitcnt lgkmcnt(1)
	v_mul_f32_e32 v87, v110, v127
	v_fmac_f32_e32 v156, v104, v139
	v_add_f32_e32 v86, v86, v155
	s_waitcnt vmcnt(4)
	v_fma_f32 v87, v109, v142, -v87
	v_fmac_f32_e32 v157, v106, v140
	v_add_f32_e32 v86, v86, v156
	v_add_f32_e32 v85, v85, v87
	v_mul_f32_e32 v87, v112, v128
	v_mul_f32_e32 v159, v109, v127
	v_fmac_f32_e32 v158, v108, v141
	v_add_f32_e32 v86, v86, v157
	s_waitcnt vmcnt(3)
	v_fma_f32 v87, v111, v143, -v87
	v_mul_f32_e32 v160, v111, v128
	v_fmac_f32_e32 v159, v110, v142
	v_add_f32_e32 v86, v86, v158
	v_add_f32_e32 v85, v85, v87
	s_waitcnt lgkmcnt(0)
	v_mul_f32_e32 v87, v114, v129
	v_mul_f32_e32 v161, v113, v129
	v_fmac_f32_e32 v160, v112, v143
	v_add_f32_e32 v86, v86, v159
	s_waitcnt vmcnt(2)
	v_fma_f32 v87, v113, v144, -v87
	v_fmac_f32_e32 v161, v114, v144
	v_add_f32_e32 v86, v86, v160
	v_add_f32_e32 v85, v85, v87
	;; [unrolled: 1-line block ×3, first 2 shown]
	s_waitcnt vmcnt(1)
	v_sub_f32_e32 v85, v145, v85
	s_waitcnt vmcnt(0)
	v_sub_f32_e32 v86, v146, v86
	buffer_store_dword v85, off, s[0:3], 0 offset:200
	buffer_store_dword v86, off, s[0:3], 0 offset:204
	s_and_saveexec_b64 s[4:5], vcc
	s_cbranch_execz .LBB104_211
; %bb.210:
	buffer_load_dword v85, off, s[0:3], 0 offset:192
	buffer_load_dword v86, off, s[0:3], 0 offset:196
	s_waitcnt vmcnt(0)
	ds_write_b64 v83, v[85:86]
	buffer_store_dword v84, off, s[0:3], 0 offset:192
	buffer_store_dword v84, off, s[0:3], 0 offset:196
.LBB104_211:
	s_or_b64 exec, exec, s[4:5]
	s_waitcnt lgkmcnt(0)
	; wave barrier
	buffer_load_dword v117, off, s[0:3], 0 offset:204
	buffer_load_dword v118, off, s[0:3], 0 offset:212
	;; [unrolled: 1-line block ×34, first 2 shown]
	ds_read2_b64 v[85:88], v84 offset0:67 offset1:68
	ds_read2_b64 v[89:92], v84 offset0:69 offset1:70
	ds_read2_b64 v[93:96], v84 offset0:71 offset1:72
	ds_read2_b64 v[97:100], v84 offset0:73 offset1:74
	ds_read2_b64 v[101:104], v84 offset0:75 offset1:76
	ds_read2_b64 v[105:108], v84 offset0:77 offset1:78
	ds_read2_b64 v[109:112], v84 offset0:79 offset1:80
	ds_read2_b64 v[113:116], v84 offset0:81 offset1:82
	v_cmp_lt_u32_e32 vcc, 23, v0
	s_waitcnt vmcnt(33) lgkmcnt(7)
	v_mul_f32_e32 v84, v85, v117
	v_mul_f32_e32 v117, v86, v117
	s_waitcnt vmcnt(32)
	v_mul_f32_e32 v151, v87, v118
	v_mul_f32_e32 v118, v88, v118
	s_waitcnt vmcnt(31) lgkmcnt(6)
	v_mul_f32_e32 v152, v89, v119
	s_waitcnt vmcnt(30)
	v_mul_f32_e32 v153, v91, v120
	s_waitcnt vmcnt(29) lgkmcnt(5)
	v_mul_f32_e32 v154, v93, v121
	s_waitcnt vmcnt(28)
	;; [unrolled: 4-line block ×6, first 2 shown]
	v_mul_f32_e32 v163, v111, v130
	s_waitcnt vmcnt(17)
	v_fma_f32 v85, v85, v133, -v117
	v_fmac_f32_e32 v84, v86, v133
	s_waitcnt vmcnt(16)
	v_fma_f32 v86, v87, v134, -v118
	v_add_f32_e32 v85, 0, v85
	v_add_f32_e32 v85, v85, v86
	v_mul_f32_e32 v86, v90, v119
	s_waitcnt vmcnt(15)
	v_fma_f32 v86, v89, v135, -v86
	v_add_f32_e32 v85, v85, v86
	v_mul_f32_e32 v86, v92, v120
	s_waitcnt vmcnt(14)
	v_fma_f32 v86, v91, v136, -v86
	;; [unrolled: 4-line block ×7, first 2 shown]
	v_fmac_f32_e32 v151, v88, v134
	v_add_f32_e32 v84, 0, v84
	v_add_f32_e32 v85, v85, v86
	v_mul_f32_e32 v86, v104, v126
	v_fmac_f32_e32 v152, v90, v135
	v_add_f32_e32 v84, v84, v151
	s_waitcnt vmcnt(8)
	v_fma_f32 v86, v103, v142, -v86
	v_fmac_f32_e32 v153, v92, v136
	v_add_f32_e32 v84, v84, v152
	v_add_f32_e32 v85, v85, v86
	v_mul_f32_e32 v86, v106, v127
	v_fmac_f32_e32 v154, v94, v137
	v_add_f32_e32 v84, v84, v153
	s_waitcnt vmcnt(7)
	v_fma_f32 v86, v105, v143, -v86
	v_fmac_f32_e32 v155, v96, v138
	v_add_f32_e32 v84, v84, v154
	v_add_f32_e32 v85, v85, v86
	v_mul_f32_e32 v86, v108, v128
	v_fmac_f32_e32 v156, v98, v139
	v_add_f32_e32 v84, v84, v155
	s_waitcnt vmcnt(6)
	v_fma_f32 v86, v107, v144, -v86
	v_fmac_f32_e32 v157, v100, v140
	v_add_f32_e32 v84, v84, v156
	v_add_f32_e32 v85, v85, v86
	v_mul_f32_e32 v86, v110, v129
	v_fmac_f32_e32 v158, v102, v141
	v_add_f32_e32 v84, v84, v157
	s_waitcnt vmcnt(5)
	v_fma_f32 v86, v109, v145, -v86
	v_fmac_f32_e32 v159, v104, v142
	v_add_f32_e32 v84, v84, v158
	v_add_f32_e32 v85, v85, v86
	v_mul_f32_e32 v86, v112, v130
	v_fmac_f32_e32 v160, v106, v143
	v_add_f32_e32 v84, v84, v159
	s_waitcnt vmcnt(4)
	v_fma_f32 v86, v111, v146, -v86
	v_fmac_f32_e32 v161, v108, v144
	v_add_f32_e32 v84, v84, v160
	v_add_f32_e32 v85, v85, v86
	s_waitcnt lgkmcnt(0)
	v_mul_f32_e32 v86, v114, v131
	v_fmac_f32_e32 v162, v110, v145
	v_add_f32_e32 v84, v84, v161
	s_waitcnt vmcnt(3)
	v_fma_f32 v86, v113, v147, -v86
	v_mul_f32_e32 v164, v113, v131
	v_fmac_f32_e32 v163, v112, v146
	v_add_f32_e32 v84, v84, v162
	v_add_f32_e32 v85, v85, v86
	v_mul_f32_e32 v86, v116, v132
	v_mul_f32_e32 v165, v115, v132
	v_fmac_f32_e32 v164, v114, v147
	v_add_f32_e32 v84, v84, v163
	s_waitcnt vmcnt(2)
	v_fma_f32 v86, v115, v148, -v86
	v_fmac_f32_e32 v165, v116, v148
	v_add_f32_e32 v84, v84, v164
	v_add_f32_e32 v85, v85, v86
	;; [unrolled: 1-line block ×3, first 2 shown]
	s_waitcnt vmcnt(1)
	v_sub_f32_e32 v85, v149, v85
	s_waitcnt vmcnt(0)
	v_sub_f32_e32 v84, v150, v84
	buffer_store_dword v85, off, s[0:3], 0 offset:192
	buffer_store_dword v84, off, s[0:3], 0 offset:196
	s_and_saveexec_b64 s[4:5], vcc
	s_cbranch_execz .LBB104_213
; %bb.212:
	buffer_load_dword v84, off, s[0:3], 0 offset:184
	buffer_load_dword v85, off, s[0:3], 0 offset:188
	v_mov_b32_e32 v86, 0
	buffer_store_dword v86, off, s[0:3], 0 offset:184
	buffer_store_dword v86, off, s[0:3], 0 offset:188
	s_waitcnt vmcnt(2)
	ds_write_b64 v83, v[84:85]
.LBB104_213:
	s_or_b64 exec, exec, s[4:5]
	s_waitcnt lgkmcnt(0)
	; wave barrier
	buffer_load_dword v119, off, s[0:3], 0 offset:196
	buffer_load_dword v120, off, s[0:3], 0 offset:204
	;; [unrolled: 1-line block ×36, first 2 shown]
	v_mov_b32_e32 v84, 0
	ds_read_b128 v[85:88], v84 offset:528
	ds_read_b128 v[89:92], v84 offset:544
	;; [unrolled: 1-line block ×8, first 2 shown]
	ds_read_b64 v[117:118], v84 offset:656
	v_cmp_lt_u32_e32 vcc, 22, v0
	s_waitcnt vmcnt(35) lgkmcnt(8)
	v_mul_f32_e32 v155, v85, v119
	s_waitcnt vmcnt(34)
	v_mul_f32_e32 v156, v87, v120
	s_waitcnt vmcnt(33) lgkmcnt(7)
	v_mul_f32_e32 v157, v89, v121
	s_waitcnt vmcnt(32)
	v_mul_f32_e32 v158, v91, v122
	s_waitcnt vmcnt(31) lgkmcnt(6)
	v_mul_f32_e32 v159, v93, v123
	s_waitcnt vmcnt(30)
	v_mul_f32_e32 v160, v95, v124
	s_waitcnt vmcnt(29) lgkmcnt(5)
	v_mul_f32_e32 v161, v97, v125
	s_waitcnt vmcnt(28)
	v_mul_f32_e32 v162, v99, v126
	s_waitcnt vmcnt(27) lgkmcnt(4)
	v_mul_f32_e32 v163, v101, v127
	s_waitcnt vmcnt(26)
	v_mul_f32_e32 v164, v103, v128
	s_waitcnt vmcnt(25) lgkmcnt(3)
	v_mul_f32_e32 v165, v105, v129
	s_waitcnt vmcnt(24)
	v_mul_f32_e32 v166, v107, v130
	s_waitcnt vmcnt(23) lgkmcnt(2)
	v_mul_f32_e32 v167, v109, v131
	s_waitcnt vmcnt(22)
	v_mul_f32_e32 v168, v111, v132
	s_waitcnt vmcnt(21) lgkmcnt(1)
	v_mul_f32_e32 v169, v113, v133
	s_waitcnt vmcnt(20)
	v_mul_f32_e32 v170, v115, v134
	s_waitcnt vmcnt(19) lgkmcnt(0)
	v_mul_f32_e32 v171, v117, v135
	s_waitcnt vmcnt(18)
	v_fmac_f32_e32 v155, v86, v136
	v_mul_f32_e32 v86, v86, v119
	v_fma_f32 v85, v85, v136, -v86
	v_mul_f32_e32 v86, v88, v120
	v_add_f32_e32 v85, 0, v85
	s_waitcnt vmcnt(17)
	v_fma_f32 v86, v87, v137, -v86
	v_add_f32_e32 v85, v85, v86
	v_mul_f32_e32 v86, v90, v121
	s_waitcnt vmcnt(16)
	v_fma_f32 v86, v89, v138, -v86
	v_add_f32_e32 v85, v85, v86
	v_mul_f32_e32 v86, v92, v122
	;; [unrolled: 4-line block ×8, first 2 shown]
	v_fmac_f32_e32 v156, v88, v137
	v_add_f32_e32 v155, 0, v155
	s_waitcnt vmcnt(9)
	v_fma_f32 v86, v103, v145, -v86
	v_fmac_f32_e32 v157, v90, v138
	v_add_f32_e32 v155, v155, v156
	v_add_f32_e32 v85, v85, v86
	v_mul_f32_e32 v86, v106, v129
	v_fmac_f32_e32 v158, v92, v139
	v_add_f32_e32 v155, v155, v157
	s_waitcnt vmcnt(8)
	v_fma_f32 v86, v105, v146, -v86
	v_fmac_f32_e32 v159, v94, v140
	v_add_f32_e32 v155, v155, v158
	v_add_f32_e32 v85, v85, v86
	v_mul_f32_e32 v86, v108, v130
	;; [unrolled: 8-line block ×7, first 2 shown]
	v_fmac_f32_e32 v170, v116, v151
	v_add_f32_e32 v155, v155, v169
	s_waitcnt vmcnt(2)
	v_fma_f32 v86, v117, v152, -v86
	v_fmac_f32_e32 v171, v118, v152
	v_add_f32_e32 v155, v155, v170
	v_add_f32_e32 v85, v85, v86
	;; [unrolled: 1-line block ×3, first 2 shown]
	s_waitcnt vmcnt(1)
	v_sub_f32_e32 v85, v153, v85
	s_waitcnt vmcnt(0)
	v_sub_f32_e32 v86, v154, v155
	buffer_store_dword v85, off, s[0:3], 0 offset:184
	buffer_store_dword v86, off, s[0:3], 0 offset:188
	s_and_saveexec_b64 s[4:5], vcc
	s_cbranch_execz .LBB104_215
; %bb.214:
	buffer_load_dword v85, off, s[0:3], 0 offset:176
	buffer_load_dword v86, off, s[0:3], 0 offset:180
	s_waitcnt vmcnt(0)
	ds_write_b64 v83, v[85:86]
	buffer_store_dword v84, off, s[0:3], 0 offset:176
	buffer_store_dword v84, off, s[0:3], 0 offset:180
.LBB104_215:
	s_or_b64 exec, exec, s[4:5]
	s_waitcnt lgkmcnt(0)
	; wave barrier
	buffer_load_dword v121, off, s[0:3], 0 offset:188
	buffer_load_dword v122, off, s[0:3], 0 offset:196
	;; [unrolled: 1-line block ×38, first 2 shown]
	ds_read2_b64 v[85:88], v84 offset0:65 offset1:66
	ds_read2_b64 v[89:92], v84 offset0:67 offset1:68
	;; [unrolled: 1-line block ×9, first 2 shown]
	v_cmp_lt_u32_e32 vcc, 21, v0
	s_waitcnt vmcnt(37) lgkmcnt(8)
	v_mul_f32_e32 v84, v85, v121
	s_waitcnt vmcnt(36)
	v_mul_f32_e32 v159, v87, v122
	s_waitcnt vmcnt(35) lgkmcnt(7)
	v_mul_f32_e32 v160, v89, v123
	s_waitcnt vmcnt(34)
	v_mul_f32_e32 v161, v91, v124
	;; [unrolled: 4-line block ×8, first 2 shown]
	s_waitcnt vmcnt(21) lgkmcnt(0)
	v_mul_f32_e32 v174, v117, v137
	s_waitcnt vmcnt(20)
	v_fmac_f32_e32 v84, v86, v138
	v_mul_f32_e32 v86, v86, v121
	v_fma_f32 v85, v85, v138, -v86
	v_mul_f32_e32 v86, v88, v122
	v_add_f32_e32 v85, 0, v85
	s_waitcnt vmcnt(19)
	v_fma_f32 v86, v87, v139, -v86
	v_add_f32_e32 v85, v85, v86
	v_mul_f32_e32 v86, v90, v123
	s_waitcnt vmcnt(18)
	v_fma_f32 v86, v89, v140, -v86
	v_add_f32_e32 v85, v85, v86
	v_mul_f32_e32 v86, v92, v124
	;; [unrolled: 4-line block ×8, first 2 shown]
	s_waitcnt vmcnt(11)
	v_fma_f32 v86, v103, v147, -v86
	v_fmac_f32_e32 v159, v88, v139
	v_add_f32_e32 v84, 0, v84
	v_add_f32_e32 v85, v85, v86
	v_mul_f32_e32 v86, v106, v131
	v_fmac_f32_e32 v160, v90, v140
	v_add_f32_e32 v84, v84, v159
	s_waitcnt vmcnt(10)
	v_fma_f32 v86, v105, v148, -v86
	v_fmac_f32_e32 v161, v92, v141
	v_add_f32_e32 v84, v84, v160
	v_add_f32_e32 v85, v85, v86
	v_mul_f32_e32 v86, v108, v132
	v_fmac_f32_e32 v162, v94, v142
	v_add_f32_e32 v84, v84, v161
	;; [unrolled: 8-line block ×7, first 2 shown]
	s_waitcnt vmcnt(4)
	v_fma_f32 v86, v117, v154, -v86
	v_fmac_f32_e32 v173, v116, v153
	v_add_f32_e32 v84, v84, v172
	v_add_f32_e32 v85, v85, v86
	s_waitcnt vmcnt(3)
	v_mul_f32_e32 v86, v120, v155
	v_add_f32_e32 v84, v84, v173
	v_fmac_f32_e32 v174, v118, v154
	v_mul_f32_e32 v159, v119, v155
	s_waitcnt vmcnt(2)
	v_fma_f32 v86, v119, v156, -v86
	v_add_f32_e32 v84, v84, v174
	v_fmac_f32_e32 v159, v120, v156
	v_add_f32_e32 v85, v85, v86
	v_add_f32_e32 v84, v84, v159
	s_waitcnt vmcnt(1)
	v_sub_f32_e32 v85, v157, v85
	s_waitcnt vmcnt(0)
	v_sub_f32_e32 v84, v158, v84
	buffer_store_dword v85, off, s[0:3], 0 offset:176
	buffer_store_dword v84, off, s[0:3], 0 offset:180
	s_and_saveexec_b64 s[4:5], vcc
	s_cbranch_execz .LBB104_217
; %bb.216:
	buffer_load_dword v84, off, s[0:3], 0 offset:168
	buffer_load_dword v85, off, s[0:3], 0 offset:172
	v_mov_b32_e32 v86, 0
	buffer_store_dword v86, off, s[0:3], 0 offset:168
	buffer_store_dword v86, off, s[0:3], 0 offset:172
	s_waitcnt vmcnt(2)
	ds_write_b64 v83, v[84:85]
.LBB104_217:
	s_or_b64 exec, exec, s[4:5]
	s_waitcnt lgkmcnt(0)
	; wave barrier
	buffer_load_dword v123, off, s[0:3], 0 offset:180
	buffer_load_dword v124, off, s[0:3], 0 offset:188
	;; [unrolled: 1-line block ×40, first 2 shown]
	v_mov_b32_e32 v84, 0
	ds_read_b128 v[85:88], v84 offset:512
	ds_read_b128 v[89:92], v84 offset:528
	ds_read_b128 v[93:96], v84 offset:544
	ds_read_b128 v[97:100], v84 offset:560
	ds_read_b128 v[101:104], v84 offset:576
	ds_read_b128 v[105:108], v84 offset:592
	ds_read_b128 v[109:112], v84 offset:608
	ds_read_b128 v[113:116], v84 offset:624
	ds_read_b128 v[117:120], v84 offset:640
	v_cmp_lt_u32_e32 vcc, 20, v0
	s_waitcnt vmcnt(39) lgkmcnt(8)
	v_mul_f32_e32 v121, v85, v123
	s_waitcnt vmcnt(38)
	v_mul_f32_e32 v122, v87, v124
	s_waitcnt vmcnt(37) lgkmcnt(7)
	v_mul_f32_e32 v163, v89, v125
	s_waitcnt vmcnt(36)
	v_mul_f32_e32 v164, v91, v126
	;; [unrolled: 4-line block ×7, first 2 shown]
	s_waitcnt vmcnt(25) lgkmcnt(1)
	v_mul_f32_e32 v175, v113, v137
	s_waitcnt vmcnt(24)
	v_fmac_f32_e32 v121, v86, v138
	v_mul_f32_e32 v86, v86, v123
	v_fma_f32 v85, v85, v138, -v86
	v_mul_f32_e32 v86, v88, v124
	v_add_f32_e32 v85, 0, v85
	s_waitcnt vmcnt(23)
	v_fma_f32 v86, v87, v139, -v86
	v_add_f32_e32 v85, v85, v86
	v_mul_f32_e32 v86, v90, v125
	s_waitcnt vmcnt(22)
	v_fma_f32 v86, v89, v140, -v86
	v_add_f32_e32 v85, v85, v86
	v_mul_f32_e32 v86, v92, v126
	;; [unrolled: 4-line block ×6, first 2 shown]
	s_waitcnt vmcnt(17)
	v_fma_f32 v86, v99, v145, -v86
	v_fmac_f32_e32 v122, v88, v139
	v_add_f32_e32 v121, 0, v121
	v_add_f32_e32 v85, v85, v86
	v_mul_f32_e32 v86, v102, v131
	v_fmac_f32_e32 v163, v90, v140
	v_add_f32_e32 v121, v121, v122
	s_waitcnt vmcnt(16)
	v_fma_f32 v86, v101, v146, -v86
	v_fmac_f32_e32 v164, v92, v141
	v_add_f32_e32 v121, v121, v163
	v_add_f32_e32 v85, v85, v86
	v_mul_f32_e32 v86, v104, v132
	v_fmac_f32_e32 v165, v94, v142
	v_add_f32_e32 v121, v121, v164
	;; [unrolled: 8-line block ×6, first 2 shown]
	s_waitcnt vmcnt(11)
	v_fma_f32 v86, v111, v151, -v86
	v_fmac_f32_e32 v174, v112, v151
	v_add_f32_e32 v121, v121, v173
	v_add_f32_e32 v85, v85, v86
	v_mul_f32_e32 v86, v114, v137
	s_waitcnt vmcnt(10)
	v_fmac_f32_e32 v175, v114, v152
	v_add_f32_e32 v121, v121, v174
	s_waitcnt vmcnt(9)
	v_mul_f32_e32 v122, v115, v153
	v_fma_f32 v86, v113, v152, -v86
	v_add_f32_e32 v121, v121, v175
	s_waitcnt vmcnt(8)
	v_fmac_f32_e32 v122, v116, v154
	v_add_f32_e32 v85, v85, v86
	v_mul_f32_e32 v86, v116, v153
	v_add_f32_e32 v163, v121, v122
	ds_read_b64 v[121:122], v84 offset:656
	v_fma_f32 v86, v115, v154, -v86
	v_add_f32_e32 v85, v85, v86
	s_waitcnt vmcnt(7) lgkmcnt(1)
	v_mul_f32_e32 v86, v118, v155
	v_mul_f32_e32 v164, v117, v155
	s_waitcnt vmcnt(6)
	v_fma_f32 v86, v117, v156, -v86
	v_fmac_f32_e32 v164, v118, v156
	v_add_f32_e32 v85, v85, v86
	s_waitcnt vmcnt(5)
	v_mul_f32_e32 v86, v120, v157
	v_add_f32_e32 v163, v163, v164
	v_mul_f32_e32 v164, v119, v157
	s_waitcnt vmcnt(4)
	v_fma_f32 v86, v119, v158, -v86
	v_fmac_f32_e32 v164, v120, v158
	v_add_f32_e32 v85, v85, v86
	s_waitcnt vmcnt(3) lgkmcnt(0)
	v_mul_f32_e32 v86, v122, v159
	v_add_f32_e32 v163, v163, v164
	v_mul_f32_e32 v164, v121, v159
	s_waitcnt vmcnt(2)
	v_fma_f32 v86, v121, v160, -v86
	v_fmac_f32_e32 v164, v122, v160
	v_add_f32_e32 v85, v85, v86
	v_add_f32_e32 v163, v163, v164
	s_waitcnt vmcnt(1)
	v_sub_f32_e32 v85, v161, v85
	s_waitcnt vmcnt(0)
	v_sub_f32_e32 v86, v162, v163
	buffer_store_dword v85, off, s[0:3], 0 offset:168
	buffer_store_dword v86, off, s[0:3], 0 offset:172
	s_and_saveexec_b64 s[4:5], vcc
	s_cbranch_execz .LBB104_219
; %bb.218:
	buffer_load_dword v85, off, s[0:3], 0 offset:160
	buffer_load_dword v86, off, s[0:3], 0 offset:164
	s_waitcnt vmcnt(0)
	ds_write_b64 v83, v[85:86]
	buffer_store_dword v84, off, s[0:3], 0 offset:160
	buffer_store_dword v84, off, s[0:3], 0 offset:164
.LBB104_219:
	s_or_b64 exec, exec, s[4:5]
	s_waitcnt lgkmcnt(0)
	; wave barrier
	buffer_load_dword v125, off, s[0:3], 0 offset:172
	buffer_load_dword v126, off, s[0:3], 0 offset:180
	;; [unrolled: 1-line block ×42, first 2 shown]
	ds_read2_b64 v[85:88], v84 offset0:63 offset1:64
	ds_read2_b64 v[89:92], v84 offset0:65 offset1:66
	;; [unrolled: 1-line block ×8, first 2 shown]
	v_cmp_lt_u32_e32 vcc, 19, v0
	s_waitcnt vmcnt(41) lgkmcnt(7)
	v_mul_f32_e32 v117, v85, v125
	s_waitcnt vmcnt(40)
	v_mul_f32_e32 v118, v87, v126
	s_waitcnt vmcnt(39) lgkmcnt(6)
	v_mul_f32_e32 v119, v89, v127
	s_waitcnt vmcnt(38)
	v_mul_f32_e32 v120, v91, v128
	;; [unrolled: 4-line block ×7, first 2 shown]
	s_waitcnt vmcnt(27) lgkmcnt(0)
	v_mul_f32_e32 v173, v113, v139
	s_waitcnt vmcnt(26)
	v_fmac_f32_e32 v117, v86, v140
	v_mul_f32_e32 v86, v86, v125
	v_fma_f32 v85, v85, v140, -v86
	v_mul_f32_e32 v86, v88, v126
	v_add_f32_e32 v85, 0, v85
	s_waitcnt vmcnt(25)
	v_fma_f32 v86, v87, v141, -v86
	v_add_f32_e32 v85, v85, v86
	v_mul_f32_e32 v86, v90, v127
	s_waitcnt vmcnt(24)
	v_fma_f32 v86, v89, v142, -v86
	v_add_f32_e32 v85, v85, v86
	v_mul_f32_e32 v86, v92, v128
	;; [unrolled: 4-line block ×5, first 2 shown]
	v_fmac_f32_e32 v118, v88, v141
	v_add_f32_e32 v117, 0, v117
	s_waitcnt vmcnt(20)
	v_fma_f32 v86, v97, v146, -v86
	v_fmac_f32_e32 v119, v90, v142
	v_add_f32_e32 v117, v117, v118
	v_add_f32_e32 v85, v85, v86
	v_mul_f32_e32 v86, v100, v132
	v_fmac_f32_e32 v120, v92, v143
	v_add_f32_e32 v117, v117, v119
	s_waitcnt vmcnt(19)
	v_fma_f32 v86, v99, v147, -v86
	v_fmac_f32_e32 v121, v94, v144
	v_add_f32_e32 v117, v117, v120
	v_add_f32_e32 v85, v85, v86
	v_mul_f32_e32 v86, v102, v133
	;; [unrolled: 8-line block ×5, first 2 shown]
	s_waitcnt vmcnt(15)
	v_fmac_f32_e32 v170, v108, v151
	v_add_f32_e32 v117, v117, v169
	v_fma_f32 v86, v107, v151, -v86
	s_waitcnt vmcnt(14)
	v_fmac_f32_e32 v171, v110, v152
	v_add_f32_e32 v117, v117, v170
	v_add_f32_e32 v85, v85, v86
	v_mul_f32_e32 v86, v110, v137
	s_waitcnt vmcnt(13)
	v_fmac_f32_e32 v172, v112, v153
	v_add_f32_e32 v117, v117, v171
	v_fma_f32 v86, v109, v152, -v86
	s_waitcnt vmcnt(12)
	v_fmac_f32_e32 v173, v114, v154
	v_add_f32_e32 v117, v117, v172
	v_add_f32_e32 v85, v85, v86
	v_mul_f32_e32 v86, v112, v138
	v_add_f32_e32 v121, v117, v173
	ds_read2_b64 v[117:120], v84 offset0:79 offset1:80
	v_fma_f32 v86, v111, v153, -v86
	v_add_f32_e32 v85, v85, v86
	v_mul_f32_e32 v86, v114, v139
	s_waitcnt vmcnt(11)
	v_mul_f32_e32 v122, v115, v155
	v_fma_f32 v86, v113, v154, -v86
	s_waitcnt vmcnt(10)
	v_fmac_f32_e32 v122, v116, v156
	v_add_f32_e32 v85, v85, v86
	v_mul_f32_e32 v86, v116, v155
	v_add_f32_e32 v167, v121, v122
	ds_read2_b64 v[121:124], v84 offset0:81 offset1:82
	v_fma_f32 v86, v115, v156, -v86
	v_add_f32_e32 v85, v85, v86
	s_waitcnt vmcnt(9) lgkmcnt(1)
	v_mul_f32_e32 v86, v118, v157
	v_mul_f32_e32 v84, v117, v157
	s_waitcnt vmcnt(8)
	v_fma_f32 v86, v117, v158, -v86
	v_fmac_f32_e32 v84, v118, v158
	v_add_f32_e32 v85, v85, v86
	s_waitcnt vmcnt(7)
	v_mul_f32_e32 v86, v120, v159
	v_add_f32_e32 v84, v167, v84
	v_mul_f32_e32 v167, v119, v159
	s_waitcnt vmcnt(6)
	v_fma_f32 v86, v119, v160, -v86
	v_fmac_f32_e32 v167, v120, v160
	v_add_f32_e32 v85, v85, v86
	s_waitcnt vmcnt(5) lgkmcnt(0)
	v_mul_f32_e32 v86, v122, v161
	v_add_f32_e32 v84, v84, v167
	v_mul_f32_e32 v167, v121, v161
	s_waitcnt vmcnt(4)
	v_fma_f32 v86, v121, v162, -v86
	v_fmac_f32_e32 v167, v122, v162
	v_add_f32_e32 v85, v85, v86
	s_waitcnt vmcnt(3)
	v_mul_f32_e32 v86, v124, v163
	v_add_f32_e32 v84, v84, v167
	v_mul_f32_e32 v167, v123, v163
	s_waitcnt vmcnt(2)
	v_fma_f32 v86, v123, v164, -v86
	v_fmac_f32_e32 v167, v124, v164
	v_add_f32_e32 v85, v85, v86
	v_add_f32_e32 v84, v84, v167
	s_waitcnt vmcnt(1)
	v_sub_f32_e32 v85, v165, v85
	s_waitcnt vmcnt(0)
	v_sub_f32_e32 v84, v166, v84
	buffer_store_dword v85, off, s[0:3], 0 offset:160
	buffer_store_dword v84, off, s[0:3], 0 offset:164
	s_and_saveexec_b64 s[4:5], vcc
	s_cbranch_execz .LBB104_221
; %bb.220:
	buffer_load_dword v84, off, s[0:3], 0 offset:152
	buffer_load_dword v85, off, s[0:3], 0 offset:156
	v_mov_b32_e32 v86, 0
	buffer_store_dword v86, off, s[0:3], 0 offset:152
	buffer_store_dword v86, off, s[0:3], 0 offset:156
	s_waitcnt vmcnt(2)
	ds_write_b64 v83, v[84:85]
.LBB104_221:
	s_or_b64 exec, exec, s[4:5]
	s_waitcnt lgkmcnt(0)
	; wave barrier
	buffer_load_dword v127, off, s[0:3], 0 offset:164
	buffer_load_dword v128, off, s[0:3], 0 offset:172
	;; [unrolled: 1-line block ×44, first 2 shown]
	v_mov_b32_e32 v84, 0
	ds_read_b128 v[85:88], v84 offset:496
	ds_read_b128 v[89:92], v84 offset:512
	;; [unrolled: 1-line block ×8, first 2 shown]
	v_cmp_lt_u32_e32 vcc, 18, v0
	s_waitcnt vmcnt(43) lgkmcnt(7)
	v_mul_f32_e32 v117, v85, v127
	s_waitcnt vmcnt(42)
	v_mul_f32_e32 v118, v87, v128
	s_waitcnt vmcnt(41) lgkmcnt(6)
	v_mul_f32_e32 v119, v89, v129
	s_waitcnt vmcnt(40)
	v_mul_f32_e32 v120, v91, v130
	s_waitcnt vmcnt(39) lgkmcnt(5)
	v_mul_f32_e32 v121, v93, v131
	s_waitcnt vmcnt(38)
	v_mul_f32_e32 v122, v95, v132
	s_waitcnt vmcnt(37) lgkmcnt(4)
	v_mul_f32_e32 v123, v97, v133
	s_waitcnt vmcnt(36)
	v_mul_f32_e32 v124, v99, v134
	s_waitcnt vmcnt(35) lgkmcnt(3)
	v_mul_f32_e32 v125, v101, v135
	s_waitcnt vmcnt(34)
	v_mul_f32_e32 v126, v103, v136
	s_waitcnt vmcnt(33) lgkmcnt(2)
	v_mul_f32_e32 v171, v105, v137
	s_waitcnt vmcnt(32)
	v_mul_f32_e32 v172, v107, v138
	s_waitcnt vmcnt(31) lgkmcnt(1)
	v_mul_f32_e32 v173, v109, v139
	s_waitcnt vmcnt(30)
	v_mul_f32_e32 v174, v111, v140
	s_waitcnt vmcnt(29)
	v_fmac_f32_e32 v117, v86, v141
	v_mul_f32_e32 v86, v86, v127
	v_fma_f32 v85, v85, v141, -v86
	v_mul_f32_e32 v86, v88, v128
	v_add_f32_e32 v85, 0, v85
	s_waitcnt vmcnt(28)
	v_fma_f32 v86, v87, v142, -v86
	v_add_f32_e32 v85, v85, v86
	v_mul_f32_e32 v86, v90, v129
	s_waitcnt vmcnt(27)
	v_fma_f32 v86, v89, v143, -v86
	v_add_f32_e32 v85, v85, v86
	v_mul_f32_e32 v86, v92, v130
	;; [unrolled: 4-line block ×4, first 2 shown]
	s_waitcnt vmcnt(24)
	v_fma_f32 v86, v95, v146, -v86
	v_fmac_f32_e32 v118, v88, v142
	v_add_f32_e32 v117, 0, v117
	v_add_f32_e32 v85, v85, v86
	v_mul_f32_e32 v86, v98, v133
	v_fmac_f32_e32 v119, v90, v143
	v_add_f32_e32 v117, v117, v118
	s_waitcnt vmcnt(23)
	v_fma_f32 v86, v97, v147, -v86
	v_fmac_f32_e32 v120, v92, v144
	v_add_f32_e32 v117, v117, v119
	v_add_f32_e32 v85, v85, v86
	v_mul_f32_e32 v86, v100, v134
	v_fmac_f32_e32 v121, v94, v145
	v_add_f32_e32 v117, v117, v120
	;; [unrolled: 8-line block ×4, first 2 shown]
	s_waitcnt vmcnt(20)
	v_fma_f32 v86, v103, v150, -v86
	v_fmac_f32_e32 v126, v104, v150
	v_add_f32_e32 v117, v117, v125
	v_add_f32_e32 v85, v85, v86
	v_mul_f32_e32 v86, v106, v137
	s_waitcnt vmcnt(19)
	v_fmac_f32_e32 v171, v106, v151
	v_add_f32_e32 v117, v117, v126
	v_fma_f32 v86, v105, v151, -v86
	s_waitcnt vmcnt(18)
	v_fmac_f32_e32 v172, v108, v152
	v_add_f32_e32 v117, v117, v171
	v_add_f32_e32 v85, v85, v86
	v_mul_f32_e32 v86, v108, v138
	s_waitcnt vmcnt(17)
	v_fmac_f32_e32 v173, v110, v153
	v_add_f32_e32 v117, v117, v172
	v_fma_f32 v86, v107, v152, -v86
	v_add_f32_e32 v117, v117, v173
	s_waitcnt vmcnt(16)
	v_fmac_f32_e32 v174, v112, v154
	s_waitcnt vmcnt(15) lgkmcnt(0)
	v_mul_f32_e32 v118, v113, v155
	v_add_f32_e32 v85, v85, v86
	v_mul_f32_e32 v86, v110, v139
	v_add_f32_e32 v117, v117, v174
	s_waitcnt vmcnt(14)
	v_fmac_f32_e32 v118, v114, v156
	v_fma_f32 v86, v109, v153, -v86
	v_add_f32_e32 v121, v117, v118
	ds_read_b128 v[117:120], v84 offset:624
	v_add_f32_e32 v85, v85, v86
	v_mul_f32_e32 v86, v112, v140
	v_fma_f32 v86, v111, v154, -v86
	v_add_f32_e32 v85, v85, v86
	v_mul_f32_e32 v86, v114, v155
	s_waitcnt vmcnt(13)
	v_mul_f32_e32 v122, v115, v157
	v_fma_f32 v86, v113, v156, -v86
	s_waitcnt vmcnt(12)
	v_fmac_f32_e32 v122, v116, v158
	v_add_f32_e32 v85, v85, v86
	v_mul_f32_e32 v86, v116, v157
	v_add_f32_e32 v125, v121, v122
	ds_read_b128 v[121:124], v84 offset:640
	s_waitcnt vmcnt(11) lgkmcnt(1)
	v_mul_f32_e32 v126, v117, v159
	v_fma_f32 v86, v115, v158, -v86
	s_waitcnt vmcnt(10)
	v_fmac_f32_e32 v126, v118, v160
	v_add_f32_e32 v85, v85, v86
	v_mul_f32_e32 v86, v118, v159
	v_add_f32_e32 v125, v125, v126
	s_waitcnt vmcnt(9)
	v_mul_f32_e32 v126, v119, v161
	v_fma_f32 v86, v117, v160, -v86
	s_waitcnt vmcnt(8)
	v_fmac_f32_e32 v126, v120, v162
	v_add_f32_e32 v85, v85, v86
	v_mul_f32_e32 v86, v120, v161
	v_add_f32_e32 v171, v125, v126
	ds_read_b64 v[125:126], v84 offset:656
	v_fma_f32 v86, v119, v162, -v86
	v_add_f32_e32 v85, v85, v86
	s_waitcnt vmcnt(7) lgkmcnt(1)
	v_mul_f32_e32 v86, v122, v163
	v_mul_f32_e32 v172, v121, v163
	s_waitcnt vmcnt(6)
	v_fma_f32 v86, v121, v164, -v86
	v_fmac_f32_e32 v172, v122, v164
	v_add_f32_e32 v85, v85, v86
	s_waitcnt vmcnt(5)
	v_mul_f32_e32 v86, v124, v165
	v_add_f32_e32 v171, v171, v172
	v_mul_f32_e32 v172, v123, v165
	s_waitcnt vmcnt(4)
	v_fma_f32 v86, v123, v166, -v86
	v_fmac_f32_e32 v172, v124, v166
	v_add_f32_e32 v85, v85, v86
	s_waitcnt vmcnt(3) lgkmcnt(0)
	v_mul_f32_e32 v86, v126, v167
	v_add_f32_e32 v171, v171, v172
	v_mul_f32_e32 v172, v125, v167
	s_waitcnt vmcnt(2)
	v_fma_f32 v86, v125, v168, -v86
	v_fmac_f32_e32 v172, v126, v168
	v_add_f32_e32 v85, v85, v86
	v_add_f32_e32 v171, v171, v172
	s_waitcnt vmcnt(1)
	v_sub_f32_e32 v85, v169, v85
	s_waitcnt vmcnt(0)
	v_sub_f32_e32 v86, v170, v171
	buffer_store_dword v85, off, s[0:3], 0 offset:152
	buffer_store_dword v86, off, s[0:3], 0 offset:156
	s_and_saveexec_b64 s[4:5], vcc
	s_cbranch_execz .LBB104_223
; %bb.222:
	buffer_load_dword v85, off, s[0:3], 0 offset:144
	buffer_load_dword v86, off, s[0:3], 0 offset:148
	s_waitcnt vmcnt(0)
	ds_write_b64 v83, v[85:86]
	buffer_store_dword v84, off, s[0:3], 0 offset:144
	buffer_store_dword v84, off, s[0:3], 0 offset:148
.LBB104_223:
	s_or_b64 exec, exec, s[4:5]
	s_waitcnt lgkmcnt(0)
	; wave barrier
	buffer_load_dword v129, off, s[0:3], 0 offset:156
	buffer_load_dword v130, off, s[0:3], 0 offset:164
	;; [unrolled: 1-line block ×46, first 2 shown]
	ds_read2_b64 v[85:88], v84 offset0:61 offset1:62
	ds_read2_b64 v[89:92], v84 offset0:63 offset1:64
	;; [unrolled: 1-line block ×8, first 2 shown]
	v_cmp_lt_u32_e32 vcc, 17, v0
	s_waitcnt vmcnt(45) lgkmcnt(7)
	v_mul_f32_e32 v117, v85, v129
	s_waitcnt vmcnt(44)
	v_mul_f32_e32 v118, v87, v130
	s_waitcnt vmcnt(43) lgkmcnt(6)
	v_mul_f32_e32 v119, v89, v131
	s_waitcnt vmcnt(42)
	v_mul_f32_e32 v120, v91, v132
	;; [unrolled: 4-line block ×6, first 2 shown]
	s_waitcnt vmcnt(33) lgkmcnt(1)
	v_mul_f32_e32 v175, v109, v141
	s_waitcnt vmcnt(32)
	v_fmac_f32_e32 v117, v86, v142
	v_mul_f32_e32 v86, v86, v129
	v_fma_f32 v85, v85, v142, -v86
	v_mul_f32_e32 v86, v88, v130
	v_add_f32_e32 v85, 0, v85
	s_waitcnt vmcnt(31)
	v_fma_f32 v86, v87, v143, -v86
	v_add_f32_e32 v85, v85, v86
	v_mul_f32_e32 v86, v90, v131
	s_waitcnt vmcnt(30)
	v_fma_f32 v86, v89, v144, -v86
	v_add_f32_e32 v85, v85, v86
	v_mul_f32_e32 v86, v92, v132
	;; [unrolled: 4-line block ×4, first 2 shown]
	v_fmac_f32_e32 v118, v88, v143
	v_add_f32_e32 v117, 0, v117
	s_waitcnt vmcnt(27)
	v_fma_f32 v86, v95, v147, -v86
	v_fmac_f32_e32 v119, v90, v144
	v_add_f32_e32 v117, v117, v118
	v_add_f32_e32 v85, v85, v86
	v_mul_f32_e32 v86, v98, v135
	v_fmac_f32_e32 v120, v92, v145
	v_add_f32_e32 v117, v117, v119
	s_waitcnt vmcnt(26)
	v_fma_f32 v86, v97, v148, -v86
	v_fmac_f32_e32 v121, v94, v146
	v_add_f32_e32 v117, v117, v120
	v_add_f32_e32 v85, v85, v86
	v_mul_f32_e32 v86, v100, v136
	;; [unrolled: 8-line block ×4, first 2 shown]
	s_waitcnt vmcnt(23)
	v_fmac_f32_e32 v126, v104, v151
	v_add_f32_e32 v117, v117, v125
	v_fma_f32 v86, v103, v151, -v86
	s_waitcnt vmcnt(22)
	v_fmac_f32_e32 v127, v106, v152
	v_add_f32_e32 v117, v117, v126
	v_add_f32_e32 v85, v85, v86
	v_mul_f32_e32 v86, v106, v139
	s_waitcnt vmcnt(21)
	v_fmac_f32_e32 v128, v108, v153
	v_add_f32_e32 v117, v117, v127
	v_fma_f32 v86, v105, v152, -v86
	s_waitcnt vmcnt(20)
	v_fmac_f32_e32 v175, v110, v154
	v_add_f32_e32 v117, v117, v128
	s_waitcnt vmcnt(19)
	v_mul_f32_e32 v118, v111, v155
	v_add_f32_e32 v85, v85, v86
	v_mul_f32_e32 v86, v108, v140
	v_add_f32_e32 v117, v117, v175
	s_waitcnt vmcnt(18)
	v_fmac_f32_e32 v118, v112, v156
	v_fma_f32 v86, v107, v153, -v86
	v_add_f32_e32 v117, v117, v118
	s_waitcnt vmcnt(17) lgkmcnt(0)
	v_mul_f32_e32 v118, v113, v157
	v_add_f32_e32 v85, v85, v86
	v_mul_f32_e32 v86, v110, v141
	s_waitcnt vmcnt(16)
	v_fmac_f32_e32 v118, v114, v158
	v_fma_f32 v86, v109, v154, -v86
	v_add_f32_e32 v121, v117, v118
	ds_read2_b64 v[117:120], v84 offset0:77 offset1:78
	v_add_f32_e32 v85, v85, v86
	v_mul_f32_e32 v86, v112, v155
	v_fma_f32 v86, v111, v156, -v86
	v_add_f32_e32 v85, v85, v86
	v_mul_f32_e32 v86, v114, v157
	s_waitcnt vmcnt(15)
	v_mul_f32_e32 v122, v115, v159
	v_fma_f32 v86, v113, v158, -v86
	s_waitcnt vmcnt(14)
	v_fmac_f32_e32 v122, v116, v160
	v_add_f32_e32 v85, v85, v86
	v_mul_f32_e32 v86, v116, v159
	v_add_f32_e32 v125, v121, v122
	ds_read2_b64 v[121:124], v84 offset0:79 offset1:80
	s_waitcnt vmcnt(13) lgkmcnt(1)
	v_mul_f32_e32 v126, v117, v161
	v_fma_f32 v86, v115, v160, -v86
	s_waitcnt vmcnt(12)
	v_fmac_f32_e32 v126, v118, v162
	v_add_f32_e32 v85, v85, v86
	v_mul_f32_e32 v86, v118, v161
	v_add_f32_e32 v125, v125, v126
	s_waitcnt vmcnt(11)
	v_mul_f32_e32 v126, v119, v163
	v_fma_f32 v86, v117, v162, -v86
	s_waitcnt vmcnt(10)
	v_fmac_f32_e32 v126, v120, v164
	v_add_f32_e32 v85, v85, v86
	v_mul_f32_e32 v86, v120, v163
	v_add_f32_e32 v175, v125, v126
	ds_read2_b64 v[125:128], v84 offset0:81 offset1:82
	v_fma_f32 v86, v119, v164, -v86
	v_add_f32_e32 v85, v85, v86
	s_waitcnt vmcnt(9) lgkmcnt(1)
	v_mul_f32_e32 v86, v122, v165
	v_mul_f32_e32 v176, v121, v165
	s_waitcnt vmcnt(8)
	v_fma_f32 v86, v121, v166, -v86
	v_fmac_f32_e32 v176, v122, v166
	v_add_f32_e32 v85, v85, v86
	s_waitcnt vmcnt(7)
	v_mul_f32_e32 v86, v124, v167
	v_add_f32_e32 v84, v175, v176
	v_mul_f32_e32 v175, v123, v167
	s_waitcnt vmcnt(6)
	v_fma_f32 v86, v123, v168, -v86
	v_fmac_f32_e32 v175, v124, v168
	v_add_f32_e32 v85, v85, v86
	s_waitcnt vmcnt(5) lgkmcnt(0)
	v_mul_f32_e32 v86, v126, v169
	v_add_f32_e32 v84, v84, v175
	v_mul_f32_e32 v175, v125, v169
	s_waitcnt vmcnt(4)
	v_fma_f32 v86, v125, v170, -v86
	v_fmac_f32_e32 v175, v126, v170
	v_add_f32_e32 v85, v85, v86
	s_waitcnt vmcnt(3)
	v_mul_f32_e32 v86, v128, v171
	v_add_f32_e32 v84, v84, v175
	v_mul_f32_e32 v175, v127, v171
	s_waitcnt vmcnt(2)
	v_fma_f32 v86, v127, v172, -v86
	v_fmac_f32_e32 v175, v128, v172
	v_add_f32_e32 v85, v85, v86
	v_add_f32_e32 v84, v84, v175
	s_waitcnt vmcnt(1)
	v_sub_f32_e32 v85, v173, v85
	s_waitcnt vmcnt(0)
	v_sub_f32_e32 v84, v174, v84
	buffer_store_dword v85, off, s[0:3], 0 offset:144
	buffer_store_dword v84, off, s[0:3], 0 offset:148
	s_and_saveexec_b64 s[4:5], vcc
	s_cbranch_execz .LBB104_225
; %bb.224:
	buffer_load_dword v84, off, s[0:3], 0 offset:136
	buffer_load_dword v85, off, s[0:3], 0 offset:140
	v_mov_b32_e32 v86, 0
	buffer_store_dword v86, off, s[0:3], 0 offset:136
	buffer_store_dword v86, off, s[0:3], 0 offset:140
	s_waitcnt vmcnt(2)
	ds_write_b64 v83, v[84:85]
.LBB104_225:
	s_or_b64 exec, exec, s[4:5]
	s_waitcnt lgkmcnt(0)
	; wave barrier
	buffer_load_dword v131, off, s[0:3], 0 offset:148
	buffer_load_dword v132, off, s[0:3], 0 offset:156
	;; [unrolled: 1-line block ×48, first 2 shown]
	v_mov_b32_e32 v84, 0
	ds_read_b128 v[85:88], v84 offset:480
	ds_read_b128 v[89:92], v84 offset:496
	;; [unrolled: 1-line block ×7, first 2 shown]
	v_cmp_lt_u32_e32 vcc, 16, v0
	s_waitcnt vmcnt(47) lgkmcnt(6)
	v_mul_f32_e32 v113, v85, v131
	s_waitcnt vmcnt(46)
	v_mul_f32_e32 v114, v87, v132
	s_waitcnt vmcnt(45) lgkmcnt(5)
	v_mul_f32_e32 v115, v89, v133
	s_waitcnt vmcnt(44)
	v_mul_f32_e32 v116, v91, v134
	;; [unrolled: 4-line block ×6, first 2 shown]
	s_waitcnt vmcnt(35)
	v_fmac_f32_e32 v113, v86, v143
	v_mul_f32_e32 v86, v86, v131
	v_fma_f32 v85, v85, v143, -v86
	v_mul_f32_e32 v86, v88, v132
	v_add_f32_e32 v85, 0, v85
	s_waitcnt vmcnt(34)
	v_fma_f32 v86, v87, v144, -v86
	v_add_f32_e32 v85, v85, v86
	v_mul_f32_e32 v86, v90, v133
	s_waitcnt vmcnt(33)
	v_fma_f32 v86, v89, v145, -v86
	v_fmac_f32_e32 v114, v88, v144
	v_add_f32_e32 v113, 0, v113
	v_add_f32_e32 v85, v85, v86
	v_mul_f32_e32 v86, v92, v134
	v_fmac_f32_e32 v115, v90, v145
	v_add_f32_e32 v113, v113, v114
	s_waitcnt vmcnt(32)
	v_fma_f32 v86, v91, v146, -v86
	v_fmac_f32_e32 v116, v92, v146
	v_add_f32_e32 v113, v113, v115
	v_add_f32_e32 v85, v85, v86
	v_mul_f32_e32 v86, v94, v135
	s_waitcnt vmcnt(31)
	v_fmac_f32_e32 v117, v94, v147
	v_add_f32_e32 v113, v113, v116
	v_fma_f32 v86, v93, v147, -v86
	s_waitcnt vmcnt(30)
	v_fmac_f32_e32 v118, v96, v148
	v_add_f32_e32 v113, v113, v117
	v_add_f32_e32 v85, v85, v86
	v_mul_f32_e32 v86, v96, v136
	s_waitcnt vmcnt(29)
	v_fmac_f32_e32 v119, v98, v149
	v_add_f32_e32 v113, v113, v118
	v_fma_f32 v86, v95, v148, -v86
	s_waitcnt vmcnt(28)
	;; [unrolled: 9-line block ×4, first 2 shown]
	v_fmac_f32_e32 v124, v108, v154
	v_add_f32_e32 v113, v113, v123
	v_add_f32_e32 v85, v85, v86
	v_mul_f32_e32 v86, v102, v139
	v_add_f32_e32 v117, v113, v124
	ds_read_b128 v[113:116], v84 offset:592
	v_fma_f32 v86, v101, v151, -v86
	s_waitcnt vmcnt(23) lgkmcnt(1)
	v_mul_f32_e32 v118, v109, v155
	v_add_f32_e32 v85, v85, v86
	v_mul_f32_e32 v86, v104, v140
	s_waitcnt vmcnt(22)
	v_fmac_f32_e32 v118, v110, v156
	v_fma_f32 v86, v103, v152, -v86
	v_add_f32_e32 v117, v117, v118
	s_waitcnt vmcnt(21)
	v_mul_f32_e32 v118, v111, v157
	v_add_f32_e32 v85, v85, v86
	v_mul_f32_e32 v86, v106, v141
	s_waitcnt vmcnt(20)
	v_fmac_f32_e32 v118, v112, v158
	v_fma_f32 v86, v105, v153, -v86
	v_add_f32_e32 v117, v117, v118
	s_waitcnt vmcnt(19) lgkmcnt(0)
	v_mul_f32_e32 v118, v113, v159
	v_add_f32_e32 v85, v85, v86
	v_mul_f32_e32 v86, v108, v142
	s_waitcnt vmcnt(18)
	v_fmac_f32_e32 v118, v114, v160
	v_fma_f32 v86, v107, v154, -v86
	v_add_f32_e32 v121, v117, v118
	ds_read_b128 v[117:120], v84 offset:608
	v_add_f32_e32 v85, v85, v86
	v_mul_f32_e32 v86, v110, v155
	v_fma_f32 v86, v109, v156, -v86
	s_waitcnt vmcnt(17)
	v_mul_f32_e32 v122, v115, v161
	v_add_f32_e32 v85, v85, v86
	v_mul_f32_e32 v86, v112, v157
	s_waitcnt vmcnt(16)
	v_fmac_f32_e32 v122, v116, v162
	v_fma_f32 v86, v111, v158, -v86
	v_add_f32_e32 v125, v121, v122
	ds_read_b128 v[121:124], v84 offset:624
	v_add_f32_e32 v85, v85, v86
	v_mul_f32_e32 v86, v114, v159
	s_waitcnt vmcnt(15) lgkmcnt(1)
	v_mul_f32_e32 v126, v117, v163
	v_fma_f32 v86, v113, v160, -v86
	s_waitcnt vmcnt(14)
	v_fmac_f32_e32 v126, v118, v164
	v_add_f32_e32 v85, v85, v86
	v_mul_f32_e32 v86, v116, v161
	v_add_f32_e32 v125, v125, v126
	s_waitcnt vmcnt(13)
	v_mul_f32_e32 v126, v119, v165
	v_fma_f32 v86, v115, v162, -v86
	s_waitcnt vmcnt(12)
	v_fmac_f32_e32 v126, v120, v166
	v_add_f32_e32 v85, v85, v86
	v_mul_f32_e32 v86, v118, v163
	v_add_f32_e32 v125, v125, v126
	s_waitcnt vmcnt(11) lgkmcnt(0)
	v_mul_f32_e32 v126, v121, v167
	v_fma_f32 v86, v117, v164, -v86
	s_waitcnt vmcnt(10)
	v_fmac_f32_e32 v126, v122, v168
	v_add_f32_e32 v85, v85, v86
	v_mul_f32_e32 v86, v120, v165
	v_add_f32_e32 v129, v125, v126
	ds_read_b128 v[125:128], v84 offset:640
	v_fma_f32 v86, v119, v166, -v86
	v_add_f32_e32 v85, v85, v86
	v_mul_f32_e32 v86, v122, v167
	s_waitcnt vmcnt(9)
	v_mul_f32_e32 v130, v123, v169
	v_fma_f32 v86, v121, v168, -v86
	s_waitcnt vmcnt(8)
	v_fmac_f32_e32 v130, v124, v170
	v_add_f32_e32 v85, v85, v86
	v_mul_f32_e32 v86, v124, v169
	v_add_f32_e32 v179, v129, v130
	ds_read_b64 v[129:130], v84 offset:656
	v_fma_f32 v86, v123, v170, -v86
	v_add_f32_e32 v85, v85, v86
	s_waitcnt vmcnt(6) lgkmcnt(1)
	v_mul_f32_e32 v86, v126, v172
	v_mul_f32_e32 v180, v125, v172
	v_fma_f32 v86, v125, v171, -v86
	v_fmac_f32_e32 v180, v126, v171
	v_add_f32_e32 v85, v85, v86
	s_waitcnt vmcnt(3)
	v_mul_f32_e32 v86, v128, v175
	v_add_f32_e32 v179, v179, v180
	v_mul_f32_e32 v180, v127, v175
	s_waitcnt vmcnt(2)
	v_fma_f32 v86, v127, v176, -v86
	v_fmac_f32_e32 v180, v128, v176
	v_add_f32_e32 v85, v85, v86
	s_waitcnt vmcnt(0) lgkmcnt(0)
	v_mul_f32_e32 v86, v130, v178
	v_add_f32_e32 v179, v179, v180
	v_mul_f32_e32 v180, v129, v178
	v_fma_f32 v86, v129, v177, -v86
	v_fmac_f32_e32 v180, v130, v177
	v_add_f32_e32 v85, v85, v86
	v_add_f32_e32 v179, v179, v180
	v_sub_f32_e32 v85, v173, v85
	v_sub_f32_e32 v86, v174, v179
	buffer_store_dword v85, off, s[0:3], 0 offset:136
	buffer_store_dword v86, off, s[0:3], 0 offset:140
	s_and_saveexec_b64 s[4:5], vcc
	s_cbranch_execz .LBB104_227
; %bb.226:
	buffer_load_dword v85, off, s[0:3], 0 offset:128
	buffer_load_dword v86, off, s[0:3], 0 offset:132
	s_waitcnt vmcnt(0)
	ds_write_b64 v83, v[85:86]
	buffer_store_dword v84, off, s[0:3], 0 offset:128
	buffer_store_dword v84, off, s[0:3], 0 offset:132
.LBB104_227:
	s_or_b64 exec, exec, s[4:5]
	s_waitcnt lgkmcnt(0)
	; wave barrier
	buffer_load_dword v133, off, s[0:3], 0 offset:140
	buffer_load_dword v134, off, s[0:3], 0 offset:148
	;; [unrolled: 1-line block ×48, first 2 shown]
	ds_read2_b64 v[85:88], v84 offset0:59 offset1:60
	ds_read2_b64 v[89:92], v84 offset0:61 offset1:62
	buffer_load_dword v181, off, s[0:3], 0 offset:320
	buffer_load_dword v182, off, s[0:3], 0 offset:324
	ds_read2_b64 v[93:96], v84 offset0:63 offset1:64
	ds_read2_b64 v[97:100], v84 offset0:65 offset1:66
	ds_read2_b64 v[101:104], v84 offset0:67 offset1:68
	ds_read2_b64 v[105:108], v84 offset0:69 offset1:70
	ds_read2_b64 v[109:112], v84 offset0:71 offset1:72
	v_cmp_lt_u32_e32 vcc, 15, v0
	s_waitcnt vmcnt(49) lgkmcnt(6)
	v_mul_f32_e32 v113, v85, v133
	s_waitcnt vmcnt(48)
	v_mul_f32_e32 v114, v87, v134
	s_waitcnt vmcnt(47) lgkmcnt(5)
	v_mul_f32_e32 v115, v89, v135
	s_waitcnt vmcnt(46)
	v_mul_f32_e32 v116, v91, v136
	;; [unrolled: 4-line block ×6, first 2 shown]
	s_waitcnt vmcnt(37)
	v_fmac_f32_e32 v113, v86, v145
	v_mul_f32_e32 v86, v86, v133
	v_fma_f32 v85, v85, v145, -v86
	v_mul_f32_e32 v86, v88, v134
	v_add_f32_e32 v85, 0, v85
	s_waitcnt vmcnt(36)
	v_fma_f32 v86, v87, v146, -v86
	v_add_f32_e32 v85, v85, v86
	v_mul_f32_e32 v86, v90, v135
	s_waitcnt vmcnt(35)
	v_fma_f32 v86, v89, v147, -v86
	v_fmac_f32_e32 v114, v88, v146
	v_add_f32_e32 v113, 0, v113
	v_add_f32_e32 v85, v85, v86
	v_mul_f32_e32 v86, v92, v136
	v_fmac_f32_e32 v115, v90, v147
	v_add_f32_e32 v113, v113, v114
	s_waitcnt vmcnt(34)
	v_fma_f32 v86, v91, v148, -v86
	v_fmac_f32_e32 v116, v92, v148
	v_add_f32_e32 v113, v113, v115
	v_add_f32_e32 v85, v85, v86
	v_mul_f32_e32 v86, v94, v137
	s_waitcnt vmcnt(33)
	v_fmac_f32_e32 v117, v94, v149
	v_add_f32_e32 v113, v113, v116
	v_fma_f32 v86, v93, v149, -v86
	s_waitcnt vmcnt(32)
	v_fmac_f32_e32 v118, v96, v150
	v_add_f32_e32 v113, v113, v117
	v_add_f32_e32 v85, v85, v86
	v_mul_f32_e32 v86, v96, v138
	s_waitcnt vmcnt(31)
	v_fmac_f32_e32 v119, v98, v151
	v_add_f32_e32 v113, v113, v118
	v_fma_f32 v86, v95, v150, -v86
	s_waitcnt vmcnt(30)
	;; [unrolled: 9-line block ×3, first 2 shown]
	v_fmac_f32_e32 v122, v104, v154
	v_add_f32_e32 v113, v113, v121
	v_add_f32_e32 v85, v85, v86
	v_mul_f32_e32 v86, v100, v140
	s_waitcnt vmcnt(27)
	v_fmac_f32_e32 v123, v106, v155
	v_add_f32_e32 v113, v113, v122
	v_fma_f32 v86, v99, v152, -v86
	v_add_f32_e32 v113, v113, v123
	s_waitcnt vmcnt(26)
	v_fmac_f32_e32 v124, v108, v156
	v_add_f32_e32 v85, v85, v86
	v_mul_f32_e32 v86, v102, v141
	v_add_f32_e32 v117, v113, v124
	ds_read2_b64 v[113:116], v84 offset0:73 offset1:74
	v_fma_f32 v86, v101, v153, -v86
	s_waitcnt vmcnt(25) lgkmcnt(1)
	v_mul_f32_e32 v118, v109, v157
	v_add_f32_e32 v85, v85, v86
	v_mul_f32_e32 v86, v104, v142
	s_waitcnt vmcnt(24)
	v_fmac_f32_e32 v118, v110, v158
	v_fma_f32 v86, v103, v154, -v86
	v_add_f32_e32 v117, v117, v118
	s_waitcnt vmcnt(23)
	v_mul_f32_e32 v118, v111, v159
	v_add_f32_e32 v85, v85, v86
	v_mul_f32_e32 v86, v106, v143
	s_waitcnt vmcnt(22)
	v_fmac_f32_e32 v118, v112, v160
	v_fma_f32 v86, v105, v155, -v86
	v_add_f32_e32 v117, v117, v118
	s_waitcnt vmcnt(21) lgkmcnt(0)
	v_mul_f32_e32 v118, v113, v161
	v_add_f32_e32 v85, v85, v86
	v_mul_f32_e32 v86, v108, v144
	s_waitcnt vmcnt(20)
	v_fmac_f32_e32 v118, v114, v162
	v_fma_f32 v86, v107, v156, -v86
	v_add_f32_e32 v121, v117, v118
	ds_read2_b64 v[117:120], v84 offset0:75 offset1:76
	v_add_f32_e32 v85, v85, v86
	v_mul_f32_e32 v86, v110, v157
	v_fma_f32 v86, v109, v158, -v86
	s_waitcnt vmcnt(19)
	v_mul_f32_e32 v122, v115, v163
	v_add_f32_e32 v85, v85, v86
	v_mul_f32_e32 v86, v112, v159
	s_waitcnt vmcnt(18)
	v_fmac_f32_e32 v122, v116, v164
	v_fma_f32 v86, v111, v160, -v86
	v_add_f32_e32 v125, v121, v122
	ds_read2_b64 v[121:124], v84 offset0:77 offset1:78
	v_add_f32_e32 v85, v85, v86
	v_mul_f32_e32 v86, v114, v161
	s_waitcnt vmcnt(17) lgkmcnt(1)
	v_mul_f32_e32 v126, v117, v165
	v_fma_f32 v86, v113, v162, -v86
	s_waitcnt vmcnt(16)
	v_fmac_f32_e32 v126, v118, v166
	v_add_f32_e32 v85, v85, v86
	v_mul_f32_e32 v86, v116, v163
	v_add_f32_e32 v125, v125, v126
	s_waitcnt vmcnt(15)
	v_mul_f32_e32 v126, v119, v167
	v_fma_f32 v86, v115, v164, -v86
	s_waitcnt vmcnt(14)
	v_fmac_f32_e32 v126, v120, v168
	v_add_f32_e32 v85, v85, v86
	v_mul_f32_e32 v86, v118, v165
	v_add_f32_e32 v125, v125, v126
	s_waitcnt vmcnt(13) lgkmcnt(0)
	v_mul_f32_e32 v126, v121, v169
	v_fma_f32 v86, v117, v166, -v86
	s_waitcnt vmcnt(12)
	v_fmac_f32_e32 v126, v122, v170
	v_add_f32_e32 v85, v85, v86
	v_mul_f32_e32 v86, v120, v167
	v_add_f32_e32 v129, v125, v126
	ds_read2_b64 v[125:128], v84 offset0:79 offset1:80
	v_fma_f32 v86, v119, v168, -v86
	v_add_f32_e32 v85, v85, v86
	v_mul_f32_e32 v86, v122, v169
	s_waitcnt vmcnt(11)
	v_mul_f32_e32 v130, v123, v171
	v_fma_f32 v86, v121, v170, -v86
	s_waitcnt vmcnt(10)
	v_fmac_f32_e32 v130, v124, v172
	v_add_f32_e32 v85, v85, v86
	v_mul_f32_e32 v86, v124, v171
	v_add_f32_e32 v183, v129, v130
	ds_read2_b64 v[129:132], v84 offset0:81 offset1:82
	v_fma_f32 v86, v123, v172, -v86
	v_add_f32_e32 v85, v85, v86
	s_waitcnt vmcnt(7) lgkmcnt(1)
	v_mul_f32_e32 v86, v126, v175
	v_mul_f32_e32 v84, v125, v175
	s_waitcnt vmcnt(6)
	v_fma_f32 v86, v125, v176, -v86
	v_fmac_f32_e32 v84, v126, v176
	v_add_f32_e32 v85, v85, v86
	s_waitcnt vmcnt(4)
	v_mul_f32_e32 v86, v128, v178
	v_add_f32_e32 v84, v183, v84
	v_mul_f32_e32 v183, v127, v178
	v_fma_f32 v86, v127, v177, -v86
	v_fmac_f32_e32 v183, v128, v177
	v_add_f32_e32 v85, v85, v86
	s_waitcnt vmcnt(2) lgkmcnt(0)
	v_mul_f32_e32 v86, v130, v180
	v_add_f32_e32 v84, v84, v183
	v_mul_f32_e32 v183, v129, v180
	v_fma_f32 v86, v129, v179, -v86
	v_fmac_f32_e32 v183, v130, v179
	v_add_f32_e32 v85, v85, v86
	s_waitcnt vmcnt(0)
	v_mul_f32_e32 v86, v132, v182
	v_add_f32_e32 v84, v84, v183
	v_mul_f32_e32 v183, v131, v182
	v_fma_f32 v86, v131, v181, -v86
	v_fmac_f32_e32 v183, v132, v181
	v_add_f32_e32 v85, v85, v86
	v_add_f32_e32 v84, v84, v183
	v_sub_f32_e32 v85, v173, v85
	v_sub_f32_e32 v84, v174, v84
	buffer_store_dword v85, off, s[0:3], 0 offset:128
	buffer_store_dword v84, off, s[0:3], 0 offset:132
	s_and_saveexec_b64 s[4:5], vcc
	s_cbranch_execz .LBB104_229
; %bb.228:
	buffer_load_dword v84, off, s[0:3], 0 offset:120
	buffer_load_dword v85, off, s[0:3], 0 offset:124
	v_mov_b32_e32 v86, 0
	buffer_store_dword v86, off, s[0:3], 0 offset:120
	buffer_store_dword v86, off, s[0:3], 0 offset:124
	s_waitcnt vmcnt(2)
	ds_write_b64 v83, v[84:85]
.LBB104_229:
	s_or_b64 exec, exec, s[4:5]
	s_waitcnt lgkmcnt(0)
	; wave barrier
	buffer_load_dword v135, off, s[0:3], 0 offset:132
	buffer_load_dword v136, off, s[0:3], 0 offset:140
	;; [unrolled: 1-line block ×52, first 2 shown]
	v_mov_b32_e32 v84, 0
	ds_read_b128 v[85:88], v84 offset:464
	ds_read_b128 v[89:92], v84 offset:480
	ds_read_b128 v[93:96], v84 offset:496
	ds_read_b128 v[97:100], v84 offset:512
	ds_read_b128 v[101:104], v84 offset:528
	ds_read_b128 v[105:108], v84 offset:544
	v_cmp_lt_u32_e32 vcc, 14, v0
	s_waitcnt vmcnt(51) lgkmcnt(5)
	v_mul_f32_e32 v109, v85, v135
	s_waitcnt vmcnt(50)
	v_mul_f32_e32 v110, v87, v136
	s_waitcnt vmcnt(49) lgkmcnt(4)
	v_mul_f32_e32 v111, v89, v137
	s_waitcnt vmcnt(48)
	v_mul_f32_e32 v112, v91, v138
	;; [unrolled: 4-line block ×5, first 2 shown]
	s_waitcnt vmcnt(41) lgkmcnt(0)
	v_mul_f32_e32 v119, v105, v145
	s_waitcnt vmcnt(40)
	v_fmac_f32_e32 v109, v86, v146
	v_mul_f32_e32 v86, v86, v135
	s_waitcnt vmcnt(39)
	v_fmac_f32_e32 v110, v88, v147
	v_add_f32_e32 v109, 0, v109
	v_fma_f32 v85, v85, v146, -v86
	v_mul_f32_e32 v86, v88, v136
	s_waitcnt vmcnt(38)
	v_fmac_f32_e32 v111, v90, v148
	v_add_f32_e32 v109, v109, v110
	v_add_f32_e32 v85, 0, v85
	v_fma_f32 v86, v87, v147, -v86
	s_waitcnt vmcnt(37)
	v_fmac_f32_e32 v112, v92, v149
	v_add_f32_e32 v109, v109, v111
	v_add_f32_e32 v85, v85, v86
	v_mul_f32_e32 v86, v90, v137
	s_waitcnt vmcnt(36)
	v_fmac_f32_e32 v113, v94, v150
	v_add_f32_e32 v109, v109, v112
	v_fma_f32 v86, v89, v148, -v86
	s_waitcnt vmcnt(35)
	v_fmac_f32_e32 v114, v96, v151
	v_add_f32_e32 v109, v109, v113
	v_add_f32_e32 v85, v85, v86
	v_mul_f32_e32 v86, v92, v138
	s_waitcnt vmcnt(34)
	v_fmac_f32_e32 v115, v98, v152
	;; [unrolled: 9-line block ×3, first 2 shown]
	v_add_f32_e32 v109, v109, v116
	v_fma_f32 v86, v93, v150, -v86
	s_waitcnt vmcnt(31)
	v_fmac_f32_e32 v118, v104, v155
	v_add_f32_e32 v109, v109, v117
	v_add_f32_e32 v85, v85, v86
	v_mul_f32_e32 v86, v96, v140
	v_add_f32_e32 v109, v109, v118
	s_waitcnt vmcnt(30)
	v_fmac_f32_e32 v119, v106, v156
	v_fma_f32 v86, v95, v151, -v86
	v_add_f32_e32 v113, v109, v119
	ds_read_b128 v[109:112], v84 offset:560
	v_add_f32_e32 v85, v85, v86
	v_mul_f32_e32 v86, v98, v141
	v_fma_f32 v86, v97, v152, -v86
	s_waitcnt vmcnt(29)
	v_mul_f32_e32 v114, v107, v157
	v_add_f32_e32 v85, v85, v86
	v_mul_f32_e32 v86, v100, v142
	s_waitcnt vmcnt(28)
	v_fmac_f32_e32 v114, v108, v158
	v_fma_f32 v86, v99, v153, -v86
	v_add_f32_e32 v117, v113, v114
	ds_read_b128 v[113:116], v84 offset:576
	v_add_f32_e32 v85, v85, v86
	v_mul_f32_e32 v86, v102, v143
	s_waitcnt vmcnt(27) lgkmcnt(1)
	v_mul_f32_e32 v118, v109, v159
	v_fma_f32 v86, v101, v154, -v86
	s_waitcnt vmcnt(26)
	v_fmac_f32_e32 v118, v110, v160
	v_add_f32_e32 v85, v85, v86
	v_mul_f32_e32 v86, v104, v144
	v_add_f32_e32 v117, v117, v118
	s_waitcnt vmcnt(25)
	v_mul_f32_e32 v118, v111, v161
	v_fma_f32 v86, v103, v155, -v86
	s_waitcnt vmcnt(24)
	v_fmac_f32_e32 v118, v112, v162
	v_add_f32_e32 v85, v85, v86
	v_mul_f32_e32 v86, v106, v145
	v_add_f32_e32 v117, v117, v118
	s_waitcnt vmcnt(23) lgkmcnt(0)
	v_mul_f32_e32 v118, v113, v163
	v_fma_f32 v86, v105, v156, -v86
	s_waitcnt vmcnt(22)
	v_fmac_f32_e32 v118, v114, v164
	v_add_f32_e32 v85, v85, v86
	v_mul_f32_e32 v86, v108, v157
	v_add_f32_e32 v121, v117, v118
	ds_read_b128 v[117:120], v84 offset:592
	v_fma_f32 v86, v107, v158, -v86
	v_add_f32_e32 v85, v85, v86
	v_mul_f32_e32 v86, v110, v159
	s_waitcnt vmcnt(21)
	v_mul_f32_e32 v122, v115, v165
	v_fma_f32 v86, v109, v160, -v86
	s_waitcnt vmcnt(20)
	v_fmac_f32_e32 v122, v116, v166
	v_add_f32_e32 v85, v85, v86
	v_mul_f32_e32 v86, v112, v161
	v_add_f32_e32 v125, v121, v122
	ds_read_b128 v[121:124], v84 offset:608
	v_fma_f32 v86, v111, v162, -v86
	s_waitcnt vmcnt(19) lgkmcnt(1)
	v_mul_f32_e32 v126, v117, v167
	v_add_f32_e32 v85, v85, v86
	v_mul_f32_e32 v86, v114, v163
	s_waitcnt vmcnt(18)
	v_fmac_f32_e32 v126, v118, v168
	v_fma_f32 v86, v113, v164, -v86
	v_add_f32_e32 v125, v125, v126
	s_waitcnt vmcnt(17)
	v_mul_f32_e32 v126, v119, v169
	v_add_f32_e32 v85, v85, v86
	v_mul_f32_e32 v86, v116, v165
	s_waitcnt vmcnt(16)
	v_fmac_f32_e32 v126, v120, v170
	v_fma_f32 v86, v115, v166, -v86
	v_add_f32_e32 v125, v125, v126
	s_waitcnt vmcnt(14) lgkmcnt(0)
	v_mul_f32_e32 v126, v121, v172
	v_add_f32_e32 v85, v85, v86
	v_mul_f32_e32 v86, v118, v167
	v_fmac_f32_e32 v126, v122, v171
	v_fma_f32 v86, v117, v168, -v86
	v_add_f32_e32 v129, v125, v126
	ds_read_b128 v[125:128], v84 offset:624
	v_add_f32_e32 v85, v85, v86
	v_mul_f32_e32 v86, v120, v169
	v_fma_f32 v86, v119, v170, -v86
	v_add_f32_e32 v85, v85, v86
	v_mul_f32_e32 v86, v122, v172
	s_waitcnt vmcnt(11)
	v_mul_f32_e32 v130, v123, v175
	v_fma_f32 v86, v121, v171, -v86
	s_waitcnt vmcnt(10)
	v_fmac_f32_e32 v130, v124, v176
	v_add_f32_e32 v85, v85, v86
	v_mul_f32_e32 v86, v124, v175
	v_add_f32_e32 v133, v129, v130
	ds_read_b128 v[129:132], v84 offset:640
	s_waitcnt vmcnt(8) lgkmcnt(1)
	v_mul_f32_e32 v134, v125, v178
	v_fma_f32 v86, v123, v176, -v86
	v_fmac_f32_e32 v134, v126, v177
	v_add_f32_e32 v85, v85, v86
	v_mul_f32_e32 v86, v126, v178
	v_add_f32_e32 v133, v133, v134
	s_waitcnt vmcnt(6)
	v_mul_f32_e32 v134, v127, v180
	v_fma_f32 v86, v125, v177, -v86
	v_fmac_f32_e32 v134, v128, v179
	v_add_f32_e32 v85, v85, v86
	v_mul_f32_e32 v86, v128, v180
	v_add_f32_e32 v187, v133, v134
	ds_read_b64 v[133:134], v84 offset:656
	v_fma_f32 v86, v127, v179, -v86
	v_add_f32_e32 v85, v85, v86
	s_waitcnt vmcnt(4) lgkmcnt(1)
	v_mul_f32_e32 v86, v130, v182
	v_mul_f32_e32 v188, v129, v182
	v_fma_f32 v86, v129, v181, -v86
	v_fmac_f32_e32 v188, v130, v181
	v_add_f32_e32 v85, v85, v86
	s_waitcnt vmcnt(2)
	v_mul_f32_e32 v86, v132, v184
	v_add_f32_e32 v187, v187, v188
	v_mul_f32_e32 v188, v131, v184
	v_fma_f32 v86, v131, v183, -v86
	v_fmac_f32_e32 v188, v132, v183
	v_add_f32_e32 v85, v85, v86
	s_waitcnt vmcnt(0) lgkmcnt(0)
	v_mul_f32_e32 v86, v134, v186
	v_add_f32_e32 v187, v187, v188
	v_mul_f32_e32 v188, v133, v186
	v_fma_f32 v86, v133, v185, -v86
	v_fmac_f32_e32 v188, v134, v185
	v_add_f32_e32 v85, v85, v86
	v_add_f32_e32 v187, v187, v188
	v_sub_f32_e32 v85, v173, v85
	v_sub_f32_e32 v86, v174, v187
	buffer_store_dword v85, off, s[0:3], 0 offset:120
	buffer_store_dword v86, off, s[0:3], 0 offset:124
	s_and_saveexec_b64 s[4:5], vcc
	s_cbranch_execz .LBB104_231
; %bb.230:
	buffer_load_dword v85, off, s[0:3], 0 offset:112
	buffer_load_dword v86, off, s[0:3], 0 offset:116
	s_waitcnt vmcnt(0)
	ds_write_b64 v83, v[85:86]
	buffer_store_dword v84, off, s[0:3], 0 offset:112
	buffer_store_dword v84, off, s[0:3], 0 offset:116
.LBB104_231:
	s_or_b64 exec, exec, s[4:5]
	s_waitcnt lgkmcnt(0)
	; wave barrier
	buffer_load_dword v137, off, s[0:3], 0 offset:124
	buffer_load_dword v138, off, s[0:3], 0 offset:132
	;; [unrolled: 1-line block ×42, first 2 shown]
	ds_read2_b64 v[85:88], v84 offset0:57 offset1:58
	ds_read2_b64 v[89:92], v84 offset0:59 offset1:60
	;; [unrolled: 1-line block ×4, first 2 shown]
	buffer_load_dword v179, off, s[0:3], 0 offset:284
	buffer_load_dword v180, off, s[0:3], 0 offset:280
	;; [unrolled: 1-line block ×6, first 2 shown]
	ds_read2_b64 v[101:104], v84 offset0:65 offset1:66
	ds_read2_b64 v[105:108], v84 offset0:67 offset1:68
	buffer_load_dword v185, off, s[0:3], 0 offset:304
	buffer_load_dword v186, off, s[0:3], 0 offset:308
	;; [unrolled: 1-line block ×6, first 2 shown]
	v_cmp_lt_u32_e32 vcc, 13, v0
	s_waitcnt vmcnt(53) lgkmcnt(5)
	v_mul_f32_e32 v109, v85, v137
	s_waitcnt vmcnt(52)
	v_mul_f32_e32 v110, v87, v138
	s_waitcnt vmcnt(51) lgkmcnt(4)
	v_mul_f32_e32 v111, v89, v139
	s_waitcnt vmcnt(50)
	v_mul_f32_e32 v112, v91, v140
	;; [unrolled: 4-line block ×5, first 2 shown]
	s_waitcnt vmcnt(43)
	v_fmac_f32_e32 v109, v86, v147
	v_mul_f32_e32 v86, v86, v137
	s_waitcnt vmcnt(42)
	v_fmac_f32_e32 v110, v88, v148
	v_add_f32_e32 v109, 0, v109
	v_fma_f32 v85, v85, v147, -v86
	v_mul_f32_e32 v86, v88, v138
	s_waitcnt vmcnt(41)
	v_fmac_f32_e32 v111, v90, v149
	v_add_f32_e32 v109, v109, v110
	v_add_f32_e32 v85, 0, v85
	v_fma_f32 v86, v87, v148, -v86
	s_waitcnt vmcnt(40)
	v_fmac_f32_e32 v112, v92, v150
	v_add_f32_e32 v109, v109, v111
	v_add_f32_e32 v85, v85, v86
	v_mul_f32_e32 v86, v90, v139
	s_waitcnt vmcnt(39)
	v_fmac_f32_e32 v113, v94, v151
	v_add_f32_e32 v109, v109, v112
	v_fma_f32 v86, v89, v149, -v86
	s_waitcnt vmcnt(38)
	v_fmac_f32_e32 v114, v96, v152
	v_add_f32_e32 v109, v109, v113
	v_add_f32_e32 v85, v85, v86
	v_mul_f32_e32 v86, v92, v140
	s_waitcnt vmcnt(37)
	v_fmac_f32_e32 v115, v98, v153
	;; [unrolled: 9-line block ×3, first 2 shown]
	v_add_f32_e32 v109, v109, v116
	v_fma_f32 v86, v93, v151, -v86
	s_waitcnt vmcnt(34)
	v_fmac_f32_e32 v118, v104, v156
	v_add_f32_e32 v109, v109, v117
	s_waitcnt vmcnt(33) lgkmcnt(0)
	v_mul_f32_e32 v110, v105, v157
	v_add_f32_e32 v85, v85, v86
	v_mul_f32_e32 v86, v96, v142
	v_add_f32_e32 v109, v109, v118
	s_waitcnt vmcnt(32)
	v_fmac_f32_e32 v110, v106, v158
	v_fma_f32 v86, v95, v152, -v86
	v_add_f32_e32 v113, v109, v110
	ds_read2_b64 v[109:112], v84 offset0:69 offset1:70
	v_add_f32_e32 v85, v85, v86
	v_mul_f32_e32 v86, v98, v143
	v_fma_f32 v86, v97, v153, -v86
	s_waitcnt vmcnt(31)
	v_mul_f32_e32 v114, v107, v159
	v_add_f32_e32 v85, v85, v86
	v_mul_f32_e32 v86, v100, v144
	s_waitcnt vmcnt(30)
	v_fmac_f32_e32 v114, v108, v160
	v_fma_f32 v86, v99, v154, -v86
	v_add_f32_e32 v117, v113, v114
	ds_read2_b64 v[113:116], v84 offset0:71 offset1:72
	v_add_f32_e32 v85, v85, v86
	v_mul_f32_e32 v86, v102, v145
	s_waitcnt vmcnt(29) lgkmcnt(1)
	v_mul_f32_e32 v118, v109, v161
	v_fma_f32 v86, v101, v155, -v86
	s_waitcnt vmcnt(28)
	v_fmac_f32_e32 v118, v110, v162
	v_add_f32_e32 v85, v85, v86
	v_mul_f32_e32 v86, v104, v146
	v_add_f32_e32 v117, v117, v118
	s_waitcnt vmcnt(27)
	v_mul_f32_e32 v118, v111, v163
	v_fma_f32 v86, v103, v156, -v86
	s_waitcnt vmcnt(26)
	v_fmac_f32_e32 v118, v112, v164
	v_add_f32_e32 v85, v85, v86
	v_mul_f32_e32 v86, v106, v157
	v_add_f32_e32 v117, v117, v118
	s_waitcnt vmcnt(25) lgkmcnt(0)
	v_mul_f32_e32 v118, v113, v165
	v_fma_f32 v86, v105, v158, -v86
	s_waitcnt vmcnt(24)
	v_fmac_f32_e32 v118, v114, v166
	v_add_f32_e32 v85, v85, v86
	v_mul_f32_e32 v86, v108, v159
	v_add_f32_e32 v121, v117, v118
	ds_read2_b64 v[117:120], v84 offset0:73 offset1:74
	v_fma_f32 v86, v107, v160, -v86
	v_add_f32_e32 v85, v85, v86
	v_mul_f32_e32 v86, v110, v161
	s_waitcnt vmcnt(23)
	v_mul_f32_e32 v122, v115, v167
	v_fma_f32 v86, v109, v162, -v86
	s_waitcnt vmcnt(22)
	v_fmac_f32_e32 v122, v116, v168
	v_add_f32_e32 v85, v85, v86
	v_mul_f32_e32 v86, v112, v163
	v_add_f32_e32 v125, v121, v122
	ds_read2_b64 v[121:124], v84 offset0:75 offset1:76
	v_fma_f32 v86, v111, v164, -v86
	s_waitcnt vmcnt(21) lgkmcnt(1)
	v_mul_f32_e32 v126, v117, v169
	v_add_f32_e32 v85, v85, v86
	v_mul_f32_e32 v86, v114, v165
	s_waitcnt vmcnt(20)
	v_fmac_f32_e32 v126, v118, v170
	v_fma_f32 v86, v113, v166, -v86
	v_add_f32_e32 v125, v125, v126
	s_waitcnt vmcnt(18)
	v_mul_f32_e32 v126, v119, v172
	v_add_f32_e32 v85, v85, v86
	v_mul_f32_e32 v86, v116, v167
	v_fmac_f32_e32 v126, v120, v171
	v_fma_f32 v86, v115, v168, -v86
	v_add_f32_e32 v125, v125, v126
	s_waitcnt vmcnt(15) lgkmcnt(0)
	v_mul_f32_e32 v126, v121, v175
	v_add_f32_e32 v85, v85, v86
	v_mul_f32_e32 v86, v118, v169
	s_waitcnt vmcnt(14)
	v_fmac_f32_e32 v126, v122, v176
	v_fma_f32 v86, v117, v170, -v86
	v_add_f32_e32 v129, v125, v126
	ds_read2_b64 v[125:128], v84 offset0:77 offset1:78
	v_add_f32_e32 v85, v85, v86
	v_mul_f32_e32 v86, v120, v172
	v_fma_f32 v86, v119, v171, -v86
	v_add_f32_e32 v85, v85, v86
	v_mul_f32_e32 v86, v122, v175
	s_waitcnt vmcnt(12)
	v_mul_f32_e32 v130, v123, v178
	v_fma_f32 v86, v121, v176, -v86
	v_fmac_f32_e32 v130, v124, v177
	v_add_f32_e32 v85, v85, v86
	v_mul_f32_e32 v86, v124, v178
	v_add_f32_e32 v133, v129, v130
	ds_read2_b64 v[129:132], v84 offset0:79 offset1:80
	s_waitcnt vmcnt(11) lgkmcnt(1)
	v_mul_f32_e32 v134, v125, v179
	v_fma_f32 v86, v123, v177, -v86
	s_waitcnt vmcnt(10)
	v_fmac_f32_e32 v134, v126, v180
	v_add_f32_e32 v85, v85, v86
	v_mul_f32_e32 v86, v126, v179
	v_add_f32_e32 v133, v133, v134
	s_waitcnt vmcnt(8)
	v_mul_f32_e32 v134, v127, v182
	v_fma_f32 v86, v125, v180, -v86
	v_fmac_f32_e32 v134, v128, v181
	v_add_f32_e32 v85, v85, v86
	v_mul_f32_e32 v86, v128, v182
	v_add_f32_e32 v191, v133, v134
	ds_read2_b64 v[133:136], v84 offset0:81 offset1:82
	v_fma_f32 v86, v127, v181, -v86
	v_add_f32_e32 v85, v85, v86
	s_waitcnt vmcnt(6) lgkmcnt(1)
	v_mul_f32_e32 v86, v130, v184
	v_mul_f32_e32 v192, v129, v184
	v_fma_f32 v86, v129, v183, -v86
	v_fmac_f32_e32 v192, v130, v183
	v_add_f32_e32 v85, v85, v86
	s_waitcnt vmcnt(4)
	v_mul_f32_e32 v86, v132, v186
	v_add_f32_e32 v84, v191, v192
	v_mul_f32_e32 v191, v131, v186
	v_fma_f32 v86, v131, v185, -v86
	v_fmac_f32_e32 v191, v132, v185
	v_add_f32_e32 v85, v85, v86
	s_waitcnt vmcnt(2) lgkmcnt(0)
	v_mul_f32_e32 v86, v134, v188
	v_add_f32_e32 v84, v84, v191
	v_mul_f32_e32 v191, v133, v188
	v_fma_f32 v86, v133, v187, -v86
	v_fmac_f32_e32 v191, v134, v187
	v_add_f32_e32 v85, v85, v86
	s_waitcnt vmcnt(0)
	v_mul_f32_e32 v86, v136, v190
	v_add_f32_e32 v84, v84, v191
	v_mul_f32_e32 v191, v135, v190
	v_fma_f32 v86, v135, v189, -v86
	v_fmac_f32_e32 v191, v136, v189
	v_add_f32_e32 v85, v85, v86
	v_add_f32_e32 v84, v84, v191
	v_sub_f32_e32 v85, v173, v85
	v_sub_f32_e32 v84, v174, v84
	buffer_store_dword v85, off, s[0:3], 0 offset:112
	buffer_store_dword v84, off, s[0:3], 0 offset:116
	s_and_saveexec_b64 s[4:5], vcc
	s_cbranch_execz .LBB104_233
; %bb.232:
	buffer_load_dword v84, off, s[0:3], 0 offset:104
	buffer_load_dword v85, off, s[0:3], 0 offset:108
	v_mov_b32_e32 v86, 0
	buffer_store_dword v86, off, s[0:3], 0 offset:104
	buffer_store_dword v86, off, s[0:3], 0 offset:108
	s_waitcnt vmcnt(2)
	ds_write_b64 v83, v[84:85]
.LBB104_233:
	s_or_b64 exec, exec, s[4:5]
	s_waitcnt lgkmcnt(0)
	; wave barrier
	buffer_load_dword v139, off, s[0:3], 0 offset:116
	buffer_load_dword v140, off, s[0:3], 0 offset:124
	;; [unrolled: 1-line block ×56, first 2 shown]
	v_mov_b32_e32 v84, 0
	ds_read_b128 v[85:88], v84 offset:448
	ds_read_b128 v[89:92], v84 offset:464
	;; [unrolled: 1-line block ×6, first 2 shown]
	v_cmp_lt_u32_e32 vcc, 12, v0
	s_waitcnt vmcnt(55) lgkmcnt(5)
	v_mul_f32_e32 v109, v85, v139
	s_waitcnt vmcnt(54)
	v_mul_f32_e32 v110, v87, v140
	s_waitcnt vmcnt(53) lgkmcnt(4)
	v_mul_f32_e32 v111, v89, v141
	s_waitcnt vmcnt(52)
	v_mul_f32_e32 v112, v91, v142
	;; [unrolled: 4-line block ×4, first 2 shown]
	s_waitcnt vmcnt(47) lgkmcnt(1)
	v_mul_f32_e32 v117, v101, v147
	s_waitcnt vmcnt(46)
	v_fmac_f32_e32 v109, v86, v148
	s_waitcnt vmcnt(45)
	v_fmac_f32_e32 v110, v88, v149
	v_add_f32_e32 v109, 0, v109
	s_waitcnt vmcnt(44)
	v_fmac_f32_e32 v111, v90, v150
	v_add_f32_e32 v109, v109, v110
	;; [unrolled: 3-line block ×3, first 2 shown]
	v_mul_f32_e32 v86, v86, v139
	s_waitcnt vmcnt(42)
	v_fmac_f32_e32 v113, v94, v152
	v_add_f32_e32 v109, v109, v112
	v_fma_f32 v85, v85, v148, -v86
	v_mul_f32_e32 v86, v88, v140
	s_waitcnt vmcnt(41)
	v_fmac_f32_e32 v114, v96, v153
	v_add_f32_e32 v109, v109, v113
	v_add_f32_e32 v85, 0, v85
	v_fma_f32 v86, v87, v149, -v86
	s_waitcnt vmcnt(40)
	v_fmac_f32_e32 v115, v98, v154
	v_add_f32_e32 v109, v109, v114
	v_add_f32_e32 v85, v85, v86
	v_mul_f32_e32 v86, v90, v141
	s_waitcnt vmcnt(39)
	v_fmac_f32_e32 v116, v100, v155
	v_add_f32_e32 v109, v109, v115
	v_fma_f32 v86, v89, v150, -v86
	v_add_f32_e32 v109, v109, v116
	s_waitcnt vmcnt(38)
	v_fmac_f32_e32 v117, v102, v156
	s_waitcnt vmcnt(37)
	v_mul_f32_e32 v110, v103, v157
	v_add_f32_e32 v85, v85, v86
	v_mul_f32_e32 v86, v92, v142
	v_add_f32_e32 v109, v109, v117
	s_waitcnt vmcnt(36)
	v_fmac_f32_e32 v110, v104, v158
	v_fma_f32 v86, v91, v151, -v86
	v_add_f32_e32 v109, v109, v110
	s_waitcnt vmcnt(35) lgkmcnt(0)
	v_mul_f32_e32 v110, v105, v159
	v_add_f32_e32 v85, v85, v86
	v_mul_f32_e32 v86, v94, v143
	s_waitcnt vmcnt(34)
	v_fmac_f32_e32 v110, v106, v160
	v_fma_f32 v86, v93, v152, -v86
	v_add_f32_e32 v113, v109, v110
	ds_read_b128 v[109:112], v84 offset:544
	v_add_f32_e32 v85, v85, v86
	v_mul_f32_e32 v86, v96, v144
	v_fma_f32 v86, v95, v153, -v86
	s_waitcnt vmcnt(33)
	v_mul_f32_e32 v114, v107, v161
	v_add_f32_e32 v85, v85, v86
	v_mul_f32_e32 v86, v98, v145
	s_waitcnt vmcnt(32)
	v_fmac_f32_e32 v114, v108, v162
	v_fma_f32 v86, v97, v154, -v86
	v_add_f32_e32 v117, v113, v114
	ds_read_b128 v[113:116], v84 offset:560
	v_add_f32_e32 v85, v85, v86
	v_mul_f32_e32 v86, v100, v146
	s_waitcnt vmcnt(31) lgkmcnt(1)
	v_mul_f32_e32 v118, v109, v163
	v_fma_f32 v86, v99, v155, -v86
	s_waitcnt vmcnt(30)
	v_fmac_f32_e32 v118, v110, v164
	v_add_f32_e32 v85, v85, v86
	v_mul_f32_e32 v86, v102, v147
	v_add_f32_e32 v117, v117, v118
	s_waitcnt vmcnt(29)
	v_mul_f32_e32 v118, v111, v165
	v_fma_f32 v86, v101, v156, -v86
	s_waitcnt vmcnt(28)
	v_fmac_f32_e32 v118, v112, v166
	v_add_f32_e32 v85, v85, v86
	v_mul_f32_e32 v86, v104, v157
	v_add_f32_e32 v117, v117, v118
	s_waitcnt vmcnt(27) lgkmcnt(0)
	v_mul_f32_e32 v118, v113, v167
	v_fma_f32 v86, v103, v158, -v86
	s_waitcnt vmcnt(26)
	v_fmac_f32_e32 v118, v114, v168
	v_add_f32_e32 v85, v85, v86
	v_mul_f32_e32 v86, v106, v159
	v_add_f32_e32 v121, v117, v118
	ds_read_b128 v[117:120], v84 offset:576
	v_fma_f32 v86, v105, v160, -v86
	v_add_f32_e32 v85, v85, v86
	v_mul_f32_e32 v86, v108, v161
	s_waitcnt vmcnt(24)
	v_mul_f32_e32 v122, v115, v170
	v_fma_f32 v86, v107, v162, -v86
	v_fmac_f32_e32 v122, v116, v169
	v_add_f32_e32 v85, v85, v86
	v_mul_f32_e32 v86, v110, v163
	v_add_f32_e32 v125, v121, v122
	ds_read_b128 v[121:124], v84 offset:592
	v_fma_f32 v86, v109, v164, -v86
	s_waitcnt vmcnt(21) lgkmcnt(1)
	v_mul_f32_e32 v126, v117, v173
	v_add_f32_e32 v85, v85, v86
	v_mul_f32_e32 v86, v112, v165
	s_waitcnt vmcnt(20)
	v_fmac_f32_e32 v126, v118, v174
	v_fma_f32 v86, v111, v166, -v86
	v_add_f32_e32 v125, v125, v126
	s_waitcnt vmcnt(18)
	v_mul_f32_e32 v126, v119, v176
	v_add_f32_e32 v85, v85, v86
	v_mul_f32_e32 v86, v114, v167
	v_fmac_f32_e32 v126, v120, v175
	v_fma_f32 v86, v113, v168, -v86
	v_add_f32_e32 v125, v125, v126
	s_waitcnt vmcnt(16) lgkmcnt(0)
	v_mul_f32_e32 v126, v121, v178
	v_add_f32_e32 v85, v85, v86
	v_mul_f32_e32 v86, v116, v170
	v_fmac_f32_e32 v126, v122, v177
	v_fma_f32 v86, v115, v169, -v86
	v_add_f32_e32 v129, v125, v126
	ds_read_b128 v[125:128], v84 offset:608
	v_add_f32_e32 v85, v85, v86
	v_mul_f32_e32 v86, v118, v173
	v_fma_f32 v86, v117, v174, -v86
	s_waitcnt vmcnt(14)
	v_mul_f32_e32 v130, v123, v180
	v_add_f32_e32 v85, v85, v86
	v_mul_f32_e32 v86, v120, v176
	v_fmac_f32_e32 v130, v124, v179
	v_fma_f32 v86, v119, v175, -v86
	v_add_f32_e32 v133, v129, v130
	ds_read_b128 v[129:132], v84 offset:624
	v_add_f32_e32 v85, v85, v86
	v_mul_f32_e32 v86, v122, v178
	s_waitcnt vmcnt(12) lgkmcnt(1)
	v_mul_f32_e32 v134, v125, v182
	v_fma_f32 v86, v121, v177, -v86
	v_fmac_f32_e32 v134, v126, v181
	v_add_f32_e32 v85, v85, v86
	v_mul_f32_e32 v86, v124, v180
	v_add_f32_e32 v133, v133, v134
	s_waitcnt vmcnt(10)
	v_mul_f32_e32 v134, v127, v184
	v_fma_f32 v86, v123, v179, -v86
	v_fmac_f32_e32 v134, v128, v183
	v_add_f32_e32 v85, v85, v86
	v_mul_f32_e32 v86, v126, v182
	v_add_f32_e32 v133, v133, v134
	s_waitcnt vmcnt(8) lgkmcnt(0)
	v_mul_f32_e32 v134, v129, v186
	v_fma_f32 v86, v125, v181, -v86
	v_fmac_f32_e32 v134, v130, v185
	v_add_f32_e32 v85, v85, v86
	v_mul_f32_e32 v86, v128, v184
	v_add_f32_e32 v137, v133, v134
	ds_read_b128 v[133:136], v84 offset:640
	v_fma_f32 v86, v127, v183, -v86
	v_add_f32_e32 v85, v85, v86
	v_mul_f32_e32 v86, v130, v186
	s_waitcnt vmcnt(6)
	v_mul_f32_e32 v138, v131, v188
	v_fma_f32 v86, v129, v185, -v86
	v_fmac_f32_e32 v138, v132, v187
	v_add_f32_e32 v85, v85, v86
	v_mul_f32_e32 v86, v132, v188
	v_add_f32_e32 v195, v137, v138
	ds_read_b64 v[137:138], v84 offset:656
	v_fma_f32 v86, v131, v187, -v86
	v_add_f32_e32 v85, v85, v86
	s_waitcnt vmcnt(4) lgkmcnt(1)
	v_mul_f32_e32 v86, v134, v190
	v_mul_f32_e32 v196, v133, v190
	v_fma_f32 v86, v133, v189, -v86
	v_fmac_f32_e32 v196, v134, v189
	v_add_f32_e32 v85, v85, v86
	s_waitcnt vmcnt(2)
	v_mul_f32_e32 v86, v136, v192
	v_add_f32_e32 v195, v195, v196
	v_mul_f32_e32 v196, v135, v192
	v_fma_f32 v86, v135, v191, -v86
	v_fmac_f32_e32 v196, v136, v191
	v_add_f32_e32 v85, v85, v86
	s_waitcnt vmcnt(0) lgkmcnt(0)
	v_mul_f32_e32 v86, v138, v194
	v_add_f32_e32 v195, v195, v196
	v_mul_f32_e32 v196, v137, v194
	v_fma_f32 v86, v137, v193, -v86
	v_fmac_f32_e32 v196, v138, v193
	v_add_f32_e32 v85, v85, v86
	v_add_f32_e32 v195, v195, v196
	v_sub_f32_e32 v85, v171, v85
	v_sub_f32_e32 v86, v172, v195
	buffer_store_dword v85, off, s[0:3], 0 offset:104
	buffer_store_dword v86, off, s[0:3], 0 offset:108
	s_and_saveexec_b64 s[4:5], vcc
	s_cbranch_execz .LBB104_235
; %bb.234:
	buffer_load_dword v85, off, s[0:3], 0 offset:96
	buffer_load_dword v86, off, s[0:3], 0 offset:100
	s_waitcnt vmcnt(0)
	ds_write_b64 v83, v[85:86]
	buffer_store_dword v84, off, s[0:3], 0 offset:96
	buffer_store_dword v84, off, s[0:3], 0 offset:100
.LBB104_235:
	s_or_b64 exec, exec, s[4:5]
	s_waitcnt lgkmcnt(0)
	; wave barrier
	buffer_load_dword v141, off, s[0:3], 0 offset:108
	buffer_load_dword v142, off, s[0:3], 0 offset:116
	;; [unrolled: 1-line block ×34, first 2 shown]
	ds_read2_b64 v[85:88], v84 offset0:55 offset1:56
	ds_read2_b64 v[89:92], v84 offset0:57 offset1:58
	buffer_load_dword v175, off, s[0:3], 0 offset:236
	buffer_load_dword v176, off, s[0:3], 0 offset:232
	;; [unrolled: 1-line block ×6, first 2 shown]
	ds_read2_b64 v[93:96], v84 offset0:59 offset1:60
	ds_read2_b64 v[97:100], v84 offset0:61 offset1:62
	;; [unrolled: 1-line block ×4, first 2 shown]
	buffer_load_dword v181, off, s[0:3], 0 offset:260
	buffer_load_dword v182, off, s[0:3], 0 offset:256
	;; [unrolled: 1-line block ×18, first 2 shown]
	v_cmp_lt_u32_e32 vcc, 11, v0
	s_waitcnt vmcnt(57) lgkmcnt(5)
	v_mul_f32_e32 v109, v85, v141
	s_waitcnt vmcnt(56)
	v_mul_f32_e32 v110, v87, v142
	s_waitcnt vmcnt(55) lgkmcnt(4)
	v_mul_f32_e32 v111, v89, v143
	s_waitcnt vmcnt(54)
	v_mul_f32_e32 v112, v91, v144
	;; [unrolled: 4-line block ×4, first 2 shown]
	s_waitcnt vmcnt(49)
	v_fmac_f32_e32 v109, v86, v149
	s_waitcnt vmcnt(48)
	v_fmac_f32_e32 v110, v88, v150
	v_add_f32_e32 v109, 0, v109
	s_waitcnt vmcnt(47)
	v_fmac_f32_e32 v111, v90, v151
	v_add_f32_e32 v109, v109, v110
	;; [unrolled: 3-line block ×4, first 2 shown]
	v_mul_f32_e32 v86, v86, v141
	s_waitcnt vmcnt(44)
	v_fmac_f32_e32 v114, v96, v154
	v_add_f32_e32 v109, v109, v113
	v_fma_f32 v85, v85, v149, -v86
	v_mul_f32_e32 v86, v88, v142
	s_waitcnt vmcnt(43)
	v_fmac_f32_e32 v115, v98, v155
	v_add_f32_e32 v109, v109, v114
	v_add_f32_e32 v85, 0, v85
	v_fma_f32 v86, v87, v150, -v86
	s_waitcnt vmcnt(42)
	v_fmac_f32_e32 v116, v100, v156
	v_add_f32_e32 v109, v109, v115
	s_waitcnt vmcnt(41) lgkmcnt(1)
	v_mul_f32_e32 v110, v101, v157
	v_add_f32_e32 v85, v85, v86
	v_mul_f32_e32 v86, v90, v143
	v_add_f32_e32 v109, v109, v116
	s_waitcnt vmcnt(40)
	v_fmac_f32_e32 v110, v102, v158
	v_fma_f32 v86, v89, v151, -v86
	v_add_f32_e32 v109, v109, v110
	s_waitcnt vmcnt(39)
	v_mul_f32_e32 v110, v103, v159
	v_add_f32_e32 v85, v85, v86
	v_mul_f32_e32 v86, v92, v144
	s_waitcnt vmcnt(38)
	v_fmac_f32_e32 v110, v104, v160
	v_fma_f32 v86, v91, v152, -v86
	v_add_f32_e32 v109, v109, v110
	s_waitcnt vmcnt(37) lgkmcnt(0)
	v_mul_f32_e32 v110, v105, v161
	v_add_f32_e32 v85, v85, v86
	v_mul_f32_e32 v86, v94, v145
	s_waitcnt vmcnt(36)
	v_fmac_f32_e32 v110, v106, v162
	v_fma_f32 v86, v93, v153, -v86
	v_add_f32_e32 v113, v109, v110
	ds_read2_b64 v[109:112], v84 offset0:67 offset1:68
	v_add_f32_e32 v85, v85, v86
	v_mul_f32_e32 v86, v96, v146
	v_fma_f32 v86, v95, v154, -v86
	s_waitcnt vmcnt(35)
	v_mul_f32_e32 v114, v107, v163
	v_add_f32_e32 v85, v85, v86
	v_mul_f32_e32 v86, v98, v147
	s_waitcnt vmcnt(34)
	v_fmac_f32_e32 v114, v108, v164
	v_fma_f32 v86, v97, v155, -v86
	v_add_f32_e32 v117, v113, v114
	ds_read2_b64 v[113:116], v84 offset0:69 offset1:70
	v_add_f32_e32 v85, v85, v86
	v_mul_f32_e32 v86, v100, v148
	s_waitcnt vmcnt(33) lgkmcnt(1)
	v_mul_f32_e32 v118, v109, v165
	v_fma_f32 v86, v99, v156, -v86
	s_waitcnt vmcnt(32)
	v_fmac_f32_e32 v118, v110, v166
	v_add_f32_e32 v85, v85, v86
	v_mul_f32_e32 v86, v102, v157
	v_add_f32_e32 v117, v117, v118
	s_waitcnt vmcnt(31)
	v_mul_f32_e32 v118, v111, v167
	v_fma_f32 v86, v101, v158, -v86
	s_waitcnt vmcnt(30)
	v_fmac_f32_e32 v118, v112, v168
	v_add_f32_e32 v85, v85, v86
	v_mul_f32_e32 v86, v104, v159
	v_add_f32_e32 v117, v117, v118
	s_waitcnt vmcnt(29) lgkmcnt(0)
	v_mul_f32_e32 v118, v113, v169
	v_fma_f32 v86, v103, v160, -v86
	s_waitcnt vmcnt(28)
	v_fmac_f32_e32 v118, v114, v170
	v_add_f32_e32 v85, v85, v86
	v_mul_f32_e32 v86, v106, v161
	v_add_f32_e32 v121, v117, v118
	ds_read2_b64 v[117:120], v84 offset0:71 offset1:72
	v_fma_f32 v86, v105, v162, -v86
	v_add_f32_e32 v85, v85, v86
	v_mul_f32_e32 v86, v108, v163
	s_waitcnt vmcnt(25)
	v_mul_f32_e32 v122, v115, v173
	v_fma_f32 v86, v107, v164, -v86
	s_waitcnt vmcnt(24)
	v_fmac_f32_e32 v122, v116, v174
	v_add_f32_e32 v85, v85, v86
	v_mul_f32_e32 v86, v110, v165
	v_add_f32_e32 v125, v121, v122
	ds_read2_b64 v[121:124], v84 offset0:73 offset1:74
	v_fma_f32 v86, v109, v166, -v86
	s_waitcnt vmcnt(23) lgkmcnt(1)
	v_mul_f32_e32 v126, v117, v175
	v_add_f32_e32 v85, v85, v86
	v_mul_f32_e32 v86, v112, v167
	s_waitcnt vmcnt(22)
	v_fmac_f32_e32 v126, v118, v176
	v_fma_f32 v86, v111, v168, -v86
	v_add_f32_e32 v125, v125, v126
	s_waitcnt vmcnt(20)
	v_mul_f32_e32 v126, v119, v178
	v_add_f32_e32 v85, v85, v86
	v_mul_f32_e32 v86, v114, v169
	v_fmac_f32_e32 v126, v120, v177
	v_fma_f32 v86, v113, v170, -v86
	v_add_f32_e32 v125, v125, v126
	s_waitcnt vmcnt(18) lgkmcnt(0)
	v_mul_f32_e32 v126, v121, v180
	v_add_f32_e32 v85, v85, v86
	v_mul_f32_e32 v86, v116, v173
	v_fmac_f32_e32 v126, v122, v179
	v_fma_f32 v86, v115, v174, -v86
	v_add_f32_e32 v129, v125, v126
	ds_read2_b64 v[125:128], v84 offset0:75 offset1:76
	v_add_f32_e32 v85, v85, v86
	v_mul_f32_e32 v86, v118, v175
	v_fma_f32 v86, v117, v176, -v86
	s_waitcnt vmcnt(17)
	v_mul_f32_e32 v130, v123, v181
	v_add_f32_e32 v85, v85, v86
	v_mul_f32_e32 v86, v120, v178
	s_waitcnt vmcnt(16)
	v_fmac_f32_e32 v130, v124, v182
	v_fma_f32 v86, v119, v177, -v86
	v_add_f32_e32 v133, v129, v130
	ds_read2_b64 v[129:132], v84 offset0:77 offset1:78
	v_add_f32_e32 v85, v85, v86
	v_mul_f32_e32 v86, v122, v180
	s_waitcnt vmcnt(14) lgkmcnt(1)
	v_mul_f32_e32 v134, v125, v184
	v_fma_f32 v86, v121, v179, -v86
	v_fmac_f32_e32 v134, v126, v183
	v_add_f32_e32 v85, v85, v86
	v_mul_f32_e32 v86, v124, v181
	v_add_f32_e32 v133, v133, v134
	s_waitcnt vmcnt(12)
	v_mul_f32_e32 v134, v127, v186
	v_fma_f32 v86, v123, v182, -v86
	v_fmac_f32_e32 v134, v128, v185
	v_add_f32_e32 v85, v85, v86
	v_mul_f32_e32 v86, v126, v184
	v_add_f32_e32 v133, v133, v134
	s_waitcnt vmcnt(10) lgkmcnt(0)
	v_mul_f32_e32 v134, v129, v188
	v_fma_f32 v86, v125, v183, -v86
	v_fmac_f32_e32 v134, v130, v187
	v_add_f32_e32 v85, v85, v86
	v_mul_f32_e32 v86, v128, v186
	v_add_f32_e32 v137, v133, v134
	ds_read2_b64 v[133:136], v84 offset0:79 offset1:80
	v_fma_f32 v86, v127, v185, -v86
	v_add_f32_e32 v85, v85, v86
	v_mul_f32_e32 v86, v130, v188
	s_waitcnt vmcnt(8)
	v_mul_f32_e32 v138, v131, v190
	v_fma_f32 v86, v129, v187, -v86
	v_fmac_f32_e32 v138, v132, v189
	v_add_f32_e32 v85, v85, v86
	v_mul_f32_e32 v86, v132, v190
	v_add_f32_e32 v199, v137, v138
	ds_read2_b64 v[137:140], v84 offset0:81 offset1:82
	v_fma_f32 v86, v131, v189, -v86
	v_add_f32_e32 v85, v85, v86
	s_waitcnt vmcnt(6) lgkmcnt(1)
	v_mul_f32_e32 v86, v134, v192
	v_mul_f32_e32 v84, v133, v192
	v_fma_f32 v86, v133, v191, -v86
	v_fmac_f32_e32 v84, v134, v191
	v_add_f32_e32 v85, v85, v86
	s_waitcnt vmcnt(4)
	v_mul_f32_e32 v86, v136, v194
	v_add_f32_e32 v84, v199, v84
	v_mul_f32_e32 v199, v135, v194
	v_fma_f32 v86, v135, v193, -v86
	v_fmac_f32_e32 v199, v136, v193
	v_add_f32_e32 v85, v85, v86
	s_waitcnt vmcnt(2) lgkmcnt(0)
	v_mul_f32_e32 v86, v138, v196
	v_add_f32_e32 v84, v84, v199
	v_mul_f32_e32 v199, v137, v196
	v_fma_f32 v86, v137, v195, -v86
	v_fmac_f32_e32 v199, v138, v195
	v_add_f32_e32 v85, v85, v86
	s_waitcnt vmcnt(0)
	v_mul_f32_e32 v86, v140, v198
	v_add_f32_e32 v84, v84, v199
	v_mul_f32_e32 v199, v139, v198
	v_fma_f32 v86, v139, v197, -v86
	v_fmac_f32_e32 v199, v140, v197
	v_add_f32_e32 v85, v85, v86
	v_add_f32_e32 v84, v84, v199
	v_sub_f32_e32 v85, v171, v85
	v_sub_f32_e32 v84, v172, v84
	buffer_store_dword v85, off, s[0:3], 0 offset:96
	buffer_store_dword v84, off, s[0:3], 0 offset:100
	s_and_saveexec_b64 s[4:5], vcc
	s_cbranch_execz .LBB104_237
; %bb.236:
	buffer_load_dword v84, off, s[0:3], 0 offset:88
	buffer_load_dword v85, off, s[0:3], 0 offset:92
	v_mov_b32_e32 v86, 0
	buffer_store_dword v86, off, s[0:3], 0 offset:88
	buffer_store_dword v86, off, s[0:3], 0 offset:92
	s_waitcnt vmcnt(2)
	ds_write_b64 v83, v[84:85]
.LBB104_237:
	s_or_b64 exec, exec, s[4:5]
	s_waitcnt lgkmcnt(0)
	; wave barrier
	buffer_load_dword v143, off, s[0:3], 0 offset:100
	buffer_load_dword v144, off, s[0:3], 0 offset:108
	;; [unrolled: 1-line block ×60, first 2 shown]
	v_mov_b32_e32 v84, 0
	ds_read_b128 v[85:88], v84 offset:432
	ds_read_b128 v[89:92], v84 offset:448
	;; [unrolled: 1-line block ×5, first 2 shown]
	v_cmp_lt_u32_e32 vcc, 10, v0
	s_waitcnt vmcnt(59) lgkmcnt(4)
	v_mul_f32_e32 v105, v85, v143
	s_waitcnt vmcnt(58)
	v_mul_f32_e32 v106, v87, v144
	s_waitcnt vmcnt(57) lgkmcnt(3)
	v_mul_f32_e32 v107, v89, v145
	s_waitcnt vmcnt(56)
	v_mul_f32_e32 v108, v91, v146
	;; [unrolled: 4-line block ×3, first 2 shown]
	s_waitcnt vmcnt(53) lgkmcnt(1)
	v_mul_f32_e32 v111, v97, v149
	s_waitcnt vmcnt(52)
	v_fmac_f32_e32 v105, v86, v150
	s_waitcnt vmcnt(51)
	v_fmac_f32_e32 v106, v88, v151
	v_add_f32_e32 v105, 0, v105
	s_waitcnt vmcnt(50)
	v_fmac_f32_e32 v107, v90, v152
	v_add_f32_e32 v105, v105, v106
	;; [unrolled: 3-line block ×6, first 2 shown]
	s_waitcnt vmcnt(45)
	v_mul_f32_e32 v106, v99, v157
	v_add_f32_e32 v105, v105, v111
	s_waitcnt vmcnt(44)
	v_fmac_f32_e32 v106, v100, v158
	v_mul_f32_e32 v86, v86, v143
	v_add_f32_e32 v109, v105, v106
	ds_read_b128 v[105:108], v84 offset:512
	v_fma_f32 v85, v85, v150, -v86
	v_mul_f32_e32 v86, v88, v144
	s_waitcnt vmcnt(43) lgkmcnt(1)
	v_mul_f32_e32 v110, v101, v159
	v_add_f32_e32 v85, 0, v85
	v_fma_f32 v86, v87, v151, -v86
	s_waitcnt vmcnt(42)
	v_fmac_f32_e32 v110, v102, v160
	v_add_f32_e32 v85, v85, v86
	v_mul_f32_e32 v86, v90, v145
	v_add_f32_e32 v109, v109, v110
	s_waitcnt vmcnt(41)
	v_mul_f32_e32 v110, v103, v161
	v_fma_f32 v86, v89, v152, -v86
	s_waitcnt vmcnt(40)
	v_fmac_f32_e32 v110, v104, v162
	v_add_f32_e32 v85, v85, v86
	v_mul_f32_e32 v86, v92, v146
	v_add_f32_e32 v109, v109, v110
	s_waitcnt vmcnt(39) lgkmcnt(0)
	v_mul_f32_e32 v110, v105, v163
	v_fma_f32 v86, v91, v153, -v86
	s_waitcnt vmcnt(38)
	v_fmac_f32_e32 v110, v106, v164
	v_add_f32_e32 v85, v85, v86
	v_mul_f32_e32 v86, v94, v147
	v_add_f32_e32 v113, v109, v110
	ds_read_b128 v[109:112], v84 offset:528
	v_fma_f32 v86, v93, v154, -v86
	v_add_f32_e32 v85, v85, v86
	v_mul_f32_e32 v86, v96, v148
	s_waitcnt vmcnt(37)
	v_mul_f32_e32 v114, v107, v165
	v_fma_f32 v86, v95, v155, -v86
	s_waitcnt vmcnt(36)
	v_fmac_f32_e32 v114, v108, v166
	v_add_f32_e32 v85, v85, v86
	v_mul_f32_e32 v86, v98, v149
	v_add_f32_e32 v117, v113, v114
	ds_read_b128 v[113:116], v84 offset:544
	v_fma_f32 v86, v97, v156, -v86
	s_waitcnt vmcnt(34) lgkmcnt(1)
	v_mul_f32_e32 v118, v109, v168
	v_add_f32_e32 v85, v85, v86
	v_mul_f32_e32 v86, v100, v157
	v_fmac_f32_e32 v118, v110, v167
	v_fma_f32 v86, v99, v158, -v86
	v_add_f32_e32 v117, v117, v118
	s_waitcnt vmcnt(31)
	v_mul_f32_e32 v118, v111, v171
	v_add_f32_e32 v85, v85, v86
	v_mul_f32_e32 v86, v102, v159
	s_waitcnt vmcnt(30)
	v_fmac_f32_e32 v118, v112, v172
	v_fma_f32 v86, v101, v160, -v86
	v_add_f32_e32 v117, v117, v118
	s_waitcnt vmcnt(28) lgkmcnt(0)
	v_mul_f32_e32 v118, v113, v174
	v_add_f32_e32 v85, v85, v86
	v_mul_f32_e32 v86, v104, v161
	v_fmac_f32_e32 v118, v114, v173
	v_fma_f32 v86, v103, v162, -v86
	v_add_f32_e32 v121, v117, v118
	ds_read_b128 v[117:120], v84 offset:560
	v_add_f32_e32 v85, v85, v86
	v_mul_f32_e32 v86, v106, v163
	v_fma_f32 v86, v105, v164, -v86
	s_waitcnt vmcnt(26)
	v_mul_f32_e32 v122, v115, v176
	v_add_f32_e32 v85, v85, v86
	v_mul_f32_e32 v86, v108, v165
	v_fmac_f32_e32 v122, v116, v175
	v_fma_f32 v86, v107, v166, -v86
	v_add_f32_e32 v125, v121, v122
	ds_read_b128 v[121:124], v84 offset:576
	v_add_f32_e32 v85, v85, v86
	v_mul_f32_e32 v86, v110, v168
	s_waitcnt vmcnt(24) lgkmcnt(1)
	v_mul_f32_e32 v126, v117, v178
	v_fma_f32 v86, v109, v167, -v86
	v_fmac_f32_e32 v126, v118, v177
	v_add_f32_e32 v85, v85, v86
	v_mul_f32_e32 v86, v112, v171
	v_add_f32_e32 v125, v125, v126
	s_waitcnt vmcnt(22)
	v_mul_f32_e32 v126, v119, v180
	v_fma_f32 v86, v111, v172, -v86
	v_fmac_f32_e32 v126, v120, v179
	v_add_f32_e32 v85, v85, v86
	v_mul_f32_e32 v86, v114, v174
	v_add_f32_e32 v125, v125, v126
	s_waitcnt vmcnt(20) lgkmcnt(0)
	v_mul_f32_e32 v126, v121, v182
	v_fma_f32 v86, v113, v173, -v86
	v_fmac_f32_e32 v126, v122, v181
	v_add_f32_e32 v85, v85, v86
	v_mul_f32_e32 v86, v116, v176
	v_add_f32_e32 v129, v125, v126
	ds_read_b128 v[125:128], v84 offset:592
	v_fma_f32 v86, v115, v175, -v86
	v_add_f32_e32 v85, v85, v86
	v_mul_f32_e32 v86, v118, v178
	s_waitcnt vmcnt(18)
	v_mul_f32_e32 v130, v123, v184
	v_fma_f32 v86, v117, v177, -v86
	v_fmac_f32_e32 v130, v124, v183
	v_add_f32_e32 v85, v85, v86
	v_mul_f32_e32 v86, v120, v180
	v_add_f32_e32 v133, v129, v130
	ds_read_b128 v[129:132], v84 offset:608
	v_fma_f32 v86, v119, v179, -v86
	s_waitcnt vmcnt(16) lgkmcnt(1)
	v_mul_f32_e32 v134, v125, v186
	v_add_f32_e32 v85, v85, v86
	v_mul_f32_e32 v86, v122, v182
	v_fmac_f32_e32 v134, v126, v185
	v_fma_f32 v86, v121, v181, -v86
	v_add_f32_e32 v133, v133, v134
	s_waitcnt vmcnt(14)
	v_mul_f32_e32 v134, v127, v188
	v_add_f32_e32 v85, v85, v86
	v_mul_f32_e32 v86, v124, v184
	v_fmac_f32_e32 v134, v128, v187
	v_fma_f32 v86, v123, v183, -v86
	v_add_f32_e32 v133, v133, v134
	s_waitcnt vmcnt(12) lgkmcnt(0)
	v_mul_f32_e32 v134, v129, v190
	v_add_f32_e32 v85, v85, v86
	v_mul_f32_e32 v86, v126, v186
	v_fmac_f32_e32 v134, v130, v189
	v_fma_f32 v86, v125, v185, -v86
	v_add_f32_e32 v137, v133, v134
	ds_read_b128 v[133:136], v84 offset:624
	v_add_f32_e32 v85, v85, v86
	v_mul_f32_e32 v86, v128, v188
	v_fma_f32 v86, v127, v187, -v86
	v_add_f32_e32 v85, v85, v86
	v_mul_f32_e32 v86, v130, v190
	s_waitcnt vmcnt(10)
	v_mul_f32_e32 v138, v131, v192
	v_fma_f32 v86, v129, v189, -v86
	v_fmac_f32_e32 v138, v132, v191
	v_add_f32_e32 v85, v85, v86
	v_mul_f32_e32 v86, v132, v192
	v_add_f32_e32 v141, v137, v138
	ds_read_b128 v[137:140], v84 offset:640
	s_waitcnt vmcnt(8) lgkmcnt(1)
	v_mul_f32_e32 v142, v133, v194
	v_fma_f32 v86, v131, v191, -v86
	v_fmac_f32_e32 v142, v134, v193
	v_add_f32_e32 v85, v85, v86
	v_mul_f32_e32 v86, v134, v194
	v_add_f32_e32 v141, v141, v142
	s_waitcnt vmcnt(6)
	v_mul_f32_e32 v142, v135, v196
	v_fma_f32 v86, v133, v193, -v86
	v_fmac_f32_e32 v142, v136, v195
	v_add_f32_e32 v85, v85, v86
	v_mul_f32_e32 v86, v136, v196
	v_add_f32_e32 v203, v141, v142
	ds_read_b64 v[141:142], v84 offset:656
	v_fma_f32 v86, v135, v195, -v86
	v_add_f32_e32 v85, v85, v86
	s_waitcnt vmcnt(4) lgkmcnt(1)
	v_mul_f32_e32 v86, v138, v198
	v_mul_f32_e32 v204, v137, v198
	v_fma_f32 v86, v137, v197, -v86
	v_fmac_f32_e32 v204, v138, v197
	v_add_f32_e32 v85, v85, v86
	s_waitcnt vmcnt(2)
	v_mul_f32_e32 v86, v140, v200
	v_add_f32_e32 v203, v203, v204
	v_mul_f32_e32 v204, v139, v200
	v_fma_f32 v86, v139, v199, -v86
	v_fmac_f32_e32 v204, v140, v199
	v_add_f32_e32 v85, v85, v86
	s_waitcnt vmcnt(0) lgkmcnt(0)
	v_mul_f32_e32 v86, v142, v202
	v_add_f32_e32 v203, v203, v204
	v_mul_f32_e32 v204, v141, v202
	v_fma_f32 v86, v141, v201, -v86
	v_fmac_f32_e32 v204, v142, v201
	v_add_f32_e32 v85, v85, v86
	v_add_f32_e32 v203, v203, v204
	v_sub_f32_e32 v85, v169, v85
	v_sub_f32_e32 v86, v170, v203
	buffer_store_dword v85, off, s[0:3], 0 offset:88
	buffer_store_dword v86, off, s[0:3], 0 offset:92
	s_and_saveexec_b64 s[4:5], vcc
	s_cbranch_execz .LBB104_239
; %bb.238:
	buffer_load_dword v85, off, s[0:3], 0 offset:80
	buffer_load_dword v86, off, s[0:3], 0 offset:84
	s_waitcnt vmcnt(0)
	ds_write_b64 v83, v[85:86]
	buffer_store_dword v84, off, s[0:3], 0 offset:80
	buffer_store_dword v84, off, s[0:3], 0 offset:84
.LBB104_239:
	s_or_b64 exec, exec, s[4:5]
	s_waitcnt lgkmcnt(0)
	; wave barrier
	buffer_load_dword v145, off, s[0:3], 0 offset:92
	buffer_load_dword v146, off, s[0:3], 0 offset:100
	;; [unrolled: 1-line block ×32, first 2 shown]
	ds_read2_b64 v[85:88], v84 offset0:53 offset1:54
	ds_read2_b64 v[89:92], v84 offset0:55 offset1:56
	;; [unrolled: 1-line block ×4, first 2 shown]
	buffer_load_dword v177, off, s[0:3], 0 offset:212
	buffer_load_dword v178, off, s[0:3], 0 offset:208
	;; [unrolled: 1-line block ×30, first 2 shown]
	v_cmp_lt_u32_e32 vcc, 9, v0
	s_waitcnt vmcnt(61) lgkmcnt(3)
	v_mul_f32_e32 v101, v85, v145
	s_waitcnt vmcnt(60)
	v_mul_f32_e32 v102, v87, v146
	s_waitcnt vmcnt(59) lgkmcnt(2)
	v_mul_f32_e32 v103, v89, v147
	s_waitcnt vmcnt(58)
	v_mul_f32_e32 v104, v91, v148
	;; [unrolled: 4-line block ×3, first 2 shown]
	s_waitcnt vmcnt(55) lgkmcnt(0)
	v_mul_f32_e32 v107, v97, v151
	s_waitcnt vmcnt(54)
	v_fmac_f32_e32 v101, v86, v152
	s_waitcnt vmcnt(53)
	v_fmac_f32_e32 v102, v88, v153
	v_add_f32_e32 v101, 0, v101
	s_waitcnt vmcnt(52)
	v_fmac_f32_e32 v103, v90, v154
	v_add_f32_e32 v101, v101, v102
	;; [unrolled: 3-line block ×6, first 2 shown]
	v_add_f32_e32 v105, v101, v107
	ds_read2_b64 v[101:104], v84 offset0:61 offset1:62
	s_waitcnt vmcnt(47)
	v_mul_f32_e32 v106, v99, v159
	s_waitcnt vmcnt(46)
	v_fmac_f32_e32 v106, v100, v160
	v_mul_f32_e32 v86, v86, v145
	v_add_f32_e32 v109, v105, v106
	ds_read2_b64 v[105:108], v84 offset0:63 offset1:64
	v_fma_f32 v85, v85, v152, -v86
	v_mul_f32_e32 v86, v88, v146
	s_waitcnt vmcnt(45) lgkmcnt(1)
	v_mul_f32_e32 v110, v101, v161
	v_add_f32_e32 v85, 0, v85
	v_fma_f32 v86, v87, v153, -v86
	s_waitcnt vmcnt(44)
	v_fmac_f32_e32 v110, v102, v162
	v_add_f32_e32 v85, v85, v86
	v_mul_f32_e32 v86, v90, v147
	v_add_f32_e32 v109, v109, v110
	s_waitcnt vmcnt(43)
	v_mul_f32_e32 v110, v103, v163
	v_fma_f32 v86, v89, v154, -v86
	s_waitcnt vmcnt(42)
	v_fmac_f32_e32 v110, v104, v164
	v_add_f32_e32 v85, v85, v86
	v_mul_f32_e32 v86, v92, v148
	v_add_f32_e32 v109, v109, v110
	s_waitcnt vmcnt(41) lgkmcnt(0)
	v_mul_f32_e32 v110, v105, v165
	v_fma_f32 v86, v91, v155, -v86
	s_waitcnt vmcnt(40)
	v_fmac_f32_e32 v110, v106, v166
	v_add_f32_e32 v85, v85, v86
	v_mul_f32_e32 v86, v94, v149
	v_add_f32_e32 v113, v109, v110
	ds_read2_b64 v[109:112], v84 offset0:65 offset1:66
	v_fma_f32 v86, v93, v156, -v86
	v_add_f32_e32 v85, v85, v86
	v_mul_f32_e32 v86, v96, v150
	s_waitcnt vmcnt(39)
	v_mul_f32_e32 v114, v107, v167
	v_fma_f32 v86, v95, v157, -v86
	s_waitcnt vmcnt(38)
	v_fmac_f32_e32 v114, v108, v168
	v_add_f32_e32 v85, v85, v86
	v_mul_f32_e32 v86, v98, v151
	v_add_f32_e32 v117, v113, v114
	ds_read2_b64 v[113:116], v84 offset0:67 offset1:68
	v_fma_f32 v86, v97, v158, -v86
	s_waitcnt vmcnt(35) lgkmcnt(1)
	v_mul_f32_e32 v118, v109, v171
	v_add_f32_e32 v85, v85, v86
	v_mul_f32_e32 v86, v100, v159
	s_waitcnt vmcnt(34)
	v_fmac_f32_e32 v118, v110, v172
	v_fma_f32 v86, v99, v160, -v86
	v_add_f32_e32 v117, v117, v118
	s_waitcnt vmcnt(32)
	v_mul_f32_e32 v118, v111, v174
	v_add_f32_e32 v85, v85, v86
	v_mul_f32_e32 v86, v102, v161
	v_fmac_f32_e32 v118, v112, v173
	v_fma_f32 v86, v101, v162, -v86
	v_add_f32_e32 v117, v117, v118
	s_waitcnt vmcnt(30) lgkmcnt(0)
	v_mul_f32_e32 v118, v113, v176
	v_add_f32_e32 v85, v85, v86
	v_mul_f32_e32 v86, v104, v163
	v_fmac_f32_e32 v118, v114, v175
	v_fma_f32 v86, v103, v164, -v86
	v_add_f32_e32 v121, v117, v118
	ds_read2_b64 v[117:120], v84 offset0:69 offset1:70
	v_add_f32_e32 v85, v85, v86
	v_mul_f32_e32 v86, v106, v165
	v_fma_f32 v86, v105, v166, -v86
	s_waitcnt vmcnt(29)
	v_mul_f32_e32 v122, v115, v177
	v_add_f32_e32 v85, v85, v86
	v_mul_f32_e32 v86, v108, v167
	s_waitcnt vmcnt(28)
	v_fmac_f32_e32 v122, v116, v178
	v_fma_f32 v86, v107, v168, -v86
	v_add_f32_e32 v125, v121, v122
	ds_read2_b64 v[121:124], v84 offset0:71 offset1:72
	v_add_f32_e32 v85, v85, v86
	v_mul_f32_e32 v86, v110, v171
	s_waitcnt vmcnt(26) lgkmcnt(1)
	v_mul_f32_e32 v126, v117, v180
	v_fma_f32 v86, v109, v172, -v86
	v_fmac_f32_e32 v126, v118, v179
	v_add_f32_e32 v85, v85, v86
	v_mul_f32_e32 v86, v112, v174
	v_add_f32_e32 v125, v125, v126
	s_waitcnt vmcnt(24)
	v_mul_f32_e32 v126, v119, v182
	v_fma_f32 v86, v111, v173, -v86
	v_fmac_f32_e32 v126, v120, v181
	v_add_f32_e32 v85, v85, v86
	v_mul_f32_e32 v86, v114, v176
	v_add_f32_e32 v125, v125, v126
	s_waitcnt vmcnt(22) lgkmcnt(0)
	v_mul_f32_e32 v126, v121, v184
	v_fma_f32 v86, v113, v175, -v86
	v_fmac_f32_e32 v126, v122, v183
	v_add_f32_e32 v85, v85, v86
	v_mul_f32_e32 v86, v116, v177
	v_add_f32_e32 v129, v125, v126
	ds_read2_b64 v[125:128], v84 offset0:73 offset1:74
	v_fma_f32 v86, v115, v178, -v86
	v_add_f32_e32 v85, v85, v86
	v_mul_f32_e32 v86, v118, v180
	s_waitcnt vmcnt(20)
	v_mul_f32_e32 v130, v123, v186
	v_fma_f32 v86, v117, v179, -v86
	v_fmac_f32_e32 v130, v124, v185
	v_add_f32_e32 v85, v85, v86
	v_mul_f32_e32 v86, v120, v182
	v_add_f32_e32 v133, v129, v130
	ds_read2_b64 v[129:132], v84 offset0:75 offset1:76
	v_fma_f32 v86, v119, v181, -v86
	s_waitcnt vmcnt(18) lgkmcnt(1)
	v_mul_f32_e32 v134, v125, v188
	v_add_f32_e32 v85, v85, v86
	v_mul_f32_e32 v86, v122, v184
	v_fmac_f32_e32 v134, v126, v187
	v_fma_f32 v86, v121, v183, -v86
	v_add_f32_e32 v133, v133, v134
	s_waitcnt vmcnt(16)
	v_mul_f32_e32 v134, v127, v190
	v_add_f32_e32 v85, v85, v86
	v_mul_f32_e32 v86, v124, v186
	v_fmac_f32_e32 v134, v128, v189
	v_fma_f32 v86, v123, v185, -v86
	v_add_f32_e32 v133, v133, v134
	s_waitcnt vmcnt(14) lgkmcnt(0)
	v_mul_f32_e32 v134, v129, v192
	v_add_f32_e32 v85, v85, v86
	v_mul_f32_e32 v86, v126, v188
	v_fmac_f32_e32 v134, v130, v191
	v_fma_f32 v86, v125, v187, -v86
	v_add_f32_e32 v137, v133, v134
	ds_read2_b64 v[133:136], v84 offset0:77 offset1:78
	v_add_f32_e32 v85, v85, v86
	v_mul_f32_e32 v86, v128, v190
	v_fma_f32 v86, v127, v189, -v86
	v_add_f32_e32 v85, v85, v86
	v_mul_f32_e32 v86, v130, v192
	s_waitcnt vmcnt(12)
	v_mul_f32_e32 v138, v131, v194
	v_fma_f32 v86, v129, v191, -v86
	v_fmac_f32_e32 v138, v132, v193
	v_add_f32_e32 v85, v85, v86
	v_mul_f32_e32 v86, v132, v194
	v_add_f32_e32 v141, v137, v138
	ds_read2_b64 v[137:140], v84 offset0:79 offset1:80
	s_waitcnt vmcnt(10) lgkmcnt(1)
	v_mul_f32_e32 v142, v133, v196
	v_fma_f32 v86, v131, v193, -v86
	v_fmac_f32_e32 v142, v134, v195
	v_add_f32_e32 v85, v85, v86
	v_mul_f32_e32 v86, v134, v196
	v_add_f32_e32 v141, v141, v142
	s_waitcnt vmcnt(8)
	v_mul_f32_e32 v142, v135, v198
	v_fma_f32 v86, v133, v195, -v86
	v_fmac_f32_e32 v142, v136, v197
	v_add_f32_e32 v85, v85, v86
	v_mul_f32_e32 v86, v136, v198
	v_add_f32_e32 v207, v141, v142
	ds_read2_b64 v[141:144], v84 offset0:81 offset1:82
	v_fma_f32 v86, v135, v197, -v86
	v_add_f32_e32 v85, v85, v86
	s_waitcnt vmcnt(6) lgkmcnt(1)
	v_mul_f32_e32 v86, v138, v200
	v_mul_f32_e32 v208, v137, v200
	v_fma_f32 v86, v137, v199, -v86
	v_fmac_f32_e32 v208, v138, v199
	v_add_f32_e32 v85, v85, v86
	s_waitcnt vmcnt(4)
	v_mul_f32_e32 v86, v140, v202
	v_add_f32_e32 v84, v207, v208
	v_mul_f32_e32 v207, v139, v202
	v_fma_f32 v86, v139, v201, -v86
	v_fmac_f32_e32 v207, v140, v201
	v_add_f32_e32 v85, v85, v86
	s_waitcnt vmcnt(2) lgkmcnt(0)
	v_mul_f32_e32 v86, v142, v204
	v_add_f32_e32 v84, v84, v207
	v_mul_f32_e32 v207, v141, v204
	v_fma_f32 v86, v141, v203, -v86
	v_fmac_f32_e32 v207, v142, v203
	v_add_f32_e32 v85, v85, v86
	s_waitcnt vmcnt(0)
	v_mul_f32_e32 v86, v144, v206
	v_add_f32_e32 v84, v84, v207
	v_mul_f32_e32 v207, v143, v206
	v_fma_f32 v86, v143, v205, -v86
	v_fmac_f32_e32 v207, v144, v205
	v_add_f32_e32 v85, v85, v86
	v_add_f32_e32 v84, v84, v207
	v_sub_f32_e32 v85, v169, v85
	v_sub_f32_e32 v84, v170, v84
	buffer_store_dword v85, off, s[0:3], 0 offset:80
	buffer_store_dword v84, off, s[0:3], 0 offset:84
	s_and_saveexec_b64 s[4:5], vcc
	s_cbranch_execz .LBB104_241
; %bb.240:
	buffer_load_dword v84, off, s[0:3], 0 offset:72
	buffer_load_dword v85, off, s[0:3], 0 offset:76
	v_mov_b32_e32 v86, 0
	buffer_store_dword v86, off, s[0:3], 0 offset:72
	buffer_store_dword v86, off, s[0:3], 0 offset:76
	s_waitcnt vmcnt(2)
	ds_write_b64 v83, v[84:85]
.LBB104_241:
	s_or_b64 exec, exec, s[4:5]
	s_waitcnt lgkmcnt(0)
	; wave barrier
	buffer_load_dword v147, off, s[0:3], 0 offset:84
	buffer_load_dword v148, off, s[0:3], 0 offset:92
	;; [unrolled: 1-line block ×56, first 2 shown]
	v_mov_b32_e32 v84, 0
	ds_read_b128 v[85:88], v84 offset:416
	buffer_load_dword v203, off, s[0:3], 0 offset:296
	buffer_load_dword v204, off, s[0:3], 0 offset:300
	;; [unrolled: 1-line block ×4, first 2 shown]
	ds_read_b128 v[89:92], v84 offset:432
	ds_read_b128 v[93:96], v84 offset:448
	;; [unrolled: 1-line block ×3, first 2 shown]
	v_cmp_lt_u32_e32 vcc, 8, v0
	s_waitcnt vmcnt(59) lgkmcnt(3)
	v_mul_f32_e32 v101, v85, v147
	s_waitcnt vmcnt(58)
	v_mul_f32_e32 v102, v87, v148
	s_waitcnt vmcnt(57) lgkmcnt(2)
	v_mul_f32_e32 v103, v89, v149
	s_waitcnt vmcnt(56)
	v_mul_f32_e32 v104, v91, v150
	;; [unrolled: 4-line block ×4, first 2 shown]
	s_waitcnt vmcnt(51)
	v_fmac_f32_e32 v101, v86, v155
	s_waitcnt vmcnt(50)
	v_fmac_f32_e32 v102, v88, v156
	v_add_f32_e32 v101, 0, v101
	s_waitcnt vmcnt(49)
	v_fmac_f32_e32 v103, v90, v157
	v_add_f32_e32 v101, v101, v102
	;; [unrolled: 3-line block ×6, first 2 shown]
	v_add_f32_e32 v105, v101, v107
	ds_read_b128 v[101:104], v84 offset:480
	buffer_load_dword v207, off, s[0:3], 0 offset:316
	buffer_load_dword v208, off, s[0:3], 0 offset:312
	;; [unrolled: 1-line block ×4, first 2 shown]
	s_waitcnt vmcnt(48)
	v_fmac_f32_e32 v108, v100, v162
	v_add_f32_e32 v109, v105, v108
	ds_read_b128 v[105:108], v84 offset:496
	s_waitcnt vmcnt(47) lgkmcnt(1)
	v_mul_f32_e32 v110, v101, v163
	v_mul_f32_e32 v86, v86, v147
	s_waitcnt vmcnt(46)
	v_fmac_f32_e32 v110, v102, v164
	v_fma_f32 v85, v85, v155, -v86
	v_mul_f32_e32 v86, v88, v148
	v_add_f32_e32 v109, v109, v110
	s_waitcnt vmcnt(45)
	v_mul_f32_e32 v110, v103, v165
	v_add_f32_e32 v85, 0, v85
	v_fma_f32 v86, v87, v156, -v86
	s_waitcnt vmcnt(44)
	v_fmac_f32_e32 v110, v104, v166
	v_add_f32_e32 v85, v85, v86
	v_mul_f32_e32 v86, v90, v149
	v_add_f32_e32 v109, v109, v110
	s_waitcnt vmcnt(42) lgkmcnt(0)
	v_mul_f32_e32 v110, v105, v168
	v_fma_f32 v86, v89, v157, -v86
	v_fmac_f32_e32 v110, v106, v167
	v_add_f32_e32 v85, v85, v86
	v_mul_f32_e32 v86, v92, v150
	v_add_f32_e32 v113, v109, v110
	ds_read_b128 v[109:112], v84 offset:512
	v_fma_f32 v86, v91, v158, -v86
	v_add_f32_e32 v85, v85, v86
	v_mul_f32_e32 v86, v94, v151
	s_waitcnt vmcnt(39)
	v_mul_f32_e32 v114, v107, v171
	v_fma_f32 v86, v93, v159, -v86
	s_waitcnt vmcnt(38)
	v_fmac_f32_e32 v114, v108, v172
	v_add_f32_e32 v85, v85, v86
	v_mul_f32_e32 v86, v96, v152
	v_add_f32_e32 v117, v113, v114
	ds_read_b128 v[113:116], v84 offset:528
	v_fma_f32 v86, v95, v160, -v86
	s_waitcnt vmcnt(36) lgkmcnt(1)
	v_mul_f32_e32 v118, v109, v174
	v_add_f32_e32 v85, v85, v86
	v_mul_f32_e32 v86, v98, v153
	v_fmac_f32_e32 v118, v110, v173
	v_fma_f32 v86, v97, v161, -v86
	v_add_f32_e32 v117, v117, v118
	s_waitcnt vmcnt(34)
	v_mul_f32_e32 v118, v111, v176
	v_add_f32_e32 v85, v85, v86
	v_mul_f32_e32 v86, v100, v154
	v_fmac_f32_e32 v118, v112, v175
	v_fma_f32 v86, v99, v162, -v86
	v_add_f32_e32 v117, v117, v118
	s_waitcnt vmcnt(32) lgkmcnt(0)
	v_mul_f32_e32 v118, v113, v178
	v_add_f32_e32 v85, v85, v86
	v_mul_f32_e32 v86, v102, v163
	v_fmac_f32_e32 v118, v114, v177
	v_fma_f32 v86, v101, v164, -v86
	v_add_f32_e32 v121, v117, v118
	ds_read_b128 v[117:120], v84 offset:544
	v_add_f32_e32 v85, v85, v86
	v_mul_f32_e32 v86, v104, v165
	v_fma_f32 v86, v103, v166, -v86
	s_waitcnt vmcnt(30)
	v_mul_f32_e32 v122, v115, v180
	v_add_f32_e32 v85, v85, v86
	v_mul_f32_e32 v86, v106, v168
	v_fmac_f32_e32 v122, v116, v179
	v_fma_f32 v86, v105, v167, -v86
	v_add_f32_e32 v125, v121, v122
	ds_read_b128 v[121:124], v84 offset:560
	v_add_f32_e32 v85, v85, v86
	v_mul_f32_e32 v86, v108, v171
	s_waitcnt vmcnt(28) lgkmcnt(1)
	v_mul_f32_e32 v126, v117, v182
	v_fma_f32 v86, v107, v172, -v86
	v_fmac_f32_e32 v126, v118, v181
	v_add_f32_e32 v85, v85, v86
	v_mul_f32_e32 v86, v110, v174
	v_add_f32_e32 v125, v125, v126
	s_waitcnt vmcnt(26)
	v_mul_f32_e32 v126, v119, v184
	v_fma_f32 v86, v109, v173, -v86
	v_fmac_f32_e32 v126, v120, v183
	v_add_f32_e32 v85, v85, v86
	v_mul_f32_e32 v86, v112, v176
	v_add_f32_e32 v125, v125, v126
	s_waitcnt vmcnt(24) lgkmcnt(0)
	v_mul_f32_e32 v126, v121, v186
	v_fma_f32 v86, v111, v175, -v86
	v_fmac_f32_e32 v126, v122, v185
	v_add_f32_e32 v85, v85, v86
	v_mul_f32_e32 v86, v114, v178
	v_add_f32_e32 v129, v125, v126
	ds_read_b128 v[125:128], v84 offset:576
	v_fma_f32 v86, v113, v177, -v86
	v_add_f32_e32 v85, v85, v86
	v_mul_f32_e32 v86, v116, v180
	s_waitcnt vmcnt(22)
	v_mul_f32_e32 v130, v123, v188
	v_fma_f32 v86, v115, v179, -v86
	v_fmac_f32_e32 v130, v124, v187
	v_add_f32_e32 v85, v85, v86
	v_mul_f32_e32 v86, v118, v182
	v_add_f32_e32 v133, v129, v130
	ds_read_b128 v[129:132], v84 offset:592
	v_fma_f32 v86, v117, v181, -v86
	s_waitcnt vmcnt(20) lgkmcnt(1)
	v_mul_f32_e32 v134, v125, v190
	v_add_f32_e32 v85, v85, v86
	v_mul_f32_e32 v86, v120, v184
	v_fmac_f32_e32 v134, v126, v189
	v_fma_f32 v86, v119, v183, -v86
	v_add_f32_e32 v133, v133, v134
	s_waitcnt vmcnt(18)
	v_mul_f32_e32 v134, v127, v192
	v_add_f32_e32 v85, v85, v86
	v_mul_f32_e32 v86, v122, v186
	v_fmac_f32_e32 v134, v128, v191
	v_fma_f32 v86, v121, v185, -v86
	v_add_f32_e32 v133, v133, v134
	s_waitcnt vmcnt(16) lgkmcnt(0)
	v_mul_f32_e32 v134, v129, v194
	v_add_f32_e32 v85, v85, v86
	v_mul_f32_e32 v86, v124, v188
	v_fmac_f32_e32 v134, v130, v193
	v_fma_f32 v86, v123, v187, -v86
	v_add_f32_e32 v137, v133, v134
	ds_read_b128 v[133:136], v84 offset:608
	v_add_f32_e32 v85, v85, v86
	v_mul_f32_e32 v86, v126, v190
	v_fma_f32 v86, v125, v189, -v86
	s_waitcnt vmcnt(14)
	v_mul_f32_e32 v138, v131, v196
	v_add_f32_e32 v85, v85, v86
	v_mul_f32_e32 v86, v128, v192
	v_fmac_f32_e32 v138, v132, v195
	v_fma_f32 v86, v127, v191, -v86
	v_add_f32_e32 v141, v137, v138
	ds_read_b128 v[137:140], v84 offset:624
	v_add_f32_e32 v85, v85, v86
	v_mul_f32_e32 v86, v130, v194
	s_waitcnt vmcnt(12) lgkmcnt(1)
	v_mul_f32_e32 v142, v133, v198
	v_fma_f32 v86, v129, v193, -v86
	v_fmac_f32_e32 v142, v134, v197
	v_add_f32_e32 v85, v85, v86
	v_mul_f32_e32 v86, v132, v196
	v_add_f32_e32 v141, v141, v142
	s_waitcnt vmcnt(10)
	v_mul_f32_e32 v142, v135, v200
	v_fma_f32 v86, v131, v195, -v86
	v_fmac_f32_e32 v142, v136, v199
	v_add_f32_e32 v85, v85, v86
	v_mul_f32_e32 v86, v134, v198
	v_add_f32_e32 v141, v141, v142
	s_waitcnt vmcnt(8) lgkmcnt(0)
	v_mul_f32_e32 v142, v137, v202
	v_fma_f32 v86, v133, v197, -v86
	v_fmac_f32_e32 v142, v138, v201
	v_add_f32_e32 v85, v85, v86
	v_mul_f32_e32 v86, v136, v200
	v_add_f32_e32 v145, v141, v142
	ds_read_b128 v[141:144], v84 offset:640
	v_fma_f32 v86, v135, v199, -v86
	v_add_f32_e32 v85, v85, v86
	v_mul_f32_e32 v86, v138, v202
	s_waitcnt vmcnt(6)
	v_mul_f32_e32 v146, v139, v204
	v_fma_f32 v86, v137, v201, -v86
	v_fmac_f32_e32 v146, v140, v203
	v_add_f32_e32 v85, v85, v86
	v_mul_f32_e32 v86, v140, v204
	v_add_f32_e32 v211, v145, v146
	ds_read_b64 v[145:146], v84 offset:656
	v_fma_f32 v86, v139, v203, -v86
	v_add_f32_e32 v85, v85, v86
	s_waitcnt vmcnt(4) lgkmcnt(1)
	v_mul_f32_e32 v86, v142, v206
	v_mul_f32_e32 v212, v141, v206
	v_fma_f32 v86, v141, v205, -v86
	v_fmac_f32_e32 v212, v142, v205
	v_add_f32_e32 v85, v85, v86
	s_waitcnt vmcnt(3)
	v_mul_f32_e32 v86, v144, v207
	v_add_f32_e32 v211, v211, v212
	v_mul_f32_e32 v212, v143, v207
	s_waitcnt vmcnt(2)
	v_fma_f32 v86, v143, v208, -v86
	v_fmac_f32_e32 v212, v144, v208
	v_add_f32_e32 v85, v85, v86
	s_waitcnt vmcnt(0) lgkmcnt(0)
	v_mul_f32_e32 v86, v146, v210
	v_add_f32_e32 v211, v211, v212
	v_mul_f32_e32 v212, v145, v210
	v_fma_f32 v86, v145, v209, -v86
	v_fmac_f32_e32 v212, v146, v209
	v_add_f32_e32 v85, v85, v86
	v_add_f32_e32 v211, v211, v212
	v_sub_f32_e32 v85, v169, v85
	v_sub_f32_e32 v86, v170, v211
	buffer_store_dword v85, off, s[0:3], 0 offset:72
	buffer_store_dword v86, off, s[0:3], 0 offset:76
	s_and_saveexec_b64 s[4:5], vcc
	s_cbranch_execz .LBB104_243
; %bb.242:
	buffer_load_dword v85, off, s[0:3], 0 offset:64
	buffer_load_dword v86, off, s[0:3], 0 offset:68
	s_waitcnt vmcnt(0)
	ds_write_b64 v83, v[85:86]
	buffer_store_dword v84, off, s[0:3], 0 offset:64
	buffer_store_dword v84, off, s[0:3], 0 offset:68
.LBB104_243:
	s_or_b64 exec, exec, s[4:5]
	s_waitcnt lgkmcnt(0)
	; wave barrier
	buffer_load_dword v149, off, s[0:3], 0 offset:76
	buffer_load_dword v150, off, s[0:3], 0 offset:84
	;; [unrolled: 1-line block ×26, first 2 shown]
	ds_read2_b64 v[85:88], v84 offset0:51 offset1:52
	ds_read2_b64 v[89:92], v84 offset0:53 offset1:54
	;; [unrolled: 1-line block ×4, first 2 shown]
	buffer_load_dword v175, off, s[0:3], 0 offset:172
	buffer_load_dword v176, off, s[0:3], 0 offset:168
	;; [unrolled: 1-line block ×34, first 2 shown]
	v_cmp_lt_u32_e32 vcc, 7, v0
	s_waitcnt vmcnt(59) lgkmcnt(3)
	v_mul_f32_e32 v101, v85, v149
	s_waitcnt vmcnt(58)
	v_mul_f32_e32 v102, v87, v150
	s_waitcnt vmcnt(57) lgkmcnt(2)
	v_mul_f32_e32 v103, v89, v151
	s_waitcnt vmcnt(56)
	v_mul_f32_e32 v104, v91, v152
	;; [unrolled: 4-line block ×4, first 2 shown]
	s_waitcnt vmcnt(51)
	v_fmac_f32_e32 v101, v86, v157
	s_waitcnt vmcnt(50)
	v_fmac_f32_e32 v102, v88, v158
	v_add_f32_e32 v101, 0, v101
	s_waitcnt vmcnt(49)
	v_fmac_f32_e32 v103, v90, v159
	v_add_f32_e32 v101, v101, v102
	;; [unrolled: 3-line block ×7, first 2 shown]
	v_add_f32_e32 v109, v101, v108
	ds_read2_b64 v[101:104], v84 offset0:59 offset1:60
	buffer_load_dword v209, off, s[0:3], 0 offset:308
	buffer_load_dword v210, off, s[0:3], 0 offset:304
	;; [unrolled: 1-line block ×4, first 2 shown]
	ds_read2_b64 v[105:108], v84 offset0:61 offset1:62
	buffer_load_dword v213, off, s[0:3], 0 offset:320
	buffer_load_dword v214, off, s[0:3], 0 offset:324
	v_mul_f32_e32 v86, v86, v149
	s_waitcnt vmcnt(49) lgkmcnt(1)
	v_mul_f32_e32 v110, v101, v165
	s_waitcnt vmcnt(48)
	v_fmac_f32_e32 v110, v102, v166
	v_fma_f32 v85, v85, v157, -v86
	v_mul_f32_e32 v86, v88, v150
	v_add_f32_e32 v109, v109, v110
	s_waitcnt vmcnt(46)
	v_mul_f32_e32 v110, v103, v168
	v_add_f32_e32 v85, 0, v85
	v_fma_f32 v86, v87, v158, -v86
	v_fmac_f32_e32 v110, v104, v167
	v_add_f32_e32 v85, v85, v86
	v_mul_f32_e32 v86, v90, v151
	v_add_f32_e32 v109, v109, v110
	s_waitcnt vmcnt(43) lgkmcnt(0)
	v_mul_f32_e32 v110, v105, v171
	v_fma_f32 v86, v89, v159, -v86
	s_waitcnt vmcnt(42)
	v_fmac_f32_e32 v110, v106, v172
	v_add_f32_e32 v85, v85, v86
	v_mul_f32_e32 v86, v92, v152
	v_add_f32_e32 v113, v109, v110
	ds_read2_b64 v[109:112], v84 offset0:63 offset1:64
	v_fma_f32 v86, v91, v160, -v86
	v_add_f32_e32 v85, v85, v86
	v_mul_f32_e32 v86, v94, v153
	s_waitcnt vmcnt(40)
	v_mul_f32_e32 v114, v107, v174
	v_fma_f32 v86, v93, v161, -v86
	v_fmac_f32_e32 v114, v108, v173
	v_add_f32_e32 v85, v85, v86
	v_mul_f32_e32 v86, v96, v154
	v_add_f32_e32 v117, v113, v114
	ds_read2_b64 v[113:116], v84 offset0:65 offset1:66
	v_fma_f32 v86, v95, v162, -v86
	s_waitcnt vmcnt(39) lgkmcnt(1)
	v_mul_f32_e32 v118, v109, v175
	v_add_f32_e32 v85, v85, v86
	v_mul_f32_e32 v86, v98, v155
	s_waitcnt vmcnt(38)
	v_fmac_f32_e32 v118, v110, v176
	v_fma_f32 v86, v97, v163, -v86
	v_add_f32_e32 v117, v117, v118
	s_waitcnt vmcnt(36)
	v_mul_f32_e32 v118, v111, v178
	v_add_f32_e32 v85, v85, v86
	v_mul_f32_e32 v86, v100, v156
	v_fmac_f32_e32 v118, v112, v177
	v_fma_f32 v86, v99, v164, -v86
	v_add_f32_e32 v117, v117, v118
	s_waitcnt vmcnt(34) lgkmcnt(0)
	v_mul_f32_e32 v118, v113, v180
	v_add_f32_e32 v85, v85, v86
	v_mul_f32_e32 v86, v102, v165
	v_fmac_f32_e32 v118, v114, v179
	v_fma_f32 v86, v101, v166, -v86
	v_add_f32_e32 v121, v117, v118
	ds_read2_b64 v[117:120], v84 offset0:67 offset1:68
	v_add_f32_e32 v85, v85, v86
	v_mul_f32_e32 v86, v104, v168
	v_fma_f32 v86, v103, v167, -v86
	s_waitcnt vmcnt(32)
	v_mul_f32_e32 v122, v115, v182
	v_add_f32_e32 v85, v85, v86
	v_mul_f32_e32 v86, v106, v171
	v_fmac_f32_e32 v122, v116, v181
	v_fma_f32 v86, v105, v172, -v86
	v_add_f32_e32 v125, v121, v122
	ds_read2_b64 v[121:124], v84 offset0:69 offset1:70
	v_add_f32_e32 v85, v85, v86
	v_mul_f32_e32 v86, v108, v174
	s_waitcnt vmcnt(30) lgkmcnt(1)
	v_mul_f32_e32 v126, v117, v184
	v_fma_f32 v86, v107, v173, -v86
	v_fmac_f32_e32 v126, v118, v183
	v_add_f32_e32 v85, v85, v86
	v_mul_f32_e32 v86, v110, v175
	v_add_f32_e32 v125, v125, v126
	s_waitcnt vmcnt(28)
	v_mul_f32_e32 v126, v119, v186
	v_fma_f32 v86, v109, v176, -v86
	v_fmac_f32_e32 v126, v120, v185
	v_add_f32_e32 v85, v85, v86
	v_mul_f32_e32 v86, v112, v178
	v_add_f32_e32 v125, v125, v126
	s_waitcnt vmcnt(26) lgkmcnt(0)
	v_mul_f32_e32 v126, v121, v188
	v_fma_f32 v86, v111, v177, -v86
	v_fmac_f32_e32 v126, v122, v187
	v_add_f32_e32 v85, v85, v86
	v_mul_f32_e32 v86, v114, v180
	v_add_f32_e32 v129, v125, v126
	ds_read2_b64 v[125:128], v84 offset0:71 offset1:72
	v_fma_f32 v86, v113, v179, -v86
	v_add_f32_e32 v85, v85, v86
	v_mul_f32_e32 v86, v116, v182
	s_waitcnt vmcnt(24)
	v_mul_f32_e32 v130, v123, v190
	v_fma_f32 v86, v115, v181, -v86
	v_fmac_f32_e32 v130, v124, v189
	v_add_f32_e32 v85, v85, v86
	v_mul_f32_e32 v86, v118, v184
	v_add_f32_e32 v133, v129, v130
	ds_read2_b64 v[129:132], v84 offset0:73 offset1:74
	v_fma_f32 v86, v117, v183, -v86
	s_waitcnt vmcnt(22) lgkmcnt(1)
	v_mul_f32_e32 v134, v125, v192
	v_add_f32_e32 v85, v85, v86
	v_mul_f32_e32 v86, v120, v186
	v_fmac_f32_e32 v134, v126, v191
	v_fma_f32 v86, v119, v185, -v86
	v_add_f32_e32 v133, v133, v134
	s_waitcnt vmcnt(20)
	v_mul_f32_e32 v134, v127, v194
	v_add_f32_e32 v85, v85, v86
	v_mul_f32_e32 v86, v122, v188
	v_fmac_f32_e32 v134, v128, v193
	v_fma_f32 v86, v121, v187, -v86
	v_add_f32_e32 v133, v133, v134
	s_waitcnt vmcnt(18) lgkmcnt(0)
	v_mul_f32_e32 v134, v129, v196
	v_add_f32_e32 v85, v85, v86
	v_mul_f32_e32 v86, v124, v190
	v_fmac_f32_e32 v134, v130, v195
	v_fma_f32 v86, v123, v189, -v86
	v_add_f32_e32 v137, v133, v134
	ds_read2_b64 v[133:136], v84 offset0:75 offset1:76
	v_add_f32_e32 v85, v85, v86
	v_mul_f32_e32 v86, v126, v192
	v_fma_f32 v86, v125, v191, -v86
	s_waitcnt vmcnt(16)
	v_mul_f32_e32 v138, v131, v198
	v_add_f32_e32 v85, v85, v86
	v_mul_f32_e32 v86, v128, v194
	v_fmac_f32_e32 v138, v132, v197
	v_fma_f32 v86, v127, v193, -v86
	v_add_f32_e32 v141, v137, v138
	ds_read2_b64 v[137:140], v84 offset0:77 offset1:78
	v_add_f32_e32 v85, v85, v86
	v_mul_f32_e32 v86, v130, v196
	s_waitcnt vmcnt(14) lgkmcnt(1)
	v_mul_f32_e32 v142, v133, v200
	v_fma_f32 v86, v129, v195, -v86
	v_fmac_f32_e32 v142, v134, v199
	v_add_f32_e32 v85, v85, v86
	v_mul_f32_e32 v86, v132, v198
	v_add_f32_e32 v141, v141, v142
	s_waitcnt vmcnt(12)
	v_mul_f32_e32 v142, v135, v202
	v_fma_f32 v86, v131, v197, -v86
	v_fmac_f32_e32 v142, v136, v201
	v_add_f32_e32 v85, v85, v86
	v_mul_f32_e32 v86, v134, v200
	v_add_f32_e32 v141, v141, v142
	s_waitcnt vmcnt(10) lgkmcnt(0)
	v_mul_f32_e32 v142, v137, v204
	v_fma_f32 v86, v133, v199, -v86
	v_fmac_f32_e32 v142, v138, v203
	v_add_f32_e32 v85, v85, v86
	v_mul_f32_e32 v86, v136, v202
	v_add_f32_e32 v145, v141, v142
	ds_read2_b64 v[141:144], v84 offset0:79 offset1:80
	v_fma_f32 v86, v135, v201, -v86
	v_add_f32_e32 v85, v85, v86
	v_mul_f32_e32 v86, v138, v204
	s_waitcnt vmcnt(8)
	v_mul_f32_e32 v146, v139, v206
	v_fma_f32 v86, v137, v203, -v86
	v_fmac_f32_e32 v146, v140, v205
	v_add_f32_e32 v85, v85, v86
	v_mul_f32_e32 v86, v140, v206
	v_add_f32_e32 v215, v145, v146
	ds_read2_b64 v[145:148], v84 offset0:81 offset1:82
	v_fma_f32 v86, v139, v205, -v86
	v_add_f32_e32 v85, v85, v86
	s_waitcnt vmcnt(6) lgkmcnt(1)
	v_mul_f32_e32 v86, v142, v208
	v_mul_f32_e32 v84, v141, v208
	v_fma_f32 v86, v141, v207, -v86
	v_fmac_f32_e32 v84, v142, v207
	v_add_f32_e32 v85, v85, v86
	s_waitcnt vmcnt(5)
	v_mul_f32_e32 v86, v144, v209
	v_add_f32_e32 v84, v215, v84
	v_mul_f32_e32 v215, v143, v209
	s_waitcnt vmcnt(4)
	v_fma_f32 v86, v143, v210, -v86
	v_fmac_f32_e32 v215, v144, v210
	v_add_f32_e32 v85, v85, v86
	s_waitcnt vmcnt(2) lgkmcnt(0)
	v_mul_f32_e32 v86, v146, v212
	v_add_f32_e32 v84, v84, v215
	v_mul_f32_e32 v215, v145, v212
	v_fma_f32 v86, v145, v211, -v86
	v_fmac_f32_e32 v215, v146, v211
	v_add_f32_e32 v85, v85, v86
	s_waitcnt vmcnt(0)
	v_mul_f32_e32 v86, v148, v214
	v_add_f32_e32 v84, v84, v215
	v_mul_f32_e32 v215, v147, v214
	v_fma_f32 v86, v147, v213, -v86
	v_fmac_f32_e32 v215, v148, v213
	v_add_f32_e32 v85, v85, v86
	v_add_f32_e32 v84, v84, v215
	v_sub_f32_e32 v85, v169, v85
	v_sub_f32_e32 v84, v170, v84
	buffer_store_dword v85, off, s[0:3], 0 offset:64
	buffer_store_dword v84, off, s[0:3], 0 offset:68
	s_and_saveexec_b64 s[4:5], vcc
	s_cbranch_execz .LBB104_245
; %bb.244:
	buffer_load_dword v84, off, s[0:3], 0 offset:56
	buffer_load_dword v85, off, s[0:3], 0 offset:60
	v_mov_b32_e32 v86, 0
	buffer_store_dword v86, off, s[0:3], 0 offset:56
	buffer_store_dword v86, off, s[0:3], 0 offset:60
	s_waitcnt vmcnt(2)
	ds_write_b64 v83, v[84:85]
.LBB104_245:
	s_or_b64 exec, exec, s[4:5]
	s_waitcnt lgkmcnt(0)
	; wave barrier
	buffer_load_dword v151, off, s[0:3], 0 offset:68
	buffer_load_dword v152, off, s[0:3], 0 offset:76
	;; [unrolled: 1-line block ×58, first 2 shown]
	v_mov_b32_e32 v84, 0
	ds_read_b128 v[85:88], v84 offset:400
	ds_read_b128 v[89:92], v84 offset:416
	;; [unrolled: 1-line block ×5, first 2 shown]
	buffer_load_dword v209, off, s[0:3], 0 offset:288
	buffer_load_dword v210, off, s[0:3], 0 offset:292
	v_cmp_lt_u32_e32 vcc, 6, v0
	s_waitcnt vmcnt(59) lgkmcnt(4)
	v_mul_f32_e32 v105, v85, v151
	s_waitcnt vmcnt(58)
	v_mul_f32_e32 v106, v87, v152
	s_waitcnt vmcnt(57) lgkmcnt(3)
	v_mul_f32_e32 v107, v89, v153
	s_waitcnt vmcnt(56)
	v_mul_f32_e32 v108, v91, v154
	;; [unrolled: 4-line block ×4, first 2 shown]
	s_waitcnt vmcnt(51)
	v_fmac_f32_e32 v105, v86, v159
	s_waitcnt vmcnt(50)
	v_fmac_f32_e32 v106, v88, v160
	v_add_f32_e32 v105, 0, v105
	s_waitcnt vmcnt(49)
	v_fmac_f32_e32 v107, v90, v161
	v_add_f32_e32 v105, v105, v106
	;; [unrolled: 3-line block ×7, first 2 shown]
	v_add_f32_e32 v109, v105, v112
	ds_read_b128 v[105:108], v84 offset:480
	buffer_load_dword v211, off, s[0:3], 0 offset:300
	buffer_load_dword v212, off, s[0:3], 0 offset:296
	;; [unrolled: 1-line block ×8, first 2 shown]
	s_waitcnt vmcnt(51) lgkmcnt(1)
	v_mul_f32_e32 v110, v101, v167
	s_waitcnt vmcnt(50)
	v_fmac_f32_e32 v110, v102, v168
	v_mul_f32_e32 v86, v86, v151
	v_add_f32_e32 v109, v109, v110
	s_waitcnt vmcnt(49)
	v_mul_f32_e32 v110, v103, v169
	v_fma_f32 v85, v85, v159, -v86
	v_mul_f32_e32 v86, v88, v152
	s_waitcnt vmcnt(46)
	v_fmac_f32_e32 v110, v104, v172
	v_add_f32_e32 v85, 0, v85
	v_fma_f32 v86, v87, v160, -v86
	v_add_f32_e32 v109, v109, v110
	s_waitcnt vmcnt(44) lgkmcnt(0)
	v_mul_f32_e32 v110, v105, v174
	v_add_f32_e32 v85, v85, v86
	v_mul_f32_e32 v86, v90, v153
	v_fmac_f32_e32 v110, v106, v173
	v_fma_f32 v86, v89, v161, -v86
	v_add_f32_e32 v113, v109, v110
	ds_read_b128 v[109:112], v84 offset:496
	v_add_f32_e32 v85, v85, v86
	v_mul_f32_e32 v86, v92, v154
	v_fma_f32 v86, v91, v162, -v86
	s_waitcnt vmcnt(42)
	v_mul_f32_e32 v114, v107, v176
	v_add_f32_e32 v85, v85, v86
	v_mul_f32_e32 v86, v94, v155
	v_fmac_f32_e32 v114, v108, v175
	v_fma_f32 v86, v93, v163, -v86
	v_add_f32_e32 v117, v113, v114
	ds_read_b128 v[113:116], v84 offset:512
	v_add_f32_e32 v85, v85, v86
	v_mul_f32_e32 v86, v96, v156
	s_waitcnt vmcnt(40) lgkmcnt(1)
	v_mul_f32_e32 v118, v109, v178
	v_fma_f32 v86, v95, v164, -v86
	v_fmac_f32_e32 v118, v110, v177
	v_add_f32_e32 v85, v85, v86
	v_mul_f32_e32 v86, v98, v157
	v_add_f32_e32 v117, v117, v118
	s_waitcnt vmcnt(38)
	v_mul_f32_e32 v118, v111, v180
	v_fma_f32 v86, v97, v165, -v86
	v_fmac_f32_e32 v118, v112, v179
	v_add_f32_e32 v85, v85, v86
	v_mul_f32_e32 v86, v100, v158
	v_add_f32_e32 v117, v117, v118
	s_waitcnt vmcnt(36) lgkmcnt(0)
	v_mul_f32_e32 v118, v113, v182
	v_fma_f32 v86, v99, v166, -v86
	v_fmac_f32_e32 v118, v114, v181
	v_add_f32_e32 v85, v85, v86
	v_mul_f32_e32 v86, v102, v167
	v_add_f32_e32 v121, v117, v118
	ds_read_b128 v[117:120], v84 offset:528
	v_fma_f32 v86, v101, v168, -v86
	v_add_f32_e32 v85, v85, v86
	v_mul_f32_e32 v86, v104, v169
	s_waitcnt vmcnt(34)
	v_mul_f32_e32 v122, v115, v184
	v_fma_f32 v86, v103, v172, -v86
	v_fmac_f32_e32 v122, v116, v183
	v_add_f32_e32 v85, v85, v86
	v_mul_f32_e32 v86, v106, v174
	v_add_f32_e32 v125, v121, v122
	ds_read_b128 v[121:124], v84 offset:544
	v_fma_f32 v86, v105, v173, -v86
	s_waitcnt vmcnt(32) lgkmcnt(1)
	v_mul_f32_e32 v126, v117, v186
	v_add_f32_e32 v85, v85, v86
	v_mul_f32_e32 v86, v108, v176
	v_fmac_f32_e32 v126, v118, v185
	v_fma_f32 v86, v107, v175, -v86
	v_add_f32_e32 v125, v125, v126
	s_waitcnt vmcnt(30)
	v_mul_f32_e32 v126, v119, v188
	v_add_f32_e32 v85, v85, v86
	v_mul_f32_e32 v86, v110, v178
	v_fmac_f32_e32 v126, v120, v187
	v_fma_f32 v86, v109, v177, -v86
	v_add_f32_e32 v125, v125, v126
	s_waitcnt vmcnt(28) lgkmcnt(0)
	v_mul_f32_e32 v126, v121, v190
	v_add_f32_e32 v85, v85, v86
	v_mul_f32_e32 v86, v112, v180
	v_fmac_f32_e32 v126, v122, v189
	v_fma_f32 v86, v111, v179, -v86
	v_add_f32_e32 v129, v125, v126
	ds_read_b128 v[125:128], v84 offset:560
	v_add_f32_e32 v85, v85, v86
	v_mul_f32_e32 v86, v114, v182
	v_fma_f32 v86, v113, v181, -v86
	s_waitcnt vmcnt(26)
	v_mul_f32_e32 v130, v123, v192
	v_add_f32_e32 v85, v85, v86
	v_mul_f32_e32 v86, v116, v184
	v_fmac_f32_e32 v130, v124, v191
	v_fma_f32 v86, v115, v183, -v86
	v_add_f32_e32 v133, v129, v130
	ds_read_b128 v[129:132], v84 offset:576
	v_add_f32_e32 v85, v85, v86
	v_mul_f32_e32 v86, v118, v186
	s_waitcnt vmcnt(24) lgkmcnt(1)
	v_mul_f32_e32 v134, v125, v194
	v_fma_f32 v86, v117, v185, -v86
	v_fmac_f32_e32 v134, v126, v193
	v_add_f32_e32 v85, v85, v86
	v_mul_f32_e32 v86, v120, v188
	v_add_f32_e32 v133, v133, v134
	s_waitcnt vmcnt(22)
	v_mul_f32_e32 v134, v127, v196
	v_fma_f32 v86, v119, v187, -v86
	v_fmac_f32_e32 v134, v128, v195
	v_add_f32_e32 v85, v85, v86
	v_mul_f32_e32 v86, v122, v190
	v_add_f32_e32 v133, v133, v134
	s_waitcnt vmcnt(20) lgkmcnt(0)
	v_mul_f32_e32 v134, v129, v198
	v_fma_f32 v86, v121, v189, -v86
	v_fmac_f32_e32 v134, v130, v197
	v_add_f32_e32 v85, v85, v86
	v_mul_f32_e32 v86, v124, v192
	v_add_f32_e32 v137, v133, v134
	ds_read_b128 v[133:136], v84 offset:592
	v_fma_f32 v86, v123, v191, -v86
	v_add_f32_e32 v85, v85, v86
	v_mul_f32_e32 v86, v126, v194
	s_waitcnt vmcnt(18)
	v_mul_f32_e32 v138, v131, v200
	v_fma_f32 v86, v125, v193, -v86
	v_fmac_f32_e32 v138, v132, v199
	v_add_f32_e32 v85, v85, v86
	v_mul_f32_e32 v86, v128, v196
	v_add_f32_e32 v141, v137, v138
	ds_read_b128 v[137:140], v84 offset:608
	v_fma_f32 v86, v127, v195, -v86
	s_waitcnt vmcnt(16) lgkmcnt(1)
	v_mul_f32_e32 v142, v133, v202
	v_add_f32_e32 v85, v85, v86
	v_mul_f32_e32 v86, v130, v198
	v_fmac_f32_e32 v142, v134, v201
	v_fma_f32 v86, v129, v197, -v86
	v_add_f32_e32 v141, v141, v142
	s_waitcnt vmcnt(14)
	v_mul_f32_e32 v142, v135, v204
	v_add_f32_e32 v85, v85, v86
	v_mul_f32_e32 v86, v132, v200
	v_fmac_f32_e32 v142, v136, v203
	v_fma_f32 v86, v131, v199, -v86
	v_add_f32_e32 v141, v141, v142
	s_waitcnt vmcnt(12) lgkmcnt(0)
	v_mul_f32_e32 v142, v137, v206
	v_add_f32_e32 v85, v85, v86
	v_mul_f32_e32 v86, v134, v202
	v_fmac_f32_e32 v142, v138, v205
	v_fma_f32 v86, v133, v201, -v86
	v_add_f32_e32 v145, v141, v142
	ds_read_b128 v[141:144], v84 offset:624
	v_add_f32_e32 v85, v85, v86
	v_mul_f32_e32 v86, v136, v204
	v_fma_f32 v86, v135, v203, -v86
	v_add_f32_e32 v85, v85, v86
	v_mul_f32_e32 v86, v138, v206
	s_waitcnt vmcnt(10)
	v_mul_f32_e32 v146, v139, v208
	v_fma_f32 v86, v137, v205, -v86
	v_fmac_f32_e32 v146, v140, v207
	v_add_f32_e32 v85, v85, v86
	v_mul_f32_e32 v86, v140, v208
	v_add_f32_e32 v149, v145, v146
	ds_read_b128 v[145:148], v84 offset:640
	s_waitcnt vmcnt(8) lgkmcnt(1)
	v_mul_f32_e32 v150, v141, v210
	v_fma_f32 v86, v139, v207, -v86
	v_fmac_f32_e32 v150, v142, v209
	v_add_f32_e32 v85, v85, v86
	v_mul_f32_e32 v86, v142, v210
	v_add_f32_e32 v149, v149, v150
	s_waitcnt vmcnt(7)
	v_mul_f32_e32 v150, v143, v211
	v_fma_f32 v86, v141, v209, -v86
	s_waitcnt vmcnt(6)
	v_fmac_f32_e32 v150, v144, v212
	v_add_f32_e32 v85, v85, v86
	v_mul_f32_e32 v86, v144, v211
	v_add_f32_e32 v219, v149, v150
	ds_read_b64 v[149:150], v84 offset:656
	v_fma_f32 v86, v143, v212, -v86
	v_add_f32_e32 v85, v85, v86
	s_waitcnt vmcnt(4) lgkmcnt(1)
	v_mul_f32_e32 v86, v146, v214
	v_mul_f32_e32 v220, v145, v214
	v_fma_f32 v86, v145, v213, -v86
	v_fmac_f32_e32 v220, v146, v213
	v_add_f32_e32 v85, v85, v86
	s_waitcnt vmcnt(3)
	v_mul_f32_e32 v86, v148, v215
	v_add_f32_e32 v219, v219, v220
	v_mul_f32_e32 v220, v147, v215
	s_waitcnt vmcnt(2)
	v_fma_f32 v86, v147, v216, -v86
	v_fmac_f32_e32 v220, v148, v216
	v_add_f32_e32 v85, v85, v86
	s_waitcnt vmcnt(0) lgkmcnt(0)
	v_mul_f32_e32 v86, v150, v218
	v_add_f32_e32 v219, v219, v220
	v_mul_f32_e32 v220, v149, v218
	v_fma_f32 v86, v149, v217, -v86
	v_fmac_f32_e32 v220, v150, v217
	v_add_f32_e32 v85, v85, v86
	v_add_f32_e32 v219, v219, v220
	v_sub_f32_e32 v85, v170, v85
	v_sub_f32_e32 v86, v171, v219
	buffer_store_dword v85, off, s[0:3], 0 offset:56
	buffer_store_dword v86, off, s[0:3], 0 offset:60
	s_and_saveexec_b64 s[4:5], vcc
	s_cbranch_execz .LBB104_247
; %bb.246:
	buffer_load_dword v85, off, s[0:3], 0 offset:48
	buffer_load_dword v86, off, s[0:3], 0 offset:52
	s_waitcnt vmcnt(0)
	ds_write_b64 v83, v[85:86]
	buffer_store_dword v84, off, s[0:3], 0 offset:48
	buffer_store_dword v84, off, s[0:3], 0 offset:52
.LBB104_247:
	s_or_b64 exec, exec, s[4:5]
	s_waitcnt lgkmcnt(0)
	; wave barrier
	buffer_load_dword v153, off, s[0:3], 0 offset:60
	buffer_load_dword v154, off, s[0:3], 0 offset:68
	;; [unrolled: 1-line block ×24, first 2 shown]
	ds_read2_b64 v[85:88], v84 offset0:49 offset1:50
	ds_read2_b64 v[89:92], v84 offset0:51 offset1:52
	;; [unrolled: 1-line block ×6, first 2 shown]
	buffer_load_dword v177, off, s[0:3], 0 offset:148
	buffer_load_dword v178, off, s[0:3], 0 offset:144
	;; [unrolled: 1-line block ×46, first 2 shown]
	v_cmp_lt_u32_e32 vcc, 5, v0
	s_waitcnt vmcnt(62) lgkmcnt(5)
	v_mul_f32_e32 v109, v85, v153
	v_mul_f32_e32 v110, v87, v154
	s_waitcnt lgkmcnt(4)
	v_mul_f32_e32 v111, v89, v155
	v_mul_f32_e32 v112, v91, v156
	s_waitcnt lgkmcnt(3)
	;; [unrolled: 3-line block ×3, first 2 shown]
	v_mul_f32_e32 v115, v97, v159
	v_mul_f32_e32 v116, v99, v160
	s_waitcnt vmcnt(61)
	v_fmac_f32_e32 v109, v86, v161
	s_waitcnt vmcnt(60)
	v_fmac_f32_e32 v110, v88, v162
	v_add_f32_e32 v109, 0, v109
	s_waitcnt vmcnt(59)
	v_fmac_f32_e32 v111, v90, v163
	v_add_f32_e32 v109, v109, v110
	;; [unrolled: 3-line block ×7, first 2 shown]
	s_waitcnt vmcnt(53) lgkmcnt(1)
	v_mul_f32_e32 v110, v101, v169
	v_add_f32_e32 v109, v109, v116
	s_waitcnt vmcnt(52)
	v_fmac_f32_e32 v110, v102, v170
	v_mul_f32_e32 v86, v86, v153
	v_add_f32_e32 v109, v109, v110
	s_waitcnt vmcnt(51)
	v_mul_f32_e32 v110, v103, v171
	v_fma_f32 v85, v85, v161, -v86
	v_mul_f32_e32 v86, v88, v154
	s_waitcnt vmcnt(50)
	v_fmac_f32_e32 v110, v104, v172
	v_add_f32_e32 v85, 0, v85
	v_fma_f32 v86, v87, v162, -v86
	v_add_f32_e32 v109, v109, v110
	s_waitcnt vmcnt(47) lgkmcnt(0)
	v_mul_f32_e32 v110, v105, v175
	v_add_f32_e32 v85, v85, v86
	v_mul_f32_e32 v86, v90, v155
	s_waitcnt vmcnt(46)
	v_fmac_f32_e32 v110, v106, v176
	v_fma_f32 v86, v89, v163, -v86
	v_add_f32_e32 v113, v109, v110
	ds_read2_b64 v[109:112], v84 offset0:61 offset1:62
	v_add_f32_e32 v85, v85, v86
	v_mul_f32_e32 v86, v92, v156
	v_fma_f32 v86, v91, v164, -v86
	s_waitcnt vmcnt(45)
	v_mul_f32_e32 v114, v107, v177
	v_add_f32_e32 v85, v85, v86
	v_mul_f32_e32 v86, v94, v157
	s_waitcnt vmcnt(44)
	v_fmac_f32_e32 v114, v108, v178
	v_fma_f32 v86, v93, v165, -v86
	v_add_f32_e32 v117, v113, v114
	ds_read2_b64 v[113:116], v84 offset0:63 offset1:64
	v_add_f32_e32 v85, v85, v86
	v_mul_f32_e32 v86, v96, v158
	s_waitcnt vmcnt(42) lgkmcnt(1)
	v_mul_f32_e32 v118, v109, v180
	v_fma_f32 v86, v95, v166, -v86
	v_fmac_f32_e32 v118, v110, v179
	v_add_f32_e32 v85, v85, v86
	v_mul_f32_e32 v86, v98, v159
	v_add_f32_e32 v117, v117, v118
	s_waitcnt vmcnt(40)
	v_mul_f32_e32 v118, v111, v182
	v_fma_f32 v86, v97, v167, -v86
	v_fmac_f32_e32 v118, v112, v181
	v_add_f32_e32 v85, v85, v86
	v_mul_f32_e32 v86, v100, v160
	v_add_f32_e32 v117, v117, v118
	s_waitcnt vmcnt(38) lgkmcnt(0)
	v_mul_f32_e32 v118, v113, v184
	v_fma_f32 v86, v99, v168, -v86
	v_fmac_f32_e32 v118, v114, v183
	v_add_f32_e32 v85, v85, v86
	v_mul_f32_e32 v86, v102, v169
	v_add_f32_e32 v121, v117, v118
	ds_read2_b64 v[117:120], v84 offset0:65 offset1:66
	v_fma_f32 v86, v101, v170, -v86
	v_add_f32_e32 v85, v85, v86
	v_mul_f32_e32 v86, v104, v171
	s_waitcnt vmcnt(36)
	v_mul_f32_e32 v122, v115, v186
	v_fma_f32 v86, v103, v172, -v86
	v_fmac_f32_e32 v122, v116, v185
	v_add_f32_e32 v85, v85, v86
	v_mul_f32_e32 v86, v106, v175
	v_add_f32_e32 v125, v121, v122
	ds_read2_b64 v[121:124], v84 offset0:67 offset1:68
	v_fma_f32 v86, v105, v176, -v86
	s_waitcnt vmcnt(34) lgkmcnt(1)
	v_mul_f32_e32 v126, v117, v188
	v_add_f32_e32 v85, v85, v86
	v_mul_f32_e32 v86, v108, v177
	v_fmac_f32_e32 v126, v118, v187
	v_fma_f32 v86, v107, v178, -v86
	v_add_f32_e32 v125, v125, v126
	s_waitcnt vmcnt(32)
	v_mul_f32_e32 v126, v119, v190
	v_add_f32_e32 v85, v85, v86
	v_mul_f32_e32 v86, v110, v180
	v_fmac_f32_e32 v126, v120, v189
	v_fma_f32 v86, v109, v179, -v86
	v_add_f32_e32 v125, v125, v126
	s_waitcnt vmcnt(30) lgkmcnt(0)
	v_mul_f32_e32 v126, v121, v192
	v_add_f32_e32 v85, v85, v86
	v_mul_f32_e32 v86, v112, v182
	v_fmac_f32_e32 v126, v122, v191
	v_fma_f32 v86, v111, v181, -v86
	v_add_f32_e32 v129, v125, v126
	ds_read2_b64 v[125:128], v84 offset0:69 offset1:70
	v_add_f32_e32 v85, v85, v86
	v_mul_f32_e32 v86, v114, v184
	v_fma_f32 v86, v113, v183, -v86
	s_waitcnt vmcnt(28)
	v_mul_f32_e32 v130, v123, v194
	v_add_f32_e32 v85, v85, v86
	v_mul_f32_e32 v86, v116, v186
	v_fmac_f32_e32 v130, v124, v193
	v_fma_f32 v86, v115, v185, -v86
	v_add_f32_e32 v133, v129, v130
	ds_read2_b64 v[129:132], v84 offset0:71 offset1:72
	v_add_f32_e32 v85, v85, v86
	v_mul_f32_e32 v86, v118, v188
	s_waitcnt vmcnt(26) lgkmcnt(1)
	v_mul_f32_e32 v134, v125, v196
	v_fma_f32 v86, v117, v187, -v86
	v_fmac_f32_e32 v134, v126, v195
	v_add_f32_e32 v85, v85, v86
	v_mul_f32_e32 v86, v120, v190
	v_add_f32_e32 v133, v133, v134
	s_waitcnt vmcnt(24)
	v_mul_f32_e32 v134, v127, v198
	v_fma_f32 v86, v119, v189, -v86
	v_fmac_f32_e32 v134, v128, v197
	v_add_f32_e32 v85, v85, v86
	v_mul_f32_e32 v86, v122, v192
	v_add_f32_e32 v133, v133, v134
	s_waitcnt vmcnt(22) lgkmcnt(0)
	v_mul_f32_e32 v134, v129, v200
	v_fma_f32 v86, v121, v191, -v86
	v_fmac_f32_e32 v134, v130, v199
	v_add_f32_e32 v85, v85, v86
	v_mul_f32_e32 v86, v124, v194
	v_add_f32_e32 v137, v133, v134
	ds_read2_b64 v[133:136], v84 offset0:73 offset1:74
	v_fma_f32 v86, v123, v193, -v86
	v_add_f32_e32 v85, v85, v86
	v_mul_f32_e32 v86, v126, v196
	s_waitcnt vmcnt(20)
	v_mul_f32_e32 v138, v131, v202
	v_fma_f32 v86, v125, v195, -v86
	v_fmac_f32_e32 v138, v132, v201
	v_add_f32_e32 v85, v85, v86
	v_mul_f32_e32 v86, v128, v198
	v_add_f32_e32 v141, v137, v138
	ds_read2_b64 v[137:140], v84 offset0:75 offset1:76
	v_fma_f32 v86, v127, v197, -v86
	s_waitcnt vmcnt(18) lgkmcnt(1)
	v_mul_f32_e32 v142, v133, v204
	v_add_f32_e32 v85, v85, v86
	v_mul_f32_e32 v86, v130, v200
	v_fmac_f32_e32 v142, v134, v203
	v_fma_f32 v86, v129, v199, -v86
	v_add_f32_e32 v141, v141, v142
	s_waitcnt vmcnt(16)
	v_mul_f32_e32 v142, v135, v206
	v_add_f32_e32 v85, v85, v86
	v_mul_f32_e32 v86, v132, v202
	v_fmac_f32_e32 v142, v136, v205
	v_fma_f32 v86, v131, v201, -v86
	v_add_f32_e32 v141, v141, v142
	s_waitcnt vmcnt(14) lgkmcnt(0)
	v_mul_f32_e32 v142, v137, v208
	v_add_f32_e32 v85, v85, v86
	v_mul_f32_e32 v86, v134, v204
	v_fmac_f32_e32 v142, v138, v207
	v_fma_f32 v86, v133, v203, -v86
	v_add_f32_e32 v145, v141, v142
	ds_read2_b64 v[141:144], v84 offset0:77 offset1:78
	v_add_f32_e32 v85, v85, v86
	v_mul_f32_e32 v86, v136, v206
	v_fma_f32 v86, v135, v205, -v86
	v_add_f32_e32 v85, v85, v86
	v_mul_f32_e32 v86, v138, v208
	s_waitcnt vmcnt(12)
	v_mul_f32_e32 v146, v139, v210
	v_fma_f32 v86, v137, v207, -v86
	v_fmac_f32_e32 v146, v140, v209
	v_add_f32_e32 v85, v85, v86
	v_mul_f32_e32 v86, v140, v210
	v_add_f32_e32 v149, v145, v146
	ds_read2_b64 v[145:148], v84 offset0:79 offset1:80
	s_waitcnt vmcnt(10) lgkmcnt(1)
	v_mul_f32_e32 v150, v141, v212
	v_fma_f32 v86, v139, v209, -v86
	v_fmac_f32_e32 v150, v142, v211
	v_add_f32_e32 v85, v85, v86
	v_mul_f32_e32 v86, v142, v212
	v_add_f32_e32 v149, v149, v150
	s_waitcnt vmcnt(9)
	v_mul_f32_e32 v150, v143, v213
	v_fma_f32 v86, v141, v211, -v86
	s_waitcnt vmcnt(8)
	v_fmac_f32_e32 v150, v144, v214
	v_add_f32_e32 v85, v85, v86
	v_mul_f32_e32 v86, v144, v213
	v_add_f32_e32 v223, v149, v150
	ds_read2_b64 v[149:152], v84 offset0:81 offset1:82
	v_fma_f32 v86, v143, v214, -v86
	v_add_f32_e32 v85, v85, v86
	s_waitcnt vmcnt(6) lgkmcnt(1)
	v_mul_f32_e32 v86, v146, v216
	v_mul_f32_e32 v224, v145, v216
	v_fma_f32 v86, v145, v215, -v86
	v_fmac_f32_e32 v224, v146, v215
	v_add_f32_e32 v85, v85, v86
	s_waitcnt vmcnt(4)
	v_mul_f32_e32 v86, v148, v218
	v_add_f32_e32 v84, v223, v224
	v_mul_f32_e32 v223, v147, v218
	v_fma_f32 v86, v147, v217, -v86
	v_fmac_f32_e32 v223, v148, v217
	v_add_f32_e32 v85, v85, v86
	s_waitcnt vmcnt(3) lgkmcnt(0)
	v_mul_f32_e32 v86, v150, v219
	v_add_f32_e32 v84, v84, v223
	v_mul_f32_e32 v223, v149, v219
	s_waitcnt vmcnt(2)
	v_fma_f32 v86, v149, v220, -v86
	v_fmac_f32_e32 v223, v150, v220
	v_add_f32_e32 v85, v85, v86
	s_waitcnt vmcnt(0)
	v_mul_f32_e32 v86, v152, v222
	v_add_f32_e32 v84, v84, v223
	v_mul_f32_e32 v223, v151, v222
	v_fma_f32 v86, v151, v221, -v86
	v_fmac_f32_e32 v223, v152, v221
	v_add_f32_e32 v85, v85, v86
	v_add_f32_e32 v84, v84, v223
	v_sub_f32_e32 v85, v173, v85
	v_sub_f32_e32 v84, v174, v84
	buffer_store_dword v85, off, s[0:3], 0 offset:48
	buffer_store_dword v84, off, s[0:3], 0 offset:52
	s_and_saveexec_b64 s[4:5], vcc
	s_cbranch_execz .LBB104_249
; %bb.248:
	buffer_load_dword v84, off, s[0:3], 0 offset:40
	buffer_load_dword v85, off, s[0:3], 0 offset:44
	v_mov_b32_e32 v86, 0
	buffer_store_dword v86, off, s[0:3], 0 offset:40
	buffer_store_dword v86, off, s[0:3], 0 offset:44
	s_waitcnt vmcnt(2)
	ds_write_b64 v83, v[84:85]
.LBB104_249:
	s_or_b64 exec, exec, s[4:5]
	s_waitcnt lgkmcnt(0)
	; wave barrier
	buffer_load_dword v155, off, s[0:3], 0 offset:52
	buffer_load_dword v156, off, s[0:3], 0 offset:60
	buffer_load_dword v157, off, s[0:3], 0 offset:68
	buffer_load_dword v158, off, s[0:3], 0 offset:76
	buffer_load_dword v159, off, s[0:3], 0 offset:84
	buffer_load_dword v160, off, s[0:3], 0 offset:92
	buffer_load_dword v161, off, s[0:3], 0 offset:100
	buffer_load_dword v162, off, s[0:3], 0 offset:108
	buffer_load_dword v163, off, s[0:3], 0 offset:116
	buffer_load_dword v164, off, s[0:3], 0 offset:48
	buffer_load_dword v165, off, s[0:3], 0 offset:56
	buffer_load_dword v166, off, s[0:3], 0 offset:64
	buffer_load_dword v167, off, s[0:3], 0 offset:72
	buffer_load_dword v168, off, s[0:3], 0 offset:80
	buffer_load_dword v169, off, s[0:3], 0 offset:88
	buffer_load_dword v170, off, s[0:3], 0 offset:96
	buffer_load_dword v171, off, s[0:3], 0 offset:104
	buffer_load_dword v172, off, s[0:3], 0 offset:112
	buffer_load_dword v173, off, s[0:3], 0 offset:124
	buffer_load_dword v174, off, s[0:3], 0 offset:120
	buffer_load_dword v175, off, s[0:3], 0 offset:132
	buffer_load_dword v176, off, s[0:3], 0 offset:40
	buffer_load_dword v177, off, s[0:3], 0 offset:44
	buffer_load_dword v178, off, s[0:3], 0 offset:128
	buffer_load_dword v179, off, s[0:3], 0 offset:136
	buffer_load_dword v180, off, s[0:3], 0 offset:140
	buffer_load_dword v181, off, s[0:3], 0 offset:144
	buffer_load_dword v182, off, s[0:3], 0 offset:148
	buffer_load_dword v183, off, s[0:3], 0 offset:152
	buffer_load_dword v184, off, s[0:3], 0 offset:156
	buffer_load_dword v185, off, s[0:3], 0 offset:160
	buffer_load_dword v186, off, s[0:3], 0 offset:164
	buffer_load_dword v187, off, s[0:3], 0 offset:168
	buffer_load_dword v188, off, s[0:3], 0 offset:172
	buffer_load_dword v189, off, s[0:3], 0 offset:176
	buffer_load_dword v190, off, s[0:3], 0 offset:180
	buffer_load_dword v191, off, s[0:3], 0 offset:184
	buffer_load_dword v192, off, s[0:3], 0 offset:188
	buffer_load_dword v193, off, s[0:3], 0 offset:192
	buffer_load_dword v194, off, s[0:3], 0 offset:196
	buffer_load_dword v195, off, s[0:3], 0 offset:200
	buffer_load_dword v196, off, s[0:3], 0 offset:204
	buffer_load_dword v197, off, s[0:3], 0 offset:208
	buffer_load_dword v198, off, s[0:3], 0 offset:212
	buffer_load_dword v199, off, s[0:3], 0 offset:216
	buffer_load_dword v200, off, s[0:3], 0 offset:220
	buffer_load_dword v201, off, s[0:3], 0 offset:224
	buffer_load_dword v202, off, s[0:3], 0 offset:228
	buffer_load_dword v203, off, s[0:3], 0 offset:232
	buffer_load_dword v204, off, s[0:3], 0 offset:236
	buffer_load_dword v205, off, s[0:3], 0 offset:240
	buffer_load_dword v206, off, s[0:3], 0 offset:244
	buffer_load_dword v207, off, s[0:3], 0 offset:248
	buffer_load_dword v208, off, s[0:3], 0 offset:252
	buffer_load_dword v209, off, s[0:3], 0 offset:256
	buffer_load_dword v210, off, s[0:3], 0 offset:260
	v_mov_b32_e32 v84, 0
	ds_read_b128 v[85:88], v84 offset:384
	ds_read_b128 v[89:92], v84 offset:400
	;; [unrolled: 1-line block ×6, first 2 shown]
	buffer_load_dword v211, off, s[0:3], 0 offset:264
	buffer_load_dword v212, off, s[0:3], 0 offset:268
	;; [unrolled: 1-line block ×12, first 2 shown]
	v_cmp_lt_u32_e32 vcc, 4, v0
	s_waitcnt vmcnt(62) lgkmcnt(5)
	v_mul_f32_e32 v109, v85, v155
	v_mul_f32_e32 v110, v87, v156
	s_waitcnt lgkmcnt(4)
	v_mul_f32_e32 v111, v89, v157
	v_mul_f32_e32 v112, v91, v158
	s_waitcnt lgkmcnt(3)
	v_mul_f32_e32 v113, v93, v159
	v_mul_f32_e32 v114, v95, v160
	s_waitcnt vmcnt(61) lgkmcnt(2)
	v_mul_f32_e32 v115, v97, v161
	s_waitcnt vmcnt(60)
	v_mul_f32_e32 v116, v99, v162
	s_waitcnt vmcnt(59) lgkmcnt(1)
	v_mul_f32_e32 v117, v101, v163
	s_waitcnt vmcnt(58)
	v_fmac_f32_e32 v109, v86, v164
	s_waitcnt vmcnt(57)
	v_fmac_f32_e32 v110, v88, v165
	v_add_f32_e32 v109, 0, v109
	s_waitcnt vmcnt(56)
	v_fmac_f32_e32 v111, v90, v166
	v_add_f32_e32 v109, v109, v110
	;; [unrolled: 3-line block ×7, first 2 shown]
	v_add_f32_e32 v109, v109, v116
	s_waitcnt vmcnt(50)
	v_fmac_f32_e32 v117, v102, v172
	s_waitcnt vmcnt(49)
	v_mul_f32_e32 v110, v103, v173
	v_add_f32_e32 v109, v109, v117
	s_waitcnt vmcnt(48)
	v_fmac_f32_e32 v110, v104, v174
	v_add_f32_e32 v109, v109, v110
	s_waitcnt vmcnt(47) lgkmcnt(0)
	v_mul_f32_e32 v110, v105, v175
	s_waitcnt vmcnt(44)
	v_fmac_f32_e32 v110, v106, v178
	v_add_f32_e32 v113, v109, v110
	ds_read_b128 v[109:112], v84 offset:480
	buffer_load_dword v223, off, s[0:3], 0 offset:316
	buffer_load_dword v224, off, s[0:3], 0 offset:312
	;; [unrolled: 1-line block ×4, first 2 shown]
	v_mul_f32_e32 v86, v86, v155
	v_fma_f32 v85, v85, v164, -v86
	v_mul_f32_e32 v86, v88, v156
	v_add_f32_e32 v85, 0, v85
	v_fma_f32 v86, v87, v165, -v86
	v_add_f32_e32 v85, v85, v86
	v_mul_f32_e32 v86, v90, v157
	v_fma_f32 v86, v89, v166, -v86
	s_waitcnt vmcnt(46)
	v_mul_f32_e32 v114, v107, v180
	v_add_f32_e32 v85, v85, v86
	v_mul_f32_e32 v86, v92, v158
	v_fmac_f32_e32 v114, v108, v179
	v_fma_f32 v86, v91, v167, -v86
	v_add_f32_e32 v117, v113, v114
	ds_read_b128 v[113:116], v84 offset:496
	v_add_f32_e32 v85, v85, v86
	v_mul_f32_e32 v86, v94, v159
	s_waitcnt vmcnt(44) lgkmcnt(1)
	v_mul_f32_e32 v118, v109, v182
	v_fma_f32 v86, v93, v168, -v86
	v_fmac_f32_e32 v118, v110, v181
	v_add_f32_e32 v85, v85, v86
	v_mul_f32_e32 v86, v96, v160
	v_add_f32_e32 v117, v117, v118
	s_waitcnt vmcnt(42)
	v_mul_f32_e32 v118, v111, v184
	v_fma_f32 v86, v95, v169, -v86
	v_fmac_f32_e32 v118, v112, v183
	v_add_f32_e32 v85, v85, v86
	v_mul_f32_e32 v86, v98, v161
	v_add_f32_e32 v117, v117, v118
	s_waitcnt vmcnt(40) lgkmcnt(0)
	v_mul_f32_e32 v118, v113, v186
	v_fma_f32 v86, v97, v170, -v86
	v_fmac_f32_e32 v118, v114, v185
	v_add_f32_e32 v85, v85, v86
	v_mul_f32_e32 v86, v100, v162
	v_add_f32_e32 v121, v117, v118
	ds_read_b128 v[117:120], v84 offset:512
	v_fma_f32 v86, v99, v171, -v86
	v_add_f32_e32 v85, v85, v86
	v_mul_f32_e32 v86, v102, v163
	s_waitcnt vmcnt(38)
	v_mul_f32_e32 v122, v115, v188
	v_fma_f32 v86, v101, v172, -v86
	v_fmac_f32_e32 v122, v116, v187
	v_add_f32_e32 v85, v85, v86
	v_mul_f32_e32 v86, v104, v173
	v_add_f32_e32 v125, v121, v122
	ds_read_b128 v[121:124], v84 offset:528
	v_fma_f32 v86, v103, v174, -v86
	s_waitcnt vmcnt(36) lgkmcnt(1)
	v_mul_f32_e32 v126, v117, v190
	v_add_f32_e32 v85, v85, v86
	v_mul_f32_e32 v86, v106, v175
	v_fmac_f32_e32 v126, v118, v189
	v_fma_f32 v86, v105, v178, -v86
	v_add_f32_e32 v125, v125, v126
	s_waitcnt vmcnt(34)
	v_mul_f32_e32 v126, v119, v192
	v_add_f32_e32 v85, v85, v86
	v_mul_f32_e32 v86, v108, v180
	v_fmac_f32_e32 v126, v120, v191
	v_fma_f32 v86, v107, v179, -v86
	v_add_f32_e32 v125, v125, v126
	s_waitcnt vmcnt(32) lgkmcnt(0)
	v_mul_f32_e32 v126, v121, v194
	v_add_f32_e32 v85, v85, v86
	v_mul_f32_e32 v86, v110, v182
	v_fmac_f32_e32 v126, v122, v193
	v_fma_f32 v86, v109, v181, -v86
	v_add_f32_e32 v129, v125, v126
	ds_read_b128 v[125:128], v84 offset:544
	v_add_f32_e32 v85, v85, v86
	v_mul_f32_e32 v86, v112, v184
	v_fma_f32 v86, v111, v183, -v86
	s_waitcnt vmcnt(30)
	v_mul_f32_e32 v130, v123, v196
	v_add_f32_e32 v85, v85, v86
	v_mul_f32_e32 v86, v114, v186
	v_fmac_f32_e32 v130, v124, v195
	v_fma_f32 v86, v113, v185, -v86
	v_add_f32_e32 v133, v129, v130
	ds_read_b128 v[129:132], v84 offset:560
	v_add_f32_e32 v85, v85, v86
	v_mul_f32_e32 v86, v116, v188
	s_waitcnt vmcnt(28) lgkmcnt(1)
	v_mul_f32_e32 v134, v125, v198
	v_fma_f32 v86, v115, v187, -v86
	v_fmac_f32_e32 v134, v126, v197
	v_add_f32_e32 v85, v85, v86
	v_mul_f32_e32 v86, v118, v190
	v_add_f32_e32 v133, v133, v134
	s_waitcnt vmcnt(26)
	v_mul_f32_e32 v134, v127, v200
	v_fma_f32 v86, v117, v189, -v86
	v_fmac_f32_e32 v134, v128, v199
	v_add_f32_e32 v85, v85, v86
	v_mul_f32_e32 v86, v120, v192
	v_add_f32_e32 v133, v133, v134
	s_waitcnt vmcnt(24) lgkmcnt(0)
	v_mul_f32_e32 v134, v129, v202
	v_fma_f32 v86, v119, v191, -v86
	v_fmac_f32_e32 v134, v130, v201
	v_add_f32_e32 v85, v85, v86
	v_mul_f32_e32 v86, v122, v194
	v_add_f32_e32 v137, v133, v134
	ds_read_b128 v[133:136], v84 offset:576
	v_fma_f32 v86, v121, v193, -v86
	v_add_f32_e32 v85, v85, v86
	v_mul_f32_e32 v86, v124, v196
	s_waitcnt vmcnt(22)
	v_mul_f32_e32 v138, v131, v204
	v_fma_f32 v86, v123, v195, -v86
	v_fmac_f32_e32 v138, v132, v203
	v_add_f32_e32 v85, v85, v86
	v_mul_f32_e32 v86, v126, v198
	v_add_f32_e32 v141, v137, v138
	ds_read_b128 v[137:140], v84 offset:592
	v_fma_f32 v86, v125, v197, -v86
	s_waitcnt vmcnt(20) lgkmcnt(1)
	v_mul_f32_e32 v142, v133, v206
	v_add_f32_e32 v85, v85, v86
	v_mul_f32_e32 v86, v128, v200
	v_fmac_f32_e32 v142, v134, v205
	v_fma_f32 v86, v127, v199, -v86
	v_add_f32_e32 v141, v141, v142
	s_waitcnt vmcnt(18)
	v_mul_f32_e32 v142, v135, v208
	v_add_f32_e32 v85, v85, v86
	v_mul_f32_e32 v86, v130, v202
	v_fmac_f32_e32 v142, v136, v207
	v_fma_f32 v86, v129, v201, -v86
	v_add_f32_e32 v141, v141, v142
	s_waitcnt vmcnt(16) lgkmcnt(0)
	v_mul_f32_e32 v142, v137, v210
	v_add_f32_e32 v85, v85, v86
	v_mul_f32_e32 v86, v132, v204
	v_fmac_f32_e32 v142, v138, v209
	v_fma_f32 v86, v131, v203, -v86
	v_add_f32_e32 v145, v141, v142
	ds_read_b128 v[141:144], v84 offset:608
	v_add_f32_e32 v85, v85, v86
	v_mul_f32_e32 v86, v134, v206
	v_fma_f32 v86, v133, v205, -v86
	s_waitcnt vmcnt(14)
	v_mul_f32_e32 v146, v139, v212
	v_add_f32_e32 v85, v85, v86
	v_mul_f32_e32 v86, v136, v208
	v_fmac_f32_e32 v146, v140, v211
	v_fma_f32 v86, v135, v207, -v86
	v_add_f32_e32 v149, v145, v146
	ds_read_b128 v[145:148], v84 offset:624
	v_add_f32_e32 v85, v85, v86
	v_mul_f32_e32 v86, v138, v210
	s_waitcnt vmcnt(12) lgkmcnt(1)
	v_mul_f32_e32 v150, v141, v214
	v_fma_f32 v86, v137, v209, -v86
	v_fmac_f32_e32 v150, v142, v213
	v_add_f32_e32 v85, v85, v86
	v_mul_f32_e32 v86, v140, v212
	v_add_f32_e32 v149, v149, v150
	s_waitcnt vmcnt(11)
	v_mul_f32_e32 v150, v143, v215
	v_fma_f32 v86, v139, v211, -v86
	s_waitcnt vmcnt(10)
	v_fmac_f32_e32 v150, v144, v216
	v_add_f32_e32 v85, v85, v86
	v_mul_f32_e32 v86, v142, v214
	v_add_f32_e32 v149, v149, v150
	s_waitcnt vmcnt(8) lgkmcnt(0)
	v_mul_f32_e32 v150, v145, v218
	v_fma_f32 v86, v141, v213, -v86
	v_fmac_f32_e32 v150, v146, v217
	v_add_f32_e32 v85, v85, v86
	v_mul_f32_e32 v86, v144, v215
	v_add_f32_e32 v153, v149, v150
	ds_read_b128 v[149:152], v84 offset:640
	v_fma_f32 v86, v143, v216, -v86
	v_add_f32_e32 v85, v85, v86
	v_mul_f32_e32 v86, v146, v218
	s_waitcnt vmcnt(6)
	v_mul_f32_e32 v154, v147, v220
	v_fma_f32 v86, v145, v217, -v86
	v_fmac_f32_e32 v154, v148, v219
	v_add_f32_e32 v85, v85, v86
	v_mul_f32_e32 v86, v148, v220
	v_add_f32_e32 v227, v153, v154
	ds_read_b64 v[153:154], v84 offset:656
	v_fma_f32 v86, v147, v219, -v86
	v_add_f32_e32 v85, v85, v86
	s_waitcnt vmcnt(4) lgkmcnt(1)
	v_mul_f32_e32 v86, v150, v222
	v_mul_f32_e32 v228, v149, v222
	v_fma_f32 v86, v149, v221, -v86
	v_fmac_f32_e32 v228, v150, v221
	v_add_f32_e32 v85, v85, v86
	s_waitcnt vmcnt(3)
	v_mul_f32_e32 v86, v152, v223
	v_add_f32_e32 v227, v227, v228
	v_mul_f32_e32 v228, v151, v223
	s_waitcnt vmcnt(2)
	v_fma_f32 v86, v151, v224, -v86
	v_fmac_f32_e32 v228, v152, v224
	v_add_f32_e32 v85, v85, v86
	s_waitcnt vmcnt(0) lgkmcnt(0)
	v_mul_f32_e32 v86, v154, v226
	v_add_f32_e32 v227, v227, v228
	v_mul_f32_e32 v228, v153, v226
	v_fma_f32 v86, v153, v225, -v86
	v_fmac_f32_e32 v228, v154, v225
	v_add_f32_e32 v85, v85, v86
	v_add_f32_e32 v227, v227, v228
	v_sub_f32_e32 v85, v176, v85
	v_sub_f32_e32 v86, v177, v227
	buffer_store_dword v85, off, s[0:3], 0 offset:40
	buffer_store_dword v86, off, s[0:3], 0 offset:44
	s_and_saveexec_b64 s[4:5], vcc
	s_cbranch_execz .LBB104_251
; %bb.250:
	buffer_load_dword v85, off, s[0:3], 0 offset:32
	buffer_load_dword v86, off, s[0:3], 0 offset:36
	s_waitcnt vmcnt(0)
	ds_write_b64 v83, v[85:86]
	buffer_store_dword v84, off, s[0:3], 0 offset:32
	buffer_store_dword v84, off, s[0:3], 0 offset:36
.LBB104_251:
	s_or_b64 exec, exec, s[4:5]
	s_waitcnt lgkmcnt(0)
	; wave barrier
	buffer_load_dword v157, off, s[0:3], 0 offset:44
	buffer_load_dword v158, off, s[0:3], 0 offset:52
	;; [unrolled: 1-line block ×26, first 2 shown]
	ds_read2_b64 v[85:88], v84 offset0:47 offset1:48
	ds_read2_b64 v[89:92], v84 offset0:49 offset1:50
	;; [unrolled: 1-line block ×6, first 2 shown]
	buffer_load_dword v183, off, s[0:3], 0 offset:136
	buffer_load_dword v184, off, s[0:3], 0 offset:140
	;; [unrolled: 1-line block ×42, first 2 shown]
	v_cmp_lt_u32_e32 vcc, 3, v0
	s_waitcnt vmcnt(62) lgkmcnt(5)
	v_mul_f32_e32 v109, v85, v157
	v_mul_f32_e32 v110, v87, v158
	s_waitcnt lgkmcnt(4)
	v_mul_f32_e32 v111, v89, v159
	v_mul_f32_e32 v112, v91, v160
	s_waitcnt lgkmcnt(3)
	v_mul_f32_e32 v113, v93, v161
	v_mul_f32_e32 v114, v95, v162
	s_waitcnt vmcnt(61) lgkmcnt(2)
	v_mul_f32_e32 v115, v97, v163
	s_waitcnt vmcnt(60)
	v_mul_f32_e32 v116, v99, v164
	s_waitcnt vmcnt(59) lgkmcnt(1)
	v_mul_f32_e32 v117, v101, v165
	s_waitcnt vmcnt(58)
	v_fmac_f32_e32 v109, v86, v166
	s_waitcnt vmcnt(57)
	v_fmac_f32_e32 v110, v88, v167
	v_add_f32_e32 v109, 0, v109
	s_waitcnt vmcnt(56)
	v_fmac_f32_e32 v111, v90, v168
	v_add_f32_e32 v109, v109, v110
	;; [unrolled: 3-line block ×8, first 2 shown]
	s_waitcnt vmcnt(49)
	v_mul_f32_e32 v110, v103, v175
	v_add_f32_e32 v109, v109, v117
	s_waitcnt vmcnt(48)
	v_fmac_f32_e32 v110, v104, v176
	v_add_f32_e32 v109, v109, v110
	s_waitcnt vmcnt(47) lgkmcnt(0)
	v_mul_f32_e32 v110, v105, v177
	s_waitcnt vmcnt(46)
	v_fmac_f32_e32 v110, v106, v178
	v_add_f32_e32 v109, v109, v110
	s_waitcnt vmcnt(42)
	v_mul_f32_e32 v110, v107, v182
	v_fmac_f32_e32 v110, v108, v181
	v_add_f32_e32 v117, v109, v110
	ds_read2_b64 v[109:112], v84 offset0:59 offset1:60
	buffer_load_dword v225, off, s[0:3], 0 offset:308
	buffer_load_dword v226, off, s[0:3], 0 offset:304
	;; [unrolled: 1-line block ×4, first 2 shown]
	ds_read2_b64 v[113:116], v84 offset0:61 offset1:62
	buffer_load_dword v229, off, s[0:3], 0 offset:320
	buffer_load_dword v230, off, s[0:3], 0 offset:324
	v_mul_f32_e32 v86, v86, v157
	v_fma_f32 v85, v85, v166, -v86
	v_mul_f32_e32 v86, v88, v158
	v_add_f32_e32 v85, 0, v85
	v_fma_f32 v86, v87, v167, -v86
	v_add_f32_e32 v85, v85, v86
	v_mul_f32_e32 v86, v90, v159
	v_fma_f32 v86, v89, v168, -v86
	v_add_f32_e32 v85, v85, v86
	v_mul_f32_e32 v86, v92, v160
	;; [unrolled: 3-line block ×3, first 2 shown]
	s_waitcnt vmcnt(46) lgkmcnt(1)
	v_mul_f32_e32 v118, v109, v184
	v_fma_f32 v86, v93, v170, -v86
	v_fmac_f32_e32 v118, v110, v183
	v_add_f32_e32 v85, v85, v86
	v_mul_f32_e32 v86, v96, v162
	v_add_f32_e32 v117, v117, v118
	s_waitcnt vmcnt(44)
	v_mul_f32_e32 v118, v111, v186
	v_fma_f32 v86, v95, v171, -v86
	v_fmac_f32_e32 v118, v112, v185
	v_add_f32_e32 v85, v85, v86
	v_mul_f32_e32 v86, v98, v163
	v_add_f32_e32 v117, v117, v118
	s_waitcnt vmcnt(42) lgkmcnt(0)
	v_mul_f32_e32 v118, v113, v188
	v_fma_f32 v86, v97, v172, -v86
	v_fmac_f32_e32 v118, v114, v187
	v_add_f32_e32 v85, v85, v86
	v_mul_f32_e32 v86, v100, v164
	v_add_f32_e32 v121, v117, v118
	ds_read2_b64 v[117:120], v84 offset0:63 offset1:64
	v_fma_f32 v86, v99, v173, -v86
	v_add_f32_e32 v85, v85, v86
	v_mul_f32_e32 v86, v102, v165
	s_waitcnt vmcnt(40)
	v_mul_f32_e32 v122, v115, v190
	v_fma_f32 v86, v101, v174, -v86
	v_fmac_f32_e32 v122, v116, v189
	v_add_f32_e32 v85, v85, v86
	v_mul_f32_e32 v86, v104, v175
	v_add_f32_e32 v125, v121, v122
	ds_read2_b64 v[121:124], v84 offset0:65 offset1:66
	v_fma_f32 v86, v103, v176, -v86
	s_waitcnt vmcnt(38) lgkmcnt(1)
	v_mul_f32_e32 v126, v117, v192
	v_add_f32_e32 v85, v85, v86
	v_mul_f32_e32 v86, v106, v177
	v_fmac_f32_e32 v126, v118, v191
	v_fma_f32 v86, v105, v178, -v86
	v_add_f32_e32 v125, v125, v126
	s_waitcnt vmcnt(36)
	v_mul_f32_e32 v126, v119, v194
	v_add_f32_e32 v85, v85, v86
	v_mul_f32_e32 v86, v108, v182
	v_fmac_f32_e32 v126, v120, v193
	v_fma_f32 v86, v107, v181, -v86
	v_add_f32_e32 v125, v125, v126
	s_waitcnt vmcnt(34) lgkmcnt(0)
	v_mul_f32_e32 v126, v121, v196
	v_add_f32_e32 v85, v85, v86
	v_mul_f32_e32 v86, v110, v184
	v_fmac_f32_e32 v126, v122, v195
	v_fma_f32 v86, v109, v183, -v86
	v_add_f32_e32 v129, v125, v126
	ds_read2_b64 v[125:128], v84 offset0:67 offset1:68
	v_add_f32_e32 v85, v85, v86
	v_mul_f32_e32 v86, v112, v186
	v_fma_f32 v86, v111, v185, -v86
	s_waitcnt vmcnt(32)
	v_mul_f32_e32 v130, v123, v198
	v_add_f32_e32 v85, v85, v86
	v_mul_f32_e32 v86, v114, v188
	v_fmac_f32_e32 v130, v124, v197
	v_fma_f32 v86, v113, v187, -v86
	v_add_f32_e32 v133, v129, v130
	ds_read2_b64 v[129:132], v84 offset0:69 offset1:70
	v_add_f32_e32 v85, v85, v86
	v_mul_f32_e32 v86, v116, v190
	s_waitcnt vmcnt(30) lgkmcnt(1)
	v_mul_f32_e32 v134, v125, v200
	v_fma_f32 v86, v115, v189, -v86
	v_fmac_f32_e32 v134, v126, v199
	v_add_f32_e32 v85, v85, v86
	v_mul_f32_e32 v86, v118, v192
	v_add_f32_e32 v133, v133, v134
	s_waitcnt vmcnt(28)
	v_mul_f32_e32 v134, v127, v202
	v_fma_f32 v86, v117, v191, -v86
	v_fmac_f32_e32 v134, v128, v201
	v_add_f32_e32 v85, v85, v86
	v_mul_f32_e32 v86, v120, v194
	v_add_f32_e32 v133, v133, v134
	s_waitcnt vmcnt(26) lgkmcnt(0)
	v_mul_f32_e32 v134, v129, v204
	v_fma_f32 v86, v119, v193, -v86
	v_fmac_f32_e32 v134, v130, v203
	v_add_f32_e32 v85, v85, v86
	v_mul_f32_e32 v86, v122, v196
	v_add_f32_e32 v137, v133, v134
	ds_read2_b64 v[133:136], v84 offset0:71 offset1:72
	v_fma_f32 v86, v121, v195, -v86
	v_add_f32_e32 v85, v85, v86
	v_mul_f32_e32 v86, v124, v198
	s_waitcnt vmcnt(24)
	v_mul_f32_e32 v138, v131, v206
	v_fma_f32 v86, v123, v197, -v86
	v_fmac_f32_e32 v138, v132, v205
	v_add_f32_e32 v85, v85, v86
	v_mul_f32_e32 v86, v126, v200
	v_add_f32_e32 v141, v137, v138
	ds_read2_b64 v[137:140], v84 offset0:73 offset1:74
	v_fma_f32 v86, v125, v199, -v86
	s_waitcnt vmcnt(22) lgkmcnt(1)
	v_mul_f32_e32 v142, v133, v208
	v_add_f32_e32 v85, v85, v86
	v_mul_f32_e32 v86, v128, v202
	v_fmac_f32_e32 v142, v134, v207
	v_fma_f32 v86, v127, v201, -v86
	v_add_f32_e32 v141, v141, v142
	s_waitcnt vmcnt(20)
	v_mul_f32_e32 v142, v135, v210
	v_add_f32_e32 v85, v85, v86
	v_mul_f32_e32 v86, v130, v204
	v_fmac_f32_e32 v142, v136, v209
	v_fma_f32 v86, v129, v203, -v86
	v_add_f32_e32 v141, v141, v142
	s_waitcnt vmcnt(18) lgkmcnt(0)
	v_mul_f32_e32 v142, v137, v212
	v_add_f32_e32 v85, v85, v86
	v_mul_f32_e32 v86, v132, v206
	v_fmac_f32_e32 v142, v138, v211
	v_fma_f32 v86, v131, v205, -v86
	v_add_f32_e32 v145, v141, v142
	ds_read2_b64 v[141:144], v84 offset0:75 offset1:76
	v_add_f32_e32 v85, v85, v86
	v_mul_f32_e32 v86, v134, v208
	v_fma_f32 v86, v133, v207, -v86
	s_waitcnt vmcnt(16)
	v_mul_f32_e32 v146, v139, v214
	v_add_f32_e32 v85, v85, v86
	v_mul_f32_e32 v86, v136, v210
	v_fmac_f32_e32 v146, v140, v213
	v_fma_f32 v86, v135, v209, -v86
	v_add_f32_e32 v149, v145, v146
	ds_read2_b64 v[145:148], v84 offset0:77 offset1:78
	v_add_f32_e32 v85, v85, v86
	v_mul_f32_e32 v86, v138, v212
	s_waitcnt vmcnt(14) lgkmcnt(1)
	v_mul_f32_e32 v150, v141, v216
	v_fma_f32 v86, v137, v211, -v86
	v_fmac_f32_e32 v150, v142, v215
	v_add_f32_e32 v85, v85, v86
	v_mul_f32_e32 v86, v140, v214
	v_add_f32_e32 v149, v149, v150
	s_waitcnt vmcnt(13)
	v_mul_f32_e32 v150, v143, v217
	v_fma_f32 v86, v139, v213, -v86
	s_waitcnt vmcnt(12)
	v_fmac_f32_e32 v150, v144, v218
	v_add_f32_e32 v85, v85, v86
	v_mul_f32_e32 v86, v142, v216
	v_add_f32_e32 v149, v149, v150
	s_waitcnt vmcnt(10) lgkmcnt(0)
	v_mul_f32_e32 v150, v145, v220
	v_fma_f32 v86, v141, v215, -v86
	v_fmac_f32_e32 v150, v146, v219
	v_add_f32_e32 v85, v85, v86
	v_mul_f32_e32 v86, v144, v217
	v_add_f32_e32 v153, v149, v150
	ds_read2_b64 v[149:152], v84 offset0:79 offset1:80
	v_fma_f32 v86, v143, v218, -v86
	v_add_f32_e32 v85, v85, v86
	v_mul_f32_e32 v86, v146, v220
	s_waitcnt vmcnt(8)
	v_mul_f32_e32 v154, v147, v222
	v_fma_f32 v86, v145, v219, -v86
	v_fmac_f32_e32 v154, v148, v221
	v_add_f32_e32 v85, v85, v86
	v_mul_f32_e32 v86, v148, v222
	v_add_f32_e32 v231, v153, v154
	ds_read2_b64 v[153:156], v84 offset0:81 offset1:82
	v_fma_f32 v86, v147, v221, -v86
	v_add_f32_e32 v85, v85, v86
	s_waitcnt vmcnt(6) lgkmcnt(1)
	v_mul_f32_e32 v86, v150, v224
	v_mul_f32_e32 v84, v149, v224
	v_fma_f32 v86, v149, v223, -v86
	v_fmac_f32_e32 v84, v150, v223
	v_add_f32_e32 v85, v85, v86
	s_waitcnt vmcnt(5)
	v_mul_f32_e32 v86, v152, v225
	v_add_f32_e32 v84, v231, v84
	v_mul_f32_e32 v231, v151, v225
	s_waitcnt vmcnt(4)
	v_fma_f32 v86, v151, v226, -v86
	v_fmac_f32_e32 v231, v152, v226
	v_add_f32_e32 v85, v85, v86
	s_waitcnt vmcnt(2) lgkmcnt(0)
	v_mul_f32_e32 v86, v154, v228
	v_add_f32_e32 v84, v84, v231
	v_mul_f32_e32 v231, v153, v228
	v_fma_f32 v86, v153, v227, -v86
	v_fmac_f32_e32 v231, v154, v227
	v_add_f32_e32 v85, v85, v86
	s_waitcnt vmcnt(0)
	v_mul_f32_e32 v86, v156, v230
	v_add_f32_e32 v84, v84, v231
	v_mul_f32_e32 v231, v155, v230
	v_fma_f32 v86, v155, v229, -v86
	v_fmac_f32_e32 v231, v156, v229
	v_add_f32_e32 v85, v85, v86
	v_add_f32_e32 v84, v84, v231
	v_sub_f32_e32 v85, v179, v85
	v_sub_f32_e32 v84, v180, v84
	buffer_store_dword v85, off, s[0:3], 0 offset:32
	buffer_store_dword v84, off, s[0:3], 0 offset:36
	s_and_saveexec_b64 s[4:5], vcc
	s_cbranch_execz .LBB104_253
; %bb.252:
	buffer_load_dword v84, off, s[0:3], 0 offset:24
	buffer_load_dword v85, off, s[0:3], 0 offset:28
	v_mov_b32_e32 v86, 0
	buffer_store_dword v86, off, s[0:3], 0 offset:24
	buffer_store_dword v86, off, s[0:3], 0 offset:28
	s_waitcnt vmcnt(2)
	ds_write_b64 v83, v[84:85]
.LBB104_253:
	s_or_b64 exec, exec, s[4:5]
	s_waitcnt lgkmcnt(0)
	; wave barrier
	buffer_load_dword v159, off, s[0:3], 0 offset:36
	buffer_load_dword v160, off, s[0:3], 0 offset:44
	;; [unrolled: 1-line block ×52, first 2 shown]
	v_mov_b32_e32 v84, 0
	ds_read_b128 v[85:88], v84 offset:368
	ds_read_b128 v[89:92], v84 offset:384
	;; [unrolled: 1-line block ×6, first 2 shown]
	buffer_load_dword v211, off, s[0:3], 0 offset:236
	buffer_load_dword v212, off, s[0:3], 0 offset:232
	;; [unrolled: 1-line block ×14, first 2 shown]
	v_cmp_lt_u32_e32 vcc, 2, v0
	s_waitcnt vmcnt(62) lgkmcnt(5)
	v_mul_f32_e32 v109, v85, v159
	v_mul_f32_e32 v110, v87, v160
	s_waitcnt lgkmcnt(4)
	v_mul_f32_e32 v111, v89, v161
	v_mul_f32_e32 v112, v91, v162
	s_waitcnt vmcnt(61) lgkmcnt(3)
	v_mul_f32_e32 v113, v93, v163
	s_waitcnt vmcnt(60)
	v_mul_f32_e32 v114, v95, v164
	s_waitcnt vmcnt(59) lgkmcnt(2)
	v_mul_f32_e32 v115, v97, v165
	s_waitcnt vmcnt(58)
	;; [unrolled: 4-line block ×3, first 2 shown]
	v_fmac_f32_e32 v109, v86, v168
	s_waitcnt vmcnt(55)
	v_fmac_f32_e32 v110, v88, v169
	v_add_f32_e32 v109, 0, v109
	s_waitcnt vmcnt(54)
	v_fmac_f32_e32 v111, v90, v170
	v_add_f32_e32 v109, v109, v110
	;; [unrolled: 3-line block ×8, first 2 shown]
	s_waitcnt vmcnt(47)
	v_mul_f32_e32 v110, v103, v177
	v_add_f32_e32 v109, v109, v117
	s_waitcnt vmcnt(46)
	v_fmac_f32_e32 v110, v104, v178
	v_add_f32_e32 v109, v109, v110
	s_waitcnt vmcnt(45) lgkmcnt(0)
	v_mul_f32_e32 v110, v105, v179
	s_waitcnt vmcnt(44)
	v_fmac_f32_e32 v110, v106, v180
	v_add_f32_e32 v113, v109, v110
	ds_read_b128 v[109:112], v84 offset:464
	buffer_load_dword v225, off, s[0:3], 0 offset:288
	buffer_load_dword v226, off, s[0:3], 0 offset:292
	s_waitcnt vmcnt(43)
	v_mul_f32_e32 v114, v107, v183
	s_waitcnt vmcnt(42)
	v_fmac_f32_e32 v114, v108, v184
	v_add_f32_e32 v117, v113, v114
	ds_read_b128 v[113:116], v84 offset:480
	buffer_load_dword v227, off, s[0:3], 0 offset:300
	buffer_load_dword v228, off, s[0:3], 0 offset:296
	;; [unrolled: 1-line block ×8, first 2 shown]
	v_mul_f32_e32 v86, v86, v159
	v_fma_f32 v85, v85, v168, -v86
	v_mul_f32_e32 v86, v88, v160
	v_add_f32_e32 v85, 0, v85
	v_fma_f32 v86, v87, v169, -v86
	v_add_f32_e32 v85, v85, v86
	v_mul_f32_e32 v86, v90, v161
	v_fma_f32 v86, v89, v170, -v86
	v_add_f32_e32 v85, v85, v86
	v_mul_f32_e32 v86, v92, v162
	v_fma_f32 v86, v91, v171, -v86
	s_waitcnt vmcnt(48) lgkmcnt(1)
	v_mul_f32_e32 v118, v109, v186
	v_add_f32_e32 v85, v85, v86
	v_mul_f32_e32 v86, v94, v163
	v_fmac_f32_e32 v118, v110, v185
	v_fma_f32 v86, v93, v172, -v86
	v_add_f32_e32 v117, v117, v118
	s_waitcnt vmcnt(46)
	v_mul_f32_e32 v118, v111, v188
	v_add_f32_e32 v85, v85, v86
	v_mul_f32_e32 v86, v96, v164
	v_fmac_f32_e32 v118, v112, v187
	v_fma_f32 v86, v95, v173, -v86
	v_add_f32_e32 v117, v117, v118
	s_waitcnt vmcnt(44) lgkmcnt(0)
	v_mul_f32_e32 v118, v113, v190
	v_add_f32_e32 v85, v85, v86
	v_mul_f32_e32 v86, v98, v165
	v_fmac_f32_e32 v118, v114, v189
	v_fma_f32 v86, v97, v174, -v86
	v_add_f32_e32 v121, v117, v118
	ds_read_b128 v[117:120], v84 offset:496
	v_add_f32_e32 v85, v85, v86
	v_mul_f32_e32 v86, v100, v166
	v_fma_f32 v86, v99, v175, -v86
	s_waitcnt vmcnt(42)
	v_mul_f32_e32 v122, v115, v192
	v_add_f32_e32 v85, v85, v86
	v_mul_f32_e32 v86, v102, v167
	v_fmac_f32_e32 v122, v116, v191
	v_fma_f32 v86, v101, v176, -v86
	v_add_f32_e32 v125, v121, v122
	ds_read_b128 v[121:124], v84 offset:512
	v_add_f32_e32 v85, v85, v86
	v_mul_f32_e32 v86, v104, v177
	s_waitcnt vmcnt(40) lgkmcnt(1)
	v_mul_f32_e32 v126, v117, v194
	v_fma_f32 v86, v103, v178, -v86
	v_fmac_f32_e32 v126, v118, v193
	v_add_f32_e32 v85, v85, v86
	v_mul_f32_e32 v86, v106, v179
	v_add_f32_e32 v125, v125, v126
	s_waitcnt vmcnt(38)
	v_mul_f32_e32 v126, v119, v196
	v_fma_f32 v86, v105, v180, -v86
	v_fmac_f32_e32 v126, v120, v195
	v_add_f32_e32 v85, v85, v86
	v_mul_f32_e32 v86, v108, v183
	v_add_f32_e32 v125, v125, v126
	s_waitcnt vmcnt(36) lgkmcnt(0)
	v_mul_f32_e32 v126, v121, v198
	v_fma_f32 v86, v107, v184, -v86
	v_fmac_f32_e32 v126, v122, v197
	v_add_f32_e32 v85, v85, v86
	v_mul_f32_e32 v86, v110, v186
	v_add_f32_e32 v129, v125, v126
	ds_read_b128 v[125:128], v84 offset:528
	v_fma_f32 v86, v109, v185, -v86
	v_add_f32_e32 v85, v85, v86
	v_mul_f32_e32 v86, v112, v188
	s_waitcnt vmcnt(34)
	v_mul_f32_e32 v130, v123, v200
	v_fma_f32 v86, v111, v187, -v86
	v_fmac_f32_e32 v130, v124, v199
	v_add_f32_e32 v85, v85, v86
	v_mul_f32_e32 v86, v114, v190
	v_add_f32_e32 v133, v129, v130
	ds_read_b128 v[129:132], v84 offset:544
	v_fma_f32 v86, v113, v189, -v86
	s_waitcnt vmcnt(32) lgkmcnt(1)
	v_mul_f32_e32 v134, v125, v202
	v_add_f32_e32 v85, v85, v86
	v_mul_f32_e32 v86, v116, v192
	v_fmac_f32_e32 v134, v126, v201
	v_fma_f32 v86, v115, v191, -v86
	v_add_f32_e32 v133, v133, v134
	s_waitcnt vmcnt(30)
	v_mul_f32_e32 v134, v127, v204
	v_add_f32_e32 v85, v85, v86
	v_mul_f32_e32 v86, v118, v194
	v_fmac_f32_e32 v134, v128, v203
	v_fma_f32 v86, v117, v193, -v86
	v_add_f32_e32 v133, v133, v134
	s_waitcnt vmcnt(28) lgkmcnt(0)
	v_mul_f32_e32 v134, v129, v206
	v_add_f32_e32 v85, v85, v86
	v_mul_f32_e32 v86, v120, v196
	v_fmac_f32_e32 v134, v130, v205
	v_fma_f32 v86, v119, v195, -v86
	v_add_f32_e32 v137, v133, v134
	ds_read_b128 v[133:136], v84 offset:560
	v_add_f32_e32 v85, v85, v86
	v_mul_f32_e32 v86, v122, v198
	v_fma_f32 v86, v121, v197, -v86
	s_waitcnt vmcnt(26)
	v_mul_f32_e32 v138, v131, v208
	v_add_f32_e32 v85, v85, v86
	v_mul_f32_e32 v86, v124, v200
	v_fmac_f32_e32 v138, v132, v207
	v_fma_f32 v86, v123, v199, -v86
	v_add_f32_e32 v141, v137, v138
	ds_read_b128 v[137:140], v84 offset:576
	v_add_f32_e32 v85, v85, v86
	v_mul_f32_e32 v86, v126, v202
	s_waitcnt vmcnt(24) lgkmcnt(1)
	v_mul_f32_e32 v142, v133, v210
	v_fma_f32 v86, v125, v201, -v86
	v_fmac_f32_e32 v142, v134, v209
	v_add_f32_e32 v85, v85, v86
	v_mul_f32_e32 v86, v128, v204
	v_add_f32_e32 v141, v141, v142
	s_waitcnt vmcnt(23)
	v_mul_f32_e32 v142, v135, v211
	v_fma_f32 v86, v127, v203, -v86
	s_waitcnt vmcnt(22)
	v_fmac_f32_e32 v142, v136, v212
	v_add_f32_e32 v85, v85, v86
	v_mul_f32_e32 v86, v130, v206
	v_add_f32_e32 v141, v141, v142
	s_waitcnt vmcnt(20) lgkmcnt(0)
	v_mul_f32_e32 v142, v137, v214
	v_fma_f32 v86, v129, v205, -v86
	v_fmac_f32_e32 v142, v138, v213
	v_add_f32_e32 v85, v85, v86
	v_mul_f32_e32 v86, v132, v208
	v_add_f32_e32 v145, v141, v142
	ds_read_b128 v[141:144], v84 offset:592
	v_fma_f32 v86, v131, v207, -v86
	v_add_f32_e32 v85, v85, v86
	v_mul_f32_e32 v86, v134, v210
	s_waitcnt vmcnt(18)
	v_mul_f32_e32 v146, v139, v216
	v_fma_f32 v86, v133, v209, -v86
	v_fmac_f32_e32 v146, v140, v215
	v_add_f32_e32 v85, v85, v86
	v_mul_f32_e32 v86, v136, v211
	v_add_f32_e32 v149, v145, v146
	ds_read_b128 v[145:148], v84 offset:608
	v_fma_f32 v86, v135, v212, -v86
	s_waitcnt vmcnt(16) lgkmcnt(1)
	v_mul_f32_e32 v150, v141, v218
	v_add_f32_e32 v85, v85, v86
	v_mul_f32_e32 v86, v138, v214
	v_fmac_f32_e32 v150, v142, v217
	v_fma_f32 v86, v137, v213, -v86
	v_add_f32_e32 v149, v149, v150
	s_waitcnt vmcnt(15)
	v_mul_f32_e32 v150, v143, v219
	v_add_f32_e32 v85, v85, v86
	v_mul_f32_e32 v86, v140, v216
	s_waitcnt vmcnt(14)
	v_fmac_f32_e32 v150, v144, v220
	v_fma_f32 v86, v139, v215, -v86
	v_add_f32_e32 v149, v149, v150
	s_waitcnt vmcnt(12) lgkmcnt(0)
	v_mul_f32_e32 v150, v145, v222
	v_add_f32_e32 v85, v85, v86
	v_mul_f32_e32 v86, v142, v218
	v_fmac_f32_e32 v150, v146, v221
	v_fma_f32 v86, v141, v217, -v86
	v_add_f32_e32 v153, v149, v150
	ds_read_b128 v[149:152], v84 offset:624
	v_add_f32_e32 v85, v85, v86
	v_mul_f32_e32 v86, v144, v219
	v_fma_f32 v86, v143, v220, -v86
	v_add_f32_e32 v85, v85, v86
	v_mul_f32_e32 v86, v146, v222
	s_waitcnt vmcnt(10)
	v_mul_f32_e32 v154, v147, v224
	v_fma_f32 v86, v145, v221, -v86
	v_fmac_f32_e32 v154, v148, v223
	v_add_f32_e32 v85, v85, v86
	v_mul_f32_e32 v86, v148, v224
	v_add_f32_e32 v157, v153, v154
	ds_read_b128 v[153:156], v84 offset:640
	s_waitcnt vmcnt(8) lgkmcnt(1)
	v_mul_f32_e32 v158, v149, v226
	v_fma_f32 v86, v147, v223, -v86
	v_fmac_f32_e32 v158, v150, v225
	v_add_f32_e32 v85, v85, v86
	v_mul_f32_e32 v86, v150, v226
	v_add_f32_e32 v157, v157, v158
	s_waitcnt vmcnt(7)
	v_mul_f32_e32 v158, v151, v227
	v_fma_f32 v86, v149, v225, -v86
	s_waitcnt vmcnt(6)
	v_fmac_f32_e32 v158, v152, v228
	v_add_f32_e32 v85, v85, v86
	v_mul_f32_e32 v86, v152, v227
	v_add_f32_e32 v235, v157, v158
	ds_read_b64 v[157:158], v84 offset:656
	v_fma_f32 v86, v151, v228, -v86
	v_add_f32_e32 v85, v85, v86
	s_waitcnt vmcnt(4) lgkmcnt(1)
	v_mul_f32_e32 v86, v154, v230
	v_mul_f32_e32 v236, v153, v230
	v_fma_f32 v86, v153, v229, -v86
	v_fmac_f32_e32 v236, v154, v229
	v_add_f32_e32 v85, v85, v86
	s_waitcnt vmcnt(3)
	v_mul_f32_e32 v86, v156, v231
	v_add_f32_e32 v235, v235, v236
	v_mul_f32_e32 v236, v155, v231
	s_waitcnt vmcnt(2)
	v_fma_f32 v86, v155, v232, -v86
	v_fmac_f32_e32 v236, v156, v232
	v_add_f32_e32 v85, v85, v86
	s_waitcnt vmcnt(0) lgkmcnt(0)
	v_mul_f32_e32 v86, v158, v234
	v_add_f32_e32 v235, v235, v236
	v_mul_f32_e32 v236, v157, v234
	v_fma_f32 v86, v157, v233, -v86
	v_fmac_f32_e32 v236, v158, v233
	v_add_f32_e32 v85, v85, v86
	v_add_f32_e32 v235, v235, v236
	v_sub_f32_e32 v85, v181, v85
	v_sub_f32_e32 v86, v182, v235
	buffer_store_dword v85, off, s[0:3], 0 offset:24
	buffer_store_dword v86, off, s[0:3], 0 offset:28
	s_and_saveexec_b64 s[4:5], vcc
	s_cbranch_execz .LBB104_255
; %bb.254:
	buffer_load_dword v85, off, s[0:3], 0 offset:16
	buffer_load_dword v86, off, s[0:3], 0 offset:20
	s_waitcnt vmcnt(0)
	ds_write_b64 v83, v[85:86]
	buffer_store_dword v84, off, s[0:3], 0 offset:16
	buffer_store_dword v84, off, s[0:3], 0 offset:20
.LBB104_255:
	s_or_b64 exec, exec, s[4:5]
	s_waitcnt lgkmcnt(0)
	; wave barrier
	buffer_load_dword v161, off, s[0:3], 0 offset:28
	buffer_load_dword v162, off, s[0:3], 0 offset:36
	;; [unrolled: 1-line block ×26, first 2 shown]
	ds_read2_b64 v[85:88], v84 offset0:45 offset1:46
	ds_read2_b64 v[89:92], v84 offset0:47 offset1:48
	;; [unrolled: 1-line block ×4, first 2 shown]
	buffer_load_dword v187, off, s[0:3], 0 offset:124
	ds_read2_b64 v[101:104], v84 offset0:53 offset1:54
	ds_read2_b64 v[105:108], v84 offset0:55 offset1:56
	buffer_load_dword v188, off, s[0:3], 0 offset:120
	buffer_load_dword v189, off, s[0:3], 0 offset:128
	;; [unrolled: 1-line block ×37, first 2 shown]
	v_cmp_lt_u32_e32 vcc, 1, v0
	s_waitcnt vmcnt(62) lgkmcnt(5)
	v_mul_f32_e32 v109, v85, v161
	v_mul_f32_e32 v110, v87, v162
	s_waitcnt vmcnt(61) lgkmcnt(4)
	v_mul_f32_e32 v111, v89, v163
	s_waitcnt vmcnt(60)
	v_mul_f32_e32 v112, v91, v164
	s_waitcnt vmcnt(59) lgkmcnt(3)
	v_mul_f32_e32 v113, v93, v165
	s_waitcnt vmcnt(58)
	;; [unrolled: 4-line block ×4, first 2 shown]
	v_mul_f32_e32 v118, v103, v170
	s_waitcnt vmcnt(53)
	v_fmac_f32_e32 v109, v86, v171
	s_waitcnt vmcnt(52)
	v_fmac_f32_e32 v110, v88, v172
	v_add_f32_e32 v109, 0, v109
	s_waitcnt vmcnt(51)
	v_fmac_f32_e32 v111, v90, v173
	v_add_f32_e32 v109, v109, v110
	s_waitcnt vmcnt(50)
	v_fmac_f32_e32 v112, v92, v174
	v_add_f32_e32 v109, v109, v111
	s_waitcnt vmcnt(49)
	v_fmac_f32_e32 v113, v94, v175
	v_add_f32_e32 v109, v109, v112
	s_waitcnt vmcnt(48)
	v_fmac_f32_e32 v114, v96, v176
	v_add_f32_e32 v109, v109, v113
	s_waitcnt vmcnt(47)
	v_fmac_f32_e32 v115, v98, v177
	v_add_f32_e32 v109, v109, v114
	s_waitcnt vmcnt(46)
	v_fmac_f32_e32 v116, v100, v178
	v_add_f32_e32 v109, v109, v115
	s_waitcnt vmcnt(45)
	v_fmac_f32_e32 v117, v102, v179
	v_add_f32_e32 v109, v109, v116
	s_waitcnt vmcnt(44)
	v_fmac_f32_e32 v118, v104, v180
	v_add_f32_e32 v109, v109, v117
	s_waitcnt vmcnt(43) lgkmcnt(0)
	v_mul_f32_e32 v110, v105, v181
	v_add_f32_e32 v109, v109, v118
	s_waitcnt vmcnt(42)
	v_fmac_f32_e32 v110, v106, v182
	v_add_f32_e32 v113, v109, v110
	s_waitcnt vmcnt(41)
	v_mul_f32_e32 v114, v107, v183
	ds_read2_b64 v[109:112], v84 offset0:57 offset1:58
	buffer_load_dword v225, off, s[0:3], 0 offset:272
	buffer_load_dword v226, off, s[0:3], 0 offset:276
	s_waitcnt vmcnt(42)
	v_fmac_f32_e32 v114, v108, v184
	v_add_f32_e32 v117, v113, v114
	ds_read2_b64 v[113:116], v84 offset0:59 offset1:60
	buffer_load_dword v227, off, s[0:3], 0 offset:280
	buffer_load_dword v228, off, s[0:3], 0 offset:284
	;; [unrolled: 1-line block ×12, first 2 shown]
	v_mul_f32_e32 v86, v86, v161
	v_fma_f32 v85, v85, v171, -v86
	v_mul_f32_e32 v86, v88, v162
	v_add_f32_e32 v85, 0, v85
	v_fma_f32 v86, v87, v172, -v86
	v_add_f32_e32 v85, v85, v86
	v_mul_f32_e32 v86, v90, v163
	v_fma_f32 v86, v89, v173, -v86
	v_add_f32_e32 v85, v85, v86
	v_mul_f32_e32 v86, v92, v164
	v_fma_f32 v86, v91, v174, -v86
	s_waitcnt vmcnt(51) lgkmcnt(1)
	v_mul_f32_e32 v118, v109, v187
	v_add_f32_e32 v85, v85, v86
	v_mul_f32_e32 v86, v94, v165
	s_waitcnt vmcnt(50)
	v_fmac_f32_e32 v118, v110, v188
	v_fma_f32 v86, v93, v175, -v86
	v_add_f32_e32 v117, v117, v118
	s_waitcnt vmcnt(48)
	v_mul_f32_e32 v118, v111, v190
	v_add_f32_e32 v85, v85, v86
	v_mul_f32_e32 v86, v96, v166
	v_fmac_f32_e32 v118, v112, v189
	v_fma_f32 v86, v95, v176, -v86
	v_add_f32_e32 v117, v117, v118
	s_waitcnt vmcnt(46) lgkmcnt(0)
	v_mul_f32_e32 v118, v113, v192
	v_add_f32_e32 v85, v85, v86
	v_mul_f32_e32 v86, v98, v167
	v_fmac_f32_e32 v118, v114, v191
	v_fma_f32 v86, v97, v177, -v86
	v_add_f32_e32 v121, v117, v118
	ds_read2_b64 v[117:120], v84 offset0:61 offset1:62
	v_add_f32_e32 v85, v85, v86
	v_mul_f32_e32 v86, v100, v168
	v_fma_f32 v86, v99, v178, -v86
	s_waitcnt vmcnt(44)
	v_mul_f32_e32 v122, v115, v194
	v_add_f32_e32 v85, v85, v86
	v_mul_f32_e32 v86, v102, v169
	v_fmac_f32_e32 v122, v116, v193
	v_fma_f32 v86, v101, v179, -v86
	v_add_f32_e32 v125, v121, v122
	ds_read2_b64 v[121:124], v84 offset0:63 offset1:64
	v_add_f32_e32 v85, v85, v86
	v_mul_f32_e32 v86, v104, v170
	s_waitcnt vmcnt(42) lgkmcnt(1)
	v_mul_f32_e32 v126, v117, v196
	v_fma_f32 v86, v103, v180, -v86
	v_fmac_f32_e32 v126, v118, v195
	v_add_f32_e32 v85, v85, v86
	v_mul_f32_e32 v86, v106, v181
	v_add_f32_e32 v125, v125, v126
	s_waitcnt vmcnt(40)
	v_mul_f32_e32 v126, v119, v198
	v_fma_f32 v86, v105, v182, -v86
	v_fmac_f32_e32 v126, v120, v197
	v_add_f32_e32 v85, v85, v86
	v_mul_f32_e32 v86, v108, v183
	v_add_f32_e32 v125, v125, v126
	s_waitcnt vmcnt(38) lgkmcnt(0)
	v_mul_f32_e32 v126, v121, v200
	v_fma_f32 v86, v107, v184, -v86
	v_fmac_f32_e32 v126, v122, v199
	v_add_f32_e32 v85, v85, v86
	v_mul_f32_e32 v86, v110, v187
	v_add_f32_e32 v129, v125, v126
	ds_read2_b64 v[125:128], v84 offset0:65 offset1:66
	v_fma_f32 v86, v109, v188, -v86
	v_add_f32_e32 v85, v85, v86
	v_mul_f32_e32 v86, v112, v190
	s_waitcnt vmcnt(36)
	v_mul_f32_e32 v130, v123, v202
	v_fma_f32 v86, v111, v189, -v86
	v_fmac_f32_e32 v130, v124, v201
	v_add_f32_e32 v85, v85, v86
	v_mul_f32_e32 v86, v114, v192
	v_add_f32_e32 v133, v129, v130
	ds_read2_b64 v[129:132], v84 offset0:67 offset1:68
	v_fma_f32 v86, v113, v191, -v86
	s_waitcnt vmcnt(34) lgkmcnt(1)
	v_mul_f32_e32 v134, v125, v204
	v_add_f32_e32 v85, v85, v86
	v_mul_f32_e32 v86, v116, v194
	v_fmac_f32_e32 v134, v126, v203
	v_fma_f32 v86, v115, v193, -v86
	v_add_f32_e32 v133, v133, v134
	s_waitcnt vmcnt(32)
	v_mul_f32_e32 v134, v127, v206
	v_add_f32_e32 v85, v85, v86
	v_mul_f32_e32 v86, v118, v196
	v_fmac_f32_e32 v134, v128, v205
	v_fma_f32 v86, v117, v195, -v86
	v_add_f32_e32 v133, v133, v134
	s_waitcnt vmcnt(30) lgkmcnt(0)
	v_mul_f32_e32 v134, v129, v208
	v_add_f32_e32 v85, v85, v86
	v_mul_f32_e32 v86, v120, v198
	v_fmac_f32_e32 v134, v130, v207
	v_fma_f32 v86, v119, v197, -v86
	v_add_f32_e32 v137, v133, v134
	ds_read2_b64 v[133:136], v84 offset0:69 offset1:70
	v_add_f32_e32 v85, v85, v86
	v_mul_f32_e32 v86, v122, v200
	v_fma_f32 v86, v121, v199, -v86
	s_waitcnt vmcnt(28)
	v_mul_f32_e32 v138, v131, v210
	v_add_f32_e32 v85, v85, v86
	v_mul_f32_e32 v86, v124, v202
	v_fmac_f32_e32 v138, v132, v209
	v_fma_f32 v86, v123, v201, -v86
	v_add_f32_e32 v141, v137, v138
	ds_read2_b64 v[137:140], v84 offset0:71 offset1:72
	v_add_f32_e32 v85, v85, v86
	v_mul_f32_e32 v86, v126, v204
	s_waitcnt vmcnt(26) lgkmcnt(1)
	v_mul_f32_e32 v142, v133, v212
	v_fma_f32 v86, v125, v203, -v86
	v_fmac_f32_e32 v142, v134, v211
	v_add_f32_e32 v85, v85, v86
	v_mul_f32_e32 v86, v128, v206
	v_add_f32_e32 v141, v141, v142
	s_waitcnt vmcnt(25)
	v_mul_f32_e32 v142, v135, v213
	v_fma_f32 v86, v127, v205, -v86
	s_waitcnt vmcnt(24)
	v_fmac_f32_e32 v142, v136, v214
	v_add_f32_e32 v85, v85, v86
	v_mul_f32_e32 v86, v130, v208
	v_add_f32_e32 v141, v141, v142
	s_waitcnt vmcnt(22) lgkmcnt(0)
	v_mul_f32_e32 v142, v137, v216
	v_fma_f32 v86, v129, v207, -v86
	v_fmac_f32_e32 v142, v138, v215
	v_add_f32_e32 v85, v85, v86
	v_mul_f32_e32 v86, v132, v210
	v_add_f32_e32 v145, v141, v142
	ds_read2_b64 v[141:144], v84 offset0:73 offset1:74
	v_fma_f32 v86, v131, v209, -v86
	v_add_f32_e32 v85, v85, v86
	v_mul_f32_e32 v86, v134, v212
	s_waitcnt vmcnt(20)
	v_mul_f32_e32 v146, v139, v218
	v_fma_f32 v86, v133, v211, -v86
	v_fmac_f32_e32 v146, v140, v217
	v_add_f32_e32 v85, v85, v86
	v_mul_f32_e32 v86, v136, v213
	v_add_f32_e32 v149, v145, v146
	ds_read2_b64 v[145:148], v84 offset0:75 offset1:76
	v_fma_f32 v86, v135, v214, -v86
	s_waitcnt vmcnt(18) lgkmcnt(1)
	v_mul_f32_e32 v150, v141, v220
	v_add_f32_e32 v85, v85, v86
	v_mul_f32_e32 v86, v138, v216
	v_fmac_f32_e32 v150, v142, v219
	v_fma_f32 v86, v137, v215, -v86
	v_add_f32_e32 v149, v149, v150
	s_waitcnt vmcnt(17)
	v_mul_f32_e32 v150, v143, v221
	v_add_f32_e32 v85, v85, v86
	v_mul_f32_e32 v86, v140, v218
	s_waitcnt vmcnt(16)
	v_fmac_f32_e32 v150, v144, v222
	v_fma_f32 v86, v139, v217, -v86
	v_add_f32_e32 v149, v149, v150
	s_waitcnt vmcnt(14) lgkmcnt(0)
	v_mul_f32_e32 v150, v145, v224
	v_add_f32_e32 v85, v85, v86
	v_mul_f32_e32 v86, v142, v220
	v_fmac_f32_e32 v150, v146, v223
	v_fma_f32 v86, v141, v219, -v86
	v_add_f32_e32 v153, v149, v150
	ds_read2_b64 v[149:152], v84 offset0:77 offset1:78
	v_add_f32_e32 v85, v85, v86
	v_mul_f32_e32 v86, v144, v221
	v_fma_f32 v86, v143, v222, -v86
	v_add_f32_e32 v85, v85, v86
	v_mul_f32_e32 v86, v146, v224
	s_waitcnt vmcnt(12)
	v_mul_f32_e32 v154, v147, v226
	v_fma_f32 v86, v145, v223, -v86
	v_fmac_f32_e32 v154, v148, v225
	v_add_f32_e32 v85, v85, v86
	v_mul_f32_e32 v86, v148, v226
	v_add_f32_e32 v157, v153, v154
	ds_read2_b64 v[153:156], v84 offset0:79 offset1:80
	s_waitcnt vmcnt(10) lgkmcnt(1)
	v_mul_f32_e32 v158, v149, v228
	v_fma_f32 v86, v147, v225, -v86
	v_fmac_f32_e32 v158, v150, v227
	v_add_f32_e32 v85, v85, v86
	v_mul_f32_e32 v86, v150, v228
	v_add_f32_e32 v157, v157, v158
	s_waitcnt vmcnt(9)
	v_mul_f32_e32 v158, v151, v229
	v_fma_f32 v86, v149, v227, -v86
	s_waitcnt vmcnt(8)
	v_fmac_f32_e32 v158, v152, v230
	v_add_f32_e32 v85, v85, v86
	v_mul_f32_e32 v86, v152, v229
	v_add_f32_e32 v239, v157, v158
	ds_read2_b64 v[157:160], v84 offset0:81 offset1:82
	v_fma_f32 v86, v151, v230, -v86
	v_add_f32_e32 v85, v85, v86
	s_waitcnt vmcnt(6) lgkmcnt(1)
	v_mul_f32_e32 v86, v154, v232
	v_mul_f32_e32 v240, v153, v232
	v_fma_f32 v86, v153, v231, -v86
	v_fmac_f32_e32 v240, v154, v231
	v_add_f32_e32 v85, v85, v86
	s_waitcnt vmcnt(4)
	v_mul_f32_e32 v86, v156, v234
	v_add_f32_e32 v84, v239, v240
	v_mul_f32_e32 v239, v155, v234
	v_fma_f32 v86, v155, v233, -v86
	v_fmac_f32_e32 v239, v156, v233
	v_add_f32_e32 v85, v85, v86
	s_waitcnt vmcnt(3) lgkmcnt(0)
	v_mul_f32_e32 v86, v158, v235
	v_add_f32_e32 v84, v84, v239
	v_mul_f32_e32 v239, v157, v235
	s_waitcnt vmcnt(2)
	v_fma_f32 v86, v157, v236, -v86
	v_fmac_f32_e32 v239, v158, v236
	v_add_f32_e32 v85, v85, v86
	s_waitcnt vmcnt(0)
	v_mul_f32_e32 v86, v160, v238
	v_add_f32_e32 v84, v84, v239
	v_mul_f32_e32 v239, v159, v238
	v_fma_f32 v86, v159, v237, -v86
	v_fmac_f32_e32 v239, v160, v237
	v_add_f32_e32 v85, v85, v86
	v_add_f32_e32 v84, v84, v239
	v_sub_f32_e32 v85, v185, v85
	v_sub_f32_e32 v84, v186, v84
	buffer_store_dword v85, off, s[0:3], 0 offset:16
	buffer_store_dword v84, off, s[0:3], 0 offset:20
	s_and_saveexec_b64 s[4:5], vcc
	s_cbranch_execz .LBB104_257
; %bb.256:
	buffer_load_dword v84, off, s[0:3], 0 offset:8
	buffer_load_dword v85, off, s[0:3], 0 offset:12
	v_mov_b32_e32 v86, 0
	buffer_store_dword v86, off, s[0:3], 0 offset:8
	buffer_store_dword v86, off, s[0:3], 0 offset:12
	s_waitcnt vmcnt(2)
	ds_write_b64 v83, v[84:85]
.LBB104_257:
	s_or_b64 exec, exec, s[4:5]
	s_waitcnt lgkmcnt(0)
	; wave barrier
	buffer_load_dword v163, off, s[0:3], 0 offset:20
	buffer_load_dword v164, off, s[0:3], 0 offset:28
	;; [unrolled: 1-line block ×52, first 2 shown]
	v_mov_b32_e32 v84, 0
	ds_read_b128 v[85:88], v84 offset:352
	ds_read_b128 v[89:92], v84 offset:368
	;; [unrolled: 1-line block ×6, first 2 shown]
	buffer_load_dword v215, off, s[0:3], 0 offset:220
	buffer_load_dword v216, off, s[0:3], 0 offset:216
	buffer_load_dword v217, off, s[0:3], 0 offset:224
	buffer_load_dword v218, off, s[0:3], 0 offset:228
	buffer_load_dword v219, off, s[0:3], 0 offset:232
	buffer_load_dword v220, off, s[0:3], 0 offset:236
	buffer_load_dword v221, off, s[0:3], 0 offset:240
	buffer_load_dword v222, off, s[0:3], 0 offset:244
	v_cmp_ne_u32_e32 vcc, 0, v0
	s_waitcnt vmcnt(59) lgkmcnt(5)
	v_mul_f32_e32 v109, v85, v163
	s_waitcnt vmcnt(58)
	v_mul_f32_e32 v110, v87, v164
	s_waitcnt vmcnt(57) lgkmcnt(4)
	v_mul_f32_e32 v111, v89, v165
	s_waitcnt vmcnt(56)
	v_mul_f32_e32 v112, v91, v166
	;; [unrolled: 4-line block ×5, first 2 shown]
	s_waitcnt vmcnt(49) lgkmcnt(0)
	v_mul_f32_e32 v119, v105, v173
	s_waitcnt vmcnt(48)
	v_fmac_f32_e32 v109, v86, v174
	s_waitcnt vmcnt(47)
	v_fmac_f32_e32 v110, v88, v175
	v_add_f32_e32 v109, 0, v109
	s_waitcnt vmcnt(46)
	v_fmac_f32_e32 v111, v90, v176
	v_add_f32_e32 v109, v109, v110
	;; [unrolled: 3-line block ×9, first 2 shown]
	v_add_f32_e32 v109, v109, v118
	s_waitcnt vmcnt(38)
	v_fmac_f32_e32 v119, v106, v184
	s_waitcnt vmcnt(37)
	v_mul_f32_e32 v110, v107, v185
	v_add_f32_e32 v109, v109, v119
	s_waitcnt vmcnt(36)
	v_fmac_f32_e32 v110, v108, v186
	v_add_f32_e32 v117, v109, v110
	ds_read_b128 v[109:112], v84 offset:448
	buffer_load_dword v223, off, s[0:3], 0 offset:252
	buffer_load_dword v224, off, s[0:3], 0 offset:248
	;; [unrolled: 1-line block ×4, first 2 shown]
	ds_read_b128 v[113:116], v84 offset:464
	buffer_load_dword v227, off, s[0:3], 0 offset:264
	buffer_load_dword v228, off, s[0:3], 0 offset:268
	;; [unrolled: 1-line block ×10, first 2 shown]
	s_waitcnt vmcnt(46) lgkmcnt(1)
	v_mul_f32_e32 v118, v109, v190
	v_fmac_f32_e32 v118, v110, v189
	v_add_f32_e32 v117, v117, v118
	s_waitcnt vmcnt(44)
	v_mul_f32_e32 v118, v111, v192
	buffer_load_dword v237, off, s[0:3], 0 offset:304
	buffer_load_dword v238, off, s[0:3], 0 offset:308
	v_fmac_f32_e32 v118, v112, v191
	v_add_f32_e32 v117, v117, v118
	s_waitcnt vmcnt(44) lgkmcnt(0)
	v_mul_f32_e32 v118, v113, v194
	v_fmac_f32_e32 v118, v114, v193
	v_add_f32_e32 v121, v117, v118
	ds_read_b128 v[117:120], v84 offset:480
	buffer_load_dword v239, off, s[0:3], 0 offset:316
	buffer_load_dword v240, off, s[0:3], 0 offset:312
	;; [unrolled: 1-line block ×4, first 2 shown]
	v_mul_f32_e32 v86, v86, v163
	v_fma_f32 v85, v85, v174, -v86
	v_mul_f32_e32 v86, v88, v164
	v_add_f32_e32 v85, 0, v85
	v_fma_f32 v86, v87, v175, -v86
	v_add_f32_e32 v85, v85, v86
	v_mul_f32_e32 v86, v90, v165
	v_fma_f32 v86, v89, v176, -v86
	v_add_f32_e32 v85, v85, v86
	v_mul_f32_e32 v86, v92, v166
	;; [unrolled: 3-line block ×5, first 2 shown]
	v_fma_f32 v86, v97, v180, -v86
	s_waitcnt vmcnt(46)
	v_mul_f32_e32 v122, v115, v196
	v_add_f32_e32 v85, v85, v86
	v_mul_f32_e32 v86, v100, v170
	v_fmac_f32_e32 v122, v116, v195
	v_fma_f32 v86, v99, v181, -v86
	v_add_f32_e32 v125, v121, v122
	ds_read_b128 v[121:124], v84 offset:496
	v_add_f32_e32 v85, v85, v86
	v_mul_f32_e32 v86, v102, v171
	s_waitcnt vmcnt(44) lgkmcnt(1)
	v_mul_f32_e32 v126, v117, v198
	v_fma_f32 v86, v101, v182, -v86
	v_fmac_f32_e32 v126, v118, v197
	v_add_f32_e32 v85, v85, v86
	v_mul_f32_e32 v86, v104, v172
	v_add_f32_e32 v125, v125, v126
	s_waitcnt vmcnt(42)
	v_mul_f32_e32 v126, v119, v200
	v_fma_f32 v86, v103, v183, -v86
	v_fmac_f32_e32 v126, v120, v199
	v_add_f32_e32 v85, v85, v86
	v_mul_f32_e32 v86, v106, v173
	v_add_f32_e32 v125, v125, v126
	s_waitcnt vmcnt(40) lgkmcnt(0)
	v_mul_f32_e32 v126, v121, v202
	v_fma_f32 v86, v105, v184, -v86
	v_fmac_f32_e32 v126, v122, v201
	v_add_f32_e32 v85, v85, v86
	v_mul_f32_e32 v86, v108, v185
	v_add_f32_e32 v129, v125, v126
	ds_read_b128 v[125:128], v84 offset:512
	v_fma_f32 v86, v107, v186, -v86
	v_add_f32_e32 v85, v85, v86
	v_mul_f32_e32 v86, v110, v190
	s_waitcnt vmcnt(38)
	v_mul_f32_e32 v130, v123, v204
	v_fma_f32 v86, v109, v189, -v86
	v_fmac_f32_e32 v130, v124, v203
	v_add_f32_e32 v85, v85, v86
	v_mul_f32_e32 v86, v112, v192
	v_add_f32_e32 v133, v129, v130
	ds_read_b128 v[129:132], v84 offset:528
	v_fma_f32 v86, v111, v191, -v86
	s_waitcnt vmcnt(36) lgkmcnt(1)
	v_mul_f32_e32 v134, v125, v206
	v_add_f32_e32 v85, v85, v86
	v_mul_f32_e32 v86, v114, v194
	v_fmac_f32_e32 v134, v126, v205
	v_fma_f32 v86, v113, v193, -v86
	v_add_f32_e32 v133, v133, v134
	s_waitcnt vmcnt(34)
	v_mul_f32_e32 v134, v127, v208
	v_add_f32_e32 v85, v85, v86
	v_mul_f32_e32 v86, v116, v196
	v_fmac_f32_e32 v134, v128, v207
	v_fma_f32 v86, v115, v195, -v86
	v_add_f32_e32 v133, v133, v134
	s_waitcnt vmcnt(32) lgkmcnt(0)
	v_mul_f32_e32 v134, v129, v210
	v_add_f32_e32 v85, v85, v86
	v_mul_f32_e32 v86, v118, v198
	v_fmac_f32_e32 v134, v130, v209
	v_fma_f32 v86, v117, v197, -v86
	v_add_f32_e32 v137, v133, v134
	ds_read_b128 v[133:136], v84 offset:544
	v_add_f32_e32 v85, v85, v86
	v_mul_f32_e32 v86, v120, v200
	v_fma_f32 v86, v119, v199, -v86
	s_waitcnt vmcnt(30)
	v_mul_f32_e32 v138, v131, v212
	v_add_f32_e32 v85, v85, v86
	v_mul_f32_e32 v86, v122, v202
	v_fmac_f32_e32 v138, v132, v211
	v_fma_f32 v86, v121, v201, -v86
	v_add_f32_e32 v141, v137, v138
	ds_read_b128 v[137:140], v84 offset:560
	v_add_f32_e32 v85, v85, v86
	v_mul_f32_e32 v86, v124, v204
	s_waitcnt vmcnt(28) lgkmcnt(1)
	v_mul_f32_e32 v142, v133, v214
	v_fma_f32 v86, v123, v203, -v86
	v_fmac_f32_e32 v142, v134, v213
	v_add_f32_e32 v85, v85, v86
	v_mul_f32_e32 v86, v126, v206
	v_add_f32_e32 v141, v141, v142
	s_waitcnt vmcnt(27)
	v_mul_f32_e32 v142, v135, v215
	v_fma_f32 v86, v125, v205, -v86
	s_waitcnt vmcnt(26)
	v_fmac_f32_e32 v142, v136, v216
	v_add_f32_e32 v85, v85, v86
	v_mul_f32_e32 v86, v128, v208
	v_add_f32_e32 v141, v141, v142
	s_waitcnt vmcnt(24) lgkmcnt(0)
	v_mul_f32_e32 v142, v137, v218
	v_fma_f32 v86, v127, v207, -v86
	v_fmac_f32_e32 v142, v138, v217
	v_add_f32_e32 v85, v85, v86
	v_mul_f32_e32 v86, v130, v210
	v_add_f32_e32 v145, v141, v142
	ds_read_b128 v[141:144], v84 offset:576
	v_fma_f32 v86, v129, v209, -v86
	v_add_f32_e32 v85, v85, v86
	v_mul_f32_e32 v86, v132, v212
	s_waitcnt vmcnt(22)
	v_mul_f32_e32 v146, v139, v220
	v_fma_f32 v86, v131, v211, -v86
	v_fmac_f32_e32 v146, v140, v219
	v_add_f32_e32 v85, v85, v86
	v_mul_f32_e32 v86, v134, v214
	v_add_f32_e32 v149, v145, v146
	ds_read_b128 v[145:148], v84 offset:592
	v_fma_f32 v86, v133, v213, -v86
	s_waitcnt vmcnt(20) lgkmcnt(1)
	v_mul_f32_e32 v150, v141, v222
	v_add_f32_e32 v85, v85, v86
	v_mul_f32_e32 v86, v136, v215
	v_fmac_f32_e32 v150, v142, v221
	v_fma_f32 v86, v135, v216, -v86
	v_add_f32_e32 v149, v149, v150
	s_waitcnt vmcnt(19)
	v_mul_f32_e32 v150, v143, v223
	v_add_f32_e32 v85, v85, v86
	v_mul_f32_e32 v86, v138, v218
	s_waitcnt vmcnt(18)
	v_fmac_f32_e32 v150, v144, v224
	v_fma_f32 v86, v137, v217, -v86
	v_add_f32_e32 v149, v149, v150
	s_waitcnt vmcnt(16) lgkmcnt(0)
	v_mul_f32_e32 v150, v145, v226
	v_add_f32_e32 v85, v85, v86
	v_mul_f32_e32 v86, v140, v220
	v_fmac_f32_e32 v150, v146, v225
	v_fma_f32 v86, v139, v219, -v86
	v_add_f32_e32 v153, v149, v150
	ds_read_b128 v[149:152], v84 offset:608
	v_add_f32_e32 v85, v85, v86
	v_mul_f32_e32 v86, v142, v222
	v_fma_f32 v86, v141, v221, -v86
	s_waitcnt vmcnt(14)
	v_mul_f32_e32 v154, v147, v228
	v_add_f32_e32 v85, v85, v86
	v_mul_f32_e32 v86, v144, v223
	v_fmac_f32_e32 v154, v148, v227
	v_fma_f32 v86, v143, v224, -v86
	v_add_f32_e32 v157, v153, v154
	ds_read_b128 v[153:156], v84 offset:624
	v_add_f32_e32 v85, v85, v86
	v_mul_f32_e32 v86, v146, v226
	s_waitcnt vmcnt(12) lgkmcnt(1)
	v_mul_f32_e32 v158, v149, v230
	v_fma_f32 v86, v145, v225, -v86
	v_fmac_f32_e32 v158, v150, v229
	v_add_f32_e32 v85, v85, v86
	v_mul_f32_e32 v86, v148, v228
	v_add_f32_e32 v157, v157, v158
	s_waitcnt vmcnt(11)
	v_mul_f32_e32 v158, v151, v231
	v_fma_f32 v86, v147, v227, -v86
	s_waitcnt vmcnt(10)
	v_fmac_f32_e32 v158, v152, v232
	v_add_f32_e32 v85, v85, v86
	v_mul_f32_e32 v86, v150, v230
	v_add_f32_e32 v157, v157, v158
	s_waitcnt vmcnt(8) lgkmcnt(0)
	v_mul_f32_e32 v158, v153, v234
	v_fma_f32 v86, v149, v229, -v86
	v_fmac_f32_e32 v158, v154, v233
	v_add_f32_e32 v85, v85, v86
	v_mul_f32_e32 v86, v152, v231
	v_add_f32_e32 v161, v157, v158
	ds_read_b128 v[157:160], v84 offset:640
	v_fma_f32 v86, v151, v232, -v86
	v_add_f32_e32 v85, v85, v86
	v_mul_f32_e32 v86, v154, v234
	s_waitcnt vmcnt(6)
	v_mul_f32_e32 v162, v155, v236
	v_fma_f32 v86, v153, v233, -v86
	v_fmac_f32_e32 v162, v156, v235
	v_add_f32_e32 v85, v85, v86
	v_mul_f32_e32 v86, v156, v236
	v_add_f32_e32 v243, v161, v162
	ds_read_b64 v[161:162], v84 offset:656
	v_fma_f32 v86, v155, v235, -v86
	v_add_f32_e32 v85, v85, v86
	s_waitcnt vmcnt(4) lgkmcnt(1)
	v_mul_f32_e32 v86, v158, v238
	v_mul_f32_e32 v244, v157, v238
	v_fma_f32 v86, v157, v237, -v86
	v_fmac_f32_e32 v244, v158, v237
	v_add_f32_e32 v85, v85, v86
	s_waitcnt vmcnt(3)
	v_mul_f32_e32 v86, v160, v239
	v_add_f32_e32 v243, v243, v244
	v_mul_f32_e32 v244, v159, v239
	s_waitcnt vmcnt(2)
	v_fma_f32 v86, v159, v240, -v86
	v_fmac_f32_e32 v244, v160, v240
	v_add_f32_e32 v85, v85, v86
	s_waitcnt vmcnt(0) lgkmcnt(0)
	v_mul_f32_e32 v86, v162, v242
	v_add_f32_e32 v243, v243, v244
	v_mul_f32_e32 v244, v161, v242
	v_fma_f32 v86, v161, v241, -v86
	v_fmac_f32_e32 v244, v162, v241
	v_add_f32_e32 v85, v85, v86
	v_add_f32_e32 v243, v243, v244
	v_sub_f32_e32 v85, v187, v85
	v_sub_f32_e32 v86, v188, v243
	buffer_store_dword v85, off, s[0:3], 0 offset:8
	buffer_store_dword v86, off, s[0:3], 0 offset:12
	s_and_saveexec_b64 s[4:5], vcc
	s_cbranch_execz .LBB104_259
; %bb.258:
	buffer_load_dword v85, off, s[0:3], 0
	buffer_load_dword v86, off, s[0:3], 0 offset:4
	s_waitcnt vmcnt(0)
	ds_write_b64 v83, v[85:86]
	buffer_store_dword v84, off, s[0:3], 0
	buffer_store_dword v84, off, s[0:3], 0 offset:4
.LBB104_259:
	s_or_b64 exec, exec, s[4:5]
	s_waitcnt lgkmcnt(0)
	; wave barrier
	buffer_load_dword v0, off, s[0:3], 0 offset:12
	buffer_load_dword v83, off, s[0:3], 0 offset:20
	;; [unrolled: 1-line block ×25, first 2 shown]
	buffer_load_dword v188, off, s[0:3], 0
	buffer_load_dword v189, off, s[0:3], 0 offset:4
	buffer_load_dword v190, off, s[0:3], 0 offset:104
	ds_read2_b64 v[85:88], v84 offset0:43 offset1:44
	ds_read2_b64 v[89:92], v84 offset0:45 offset1:46
	;; [unrolled: 1-line block ×4, first 2 shown]
	buffer_load_dword v191, off, s[0:3], 0 offset:112
	buffer_load_dword v192, off, s[0:3], 0 offset:116
	ds_read2_b64 v[101:104], v84 offset0:51 offset1:52
	ds_read2_b64 v[105:108], v84 offset0:53 offset1:54
	buffer_load_dword v193, off, s[0:3], 0 offset:120
	buffer_load_dword v194, off, s[0:3], 0 offset:124
	;; [unrolled: 1-line block ×28, first 2 shown]
	s_and_b64 vcc, exec, s[14:15]
	s_waitcnt vmcnt(57) lgkmcnt(5)
	v_mul_f32_e32 v109, v85, v0
	s_waitcnt vmcnt(56)
	v_mul_f32_e32 v110, v87, v83
	s_waitcnt vmcnt(55) lgkmcnt(4)
	v_mul_f32_e32 v111, v89, v165
	s_waitcnt vmcnt(54)
	v_mul_f32_e32 v112, v91, v166
	;; [unrolled: 4-line block ×5, first 2 shown]
	s_waitcnt vmcnt(47) lgkmcnt(0)
	v_mul_f32_e32 v119, v105, v173
	s_waitcnt vmcnt(46)
	v_fmac_f32_e32 v109, v86, v174
	s_waitcnt vmcnt(45)
	v_fmac_f32_e32 v110, v88, v175
	v_add_f32_e32 v109, 0, v109
	s_waitcnt vmcnt(44)
	v_fmac_f32_e32 v111, v90, v176
	v_add_f32_e32 v109, v109, v110
	;; [unrolled: 3-line block ×10, first 2 shown]
	v_add_f32_e32 v113, v109, v119
	ds_read2_b64 v[109:112], v84 offset0:55 offset1:56
	buffer_load_dword v221, off, s[0:3], 0 offset:232
	buffer_load_dword v222, off, s[0:3], 0 offset:236
	s_waitcnt vmcnt(37)
	v_mul_f32_e32 v114, v107, v185
	s_waitcnt vmcnt(36)
	v_fmac_f32_e32 v114, v108, v186
	v_add_f32_e32 v117, v113, v114
	ds_read2_b64 v[113:116], v84 offset0:57 offset1:58
	buffer_load_dword v223, off, s[0:3], 0 offset:244
	buffer_load_dword v224, off, s[0:3], 0 offset:240
	;; [unrolled: 1-line block ×12, first 2 shown]
	s_waitcnt vmcnt(47) lgkmcnt(1)
	v_mul_f32_e32 v118, v109, v187
	s_waitcnt vmcnt(44)
	v_fmac_f32_e32 v118, v110, v190
	buffer_load_dword v235, off, s[0:3], 0 offset:288
	buffer_load_dword v236, off, s[0:3], 0 offset:292
	v_add_f32_e32 v117, v117, v118
	s_waitcnt vmcnt(44)
	v_mul_f32_e32 v118, v111, v192
	v_fmac_f32_e32 v118, v112, v191
	v_add_f32_e32 v117, v117, v118
	s_waitcnt vmcnt(42) lgkmcnt(0)
	v_mul_f32_e32 v118, v113, v194
	buffer_load_dword v237, off, s[0:3], 0 offset:296
	buffer_load_dword v238, off, s[0:3], 0 offset:300
	v_fmac_f32_e32 v118, v114, v193
	v_add_f32_e32 v117, v117, v118
	s_waitcnt vmcnt(42)
	v_mul_f32_e32 v118, v115, v196
	v_fmac_f32_e32 v118, v116, v195
	v_add_f32_e32 v125, v117, v118
	ds_read2_b64 v[117:120], v84 offset0:59 offset1:60
	buffer_load_dword v239, off, s[0:3], 0 offset:308
	buffer_load_dword v240, off, s[0:3], 0 offset:304
	buffer_load_dword v241, off, s[0:3], 0 offset:312
	buffer_load_dword v242, off, s[0:3], 0 offset:316
	ds_read2_b64 v[121:124], v84 offset0:61 offset1:62
	buffer_load_dword v243, off, s[0:3], 0 offset:320
	buffer_load_dword v244, off, s[0:3], 0 offset:324
	v_mul_f32_e32 v0, v86, v0
	v_fma_f32 v0, v85, v174, -v0
	v_mul_f32_e32 v83, v88, v83
	v_add_f32_e32 v0, 0, v0
	v_fma_f32 v83, v87, v175, -v83
	v_add_f32_e32 v0, v0, v83
	v_mul_f32_e32 v83, v90, v165
	v_fma_f32 v83, v89, v176, -v83
	v_add_f32_e32 v0, v0, v83
	v_mul_f32_e32 v83, v92, v166
	;; [unrolled: 3-line block ×7, first 2 shown]
	s_waitcnt vmcnt(46) lgkmcnt(1)
	v_mul_f32_e32 v126, v117, v198
	v_fma_f32 v83, v101, v182, -v83
	v_fmac_f32_e32 v126, v118, v197
	v_add_f32_e32 v0, v0, v83
	v_mul_f32_e32 v83, v104, v172
	v_add_f32_e32 v125, v125, v126
	s_waitcnt vmcnt(44)
	v_mul_f32_e32 v126, v119, v200
	v_fma_f32 v83, v103, v183, -v83
	v_fmac_f32_e32 v126, v120, v199
	v_add_f32_e32 v0, v0, v83
	v_mul_f32_e32 v83, v106, v173
	v_add_f32_e32 v125, v125, v126
	s_waitcnt vmcnt(42) lgkmcnt(0)
	v_mul_f32_e32 v126, v121, v202
	v_fma_f32 v83, v105, v184, -v83
	v_fmac_f32_e32 v126, v122, v201
	v_add_f32_e32 v0, v0, v83
	v_mul_f32_e32 v83, v108, v185
	v_add_f32_e32 v129, v125, v126
	ds_read2_b64 v[125:128], v84 offset0:63 offset1:64
	v_fma_f32 v83, v107, v186, -v83
	v_add_f32_e32 v0, v0, v83
	v_mul_f32_e32 v83, v110, v187
	s_waitcnt vmcnt(40)
	v_mul_f32_e32 v130, v123, v204
	v_fma_f32 v83, v109, v190, -v83
	v_fmac_f32_e32 v130, v124, v203
	v_add_f32_e32 v0, v0, v83
	v_mul_f32_e32 v83, v112, v192
	v_add_f32_e32 v133, v129, v130
	ds_read2_b64 v[129:132], v84 offset0:65 offset1:66
	v_fma_f32 v83, v111, v191, -v83
	s_waitcnt vmcnt(38) lgkmcnt(1)
	v_mul_f32_e32 v134, v125, v206
	v_add_f32_e32 v0, v0, v83
	v_mul_f32_e32 v83, v114, v194
	v_fmac_f32_e32 v134, v126, v205
	v_fma_f32 v83, v113, v193, -v83
	v_add_f32_e32 v133, v133, v134
	s_waitcnt vmcnt(36)
	v_mul_f32_e32 v134, v127, v208
	v_add_f32_e32 v0, v0, v83
	v_mul_f32_e32 v83, v116, v196
	v_fmac_f32_e32 v134, v128, v207
	v_fma_f32 v83, v115, v195, -v83
	v_add_f32_e32 v133, v133, v134
	s_waitcnt vmcnt(34) lgkmcnt(0)
	v_mul_f32_e32 v134, v129, v210
	v_add_f32_e32 v0, v0, v83
	v_mul_f32_e32 v83, v118, v198
	v_fmac_f32_e32 v134, v130, v209
	v_fma_f32 v83, v117, v197, -v83
	v_add_f32_e32 v137, v133, v134
	ds_read2_b64 v[133:136], v84 offset0:67 offset1:68
	v_add_f32_e32 v0, v0, v83
	v_mul_f32_e32 v83, v120, v200
	v_fma_f32 v83, v119, v199, -v83
	s_waitcnt vmcnt(32)
	v_mul_f32_e32 v138, v131, v212
	v_add_f32_e32 v0, v0, v83
	v_mul_f32_e32 v83, v122, v202
	v_fmac_f32_e32 v138, v132, v211
	v_fma_f32 v83, v121, v201, -v83
	v_add_f32_e32 v141, v137, v138
	ds_read2_b64 v[137:140], v84 offset0:69 offset1:70
	v_add_f32_e32 v0, v0, v83
	v_mul_f32_e32 v83, v124, v204
	s_waitcnt vmcnt(30) lgkmcnt(1)
	v_mul_f32_e32 v142, v133, v214
	v_fma_f32 v83, v123, v203, -v83
	v_fmac_f32_e32 v142, v134, v213
	v_add_f32_e32 v0, v0, v83
	v_mul_f32_e32 v83, v126, v206
	v_add_f32_e32 v141, v141, v142
	s_waitcnt vmcnt(29)
	v_mul_f32_e32 v142, v135, v215
	v_fma_f32 v83, v125, v205, -v83
	s_waitcnt vmcnt(28)
	v_fmac_f32_e32 v142, v136, v216
	v_add_f32_e32 v0, v0, v83
	v_mul_f32_e32 v83, v128, v208
	v_add_f32_e32 v141, v141, v142
	s_waitcnt vmcnt(26) lgkmcnt(0)
	v_mul_f32_e32 v142, v137, v218
	v_fma_f32 v83, v127, v207, -v83
	v_fmac_f32_e32 v142, v138, v217
	v_add_f32_e32 v0, v0, v83
	v_mul_f32_e32 v83, v130, v210
	v_add_f32_e32 v145, v141, v142
	ds_read2_b64 v[141:144], v84 offset0:71 offset1:72
	v_fma_f32 v83, v129, v209, -v83
	v_add_f32_e32 v0, v0, v83
	v_mul_f32_e32 v83, v132, v212
	s_waitcnt vmcnt(24)
	v_mul_f32_e32 v146, v139, v220
	v_fma_f32 v83, v131, v211, -v83
	v_fmac_f32_e32 v146, v140, v219
	v_add_f32_e32 v0, v0, v83
	v_mul_f32_e32 v83, v134, v214
	v_add_f32_e32 v149, v145, v146
	ds_read2_b64 v[145:148], v84 offset0:73 offset1:74
	v_fma_f32 v83, v133, v213, -v83
	s_waitcnt vmcnt(22) lgkmcnt(1)
	v_mul_f32_e32 v150, v141, v222
	v_add_f32_e32 v0, v0, v83
	v_mul_f32_e32 v83, v136, v215
	v_fmac_f32_e32 v150, v142, v221
	v_fma_f32 v83, v135, v216, -v83
	v_add_f32_e32 v149, v149, v150
	s_waitcnt vmcnt(21)
	v_mul_f32_e32 v150, v143, v223
	v_add_f32_e32 v0, v0, v83
	v_mul_f32_e32 v83, v138, v218
	s_waitcnt vmcnt(20)
	v_fmac_f32_e32 v150, v144, v224
	v_fma_f32 v83, v137, v217, -v83
	v_add_f32_e32 v149, v149, v150
	s_waitcnt vmcnt(18) lgkmcnt(0)
	v_mul_f32_e32 v150, v145, v226
	v_add_f32_e32 v0, v0, v83
	v_mul_f32_e32 v83, v140, v220
	v_fmac_f32_e32 v150, v146, v225
	v_fma_f32 v83, v139, v219, -v83
	v_add_f32_e32 v153, v149, v150
	ds_read2_b64 v[149:152], v84 offset0:75 offset1:76
	v_add_f32_e32 v0, v0, v83
	v_mul_f32_e32 v83, v142, v222
	v_fma_f32 v83, v141, v221, -v83
	s_waitcnt vmcnt(16)
	v_mul_f32_e32 v154, v147, v228
	v_add_f32_e32 v0, v0, v83
	v_mul_f32_e32 v83, v144, v223
	v_fmac_f32_e32 v154, v148, v227
	v_fma_f32 v83, v143, v224, -v83
	v_add_f32_e32 v157, v153, v154
	ds_read2_b64 v[153:156], v84 offset0:77 offset1:78
	v_add_f32_e32 v0, v0, v83
	v_mul_f32_e32 v83, v146, v226
	s_waitcnt vmcnt(14) lgkmcnt(1)
	v_mul_f32_e32 v158, v149, v230
	v_fma_f32 v83, v145, v225, -v83
	v_fmac_f32_e32 v158, v150, v229
	v_add_f32_e32 v0, v0, v83
	v_mul_f32_e32 v83, v148, v228
	v_add_f32_e32 v157, v157, v158
	s_waitcnt vmcnt(13)
	v_mul_f32_e32 v158, v151, v231
	v_fma_f32 v83, v147, v227, -v83
	s_waitcnt vmcnt(12)
	v_fmac_f32_e32 v158, v152, v232
	v_add_f32_e32 v0, v0, v83
	v_mul_f32_e32 v83, v150, v230
	v_add_f32_e32 v157, v157, v158
	s_waitcnt vmcnt(10) lgkmcnt(0)
	v_mul_f32_e32 v158, v153, v234
	v_fma_f32 v83, v149, v229, -v83
	v_fmac_f32_e32 v158, v154, v233
	v_add_f32_e32 v0, v0, v83
	v_mul_f32_e32 v83, v152, v231
	v_add_f32_e32 v161, v157, v158
	ds_read2_b64 v[157:160], v84 offset0:79 offset1:80
	v_fma_f32 v83, v151, v232, -v83
	v_add_f32_e32 v0, v0, v83
	v_mul_f32_e32 v83, v154, v234
	s_waitcnt vmcnt(8)
	v_mul_f32_e32 v162, v155, v236
	v_fma_f32 v83, v153, v233, -v83
	v_fmac_f32_e32 v162, v156, v235
	v_add_f32_e32 v0, v0, v83
	v_mul_f32_e32 v83, v156, v236
	v_add_f32_e32 v245, v161, v162
	ds_read2_b64 v[161:164], v84 offset0:81 offset1:82
	v_fma_f32 v83, v155, v235, -v83
	v_add_f32_e32 v0, v0, v83
	s_waitcnt vmcnt(6) lgkmcnt(1)
	v_mul_f32_e32 v83, v158, v238
	v_mul_f32_e32 v84, v157, v238
	v_fma_f32 v83, v157, v237, -v83
	v_fmac_f32_e32 v84, v158, v237
	v_add_f32_e32 v0, v0, v83
	s_waitcnt vmcnt(5)
	v_mul_f32_e32 v83, v160, v239
	v_add_f32_e32 v84, v245, v84
	v_mul_f32_e32 v245, v159, v239
	s_waitcnt vmcnt(4)
	v_fma_f32 v83, v159, v240, -v83
	v_fmac_f32_e32 v245, v160, v240
	v_add_f32_e32 v0, v0, v83
	s_waitcnt vmcnt(2) lgkmcnt(0)
	v_mul_f32_e32 v83, v162, v242
	v_add_f32_e32 v84, v84, v245
	v_mul_f32_e32 v245, v161, v242
	v_fma_f32 v83, v161, v241, -v83
	v_fmac_f32_e32 v245, v162, v241
	v_add_f32_e32 v0, v0, v83
	s_waitcnt vmcnt(0)
	v_mul_f32_e32 v83, v164, v244
	v_add_f32_e32 v84, v84, v245
	v_mul_f32_e32 v245, v163, v244
	v_fma_f32 v83, v163, v243, -v83
	v_fmac_f32_e32 v245, v164, v243
	v_add_f32_e32 v0, v0, v83
	v_add_f32_e32 v84, v84, v245
	v_sub_f32_e32 v0, v188, v0
	v_sub_f32_e32 v83, v189, v84
	buffer_store_dword v0, off, s[0:3], 0
	buffer_store_dword v83, off, s[0:3], 0 offset:4
	s_cbranch_vccz .LBB104_340
; %bb.260:
	v_mov_b32_e32 v0, 0
	global_load_dword v83, v0, s[12:13] offset:156
	s_waitcnt vmcnt(0)
	v_add_u32_e32 v83, -1, v83
	v_cmp_ne_u32_e32 vcc, 39, v83
	s_cbranch_vccz .LBB104_262
; %bb.261:
	v_lshlrev_b32_e32 v83, 3, v83
	buffer_load_dword v84, v83, s[0:3], 0 offen
	buffer_load_dword v85, v83, s[0:3], 0 offen offset:4
	buffer_load_dword v86, off, s[0:3], 0 offset:312
	buffer_load_dword v87, off, s[0:3], 0 offset:316
	s_waitcnt vmcnt(3)
	buffer_store_dword v84, off, s[0:3], 0 offset:312
	s_waitcnt vmcnt(3)
	buffer_store_dword v85, off, s[0:3], 0 offset:316
	s_waitcnt vmcnt(3)
	buffer_store_dword v86, v83, s[0:3], 0 offen
	s_waitcnt vmcnt(3)
	buffer_store_dword v87, v83, s[0:3], 0 offen offset:4
.LBB104_262:
	global_load_dword v0, v0, s[12:13] offset:152
	s_waitcnt vmcnt(0)
	v_add_u32_e32 v0, -1, v0
	v_cmp_eq_u32_e32 vcc, 38, v0
	s_cbranch_vccnz .LBB104_264
; %bb.263:
	v_lshlrev_b32_e32 v0, 3, v0
	buffer_load_dword v83, v0, s[0:3], 0 offen
	buffer_load_dword v84, v0, s[0:3], 0 offen offset:4
	buffer_load_dword v85, off, s[0:3], 0 offset:308
	buffer_load_dword v86, off, s[0:3], 0 offset:304
	s_waitcnt vmcnt(3)
	buffer_store_dword v83, off, s[0:3], 0 offset:304
	s_waitcnt vmcnt(3)
	buffer_store_dword v84, off, s[0:3], 0 offset:308
	s_waitcnt vmcnt(3)
	buffer_store_dword v85, v0, s[0:3], 0 offen offset:4
	s_waitcnt vmcnt(3)
	buffer_store_dword v86, v0, s[0:3], 0 offen
.LBB104_264:
	v_mov_b32_e32 v0, 0
	global_load_dword v83, v0, s[12:13] offset:148
	s_waitcnt vmcnt(0)
	v_add_u32_e32 v83, -1, v83
	v_cmp_eq_u32_e32 vcc, 37, v83
	s_cbranch_vccnz .LBB104_266
; %bb.265:
	v_lshlrev_b32_e32 v83, 3, v83
	buffer_load_dword v84, v83, s[0:3], 0 offen
	buffer_load_dword v85, v83, s[0:3], 0 offen offset:4
	buffer_load_dword v86, off, s[0:3], 0 offset:296
	buffer_load_dword v87, off, s[0:3], 0 offset:300
	s_waitcnt vmcnt(3)
	buffer_store_dword v84, off, s[0:3], 0 offset:296
	s_waitcnt vmcnt(3)
	buffer_store_dword v85, off, s[0:3], 0 offset:300
	s_waitcnt vmcnt(3)
	buffer_store_dword v86, v83, s[0:3], 0 offen
	s_waitcnt vmcnt(3)
	buffer_store_dword v87, v83, s[0:3], 0 offen offset:4
.LBB104_266:
	global_load_dword v0, v0, s[12:13] offset:144
	s_waitcnt vmcnt(0)
	v_add_u32_e32 v0, -1, v0
	v_cmp_eq_u32_e32 vcc, 36, v0
	s_cbranch_vccnz .LBB104_268
; %bb.267:
	v_lshlrev_b32_e32 v0, 3, v0
	buffer_load_dword v83, v0, s[0:3], 0 offen
	buffer_load_dword v84, v0, s[0:3], 0 offen offset:4
	buffer_load_dword v85, off, s[0:3], 0 offset:292
	buffer_load_dword v86, off, s[0:3], 0 offset:288
	s_waitcnt vmcnt(3)
	buffer_store_dword v83, off, s[0:3], 0 offset:288
	s_waitcnt vmcnt(3)
	buffer_store_dword v84, off, s[0:3], 0 offset:292
	s_waitcnt vmcnt(3)
	buffer_store_dword v85, v0, s[0:3], 0 offen offset:4
	s_waitcnt vmcnt(3)
	buffer_store_dword v86, v0, s[0:3], 0 offen
.LBB104_268:
	v_mov_b32_e32 v0, 0
	global_load_dword v83, v0, s[12:13] offset:140
	s_waitcnt vmcnt(0)
	v_add_u32_e32 v83, -1, v83
	v_cmp_eq_u32_e32 vcc, 35, v83
	s_cbranch_vccnz .LBB104_270
; %bb.269:
	v_lshlrev_b32_e32 v83, 3, v83
	buffer_load_dword v84, v83, s[0:3], 0 offen
	buffer_load_dword v85, v83, s[0:3], 0 offen offset:4
	buffer_load_dword v86, off, s[0:3], 0 offset:280
	buffer_load_dword v87, off, s[0:3], 0 offset:284
	s_waitcnt vmcnt(3)
	buffer_store_dword v84, off, s[0:3], 0 offset:280
	s_waitcnt vmcnt(3)
	buffer_store_dword v85, off, s[0:3], 0 offset:284
	s_waitcnt vmcnt(3)
	buffer_store_dword v86, v83, s[0:3], 0 offen
	s_waitcnt vmcnt(3)
	buffer_store_dword v87, v83, s[0:3], 0 offen offset:4
.LBB104_270:
	;; [unrolled: 41-line block ×19, first 2 shown]
	global_load_dword v0, v0, s[12:13]
	s_waitcnt vmcnt(0)
	v_add_u32_e32 v0, -1, v0
	v_cmp_eq_u32_e32 vcc, 0, v0
	s_cbranch_vccnz .LBB104_340
; %bb.339:
	v_lshlrev_b32_e32 v0, 3, v0
	buffer_load_dword v83, v0, s[0:3], 0 offen
	buffer_load_dword v84, v0, s[0:3], 0 offen offset:4
	buffer_load_dword v85, off, s[0:3], 0 offset:4
	buffer_load_dword v86, off, s[0:3], 0
	s_waitcnt vmcnt(3)
	buffer_store_dword v83, off, s[0:3], 0
	s_waitcnt vmcnt(3)
	buffer_store_dword v84, off, s[0:3], 0 offset:4
	s_waitcnt vmcnt(3)
	buffer_store_dword v85, v0, s[0:3], 0 offen offset:4
	s_waitcnt vmcnt(3)
	buffer_store_dword v86, v0, s[0:3], 0 offen
.LBB104_340:
	buffer_load_dword v83, off, s[0:3], 0
	buffer_load_dword v84, off, s[0:3], 0 offset:4
	s_waitcnt vmcnt(0)
	flat_store_dwordx2 v[1:2], v[83:84]
	buffer_load_dword v0, off, s[0:3], 0 offset:8
	s_nop 0
	buffer_load_dword v1, off, s[0:3], 0 offset:12
	s_waitcnt vmcnt(0)
	flat_store_dwordx2 v[3:4], v[0:1]
	buffer_load_dword v0, off, s[0:3], 0 offset:16
	s_nop 0
	;; [unrolled: 5-line block ×40, first 2 shown]
	buffer_load_dword v1, off, s[0:3], 0 offset:324
	s_waitcnt vmcnt(0)
	flat_store_dwordx2 v[81:82], v[0:1]
	s_endpgm
	.section	.rodata,"a",@progbits
	.p2align	6, 0x0
	.amdhsa_kernel _ZN9rocsolver6v33100L18getri_kernel_smallILi41E19rocblas_complex_numIfEPKPS3_EEvT1_iilPiilS8_bb
		.amdhsa_group_segment_fixed_size 664
		.amdhsa_private_segment_fixed_size 336
		.amdhsa_kernarg_size 60
		.amdhsa_user_sgpr_count 6
		.amdhsa_user_sgpr_private_segment_buffer 1
		.amdhsa_user_sgpr_dispatch_ptr 0
		.amdhsa_user_sgpr_queue_ptr 0
		.amdhsa_user_sgpr_kernarg_segment_ptr 1
		.amdhsa_user_sgpr_dispatch_id 0
		.amdhsa_user_sgpr_flat_scratch_init 0
		.amdhsa_user_sgpr_private_segment_size 0
		.amdhsa_uses_dynamic_stack 0
		.amdhsa_system_sgpr_private_segment_wavefront_offset 1
		.amdhsa_system_sgpr_workgroup_id_x 1
		.amdhsa_system_sgpr_workgroup_id_y 0
		.amdhsa_system_sgpr_workgroup_id_z 0
		.amdhsa_system_sgpr_workgroup_info 0
		.amdhsa_system_vgpr_workitem_id 0
		.amdhsa_next_free_vgpr 246
		.amdhsa_next_free_sgpr 21
		.amdhsa_reserve_vcc 1
		.amdhsa_reserve_flat_scratch 0
		.amdhsa_float_round_mode_32 0
		.amdhsa_float_round_mode_16_64 0
		.amdhsa_float_denorm_mode_32 3
		.amdhsa_float_denorm_mode_16_64 3
		.amdhsa_dx10_clamp 1
		.amdhsa_ieee_mode 1
		.amdhsa_fp16_overflow 0
		.amdhsa_exception_fp_ieee_invalid_op 0
		.amdhsa_exception_fp_denorm_src 0
		.amdhsa_exception_fp_ieee_div_zero 0
		.amdhsa_exception_fp_ieee_overflow 0
		.amdhsa_exception_fp_ieee_underflow 0
		.amdhsa_exception_fp_ieee_inexact 0
		.amdhsa_exception_int_div_zero 0
	.end_amdhsa_kernel
	.section	.text._ZN9rocsolver6v33100L18getri_kernel_smallILi41E19rocblas_complex_numIfEPKPS3_EEvT1_iilPiilS8_bb,"axG",@progbits,_ZN9rocsolver6v33100L18getri_kernel_smallILi41E19rocblas_complex_numIfEPKPS3_EEvT1_iilPiilS8_bb,comdat
.Lfunc_end104:
	.size	_ZN9rocsolver6v33100L18getri_kernel_smallILi41E19rocblas_complex_numIfEPKPS3_EEvT1_iilPiilS8_bb, .Lfunc_end104-_ZN9rocsolver6v33100L18getri_kernel_smallILi41E19rocblas_complex_numIfEPKPS3_EEvT1_iilPiilS8_bb
                                        ; -- End function
	.set _ZN9rocsolver6v33100L18getri_kernel_smallILi41E19rocblas_complex_numIfEPKPS3_EEvT1_iilPiilS8_bb.num_vgpr, 246
	.set _ZN9rocsolver6v33100L18getri_kernel_smallILi41E19rocblas_complex_numIfEPKPS3_EEvT1_iilPiilS8_bb.num_agpr, 0
	.set _ZN9rocsolver6v33100L18getri_kernel_smallILi41E19rocblas_complex_numIfEPKPS3_EEvT1_iilPiilS8_bb.numbered_sgpr, 21
	.set _ZN9rocsolver6v33100L18getri_kernel_smallILi41E19rocblas_complex_numIfEPKPS3_EEvT1_iilPiilS8_bb.num_named_barrier, 0
	.set _ZN9rocsolver6v33100L18getri_kernel_smallILi41E19rocblas_complex_numIfEPKPS3_EEvT1_iilPiilS8_bb.private_seg_size, 336
	.set _ZN9rocsolver6v33100L18getri_kernel_smallILi41E19rocblas_complex_numIfEPKPS3_EEvT1_iilPiilS8_bb.uses_vcc, 1
	.set _ZN9rocsolver6v33100L18getri_kernel_smallILi41E19rocblas_complex_numIfEPKPS3_EEvT1_iilPiilS8_bb.uses_flat_scratch, 0
	.set _ZN9rocsolver6v33100L18getri_kernel_smallILi41E19rocblas_complex_numIfEPKPS3_EEvT1_iilPiilS8_bb.has_dyn_sized_stack, 0
	.set _ZN9rocsolver6v33100L18getri_kernel_smallILi41E19rocblas_complex_numIfEPKPS3_EEvT1_iilPiilS8_bb.has_recursion, 0
	.set _ZN9rocsolver6v33100L18getri_kernel_smallILi41E19rocblas_complex_numIfEPKPS3_EEvT1_iilPiilS8_bb.has_indirect_call, 0
	.section	.AMDGPU.csdata,"",@progbits
; Kernel info:
; codeLenInByte = 66884
; TotalNumSgprs: 25
; NumVgprs: 246
; ScratchSize: 336
; MemoryBound: 0
; FloatMode: 240
; IeeeMode: 1
; LDSByteSize: 664 bytes/workgroup (compile time only)
; SGPRBlocks: 3
; VGPRBlocks: 61
; NumSGPRsForWavesPerEU: 25
; NumVGPRsForWavesPerEU: 246
; Occupancy: 1
; WaveLimiterHint : 1
; COMPUTE_PGM_RSRC2:SCRATCH_EN: 1
; COMPUTE_PGM_RSRC2:USER_SGPR: 6
; COMPUTE_PGM_RSRC2:TRAP_HANDLER: 0
; COMPUTE_PGM_RSRC2:TGID_X_EN: 1
; COMPUTE_PGM_RSRC2:TGID_Y_EN: 0
; COMPUTE_PGM_RSRC2:TGID_Z_EN: 0
; COMPUTE_PGM_RSRC2:TIDIG_COMP_CNT: 0
	.section	.text._ZN9rocsolver6v33100L18getri_kernel_smallILi42E19rocblas_complex_numIfEPKPS3_EEvT1_iilPiilS8_bb,"axG",@progbits,_ZN9rocsolver6v33100L18getri_kernel_smallILi42E19rocblas_complex_numIfEPKPS3_EEvT1_iilPiilS8_bb,comdat
	.globl	_ZN9rocsolver6v33100L18getri_kernel_smallILi42E19rocblas_complex_numIfEPKPS3_EEvT1_iilPiilS8_bb ; -- Begin function _ZN9rocsolver6v33100L18getri_kernel_smallILi42E19rocblas_complex_numIfEPKPS3_EEvT1_iilPiilS8_bb
	.p2align	8
	.type	_ZN9rocsolver6v33100L18getri_kernel_smallILi42E19rocblas_complex_numIfEPKPS3_EEvT1_iilPiilS8_bb,@function
_ZN9rocsolver6v33100L18getri_kernel_smallILi42E19rocblas_complex_numIfEPKPS3_EEvT1_iilPiilS8_bb: ; @_ZN9rocsolver6v33100L18getri_kernel_smallILi42E19rocblas_complex_numIfEPKPS3_EEvT1_iilPiilS8_bb
; %bb.0:
	s_add_u32 s0, s0, s7
	s_addc_u32 s1, s1, 0
	v_cmp_gt_u32_e32 vcc, 42, v0
	s_and_saveexec_b64 s[8:9], vcc
	s_cbranch_execz .LBB105_182
; %bb.1:
	s_load_dword s18, s[4:5], 0x38
	s_load_dwordx2 s[12:13], s[4:5], 0x0
	s_load_dwordx4 s[8:11], s[4:5], 0x28
	s_waitcnt lgkmcnt(0)
	s_bitcmp1_b32 s18, 8
	s_cselect_b64 s[14:15], -1, 0
	s_ashr_i32 s7, s6, 31
	s_lshl_b64 s[16:17], s[6:7], 3
	s_add_u32 s12, s12, s16
	s_addc_u32 s13, s13, s17
	s_load_dwordx2 s[16:17], s[12:13], 0x0
	s_bfe_u32 s12, s18, 0x10008
	s_cmp_eq_u32 s12, 0
                                        ; implicit-def: $sgpr12_sgpr13
	s_cbranch_scc1 .LBB105_3
; %bb.2:
	s_load_dword s12, s[4:5], 0x20
	s_load_dwordx2 s[18:19], s[4:5], 0x18
	s_mul_i32 s13, s8, s7
	s_mul_hi_u32 s20, s8, s6
	s_add_i32 s20, s20, s13
	s_mul_i32 s9, s9, s6
	s_add_i32 s9, s20, s9
	s_mul_i32 s8, s8, s6
	s_waitcnt lgkmcnt(0)
	s_ashr_i32 s13, s12, 31
	s_lshl_b64 s[8:9], s[8:9], 2
	s_add_u32 s18, s18, s8
	s_addc_u32 s19, s19, s9
	s_lshl_b64 s[8:9], s[12:13], 2
	s_add_u32 s12, s18, s8
	s_addc_u32 s13, s19, s9
.LBB105_3:
	s_load_dwordx2 s[8:9], s[4:5], 0x8
	s_load_dword s18, s[4:5], 0x38
	v_lshlrev_b32_e32 v87, 3, v0
	s_waitcnt lgkmcnt(0)
	s_ashr_i32 s5, s8, 31
	s_mov_b32 s4, s8
	s_lshl_b64 s[4:5], s[4:5], 3
	s_add_u32 s4, s16, s4
	s_addc_u32 s5, s17, s5
	v_mov_b32_e32 v2, s5
	v_add_co_u32_e32 v1, vcc, s4, v87
	v_addc_co_u32_e32 v2, vcc, 0, v2, vcc
	flat_load_dwordx2 v[5:6], v[1:2]
	s_mov_b32 s16, s9
	s_ashr_i32 s17, s9, 31
	s_lshl_b64 s[16:17], s[16:17], 3
	v_mov_b32_e32 v4, s17
	v_add_co_u32_e32 v3, vcc, s16, v1
	v_addc_co_u32_e32 v4, vcc, v2, v4, vcc
	s_add_i32 s8, s9, s9
	v_add_u32_e32 v9, s8, v0
	v_ashrrev_i32_e32 v10, 31, v9
	v_mov_b32_e32 v11, s5
	v_add_u32_e32 v12, s9, v9
	v_ashrrev_i32_e32 v13, 31, v12
	v_mov_b32_e32 v14, s5
	v_mov_b32_e32 v15, s5
	;; [unrolled: 1-line block ×38, first 2 shown]
	s_bitcmp0_b32 s18, 0
	s_waitcnt vmcnt(0) lgkmcnt(0)
	buffer_store_dword v6, off, s[0:3], 0 offset:4
	buffer_store_dword v5, off, s[0:3], 0
	flat_load_dwordx2 v[7:8], v[3:4]
	v_lshlrev_b64 v[5:6], 3, v[9:10]
	s_waitcnt vmcnt(0) lgkmcnt(0)
	buffer_store_dword v8, off, s[0:3], 0 offset:12
	buffer_store_dword v7, off, s[0:3], 0 offset:8
	v_add_co_u32_e32 v5, vcc, s4, v5
	v_addc_co_u32_e32 v6, vcc, v11, v6, vcc
	flat_load_dwordx2 v[10:11], v[5:6]
	v_lshlrev_b64 v[7:8], 3, v[12:13]
	s_waitcnt vmcnt(0) lgkmcnt(0)
	buffer_store_dword v11, off, s[0:3], 0 offset:20
	buffer_store_dword v10, off, s[0:3], 0 offset:16
	v_add_co_u32_e32 v7, vcc, s4, v7
	v_addc_co_u32_e32 v8, vcc, v14, v8, vcc
	flat_load_dwordx2 v[13:14], v[7:8]
	v_add_u32_e32 v11, s9, v12
	v_ashrrev_i32_e32 v12, 31, v11
	v_lshlrev_b64 v[9:10], 3, v[11:12]
	s_waitcnt vmcnt(0) lgkmcnt(0)
	buffer_store_dword v14, off, s[0:3], 0 offset:28
	buffer_store_dword v13, off, s[0:3], 0 offset:24
	v_add_co_u32_e32 v9, vcc, s4, v9
	v_addc_co_u32_e32 v10, vcc, v15, v10, vcc
	flat_load_dwordx2 v[13:14], v[9:10]
	v_add_u32_e32 v15, s9, v11
	v_ashrrev_i32_e32 v16, 31, v15
	v_lshlrev_b64 v[11:12], 3, v[15:16]
	v_add_u32_e32 v18, s9, v15
	v_add_co_u32_e32 v11, vcc, s4, v11
	v_addc_co_u32_e32 v12, vcc, v17, v12, vcc
	v_ashrrev_i32_e32 v19, 31, v18
	s_waitcnt vmcnt(0) lgkmcnt(0)
	buffer_store_dword v14, off, s[0:3], 0 offset:36
	buffer_store_dword v13, off, s[0:3], 0 offset:32
	flat_load_dwordx2 v[16:17], v[11:12]
	v_lshlrev_b64 v[13:14], 3, v[18:19]
	s_waitcnt vmcnt(0) lgkmcnt(0)
	buffer_store_dword v17, off, s[0:3], 0 offset:44
	buffer_store_dword v16, off, s[0:3], 0 offset:40
	v_add_co_u32_e32 v13, vcc, s4, v13
	v_addc_co_u32_e32 v14, vcc, v20, v14, vcc
	flat_load_dwordx2 v[19:20], v[13:14]
	v_add_u32_e32 v17, s9, v18
	v_ashrrev_i32_e32 v18, 31, v17
	v_lshlrev_b64 v[15:16], 3, v[17:18]
	s_waitcnt vmcnt(0) lgkmcnt(0)
	buffer_store_dword v20, off, s[0:3], 0 offset:52
	buffer_store_dword v19, off, s[0:3], 0 offset:48
	v_add_co_u32_e32 v15, vcc, s4, v15
	v_addc_co_u32_e32 v16, vcc, v21, v16, vcc
	flat_load_dwordx2 v[19:20], v[15:16]
	v_add_u32_e32 v21, s9, v17
	v_ashrrev_i32_e32 v22, 31, v21
	v_lshlrev_b64 v[17:18], 3, v[21:22]
	v_add_u32_e32 v24, s9, v21
	v_add_co_u32_e32 v17, vcc, s4, v17
	v_addc_co_u32_e32 v18, vcc, v23, v18, vcc
	v_ashrrev_i32_e32 v25, 31, v24
	s_waitcnt vmcnt(0) lgkmcnt(0)
	buffer_store_dword v20, off, s[0:3], 0 offset:60
	buffer_store_dword v19, off, s[0:3], 0 offset:56
	;; [unrolled: 27-line block ×7, first 2 shown]
	flat_load_dwordx2 v[52:53], v[47:48]
	v_lshlrev_b64 v[49:50], 3, v[54:55]
	s_waitcnt vmcnt(0) lgkmcnt(0)
	buffer_store_dword v53, off, s[0:3], 0 offset:188
	buffer_store_dword v52, off, s[0:3], 0 offset:184
	v_add_co_u32_e32 v49, vcc, s4, v49
	v_addc_co_u32_e32 v50, vcc, v56, v50, vcc
	flat_load_dwordx2 v[55:56], v[49:50]
	v_add_u32_e32 v53, s9, v54
	v_ashrrev_i32_e32 v54, 31, v53
	v_lshlrev_b64 v[51:52], 3, v[53:54]
	s_waitcnt vmcnt(0) lgkmcnt(0)
	buffer_store_dword v56, off, s[0:3], 0 offset:196
	buffer_store_dword v55, off, s[0:3], 0 offset:192
	v_add_co_u32_e32 v51, vcc, s4, v51
	v_addc_co_u32_e32 v52, vcc, v57, v52, vcc
	flat_load_dwordx2 v[55:56], v[51:52]
	v_add_u32_e32 v57, s9, v53
	v_ashrrev_i32_e32 v58, 31, v57
	v_lshlrev_b64 v[53:54], 3, v[57:58]
	v_add_u32_e32 v60, s9, v57
	v_add_co_u32_e32 v53, vcc, s4, v53
	v_addc_co_u32_e32 v54, vcc, v59, v54, vcc
	s_waitcnt vmcnt(0) lgkmcnt(0)
	buffer_store_dword v56, off, s[0:3], 0 offset:204
	buffer_store_dword v55, off, s[0:3], 0 offset:200
	flat_load_dwordx2 v[58:59], v[53:54]
	v_ashrrev_i32_e32 v61, 31, v60
	v_lshlrev_b64 v[55:56], 3, v[60:61]
	s_waitcnt vmcnt(0) lgkmcnt(0)
	buffer_store_dword v59, off, s[0:3], 0 offset:212
	buffer_store_dword v58, off, s[0:3], 0 offset:208
	v_add_co_u32_e32 v55, vcc, s4, v55
	v_addc_co_u32_e32 v56, vcc, v62, v56, vcc
	flat_load_dwordx2 v[61:62], v[55:56]
	v_add_u32_e32 v59, s9, v60
	v_ashrrev_i32_e32 v60, 31, v59
	v_lshlrev_b64 v[57:58], 3, v[59:60]
	s_waitcnt vmcnt(0) lgkmcnt(0)
	buffer_store_dword v62, off, s[0:3], 0 offset:220
	buffer_store_dword v61, off, s[0:3], 0 offset:216
	v_add_co_u32_e32 v57, vcc, s4, v57
	v_addc_co_u32_e32 v58, vcc, v63, v58, vcc
	flat_load_dwordx2 v[61:62], v[57:58]
	v_add_u32_e32 v63, s9, v59
	;; [unrolled: 9-line block ×14, first 2 shown]
	v_ashrrev_i32_e32 v84, 31, v83
	v_lshlrev_b64 v[83:84], 3, v[83:84]
	s_waitcnt vmcnt(0) lgkmcnt(0)
	buffer_store_dword v86, off, s[0:3], 0 offset:324
	buffer_store_dword v85, off, s[0:3], 0 offset:320
	v_add_co_u32_e32 v83, vcc, s4, v83
	v_addc_co_u32_e32 v84, vcc, v88, v84, vcc
	flat_load_dwordx2 v[85:86], v[83:84]
	s_mov_b64 s[8:9], -1
	s_waitcnt vmcnt(0) lgkmcnt(0)
	buffer_store_dword v86, off, s[0:3], 0 offset:332
	buffer_store_dword v85, off, s[0:3], 0 offset:328
	s_cbranch_scc1 .LBB105_180
; %bb.4:
	v_cmp_eq_u32_e64 s[4:5], 0, v0
	s_and_saveexec_b64 s[8:9], s[4:5]
; %bb.5:
	v_mov_b32_e32 v85, 0
	ds_write_b32 v85, v85 offset:672
; %bb.6:
	s_or_b64 exec, exec, s[8:9]
	v_mov_b32_e32 v85, 0
	v_lshl_add_u32 v89, v0, 3, v85
	s_waitcnt lgkmcnt(0)
	; wave barrier
	buffer_load_dword v85, v89, s[0:3], 0 offen
	buffer_load_dword v86, v89, s[0:3], 0 offen offset:4
	s_waitcnt vmcnt(1)
	v_cmp_eq_f32_e32 vcc, 0, v85
	s_waitcnt vmcnt(0)
	v_cmp_eq_f32_e64 s[8:9], 0, v86
	s_and_b64 s[8:9], vcc, s[8:9]
	s_and_saveexec_b64 s[16:17], s[8:9]
	s_cbranch_execz .LBB105_10
; %bb.7:
	v_mov_b32_e32 v85, 0
	ds_read_b32 v88, v85 offset:672
	v_add_u32_e32 v86, 1, v0
	s_waitcnt lgkmcnt(0)
	v_readfirstlane_b32 s8, v88
	s_cmp_eq_u32 s8, 0
	s_cselect_b64 s[18:19], -1, 0
	v_cmp_gt_i32_e32 vcc, s8, v86
	s_or_b64 s[18:19], s[18:19], vcc
	s_and_b64 exec, exec, s[18:19]
	s_cbranch_execz .LBB105_10
; %bb.8:
	s_mov_b64 s[18:19], 0
	v_mov_b32_e32 v88, s8
.LBB105_9:                              ; =>This Inner Loop Header: Depth=1
	ds_cmpst_rtn_b32 v88, v85, v88, v86 offset:672
	s_waitcnt lgkmcnt(0)
	v_cmp_ne_u32_e32 vcc, 0, v88
	v_cmp_le_i32_e64 s[8:9], v88, v86
	s_and_b64 s[8:9], vcc, s[8:9]
	s_and_b64 s[8:9], exec, s[8:9]
	s_or_b64 s[18:19], s[8:9], s[18:19]
	s_andn2_b64 exec, exec, s[18:19]
	s_cbranch_execnz .LBB105_9
.LBB105_10:
	s_or_b64 exec, exec, s[16:17]
	v_mov_b32_e32 v86, 0
	; wave barrier
	ds_read_b32 v85, v86 offset:672
	s_and_saveexec_b64 s[8:9], s[4:5]
	s_cbranch_execz .LBB105_12
; %bb.11:
	s_lshl_b64 s[16:17], s[6:7], 2
	s_add_u32 s16, s10, s16
	s_addc_u32 s17, s11, s17
	s_waitcnt lgkmcnt(0)
	global_store_dword v86, v85, s[16:17]
.LBB105_12:
	s_or_b64 exec, exec, s[8:9]
	s_waitcnt lgkmcnt(0)
	v_cmp_ne_u32_e32 vcc, 0, v85
	s_mov_b64 s[8:9], 0
	s_cbranch_vccnz .LBB105_180
; %bb.13:
	buffer_load_dword v86, v89, s[0:3], 0 offen
	buffer_load_dword v88, v89, s[0:3], 0 offen offset:4
                                        ; implicit-def: $vgpr91
                                        ; implicit-def: $vgpr90
                                        ; implicit-def: $vgpr85
	s_waitcnt vmcnt(0)
	v_cmp_ngt_f32_e64 s[8:9], |v86|, |v88|
	s_and_saveexec_b64 s[16:17], s[8:9]
	s_xor_b64 s[8:9], exec, s[16:17]
	s_cbranch_execz .LBB105_15
; %bb.14:
	v_div_scale_f32 v85, s[16:17], v88, v88, v86
	v_div_scale_f32 v90, vcc, v86, v88, v86
	v_rcp_f32_e32 v91, v85
	v_fma_f32 v92, -v85, v91, 1.0
	v_fmac_f32_e32 v91, v92, v91
	v_mul_f32_e32 v92, v90, v91
	v_fma_f32 v93, -v85, v92, v90
	v_fmac_f32_e32 v92, v93, v91
	v_fma_f32 v85, -v85, v92, v90
	v_div_fmas_f32 v85, v85, v91, v92
	v_div_fixup_f32 v85, v85, v88, v86
	v_fmac_f32_e32 v88, v86, v85
	v_div_scale_f32 v86, s[16:17], v88, v88, 1.0
	v_div_scale_f32 v90, vcc, 1.0, v88, 1.0
	v_rcp_f32_e32 v91, v86
	v_fma_f32 v92, -v86, v91, 1.0
	v_fmac_f32_e32 v91, v92, v91
	v_mul_f32_e32 v92, v90, v91
	v_fma_f32 v93, -v86, v92, v90
	v_fmac_f32_e32 v92, v93, v91
	v_fma_f32 v86, -v86, v92, v90
	v_div_fmas_f32 v86, v86, v91, v92
	v_div_fixup_f32 v86, v86, v88, 1.0
	v_mul_f32_e32 v91, v85, v86
	v_xor_b32_e32 v90, 0x80000000, v86
	v_xor_b32_e32 v85, 0x80000000, v91
                                        ; implicit-def: $vgpr86
                                        ; implicit-def: $vgpr88
.LBB105_15:
	s_andn2_saveexec_b64 s[8:9], s[8:9]
	s_cbranch_execz .LBB105_17
; %bb.16:
	v_div_scale_f32 v85, s[16:17], v86, v86, v88
	v_div_scale_f32 v90, vcc, v88, v86, v88
	v_rcp_f32_e32 v91, v85
	v_fma_f32 v92, -v85, v91, 1.0
	v_fmac_f32_e32 v91, v92, v91
	v_mul_f32_e32 v92, v90, v91
	v_fma_f32 v93, -v85, v92, v90
	v_fmac_f32_e32 v92, v93, v91
	v_fma_f32 v85, -v85, v92, v90
	v_div_fmas_f32 v85, v85, v91, v92
	v_div_fixup_f32 v90, v85, v86, v88
	v_fmac_f32_e32 v86, v88, v90
	v_div_scale_f32 v85, s[16:17], v86, v86, 1.0
	v_div_scale_f32 v88, vcc, 1.0, v86, 1.0
	v_rcp_f32_e32 v91, v85
	v_fma_f32 v92, -v85, v91, 1.0
	v_fmac_f32_e32 v91, v92, v91
	v_mul_f32_e32 v92, v88, v91
	v_fma_f32 v93, -v85, v92, v88
	v_fmac_f32_e32 v92, v93, v91
	v_fma_f32 v85, -v85, v92, v88
	v_div_fmas_f32 v85, v85, v91, v92
	v_div_fixup_f32 v91, v85, v86, 1.0
	v_xor_b32_e32 v85, 0x80000000, v91
	v_mul_f32_e64 v90, v90, -v91
.LBB105_17:
	s_or_b64 exec, exec, s[8:9]
	buffer_store_dword v91, v89, s[0:3], 0 offen
	buffer_store_dword v90, v89, s[0:3], 0 offen offset:4
	buffer_load_dword v92, off, s[0:3], 0 offset:12
	s_nop 0
	buffer_load_dword v91, off, s[0:3], 0 offset:8
	v_xor_b32_e32 v86, 0x80000000, v90
	v_add_u32_e32 v88, 0x150, v87
	s_waitcnt vmcnt(0)
	ds_write2_b64 v87, v[85:86], v[91:92] offset1:42
	s_waitcnt lgkmcnt(0)
	; wave barrier
	s_and_saveexec_b64 s[8:9], s[4:5]
	s_cbranch_execz .LBB105_19
; %bb.18:
	buffer_load_dword v92, v89, s[0:3], 0 offen offset:4
	buffer_load_dword v93, v89, s[0:3], 0 offen
	ds_read_b64 v[85:86], v88
	v_mov_b32_e32 v90, 0
	ds_read_b64 v[90:91], v90 offset:8
	s_waitcnt vmcnt(1) lgkmcnt(1)
	v_mul_f32_e32 v94, v86, v92
	v_mul_f32_e32 v92, v85, v92
	s_waitcnt vmcnt(0)
	v_fmac_f32_e32 v92, v86, v93
	v_fma_f32 v85, v85, v93, -v94
	v_add_f32_e32 v86, 0, v92
	v_add_f32_e32 v85, 0, v85
	s_waitcnt lgkmcnt(0)
	v_mul_f32_e32 v92, v86, v91
	v_mul_f32_e32 v91, v85, v91
	v_fma_f32 v85, v85, v90, -v92
	v_fmac_f32_e32 v91, v86, v90
	buffer_store_dword v85, off, s[0:3], 0 offset:8
	buffer_store_dword v91, off, s[0:3], 0 offset:12
.LBB105_19:
	s_or_b64 exec, exec, s[8:9]
	; wave barrier
	buffer_load_dword v85, off, s[0:3], 0 offset:16
	buffer_load_dword v86, off, s[0:3], 0 offset:20
	v_cmp_gt_u32_e32 vcc, 2, v0
	s_waitcnt vmcnt(0)
	ds_write_b64 v88, v[85:86]
	s_waitcnt lgkmcnt(0)
	; wave barrier
	s_and_saveexec_b64 s[8:9], vcc
	s_cbranch_execz .LBB105_23
; %bb.20:
	buffer_load_dword v90, v89, s[0:3], 0 offen offset:4
	buffer_load_dword v91, v89, s[0:3], 0 offen
	ds_read_b64 v[85:86], v88
	s_waitcnt vmcnt(1) lgkmcnt(0)
	v_mul_f32_e32 v89, v86, v90
	v_mul_f32_e32 v90, v85, v90
	s_waitcnt vmcnt(0)
	v_fma_f32 v85, v85, v91, -v89
	v_fmac_f32_e32 v90, v86, v91
	v_add_f32_e32 v86, 0, v85
	v_add_f32_e32 v85, 0, v90
	s_and_saveexec_b64 s[16:17], s[4:5]
	s_cbranch_execz .LBB105_22
; %bb.21:
	buffer_load_dword v91, off, s[0:3], 0 offset:12
	buffer_load_dword v92, off, s[0:3], 0 offset:8
	v_mov_b32_e32 v89, 0
	ds_read_b64 v[89:90], v89 offset:344
	s_waitcnt vmcnt(1) lgkmcnt(0)
	v_mul_f32_e32 v93, v89, v91
	v_mul_f32_e32 v91, v90, v91
	s_waitcnt vmcnt(0)
	v_fmac_f32_e32 v93, v90, v92
	v_fma_f32 v89, v89, v92, -v91
	v_add_f32_e32 v85, v85, v93
	v_add_f32_e32 v86, v86, v89
.LBB105_22:
	s_or_b64 exec, exec, s[16:17]
	v_mov_b32_e32 v89, 0
	ds_read_b64 v[89:90], v89 offset:16
	s_waitcnt lgkmcnt(0)
	v_mul_f32_e32 v91, v85, v90
	v_mul_f32_e32 v90, v86, v90
	v_fma_f32 v86, v86, v89, -v91
	v_fmac_f32_e32 v90, v85, v89
	buffer_store_dword v86, off, s[0:3], 0 offset:16
	buffer_store_dword v90, off, s[0:3], 0 offset:20
.LBB105_23:
	s_or_b64 exec, exec, s[8:9]
	; wave barrier
	buffer_load_dword v85, off, s[0:3], 0 offset:24
	buffer_load_dword v86, off, s[0:3], 0 offset:28
	v_cmp_gt_u32_e32 vcc, 3, v0
	s_waitcnt vmcnt(0)
	ds_write_b64 v88, v[85:86]
	v_add_u32_e32 v85, -1, v0
	s_waitcnt lgkmcnt(0)
	; wave barrier
	s_and_saveexec_b64 s[4:5], vcc
	s_cbranch_execz .LBB105_27
; %bb.24:
	v_add_u32_e32 v89, -1, v0
	v_add_u32_e32 v90, 0x150, v87
	v_mov_b32_e32 v91, v87
	v_mov_b32_e32 v86, 0
	s_mov_b64 s[8:9], 0
	v_mov_b32_e32 v92, 0
.LBB105_25:                             ; =>This Inner Loop Header: Depth=1
	buffer_load_dword v95, v91, s[0:3], 0 offen offset:4
	buffer_load_dword v96, v91, s[0:3], 0 offen
	ds_read_b64 v[93:94], v90
	v_add_u32_e32 v89, 1, v89
	v_cmp_lt_u32_e32 vcc, 1, v89
	v_add_u32_e32 v90, 8, v90
	v_add_u32_e32 v91, 8, v91
	s_or_b64 s[8:9], vcc, s[8:9]
	s_waitcnt vmcnt(1) lgkmcnt(0)
	v_mul_f32_e32 v97, v94, v95
	v_mul_f32_e32 v95, v93, v95
	s_waitcnt vmcnt(0)
	v_fma_f32 v93, v93, v96, -v97
	v_fmac_f32_e32 v95, v94, v96
	v_add_f32_e32 v92, v92, v93
	v_add_f32_e32 v86, v86, v95
	s_andn2_b64 exec, exec, s[8:9]
	s_cbranch_execnz .LBB105_25
; %bb.26:
	s_or_b64 exec, exec, s[8:9]
	v_mov_b32_e32 v89, 0
	ds_read_b64 v[89:90], v89 offset:24
	s_waitcnt lgkmcnt(0)
	v_mul_f32_e32 v91, v86, v90
	v_mul_f32_e32 v90, v92, v90
	v_fma_f32 v91, v92, v89, -v91
	v_fmac_f32_e32 v90, v86, v89
	buffer_store_dword v91, off, s[0:3], 0 offset:24
	buffer_store_dword v90, off, s[0:3], 0 offset:28
.LBB105_27:
	s_or_b64 exec, exec, s[4:5]
	; wave barrier
	buffer_load_dword v89, off, s[0:3], 0 offset:32
	buffer_load_dword v90, off, s[0:3], 0 offset:36
	v_cmp_gt_u32_e32 vcc, 4, v0
	s_waitcnt vmcnt(0)
	ds_write_b64 v88, v[89:90]
	s_waitcnt lgkmcnt(0)
	; wave barrier
	s_and_saveexec_b64 s[4:5], vcc
	s_cbranch_execz .LBB105_31
; %bb.28:
	v_add_u32_e32 v89, -1, v0
	v_add_u32_e32 v90, 0x150, v87
	v_mov_b32_e32 v91, v87
	v_mov_b32_e32 v86, 0
	s_mov_b64 s[8:9], 0
	v_mov_b32_e32 v92, 0
.LBB105_29:                             ; =>This Inner Loop Header: Depth=1
	buffer_load_dword v95, v91, s[0:3], 0 offen offset:4
	buffer_load_dword v96, v91, s[0:3], 0 offen
	ds_read_b64 v[93:94], v90
	v_add_u32_e32 v89, 1, v89
	v_cmp_lt_u32_e32 vcc, 2, v89
	v_add_u32_e32 v90, 8, v90
	v_add_u32_e32 v91, 8, v91
	s_or_b64 s[8:9], vcc, s[8:9]
	s_waitcnt vmcnt(1) lgkmcnt(0)
	v_mul_f32_e32 v97, v94, v95
	v_mul_f32_e32 v95, v93, v95
	s_waitcnt vmcnt(0)
	v_fma_f32 v93, v93, v96, -v97
	v_fmac_f32_e32 v95, v94, v96
	v_add_f32_e32 v92, v92, v93
	v_add_f32_e32 v86, v86, v95
	s_andn2_b64 exec, exec, s[8:9]
	s_cbranch_execnz .LBB105_29
; %bb.30:
	s_or_b64 exec, exec, s[8:9]
	v_mov_b32_e32 v89, 0
	ds_read_b64 v[89:90], v89 offset:32
	s_waitcnt lgkmcnt(0)
	v_mul_f32_e32 v91, v86, v90
	v_mul_f32_e32 v90, v92, v90
	v_fma_f32 v91, v92, v89, -v91
	v_fmac_f32_e32 v90, v86, v89
	buffer_store_dword v91, off, s[0:3], 0 offset:32
	buffer_store_dword v90, off, s[0:3], 0 offset:36
.LBB105_31:
	s_or_b64 exec, exec, s[4:5]
	; wave barrier
	buffer_load_dword v89, off, s[0:3], 0 offset:40
	buffer_load_dword v90, off, s[0:3], 0 offset:44
	v_cmp_gt_u32_e32 vcc, 5, v0
	s_waitcnt vmcnt(0)
	ds_write_b64 v88, v[89:90]
	s_waitcnt lgkmcnt(0)
	; wave barrier
	s_and_saveexec_b64 s[4:5], vcc
	s_cbranch_execz .LBB105_35
; %bb.32:
	v_add_u32_e32 v89, -1, v0
	v_add_u32_e32 v90, 0x150, v87
	v_mov_b32_e32 v91, v87
	v_mov_b32_e32 v86, 0
	s_mov_b64 s[8:9], 0
	v_mov_b32_e32 v92, 0
.LBB105_33:                             ; =>This Inner Loop Header: Depth=1
	buffer_load_dword v95, v91, s[0:3], 0 offen offset:4
	buffer_load_dword v96, v91, s[0:3], 0 offen
	ds_read_b64 v[93:94], v90
	v_add_u32_e32 v89, 1, v89
	v_cmp_lt_u32_e32 vcc, 3, v89
	v_add_u32_e32 v90, 8, v90
	v_add_u32_e32 v91, 8, v91
	s_or_b64 s[8:9], vcc, s[8:9]
	s_waitcnt vmcnt(1) lgkmcnt(0)
	v_mul_f32_e32 v97, v94, v95
	v_mul_f32_e32 v95, v93, v95
	s_waitcnt vmcnt(0)
	v_fma_f32 v93, v93, v96, -v97
	v_fmac_f32_e32 v95, v94, v96
	v_add_f32_e32 v92, v92, v93
	v_add_f32_e32 v86, v86, v95
	s_andn2_b64 exec, exec, s[8:9]
	s_cbranch_execnz .LBB105_33
; %bb.34:
	s_or_b64 exec, exec, s[8:9]
	v_mov_b32_e32 v89, 0
	ds_read_b64 v[89:90], v89 offset:40
	s_waitcnt lgkmcnt(0)
	v_mul_f32_e32 v91, v86, v90
	v_mul_f32_e32 v90, v92, v90
	v_fma_f32 v91, v92, v89, -v91
	v_fmac_f32_e32 v90, v86, v89
	buffer_store_dword v91, off, s[0:3], 0 offset:40
	buffer_store_dword v90, off, s[0:3], 0 offset:44
.LBB105_35:
	s_or_b64 exec, exec, s[4:5]
	; wave barrier
	buffer_load_dword v89, off, s[0:3], 0 offset:48
	buffer_load_dword v90, off, s[0:3], 0 offset:52
	v_cmp_gt_u32_e32 vcc, 6, v0
	s_waitcnt vmcnt(0)
	ds_write_b64 v88, v[89:90]
	s_waitcnt lgkmcnt(0)
	; wave barrier
	s_and_saveexec_b64 s[4:5], vcc
	s_cbranch_execz .LBB105_39
; %bb.36:
	v_add_u32_e32 v89, -1, v0
	v_add_u32_e32 v90, 0x150, v87
	v_mov_b32_e32 v91, v87
	v_mov_b32_e32 v86, 0
	s_mov_b64 s[8:9], 0
	v_mov_b32_e32 v92, 0
.LBB105_37:                             ; =>This Inner Loop Header: Depth=1
	buffer_load_dword v95, v91, s[0:3], 0 offen offset:4
	buffer_load_dword v96, v91, s[0:3], 0 offen
	ds_read_b64 v[93:94], v90
	v_add_u32_e32 v89, 1, v89
	v_cmp_lt_u32_e32 vcc, 4, v89
	v_add_u32_e32 v90, 8, v90
	v_add_u32_e32 v91, 8, v91
	s_or_b64 s[8:9], vcc, s[8:9]
	s_waitcnt vmcnt(1) lgkmcnt(0)
	v_mul_f32_e32 v97, v94, v95
	v_mul_f32_e32 v95, v93, v95
	s_waitcnt vmcnt(0)
	v_fma_f32 v93, v93, v96, -v97
	v_fmac_f32_e32 v95, v94, v96
	v_add_f32_e32 v92, v92, v93
	v_add_f32_e32 v86, v86, v95
	s_andn2_b64 exec, exec, s[8:9]
	s_cbranch_execnz .LBB105_37
; %bb.38:
	s_or_b64 exec, exec, s[8:9]
	v_mov_b32_e32 v89, 0
	ds_read_b64 v[89:90], v89 offset:48
	s_waitcnt lgkmcnt(0)
	v_mul_f32_e32 v91, v86, v90
	v_mul_f32_e32 v90, v92, v90
	v_fma_f32 v91, v92, v89, -v91
	v_fmac_f32_e32 v90, v86, v89
	buffer_store_dword v91, off, s[0:3], 0 offset:48
	buffer_store_dword v90, off, s[0:3], 0 offset:52
.LBB105_39:
	s_or_b64 exec, exec, s[4:5]
	; wave barrier
	buffer_load_dword v89, off, s[0:3], 0 offset:56
	buffer_load_dword v90, off, s[0:3], 0 offset:60
	v_cmp_gt_u32_e32 vcc, 7, v0
	s_waitcnt vmcnt(0)
	ds_write_b64 v88, v[89:90]
	s_waitcnt lgkmcnt(0)
	; wave barrier
	s_and_saveexec_b64 s[4:5], vcc
	s_cbranch_execz .LBB105_43
; %bb.40:
	v_add_u32_e32 v89, -1, v0
	v_add_u32_e32 v90, 0x150, v87
	v_mov_b32_e32 v91, v87
	v_mov_b32_e32 v86, 0
	s_mov_b64 s[8:9], 0
	v_mov_b32_e32 v92, 0
.LBB105_41:                             ; =>This Inner Loop Header: Depth=1
	buffer_load_dword v95, v91, s[0:3], 0 offen offset:4
	buffer_load_dword v96, v91, s[0:3], 0 offen
	ds_read_b64 v[93:94], v90
	v_add_u32_e32 v89, 1, v89
	v_cmp_lt_u32_e32 vcc, 5, v89
	v_add_u32_e32 v90, 8, v90
	v_add_u32_e32 v91, 8, v91
	s_or_b64 s[8:9], vcc, s[8:9]
	s_waitcnt vmcnt(1) lgkmcnt(0)
	v_mul_f32_e32 v97, v94, v95
	v_mul_f32_e32 v95, v93, v95
	s_waitcnt vmcnt(0)
	v_fma_f32 v93, v93, v96, -v97
	v_fmac_f32_e32 v95, v94, v96
	v_add_f32_e32 v92, v92, v93
	v_add_f32_e32 v86, v86, v95
	s_andn2_b64 exec, exec, s[8:9]
	s_cbranch_execnz .LBB105_41
; %bb.42:
	s_or_b64 exec, exec, s[8:9]
	v_mov_b32_e32 v89, 0
	ds_read_b64 v[89:90], v89 offset:56
	s_waitcnt lgkmcnt(0)
	v_mul_f32_e32 v91, v86, v90
	v_mul_f32_e32 v90, v92, v90
	v_fma_f32 v91, v92, v89, -v91
	v_fmac_f32_e32 v90, v86, v89
	buffer_store_dword v91, off, s[0:3], 0 offset:56
	buffer_store_dword v90, off, s[0:3], 0 offset:60
.LBB105_43:
	s_or_b64 exec, exec, s[4:5]
	; wave barrier
	buffer_load_dword v89, off, s[0:3], 0 offset:64
	buffer_load_dword v90, off, s[0:3], 0 offset:68
	v_cmp_gt_u32_e32 vcc, 8, v0
	s_waitcnt vmcnt(0)
	ds_write_b64 v88, v[89:90]
	s_waitcnt lgkmcnt(0)
	; wave barrier
	s_and_saveexec_b64 s[4:5], vcc
	s_cbranch_execz .LBB105_47
; %bb.44:
	v_add_u32_e32 v89, -1, v0
	v_add_u32_e32 v90, 0x150, v87
	v_mov_b32_e32 v91, v87
	v_mov_b32_e32 v86, 0
	s_mov_b64 s[8:9], 0
	v_mov_b32_e32 v92, 0
.LBB105_45:                             ; =>This Inner Loop Header: Depth=1
	buffer_load_dword v95, v91, s[0:3], 0 offen offset:4
	buffer_load_dword v96, v91, s[0:3], 0 offen
	ds_read_b64 v[93:94], v90
	v_add_u32_e32 v89, 1, v89
	v_cmp_lt_u32_e32 vcc, 6, v89
	v_add_u32_e32 v90, 8, v90
	v_add_u32_e32 v91, 8, v91
	s_or_b64 s[8:9], vcc, s[8:9]
	s_waitcnt vmcnt(1) lgkmcnt(0)
	v_mul_f32_e32 v97, v94, v95
	v_mul_f32_e32 v95, v93, v95
	s_waitcnt vmcnt(0)
	v_fma_f32 v93, v93, v96, -v97
	v_fmac_f32_e32 v95, v94, v96
	v_add_f32_e32 v92, v92, v93
	v_add_f32_e32 v86, v86, v95
	s_andn2_b64 exec, exec, s[8:9]
	s_cbranch_execnz .LBB105_45
; %bb.46:
	s_or_b64 exec, exec, s[8:9]
	v_mov_b32_e32 v89, 0
	ds_read_b64 v[89:90], v89 offset:64
	s_waitcnt lgkmcnt(0)
	v_mul_f32_e32 v91, v86, v90
	v_mul_f32_e32 v90, v92, v90
	v_fma_f32 v91, v92, v89, -v91
	v_fmac_f32_e32 v90, v86, v89
	buffer_store_dword v91, off, s[0:3], 0 offset:64
	buffer_store_dword v90, off, s[0:3], 0 offset:68
.LBB105_47:
	s_or_b64 exec, exec, s[4:5]
	; wave barrier
	buffer_load_dword v89, off, s[0:3], 0 offset:72
	buffer_load_dword v90, off, s[0:3], 0 offset:76
	v_cmp_gt_u32_e32 vcc, 9, v0
	s_waitcnt vmcnt(0)
	ds_write_b64 v88, v[89:90]
	s_waitcnt lgkmcnt(0)
	; wave barrier
	s_and_saveexec_b64 s[4:5], vcc
	s_cbranch_execz .LBB105_51
; %bb.48:
	v_add_u32_e32 v89, -1, v0
	v_add_u32_e32 v90, 0x150, v87
	v_mov_b32_e32 v91, v87
	v_mov_b32_e32 v86, 0
	s_mov_b64 s[8:9], 0
	v_mov_b32_e32 v92, 0
.LBB105_49:                             ; =>This Inner Loop Header: Depth=1
	buffer_load_dword v95, v91, s[0:3], 0 offen offset:4
	buffer_load_dword v96, v91, s[0:3], 0 offen
	ds_read_b64 v[93:94], v90
	v_add_u32_e32 v89, 1, v89
	v_cmp_lt_u32_e32 vcc, 7, v89
	v_add_u32_e32 v90, 8, v90
	v_add_u32_e32 v91, 8, v91
	s_or_b64 s[8:9], vcc, s[8:9]
	s_waitcnt vmcnt(1) lgkmcnt(0)
	v_mul_f32_e32 v97, v94, v95
	v_mul_f32_e32 v95, v93, v95
	s_waitcnt vmcnt(0)
	v_fma_f32 v93, v93, v96, -v97
	v_fmac_f32_e32 v95, v94, v96
	v_add_f32_e32 v92, v92, v93
	v_add_f32_e32 v86, v86, v95
	s_andn2_b64 exec, exec, s[8:9]
	s_cbranch_execnz .LBB105_49
; %bb.50:
	s_or_b64 exec, exec, s[8:9]
	v_mov_b32_e32 v89, 0
	ds_read_b64 v[89:90], v89 offset:72
	s_waitcnt lgkmcnt(0)
	v_mul_f32_e32 v91, v86, v90
	v_mul_f32_e32 v90, v92, v90
	v_fma_f32 v91, v92, v89, -v91
	v_fmac_f32_e32 v90, v86, v89
	buffer_store_dword v91, off, s[0:3], 0 offset:72
	buffer_store_dword v90, off, s[0:3], 0 offset:76
.LBB105_51:
	s_or_b64 exec, exec, s[4:5]
	; wave barrier
	buffer_load_dword v89, off, s[0:3], 0 offset:80
	buffer_load_dword v90, off, s[0:3], 0 offset:84
	v_cmp_gt_u32_e32 vcc, 10, v0
	s_waitcnt vmcnt(0)
	ds_write_b64 v88, v[89:90]
	s_waitcnt lgkmcnt(0)
	; wave barrier
	s_and_saveexec_b64 s[4:5], vcc
	s_cbranch_execz .LBB105_55
; %bb.52:
	v_add_u32_e32 v89, -1, v0
	v_add_u32_e32 v90, 0x150, v87
	v_mov_b32_e32 v91, v87
	v_mov_b32_e32 v86, 0
	s_mov_b64 s[8:9], 0
	v_mov_b32_e32 v92, 0
.LBB105_53:                             ; =>This Inner Loop Header: Depth=1
	buffer_load_dword v95, v91, s[0:3], 0 offen offset:4
	buffer_load_dword v96, v91, s[0:3], 0 offen
	ds_read_b64 v[93:94], v90
	v_add_u32_e32 v89, 1, v89
	v_cmp_lt_u32_e32 vcc, 8, v89
	v_add_u32_e32 v90, 8, v90
	v_add_u32_e32 v91, 8, v91
	s_or_b64 s[8:9], vcc, s[8:9]
	s_waitcnt vmcnt(1) lgkmcnt(0)
	v_mul_f32_e32 v97, v94, v95
	v_mul_f32_e32 v95, v93, v95
	s_waitcnt vmcnt(0)
	v_fma_f32 v93, v93, v96, -v97
	v_fmac_f32_e32 v95, v94, v96
	v_add_f32_e32 v92, v92, v93
	v_add_f32_e32 v86, v86, v95
	s_andn2_b64 exec, exec, s[8:9]
	s_cbranch_execnz .LBB105_53
; %bb.54:
	s_or_b64 exec, exec, s[8:9]
	v_mov_b32_e32 v89, 0
	ds_read_b64 v[89:90], v89 offset:80
	s_waitcnt lgkmcnt(0)
	v_mul_f32_e32 v91, v86, v90
	v_mul_f32_e32 v90, v92, v90
	v_fma_f32 v91, v92, v89, -v91
	v_fmac_f32_e32 v90, v86, v89
	buffer_store_dword v91, off, s[0:3], 0 offset:80
	buffer_store_dword v90, off, s[0:3], 0 offset:84
.LBB105_55:
	s_or_b64 exec, exec, s[4:5]
	; wave barrier
	buffer_load_dword v89, off, s[0:3], 0 offset:88
	buffer_load_dword v90, off, s[0:3], 0 offset:92
	v_cmp_gt_u32_e32 vcc, 11, v0
	s_waitcnt vmcnt(0)
	ds_write_b64 v88, v[89:90]
	s_waitcnt lgkmcnt(0)
	; wave barrier
	s_and_saveexec_b64 s[4:5], vcc
	s_cbranch_execz .LBB105_59
; %bb.56:
	v_add_u32_e32 v89, -1, v0
	v_add_u32_e32 v90, 0x150, v87
	v_mov_b32_e32 v91, v87
	v_mov_b32_e32 v86, 0
	s_mov_b64 s[8:9], 0
	v_mov_b32_e32 v92, 0
.LBB105_57:                             ; =>This Inner Loop Header: Depth=1
	buffer_load_dword v95, v91, s[0:3], 0 offen offset:4
	buffer_load_dword v96, v91, s[0:3], 0 offen
	ds_read_b64 v[93:94], v90
	v_add_u32_e32 v89, 1, v89
	v_cmp_lt_u32_e32 vcc, 9, v89
	v_add_u32_e32 v90, 8, v90
	v_add_u32_e32 v91, 8, v91
	s_or_b64 s[8:9], vcc, s[8:9]
	s_waitcnt vmcnt(1) lgkmcnt(0)
	v_mul_f32_e32 v97, v94, v95
	v_mul_f32_e32 v95, v93, v95
	s_waitcnt vmcnt(0)
	v_fma_f32 v93, v93, v96, -v97
	v_fmac_f32_e32 v95, v94, v96
	v_add_f32_e32 v92, v92, v93
	v_add_f32_e32 v86, v86, v95
	s_andn2_b64 exec, exec, s[8:9]
	s_cbranch_execnz .LBB105_57
; %bb.58:
	s_or_b64 exec, exec, s[8:9]
	v_mov_b32_e32 v89, 0
	ds_read_b64 v[89:90], v89 offset:88
	s_waitcnt lgkmcnt(0)
	v_mul_f32_e32 v91, v86, v90
	v_mul_f32_e32 v90, v92, v90
	v_fma_f32 v91, v92, v89, -v91
	v_fmac_f32_e32 v90, v86, v89
	buffer_store_dword v91, off, s[0:3], 0 offset:88
	buffer_store_dword v90, off, s[0:3], 0 offset:92
.LBB105_59:
	s_or_b64 exec, exec, s[4:5]
	; wave barrier
	buffer_load_dword v89, off, s[0:3], 0 offset:96
	buffer_load_dword v90, off, s[0:3], 0 offset:100
	v_cmp_gt_u32_e32 vcc, 12, v0
	s_waitcnt vmcnt(0)
	ds_write_b64 v88, v[89:90]
	s_waitcnt lgkmcnt(0)
	; wave barrier
	s_and_saveexec_b64 s[4:5], vcc
	s_cbranch_execz .LBB105_63
; %bb.60:
	v_add_u32_e32 v89, -1, v0
	v_add_u32_e32 v90, 0x150, v87
	v_mov_b32_e32 v91, v87
	v_mov_b32_e32 v86, 0
	s_mov_b64 s[8:9], 0
	v_mov_b32_e32 v92, 0
.LBB105_61:                             ; =>This Inner Loop Header: Depth=1
	buffer_load_dword v95, v91, s[0:3], 0 offen offset:4
	buffer_load_dword v96, v91, s[0:3], 0 offen
	ds_read_b64 v[93:94], v90
	v_add_u32_e32 v89, 1, v89
	v_cmp_lt_u32_e32 vcc, 10, v89
	v_add_u32_e32 v90, 8, v90
	v_add_u32_e32 v91, 8, v91
	s_or_b64 s[8:9], vcc, s[8:9]
	s_waitcnt vmcnt(1) lgkmcnt(0)
	v_mul_f32_e32 v97, v94, v95
	v_mul_f32_e32 v95, v93, v95
	s_waitcnt vmcnt(0)
	v_fma_f32 v93, v93, v96, -v97
	v_fmac_f32_e32 v95, v94, v96
	v_add_f32_e32 v92, v92, v93
	v_add_f32_e32 v86, v86, v95
	s_andn2_b64 exec, exec, s[8:9]
	s_cbranch_execnz .LBB105_61
; %bb.62:
	s_or_b64 exec, exec, s[8:9]
	v_mov_b32_e32 v89, 0
	ds_read_b64 v[89:90], v89 offset:96
	s_waitcnt lgkmcnt(0)
	v_mul_f32_e32 v91, v86, v90
	v_mul_f32_e32 v90, v92, v90
	v_fma_f32 v91, v92, v89, -v91
	v_fmac_f32_e32 v90, v86, v89
	buffer_store_dword v91, off, s[0:3], 0 offset:96
	buffer_store_dword v90, off, s[0:3], 0 offset:100
.LBB105_63:
	s_or_b64 exec, exec, s[4:5]
	; wave barrier
	buffer_load_dword v89, off, s[0:3], 0 offset:104
	buffer_load_dword v90, off, s[0:3], 0 offset:108
	v_cmp_gt_u32_e32 vcc, 13, v0
	s_waitcnt vmcnt(0)
	ds_write_b64 v88, v[89:90]
	s_waitcnt lgkmcnt(0)
	; wave barrier
	s_and_saveexec_b64 s[4:5], vcc
	s_cbranch_execz .LBB105_67
; %bb.64:
	v_add_u32_e32 v89, -1, v0
	v_add_u32_e32 v90, 0x150, v87
	v_mov_b32_e32 v91, v87
	v_mov_b32_e32 v86, 0
	s_mov_b64 s[8:9], 0
	v_mov_b32_e32 v92, 0
.LBB105_65:                             ; =>This Inner Loop Header: Depth=1
	buffer_load_dword v95, v91, s[0:3], 0 offen offset:4
	buffer_load_dword v96, v91, s[0:3], 0 offen
	ds_read_b64 v[93:94], v90
	v_add_u32_e32 v89, 1, v89
	v_cmp_lt_u32_e32 vcc, 11, v89
	v_add_u32_e32 v90, 8, v90
	v_add_u32_e32 v91, 8, v91
	s_or_b64 s[8:9], vcc, s[8:9]
	s_waitcnt vmcnt(1) lgkmcnt(0)
	v_mul_f32_e32 v97, v94, v95
	v_mul_f32_e32 v95, v93, v95
	s_waitcnt vmcnt(0)
	v_fma_f32 v93, v93, v96, -v97
	v_fmac_f32_e32 v95, v94, v96
	v_add_f32_e32 v92, v92, v93
	v_add_f32_e32 v86, v86, v95
	s_andn2_b64 exec, exec, s[8:9]
	s_cbranch_execnz .LBB105_65
; %bb.66:
	s_or_b64 exec, exec, s[8:9]
	v_mov_b32_e32 v89, 0
	ds_read_b64 v[89:90], v89 offset:104
	s_waitcnt lgkmcnt(0)
	v_mul_f32_e32 v91, v86, v90
	v_mul_f32_e32 v90, v92, v90
	v_fma_f32 v91, v92, v89, -v91
	v_fmac_f32_e32 v90, v86, v89
	buffer_store_dword v91, off, s[0:3], 0 offset:104
	buffer_store_dword v90, off, s[0:3], 0 offset:108
.LBB105_67:
	s_or_b64 exec, exec, s[4:5]
	; wave barrier
	buffer_load_dword v89, off, s[0:3], 0 offset:112
	buffer_load_dword v90, off, s[0:3], 0 offset:116
	v_cmp_gt_u32_e32 vcc, 14, v0
	s_waitcnt vmcnt(0)
	ds_write_b64 v88, v[89:90]
	s_waitcnt lgkmcnt(0)
	; wave barrier
	s_and_saveexec_b64 s[4:5], vcc
	s_cbranch_execz .LBB105_71
; %bb.68:
	v_add_u32_e32 v89, -1, v0
	v_add_u32_e32 v90, 0x150, v87
	v_mov_b32_e32 v91, v87
	v_mov_b32_e32 v86, 0
	s_mov_b64 s[8:9], 0
	v_mov_b32_e32 v92, 0
.LBB105_69:                             ; =>This Inner Loop Header: Depth=1
	buffer_load_dword v95, v91, s[0:3], 0 offen offset:4
	buffer_load_dword v96, v91, s[0:3], 0 offen
	ds_read_b64 v[93:94], v90
	v_add_u32_e32 v89, 1, v89
	v_cmp_lt_u32_e32 vcc, 12, v89
	v_add_u32_e32 v90, 8, v90
	v_add_u32_e32 v91, 8, v91
	s_or_b64 s[8:9], vcc, s[8:9]
	s_waitcnt vmcnt(1) lgkmcnt(0)
	v_mul_f32_e32 v97, v94, v95
	v_mul_f32_e32 v95, v93, v95
	s_waitcnt vmcnt(0)
	v_fma_f32 v93, v93, v96, -v97
	v_fmac_f32_e32 v95, v94, v96
	v_add_f32_e32 v92, v92, v93
	v_add_f32_e32 v86, v86, v95
	s_andn2_b64 exec, exec, s[8:9]
	s_cbranch_execnz .LBB105_69
; %bb.70:
	s_or_b64 exec, exec, s[8:9]
	v_mov_b32_e32 v89, 0
	ds_read_b64 v[89:90], v89 offset:112
	s_waitcnt lgkmcnt(0)
	v_mul_f32_e32 v91, v86, v90
	v_mul_f32_e32 v90, v92, v90
	v_fma_f32 v91, v92, v89, -v91
	v_fmac_f32_e32 v90, v86, v89
	buffer_store_dword v91, off, s[0:3], 0 offset:112
	buffer_store_dword v90, off, s[0:3], 0 offset:116
.LBB105_71:
	s_or_b64 exec, exec, s[4:5]
	; wave barrier
	buffer_load_dword v89, off, s[0:3], 0 offset:120
	buffer_load_dword v90, off, s[0:3], 0 offset:124
	v_cmp_gt_u32_e32 vcc, 15, v0
	s_waitcnt vmcnt(0)
	ds_write_b64 v88, v[89:90]
	s_waitcnt lgkmcnt(0)
	; wave barrier
	s_and_saveexec_b64 s[4:5], vcc
	s_cbranch_execz .LBB105_75
; %bb.72:
	v_add_u32_e32 v89, -1, v0
	v_add_u32_e32 v90, 0x150, v87
	v_mov_b32_e32 v91, v87
	v_mov_b32_e32 v86, 0
	s_mov_b64 s[8:9], 0
	v_mov_b32_e32 v92, 0
.LBB105_73:                             ; =>This Inner Loop Header: Depth=1
	buffer_load_dword v95, v91, s[0:3], 0 offen offset:4
	buffer_load_dword v96, v91, s[0:3], 0 offen
	ds_read_b64 v[93:94], v90
	v_add_u32_e32 v89, 1, v89
	v_cmp_lt_u32_e32 vcc, 13, v89
	v_add_u32_e32 v90, 8, v90
	v_add_u32_e32 v91, 8, v91
	s_or_b64 s[8:9], vcc, s[8:9]
	s_waitcnt vmcnt(1) lgkmcnt(0)
	v_mul_f32_e32 v97, v94, v95
	v_mul_f32_e32 v95, v93, v95
	s_waitcnt vmcnt(0)
	v_fma_f32 v93, v93, v96, -v97
	v_fmac_f32_e32 v95, v94, v96
	v_add_f32_e32 v92, v92, v93
	v_add_f32_e32 v86, v86, v95
	s_andn2_b64 exec, exec, s[8:9]
	s_cbranch_execnz .LBB105_73
; %bb.74:
	s_or_b64 exec, exec, s[8:9]
	v_mov_b32_e32 v89, 0
	ds_read_b64 v[89:90], v89 offset:120
	s_waitcnt lgkmcnt(0)
	v_mul_f32_e32 v91, v86, v90
	v_mul_f32_e32 v90, v92, v90
	v_fma_f32 v91, v92, v89, -v91
	v_fmac_f32_e32 v90, v86, v89
	buffer_store_dword v91, off, s[0:3], 0 offset:120
	buffer_store_dword v90, off, s[0:3], 0 offset:124
.LBB105_75:
	s_or_b64 exec, exec, s[4:5]
	; wave barrier
	buffer_load_dword v89, off, s[0:3], 0 offset:128
	buffer_load_dword v90, off, s[0:3], 0 offset:132
	v_cmp_gt_u32_e32 vcc, 16, v0
	s_waitcnt vmcnt(0)
	ds_write_b64 v88, v[89:90]
	s_waitcnt lgkmcnt(0)
	; wave barrier
	s_and_saveexec_b64 s[4:5], vcc
	s_cbranch_execz .LBB105_79
; %bb.76:
	v_add_u32_e32 v89, -1, v0
	v_add_u32_e32 v90, 0x150, v87
	v_mov_b32_e32 v91, v87
	v_mov_b32_e32 v86, 0
	s_mov_b64 s[8:9], 0
	v_mov_b32_e32 v92, 0
.LBB105_77:                             ; =>This Inner Loop Header: Depth=1
	buffer_load_dword v95, v91, s[0:3], 0 offen offset:4
	buffer_load_dword v96, v91, s[0:3], 0 offen
	ds_read_b64 v[93:94], v90
	v_add_u32_e32 v89, 1, v89
	v_cmp_lt_u32_e32 vcc, 14, v89
	v_add_u32_e32 v90, 8, v90
	v_add_u32_e32 v91, 8, v91
	s_or_b64 s[8:9], vcc, s[8:9]
	s_waitcnt vmcnt(1) lgkmcnt(0)
	v_mul_f32_e32 v97, v94, v95
	v_mul_f32_e32 v95, v93, v95
	s_waitcnt vmcnt(0)
	v_fma_f32 v93, v93, v96, -v97
	v_fmac_f32_e32 v95, v94, v96
	v_add_f32_e32 v92, v92, v93
	v_add_f32_e32 v86, v86, v95
	s_andn2_b64 exec, exec, s[8:9]
	s_cbranch_execnz .LBB105_77
; %bb.78:
	s_or_b64 exec, exec, s[8:9]
	v_mov_b32_e32 v89, 0
	ds_read_b64 v[89:90], v89 offset:128
	s_waitcnt lgkmcnt(0)
	v_mul_f32_e32 v91, v86, v90
	v_mul_f32_e32 v90, v92, v90
	v_fma_f32 v91, v92, v89, -v91
	v_fmac_f32_e32 v90, v86, v89
	buffer_store_dword v91, off, s[0:3], 0 offset:128
	buffer_store_dword v90, off, s[0:3], 0 offset:132
.LBB105_79:
	s_or_b64 exec, exec, s[4:5]
	; wave barrier
	buffer_load_dword v89, off, s[0:3], 0 offset:136
	buffer_load_dword v90, off, s[0:3], 0 offset:140
	v_cmp_gt_u32_e32 vcc, 17, v0
	s_waitcnt vmcnt(0)
	ds_write_b64 v88, v[89:90]
	s_waitcnt lgkmcnt(0)
	; wave barrier
	s_and_saveexec_b64 s[4:5], vcc
	s_cbranch_execz .LBB105_83
; %bb.80:
	v_add_u32_e32 v89, -1, v0
	v_add_u32_e32 v90, 0x150, v87
	v_mov_b32_e32 v91, v87
	v_mov_b32_e32 v86, 0
	s_mov_b64 s[8:9], 0
	v_mov_b32_e32 v92, 0
.LBB105_81:                             ; =>This Inner Loop Header: Depth=1
	buffer_load_dword v95, v91, s[0:3], 0 offen offset:4
	buffer_load_dword v96, v91, s[0:3], 0 offen
	ds_read_b64 v[93:94], v90
	v_add_u32_e32 v89, 1, v89
	v_cmp_lt_u32_e32 vcc, 15, v89
	v_add_u32_e32 v90, 8, v90
	v_add_u32_e32 v91, 8, v91
	s_or_b64 s[8:9], vcc, s[8:9]
	s_waitcnt vmcnt(1) lgkmcnt(0)
	v_mul_f32_e32 v97, v94, v95
	v_mul_f32_e32 v95, v93, v95
	s_waitcnt vmcnt(0)
	v_fma_f32 v93, v93, v96, -v97
	v_fmac_f32_e32 v95, v94, v96
	v_add_f32_e32 v92, v92, v93
	v_add_f32_e32 v86, v86, v95
	s_andn2_b64 exec, exec, s[8:9]
	s_cbranch_execnz .LBB105_81
; %bb.82:
	s_or_b64 exec, exec, s[8:9]
	v_mov_b32_e32 v89, 0
	ds_read_b64 v[89:90], v89 offset:136
	s_waitcnt lgkmcnt(0)
	v_mul_f32_e32 v91, v86, v90
	v_mul_f32_e32 v90, v92, v90
	v_fma_f32 v91, v92, v89, -v91
	v_fmac_f32_e32 v90, v86, v89
	buffer_store_dword v91, off, s[0:3], 0 offset:136
	buffer_store_dword v90, off, s[0:3], 0 offset:140
.LBB105_83:
	s_or_b64 exec, exec, s[4:5]
	; wave barrier
	buffer_load_dword v89, off, s[0:3], 0 offset:144
	buffer_load_dword v90, off, s[0:3], 0 offset:148
	v_cmp_gt_u32_e32 vcc, 18, v0
	s_waitcnt vmcnt(0)
	ds_write_b64 v88, v[89:90]
	s_waitcnt lgkmcnt(0)
	; wave barrier
	s_and_saveexec_b64 s[4:5], vcc
	s_cbranch_execz .LBB105_87
; %bb.84:
	v_add_u32_e32 v89, -1, v0
	v_add_u32_e32 v90, 0x150, v87
	v_mov_b32_e32 v91, v87
	v_mov_b32_e32 v86, 0
	s_mov_b64 s[8:9], 0
	v_mov_b32_e32 v92, 0
.LBB105_85:                             ; =>This Inner Loop Header: Depth=1
	buffer_load_dword v95, v91, s[0:3], 0 offen offset:4
	buffer_load_dword v96, v91, s[0:3], 0 offen
	ds_read_b64 v[93:94], v90
	v_add_u32_e32 v89, 1, v89
	v_cmp_lt_u32_e32 vcc, 16, v89
	v_add_u32_e32 v90, 8, v90
	v_add_u32_e32 v91, 8, v91
	s_or_b64 s[8:9], vcc, s[8:9]
	s_waitcnt vmcnt(1) lgkmcnt(0)
	v_mul_f32_e32 v97, v94, v95
	v_mul_f32_e32 v95, v93, v95
	s_waitcnt vmcnt(0)
	v_fma_f32 v93, v93, v96, -v97
	v_fmac_f32_e32 v95, v94, v96
	v_add_f32_e32 v92, v92, v93
	v_add_f32_e32 v86, v86, v95
	s_andn2_b64 exec, exec, s[8:9]
	s_cbranch_execnz .LBB105_85
; %bb.86:
	s_or_b64 exec, exec, s[8:9]
	v_mov_b32_e32 v89, 0
	ds_read_b64 v[89:90], v89 offset:144
	s_waitcnt lgkmcnt(0)
	v_mul_f32_e32 v91, v86, v90
	v_mul_f32_e32 v90, v92, v90
	v_fma_f32 v91, v92, v89, -v91
	v_fmac_f32_e32 v90, v86, v89
	buffer_store_dword v91, off, s[0:3], 0 offset:144
	buffer_store_dword v90, off, s[0:3], 0 offset:148
.LBB105_87:
	s_or_b64 exec, exec, s[4:5]
	; wave barrier
	buffer_load_dword v89, off, s[0:3], 0 offset:152
	buffer_load_dword v90, off, s[0:3], 0 offset:156
	v_cmp_gt_u32_e32 vcc, 19, v0
	s_waitcnt vmcnt(0)
	ds_write_b64 v88, v[89:90]
	s_waitcnt lgkmcnt(0)
	; wave barrier
	s_and_saveexec_b64 s[4:5], vcc
	s_cbranch_execz .LBB105_91
; %bb.88:
	v_add_u32_e32 v89, -1, v0
	v_add_u32_e32 v90, 0x150, v87
	v_mov_b32_e32 v91, v87
	v_mov_b32_e32 v86, 0
	s_mov_b64 s[8:9], 0
	v_mov_b32_e32 v92, 0
.LBB105_89:                             ; =>This Inner Loop Header: Depth=1
	buffer_load_dword v95, v91, s[0:3], 0 offen offset:4
	buffer_load_dword v96, v91, s[0:3], 0 offen
	ds_read_b64 v[93:94], v90
	v_add_u32_e32 v89, 1, v89
	v_cmp_lt_u32_e32 vcc, 17, v89
	v_add_u32_e32 v90, 8, v90
	v_add_u32_e32 v91, 8, v91
	s_or_b64 s[8:9], vcc, s[8:9]
	s_waitcnt vmcnt(1) lgkmcnt(0)
	v_mul_f32_e32 v97, v94, v95
	v_mul_f32_e32 v95, v93, v95
	s_waitcnt vmcnt(0)
	v_fma_f32 v93, v93, v96, -v97
	v_fmac_f32_e32 v95, v94, v96
	v_add_f32_e32 v92, v92, v93
	v_add_f32_e32 v86, v86, v95
	s_andn2_b64 exec, exec, s[8:9]
	s_cbranch_execnz .LBB105_89
; %bb.90:
	s_or_b64 exec, exec, s[8:9]
	v_mov_b32_e32 v89, 0
	ds_read_b64 v[89:90], v89 offset:152
	s_waitcnt lgkmcnt(0)
	v_mul_f32_e32 v91, v86, v90
	v_mul_f32_e32 v90, v92, v90
	v_fma_f32 v91, v92, v89, -v91
	v_fmac_f32_e32 v90, v86, v89
	buffer_store_dword v91, off, s[0:3], 0 offset:152
	buffer_store_dword v90, off, s[0:3], 0 offset:156
.LBB105_91:
	s_or_b64 exec, exec, s[4:5]
	; wave barrier
	buffer_load_dword v89, off, s[0:3], 0 offset:160
	buffer_load_dword v90, off, s[0:3], 0 offset:164
	v_cmp_gt_u32_e32 vcc, 20, v0
	s_waitcnt vmcnt(0)
	ds_write_b64 v88, v[89:90]
	s_waitcnt lgkmcnt(0)
	; wave barrier
	s_and_saveexec_b64 s[4:5], vcc
	s_cbranch_execz .LBB105_95
; %bb.92:
	v_add_u32_e32 v89, -1, v0
	v_add_u32_e32 v90, 0x150, v87
	v_mov_b32_e32 v91, v87
	v_mov_b32_e32 v86, 0
	s_mov_b64 s[8:9], 0
	v_mov_b32_e32 v92, 0
.LBB105_93:                             ; =>This Inner Loop Header: Depth=1
	buffer_load_dword v95, v91, s[0:3], 0 offen offset:4
	buffer_load_dword v96, v91, s[0:3], 0 offen
	ds_read_b64 v[93:94], v90
	v_add_u32_e32 v89, 1, v89
	v_cmp_lt_u32_e32 vcc, 18, v89
	v_add_u32_e32 v90, 8, v90
	v_add_u32_e32 v91, 8, v91
	s_or_b64 s[8:9], vcc, s[8:9]
	s_waitcnt vmcnt(1) lgkmcnt(0)
	v_mul_f32_e32 v97, v94, v95
	v_mul_f32_e32 v95, v93, v95
	s_waitcnt vmcnt(0)
	v_fma_f32 v93, v93, v96, -v97
	v_fmac_f32_e32 v95, v94, v96
	v_add_f32_e32 v92, v92, v93
	v_add_f32_e32 v86, v86, v95
	s_andn2_b64 exec, exec, s[8:9]
	s_cbranch_execnz .LBB105_93
; %bb.94:
	s_or_b64 exec, exec, s[8:9]
	v_mov_b32_e32 v89, 0
	ds_read_b64 v[89:90], v89 offset:160
	s_waitcnt lgkmcnt(0)
	v_mul_f32_e32 v91, v86, v90
	v_mul_f32_e32 v90, v92, v90
	v_fma_f32 v91, v92, v89, -v91
	v_fmac_f32_e32 v90, v86, v89
	buffer_store_dword v91, off, s[0:3], 0 offset:160
	buffer_store_dword v90, off, s[0:3], 0 offset:164
.LBB105_95:
	s_or_b64 exec, exec, s[4:5]
	; wave barrier
	buffer_load_dword v89, off, s[0:3], 0 offset:168
	buffer_load_dword v90, off, s[0:3], 0 offset:172
	v_cmp_gt_u32_e32 vcc, 21, v0
	s_waitcnt vmcnt(0)
	ds_write_b64 v88, v[89:90]
	s_waitcnt lgkmcnt(0)
	; wave barrier
	s_and_saveexec_b64 s[4:5], vcc
	s_cbranch_execz .LBB105_99
; %bb.96:
	v_add_u32_e32 v89, -1, v0
	v_add_u32_e32 v90, 0x150, v87
	v_mov_b32_e32 v91, v87
	v_mov_b32_e32 v86, 0
	s_mov_b64 s[8:9], 0
	v_mov_b32_e32 v92, 0
.LBB105_97:                             ; =>This Inner Loop Header: Depth=1
	buffer_load_dword v95, v91, s[0:3], 0 offen offset:4
	buffer_load_dword v96, v91, s[0:3], 0 offen
	ds_read_b64 v[93:94], v90
	v_add_u32_e32 v89, 1, v89
	v_cmp_lt_u32_e32 vcc, 19, v89
	v_add_u32_e32 v90, 8, v90
	v_add_u32_e32 v91, 8, v91
	s_or_b64 s[8:9], vcc, s[8:9]
	s_waitcnt vmcnt(1) lgkmcnt(0)
	v_mul_f32_e32 v97, v94, v95
	v_mul_f32_e32 v95, v93, v95
	s_waitcnt vmcnt(0)
	v_fma_f32 v93, v93, v96, -v97
	v_fmac_f32_e32 v95, v94, v96
	v_add_f32_e32 v92, v92, v93
	v_add_f32_e32 v86, v86, v95
	s_andn2_b64 exec, exec, s[8:9]
	s_cbranch_execnz .LBB105_97
; %bb.98:
	s_or_b64 exec, exec, s[8:9]
	v_mov_b32_e32 v89, 0
	ds_read_b64 v[89:90], v89 offset:168
	s_waitcnt lgkmcnt(0)
	v_mul_f32_e32 v91, v86, v90
	v_mul_f32_e32 v90, v92, v90
	v_fma_f32 v91, v92, v89, -v91
	v_fmac_f32_e32 v90, v86, v89
	buffer_store_dword v91, off, s[0:3], 0 offset:168
	buffer_store_dword v90, off, s[0:3], 0 offset:172
.LBB105_99:
	s_or_b64 exec, exec, s[4:5]
	; wave barrier
	buffer_load_dword v89, off, s[0:3], 0 offset:176
	buffer_load_dword v90, off, s[0:3], 0 offset:180
	v_cmp_gt_u32_e32 vcc, 22, v0
	s_waitcnt vmcnt(0)
	ds_write_b64 v88, v[89:90]
	s_waitcnt lgkmcnt(0)
	; wave barrier
	s_and_saveexec_b64 s[4:5], vcc
	s_cbranch_execz .LBB105_103
; %bb.100:
	v_add_u32_e32 v89, -1, v0
	v_add_u32_e32 v90, 0x150, v87
	v_mov_b32_e32 v91, v87
	v_mov_b32_e32 v86, 0
	s_mov_b64 s[8:9], 0
	v_mov_b32_e32 v92, 0
.LBB105_101:                            ; =>This Inner Loop Header: Depth=1
	buffer_load_dword v95, v91, s[0:3], 0 offen offset:4
	buffer_load_dword v96, v91, s[0:3], 0 offen
	ds_read_b64 v[93:94], v90
	v_add_u32_e32 v89, 1, v89
	v_cmp_lt_u32_e32 vcc, 20, v89
	v_add_u32_e32 v90, 8, v90
	v_add_u32_e32 v91, 8, v91
	s_or_b64 s[8:9], vcc, s[8:9]
	s_waitcnt vmcnt(1) lgkmcnt(0)
	v_mul_f32_e32 v97, v94, v95
	v_mul_f32_e32 v95, v93, v95
	s_waitcnt vmcnt(0)
	v_fma_f32 v93, v93, v96, -v97
	v_fmac_f32_e32 v95, v94, v96
	v_add_f32_e32 v92, v92, v93
	v_add_f32_e32 v86, v86, v95
	s_andn2_b64 exec, exec, s[8:9]
	s_cbranch_execnz .LBB105_101
; %bb.102:
	s_or_b64 exec, exec, s[8:9]
	v_mov_b32_e32 v89, 0
	ds_read_b64 v[89:90], v89 offset:176
	s_waitcnt lgkmcnt(0)
	v_mul_f32_e32 v91, v86, v90
	v_mul_f32_e32 v90, v92, v90
	v_fma_f32 v91, v92, v89, -v91
	v_fmac_f32_e32 v90, v86, v89
	buffer_store_dword v91, off, s[0:3], 0 offset:176
	buffer_store_dword v90, off, s[0:3], 0 offset:180
.LBB105_103:
	s_or_b64 exec, exec, s[4:5]
	; wave barrier
	buffer_load_dword v89, off, s[0:3], 0 offset:184
	buffer_load_dword v90, off, s[0:3], 0 offset:188
	v_cmp_gt_u32_e32 vcc, 23, v0
	s_waitcnt vmcnt(0)
	ds_write_b64 v88, v[89:90]
	s_waitcnt lgkmcnt(0)
	; wave barrier
	s_and_saveexec_b64 s[4:5], vcc
	s_cbranch_execz .LBB105_107
; %bb.104:
	v_add_u32_e32 v89, -1, v0
	v_add_u32_e32 v90, 0x150, v87
	v_mov_b32_e32 v91, v87
	v_mov_b32_e32 v86, 0
	s_mov_b64 s[8:9], 0
	v_mov_b32_e32 v92, 0
.LBB105_105:                            ; =>This Inner Loop Header: Depth=1
	buffer_load_dword v95, v91, s[0:3], 0 offen offset:4
	buffer_load_dword v96, v91, s[0:3], 0 offen
	ds_read_b64 v[93:94], v90
	v_add_u32_e32 v89, 1, v89
	v_cmp_lt_u32_e32 vcc, 21, v89
	v_add_u32_e32 v90, 8, v90
	v_add_u32_e32 v91, 8, v91
	s_or_b64 s[8:9], vcc, s[8:9]
	s_waitcnt vmcnt(1) lgkmcnt(0)
	v_mul_f32_e32 v97, v94, v95
	v_mul_f32_e32 v95, v93, v95
	s_waitcnt vmcnt(0)
	v_fma_f32 v93, v93, v96, -v97
	v_fmac_f32_e32 v95, v94, v96
	v_add_f32_e32 v92, v92, v93
	v_add_f32_e32 v86, v86, v95
	s_andn2_b64 exec, exec, s[8:9]
	s_cbranch_execnz .LBB105_105
; %bb.106:
	s_or_b64 exec, exec, s[8:9]
	v_mov_b32_e32 v89, 0
	ds_read_b64 v[89:90], v89 offset:184
	s_waitcnt lgkmcnt(0)
	v_mul_f32_e32 v91, v86, v90
	v_mul_f32_e32 v90, v92, v90
	v_fma_f32 v91, v92, v89, -v91
	v_fmac_f32_e32 v90, v86, v89
	buffer_store_dword v91, off, s[0:3], 0 offset:184
	buffer_store_dword v90, off, s[0:3], 0 offset:188
.LBB105_107:
	s_or_b64 exec, exec, s[4:5]
	; wave barrier
	buffer_load_dword v89, off, s[0:3], 0 offset:192
	buffer_load_dword v90, off, s[0:3], 0 offset:196
	v_cmp_gt_u32_e32 vcc, 24, v0
	s_waitcnt vmcnt(0)
	ds_write_b64 v88, v[89:90]
	;; [unrolled: 49-line block ×18, first 2 shown]
	s_waitcnt lgkmcnt(0)
	; wave barrier
	s_and_saveexec_b64 s[4:5], vcc
	s_cbranch_execz .LBB105_175
; %bb.172:
	v_add_u32_e32 v89, -1, v0
	v_add_u32_e32 v90, 0x150, v87
	v_mov_b32_e32 v91, v87
	v_mov_b32_e32 v86, 0
	s_mov_b64 s[8:9], 0
	v_mov_b32_e32 v92, 0
.LBB105_173:                            ; =>This Inner Loop Header: Depth=1
	buffer_load_dword v95, v91, s[0:3], 0 offen offset:4
	buffer_load_dword v96, v91, s[0:3], 0 offen
	ds_read_b64 v[93:94], v90
	v_add_u32_e32 v89, 1, v89
	v_cmp_lt_u32_e32 vcc, 38, v89
	v_add_u32_e32 v90, 8, v90
	v_add_u32_e32 v91, 8, v91
	s_or_b64 s[8:9], vcc, s[8:9]
	s_waitcnt vmcnt(1) lgkmcnt(0)
	v_mul_f32_e32 v97, v94, v95
	v_mul_f32_e32 v95, v93, v95
	s_waitcnt vmcnt(0)
	v_fma_f32 v93, v93, v96, -v97
	v_fmac_f32_e32 v95, v94, v96
	v_add_f32_e32 v92, v92, v93
	v_add_f32_e32 v86, v86, v95
	s_andn2_b64 exec, exec, s[8:9]
	s_cbranch_execnz .LBB105_173
; %bb.174:
	s_or_b64 exec, exec, s[8:9]
	v_mov_b32_e32 v89, 0
	ds_read_b64 v[89:90], v89 offset:320
	s_waitcnt lgkmcnt(0)
	v_mul_f32_e32 v91, v86, v90
	v_mul_f32_e32 v90, v92, v90
	v_fma_f32 v91, v92, v89, -v91
	v_fmac_f32_e32 v90, v86, v89
	buffer_store_dword v91, off, s[0:3], 0 offset:320
	buffer_store_dword v90, off, s[0:3], 0 offset:324
.LBB105_175:
	s_or_b64 exec, exec, s[4:5]
	; wave barrier
	buffer_load_dword v89, off, s[0:3], 0 offset:328
	buffer_load_dword v90, off, s[0:3], 0 offset:332
	v_cmp_ne_u32_e32 vcc, 41, v0
	s_waitcnt vmcnt(0)
	ds_write_b64 v88, v[89:90]
	s_waitcnt lgkmcnt(0)
	; wave barrier
	s_and_saveexec_b64 s[4:5], vcc
	s_cbranch_execz .LBB105_179
; %bb.176:
	v_add_u32_e32 v88, 0x150, v87
	v_mov_b32_e32 v86, 0
	s_mov_b64 s[8:9], 0
	v_mov_b32_e32 v89, 0
.LBB105_177:                            ; =>This Inner Loop Header: Depth=1
	buffer_load_dword v92, v87, s[0:3], 0 offen offset:4
	buffer_load_dword v93, v87, s[0:3], 0 offen
	ds_read_b64 v[90:91], v88
	v_add_u32_e32 v85, 1, v85
	v_cmp_lt_u32_e32 vcc, 39, v85
	v_add_u32_e32 v88, 8, v88
	v_add_u32_e32 v87, 8, v87
	s_or_b64 s[8:9], vcc, s[8:9]
	s_waitcnt vmcnt(1) lgkmcnt(0)
	v_mul_f32_e32 v94, v91, v92
	v_mul_f32_e32 v92, v90, v92
	s_waitcnt vmcnt(0)
	v_fma_f32 v90, v90, v93, -v94
	v_fmac_f32_e32 v92, v91, v93
	v_add_f32_e32 v89, v89, v90
	v_add_f32_e32 v86, v86, v92
	s_andn2_b64 exec, exec, s[8:9]
	s_cbranch_execnz .LBB105_177
; %bb.178:
	s_or_b64 exec, exec, s[8:9]
	v_mov_b32_e32 v85, 0
	ds_read_b64 v[87:88], v85 offset:328
	s_waitcnt lgkmcnt(0)
	v_mul_f32_e32 v85, v86, v88
	v_mul_f32_e32 v88, v89, v88
	v_fma_f32 v85, v89, v87, -v85
	v_fmac_f32_e32 v88, v86, v87
	buffer_store_dword v85, off, s[0:3], 0 offset:328
	buffer_store_dword v88, off, s[0:3], 0 offset:332
.LBB105_179:
	s_or_b64 exec, exec, s[4:5]
	s_mov_b64 s[8:9], -1
	; wave barrier
.LBB105_180:
	s_and_b64 vcc, exec, s[8:9]
	s_cbranch_vccz .LBB105_182
; %bb.181:
	s_lshl_b64 s[4:5], s[6:7], 2
	s_add_u32 s4, s10, s4
	s_addc_u32 s5, s11, s5
	v_mov_b32_e32 v85, 0
	global_load_dword v85, v85, s[4:5]
	s_waitcnt vmcnt(0)
	v_cmp_ne_u32_e32 vcc, 0, v85
	s_cbranch_vccz .LBB105_183
.LBB105_182:
	s_endpgm
.LBB105_183:
	v_mov_b32_e32 v85, 0x150
	v_lshl_add_u32 v85, v0, 3, v85
	v_cmp_eq_u32_e32 vcc, 41, v0
	s_and_saveexec_b64 s[4:5], vcc
	s_cbranch_execz .LBB105_185
; %bb.184:
	buffer_load_dword v86, off, s[0:3], 0 offset:320
	buffer_load_dword v87, off, s[0:3], 0 offset:324
	v_mov_b32_e32 v88, 0
	buffer_store_dword v88, off, s[0:3], 0 offset:320
	buffer_store_dword v88, off, s[0:3], 0 offset:324
	s_waitcnt vmcnt(2)
	ds_write_b64 v85, v[86:87]
.LBB105_185:
	s_or_b64 exec, exec, s[4:5]
	s_waitcnt lgkmcnt(0)
	; wave barrier
	buffer_load_dword v89, off, s[0:3], 0 offset:332
	buffer_load_dword v90, off, s[0:3], 0 offset:328
	;; [unrolled: 1-line block ×4, first 2 shown]
	v_mov_b32_e32 v86, 0
	ds_read_b64 v[87:88], v86 offset:664
	v_cmp_lt_u32_e32 vcc, 39, v0
	s_waitcnt vmcnt(3) lgkmcnt(0)
	v_mul_f32_e32 v93, v87, v89
	v_mul_f32_e32 v89, v88, v89
	s_waitcnt vmcnt(2)
	v_fma_f32 v87, v87, v90, -v89
	v_fmac_f32_e32 v93, v88, v90
	v_add_f32_e32 v87, 0, v87
	v_add_f32_e32 v88, 0, v93
	s_waitcnt vmcnt(1)
	v_sub_f32_e32 v87, v91, v87
	s_waitcnt vmcnt(0)
	v_sub_f32_e32 v88, v92, v88
	buffer_store_dword v87, off, s[0:3], 0 offset:320
	buffer_store_dword v88, off, s[0:3], 0 offset:324
	s_and_saveexec_b64 s[4:5], vcc
	s_cbranch_execz .LBB105_187
; %bb.186:
	buffer_load_dword v87, off, s[0:3], 0 offset:312
	buffer_load_dword v88, off, s[0:3], 0 offset:316
	s_waitcnt vmcnt(0)
	ds_write_b64 v85, v[87:88]
	buffer_store_dword v86, off, s[0:3], 0 offset:312
	buffer_store_dword v86, off, s[0:3], 0 offset:316
.LBB105_187:
	s_or_b64 exec, exec, s[4:5]
	s_waitcnt lgkmcnt(0)
	; wave barrier
	buffer_load_dword v90, off, s[0:3], 0 offset:324
	buffer_load_dword v91, off, s[0:3], 0 offset:332
	buffer_load_dword v92, off, s[0:3], 0 offset:320
	buffer_load_dword v93, off, s[0:3], 0 offset:328
	buffer_load_dword v94, off, s[0:3], 0 offset:312
	buffer_load_dword v95, off, s[0:3], 0 offset:316
	ds_read_b128 v[86:89], v86 offset:656
	v_cmp_lt_u32_e32 vcc, 38, v0
	s_waitcnt vmcnt(5) lgkmcnt(0)
	v_mul_f32_e32 v96, v86, v90
	v_mul_f32_e32 v90, v87, v90
	s_waitcnt vmcnt(4)
	v_mul_f32_e32 v97, v88, v91
	v_mul_f32_e32 v91, v89, v91
	s_waitcnt vmcnt(3)
	v_fma_f32 v86, v86, v92, -v90
	v_fmac_f32_e32 v96, v87, v92
	s_waitcnt vmcnt(2)
	v_fma_f32 v87, v88, v93, -v91
	v_add_f32_e32 v86, 0, v86
	v_fmac_f32_e32 v97, v89, v93
	v_add_f32_e32 v88, 0, v96
	v_add_f32_e32 v86, v86, v87
	;; [unrolled: 1-line block ×3, first 2 shown]
	s_waitcnt vmcnt(1)
	v_sub_f32_e32 v86, v94, v86
	s_waitcnt vmcnt(0)
	v_sub_f32_e32 v87, v95, v88
	buffer_store_dword v86, off, s[0:3], 0 offset:312
	buffer_store_dword v87, off, s[0:3], 0 offset:316
	s_and_saveexec_b64 s[4:5], vcc
	s_cbranch_execz .LBB105_189
; %bb.188:
	buffer_load_dword v86, off, s[0:3], 0 offset:304
	buffer_load_dword v87, off, s[0:3], 0 offset:308
	v_mov_b32_e32 v88, 0
	buffer_store_dword v88, off, s[0:3], 0 offset:304
	buffer_store_dword v88, off, s[0:3], 0 offset:308
	s_waitcnt vmcnt(2)
	ds_write_b64 v85, v[86:87]
.LBB105_189:
	s_or_b64 exec, exec, s[4:5]
	s_waitcnt lgkmcnt(0)
	; wave barrier
	buffer_load_dword v93, off, s[0:3], 0 offset:316
	buffer_load_dword v94, off, s[0:3], 0 offset:324
	;; [unrolled: 1-line block ×8, first 2 shown]
	v_mov_b32_e32 v86, 0
	ds_read2_b64 v[87:90], v86 offset0:81 offset1:82
	ds_read_b64 v[91:92], v86 offset:664
	v_cmp_lt_u32_e32 vcc, 37, v0
	s_waitcnt vmcnt(7) lgkmcnt(1)
	v_mul_f32_e32 v101, v87, v93
	v_mul_f32_e32 v93, v88, v93
	s_waitcnt vmcnt(6)
	v_mul_f32_e32 v102, v89, v94
	v_mul_f32_e32 v94, v90, v94
	s_waitcnt vmcnt(4)
	v_fma_f32 v87, v87, v96, -v93
	s_waitcnt lgkmcnt(0)
	v_mul_f32_e32 v103, v91, v95
	v_mul_f32_e32 v95, v92, v95
	v_fmac_f32_e32 v101, v88, v96
	s_waitcnt vmcnt(3)
	v_fma_f32 v88, v89, v97, -v94
	v_add_f32_e32 v87, 0, v87
	v_fmac_f32_e32 v102, v90, v97
	s_waitcnt vmcnt(2)
	v_fma_f32 v89, v91, v98, -v95
	v_add_f32_e32 v90, 0, v101
	v_add_f32_e32 v87, v87, v88
	v_fmac_f32_e32 v103, v92, v98
	v_add_f32_e32 v90, v90, v102
	v_add_f32_e32 v87, v87, v89
	;; [unrolled: 1-line block ×3, first 2 shown]
	s_waitcnt vmcnt(1)
	v_sub_f32_e32 v87, v99, v87
	s_waitcnt vmcnt(0)
	v_sub_f32_e32 v88, v100, v88
	buffer_store_dword v87, off, s[0:3], 0 offset:304
	buffer_store_dword v88, off, s[0:3], 0 offset:308
	s_and_saveexec_b64 s[4:5], vcc
	s_cbranch_execz .LBB105_191
; %bb.190:
	buffer_load_dword v87, off, s[0:3], 0 offset:296
	buffer_load_dword v88, off, s[0:3], 0 offset:300
	s_waitcnt vmcnt(0)
	ds_write_b64 v85, v[87:88]
	buffer_store_dword v86, off, s[0:3], 0 offset:296
	buffer_store_dword v86, off, s[0:3], 0 offset:300
.LBB105_191:
	s_or_b64 exec, exec, s[4:5]
	s_waitcnt lgkmcnt(0)
	; wave barrier
	buffer_load_dword v95, off, s[0:3], 0 offset:308
	buffer_load_dword v96, off, s[0:3], 0 offset:316
	;; [unrolled: 1-line block ×10, first 2 shown]
	ds_read_b128 v[87:90], v86 offset:640
	ds_read_b128 v[91:94], v86 offset:656
	v_cmp_lt_u32_e32 vcc, 36, v0
	s_waitcnt vmcnt(9) lgkmcnt(1)
	v_mul_f32_e32 v86, v87, v95
	v_mul_f32_e32 v95, v88, v95
	s_waitcnt vmcnt(8)
	v_mul_f32_e32 v105, v89, v96
	v_mul_f32_e32 v96, v90, v96
	s_waitcnt vmcnt(5)
	v_fma_f32 v87, v87, v99, -v95
	s_waitcnt lgkmcnt(0)
	v_mul_f32_e32 v106, v91, v97
	v_mul_f32_e32 v97, v92, v97
	v_fmac_f32_e32 v86, v88, v99
	s_waitcnt vmcnt(4)
	v_fma_f32 v88, v89, v100, -v96
	v_add_f32_e32 v87, 0, v87
	v_mul_f32_e32 v107, v93, v98
	v_mul_f32_e32 v98, v94, v98
	v_fmac_f32_e32 v105, v90, v100
	s_waitcnt vmcnt(3)
	v_fma_f32 v89, v91, v101, -v97
	v_add_f32_e32 v86, 0, v86
	v_add_f32_e32 v87, v87, v88
	v_fmac_f32_e32 v106, v92, v101
	s_waitcnt vmcnt(2)
	v_fma_f32 v90, v93, v102, -v98
	v_add_f32_e32 v86, v86, v105
	v_add_f32_e32 v87, v87, v89
	v_fmac_f32_e32 v107, v94, v102
	v_add_f32_e32 v86, v86, v106
	v_add_f32_e32 v87, v87, v90
	;; [unrolled: 1-line block ×3, first 2 shown]
	s_waitcnt vmcnt(1)
	v_sub_f32_e32 v87, v103, v87
	s_waitcnt vmcnt(0)
	v_sub_f32_e32 v86, v104, v86
	buffer_store_dword v87, off, s[0:3], 0 offset:296
	buffer_store_dword v86, off, s[0:3], 0 offset:300
	s_and_saveexec_b64 s[4:5], vcc
	s_cbranch_execz .LBB105_193
; %bb.192:
	buffer_load_dword v86, off, s[0:3], 0 offset:288
	buffer_load_dword v87, off, s[0:3], 0 offset:292
	v_mov_b32_e32 v88, 0
	buffer_store_dword v88, off, s[0:3], 0 offset:288
	buffer_store_dword v88, off, s[0:3], 0 offset:292
	s_waitcnt vmcnt(2)
	ds_write_b64 v85, v[86:87]
.LBB105_193:
	s_or_b64 exec, exec, s[4:5]
	s_waitcnt lgkmcnt(0)
	; wave barrier
	buffer_load_dword v97, off, s[0:3], 0 offset:300
	buffer_load_dword v98, off, s[0:3], 0 offset:308
	;; [unrolled: 1-line block ×12, first 2 shown]
	v_mov_b32_e32 v86, 0
	ds_read2_b64 v[87:90], v86 offset0:79 offset1:80
	ds_read2_b64 v[91:94], v86 offset0:81 offset1:82
	ds_read_b64 v[95:96], v86 offset:664
	v_cmp_lt_u32_e32 vcc, 35, v0
	s_waitcnt vmcnt(11) lgkmcnt(2)
	v_mul_f32_e32 v109, v87, v97
	v_mul_f32_e32 v97, v88, v97
	s_waitcnt vmcnt(10)
	v_mul_f32_e32 v110, v89, v98
	v_mul_f32_e32 v98, v90, v98
	s_waitcnt vmcnt(9) lgkmcnt(1)
	v_mul_f32_e32 v111, v91, v99
	s_waitcnt vmcnt(6)
	v_fma_f32 v87, v87, v102, -v97
	v_mul_f32_e32 v99, v92, v99
	v_fmac_f32_e32 v109, v88, v102
	s_waitcnt vmcnt(5)
	v_fma_f32 v88, v89, v103, -v98
	v_add_f32_e32 v87, 0, v87
	v_mul_f32_e32 v112, v93, v100
	v_mul_f32_e32 v100, v94, v100
	v_fmac_f32_e32 v110, v90, v103
	s_waitcnt vmcnt(4)
	v_fmac_f32_e32 v111, v92, v104
	v_fma_f32 v89, v91, v104, -v99
	v_add_f32_e32 v92, 0, v109
	v_add_f32_e32 v87, v87, v88
	s_waitcnt lgkmcnt(0)
	v_mul_f32_e32 v113, v95, v101
	v_mul_f32_e32 v101, v96, v101
	s_waitcnt vmcnt(3)
	v_fma_f32 v90, v93, v105, -v100
	v_add_f32_e32 v92, v92, v110
	v_add_f32_e32 v87, v87, v89
	v_fmac_f32_e32 v112, v94, v105
	s_waitcnt vmcnt(2)
	v_fma_f32 v91, v95, v106, -v101
	v_add_f32_e32 v88, v92, v111
	v_add_f32_e32 v87, v87, v90
	v_fmac_f32_e32 v113, v96, v106
	v_add_f32_e32 v88, v88, v112
	v_add_f32_e32 v87, v87, v91
	;; [unrolled: 1-line block ×3, first 2 shown]
	s_waitcnt vmcnt(1)
	v_sub_f32_e32 v87, v107, v87
	s_waitcnt vmcnt(0)
	v_sub_f32_e32 v88, v108, v88
	buffer_store_dword v87, off, s[0:3], 0 offset:288
	buffer_store_dword v88, off, s[0:3], 0 offset:292
	s_and_saveexec_b64 s[4:5], vcc
	s_cbranch_execz .LBB105_195
; %bb.194:
	buffer_load_dword v87, off, s[0:3], 0 offset:280
	buffer_load_dword v88, off, s[0:3], 0 offset:284
	s_waitcnt vmcnt(0)
	ds_write_b64 v85, v[87:88]
	buffer_store_dword v86, off, s[0:3], 0 offset:280
	buffer_store_dword v86, off, s[0:3], 0 offset:284
.LBB105_195:
	s_or_b64 exec, exec, s[4:5]
	s_waitcnt lgkmcnt(0)
	; wave barrier
	buffer_load_dword v99, off, s[0:3], 0 offset:292
	buffer_load_dword v100, off, s[0:3], 0 offset:300
	;; [unrolled: 1-line block ×14, first 2 shown]
	ds_read_b128 v[87:90], v86 offset:624
	ds_read_b128 v[91:94], v86 offset:640
	;; [unrolled: 1-line block ×3, first 2 shown]
	v_cmp_lt_u32_e32 vcc, 34, v0
	s_waitcnt vmcnt(13) lgkmcnt(2)
	v_mul_f32_e32 v86, v87, v99
	v_mul_f32_e32 v99, v88, v99
	s_waitcnt vmcnt(12)
	v_mul_f32_e32 v113, v89, v100
	v_mul_f32_e32 v100, v90, v100
	s_waitcnt vmcnt(11) lgkmcnt(1)
	v_mul_f32_e32 v114, v91, v101
	v_mul_f32_e32 v101, v92, v101
	s_waitcnt vmcnt(7)
	v_fma_f32 v87, v87, v105, -v99
	v_fmac_f32_e32 v86, v88, v105
	s_waitcnt vmcnt(6)
	v_fma_f32 v88, v89, v106, -v100
	v_add_f32_e32 v87, 0, v87
	v_mul_f32_e32 v115, v93, v102
	v_mul_f32_e32 v102, v94, v102
	v_fmac_f32_e32 v113, v90, v106
	s_waitcnt vmcnt(5)
	v_fma_f32 v89, v91, v107, -v101
	v_add_f32_e32 v86, 0, v86
	v_add_f32_e32 v87, v87, v88
	s_waitcnt lgkmcnt(0)
	v_mul_f32_e32 v116, v95, v103
	v_mul_f32_e32 v103, v96, v103
	v_fmac_f32_e32 v114, v92, v107
	s_waitcnt vmcnt(4)
	v_fma_f32 v90, v93, v108, -v102
	v_add_f32_e32 v86, v86, v113
	v_add_f32_e32 v87, v87, v89
	v_mul_f32_e32 v117, v97, v104
	v_mul_f32_e32 v104, v98, v104
	v_fmac_f32_e32 v115, v94, v108
	s_waitcnt vmcnt(3)
	v_fma_f32 v91, v95, v109, -v103
	v_add_f32_e32 v86, v86, v114
	v_add_f32_e32 v87, v87, v90
	v_fmac_f32_e32 v116, v96, v109
	s_waitcnt vmcnt(2)
	v_fma_f32 v92, v97, v110, -v104
	v_add_f32_e32 v86, v86, v115
	v_add_f32_e32 v87, v87, v91
	v_fmac_f32_e32 v117, v98, v110
	v_add_f32_e32 v86, v86, v116
	v_add_f32_e32 v87, v87, v92
	;; [unrolled: 1-line block ×3, first 2 shown]
	s_waitcnt vmcnt(1)
	v_sub_f32_e32 v87, v111, v87
	s_waitcnt vmcnt(0)
	v_sub_f32_e32 v86, v112, v86
	buffer_store_dword v87, off, s[0:3], 0 offset:280
	buffer_store_dword v86, off, s[0:3], 0 offset:284
	s_and_saveexec_b64 s[4:5], vcc
	s_cbranch_execz .LBB105_197
; %bb.196:
	buffer_load_dword v86, off, s[0:3], 0 offset:272
	buffer_load_dword v87, off, s[0:3], 0 offset:276
	v_mov_b32_e32 v88, 0
	buffer_store_dword v88, off, s[0:3], 0 offset:272
	buffer_store_dword v88, off, s[0:3], 0 offset:276
	s_waitcnt vmcnt(2)
	ds_write_b64 v85, v[86:87]
.LBB105_197:
	s_or_b64 exec, exec, s[4:5]
	s_waitcnt lgkmcnt(0)
	; wave barrier
	buffer_load_dword v101, off, s[0:3], 0 offset:284
	buffer_load_dword v102, off, s[0:3], 0 offset:292
	;; [unrolled: 1-line block ×16, first 2 shown]
	v_mov_b32_e32 v86, 0
	ds_read2_b64 v[87:90], v86 offset0:77 offset1:78
	ds_read2_b64 v[91:94], v86 offset0:79 offset1:80
	;; [unrolled: 1-line block ×3, first 2 shown]
	ds_read_b64 v[99:100], v86 offset:664
	v_cmp_lt_u32_e32 vcc, 33, v0
	s_waitcnt vmcnt(15) lgkmcnt(3)
	v_mul_f32_e32 v117, v87, v101
	v_mul_f32_e32 v101, v88, v101
	s_waitcnt vmcnt(14)
	v_mul_f32_e32 v118, v89, v102
	v_mul_f32_e32 v102, v90, v102
	s_waitcnt vmcnt(13) lgkmcnt(2)
	v_mul_f32_e32 v119, v91, v103
	s_waitcnt vmcnt(12)
	v_mul_f32_e32 v120, v93, v104
	v_mul_f32_e32 v103, v92, v103
	s_waitcnt vmcnt(8)
	v_fma_f32 v87, v87, v108, -v101
	v_fmac_f32_e32 v117, v88, v108
	s_waitcnt vmcnt(7)
	v_fma_f32 v88, v89, v109, -v102
	v_add_f32_e32 v87, 0, v87
	v_mul_f32_e32 v104, v94, v104
	v_fmac_f32_e32 v118, v90, v109
	s_waitcnt vmcnt(5)
	v_fmac_f32_e32 v120, v94, v111
	v_fma_f32 v89, v91, v110, -v103
	v_add_f32_e32 v94, 0, v117
	v_add_f32_e32 v87, v87, v88
	s_waitcnt lgkmcnt(1)
	v_mul_f32_e32 v121, v95, v105
	v_mul_f32_e32 v105, v96, v105
	v_fmac_f32_e32 v119, v92, v110
	v_fma_f32 v90, v93, v111, -v104
	v_add_f32_e32 v94, v94, v118
	v_add_f32_e32 v87, v87, v89
	v_mul_f32_e32 v122, v97, v106
	v_mul_f32_e32 v106, v98, v106
	s_waitcnt vmcnt(4)
	v_fma_f32 v91, v95, v112, -v105
	v_add_f32_e32 v88, v94, v119
	v_add_f32_e32 v87, v87, v90
	s_waitcnt lgkmcnt(0)
	v_mul_f32_e32 v123, v99, v107
	v_mul_f32_e32 v107, v100, v107
	v_fmac_f32_e32 v121, v96, v112
	s_waitcnt vmcnt(3)
	v_fma_f32 v92, v97, v113, -v106
	v_add_f32_e32 v88, v88, v120
	v_add_f32_e32 v87, v87, v91
	v_fmac_f32_e32 v122, v98, v113
	s_waitcnt vmcnt(2)
	v_fma_f32 v93, v99, v114, -v107
	v_add_f32_e32 v88, v88, v121
	v_add_f32_e32 v87, v87, v92
	v_fmac_f32_e32 v123, v100, v114
	v_add_f32_e32 v88, v88, v122
	v_add_f32_e32 v87, v87, v93
	;; [unrolled: 1-line block ×3, first 2 shown]
	s_waitcnt vmcnt(1)
	v_sub_f32_e32 v87, v115, v87
	s_waitcnt vmcnt(0)
	v_sub_f32_e32 v88, v116, v88
	buffer_store_dword v87, off, s[0:3], 0 offset:272
	buffer_store_dword v88, off, s[0:3], 0 offset:276
	s_and_saveexec_b64 s[4:5], vcc
	s_cbranch_execz .LBB105_199
; %bb.198:
	buffer_load_dword v87, off, s[0:3], 0 offset:264
	buffer_load_dword v88, off, s[0:3], 0 offset:268
	s_waitcnt vmcnt(0)
	ds_write_b64 v85, v[87:88]
	buffer_store_dword v86, off, s[0:3], 0 offset:264
	buffer_store_dword v86, off, s[0:3], 0 offset:268
.LBB105_199:
	s_or_b64 exec, exec, s[4:5]
	s_waitcnt lgkmcnt(0)
	; wave barrier
	ds_read_b128 v[87:90], v86 offset:608
	ds_read_b128 v[91:94], v86 offset:624
	;; [unrolled: 1-line block ×4, first 2 shown]
	buffer_load_dword v86, off, s[0:3], 0 offset:264
	buffer_load_dword v103, off, s[0:3], 0 offset:268
	;; [unrolled: 1-line block ×16, first 2 shown]
	v_cmp_lt_u32_e32 vcc, 32, v0
	s_waitcnt vmcnt(12) lgkmcnt(3)
	v_mul_f32_e32 v118, v87, v105
	v_fmac_f32_e32 v118, v88, v104
	s_waitcnt vmcnt(10)
	v_mul_f32_e32 v119, v89, v107
	v_add_f32_e32 v118, 0, v118
	v_fmac_f32_e32 v119, v90, v106
	v_add_f32_e32 v118, v118, v119
	s_waitcnt vmcnt(8) lgkmcnt(2)
	v_mul_f32_e32 v119, v91, v109
	v_fmac_f32_e32 v119, v92, v108
	v_add_f32_e32 v118, v118, v119
	s_waitcnt vmcnt(6)
	v_mul_f32_e32 v119, v93, v111
	v_fmac_f32_e32 v119, v94, v110
	v_add_f32_e32 v118, v118, v119
	s_waitcnt vmcnt(4) lgkmcnt(1)
	v_mul_f32_e32 v119, v95, v113
	v_fmac_f32_e32 v119, v96, v112
	v_add_f32_e32 v118, v118, v119
	s_waitcnt vmcnt(2)
	v_mul_f32_e32 v119, v97, v115
	v_fmac_f32_e32 v119, v98, v114
	v_add_f32_e32 v118, v118, v119
	s_waitcnt vmcnt(0) lgkmcnt(0)
	v_mul_f32_e32 v119, v99, v117
	v_fmac_f32_e32 v119, v100, v116
	v_add_f32_e32 v118, v118, v119
	buffer_load_dword v119, off, s[0:3], 0 offset:328
	buffer_load_dword v120, off, s[0:3], 0 offset:332
	v_mul_f32_e32 v88, v88, v105
	v_fma_f32 v87, v87, v104, -v88
	v_mul_f32_e32 v88, v90, v107
	v_add_f32_e32 v87, 0, v87
	v_fma_f32 v88, v89, v106, -v88
	v_add_f32_e32 v87, v87, v88
	v_mul_f32_e32 v88, v92, v109
	v_fma_f32 v88, v91, v108, -v88
	v_add_f32_e32 v87, v87, v88
	v_mul_f32_e32 v88, v94, v111
	;; [unrolled: 3-line block ×5, first 2 shown]
	v_fma_f32 v88, v99, v116, -v88
	v_add_f32_e32 v87, v87, v88
	s_waitcnt vmcnt(0)
	v_mul_f32_e32 v88, v102, v120
	v_mul_f32_e32 v121, v101, v120
	v_fma_f32 v88, v101, v119, -v88
	v_fmac_f32_e32 v121, v102, v119
	v_add_f32_e32 v87, v87, v88
	v_add_f32_e32 v118, v118, v121
	v_sub_f32_e32 v86, v86, v87
	v_sub_f32_e32 v87, v103, v118
	buffer_store_dword v86, off, s[0:3], 0 offset:264
	buffer_store_dword v87, off, s[0:3], 0 offset:268
	s_and_saveexec_b64 s[4:5], vcc
	s_cbranch_execz .LBB105_201
; %bb.200:
	buffer_load_dword v86, off, s[0:3], 0 offset:256
	buffer_load_dword v87, off, s[0:3], 0 offset:260
	v_mov_b32_e32 v88, 0
	buffer_store_dword v88, off, s[0:3], 0 offset:256
	buffer_store_dword v88, off, s[0:3], 0 offset:260
	s_waitcnt vmcnt(2)
	ds_write_b64 v85, v[86:87]
.LBB105_201:
	s_or_b64 exec, exec, s[4:5]
	v_mov_b32_e32 v86, 0
	s_waitcnt lgkmcnt(0)
	; wave barrier
	ds_read2_b64 v[87:90], v86 offset0:75 offset1:76
	buffer_load_dword v105, off, s[0:3], 0 offset:256
	buffer_load_dword v106, off, s[0:3], 0 offset:260
	buffer_load_dword v107, off, s[0:3], 0 offset:264
	buffer_load_dword v108, off, s[0:3], 0 offset:268
	buffer_load_dword v109, off, s[0:3], 0 offset:272
	buffer_load_dword v110, off, s[0:3], 0 offset:276
	buffer_load_dword v111, off, s[0:3], 0 offset:280
	buffer_load_dword v112, off, s[0:3], 0 offset:284
	buffer_load_dword v113, off, s[0:3], 0 offset:288
	buffer_load_dword v114, off, s[0:3], 0 offset:292
	buffer_load_dword v115, off, s[0:3], 0 offset:296
	buffer_load_dword v116, off, s[0:3], 0 offset:300
	buffer_load_dword v117, off, s[0:3], 0 offset:304
	buffer_load_dword v118, off, s[0:3], 0 offset:308
	buffer_load_dword v119, off, s[0:3], 0 offset:312
	buffer_load_dword v120, off, s[0:3], 0 offset:316
	v_cmp_lt_u32_e32 vcc, 31, v0
	s_waitcnt vmcnt(12) lgkmcnt(0)
	v_mul_f32_e32 v91, v87, v108
	v_fmac_f32_e32 v91, v88, v107
	s_waitcnt vmcnt(10)
	v_mul_f32_e32 v92, v89, v110
	v_add_f32_e32 v91, 0, v91
	v_fmac_f32_e32 v92, v90, v109
	v_add_f32_e32 v95, v91, v92
	ds_read2_b64 v[91:94], v86 offset0:77 offset1:78
	v_mul_f32_e32 v88, v88, v108
	v_fma_f32 v87, v87, v107, -v88
	v_mul_f32_e32 v88, v90, v110
	v_add_f32_e32 v87, 0, v87
	s_waitcnt vmcnt(8) lgkmcnt(0)
	v_mul_f32_e32 v96, v91, v112
	v_fmac_f32_e32 v96, v92, v111
	v_add_f32_e32 v95, v95, v96
	s_waitcnt vmcnt(6)
	v_mul_f32_e32 v96, v93, v114
	v_fmac_f32_e32 v96, v94, v113
	v_add_f32_e32 v99, v95, v96
	ds_read2_b64 v[95:98], v86 offset0:79 offset1:80
	v_fma_f32 v88, v89, v109, -v88
	v_add_f32_e32 v87, v87, v88
	v_mul_f32_e32 v88, v92, v112
	v_fma_f32 v88, v91, v111, -v88
	s_waitcnt vmcnt(4) lgkmcnt(0)
	v_mul_f32_e32 v100, v95, v116
	v_fmac_f32_e32 v100, v96, v115
	v_add_f32_e32 v99, v99, v100
	s_waitcnt vmcnt(2)
	v_mul_f32_e32 v100, v97, v118
	v_fmac_f32_e32 v100, v98, v117
	v_add_f32_e32 v103, v99, v100
	ds_read2_b64 v[99:102], v86 offset0:81 offset1:82
	buffer_load_dword v121, off, s[0:3], 0 offset:320
	buffer_load_dword v122, off, s[0:3], 0 offset:324
	v_add_f32_e32 v87, v87, v88
	v_mul_f32_e32 v88, v94, v114
	v_fma_f32 v88, v93, v113, -v88
	s_waitcnt vmcnt(2) lgkmcnt(0)
	v_mul_f32_e32 v104, v99, v120
	v_fmac_f32_e32 v104, v100, v119
	v_add_f32_e32 v103, v103, v104
	v_add_f32_e32 v87, v87, v88
	v_mul_f32_e32 v88, v96, v116
	v_fma_f32 v88, v95, v115, -v88
	v_add_f32_e32 v87, v87, v88
	v_mul_f32_e32 v88, v98, v118
	v_fma_f32 v88, v97, v117, -v88
	;; [unrolled: 3-line block ×3, first 2 shown]
	v_add_f32_e32 v87, v87, v88
	s_waitcnt vmcnt(0)
	v_mul_f32_e32 v104, v101, v122
	v_fmac_f32_e32 v104, v102, v121
	v_add_f32_e32 v123, v103, v104
	ds_read_b64 v[103:104], v86 offset:664
	buffer_load_dword v124, off, s[0:3], 0 offset:328
	buffer_load_dword v125, off, s[0:3], 0 offset:332
	v_mul_f32_e32 v88, v102, v122
	v_fma_f32 v88, v101, v121, -v88
	v_add_f32_e32 v87, v87, v88
	s_waitcnt vmcnt(0) lgkmcnt(0)
	v_mul_f32_e32 v88, v104, v125
	v_mul_f32_e32 v126, v103, v125
	v_fma_f32 v88, v103, v124, -v88
	v_fmac_f32_e32 v126, v104, v124
	v_add_f32_e32 v87, v87, v88
	v_add_f32_e32 v123, v123, v126
	v_sub_f32_e32 v87, v105, v87
	v_sub_f32_e32 v88, v106, v123
	buffer_store_dword v87, off, s[0:3], 0 offset:256
	buffer_store_dword v88, off, s[0:3], 0 offset:260
	s_and_saveexec_b64 s[4:5], vcc
	s_cbranch_execz .LBB105_203
; %bb.202:
	buffer_load_dword v87, off, s[0:3], 0 offset:248
	buffer_load_dword v88, off, s[0:3], 0 offset:252
	s_waitcnt vmcnt(0)
	ds_write_b64 v85, v[87:88]
	buffer_store_dword v86, off, s[0:3], 0 offset:248
	buffer_store_dword v86, off, s[0:3], 0 offset:252
.LBB105_203:
	s_or_b64 exec, exec, s[4:5]
	s_waitcnt lgkmcnt(0)
	; wave barrier
	buffer_load_dword v107, off, s[0:3], 0 offset:260
	buffer_load_dword v108, off, s[0:3], 0 offset:268
	;; [unrolled: 1-line block ×22, first 2 shown]
	ds_read_b128 v[87:90], v86 offset:592
	ds_read_b128 v[91:94], v86 offset:608
	;; [unrolled: 1-line block ×5, first 2 shown]
	v_cmp_lt_u32_e32 vcc, 30, v0
	s_waitcnt vmcnt(21) lgkmcnt(4)
	v_mul_f32_e32 v86, v87, v107
	v_mul_f32_e32 v107, v88, v107
	s_waitcnt vmcnt(20)
	v_mul_f32_e32 v129, v89, v108
	v_mul_f32_e32 v108, v90, v108
	s_waitcnt vmcnt(19) lgkmcnt(3)
	v_mul_f32_e32 v130, v91, v109
	v_mul_f32_e32 v109, v92, v109
	s_waitcnt vmcnt(18)
	v_mul_f32_e32 v131, v93, v110
	v_mul_f32_e32 v110, v94, v110
	s_waitcnt vmcnt(17) lgkmcnt(2)
	v_mul_f32_e32 v132, v95, v111
	v_mul_f32_e32 v111, v96, v111
	s_waitcnt vmcnt(11)
	v_fma_f32 v87, v87, v117, -v107
	v_fmac_f32_e32 v86, v88, v117
	s_waitcnt vmcnt(10)
	v_fma_f32 v88, v89, v118, -v108
	v_add_f32_e32 v87, 0, v87
	v_fmac_f32_e32 v129, v90, v118
	s_waitcnt vmcnt(9)
	v_fma_f32 v89, v91, v119, -v109
	v_add_f32_e32 v86, 0, v86
	v_add_f32_e32 v87, v87, v88
	v_fmac_f32_e32 v130, v92, v119
	s_waitcnt vmcnt(8)
	v_fma_f32 v90, v93, v120, -v110
	v_add_f32_e32 v86, v86, v129
	v_add_f32_e32 v87, v87, v89
	v_mul_f32_e32 v133, v97, v112
	v_mul_f32_e32 v112, v98, v112
	v_fmac_f32_e32 v131, v94, v120
	s_waitcnt vmcnt(7)
	v_fma_f32 v91, v95, v121, -v111
	v_add_f32_e32 v86, v86, v130
	v_add_f32_e32 v87, v87, v90
	s_waitcnt lgkmcnt(1)
	v_mul_f32_e32 v134, v99, v113
	v_mul_f32_e32 v113, v100, v113
	v_fmac_f32_e32 v132, v96, v121
	s_waitcnt vmcnt(6)
	v_fma_f32 v92, v97, v122, -v112
	v_add_f32_e32 v86, v86, v131
	v_add_f32_e32 v87, v87, v91
	v_mul_f32_e32 v135, v101, v114
	v_mul_f32_e32 v114, v102, v114
	v_fmac_f32_e32 v133, v98, v122
	s_waitcnt vmcnt(5)
	v_fma_f32 v93, v99, v123, -v113
	v_add_f32_e32 v86, v86, v132
	v_add_f32_e32 v87, v87, v92
	s_waitcnt lgkmcnt(0)
	v_mul_f32_e32 v136, v103, v115
	v_mul_f32_e32 v115, v104, v115
	v_fmac_f32_e32 v134, v100, v123
	s_waitcnt vmcnt(4)
	v_fma_f32 v94, v101, v124, -v114
	v_add_f32_e32 v86, v86, v133
	v_add_f32_e32 v87, v87, v93
	v_mul_f32_e32 v137, v105, v116
	v_mul_f32_e32 v116, v106, v116
	v_fmac_f32_e32 v135, v102, v124
	s_waitcnt vmcnt(3)
	v_fma_f32 v95, v103, v125, -v115
	v_add_f32_e32 v86, v86, v134
	v_add_f32_e32 v87, v87, v94
	v_fmac_f32_e32 v136, v104, v125
	s_waitcnt vmcnt(2)
	v_fma_f32 v96, v105, v126, -v116
	v_add_f32_e32 v86, v86, v135
	v_add_f32_e32 v87, v87, v95
	v_fmac_f32_e32 v137, v106, v126
	v_add_f32_e32 v86, v86, v136
	v_add_f32_e32 v87, v87, v96
	v_add_f32_e32 v86, v86, v137
	s_waitcnt vmcnt(1)
	v_sub_f32_e32 v87, v127, v87
	s_waitcnt vmcnt(0)
	v_sub_f32_e32 v86, v128, v86
	buffer_store_dword v87, off, s[0:3], 0 offset:248
	buffer_store_dword v86, off, s[0:3], 0 offset:252
	s_and_saveexec_b64 s[4:5], vcc
	s_cbranch_execz .LBB105_205
; %bb.204:
	buffer_load_dword v86, off, s[0:3], 0 offset:240
	buffer_load_dword v87, off, s[0:3], 0 offset:244
	v_mov_b32_e32 v88, 0
	buffer_store_dword v88, off, s[0:3], 0 offset:240
	buffer_store_dword v88, off, s[0:3], 0 offset:244
	s_waitcnt vmcnt(2)
	ds_write_b64 v85, v[86:87]
.LBB105_205:
	s_or_b64 exec, exec, s[4:5]
	s_waitcnt lgkmcnt(0)
	; wave barrier
	buffer_load_dword v109, off, s[0:3], 0 offset:252
	buffer_load_dword v110, off, s[0:3], 0 offset:260
	;; [unrolled: 1-line block ×24, first 2 shown]
	v_mov_b32_e32 v86, 0
	ds_read2_b64 v[87:90], v86 offset0:73 offset1:74
	ds_read2_b64 v[91:94], v86 offset0:75 offset1:76
	;; [unrolled: 1-line block ×5, first 2 shown]
	ds_read_b64 v[107:108], v86 offset:664
	v_cmp_lt_u32_e32 vcc, 29, v0
	s_waitcnt vmcnt(23) lgkmcnt(5)
	v_mul_f32_e32 v133, v87, v109
	v_mul_f32_e32 v109, v88, v109
	s_waitcnt vmcnt(22)
	v_mul_f32_e32 v134, v89, v110
	v_mul_f32_e32 v110, v90, v110
	s_waitcnt vmcnt(21) lgkmcnt(4)
	v_mul_f32_e32 v135, v91, v111
	v_mul_f32_e32 v111, v92, v111
	s_waitcnt vmcnt(20)
	v_mul_f32_e32 v136, v93, v112
	s_waitcnt vmcnt(19) lgkmcnt(3)
	v_mul_f32_e32 v137, v95, v113
	v_mul_f32_e32 v112, v94, v112
	;; [unrolled: 1-line block ×3, first 2 shown]
	s_waitcnt vmcnt(18)
	v_mul_f32_e32 v138, v97, v114
	s_waitcnt vmcnt(12)
	v_fma_f32 v87, v87, v120, -v109
	v_fmac_f32_e32 v133, v88, v120
	s_waitcnt vmcnt(11)
	v_fma_f32 v88, v89, v121, -v110
	v_add_f32_e32 v87, 0, v87
	s_waitcnt vmcnt(10)
	v_fma_f32 v89, v91, v122, -v111
	v_add_f32_e32 v87, v87, v88
	v_fmac_f32_e32 v134, v90, v121
	s_waitcnt vmcnt(8)
	v_fmac_f32_e32 v137, v96, v124
	v_fma_f32 v90, v93, v123, -v112
	v_add_f32_e32 v96, 0, v133
	v_add_f32_e32 v87, v87, v89
	v_mul_f32_e32 v114, v98, v114
	v_fmac_f32_e32 v135, v92, v122
	v_fma_f32 v91, v95, v124, -v113
	v_add_f32_e32 v96, v96, v134
	v_add_f32_e32 v87, v87, v90
	s_waitcnt lgkmcnt(2)
	v_mul_f32_e32 v139, v99, v115
	v_mul_f32_e32 v115, v100, v115
	v_fmac_f32_e32 v136, v94, v123
	s_waitcnt vmcnt(7)
	v_fma_f32 v92, v97, v125, -v114
	v_add_f32_e32 v88, v96, v135
	v_add_f32_e32 v87, v87, v91
	v_mul_f32_e32 v140, v101, v116
	v_mul_f32_e32 v116, v102, v116
	s_waitcnt vmcnt(6)
	v_fma_f32 v93, v99, v126, -v115
	v_add_f32_e32 v88, v88, v136
	v_add_f32_e32 v87, v87, v92
	s_waitcnt lgkmcnt(1)
	v_mul_f32_e32 v141, v103, v117
	v_mul_f32_e32 v117, v104, v117
	v_fmac_f32_e32 v138, v98, v125
	s_waitcnt vmcnt(5)
	v_fma_f32 v94, v101, v127, -v116
	v_add_f32_e32 v88, v88, v137
	v_add_f32_e32 v87, v87, v93
	v_fmac_f32_e32 v139, v100, v126
	s_waitcnt vmcnt(4)
	v_fma_f32 v95, v103, v128, -v117
	v_add_f32_e32 v88, v88, v138
	v_add_f32_e32 v87, v87, v94
	v_mul_f32_e32 v89, v106, v118
	v_fmac_f32_e32 v140, v102, v127
	v_add_f32_e32 v88, v88, v139
	v_add_f32_e32 v87, v87, v95
	s_waitcnt vmcnt(3)
	v_fma_f32 v89, v105, v129, -v89
	v_mul_f32_e32 v142, v105, v118
	v_fmac_f32_e32 v141, v104, v128
	v_add_f32_e32 v88, v88, v140
	v_add_f32_e32 v87, v87, v89
	s_waitcnt lgkmcnt(0)
	v_mul_f32_e32 v89, v108, v119
	v_mul_f32_e32 v143, v107, v119
	v_fmac_f32_e32 v142, v106, v129
	v_add_f32_e32 v88, v88, v141
	s_waitcnt vmcnt(2)
	v_fma_f32 v89, v107, v130, -v89
	v_fmac_f32_e32 v143, v108, v130
	v_add_f32_e32 v88, v88, v142
	v_add_f32_e32 v87, v87, v89
	;; [unrolled: 1-line block ×3, first 2 shown]
	s_waitcnt vmcnt(1)
	v_sub_f32_e32 v87, v131, v87
	s_waitcnt vmcnt(0)
	v_sub_f32_e32 v88, v132, v88
	buffer_store_dword v87, off, s[0:3], 0 offset:240
	buffer_store_dword v88, off, s[0:3], 0 offset:244
	s_and_saveexec_b64 s[4:5], vcc
	s_cbranch_execz .LBB105_207
; %bb.206:
	buffer_load_dword v87, off, s[0:3], 0 offset:232
	buffer_load_dword v88, off, s[0:3], 0 offset:236
	s_waitcnt vmcnt(0)
	ds_write_b64 v85, v[87:88]
	buffer_store_dword v86, off, s[0:3], 0 offset:232
	buffer_store_dword v86, off, s[0:3], 0 offset:236
.LBB105_207:
	s_or_b64 exec, exec, s[4:5]
	s_waitcnt lgkmcnt(0)
	; wave barrier
	buffer_load_dword v111, off, s[0:3], 0 offset:244
	buffer_load_dword v112, off, s[0:3], 0 offset:252
	;; [unrolled: 1-line block ×26, first 2 shown]
	ds_read_b128 v[87:90], v86 offset:576
	ds_read_b128 v[91:94], v86 offset:592
	;; [unrolled: 1-line block ×6, first 2 shown]
	v_cmp_lt_u32_e32 vcc, 28, v0
	s_waitcnt vmcnt(25) lgkmcnt(5)
	v_mul_f32_e32 v86, v87, v111
	v_mul_f32_e32 v111, v88, v111
	s_waitcnt vmcnt(24)
	v_mul_f32_e32 v137, v89, v112
	v_mul_f32_e32 v112, v90, v112
	s_waitcnt vmcnt(23) lgkmcnt(4)
	v_mul_f32_e32 v138, v91, v113
	v_mul_f32_e32 v113, v92, v113
	s_waitcnt vmcnt(22)
	v_mul_f32_e32 v139, v93, v114
	v_mul_f32_e32 v114, v94, v114
	;; [unrolled: 6-line block ×3, first 2 shown]
	s_waitcnt vmcnt(13)
	v_fma_f32 v87, v87, v123, -v111
	v_fmac_f32_e32 v86, v88, v123
	s_waitcnt vmcnt(12)
	v_fma_f32 v88, v89, v124, -v112
	v_add_f32_e32 v87, 0, v87
	s_waitcnt vmcnt(11)
	v_fma_f32 v89, v91, v125, -v113
	v_add_f32_e32 v87, v87, v88
	v_fmac_f32_e32 v137, v90, v124
	s_waitcnt vmcnt(10)
	v_fma_f32 v90, v93, v126, -v114
	v_add_f32_e32 v87, v87, v89
	s_waitcnt vmcnt(9)
	v_fma_f32 v91, v95, v127, -v115
	v_add_f32_e32 v87, v87, v90
	s_waitcnt lgkmcnt(2)
	v_mul_f32_e32 v142, v99, v117
	v_mul_f32_e32 v117, v100, v117
	v_fmac_f32_e32 v138, v92, v125
	s_waitcnt vmcnt(8)
	v_fma_f32 v92, v97, v128, -v116
	v_add_f32_e32 v86, 0, v86
	v_add_f32_e32 v87, v87, v91
	v_mul_f32_e32 v143, v101, v118
	v_mul_f32_e32 v118, v102, v118
	s_waitcnt vmcnt(7)
	v_fma_f32 v93, v99, v129, -v117
	v_add_f32_e32 v86, v86, v137
	v_add_f32_e32 v87, v87, v92
	v_fmac_f32_e32 v139, v94, v126
	s_waitcnt vmcnt(6)
	v_fma_f32 v94, v101, v130, -v118
	v_add_f32_e32 v86, v86, v138
	v_add_f32_e32 v87, v87, v93
	s_waitcnt lgkmcnt(1)
	v_mul_f32_e32 v88, v104, v119
	v_fmac_f32_e32 v140, v96, v127
	v_add_f32_e32 v86, v86, v139
	v_add_f32_e32 v87, v87, v94
	s_waitcnt vmcnt(5)
	v_fma_f32 v88, v103, v131, -v88
	v_fmac_f32_e32 v141, v98, v128
	v_add_f32_e32 v86, v86, v140
	v_add_f32_e32 v87, v87, v88
	v_mul_f32_e32 v88, v106, v120
	v_fmac_f32_e32 v142, v100, v129
	v_add_f32_e32 v86, v86, v141
	s_waitcnt vmcnt(4)
	v_fma_f32 v88, v105, v132, -v88
	v_mul_f32_e32 v144, v103, v119
	v_fmac_f32_e32 v143, v102, v130
	v_add_f32_e32 v86, v86, v142
	v_add_f32_e32 v87, v87, v88
	s_waitcnt lgkmcnt(0)
	v_mul_f32_e32 v88, v108, v121
	v_mul_f32_e32 v145, v105, v120
	v_fmac_f32_e32 v144, v104, v131
	v_add_f32_e32 v86, v86, v143
	s_waitcnt vmcnt(3)
	v_fma_f32 v88, v107, v133, -v88
	v_mul_f32_e32 v146, v107, v121
	v_fmac_f32_e32 v145, v106, v132
	v_add_f32_e32 v86, v86, v144
	v_add_f32_e32 v87, v87, v88
	v_mul_f32_e32 v88, v110, v122
	v_mul_f32_e32 v147, v109, v122
	v_fmac_f32_e32 v146, v108, v133
	v_add_f32_e32 v86, v86, v145
	s_waitcnt vmcnt(2)
	v_fma_f32 v88, v109, v134, -v88
	v_fmac_f32_e32 v147, v110, v134
	v_add_f32_e32 v86, v86, v146
	v_add_f32_e32 v87, v87, v88
	;; [unrolled: 1-line block ×3, first 2 shown]
	s_waitcnt vmcnt(1)
	v_sub_f32_e32 v87, v135, v87
	s_waitcnt vmcnt(0)
	v_sub_f32_e32 v86, v136, v86
	buffer_store_dword v87, off, s[0:3], 0 offset:232
	buffer_store_dword v86, off, s[0:3], 0 offset:236
	s_and_saveexec_b64 s[4:5], vcc
	s_cbranch_execz .LBB105_209
; %bb.208:
	buffer_load_dword v86, off, s[0:3], 0 offset:224
	buffer_load_dword v87, off, s[0:3], 0 offset:228
	v_mov_b32_e32 v88, 0
	buffer_store_dword v88, off, s[0:3], 0 offset:224
	buffer_store_dword v88, off, s[0:3], 0 offset:228
	s_waitcnt vmcnt(2)
	ds_write_b64 v85, v[86:87]
.LBB105_209:
	s_or_b64 exec, exec, s[4:5]
	s_waitcnt lgkmcnt(0)
	; wave barrier
	buffer_load_dword v113, off, s[0:3], 0 offset:236
	buffer_load_dword v114, off, s[0:3], 0 offset:244
	;; [unrolled: 1-line block ×28, first 2 shown]
	v_mov_b32_e32 v86, 0
	ds_read2_b64 v[87:90], v86 offset0:71 offset1:72
	ds_read2_b64 v[91:94], v86 offset0:73 offset1:74
	;; [unrolled: 1-line block ×6, first 2 shown]
	ds_read_b64 v[111:112], v86 offset:664
	v_cmp_lt_u32_e32 vcc, 27, v0
	s_waitcnt vmcnt(27) lgkmcnt(6)
	v_mul_f32_e32 v141, v87, v113
	v_mul_f32_e32 v113, v88, v113
	s_waitcnt vmcnt(26)
	v_mul_f32_e32 v142, v89, v114
	v_mul_f32_e32 v114, v90, v114
	s_waitcnt vmcnt(25) lgkmcnt(5)
	v_mul_f32_e32 v143, v91, v115
	v_mul_f32_e32 v115, v92, v115
	s_waitcnt vmcnt(24)
	v_mul_f32_e32 v144, v93, v116
	v_mul_f32_e32 v116, v94, v116
	s_waitcnt vmcnt(23) lgkmcnt(4)
	v_mul_f32_e32 v145, v95, v117
	v_mul_f32_e32 v117, v96, v117
	s_waitcnt vmcnt(22)
	v_mul_f32_e32 v146, v97, v118
	v_mul_f32_e32 v118, v98, v118
	s_waitcnt vmcnt(21) lgkmcnt(3)
	v_mul_f32_e32 v147, v99, v119
	s_waitcnt vmcnt(14)
	v_fma_f32 v87, v87, v126, -v113
	v_fmac_f32_e32 v141, v88, v126
	s_waitcnt vmcnt(13)
	v_fma_f32 v88, v89, v127, -v114
	v_add_f32_e32 v87, 0, v87
	s_waitcnt vmcnt(12)
	v_fma_f32 v89, v91, v128, -v115
	v_add_f32_e32 v87, v87, v88
	v_fmac_f32_e32 v142, v90, v127
	s_waitcnt vmcnt(11)
	v_fma_f32 v90, v93, v129, -v116
	v_add_f32_e32 v87, v87, v89
	s_waitcnt vmcnt(10)
	v_fma_f32 v91, v95, v130, -v117
	v_add_f32_e32 v87, v87, v90
	v_fmac_f32_e32 v143, v92, v128
	s_waitcnt vmcnt(9)
	v_fma_f32 v92, v97, v131, -v118
	v_add_f32_e32 v87, v87, v91
	v_mul_f32_e32 v89, v100, v119
	v_add_f32_e32 v87, v87, v92
	s_waitcnt vmcnt(8)
	v_fma_f32 v89, v99, v132, -v89
	v_add_f32_e32 v87, v87, v89
	v_mul_f32_e32 v89, v102, v120
	v_add_f32_e32 v93, 0, v141
	s_waitcnt vmcnt(7)
	v_fma_f32 v89, v101, v133, -v89
	v_add_f32_e32 v93, v93, v142
	v_add_f32_e32 v87, v87, v89
	s_waitcnt lgkmcnt(2)
	v_mul_f32_e32 v89, v104, v121
	v_fmac_f32_e32 v144, v94, v129
	v_add_f32_e32 v88, v93, v143
	s_waitcnt vmcnt(6)
	v_fma_f32 v89, v103, v134, -v89
	v_fmac_f32_e32 v145, v96, v130
	v_add_f32_e32 v88, v88, v144
	v_add_f32_e32 v87, v87, v89
	v_mul_f32_e32 v89, v106, v122
	v_fmac_f32_e32 v146, v98, v131
	v_add_f32_e32 v88, v88, v145
	s_waitcnt vmcnt(5)
	v_fma_f32 v89, v105, v135, -v89
	v_mul_f32_e32 v148, v101, v120
	v_fmac_f32_e32 v147, v100, v132
	v_add_f32_e32 v88, v88, v146
	v_add_f32_e32 v87, v87, v89
	s_waitcnt lgkmcnt(1)
	v_mul_f32_e32 v89, v108, v123
	v_mul_f32_e32 v149, v103, v121
	v_fmac_f32_e32 v148, v102, v133
	v_add_f32_e32 v88, v88, v147
	s_waitcnt vmcnt(4)
	v_fma_f32 v89, v107, v136, -v89
	v_mul_f32_e32 v150, v105, v122
	v_fmac_f32_e32 v149, v104, v134
	v_add_f32_e32 v88, v88, v148
	v_add_f32_e32 v87, v87, v89
	v_mul_f32_e32 v89, v110, v124
	v_mul_f32_e32 v151, v107, v123
	v_fmac_f32_e32 v150, v106, v135
	v_add_f32_e32 v88, v88, v149
	s_waitcnt vmcnt(3)
	v_fma_f32 v89, v109, v137, -v89
	v_mul_f32_e32 v152, v109, v124
	v_fmac_f32_e32 v151, v108, v136
	v_add_f32_e32 v88, v88, v150
	v_add_f32_e32 v87, v87, v89
	s_waitcnt lgkmcnt(0)
	v_mul_f32_e32 v89, v112, v125
	v_mul_f32_e32 v153, v111, v125
	v_fmac_f32_e32 v152, v110, v137
	v_add_f32_e32 v88, v88, v151
	s_waitcnt vmcnt(2)
	v_fma_f32 v89, v111, v138, -v89
	v_fmac_f32_e32 v153, v112, v138
	v_add_f32_e32 v88, v88, v152
	v_add_f32_e32 v87, v87, v89
	;; [unrolled: 1-line block ×3, first 2 shown]
	s_waitcnt vmcnt(1)
	v_sub_f32_e32 v87, v139, v87
	s_waitcnt vmcnt(0)
	v_sub_f32_e32 v88, v140, v88
	buffer_store_dword v87, off, s[0:3], 0 offset:224
	buffer_store_dword v88, off, s[0:3], 0 offset:228
	s_and_saveexec_b64 s[4:5], vcc
	s_cbranch_execz .LBB105_211
; %bb.210:
	buffer_load_dword v87, off, s[0:3], 0 offset:216
	buffer_load_dword v88, off, s[0:3], 0 offset:220
	s_waitcnt vmcnt(0)
	ds_write_b64 v85, v[87:88]
	buffer_store_dword v86, off, s[0:3], 0 offset:216
	buffer_store_dword v86, off, s[0:3], 0 offset:220
.LBB105_211:
	s_or_b64 exec, exec, s[4:5]
	s_waitcnt lgkmcnt(0)
	; wave barrier
	buffer_load_dword v115, off, s[0:3], 0 offset:228
	buffer_load_dword v116, off, s[0:3], 0 offset:236
	;; [unrolled: 1-line block ×30, first 2 shown]
	ds_read_b128 v[87:90], v86 offset:560
	ds_read_b128 v[91:94], v86 offset:576
	;; [unrolled: 1-line block ×7, first 2 shown]
	v_cmp_lt_u32_e32 vcc, 26, v0
	s_waitcnt vmcnt(29) lgkmcnt(6)
	v_mul_f32_e32 v86, v87, v115
	v_mul_f32_e32 v115, v88, v115
	s_waitcnt vmcnt(28)
	v_mul_f32_e32 v145, v89, v116
	v_mul_f32_e32 v116, v90, v116
	s_waitcnt vmcnt(27) lgkmcnt(5)
	v_mul_f32_e32 v146, v91, v117
	v_mul_f32_e32 v117, v92, v117
	s_waitcnt vmcnt(26)
	v_mul_f32_e32 v147, v93, v118
	v_mul_f32_e32 v118, v94, v118
	s_waitcnt vmcnt(25) lgkmcnt(4)
	v_mul_f32_e32 v148, v95, v119
	v_mul_f32_e32 v119, v96, v119
	s_waitcnt vmcnt(24)
	v_mul_f32_e32 v149, v97, v120
	s_waitcnt vmcnt(23) lgkmcnt(3)
	v_mul_f32_e32 v150, v99, v121
	s_waitcnt vmcnt(22)
	v_mul_f32_e32 v151, v101, v122
	s_waitcnt vmcnt(21) lgkmcnt(2)
	v_mul_f32_e32 v152, v103, v123
	s_waitcnt vmcnt(15)
	v_fma_f32 v87, v87, v129, -v115
	v_fmac_f32_e32 v86, v88, v129
	s_waitcnt vmcnt(14)
	v_fma_f32 v88, v89, v130, -v116
	v_add_f32_e32 v87, 0, v87
	s_waitcnt vmcnt(13)
	v_fma_f32 v89, v91, v131, -v117
	v_add_f32_e32 v87, v87, v88
	v_fmac_f32_e32 v145, v90, v130
	s_waitcnt vmcnt(12)
	v_fma_f32 v90, v93, v132, -v118
	v_add_f32_e32 v87, v87, v89
	s_waitcnt vmcnt(11)
	v_fma_f32 v91, v95, v133, -v119
	v_add_f32_e32 v87, v87, v90
	v_mul_f32_e32 v88, v98, v120
	v_add_f32_e32 v87, v87, v91
	s_waitcnt vmcnt(10)
	v_fma_f32 v88, v97, v134, -v88
	v_add_f32_e32 v87, v87, v88
	v_mul_f32_e32 v88, v100, v121
	s_waitcnt vmcnt(9)
	v_fma_f32 v88, v99, v135, -v88
	v_add_f32_e32 v87, v87, v88
	v_mul_f32_e32 v88, v102, v122
	s_waitcnt vmcnt(8)
	v_fma_f32 v88, v101, v136, -v88
	v_add_f32_e32 v86, 0, v86
	v_add_f32_e32 v87, v87, v88
	v_mul_f32_e32 v88, v104, v123
	v_fmac_f32_e32 v146, v92, v131
	v_add_f32_e32 v86, v86, v145
	s_waitcnt vmcnt(7)
	v_fma_f32 v88, v103, v137, -v88
	v_fmac_f32_e32 v147, v94, v132
	v_add_f32_e32 v86, v86, v146
	v_add_f32_e32 v87, v87, v88
	v_mul_f32_e32 v88, v106, v124
	v_fmac_f32_e32 v148, v96, v133
	v_add_f32_e32 v86, v86, v147
	s_waitcnt vmcnt(6)
	v_fma_f32 v88, v105, v138, -v88
	v_fmac_f32_e32 v149, v98, v134
	v_add_f32_e32 v86, v86, v148
	v_add_f32_e32 v87, v87, v88
	s_waitcnt lgkmcnt(1)
	v_mul_f32_e32 v88, v108, v125
	v_fmac_f32_e32 v150, v100, v135
	v_add_f32_e32 v86, v86, v149
	s_waitcnt vmcnt(5)
	v_fma_f32 v88, v107, v139, -v88
	v_fmac_f32_e32 v151, v102, v136
	v_add_f32_e32 v86, v86, v150
	v_add_f32_e32 v87, v87, v88
	v_mul_f32_e32 v88, v110, v126
	v_mul_f32_e32 v153, v105, v124
	v_fmac_f32_e32 v152, v104, v137
	v_add_f32_e32 v86, v86, v151
	s_waitcnt vmcnt(4)
	v_fma_f32 v88, v109, v140, -v88
	v_mul_f32_e32 v154, v107, v125
	v_fmac_f32_e32 v153, v106, v138
	v_add_f32_e32 v86, v86, v152
	v_add_f32_e32 v87, v87, v88
	s_waitcnt lgkmcnt(0)
	v_mul_f32_e32 v88, v112, v127
	v_mul_f32_e32 v155, v109, v126
	v_fmac_f32_e32 v154, v108, v139
	v_add_f32_e32 v86, v86, v153
	s_waitcnt vmcnt(3)
	v_fma_f32 v88, v111, v141, -v88
	v_mul_f32_e32 v156, v111, v127
	v_fmac_f32_e32 v155, v110, v140
	v_add_f32_e32 v86, v86, v154
	v_add_f32_e32 v87, v87, v88
	v_mul_f32_e32 v88, v114, v128
	v_mul_f32_e32 v157, v113, v128
	v_fmac_f32_e32 v156, v112, v141
	v_add_f32_e32 v86, v86, v155
	s_waitcnt vmcnt(2)
	v_fma_f32 v88, v113, v142, -v88
	v_fmac_f32_e32 v157, v114, v142
	v_add_f32_e32 v86, v86, v156
	v_add_f32_e32 v87, v87, v88
	;; [unrolled: 1-line block ×3, first 2 shown]
	s_waitcnt vmcnt(1)
	v_sub_f32_e32 v87, v143, v87
	s_waitcnt vmcnt(0)
	v_sub_f32_e32 v86, v144, v86
	buffer_store_dword v87, off, s[0:3], 0 offset:216
	buffer_store_dword v86, off, s[0:3], 0 offset:220
	s_and_saveexec_b64 s[4:5], vcc
	s_cbranch_execz .LBB105_213
; %bb.212:
	buffer_load_dword v86, off, s[0:3], 0 offset:208
	buffer_load_dword v87, off, s[0:3], 0 offset:212
	v_mov_b32_e32 v88, 0
	buffer_store_dword v88, off, s[0:3], 0 offset:208
	buffer_store_dword v88, off, s[0:3], 0 offset:212
	s_waitcnt vmcnt(2)
	ds_write_b64 v85, v[86:87]
.LBB105_213:
	s_or_b64 exec, exec, s[4:5]
	s_waitcnt lgkmcnt(0)
	; wave barrier
	buffer_load_dword v117, off, s[0:3], 0 offset:220
	buffer_load_dword v118, off, s[0:3], 0 offset:228
	;; [unrolled: 1-line block ×32, first 2 shown]
	v_mov_b32_e32 v86, 0
	ds_read2_b64 v[87:90], v86 offset0:69 offset1:70
	ds_read2_b64 v[91:94], v86 offset0:71 offset1:72
	;; [unrolled: 1-line block ×7, first 2 shown]
	ds_read_b64 v[115:116], v86 offset:664
	v_cmp_lt_u32_e32 vcc, 25, v0
	s_waitcnt vmcnt(31) lgkmcnt(7)
	v_mul_f32_e32 v149, v87, v117
	v_mul_f32_e32 v117, v88, v117
	s_waitcnt vmcnt(30)
	v_mul_f32_e32 v150, v89, v118
	v_mul_f32_e32 v118, v90, v118
	s_waitcnt vmcnt(29) lgkmcnt(6)
	v_mul_f32_e32 v151, v91, v119
	v_mul_f32_e32 v119, v92, v119
	s_waitcnt vmcnt(28)
	v_mul_f32_e32 v152, v93, v120
	s_waitcnt vmcnt(27) lgkmcnt(5)
	v_mul_f32_e32 v153, v95, v121
	s_waitcnt vmcnt(26)
	v_mul_f32_e32 v154, v97, v122
	s_waitcnt vmcnt(25) lgkmcnt(4)
	;; [unrolled: 4-line block ×4, first 2 shown]
	v_mul_f32_e32 v159, v107, v127
	s_waitcnt vmcnt(20)
	v_mul_f32_e32 v160, v109, v128
	s_waitcnt vmcnt(16)
	v_fma_f32 v87, v87, v132, -v117
	v_fmac_f32_e32 v149, v88, v132
	s_waitcnt vmcnt(15)
	v_fma_f32 v88, v89, v133, -v118
	v_add_f32_e32 v87, 0, v87
	s_waitcnt vmcnt(14)
	v_fma_f32 v89, v91, v134, -v119
	v_add_f32_e32 v87, v87, v88
	v_add_f32_e32 v87, v87, v89
	v_mul_f32_e32 v89, v94, v120
	s_waitcnt vmcnt(13)
	v_fma_f32 v89, v93, v135, -v89
	v_add_f32_e32 v87, v87, v89
	v_mul_f32_e32 v89, v96, v121
	s_waitcnt vmcnt(12)
	v_fma_f32 v89, v95, v136, -v89
	v_add_f32_e32 v87, v87, v89
	v_mul_f32_e32 v89, v98, v122
	s_waitcnt vmcnt(11)
	v_fma_f32 v89, v97, v137, -v89
	v_add_f32_e32 v87, v87, v89
	v_mul_f32_e32 v89, v100, v123
	s_waitcnt vmcnt(10)
	v_fma_f32 v89, v99, v138, -v89
	v_add_f32_e32 v87, v87, v89
	v_mul_f32_e32 v89, v102, v124
	s_waitcnt vmcnt(9)
	v_fma_f32 v89, v101, v139, -v89
	v_add_f32_e32 v87, v87, v89
	v_mul_f32_e32 v89, v104, v125
	v_fmac_f32_e32 v150, v90, v133
	v_add_f32_e32 v90, 0, v149
	s_waitcnt vmcnt(8)
	v_fma_f32 v89, v103, v140, -v89
	v_fmac_f32_e32 v151, v92, v134
	v_add_f32_e32 v90, v90, v150
	v_add_f32_e32 v87, v87, v89
	v_mul_f32_e32 v89, v106, v126
	v_fmac_f32_e32 v152, v94, v135
	v_add_f32_e32 v88, v90, v151
	s_waitcnt vmcnt(7)
	v_fma_f32 v89, v105, v141, -v89
	v_fmac_f32_e32 v153, v96, v136
	v_add_f32_e32 v88, v88, v152
	v_add_f32_e32 v87, v87, v89
	v_mul_f32_e32 v89, v108, v127
	v_fmac_f32_e32 v154, v98, v137
	v_add_f32_e32 v88, v88, v153
	s_waitcnt vmcnt(6)
	v_fma_f32 v89, v107, v142, -v89
	v_fmac_f32_e32 v155, v100, v138
	v_add_f32_e32 v88, v88, v154
	v_add_f32_e32 v87, v87, v89
	v_mul_f32_e32 v89, v110, v128
	v_fmac_f32_e32 v156, v102, v139
	v_add_f32_e32 v88, v88, v155
	s_waitcnt vmcnt(5)
	v_fma_f32 v89, v109, v143, -v89
	v_fmac_f32_e32 v157, v104, v140
	v_add_f32_e32 v88, v88, v156
	v_add_f32_e32 v87, v87, v89
	s_waitcnt lgkmcnt(1)
	v_mul_f32_e32 v89, v112, v129
	v_fmac_f32_e32 v158, v106, v141
	v_add_f32_e32 v88, v88, v157
	s_waitcnt vmcnt(4)
	v_fma_f32 v89, v111, v144, -v89
	v_fmac_f32_e32 v159, v108, v142
	v_add_f32_e32 v88, v88, v158
	v_add_f32_e32 v87, v87, v89
	v_mul_f32_e32 v89, v114, v130
	v_mul_f32_e32 v161, v111, v129
	v_fmac_f32_e32 v160, v110, v143
	v_add_f32_e32 v88, v88, v159
	s_waitcnt vmcnt(3)
	v_fma_f32 v89, v113, v145, -v89
	v_mul_f32_e32 v162, v113, v130
	v_fmac_f32_e32 v161, v112, v144
	v_add_f32_e32 v88, v88, v160
	v_add_f32_e32 v87, v87, v89
	s_waitcnt lgkmcnt(0)
	v_mul_f32_e32 v89, v116, v131
	v_mul_f32_e32 v163, v115, v131
	v_fmac_f32_e32 v162, v114, v145
	v_add_f32_e32 v88, v88, v161
	s_waitcnt vmcnt(2)
	v_fma_f32 v89, v115, v146, -v89
	v_fmac_f32_e32 v163, v116, v146
	v_add_f32_e32 v88, v88, v162
	v_add_f32_e32 v87, v87, v89
	;; [unrolled: 1-line block ×3, first 2 shown]
	s_waitcnt vmcnt(1)
	v_sub_f32_e32 v87, v147, v87
	s_waitcnt vmcnt(0)
	v_sub_f32_e32 v88, v148, v88
	buffer_store_dword v87, off, s[0:3], 0 offset:208
	buffer_store_dword v88, off, s[0:3], 0 offset:212
	s_and_saveexec_b64 s[4:5], vcc
	s_cbranch_execz .LBB105_215
; %bb.214:
	buffer_load_dword v87, off, s[0:3], 0 offset:200
	buffer_load_dword v88, off, s[0:3], 0 offset:204
	s_waitcnt vmcnt(0)
	ds_write_b64 v85, v[87:88]
	buffer_store_dword v86, off, s[0:3], 0 offset:200
	buffer_store_dword v86, off, s[0:3], 0 offset:204
.LBB105_215:
	s_or_b64 exec, exec, s[4:5]
	s_waitcnt lgkmcnt(0)
	; wave barrier
	buffer_load_dword v119, off, s[0:3], 0 offset:212
	buffer_load_dword v120, off, s[0:3], 0 offset:220
	;; [unrolled: 1-line block ×34, first 2 shown]
	ds_read_b128 v[87:90], v86 offset:544
	ds_read_b128 v[91:94], v86 offset:560
	;; [unrolled: 1-line block ×8, first 2 shown]
	v_cmp_lt_u32_e32 vcc, 24, v0
	s_waitcnt vmcnt(33) lgkmcnt(7)
	v_mul_f32_e32 v86, v87, v119
	v_mul_f32_e32 v119, v88, v119
	s_waitcnt vmcnt(32)
	v_mul_f32_e32 v153, v89, v120
	v_mul_f32_e32 v120, v90, v120
	s_waitcnt vmcnt(31) lgkmcnt(6)
	v_mul_f32_e32 v154, v91, v121
	s_waitcnt vmcnt(30)
	v_mul_f32_e32 v155, v93, v122
	s_waitcnt vmcnt(29) lgkmcnt(5)
	v_mul_f32_e32 v156, v95, v123
	s_waitcnt vmcnt(28)
	;; [unrolled: 4-line block ×6, first 2 shown]
	v_mul_f32_e32 v165, v113, v132
	s_waitcnt vmcnt(17)
	v_fma_f32 v87, v87, v135, -v119
	v_fmac_f32_e32 v86, v88, v135
	s_waitcnt vmcnt(16)
	v_fma_f32 v88, v89, v136, -v120
	v_add_f32_e32 v87, 0, v87
	v_add_f32_e32 v87, v87, v88
	v_mul_f32_e32 v88, v92, v121
	s_waitcnt vmcnt(15)
	v_fma_f32 v88, v91, v137, -v88
	v_add_f32_e32 v87, v87, v88
	v_mul_f32_e32 v88, v94, v122
	s_waitcnt vmcnt(14)
	v_fma_f32 v88, v93, v138, -v88
	;; [unrolled: 4-line block ×7, first 2 shown]
	v_fmac_f32_e32 v153, v90, v136
	v_add_f32_e32 v86, 0, v86
	v_add_f32_e32 v87, v87, v88
	v_mul_f32_e32 v88, v106, v128
	v_fmac_f32_e32 v154, v92, v137
	v_add_f32_e32 v86, v86, v153
	s_waitcnt vmcnt(8)
	v_fma_f32 v88, v105, v144, -v88
	v_fmac_f32_e32 v155, v94, v138
	v_add_f32_e32 v86, v86, v154
	v_add_f32_e32 v87, v87, v88
	v_mul_f32_e32 v88, v108, v129
	v_fmac_f32_e32 v156, v96, v139
	v_add_f32_e32 v86, v86, v155
	s_waitcnt vmcnt(7)
	v_fma_f32 v88, v107, v145, -v88
	;; [unrolled: 8-line block ×5, first 2 shown]
	v_fmac_f32_e32 v163, v110, v146
	v_add_f32_e32 v86, v86, v162
	v_add_f32_e32 v87, v87, v88
	s_waitcnt lgkmcnt(0)
	v_mul_f32_e32 v88, v116, v133
	v_fmac_f32_e32 v164, v112, v147
	v_add_f32_e32 v86, v86, v163
	s_waitcnt vmcnt(3)
	v_fma_f32 v88, v115, v149, -v88
	v_mul_f32_e32 v166, v115, v133
	v_fmac_f32_e32 v165, v114, v148
	v_add_f32_e32 v86, v86, v164
	v_add_f32_e32 v87, v87, v88
	v_mul_f32_e32 v88, v118, v134
	v_mul_f32_e32 v167, v117, v134
	v_fmac_f32_e32 v166, v116, v149
	v_add_f32_e32 v86, v86, v165
	s_waitcnt vmcnt(2)
	v_fma_f32 v88, v117, v150, -v88
	v_fmac_f32_e32 v167, v118, v150
	v_add_f32_e32 v86, v86, v166
	v_add_f32_e32 v87, v87, v88
	;; [unrolled: 1-line block ×3, first 2 shown]
	s_waitcnt vmcnt(1)
	v_sub_f32_e32 v87, v151, v87
	s_waitcnt vmcnt(0)
	v_sub_f32_e32 v86, v152, v86
	buffer_store_dword v87, off, s[0:3], 0 offset:200
	buffer_store_dword v86, off, s[0:3], 0 offset:204
	s_and_saveexec_b64 s[4:5], vcc
	s_cbranch_execz .LBB105_217
; %bb.216:
	buffer_load_dword v86, off, s[0:3], 0 offset:192
	buffer_load_dword v87, off, s[0:3], 0 offset:196
	v_mov_b32_e32 v88, 0
	buffer_store_dword v88, off, s[0:3], 0 offset:192
	buffer_store_dword v88, off, s[0:3], 0 offset:196
	s_waitcnt vmcnt(2)
	ds_write_b64 v85, v[86:87]
.LBB105_217:
	s_or_b64 exec, exec, s[4:5]
	s_waitcnt lgkmcnt(0)
	; wave barrier
	buffer_load_dword v121, off, s[0:3], 0 offset:204
	buffer_load_dword v122, off, s[0:3], 0 offset:212
	;; [unrolled: 1-line block ×36, first 2 shown]
	v_mov_b32_e32 v86, 0
	ds_read2_b64 v[87:90], v86 offset0:67 offset1:68
	ds_read2_b64 v[91:94], v86 offset0:69 offset1:70
	ds_read2_b64 v[95:98], v86 offset0:71 offset1:72
	ds_read2_b64 v[99:102], v86 offset0:73 offset1:74
	ds_read2_b64 v[103:106], v86 offset0:75 offset1:76
	ds_read2_b64 v[107:110], v86 offset0:77 offset1:78
	ds_read2_b64 v[111:114], v86 offset0:79 offset1:80
	ds_read2_b64 v[115:118], v86 offset0:81 offset1:82
	ds_read_b64 v[119:120], v86 offset:664
	v_cmp_lt_u32_e32 vcc, 23, v0
	s_waitcnt vmcnt(35) lgkmcnt(8)
	v_mul_f32_e32 v157, v87, v121
	s_waitcnt vmcnt(34)
	v_mul_f32_e32 v158, v89, v122
	s_waitcnt vmcnt(33) lgkmcnt(7)
	v_mul_f32_e32 v159, v91, v123
	s_waitcnt vmcnt(32)
	v_mul_f32_e32 v160, v93, v124
	;; [unrolled: 4-line block ×8, first 2 shown]
	s_waitcnt vmcnt(19) lgkmcnt(0)
	v_mul_f32_e32 v173, v119, v137
	s_waitcnt vmcnt(18)
	v_fmac_f32_e32 v157, v88, v138
	v_mul_f32_e32 v88, v88, v121
	v_fma_f32 v87, v87, v138, -v88
	v_mul_f32_e32 v88, v90, v122
	v_add_f32_e32 v87, 0, v87
	s_waitcnt vmcnt(17)
	v_fma_f32 v88, v89, v139, -v88
	v_add_f32_e32 v87, v87, v88
	v_mul_f32_e32 v88, v92, v123
	s_waitcnt vmcnt(16)
	v_fma_f32 v88, v91, v140, -v88
	v_add_f32_e32 v87, v87, v88
	v_mul_f32_e32 v88, v94, v124
	;; [unrolled: 4-line block ×8, first 2 shown]
	v_fmac_f32_e32 v158, v90, v139
	v_add_f32_e32 v157, 0, v157
	s_waitcnt vmcnt(9)
	v_fma_f32 v88, v105, v147, -v88
	v_fmac_f32_e32 v159, v92, v140
	v_add_f32_e32 v157, v157, v158
	v_add_f32_e32 v87, v87, v88
	v_mul_f32_e32 v88, v108, v131
	v_fmac_f32_e32 v160, v94, v141
	v_add_f32_e32 v157, v157, v159
	s_waitcnt vmcnt(8)
	v_fma_f32 v88, v107, v148, -v88
	v_fmac_f32_e32 v161, v96, v142
	v_add_f32_e32 v157, v157, v160
	v_add_f32_e32 v87, v87, v88
	v_mul_f32_e32 v88, v110, v132
	;; [unrolled: 8-line block ×7, first 2 shown]
	v_fmac_f32_e32 v172, v118, v153
	v_add_f32_e32 v157, v157, v171
	s_waitcnt vmcnt(2)
	v_fma_f32 v88, v119, v154, -v88
	v_fmac_f32_e32 v173, v120, v154
	v_add_f32_e32 v157, v157, v172
	v_add_f32_e32 v87, v87, v88
	v_add_f32_e32 v157, v157, v173
	s_waitcnt vmcnt(1)
	v_sub_f32_e32 v87, v155, v87
	s_waitcnt vmcnt(0)
	v_sub_f32_e32 v88, v156, v157
	buffer_store_dword v87, off, s[0:3], 0 offset:192
	buffer_store_dword v88, off, s[0:3], 0 offset:196
	s_and_saveexec_b64 s[4:5], vcc
	s_cbranch_execz .LBB105_219
; %bb.218:
	buffer_load_dword v87, off, s[0:3], 0 offset:184
	buffer_load_dword v88, off, s[0:3], 0 offset:188
	s_waitcnt vmcnt(0)
	ds_write_b64 v85, v[87:88]
	buffer_store_dword v86, off, s[0:3], 0 offset:184
	buffer_store_dword v86, off, s[0:3], 0 offset:188
.LBB105_219:
	s_or_b64 exec, exec, s[4:5]
	s_waitcnt lgkmcnt(0)
	; wave barrier
	buffer_load_dword v123, off, s[0:3], 0 offset:196
	buffer_load_dword v124, off, s[0:3], 0 offset:204
	;; [unrolled: 1-line block ×38, first 2 shown]
	ds_read_b128 v[87:90], v86 offset:528
	ds_read_b128 v[91:94], v86 offset:544
	;; [unrolled: 1-line block ×9, first 2 shown]
	v_cmp_lt_u32_e32 vcc, 22, v0
	s_waitcnt vmcnt(37) lgkmcnt(8)
	v_mul_f32_e32 v86, v87, v123
	s_waitcnt vmcnt(36)
	v_mul_f32_e32 v161, v89, v124
	s_waitcnt vmcnt(35) lgkmcnt(7)
	v_mul_f32_e32 v162, v91, v125
	s_waitcnt vmcnt(34)
	v_mul_f32_e32 v163, v93, v126
	;; [unrolled: 4-line block ×8, first 2 shown]
	s_waitcnt vmcnt(21) lgkmcnt(0)
	v_mul_f32_e32 v176, v119, v139
	s_waitcnt vmcnt(20)
	v_fmac_f32_e32 v86, v88, v140
	v_mul_f32_e32 v88, v88, v123
	v_fma_f32 v87, v87, v140, -v88
	v_mul_f32_e32 v88, v90, v124
	v_add_f32_e32 v87, 0, v87
	s_waitcnt vmcnt(19)
	v_fma_f32 v88, v89, v141, -v88
	v_add_f32_e32 v87, v87, v88
	v_mul_f32_e32 v88, v92, v125
	s_waitcnt vmcnt(18)
	v_fma_f32 v88, v91, v142, -v88
	v_add_f32_e32 v87, v87, v88
	v_mul_f32_e32 v88, v94, v126
	;; [unrolled: 4-line block ×8, first 2 shown]
	s_waitcnt vmcnt(11)
	v_fma_f32 v88, v105, v149, -v88
	v_fmac_f32_e32 v161, v90, v141
	v_add_f32_e32 v86, 0, v86
	v_add_f32_e32 v87, v87, v88
	v_mul_f32_e32 v88, v108, v133
	v_fmac_f32_e32 v162, v92, v142
	v_add_f32_e32 v86, v86, v161
	s_waitcnt vmcnt(10)
	v_fma_f32 v88, v107, v150, -v88
	v_fmac_f32_e32 v163, v94, v143
	v_add_f32_e32 v86, v86, v162
	v_add_f32_e32 v87, v87, v88
	v_mul_f32_e32 v88, v110, v134
	v_fmac_f32_e32 v164, v96, v144
	v_add_f32_e32 v86, v86, v163
	;; [unrolled: 8-line block ×7, first 2 shown]
	s_waitcnt vmcnt(4)
	v_fma_f32 v88, v119, v156, -v88
	v_fmac_f32_e32 v175, v118, v155
	v_add_f32_e32 v86, v86, v174
	v_add_f32_e32 v87, v87, v88
	s_waitcnt vmcnt(3)
	v_mul_f32_e32 v88, v122, v157
	v_add_f32_e32 v86, v86, v175
	v_fmac_f32_e32 v176, v120, v156
	v_mul_f32_e32 v161, v121, v157
	s_waitcnt vmcnt(2)
	v_fma_f32 v88, v121, v158, -v88
	v_add_f32_e32 v86, v86, v176
	v_fmac_f32_e32 v161, v122, v158
	v_add_f32_e32 v87, v87, v88
	v_add_f32_e32 v86, v86, v161
	s_waitcnt vmcnt(1)
	v_sub_f32_e32 v87, v159, v87
	s_waitcnt vmcnt(0)
	v_sub_f32_e32 v86, v160, v86
	buffer_store_dword v87, off, s[0:3], 0 offset:184
	buffer_store_dword v86, off, s[0:3], 0 offset:188
	s_and_saveexec_b64 s[4:5], vcc
	s_cbranch_execz .LBB105_221
; %bb.220:
	buffer_load_dword v86, off, s[0:3], 0 offset:176
	buffer_load_dword v87, off, s[0:3], 0 offset:180
	v_mov_b32_e32 v88, 0
	buffer_store_dword v88, off, s[0:3], 0 offset:176
	buffer_store_dword v88, off, s[0:3], 0 offset:180
	s_waitcnt vmcnt(2)
	ds_write_b64 v85, v[86:87]
.LBB105_221:
	s_or_b64 exec, exec, s[4:5]
	s_waitcnt lgkmcnt(0)
	; wave barrier
	buffer_load_dword v125, off, s[0:3], 0 offset:188
	buffer_load_dword v126, off, s[0:3], 0 offset:196
	;; [unrolled: 1-line block ×40, first 2 shown]
	v_mov_b32_e32 v86, 0
	ds_read2_b64 v[87:90], v86 offset0:65 offset1:66
	ds_read2_b64 v[91:94], v86 offset0:67 offset1:68
	;; [unrolled: 1-line block ×9, first 2 shown]
	v_cmp_lt_u32_e32 vcc, 21, v0
	s_waitcnt vmcnt(39) lgkmcnt(8)
	v_mul_f32_e32 v123, v87, v125
	s_waitcnt vmcnt(38)
	v_mul_f32_e32 v124, v89, v126
	s_waitcnt vmcnt(37) lgkmcnt(7)
	v_mul_f32_e32 v165, v91, v127
	s_waitcnt vmcnt(36)
	v_mul_f32_e32 v166, v93, v128
	s_waitcnt vmcnt(35) lgkmcnt(6)
	v_mul_f32_e32 v167, v95, v129
	s_waitcnt vmcnt(34)
	v_mul_f32_e32 v168, v97, v130
	s_waitcnt vmcnt(33) lgkmcnt(5)
	v_mul_f32_e32 v169, v99, v131
	s_waitcnt vmcnt(32)
	v_mul_f32_e32 v170, v101, v132
	s_waitcnt vmcnt(31) lgkmcnt(4)
	v_mul_f32_e32 v171, v103, v133
	s_waitcnt vmcnt(30)
	v_mul_f32_e32 v172, v105, v134
	s_waitcnt vmcnt(29) lgkmcnt(3)
	v_mul_f32_e32 v173, v107, v135
	s_waitcnt vmcnt(28)
	v_mul_f32_e32 v174, v109, v136
	s_waitcnt vmcnt(27) lgkmcnt(2)
	v_mul_f32_e32 v175, v111, v137
	s_waitcnt vmcnt(26)
	v_mul_f32_e32 v176, v113, v138
	s_waitcnt vmcnt(25) lgkmcnt(1)
	v_mul_f32_e32 v177, v115, v139
	s_waitcnt vmcnt(24)
	v_fmac_f32_e32 v123, v88, v140
	v_mul_f32_e32 v88, v88, v125
	v_fma_f32 v87, v87, v140, -v88
	v_mul_f32_e32 v88, v90, v126
	v_add_f32_e32 v87, 0, v87
	s_waitcnt vmcnt(23)
	v_fma_f32 v88, v89, v141, -v88
	v_add_f32_e32 v87, v87, v88
	v_mul_f32_e32 v88, v92, v127
	s_waitcnt vmcnt(22)
	v_fma_f32 v88, v91, v142, -v88
	v_add_f32_e32 v87, v87, v88
	v_mul_f32_e32 v88, v94, v128
	;; [unrolled: 4-line block ×6, first 2 shown]
	s_waitcnt vmcnt(17)
	v_fma_f32 v88, v101, v147, -v88
	v_fmac_f32_e32 v124, v90, v141
	v_add_f32_e32 v123, 0, v123
	v_add_f32_e32 v87, v87, v88
	v_mul_f32_e32 v88, v104, v133
	v_fmac_f32_e32 v165, v92, v142
	v_add_f32_e32 v123, v123, v124
	s_waitcnt vmcnt(16)
	v_fma_f32 v88, v103, v148, -v88
	v_fmac_f32_e32 v166, v94, v143
	v_add_f32_e32 v123, v123, v165
	v_add_f32_e32 v87, v87, v88
	v_mul_f32_e32 v88, v106, v134
	v_fmac_f32_e32 v167, v96, v144
	v_add_f32_e32 v123, v123, v166
	;; [unrolled: 8-line block ×6, first 2 shown]
	s_waitcnt vmcnt(11)
	v_fma_f32 v88, v113, v153, -v88
	v_fmac_f32_e32 v176, v114, v153
	v_add_f32_e32 v123, v123, v175
	v_add_f32_e32 v87, v87, v88
	v_mul_f32_e32 v88, v116, v139
	s_waitcnt vmcnt(10)
	v_fmac_f32_e32 v177, v116, v154
	v_add_f32_e32 v123, v123, v176
	s_waitcnt vmcnt(9)
	v_mul_f32_e32 v124, v117, v155
	v_fma_f32 v88, v115, v154, -v88
	v_add_f32_e32 v123, v123, v177
	s_waitcnt vmcnt(8)
	v_fmac_f32_e32 v124, v118, v156
	v_add_f32_e32 v87, v87, v88
	v_mul_f32_e32 v88, v118, v155
	v_add_f32_e32 v165, v123, v124
	ds_read_b64 v[123:124], v86 offset:664
	v_fma_f32 v88, v117, v156, -v88
	v_add_f32_e32 v87, v87, v88
	s_waitcnt vmcnt(7) lgkmcnt(1)
	v_mul_f32_e32 v88, v120, v157
	v_mul_f32_e32 v166, v119, v157
	s_waitcnt vmcnt(6)
	v_fma_f32 v88, v119, v158, -v88
	v_fmac_f32_e32 v166, v120, v158
	v_add_f32_e32 v87, v87, v88
	s_waitcnt vmcnt(5)
	v_mul_f32_e32 v88, v122, v159
	v_add_f32_e32 v165, v165, v166
	v_mul_f32_e32 v166, v121, v159
	s_waitcnt vmcnt(4)
	v_fma_f32 v88, v121, v160, -v88
	v_fmac_f32_e32 v166, v122, v160
	v_add_f32_e32 v87, v87, v88
	s_waitcnt vmcnt(3) lgkmcnt(0)
	v_mul_f32_e32 v88, v124, v161
	v_add_f32_e32 v165, v165, v166
	v_mul_f32_e32 v166, v123, v161
	s_waitcnt vmcnt(2)
	v_fma_f32 v88, v123, v162, -v88
	v_fmac_f32_e32 v166, v124, v162
	v_add_f32_e32 v87, v87, v88
	v_add_f32_e32 v165, v165, v166
	s_waitcnt vmcnt(1)
	v_sub_f32_e32 v87, v163, v87
	s_waitcnt vmcnt(0)
	v_sub_f32_e32 v88, v164, v165
	buffer_store_dword v87, off, s[0:3], 0 offset:176
	buffer_store_dword v88, off, s[0:3], 0 offset:180
	s_and_saveexec_b64 s[4:5], vcc
	s_cbranch_execz .LBB105_223
; %bb.222:
	buffer_load_dword v87, off, s[0:3], 0 offset:168
	buffer_load_dword v88, off, s[0:3], 0 offset:172
	s_waitcnt vmcnt(0)
	ds_write_b64 v85, v[87:88]
	buffer_store_dword v86, off, s[0:3], 0 offset:168
	buffer_store_dword v86, off, s[0:3], 0 offset:172
.LBB105_223:
	s_or_b64 exec, exec, s[4:5]
	s_waitcnt lgkmcnt(0)
	; wave barrier
	buffer_load_dword v127, off, s[0:3], 0 offset:180
	buffer_load_dword v128, off, s[0:3], 0 offset:188
	;; [unrolled: 1-line block ×42, first 2 shown]
	ds_read_b128 v[87:90], v86 offset:512
	ds_read_b128 v[91:94], v86 offset:528
	ds_read_b128 v[95:98], v86 offset:544
	ds_read_b128 v[99:102], v86 offset:560
	ds_read_b128 v[103:106], v86 offset:576
	ds_read_b128 v[107:110], v86 offset:592
	ds_read_b128 v[111:114], v86 offset:608
	ds_read_b128 v[115:118], v86 offset:624
	v_cmp_lt_u32_e32 vcc, 20, v0
	s_waitcnt vmcnt(41) lgkmcnt(7)
	v_mul_f32_e32 v119, v87, v127
	s_waitcnt vmcnt(40)
	v_mul_f32_e32 v120, v89, v128
	s_waitcnt vmcnt(39) lgkmcnt(6)
	v_mul_f32_e32 v121, v91, v129
	s_waitcnt vmcnt(38)
	v_mul_f32_e32 v122, v93, v130
	;; [unrolled: 4-line block ×7, first 2 shown]
	s_waitcnt vmcnt(27) lgkmcnt(0)
	v_mul_f32_e32 v175, v115, v141
	s_waitcnt vmcnt(26)
	v_fmac_f32_e32 v119, v88, v142
	v_mul_f32_e32 v88, v88, v127
	v_fma_f32 v87, v87, v142, -v88
	v_mul_f32_e32 v88, v90, v128
	v_add_f32_e32 v87, 0, v87
	s_waitcnt vmcnt(25)
	v_fma_f32 v88, v89, v143, -v88
	v_add_f32_e32 v87, v87, v88
	v_mul_f32_e32 v88, v92, v129
	s_waitcnt vmcnt(24)
	v_fma_f32 v88, v91, v144, -v88
	v_add_f32_e32 v87, v87, v88
	v_mul_f32_e32 v88, v94, v130
	;; [unrolled: 4-line block ×5, first 2 shown]
	v_fmac_f32_e32 v120, v90, v143
	v_add_f32_e32 v119, 0, v119
	s_waitcnt vmcnt(20)
	v_fma_f32 v88, v99, v148, -v88
	v_fmac_f32_e32 v121, v92, v144
	v_add_f32_e32 v119, v119, v120
	v_add_f32_e32 v87, v87, v88
	v_mul_f32_e32 v88, v102, v134
	v_fmac_f32_e32 v122, v94, v145
	v_add_f32_e32 v119, v119, v121
	s_waitcnt vmcnt(19)
	v_fma_f32 v88, v101, v149, -v88
	v_fmac_f32_e32 v123, v96, v146
	v_add_f32_e32 v119, v119, v122
	v_add_f32_e32 v87, v87, v88
	v_mul_f32_e32 v88, v104, v135
	;; [unrolled: 8-line block ×5, first 2 shown]
	s_waitcnt vmcnt(15)
	v_fmac_f32_e32 v172, v110, v153
	v_add_f32_e32 v119, v119, v171
	v_fma_f32 v88, v109, v153, -v88
	s_waitcnt vmcnt(14)
	v_fmac_f32_e32 v173, v112, v154
	v_add_f32_e32 v119, v119, v172
	v_add_f32_e32 v87, v87, v88
	v_mul_f32_e32 v88, v112, v139
	s_waitcnt vmcnt(13)
	v_fmac_f32_e32 v174, v114, v155
	v_add_f32_e32 v119, v119, v173
	v_fma_f32 v88, v111, v154, -v88
	s_waitcnt vmcnt(12)
	v_fmac_f32_e32 v175, v116, v156
	v_add_f32_e32 v119, v119, v174
	v_add_f32_e32 v87, v87, v88
	v_mul_f32_e32 v88, v114, v140
	v_add_f32_e32 v123, v119, v175
	ds_read_b128 v[119:122], v86 offset:640
	v_fma_f32 v88, v113, v155, -v88
	v_add_f32_e32 v87, v87, v88
	v_mul_f32_e32 v88, v116, v141
	s_waitcnt vmcnt(11)
	v_mul_f32_e32 v124, v117, v157
	v_fma_f32 v88, v115, v156, -v88
	s_waitcnt vmcnt(10)
	v_fmac_f32_e32 v124, v118, v158
	v_add_f32_e32 v87, v87, v88
	v_mul_f32_e32 v88, v118, v157
	v_add_f32_e32 v169, v123, v124
	ds_read_b128 v[123:126], v86 offset:656
	v_fma_f32 v88, v117, v158, -v88
	v_add_f32_e32 v87, v87, v88
	s_waitcnt vmcnt(9) lgkmcnt(1)
	v_mul_f32_e32 v88, v120, v159
	v_mul_f32_e32 v86, v119, v159
	s_waitcnt vmcnt(8)
	v_fma_f32 v88, v119, v160, -v88
	v_fmac_f32_e32 v86, v120, v160
	v_add_f32_e32 v87, v87, v88
	s_waitcnt vmcnt(7)
	v_mul_f32_e32 v88, v122, v161
	v_add_f32_e32 v86, v169, v86
	v_mul_f32_e32 v169, v121, v161
	s_waitcnt vmcnt(6)
	v_fma_f32 v88, v121, v162, -v88
	v_fmac_f32_e32 v169, v122, v162
	v_add_f32_e32 v87, v87, v88
	s_waitcnt vmcnt(5) lgkmcnt(0)
	v_mul_f32_e32 v88, v124, v163
	v_add_f32_e32 v86, v86, v169
	v_mul_f32_e32 v169, v123, v163
	s_waitcnt vmcnt(4)
	v_fma_f32 v88, v123, v164, -v88
	v_fmac_f32_e32 v169, v124, v164
	v_add_f32_e32 v87, v87, v88
	s_waitcnt vmcnt(3)
	v_mul_f32_e32 v88, v126, v165
	v_add_f32_e32 v86, v86, v169
	v_mul_f32_e32 v169, v125, v165
	s_waitcnt vmcnt(2)
	v_fma_f32 v88, v125, v166, -v88
	v_fmac_f32_e32 v169, v126, v166
	v_add_f32_e32 v87, v87, v88
	v_add_f32_e32 v86, v86, v169
	s_waitcnt vmcnt(1)
	v_sub_f32_e32 v87, v167, v87
	s_waitcnt vmcnt(0)
	v_sub_f32_e32 v86, v168, v86
	buffer_store_dword v87, off, s[0:3], 0 offset:168
	buffer_store_dword v86, off, s[0:3], 0 offset:172
	s_and_saveexec_b64 s[4:5], vcc
	s_cbranch_execz .LBB105_225
; %bb.224:
	buffer_load_dword v86, off, s[0:3], 0 offset:160
	buffer_load_dword v87, off, s[0:3], 0 offset:164
	v_mov_b32_e32 v88, 0
	buffer_store_dword v88, off, s[0:3], 0 offset:160
	buffer_store_dword v88, off, s[0:3], 0 offset:164
	s_waitcnt vmcnt(2)
	ds_write_b64 v85, v[86:87]
.LBB105_225:
	s_or_b64 exec, exec, s[4:5]
	s_waitcnt lgkmcnt(0)
	; wave barrier
	buffer_load_dword v129, off, s[0:3], 0 offset:172
	buffer_load_dword v130, off, s[0:3], 0 offset:180
	;; [unrolled: 1-line block ×44, first 2 shown]
	v_mov_b32_e32 v86, 0
	ds_read2_b64 v[87:90], v86 offset0:63 offset1:64
	ds_read2_b64 v[91:94], v86 offset0:65 offset1:66
	;; [unrolled: 1-line block ×8, first 2 shown]
	v_cmp_lt_u32_e32 vcc, 19, v0
	s_waitcnt vmcnt(43) lgkmcnt(7)
	v_mul_f32_e32 v119, v87, v129
	s_waitcnt vmcnt(42)
	v_mul_f32_e32 v120, v89, v130
	s_waitcnt vmcnt(41) lgkmcnt(6)
	v_mul_f32_e32 v121, v91, v131
	s_waitcnt vmcnt(40)
	v_mul_f32_e32 v122, v93, v132
	;; [unrolled: 4-line block ×7, first 2 shown]
	s_waitcnt vmcnt(29)
	v_fmac_f32_e32 v119, v88, v143
	v_mul_f32_e32 v88, v88, v129
	v_fma_f32 v87, v87, v143, -v88
	v_mul_f32_e32 v88, v90, v130
	v_add_f32_e32 v87, 0, v87
	s_waitcnt vmcnt(28)
	v_fma_f32 v88, v89, v144, -v88
	v_add_f32_e32 v87, v87, v88
	v_mul_f32_e32 v88, v92, v131
	s_waitcnt vmcnt(27)
	v_fma_f32 v88, v91, v145, -v88
	v_add_f32_e32 v87, v87, v88
	v_mul_f32_e32 v88, v94, v132
	;; [unrolled: 4-line block ×4, first 2 shown]
	s_waitcnt vmcnt(24)
	v_fma_f32 v88, v97, v148, -v88
	v_fmac_f32_e32 v120, v90, v144
	v_add_f32_e32 v119, 0, v119
	v_add_f32_e32 v87, v87, v88
	v_mul_f32_e32 v88, v100, v135
	v_fmac_f32_e32 v121, v92, v145
	v_add_f32_e32 v119, v119, v120
	s_waitcnt vmcnt(23)
	v_fma_f32 v88, v99, v149, -v88
	v_fmac_f32_e32 v122, v94, v146
	v_add_f32_e32 v119, v119, v121
	v_add_f32_e32 v87, v87, v88
	v_mul_f32_e32 v88, v102, v136
	v_fmac_f32_e32 v123, v96, v147
	v_add_f32_e32 v119, v119, v122
	;; [unrolled: 8-line block ×4, first 2 shown]
	s_waitcnt vmcnt(20)
	v_fma_f32 v88, v105, v152, -v88
	v_fmac_f32_e32 v128, v106, v152
	v_add_f32_e32 v119, v119, v127
	v_add_f32_e32 v87, v87, v88
	v_mul_f32_e32 v88, v108, v139
	s_waitcnt vmcnt(19)
	v_fmac_f32_e32 v173, v108, v153
	v_add_f32_e32 v119, v119, v128
	v_fma_f32 v88, v107, v153, -v88
	s_waitcnt vmcnt(18)
	v_fmac_f32_e32 v174, v110, v154
	v_add_f32_e32 v119, v119, v173
	v_add_f32_e32 v87, v87, v88
	v_mul_f32_e32 v88, v110, v140
	s_waitcnt vmcnt(17)
	v_fmac_f32_e32 v175, v112, v155
	v_add_f32_e32 v119, v119, v174
	v_fma_f32 v88, v109, v154, -v88
	v_add_f32_e32 v119, v119, v175
	s_waitcnt vmcnt(16)
	v_fmac_f32_e32 v176, v114, v156
	s_waitcnt vmcnt(15) lgkmcnt(0)
	v_mul_f32_e32 v120, v115, v157
	v_add_f32_e32 v87, v87, v88
	v_mul_f32_e32 v88, v112, v141
	v_add_f32_e32 v119, v119, v176
	s_waitcnt vmcnt(14)
	v_fmac_f32_e32 v120, v116, v158
	v_fma_f32 v88, v111, v155, -v88
	v_add_f32_e32 v123, v119, v120
	ds_read2_b64 v[119:122], v86 offset0:79 offset1:80
	v_add_f32_e32 v87, v87, v88
	v_mul_f32_e32 v88, v114, v142
	v_fma_f32 v88, v113, v156, -v88
	v_add_f32_e32 v87, v87, v88
	v_mul_f32_e32 v88, v116, v157
	s_waitcnt vmcnt(13)
	v_mul_f32_e32 v124, v117, v159
	v_fma_f32 v88, v115, v158, -v88
	s_waitcnt vmcnt(12)
	v_fmac_f32_e32 v124, v118, v160
	v_add_f32_e32 v87, v87, v88
	v_mul_f32_e32 v88, v118, v159
	v_add_f32_e32 v127, v123, v124
	ds_read2_b64 v[123:126], v86 offset0:81 offset1:82
	s_waitcnt vmcnt(11) lgkmcnt(1)
	v_mul_f32_e32 v128, v119, v161
	v_fma_f32 v88, v117, v160, -v88
	s_waitcnt vmcnt(10)
	v_fmac_f32_e32 v128, v120, v162
	v_add_f32_e32 v87, v87, v88
	v_mul_f32_e32 v88, v120, v161
	v_add_f32_e32 v127, v127, v128
	s_waitcnt vmcnt(9)
	v_mul_f32_e32 v128, v121, v163
	v_fma_f32 v88, v119, v162, -v88
	s_waitcnt vmcnt(8)
	v_fmac_f32_e32 v128, v122, v164
	v_add_f32_e32 v87, v87, v88
	v_mul_f32_e32 v88, v122, v163
	v_add_f32_e32 v173, v127, v128
	ds_read_b64 v[127:128], v86 offset:664
	v_fma_f32 v88, v121, v164, -v88
	v_add_f32_e32 v87, v87, v88
	s_waitcnt vmcnt(7) lgkmcnt(1)
	v_mul_f32_e32 v88, v124, v165
	v_mul_f32_e32 v174, v123, v165
	s_waitcnt vmcnt(6)
	v_fma_f32 v88, v123, v166, -v88
	v_fmac_f32_e32 v174, v124, v166
	v_add_f32_e32 v87, v87, v88
	s_waitcnt vmcnt(5)
	v_mul_f32_e32 v88, v126, v167
	v_add_f32_e32 v173, v173, v174
	v_mul_f32_e32 v174, v125, v167
	s_waitcnt vmcnt(4)
	v_fma_f32 v88, v125, v168, -v88
	v_fmac_f32_e32 v174, v126, v168
	v_add_f32_e32 v87, v87, v88
	s_waitcnt vmcnt(3) lgkmcnt(0)
	v_mul_f32_e32 v88, v128, v169
	v_add_f32_e32 v173, v173, v174
	v_mul_f32_e32 v174, v127, v169
	s_waitcnt vmcnt(2)
	v_fma_f32 v88, v127, v170, -v88
	v_fmac_f32_e32 v174, v128, v170
	v_add_f32_e32 v87, v87, v88
	v_add_f32_e32 v173, v173, v174
	s_waitcnt vmcnt(1)
	v_sub_f32_e32 v87, v171, v87
	s_waitcnt vmcnt(0)
	v_sub_f32_e32 v88, v172, v173
	buffer_store_dword v87, off, s[0:3], 0 offset:160
	buffer_store_dword v88, off, s[0:3], 0 offset:164
	s_and_saveexec_b64 s[4:5], vcc
	s_cbranch_execz .LBB105_227
; %bb.226:
	buffer_load_dword v87, off, s[0:3], 0 offset:152
	buffer_load_dword v88, off, s[0:3], 0 offset:156
	s_waitcnt vmcnt(0)
	ds_write_b64 v85, v[87:88]
	buffer_store_dword v86, off, s[0:3], 0 offset:152
	buffer_store_dword v86, off, s[0:3], 0 offset:156
.LBB105_227:
	s_or_b64 exec, exec, s[4:5]
	s_waitcnt lgkmcnt(0)
	; wave barrier
	buffer_load_dword v131, off, s[0:3], 0 offset:164
	buffer_load_dword v132, off, s[0:3], 0 offset:172
	;; [unrolled: 1-line block ×46, first 2 shown]
	ds_read_b128 v[87:90], v86 offset:496
	ds_read_b128 v[91:94], v86 offset:512
	;; [unrolled: 1-line block ×8, first 2 shown]
	v_cmp_lt_u32_e32 vcc, 18, v0
	s_waitcnt vmcnt(45) lgkmcnt(7)
	v_mul_f32_e32 v119, v87, v131
	s_waitcnt vmcnt(44)
	v_mul_f32_e32 v120, v89, v132
	s_waitcnt vmcnt(43) lgkmcnt(6)
	v_mul_f32_e32 v121, v91, v133
	s_waitcnt vmcnt(42)
	v_mul_f32_e32 v122, v93, v134
	;; [unrolled: 4-line block ×6, first 2 shown]
	s_waitcnt vmcnt(33) lgkmcnt(1)
	v_mul_f32_e32 v177, v111, v143
	s_waitcnt vmcnt(32)
	v_fmac_f32_e32 v119, v88, v144
	v_mul_f32_e32 v88, v88, v131
	v_fma_f32 v87, v87, v144, -v88
	v_mul_f32_e32 v88, v90, v132
	v_add_f32_e32 v87, 0, v87
	s_waitcnt vmcnt(31)
	v_fma_f32 v88, v89, v145, -v88
	v_add_f32_e32 v87, v87, v88
	v_mul_f32_e32 v88, v92, v133
	s_waitcnt vmcnt(30)
	v_fma_f32 v88, v91, v146, -v88
	v_add_f32_e32 v87, v87, v88
	v_mul_f32_e32 v88, v94, v134
	;; [unrolled: 4-line block ×4, first 2 shown]
	v_fmac_f32_e32 v120, v90, v145
	v_add_f32_e32 v119, 0, v119
	s_waitcnt vmcnt(27)
	v_fma_f32 v88, v97, v149, -v88
	v_fmac_f32_e32 v121, v92, v146
	v_add_f32_e32 v119, v119, v120
	v_add_f32_e32 v87, v87, v88
	v_mul_f32_e32 v88, v100, v137
	v_fmac_f32_e32 v122, v94, v147
	v_add_f32_e32 v119, v119, v121
	s_waitcnt vmcnt(26)
	v_fma_f32 v88, v99, v150, -v88
	v_fmac_f32_e32 v123, v96, v148
	v_add_f32_e32 v119, v119, v122
	v_add_f32_e32 v87, v87, v88
	v_mul_f32_e32 v88, v102, v138
	;; [unrolled: 8-line block ×4, first 2 shown]
	s_waitcnt vmcnt(23)
	v_fmac_f32_e32 v128, v106, v153
	v_add_f32_e32 v119, v119, v127
	v_fma_f32 v88, v105, v153, -v88
	s_waitcnt vmcnt(22)
	v_fmac_f32_e32 v129, v108, v154
	v_add_f32_e32 v119, v119, v128
	v_add_f32_e32 v87, v87, v88
	v_mul_f32_e32 v88, v108, v141
	s_waitcnt vmcnt(21)
	v_fmac_f32_e32 v130, v110, v155
	v_add_f32_e32 v119, v119, v129
	v_fma_f32 v88, v107, v154, -v88
	s_waitcnt vmcnt(20)
	v_fmac_f32_e32 v177, v112, v156
	v_add_f32_e32 v119, v119, v130
	s_waitcnt vmcnt(19)
	v_mul_f32_e32 v120, v113, v157
	v_add_f32_e32 v87, v87, v88
	v_mul_f32_e32 v88, v110, v142
	v_add_f32_e32 v119, v119, v177
	s_waitcnt vmcnt(18)
	v_fmac_f32_e32 v120, v114, v158
	v_fma_f32 v88, v109, v155, -v88
	v_add_f32_e32 v119, v119, v120
	s_waitcnt vmcnt(17) lgkmcnt(0)
	v_mul_f32_e32 v120, v115, v159
	v_add_f32_e32 v87, v87, v88
	v_mul_f32_e32 v88, v112, v143
	s_waitcnt vmcnt(16)
	v_fmac_f32_e32 v120, v116, v160
	v_fma_f32 v88, v111, v156, -v88
	v_add_f32_e32 v123, v119, v120
	ds_read_b128 v[119:122], v86 offset:624
	v_add_f32_e32 v87, v87, v88
	v_mul_f32_e32 v88, v114, v157
	v_fma_f32 v88, v113, v158, -v88
	v_add_f32_e32 v87, v87, v88
	v_mul_f32_e32 v88, v116, v159
	s_waitcnt vmcnt(15)
	v_mul_f32_e32 v124, v117, v161
	v_fma_f32 v88, v115, v160, -v88
	s_waitcnt vmcnt(14)
	v_fmac_f32_e32 v124, v118, v162
	v_add_f32_e32 v87, v87, v88
	v_mul_f32_e32 v88, v118, v161
	v_add_f32_e32 v127, v123, v124
	ds_read_b128 v[123:126], v86 offset:640
	s_waitcnt vmcnt(13) lgkmcnt(1)
	v_mul_f32_e32 v128, v119, v163
	v_fma_f32 v88, v117, v162, -v88
	s_waitcnt vmcnt(12)
	v_fmac_f32_e32 v128, v120, v164
	v_add_f32_e32 v87, v87, v88
	v_mul_f32_e32 v88, v120, v163
	v_add_f32_e32 v127, v127, v128
	s_waitcnt vmcnt(11)
	v_mul_f32_e32 v128, v121, v165
	v_fma_f32 v88, v119, v164, -v88
	s_waitcnt vmcnt(10)
	v_fmac_f32_e32 v128, v122, v166
	v_add_f32_e32 v87, v87, v88
	v_mul_f32_e32 v88, v122, v165
	v_add_f32_e32 v177, v127, v128
	ds_read_b128 v[127:130], v86 offset:656
	v_fma_f32 v88, v121, v166, -v88
	v_add_f32_e32 v87, v87, v88
	s_waitcnt vmcnt(9) lgkmcnt(1)
	v_mul_f32_e32 v88, v124, v167
	v_mul_f32_e32 v178, v123, v167
	s_waitcnt vmcnt(8)
	v_fma_f32 v88, v123, v168, -v88
	v_fmac_f32_e32 v178, v124, v168
	v_add_f32_e32 v87, v87, v88
	s_waitcnt vmcnt(7)
	v_mul_f32_e32 v88, v126, v169
	v_add_f32_e32 v86, v177, v178
	v_mul_f32_e32 v177, v125, v169
	s_waitcnt vmcnt(6)
	v_fma_f32 v88, v125, v170, -v88
	v_fmac_f32_e32 v177, v126, v170
	v_add_f32_e32 v87, v87, v88
	s_waitcnt vmcnt(5) lgkmcnt(0)
	v_mul_f32_e32 v88, v128, v171
	v_add_f32_e32 v86, v86, v177
	v_mul_f32_e32 v177, v127, v171
	s_waitcnt vmcnt(4)
	v_fma_f32 v88, v127, v172, -v88
	v_fmac_f32_e32 v177, v128, v172
	v_add_f32_e32 v87, v87, v88
	s_waitcnt vmcnt(3)
	v_mul_f32_e32 v88, v130, v173
	v_add_f32_e32 v86, v86, v177
	v_mul_f32_e32 v177, v129, v173
	s_waitcnt vmcnt(2)
	v_fma_f32 v88, v129, v174, -v88
	v_fmac_f32_e32 v177, v130, v174
	v_add_f32_e32 v87, v87, v88
	v_add_f32_e32 v86, v86, v177
	s_waitcnt vmcnt(1)
	v_sub_f32_e32 v87, v175, v87
	s_waitcnt vmcnt(0)
	v_sub_f32_e32 v86, v176, v86
	buffer_store_dword v87, off, s[0:3], 0 offset:152
	buffer_store_dword v86, off, s[0:3], 0 offset:156
	s_and_saveexec_b64 s[4:5], vcc
	s_cbranch_execz .LBB105_229
; %bb.228:
	buffer_load_dword v86, off, s[0:3], 0 offset:144
	buffer_load_dword v87, off, s[0:3], 0 offset:148
	v_mov_b32_e32 v88, 0
	buffer_store_dword v88, off, s[0:3], 0 offset:144
	buffer_store_dword v88, off, s[0:3], 0 offset:148
	s_waitcnt vmcnt(2)
	ds_write_b64 v85, v[86:87]
.LBB105_229:
	s_or_b64 exec, exec, s[4:5]
	s_waitcnt lgkmcnt(0)
	; wave barrier
	buffer_load_dword v133, off, s[0:3], 0 offset:156
	buffer_load_dword v134, off, s[0:3], 0 offset:164
	buffer_load_dword v135, off, s[0:3], 0 offset:172
	buffer_load_dword v136, off, s[0:3], 0 offset:180
	buffer_load_dword v137, off, s[0:3], 0 offset:188
	buffer_load_dword v138, off, s[0:3], 0 offset:196
	buffer_load_dword v139, off, s[0:3], 0 offset:204
	buffer_load_dword v140, off, s[0:3], 0 offset:212
	buffer_load_dword v141, off, s[0:3], 0 offset:220
	buffer_load_dword v142, off, s[0:3], 0 offset:228
	buffer_load_dword v143, off, s[0:3], 0 offset:236
	buffer_load_dword v144, off, s[0:3], 0 offset:244
	buffer_load_dword v145, off, s[0:3], 0 offset:152
	buffer_load_dword v146, off, s[0:3], 0 offset:160
	buffer_load_dword v147, off, s[0:3], 0 offset:168
	buffer_load_dword v148, off, s[0:3], 0 offset:176
	buffer_load_dword v149, off, s[0:3], 0 offset:184
	buffer_load_dword v150, off, s[0:3], 0 offset:192
	buffer_load_dword v151, off, s[0:3], 0 offset:200
	buffer_load_dword v152, off, s[0:3], 0 offset:208
	buffer_load_dword v153, off, s[0:3], 0 offset:216
	buffer_load_dword v154, off, s[0:3], 0 offset:224
	buffer_load_dword v155, off, s[0:3], 0 offset:232
	buffer_load_dword v156, off, s[0:3], 0 offset:240
	buffer_load_dword v157, off, s[0:3], 0 offset:252
	buffer_load_dword v158, off, s[0:3], 0 offset:248
	buffer_load_dword v159, off, s[0:3], 0 offset:260
	buffer_load_dword v160, off, s[0:3], 0 offset:256
	buffer_load_dword v161, off, s[0:3], 0 offset:268
	buffer_load_dword v162, off, s[0:3], 0 offset:264
	buffer_load_dword v163, off, s[0:3], 0 offset:276
	buffer_load_dword v164, off, s[0:3], 0 offset:272
	buffer_load_dword v165, off, s[0:3], 0 offset:284
	buffer_load_dword v166, off, s[0:3], 0 offset:280
	buffer_load_dword v167, off, s[0:3], 0 offset:292
	buffer_load_dword v168, off, s[0:3], 0 offset:288
	buffer_load_dword v169, off, s[0:3], 0 offset:300
	buffer_load_dword v170, off, s[0:3], 0 offset:296
	buffer_load_dword v171, off, s[0:3], 0 offset:308
	buffer_load_dword v172, off, s[0:3], 0 offset:304
	buffer_load_dword v173, off, s[0:3], 0 offset:312
	buffer_load_dword v174, off, s[0:3], 0 offset:316
	buffer_load_dword v175, off, s[0:3], 0 offset:144
	buffer_load_dword v176, off, s[0:3], 0 offset:148
	buffer_load_dword v177, off, s[0:3], 0 offset:324
	buffer_load_dword v178, off, s[0:3], 0 offset:320
	buffer_load_dword v179, off, s[0:3], 0 offset:328
	buffer_load_dword v180, off, s[0:3], 0 offset:332
	v_mov_b32_e32 v86, 0
	ds_read2_b64 v[87:90], v86 offset0:61 offset1:62
	ds_read2_b64 v[91:94], v86 offset0:63 offset1:64
	;; [unrolled: 1-line block ×7, first 2 shown]
	v_cmp_lt_u32_e32 vcc, 17, v0
	s_waitcnt vmcnt(47) lgkmcnt(6)
	v_mul_f32_e32 v115, v87, v133
	s_waitcnt vmcnt(46)
	v_mul_f32_e32 v116, v89, v134
	s_waitcnt vmcnt(45) lgkmcnt(5)
	v_mul_f32_e32 v117, v91, v135
	s_waitcnt vmcnt(44)
	v_mul_f32_e32 v118, v93, v136
	;; [unrolled: 4-line block ×6, first 2 shown]
	s_waitcnt vmcnt(35)
	v_fmac_f32_e32 v115, v88, v145
	v_mul_f32_e32 v88, v88, v133
	v_fma_f32 v87, v87, v145, -v88
	v_mul_f32_e32 v88, v90, v134
	v_add_f32_e32 v87, 0, v87
	s_waitcnt vmcnt(34)
	v_fma_f32 v88, v89, v146, -v88
	v_add_f32_e32 v87, v87, v88
	v_mul_f32_e32 v88, v92, v135
	s_waitcnt vmcnt(33)
	v_fma_f32 v88, v91, v147, -v88
	v_fmac_f32_e32 v116, v90, v146
	v_add_f32_e32 v115, 0, v115
	v_add_f32_e32 v87, v87, v88
	v_mul_f32_e32 v88, v94, v136
	v_fmac_f32_e32 v117, v92, v147
	v_add_f32_e32 v115, v115, v116
	s_waitcnt vmcnt(32)
	v_fma_f32 v88, v93, v148, -v88
	v_fmac_f32_e32 v118, v94, v148
	v_add_f32_e32 v115, v115, v117
	v_add_f32_e32 v87, v87, v88
	v_mul_f32_e32 v88, v96, v137
	s_waitcnt vmcnt(31)
	v_fmac_f32_e32 v119, v96, v149
	v_add_f32_e32 v115, v115, v118
	v_fma_f32 v88, v95, v149, -v88
	s_waitcnt vmcnt(30)
	v_fmac_f32_e32 v120, v98, v150
	v_add_f32_e32 v115, v115, v119
	v_add_f32_e32 v87, v87, v88
	v_mul_f32_e32 v88, v98, v138
	s_waitcnt vmcnt(29)
	v_fmac_f32_e32 v121, v100, v151
	v_add_f32_e32 v115, v115, v120
	v_fma_f32 v88, v97, v150, -v88
	s_waitcnt vmcnt(28)
	;; [unrolled: 9-line block ×4, first 2 shown]
	v_fmac_f32_e32 v126, v110, v156
	v_add_f32_e32 v115, v115, v125
	v_add_f32_e32 v87, v87, v88
	v_mul_f32_e32 v88, v104, v141
	v_add_f32_e32 v119, v115, v126
	ds_read2_b64 v[115:118], v86 offset0:75 offset1:76
	v_fma_f32 v88, v103, v153, -v88
	s_waitcnt vmcnt(23) lgkmcnt(1)
	v_mul_f32_e32 v120, v111, v157
	v_add_f32_e32 v87, v87, v88
	v_mul_f32_e32 v88, v106, v142
	s_waitcnt vmcnt(22)
	v_fmac_f32_e32 v120, v112, v158
	v_fma_f32 v88, v105, v154, -v88
	v_add_f32_e32 v119, v119, v120
	s_waitcnt vmcnt(21)
	v_mul_f32_e32 v120, v113, v159
	v_add_f32_e32 v87, v87, v88
	v_mul_f32_e32 v88, v108, v143
	s_waitcnt vmcnt(20)
	v_fmac_f32_e32 v120, v114, v160
	v_fma_f32 v88, v107, v155, -v88
	v_add_f32_e32 v119, v119, v120
	s_waitcnt vmcnt(19) lgkmcnt(0)
	v_mul_f32_e32 v120, v115, v161
	v_add_f32_e32 v87, v87, v88
	v_mul_f32_e32 v88, v110, v144
	s_waitcnt vmcnt(18)
	v_fmac_f32_e32 v120, v116, v162
	v_fma_f32 v88, v109, v156, -v88
	v_add_f32_e32 v123, v119, v120
	ds_read2_b64 v[119:122], v86 offset0:77 offset1:78
	v_add_f32_e32 v87, v87, v88
	v_mul_f32_e32 v88, v112, v157
	v_fma_f32 v88, v111, v158, -v88
	s_waitcnt vmcnt(17)
	v_mul_f32_e32 v124, v117, v163
	v_add_f32_e32 v87, v87, v88
	v_mul_f32_e32 v88, v114, v159
	s_waitcnt vmcnt(16)
	v_fmac_f32_e32 v124, v118, v164
	v_fma_f32 v88, v113, v160, -v88
	v_add_f32_e32 v127, v123, v124
	ds_read2_b64 v[123:126], v86 offset0:79 offset1:80
	v_add_f32_e32 v87, v87, v88
	v_mul_f32_e32 v88, v116, v161
	s_waitcnt vmcnt(15) lgkmcnt(1)
	v_mul_f32_e32 v128, v119, v165
	v_fma_f32 v88, v115, v162, -v88
	s_waitcnt vmcnt(14)
	v_fmac_f32_e32 v128, v120, v166
	v_add_f32_e32 v87, v87, v88
	v_mul_f32_e32 v88, v118, v163
	v_add_f32_e32 v127, v127, v128
	s_waitcnt vmcnt(13)
	v_mul_f32_e32 v128, v121, v167
	v_fma_f32 v88, v117, v164, -v88
	s_waitcnt vmcnt(12)
	v_fmac_f32_e32 v128, v122, v168
	v_add_f32_e32 v87, v87, v88
	v_mul_f32_e32 v88, v120, v165
	v_add_f32_e32 v127, v127, v128
	s_waitcnt vmcnt(11) lgkmcnt(0)
	v_mul_f32_e32 v128, v123, v169
	v_fma_f32 v88, v119, v166, -v88
	s_waitcnt vmcnt(10)
	v_fmac_f32_e32 v128, v124, v170
	v_add_f32_e32 v87, v87, v88
	v_mul_f32_e32 v88, v122, v167
	v_add_f32_e32 v131, v127, v128
	ds_read2_b64 v[127:130], v86 offset0:81 offset1:82
	v_fma_f32 v88, v121, v168, -v88
	v_add_f32_e32 v87, v87, v88
	v_mul_f32_e32 v88, v124, v169
	s_waitcnt vmcnt(9)
	v_mul_f32_e32 v132, v125, v171
	v_fma_f32 v88, v123, v170, -v88
	s_waitcnt vmcnt(8)
	v_fmac_f32_e32 v132, v126, v172
	v_add_f32_e32 v87, v87, v88
	v_mul_f32_e32 v88, v126, v171
	v_add_f32_e32 v181, v131, v132
	ds_read_b64 v[131:132], v86 offset:664
	v_fma_f32 v88, v125, v172, -v88
	v_add_f32_e32 v87, v87, v88
	s_waitcnt vmcnt(6) lgkmcnt(1)
	v_mul_f32_e32 v88, v128, v174
	v_mul_f32_e32 v182, v127, v174
	v_fma_f32 v88, v127, v173, -v88
	v_fmac_f32_e32 v182, v128, v173
	v_add_f32_e32 v87, v87, v88
	s_waitcnt vmcnt(3)
	v_mul_f32_e32 v88, v130, v177
	v_add_f32_e32 v181, v181, v182
	v_mul_f32_e32 v182, v129, v177
	s_waitcnt vmcnt(2)
	v_fma_f32 v88, v129, v178, -v88
	v_fmac_f32_e32 v182, v130, v178
	v_add_f32_e32 v87, v87, v88
	s_waitcnt vmcnt(0) lgkmcnt(0)
	v_mul_f32_e32 v88, v132, v180
	v_add_f32_e32 v181, v181, v182
	v_mul_f32_e32 v182, v131, v180
	v_fma_f32 v88, v131, v179, -v88
	v_fmac_f32_e32 v182, v132, v179
	v_add_f32_e32 v87, v87, v88
	v_add_f32_e32 v181, v181, v182
	v_sub_f32_e32 v87, v175, v87
	v_sub_f32_e32 v88, v176, v181
	buffer_store_dword v87, off, s[0:3], 0 offset:144
	buffer_store_dword v88, off, s[0:3], 0 offset:148
	s_and_saveexec_b64 s[4:5], vcc
	s_cbranch_execz .LBB105_231
; %bb.230:
	buffer_load_dword v87, off, s[0:3], 0 offset:136
	buffer_load_dword v88, off, s[0:3], 0 offset:140
	s_waitcnt vmcnt(0)
	ds_write_b64 v85, v[87:88]
	buffer_store_dword v86, off, s[0:3], 0 offset:136
	buffer_store_dword v86, off, s[0:3], 0 offset:140
.LBB105_231:
	s_or_b64 exec, exec, s[4:5]
	s_waitcnt lgkmcnt(0)
	; wave barrier
	buffer_load_dword v135, off, s[0:3], 0 offset:148
	buffer_load_dword v136, off, s[0:3], 0 offset:156
	;; [unrolled: 1-line block ×48, first 2 shown]
	ds_read_b128 v[87:90], v86 offset:480
	ds_read_b128 v[91:94], v86 offset:496
	buffer_load_dword v183, off, s[0:3], 0 offset:328
	buffer_load_dword v184, off, s[0:3], 0 offset:332
	ds_read_b128 v[95:98], v86 offset:512
	ds_read_b128 v[99:102], v86 offset:528
	;; [unrolled: 1-line block ×5, first 2 shown]
	v_cmp_lt_u32_e32 vcc, 16, v0
	s_waitcnt vmcnt(49) lgkmcnt(6)
	v_mul_f32_e32 v115, v87, v135
	s_waitcnt vmcnt(48)
	v_mul_f32_e32 v116, v89, v136
	s_waitcnt vmcnt(47) lgkmcnt(5)
	v_mul_f32_e32 v117, v91, v137
	s_waitcnt vmcnt(46)
	v_mul_f32_e32 v118, v93, v138
	s_waitcnt vmcnt(45) lgkmcnt(4)
	v_mul_f32_e32 v119, v95, v139
	s_waitcnt vmcnt(44)
	v_mul_f32_e32 v120, v97, v140
	s_waitcnt vmcnt(43) lgkmcnt(3)
	v_mul_f32_e32 v121, v99, v141
	s_waitcnt vmcnt(42)
	v_mul_f32_e32 v122, v101, v142
	s_waitcnt vmcnt(41) lgkmcnt(2)
	v_mul_f32_e32 v123, v103, v143
	s_waitcnt vmcnt(40)
	v_mul_f32_e32 v124, v105, v144
	s_waitcnt vmcnt(39) lgkmcnt(1)
	v_mul_f32_e32 v125, v107, v145
	s_waitcnt vmcnt(38)
	v_mul_f32_e32 v126, v109, v146
	s_waitcnt vmcnt(37)
	v_fmac_f32_e32 v115, v88, v147
	v_mul_f32_e32 v88, v88, v135
	v_fma_f32 v87, v87, v147, -v88
	v_mul_f32_e32 v88, v90, v136
	v_add_f32_e32 v87, 0, v87
	s_waitcnt vmcnt(36)
	v_fma_f32 v88, v89, v148, -v88
	v_add_f32_e32 v87, v87, v88
	v_mul_f32_e32 v88, v92, v137
	s_waitcnt vmcnt(35)
	v_fma_f32 v88, v91, v149, -v88
	v_fmac_f32_e32 v116, v90, v148
	v_add_f32_e32 v115, 0, v115
	v_add_f32_e32 v87, v87, v88
	v_mul_f32_e32 v88, v94, v138
	v_fmac_f32_e32 v117, v92, v149
	v_add_f32_e32 v115, v115, v116
	s_waitcnt vmcnt(34)
	v_fma_f32 v88, v93, v150, -v88
	v_fmac_f32_e32 v118, v94, v150
	v_add_f32_e32 v115, v115, v117
	v_add_f32_e32 v87, v87, v88
	v_mul_f32_e32 v88, v96, v139
	s_waitcnt vmcnt(33)
	v_fmac_f32_e32 v119, v96, v151
	v_add_f32_e32 v115, v115, v118
	v_fma_f32 v88, v95, v151, -v88
	s_waitcnt vmcnt(32)
	v_fmac_f32_e32 v120, v98, v152
	v_add_f32_e32 v115, v115, v119
	v_add_f32_e32 v87, v87, v88
	v_mul_f32_e32 v88, v98, v140
	s_waitcnt vmcnt(31)
	v_fmac_f32_e32 v121, v100, v153
	v_add_f32_e32 v115, v115, v120
	v_fma_f32 v88, v97, v152, -v88
	s_waitcnt vmcnt(30)
	;; [unrolled: 9-line block ×3, first 2 shown]
	v_fmac_f32_e32 v124, v106, v156
	v_add_f32_e32 v115, v115, v123
	v_add_f32_e32 v87, v87, v88
	v_mul_f32_e32 v88, v102, v142
	s_waitcnt vmcnt(27)
	v_fmac_f32_e32 v125, v108, v157
	v_add_f32_e32 v115, v115, v124
	v_fma_f32 v88, v101, v154, -v88
	v_add_f32_e32 v115, v115, v125
	s_waitcnt vmcnt(26)
	v_fmac_f32_e32 v126, v110, v158
	v_add_f32_e32 v87, v87, v88
	v_mul_f32_e32 v88, v104, v143
	v_add_f32_e32 v119, v115, v126
	ds_read_b128 v[115:118], v86 offset:592
	v_fma_f32 v88, v103, v155, -v88
	s_waitcnt vmcnt(25) lgkmcnt(1)
	v_mul_f32_e32 v120, v111, v159
	v_add_f32_e32 v87, v87, v88
	v_mul_f32_e32 v88, v106, v144
	s_waitcnt vmcnt(24)
	v_fmac_f32_e32 v120, v112, v160
	v_fma_f32 v88, v105, v156, -v88
	v_add_f32_e32 v119, v119, v120
	s_waitcnt vmcnt(23)
	v_mul_f32_e32 v120, v113, v161
	v_add_f32_e32 v87, v87, v88
	v_mul_f32_e32 v88, v108, v145
	s_waitcnt vmcnt(22)
	v_fmac_f32_e32 v120, v114, v162
	v_fma_f32 v88, v107, v157, -v88
	v_add_f32_e32 v119, v119, v120
	s_waitcnt vmcnt(21) lgkmcnt(0)
	v_mul_f32_e32 v120, v115, v163
	v_add_f32_e32 v87, v87, v88
	v_mul_f32_e32 v88, v110, v146
	s_waitcnt vmcnt(20)
	v_fmac_f32_e32 v120, v116, v164
	v_fma_f32 v88, v109, v158, -v88
	v_add_f32_e32 v123, v119, v120
	ds_read_b128 v[119:122], v86 offset:608
	v_add_f32_e32 v87, v87, v88
	v_mul_f32_e32 v88, v112, v159
	v_fma_f32 v88, v111, v160, -v88
	s_waitcnt vmcnt(19)
	v_mul_f32_e32 v124, v117, v165
	v_add_f32_e32 v87, v87, v88
	v_mul_f32_e32 v88, v114, v161
	s_waitcnt vmcnt(18)
	v_fmac_f32_e32 v124, v118, v166
	v_fma_f32 v88, v113, v162, -v88
	v_add_f32_e32 v127, v123, v124
	ds_read_b128 v[123:126], v86 offset:624
	v_add_f32_e32 v87, v87, v88
	v_mul_f32_e32 v88, v116, v163
	s_waitcnt vmcnt(17) lgkmcnt(1)
	v_mul_f32_e32 v128, v119, v167
	v_fma_f32 v88, v115, v164, -v88
	s_waitcnt vmcnt(16)
	v_fmac_f32_e32 v128, v120, v168
	v_add_f32_e32 v87, v87, v88
	v_mul_f32_e32 v88, v118, v165
	v_add_f32_e32 v127, v127, v128
	s_waitcnt vmcnt(15)
	v_mul_f32_e32 v128, v121, v169
	v_fma_f32 v88, v117, v166, -v88
	s_waitcnt vmcnt(14)
	v_fmac_f32_e32 v128, v122, v170
	v_add_f32_e32 v87, v87, v88
	v_mul_f32_e32 v88, v120, v167
	v_add_f32_e32 v127, v127, v128
	s_waitcnt vmcnt(13) lgkmcnt(0)
	v_mul_f32_e32 v128, v123, v171
	v_fma_f32 v88, v119, v168, -v88
	s_waitcnt vmcnt(12)
	v_fmac_f32_e32 v128, v124, v172
	v_add_f32_e32 v87, v87, v88
	v_mul_f32_e32 v88, v122, v169
	v_add_f32_e32 v131, v127, v128
	ds_read_b128 v[127:130], v86 offset:640
	v_fma_f32 v88, v121, v170, -v88
	v_add_f32_e32 v87, v87, v88
	v_mul_f32_e32 v88, v124, v171
	s_waitcnt vmcnt(11)
	v_mul_f32_e32 v132, v125, v173
	v_fma_f32 v88, v123, v172, -v88
	s_waitcnt vmcnt(10)
	v_fmac_f32_e32 v132, v126, v174
	v_add_f32_e32 v87, v87, v88
	v_mul_f32_e32 v88, v126, v173
	v_add_f32_e32 v185, v131, v132
	ds_read_b128 v[131:134], v86 offset:656
	v_fma_f32 v88, v125, v174, -v88
	v_add_f32_e32 v87, v87, v88
	s_waitcnt vmcnt(7) lgkmcnt(1)
	v_mul_f32_e32 v88, v128, v177
	v_mul_f32_e32 v86, v127, v177
	s_waitcnt vmcnt(6)
	v_fma_f32 v88, v127, v178, -v88
	v_fmac_f32_e32 v86, v128, v178
	v_add_f32_e32 v87, v87, v88
	s_waitcnt vmcnt(4)
	v_mul_f32_e32 v88, v130, v180
	v_add_f32_e32 v86, v185, v86
	v_mul_f32_e32 v185, v129, v180
	v_fma_f32 v88, v129, v179, -v88
	v_fmac_f32_e32 v185, v130, v179
	v_add_f32_e32 v87, v87, v88
	s_waitcnt vmcnt(2) lgkmcnt(0)
	v_mul_f32_e32 v88, v132, v182
	v_add_f32_e32 v86, v86, v185
	v_mul_f32_e32 v185, v131, v182
	v_fma_f32 v88, v131, v181, -v88
	v_fmac_f32_e32 v185, v132, v181
	v_add_f32_e32 v87, v87, v88
	s_waitcnt vmcnt(0)
	v_mul_f32_e32 v88, v134, v184
	v_add_f32_e32 v86, v86, v185
	v_mul_f32_e32 v185, v133, v184
	v_fma_f32 v88, v133, v183, -v88
	v_fmac_f32_e32 v185, v134, v183
	v_add_f32_e32 v87, v87, v88
	v_add_f32_e32 v86, v86, v185
	v_sub_f32_e32 v87, v175, v87
	v_sub_f32_e32 v86, v176, v86
	buffer_store_dword v87, off, s[0:3], 0 offset:136
	buffer_store_dword v86, off, s[0:3], 0 offset:140
	s_and_saveexec_b64 s[4:5], vcc
	s_cbranch_execz .LBB105_233
; %bb.232:
	buffer_load_dword v86, off, s[0:3], 0 offset:128
	buffer_load_dword v87, off, s[0:3], 0 offset:132
	v_mov_b32_e32 v88, 0
	buffer_store_dword v88, off, s[0:3], 0 offset:128
	buffer_store_dword v88, off, s[0:3], 0 offset:132
	s_waitcnt vmcnt(2)
	ds_write_b64 v85, v[86:87]
.LBB105_233:
	s_or_b64 exec, exec, s[4:5]
	s_waitcnt lgkmcnt(0)
	; wave barrier
	buffer_load_dword v137, off, s[0:3], 0 offset:140
	buffer_load_dword v138, off, s[0:3], 0 offset:148
	buffer_load_dword v139, off, s[0:3], 0 offset:156
	buffer_load_dword v140, off, s[0:3], 0 offset:164
	buffer_load_dword v141, off, s[0:3], 0 offset:172
	buffer_load_dword v142, off, s[0:3], 0 offset:180
	buffer_load_dword v143, off, s[0:3], 0 offset:188
	buffer_load_dword v144, off, s[0:3], 0 offset:196
	buffer_load_dword v145, off, s[0:3], 0 offset:204
	buffer_load_dword v146, off, s[0:3], 0 offset:212
	buffer_load_dword v147, off, s[0:3], 0 offset:220
	buffer_load_dword v148, off, s[0:3], 0 offset:136
	buffer_load_dword v149, off, s[0:3], 0 offset:144
	buffer_load_dword v150, off, s[0:3], 0 offset:152
	buffer_load_dword v151, off, s[0:3], 0 offset:160
	buffer_load_dword v152, off, s[0:3], 0 offset:168
	buffer_load_dword v153, off, s[0:3], 0 offset:176
	buffer_load_dword v154, off, s[0:3], 0 offset:184
	buffer_load_dword v155, off, s[0:3], 0 offset:192
	buffer_load_dword v156, off, s[0:3], 0 offset:200
	buffer_load_dword v157, off, s[0:3], 0 offset:208
	buffer_load_dword v158, off, s[0:3], 0 offset:216
	buffer_load_dword v159, off, s[0:3], 0 offset:228
	buffer_load_dword v160, off, s[0:3], 0 offset:224
	buffer_load_dword v161, off, s[0:3], 0 offset:236
	buffer_load_dword v162, off, s[0:3], 0 offset:232
	buffer_load_dword v163, off, s[0:3], 0 offset:244
	buffer_load_dword v164, off, s[0:3], 0 offset:240
	buffer_load_dword v165, off, s[0:3], 0 offset:252
	buffer_load_dword v166, off, s[0:3], 0 offset:248
	buffer_load_dword v167, off, s[0:3], 0 offset:260
	buffer_load_dword v168, off, s[0:3], 0 offset:256
	buffer_load_dword v169, off, s[0:3], 0 offset:268
	buffer_load_dword v170, off, s[0:3], 0 offset:264
	buffer_load_dword v171, off, s[0:3], 0 offset:276
	buffer_load_dword v172, off, s[0:3], 0 offset:272
	buffer_load_dword v173, off, s[0:3], 0 offset:280
	buffer_load_dword v174, off, s[0:3], 0 offset:284
	buffer_load_dword v175, off, s[0:3], 0 offset:128
	buffer_load_dword v176, off, s[0:3], 0 offset:132
	buffer_load_dword v177, off, s[0:3], 0 offset:292
	buffer_load_dword v178, off, s[0:3], 0 offset:288
	buffer_load_dword v179, off, s[0:3], 0 offset:296
	buffer_load_dword v180, off, s[0:3], 0 offset:300
	buffer_load_dword v181, off, s[0:3], 0 offset:304
	buffer_load_dword v182, off, s[0:3], 0 offset:308
	buffer_load_dword v183, off, s[0:3], 0 offset:312
	buffer_load_dword v184, off, s[0:3], 0 offset:316
	buffer_load_dword v185, off, s[0:3], 0 offset:320
	buffer_load_dword v186, off, s[0:3], 0 offset:324
	buffer_load_dword v187, off, s[0:3], 0 offset:328
	buffer_load_dword v188, off, s[0:3], 0 offset:332
	v_mov_b32_e32 v86, 0
	ds_read2_b64 v[87:90], v86 offset0:59 offset1:60
	ds_read2_b64 v[91:94], v86 offset0:61 offset1:62
	;; [unrolled: 1-line block ×6, first 2 shown]
	v_cmp_lt_u32_e32 vcc, 15, v0
	s_waitcnt vmcnt(51) lgkmcnt(5)
	v_mul_f32_e32 v111, v87, v137
	s_waitcnt vmcnt(50)
	v_mul_f32_e32 v112, v89, v138
	s_waitcnt vmcnt(49) lgkmcnt(4)
	v_mul_f32_e32 v113, v91, v139
	s_waitcnt vmcnt(48)
	v_mul_f32_e32 v114, v93, v140
	;; [unrolled: 4-line block ×5, first 2 shown]
	s_waitcnt vmcnt(41) lgkmcnt(0)
	v_mul_f32_e32 v121, v107, v147
	s_waitcnt vmcnt(40)
	v_fmac_f32_e32 v111, v88, v148
	v_mul_f32_e32 v88, v88, v137
	s_waitcnt vmcnt(39)
	v_fmac_f32_e32 v112, v90, v149
	v_add_f32_e32 v111, 0, v111
	v_fma_f32 v87, v87, v148, -v88
	v_mul_f32_e32 v88, v90, v138
	s_waitcnt vmcnt(38)
	v_fmac_f32_e32 v113, v92, v150
	v_add_f32_e32 v111, v111, v112
	v_add_f32_e32 v87, 0, v87
	v_fma_f32 v88, v89, v149, -v88
	s_waitcnt vmcnt(37)
	v_fmac_f32_e32 v114, v94, v151
	v_add_f32_e32 v111, v111, v113
	v_add_f32_e32 v87, v87, v88
	v_mul_f32_e32 v88, v92, v139
	s_waitcnt vmcnt(36)
	v_fmac_f32_e32 v115, v96, v152
	v_add_f32_e32 v111, v111, v114
	v_fma_f32 v88, v91, v150, -v88
	s_waitcnt vmcnt(35)
	v_fmac_f32_e32 v116, v98, v153
	v_add_f32_e32 v111, v111, v115
	v_add_f32_e32 v87, v87, v88
	v_mul_f32_e32 v88, v94, v140
	s_waitcnt vmcnt(34)
	v_fmac_f32_e32 v117, v100, v154
	;; [unrolled: 9-line block ×3, first 2 shown]
	v_add_f32_e32 v111, v111, v118
	v_fma_f32 v88, v95, v152, -v88
	s_waitcnt vmcnt(31)
	v_fmac_f32_e32 v120, v106, v157
	v_add_f32_e32 v111, v111, v119
	v_add_f32_e32 v87, v87, v88
	v_mul_f32_e32 v88, v98, v142
	v_add_f32_e32 v111, v111, v120
	s_waitcnt vmcnt(30)
	v_fmac_f32_e32 v121, v108, v158
	v_fma_f32 v88, v97, v153, -v88
	v_add_f32_e32 v115, v111, v121
	ds_read2_b64 v[111:114], v86 offset0:71 offset1:72
	v_add_f32_e32 v87, v87, v88
	v_mul_f32_e32 v88, v100, v143
	v_fma_f32 v88, v99, v154, -v88
	s_waitcnt vmcnt(29)
	v_mul_f32_e32 v116, v109, v159
	v_add_f32_e32 v87, v87, v88
	v_mul_f32_e32 v88, v102, v144
	s_waitcnt vmcnt(28)
	v_fmac_f32_e32 v116, v110, v160
	v_fma_f32 v88, v101, v155, -v88
	v_add_f32_e32 v119, v115, v116
	ds_read2_b64 v[115:118], v86 offset0:73 offset1:74
	v_add_f32_e32 v87, v87, v88
	v_mul_f32_e32 v88, v104, v145
	s_waitcnt vmcnt(27) lgkmcnt(1)
	v_mul_f32_e32 v120, v111, v161
	v_fma_f32 v88, v103, v156, -v88
	s_waitcnt vmcnt(26)
	v_fmac_f32_e32 v120, v112, v162
	v_add_f32_e32 v87, v87, v88
	v_mul_f32_e32 v88, v106, v146
	v_add_f32_e32 v119, v119, v120
	s_waitcnt vmcnt(25)
	v_mul_f32_e32 v120, v113, v163
	v_fma_f32 v88, v105, v157, -v88
	s_waitcnt vmcnt(24)
	v_fmac_f32_e32 v120, v114, v164
	v_add_f32_e32 v87, v87, v88
	v_mul_f32_e32 v88, v108, v147
	v_add_f32_e32 v119, v119, v120
	s_waitcnt vmcnt(23) lgkmcnt(0)
	v_mul_f32_e32 v120, v115, v165
	v_fma_f32 v88, v107, v158, -v88
	s_waitcnt vmcnt(22)
	v_fmac_f32_e32 v120, v116, v166
	v_add_f32_e32 v87, v87, v88
	v_mul_f32_e32 v88, v110, v159
	v_add_f32_e32 v123, v119, v120
	ds_read2_b64 v[119:122], v86 offset0:75 offset1:76
	v_fma_f32 v88, v109, v160, -v88
	v_add_f32_e32 v87, v87, v88
	v_mul_f32_e32 v88, v112, v161
	s_waitcnt vmcnt(21)
	v_mul_f32_e32 v124, v117, v167
	v_fma_f32 v88, v111, v162, -v88
	s_waitcnt vmcnt(20)
	v_fmac_f32_e32 v124, v118, v168
	v_add_f32_e32 v87, v87, v88
	v_mul_f32_e32 v88, v114, v163
	v_add_f32_e32 v127, v123, v124
	ds_read2_b64 v[123:126], v86 offset0:77 offset1:78
	v_fma_f32 v88, v113, v164, -v88
	s_waitcnt vmcnt(19) lgkmcnt(1)
	v_mul_f32_e32 v128, v119, v169
	v_add_f32_e32 v87, v87, v88
	v_mul_f32_e32 v88, v116, v165
	s_waitcnt vmcnt(18)
	v_fmac_f32_e32 v128, v120, v170
	v_fma_f32 v88, v115, v166, -v88
	v_add_f32_e32 v127, v127, v128
	s_waitcnt vmcnt(17)
	v_mul_f32_e32 v128, v121, v171
	v_add_f32_e32 v87, v87, v88
	v_mul_f32_e32 v88, v118, v167
	s_waitcnt vmcnt(16)
	v_fmac_f32_e32 v128, v122, v172
	v_fma_f32 v88, v117, v168, -v88
	v_add_f32_e32 v127, v127, v128
	s_waitcnt vmcnt(14) lgkmcnt(0)
	v_mul_f32_e32 v128, v123, v174
	v_add_f32_e32 v87, v87, v88
	v_mul_f32_e32 v88, v120, v169
	v_fmac_f32_e32 v128, v124, v173
	v_fma_f32 v88, v119, v170, -v88
	v_add_f32_e32 v131, v127, v128
	ds_read2_b64 v[127:130], v86 offset0:79 offset1:80
	v_add_f32_e32 v87, v87, v88
	v_mul_f32_e32 v88, v122, v171
	v_fma_f32 v88, v121, v172, -v88
	v_add_f32_e32 v87, v87, v88
	v_mul_f32_e32 v88, v124, v174
	s_waitcnt vmcnt(11)
	v_mul_f32_e32 v132, v125, v177
	v_fma_f32 v88, v123, v173, -v88
	s_waitcnt vmcnt(10)
	v_fmac_f32_e32 v132, v126, v178
	v_add_f32_e32 v87, v87, v88
	v_mul_f32_e32 v88, v126, v177
	v_add_f32_e32 v135, v131, v132
	ds_read2_b64 v[131:134], v86 offset0:81 offset1:82
	s_waitcnt vmcnt(8) lgkmcnt(1)
	v_mul_f32_e32 v136, v127, v180
	v_fma_f32 v88, v125, v178, -v88
	v_fmac_f32_e32 v136, v128, v179
	v_add_f32_e32 v87, v87, v88
	v_mul_f32_e32 v88, v128, v180
	v_add_f32_e32 v135, v135, v136
	s_waitcnt vmcnt(6)
	v_mul_f32_e32 v136, v129, v182
	v_fma_f32 v88, v127, v179, -v88
	v_fmac_f32_e32 v136, v130, v181
	v_add_f32_e32 v87, v87, v88
	v_mul_f32_e32 v88, v130, v182
	v_add_f32_e32 v189, v135, v136
	ds_read_b64 v[135:136], v86 offset:664
	v_fma_f32 v88, v129, v181, -v88
	v_add_f32_e32 v87, v87, v88
	s_waitcnt vmcnt(4) lgkmcnt(1)
	v_mul_f32_e32 v88, v132, v184
	v_mul_f32_e32 v190, v131, v184
	v_fma_f32 v88, v131, v183, -v88
	v_fmac_f32_e32 v190, v132, v183
	v_add_f32_e32 v87, v87, v88
	s_waitcnt vmcnt(2)
	v_mul_f32_e32 v88, v134, v186
	v_add_f32_e32 v189, v189, v190
	v_mul_f32_e32 v190, v133, v186
	v_fma_f32 v88, v133, v185, -v88
	v_fmac_f32_e32 v190, v134, v185
	v_add_f32_e32 v87, v87, v88
	s_waitcnt vmcnt(0) lgkmcnt(0)
	v_mul_f32_e32 v88, v136, v188
	v_add_f32_e32 v189, v189, v190
	v_mul_f32_e32 v190, v135, v188
	v_fma_f32 v88, v135, v187, -v88
	v_fmac_f32_e32 v190, v136, v187
	v_add_f32_e32 v87, v87, v88
	v_add_f32_e32 v189, v189, v190
	v_sub_f32_e32 v87, v175, v87
	v_sub_f32_e32 v88, v176, v189
	buffer_store_dword v87, off, s[0:3], 0 offset:128
	buffer_store_dword v88, off, s[0:3], 0 offset:132
	s_and_saveexec_b64 s[4:5], vcc
	s_cbranch_execz .LBB105_235
; %bb.234:
	buffer_load_dword v87, off, s[0:3], 0 offset:120
	buffer_load_dword v88, off, s[0:3], 0 offset:124
	s_waitcnt vmcnt(0)
	ds_write_b64 v85, v[87:88]
	buffer_store_dword v86, off, s[0:3], 0 offset:120
	buffer_store_dword v86, off, s[0:3], 0 offset:124
.LBB105_235:
	s_or_b64 exec, exec, s[4:5]
	s_waitcnt lgkmcnt(0)
	; wave barrier
	buffer_load_dword v139, off, s[0:3], 0 offset:132
	buffer_load_dword v140, off, s[0:3], 0 offset:140
	;; [unrolled: 1-line block ×42, first 2 shown]
	ds_read_b128 v[87:90], v86 offset:464
	ds_read_b128 v[91:94], v86 offset:480
	ds_read_b128 v[95:98], v86 offset:496
	ds_read_b128 v[99:102], v86 offset:512
	buffer_load_dword v181, off, s[0:3], 0 offset:292
	buffer_load_dword v182, off, s[0:3], 0 offset:288
	;; [unrolled: 1-line block ×6, first 2 shown]
	ds_read_b128 v[103:106], v86 offset:528
	ds_read_b128 v[107:110], v86 offset:544
	buffer_load_dword v187, off, s[0:3], 0 offset:312
	buffer_load_dword v188, off, s[0:3], 0 offset:316
	;; [unrolled: 1-line block ×6, first 2 shown]
	v_cmp_lt_u32_e32 vcc, 14, v0
	s_waitcnt vmcnt(53) lgkmcnt(5)
	v_mul_f32_e32 v111, v87, v139
	s_waitcnt vmcnt(52)
	v_mul_f32_e32 v112, v89, v140
	s_waitcnt vmcnt(51) lgkmcnt(4)
	v_mul_f32_e32 v113, v91, v141
	s_waitcnt vmcnt(50)
	v_mul_f32_e32 v114, v93, v142
	;; [unrolled: 4-line block ×5, first 2 shown]
	s_waitcnt vmcnt(43)
	v_fmac_f32_e32 v111, v88, v149
	v_mul_f32_e32 v88, v88, v139
	s_waitcnt vmcnt(42)
	v_fmac_f32_e32 v112, v90, v150
	v_add_f32_e32 v111, 0, v111
	v_fma_f32 v87, v87, v149, -v88
	v_mul_f32_e32 v88, v90, v140
	s_waitcnt vmcnt(41)
	v_fmac_f32_e32 v113, v92, v151
	v_add_f32_e32 v111, v111, v112
	v_add_f32_e32 v87, 0, v87
	v_fma_f32 v88, v89, v150, -v88
	s_waitcnt vmcnt(40)
	v_fmac_f32_e32 v114, v94, v152
	v_add_f32_e32 v111, v111, v113
	v_add_f32_e32 v87, v87, v88
	v_mul_f32_e32 v88, v92, v141
	s_waitcnt vmcnt(39)
	v_fmac_f32_e32 v115, v96, v153
	v_add_f32_e32 v111, v111, v114
	v_fma_f32 v88, v91, v151, -v88
	s_waitcnt vmcnt(38)
	v_fmac_f32_e32 v116, v98, v154
	v_add_f32_e32 v111, v111, v115
	v_add_f32_e32 v87, v87, v88
	v_mul_f32_e32 v88, v94, v142
	s_waitcnt vmcnt(37)
	v_fmac_f32_e32 v117, v100, v155
	;; [unrolled: 9-line block ×3, first 2 shown]
	v_add_f32_e32 v111, v111, v118
	v_fma_f32 v88, v95, v153, -v88
	s_waitcnt vmcnt(34)
	v_fmac_f32_e32 v120, v106, v158
	v_add_f32_e32 v111, v111, v119
	s_waitcnt vmcnt(33) lgkmcnt(0)
	v_mul_f32_e32 v112, v107, v159
	v_add_f32_e32 v87, v87, v88
	v_mul_f32_e32 v88, v98, v144
	v_add_f32_e32 v111, v111, v120
	s_waitcnt vmcnt(32)
	v_fmac_f32_e32 v112, v108, v160
	v_fma_f32 v88, v97, v154, -v88
	v_add_f32_e32 v115, v111, v112
	ds_read_b128 v[111:114], v86 offset:560
	v_add_f32_e32 v87, v87, v88
	v_mul_f32_e32 v88, v100, v145
	v_fma_f32 v88, v99, v155, -v88
	s_waitcnt vmcnt(31)
	v_mul_f32_e32 v116, v109, v161
	v_add_f32_e32 v87, v87, v88
	v_mul_f32_e32 v88, v102, v146
	s_waitcnt vmcnt(30)
	v_fmac_f32_e32 v116, v110, v162
	v_fma_f32 v88, v101, v156, -v88
	v_add_f32_e32 v119, v115, v116
	ds_read_b128 v[115:118], v86 offset:576
	v_add_f32_e32 v87, v87, v88
	v_mul_f32_e32 v88, v104, v147
	s_waitcnt vmcnt(29) lgkmcnt(1)
	v_mul_f32_e32 v120, v111, v163
	v_fma_f32 v88, v103, v157, -v88
	s_waitcnt vmcnt(28)
	v_fmac_f32_e32 v120, v112, v164
	v_add_f32_e32 v87, v87, v88
	v_mul_f32_e32 v88, v106, v148
	v_add_f32_e32 v119, v119, v120
	s_waitcnt vmcnt(27)
	v_mul_f32_e32 v120, v113, v165
	v_fma_f32 v88, v105, v158, -v88
	s_waitcnt vmcnt(26)
	v_fmac_f32_e32 v120, v114, v166
	v_add_f32_e32 v87, v87, v88
	v_mul_f32_e32 v88, v108, v159
	v_add_f32_e32 v119, v119, v120
	s_waitcnt vmcnt(25) lgkmcnt(0)
	v_mul_f32_e32 v120, v115, v167
	v_fma_f32 v88, v107, v160, -v88
	s_waitcnt vmcnt(24)
	v_fmac_f32_e32 v120, v116, v168
	v_add_f32_e32 v87, v87, v88
	v_mul_f32_e32 v88, v110, v161
	v_add_f32_e32 v123, v119, v120
	ds_read_b128 v[119:122], v86 offset:592
	v_fma_f32 v88, v109, v162, -v88
	v_add_f32_e32 v87, v87, v88
	v_mul_f32_e32 v88, v112, v163
	s_waitcnt vmcnt(23)
	v_mul_f32_e32 v124, v117, v169
	v_fma_f32 v88, v111, v164, -v88
	s_waitcnt vmcnt(22)
	v_fmac_f32_e32 v124, v118, v170
	v_add_f32_e32 v87, v87, v88
	v_mul_f32_e32 v88, v114, v165
	v_add_f32_e32 v127, v123, v124
	ds_read_b128 v[123:126], v86 offset:608
	v_fma_f32 v88, v113, v166, -v88
	s_waitcnt vmcnt(21) lgkmcnt(1)
	v_mul_f32_e32 v128, v119, v171
	v_add_f32_e32 v87, v87, v88
	v_mul_f32_e32 v88, v116, v167
	s_waitcnt vmcnt(20)
	v_fmac_f32_e32 v128, v120, v172
	v_fma_f32 v88, v115, v168, -v88
	v_add_f32_e32 v127, v127, v128
	s_waitcnt vmcnt(18)
	v_mul_f32_e32 v128, v121, v174
	v_add_f32_e32 v87, v87, v88
	v_mul_f32_e32 v88, v118, v169
	v_fmac_f32_e32 v128, v122, v173
	v_fma_f32 v88, v117, v170, -v88
	v_add_f32_e32 v127, v127, v128
	s_waitcnt vmcnt(15) lgkmcnt(0)
	v_mul_f32_e32 v128, v123, v177
	v_add_f32_e32 v87, v87, v88
	v_mul_f32_e32 v88, v120, v171
	s_waitcnt vmcnt(14)
	v_fmac_f32_e32 v128, v124, v178
	v_fma_f32 v88, v119, v172, -v88
	v_add_f32_e32 v131, v127, v128
	ds_read_b128 v[127:130], v86 offset:624
	v_add_f32_e32 v87, v87, v88
	v_mul_f32_e32 v88, v122, v174
	v_fma_f32 v88, v121, v173, -v88
	v_add_f32_e32 v87, v87, v88
	v_mul_f32_e32 v88, v124, v177
	s_waitcnt vmcnt(12)
	v_mul_f32_e32 v132, v125, v180
	v_fma_f32 v88, v123, v178, -v88
	v_fmac_f32_e32 v132, v126, v179
	v_add_f32_e32 v87, v87, v88
	v_mul_f32_e32 v88, v126, v180
	v_add_f32_e32 v135, v131, v132
	ds_read_b128 v[131:134], v86 offset:640
	s_waitcnt vmcnt(11) lgkmcnt(1)
	v_mul_f32_e32 v136, v127, v181
	v_fma_f32 v88, v125, v179, -v88
	s_waitcnt vmcnt(10)
	v_fmac_f32_e32 v136, v128, v182
	v_add_f32_e32 v87, v87, v88
	v_mul_f32_e32 v88, v128, v181
	v_add_f32_e32 v135, v135, v136
	s_waitcnt vmcnt(8)
	v_mul_f32_e32 v136, v129, v184
	v_fma_f32 v88, v127, v182, -v88
	v_fmac_f32_e32 v136, v130, v183
	v_add_f32_e32 v87, v87, v88
	v_mul_f32_e32 v88, v130, v184
	v_add_f32_e32 v193, v135, v136
	ds_read_b128 v[135:138], v86 offset:656
	v_fma_f32 v88, v129, v183, -v88
	v_add_f32_e32 v87, v87, v88
	s_waitcnt vmcnt(6) lgkmcnt(1)
	v_mul_f32_e32 v88, v132, v186
	v_mul_f32_e32 v194, v131, v186
	v_fma_f32 v88, v131, v185, -v88
	v_fmac_f32_e32 v194, v132, v185
	v_add_f32_e32 v87, v87, v88
	s_waitcnt vmcnt(4)
	v_mul_f32_e32 v88, v134, v188
	v_add_f32_e32 v86, v193, v194
	v_mul_f32_e32 v193, v133, v188
	v_fma_f32 v88, v133, v187, -v88
	v_fmac_f32_e32 v193, v134, v187
	v_add_f32_e32 v87, v87, v88
	s_waitcnt vmcnt(2) lgkmcnt(0)
	v_mul_f32_e32 v88, v136, v190
	v_add_f32_e32 v86, v86, v193
	v_mul_f32_e32 v193, v135, v190
	v_fma_f32 v88, v135, v189, -v88
	v_fmac_f32_e32 v193, v136, v189
	v_add_f32_e32 v87, v87, v88
	s_waitcnt vmcnt(0)
	v_mul_f32_e32 v88, v138, v192
	v_add_f32_e32 v86, v86, v193
	v_mul_f32_e32 v193, v137, v192
	v_fma_f32 v88, v137, v191, -v88
	v_fmac_f32_e32 v193, v138, v191
	v_add_f32_e32 v87, v87, v88
	v_add_f32_e32 v86, v86, v193
	v_sub_f32_e32 v87, v175, v87
	v_sub_f32_e32 v86, v176, v86
	buffer_store_dword v87, off, s[0:3], 0 offset:120
	buffer_store_dword v86, off, s[0:3], 0 offset:124
	s_and_saveexec_b64 s[4:5], vcc
	s_cbranch_execz .LBB105_237
; %bb.236:
	buffer_load_dword v86, off, s[0:3], 0 offset:112
	buffer_load_dword v87, off, s[0:3], 0 offset:116
	v_mov_b32_e32 v88, 0
	buffer_store_dword v88, off, s[0:3], 0 offset:112
	buffer_store_dword v88, off, s[0:3], 0 offset:116
	s_waitcnt vmcnt(2)
	ds_write_b64 v85, v[86:87]
.LBB105_237:
	s_or_b64 exec, exec, s[4:5]
	s_waitcnt lgkmcnt(0)
	; wave barrier
	buffer_load_dword v141, off, s[0:3], 0 offset:124
	buffer_load_dword v142, off, s[0:3], 0 offset:132
	;; [unrolled: 1-line block ×56, first 2 shown]
	v_mov_b32_e32 v86, 0
	ds_read2_b64 v[87:90], v86 offset0:57 offset1:58
	ds_read2_b64 v[91:94], v86 offset0:59 offset1:60
	;; [unrolled: 1-line block ×6, first 2 shown]
	v_cmp_lt_u32_e32 vcc, 13, v0
	s_waitcnt vmcnt(55) lgkmcnt(5)
	v_mul_f32_e32 v111, v87, v141
	s_waitcnt vmcnt(54)
	v_mul_f32_e32 v112, v89, v142
	s_waitcnt vmcnt(53) lgkmcnt(4)
	v_mul_f32_e32 v113, v91, v143
	s_waitcnt vmcnt(52)
	v_mul_f32_e32 v114, v93, v144
	;; [unrolled: 4-line block ×4, first 2 shown]
	s_waitcnt vmcnt(47) lgkmcnt(1)
	v_mul_f32_e32 v119, v103, v149
	s_waitcnt vmcnt(46)
	v_fmac_f32_e32 v111, v88, v150
	s_waitcnt vmcnt(45)
	v_fmac_f32_e32 v112, v90, v151
	v_add_f32_e32 v111, 0, v111
	s_waitcnt vmcnt(44)
	v_fmac_f32_e32 v113, v92, v152
	v_add_f32_e32 v111, v111, v112
	;; [unrolled: 3-line block ×3, first 2 shown]
	v_mul_f32_e32 v88, v88, v141
	s_waitcnt vmcnt(42)
	v_fmac_f32_e32 v115, v96, v154
	v_add_f32_e32 v111, v111, v114
	v_fma_f32 v87, v87, v150, -v88
	v_mul_f32_e32 v88, v90, v142
	s_waitcnt vmcnt(41)
	v_fmac_f32_e32 v116, v98, v155
	v_add_f32_e32 v111, v111, v115
	v_add_f32_e32 v87, 0, v87
	v_fma_f32 v88, v89, v151, -v88
	s_waitcnt vmcnt(40)
	v_fmac_f32_e32 v117, v100, v156
	v_add_f32_e32 v111, v111, v116
	v_add_f32_e32 v87, v87, v88
	v_mul_f32_e32 v88, v92, v143
	s_waitcnt vmcnt(39)
	v_fmac_f32_e32 v118, v102, v157
	v_add_f32_e32 v111, v111, v117
	v_fma_f32 v88, v91, v152, -v88
	v_add_f32_e32 v111, v111, v118
	s_waitcnt vmcnt(38)
	v_fmac_f32_e32 v119, v104, v158
	s_waitcnt vmcnt(37)
	v_mul_f32_e32 v112, v105, v159
	v_add_f32_e32 v87, v87, v88
	v_mul_f32_e32 v88, v94, v144
	v_add_f32_e32 v111, v111, v119
	s_waitcnt vmcnt(36)
	v_fmac_f32_e32 v112, v106, v160
	v_fma_f32 v88, v93, v153, -v88
	v_add_f32_e32 v111, v111, v112
	s_waitcnt vmcnt(35) lgkmcnt(0)
	v_mul_f32_e32 v112, v107, v161
	v_add_f32_e32 v87, v87, v88
	v_mul_f32_e32 v88, v96, v145
	s_waitcnt vmcnt(34)
	v_fmac_f32_e32 v112, v108, v162
	v_fma_f32 v88, v95, v154, -v88
	v_add_f32_e32 v115, v111, v112
	ds_read2_b64 v[111:114], v86 offset0:69 offset1:70
	v_add_f32_e32 v87, v87, v88
	v_mul_f32_e32 v88, v98, v146
	v_fma_f32 v88, v97, v155, -v88
	s_waitcnt vmcnt(33)
	v_mul_f32_e32 v116, v109, v163
	v_add_f32_e32 v87, v87, v88
	v_mul_f32_e32 v88, v100, v147
	s_waitcnt vmcnt(32)
	v_fmac_f32_e32 v116, v110, v164
	v_fma_f32 v88, v99, v156, -v88
	v_add_f32_e32 v119, v115, v116
	ds_read2_b64 v[115:118], v86 offset0:71 offset1:72
	v_add_f32_e32 v87, v87, v88
	v_mul_f32_e32 v88, v102, v148
	s_waitcnt vmcnt(31) lgkmcnt(1)
	v_mul_f32_e32 v120, v111, v165
	v_fma_f32 v88, v101, v157, -v88
	s_waitcnt vmcnt(30)
	v_fmac_f32_e32 v120, v112, v166
	v_add_f32_e32 v87, v87, v88
	v_mul_f32_e32 v88, v104, v149
	v_add_f32_e32 v119, v119, v120
	s_waitcnt vmcnt(29)
	v_mul_f32_e32 v120, v113, v167
	v_fma_f32 v88, v103, v158, -v88
	s_waitcnt vmcnt(28)
	v_fmac_f32_e32 v120, v114, v168
	v_add_f32_e32 v87, v87, v88
	v_mul_f32_e32 v88, v106, v159
	v_add_f32_e32 v119, v119, v120
	s_waitcnt vmcnt(27) lgkmcnt(0)
	v_mul_f32_e32 v120, v115, v169
	v_fma_f32 v88, v105, v160, -v88
	s_waitcnt vmcnt(26)
	v_fmac_f32_e32 v120, v116, v170
	v_add_f32_e32 v87, v87, v88
	v_mul_f32_e32 v88, v108, v161
	v_add_f32_e32 v123, v119, v120
	ds_read2_b64 v[119:122], v86 offset0:73 offset1:74
	v_fma_f32 v88, v107, v162, -v88
	v_add_f32_e32 v87, v87, v88
	v_mul_f32_e32 v88, v110, v163
	s_waitcnt vmcnt(24)
	v_mul_f32_e32 v124, v117, v172
	v_fma_f32 v88, v109, v164, -v88
	v_fmac_f32_e32 v124, v118, v171
	v_add_f32_e32 v87, v87, v88
	v_mul_f32_e32 v88, v112, v165
	v_add_f32_e32 v127, v123, v124
	ds_read2_b64 v[123:126], v86 offset0:75 offset1:76
	v_fma_f32 v88, v111, v166, -v88
	s_waitcnt vmcnt(21) lgkmcnt(1)
	v_mul_f32_e32 v128, v119, v175
	v_add_f32_e32 v87, v87, v88
	v_mul_f32_e32 v88, v114, v167
	s_waitcnt vmcnt(20)
	v_fmac_f32_e32 v128, v120, v176
	v_fma_f32 v88, v113, v168, -v88
	v_add_f32_e32 v127, v127, v128
	s_waitcnt vmcnt(18)
	v_mul_f32_e32 v128, v121, v178
	v_add_f32_e32 v87, v87, v88
	v_mul_f32_e32 v88, v116, v169
	v_fmac_f32_e32 v128, v122, v177
	v_fma_f32 v88, v115, v170, -v88
	v_add_f32_e32 v127, v127, v128
	s_waitcnt vmcnt(16) lgkmcnt(0)
	v_mul_f32_e32 v128, v123, v180
	v_add_f32_e32 v87, v87, v88
	v_mul_f32_e32 v88, v118, v172
	v_fmac_f32_e32 v128, v124, v179
	v_fma_f32 v88, v117, v171, -v88
	v_add_f32_e32 v131, v127, v128
	ds_read2_b64 v[127:130], v86 offset0:77 offset1:78
	v_add_f32_e32 v87, v87, v88
	v_mul_f32_e32 v88, v120, v175
	v_fma_f32 v88, v119, v176, -v88
	s_waitcnt vmcnt(14)
	v_mul_f32_e32 v132, v125, v182
	v_add_f32_e32 v87, v87, v88
	v_mul_f32_e32 v88, v122, v178
	v_fmac_f32_e32 v132, v126, v181
	v_fma_f32 v88, v121, v177, -v88
	v_add_f32_e32 v135, v131, v132
	ds_read2_b64 v[131:134], v86 offset0:79 offset1:80
	v_add_f32_e32 v87, v87, v88
	v_mul_f32_e32 v88, v124, v180
	s_waitcnt vmcnt(12) lgkmcnt(1)
	v_mul_f32_e32 v136, v127, v184
	v_fma_f32 v88, v123, v179, -v88
	v_fmac_f32_e32 v136, v128, v183
	v_add_f32_e32 v87, v87, v88
	v_mul_f32_e32 v88, v126, v182
	v_add_f32_e32 v135, v135, v136
	s_waitcnt vmcnt(10)
	v_mul_f32_e32 v136, v129, v186
	v_fma_f32 v88, v125, v181, -v88
	v_fmac_f32_e32 v136, v130, v185
	v_add_f32_e32 v87, v87, v88
	v_mul_f32_e32 v88, v128, v184
	v_add_f32_e32 v135, v135, v136
	s_waitcnt vmcnt(8) lgkmcnt(0)
	v_mul_f32_e32 v136, v131, v188
	v_fma_f32 v88, v127, v183, -v88
	v_fmac_f32_e32 v136, v132, v187
	v_add_f32_e32 v87, v87, v88
	v_mul_f32_e32 v88, v130, v186
	v_add_f32_e32 v139, v135, v136
	ds_read2_b64 v[135:138], v86 offset0:81 offset1:82
	v_fma_f32 v88, v129, v185, -v88
	v_add_f32_e32 v87, v87, v88
	v_mul_f32_e32 v88, v132, v188
	s_waitcnt vmcnt(6)
	v_mul_f32_e32 v140, v133, v190
	v_fma_f32 v88, v131, v187, -v88
	v_fmac_f32_e32 v140, v134, v189
	v_add_f32_e32 v87, v87, v88
	v_mul_f32_e32 v88, v134, v190
	v_add_f32_e32 v197, v139, v140
	ds_read_b64 v[139:140], v86 offset:664
	v_fma_f32 v88, v133, v189, -v88
	v_add_f32_e32 v87, v87, v88
	s_waitcnt vmcnt(4) lgkmcnt(1)
	v_mul_f32_e32 v88, v136, v192
	v_mul_f32_e32 v198, v135, v192
	v_fma_f32 v88, v135, v191, -v88
	v_fmac_f32_e32 v198, v136, v191
	v_add_f32_e32 v87, v87, v88
	s_waitcnt vmcnt(2)
	v_mul_f32_e32 v88, v138, v194
	v_add_f32_e32 v197, v197, v198
	v_mul_f32_e32 v198, v137, v194
	v_fma_f32 v88, v137, v193, -v88
	v_fmac_f32_e32 v198, v138, v193
	v_add_f32_e32 v87, v87, v88
	s_waitcnt vmcnt(0) lgkmcnt(0)
	v_mul_f32_e32 v88, v140, v196
	v_add_f32_e32 v197, v197, v198
	v_mul_f32_e32 v198, v139, v196
	v_fma_f32 v88, v139, v195, -v88
	v_fmac_f32_e32 v198, v140, v195
	v_add_f32_e32 v87, v87, v88
	v_add_f32_e32 v197, v197, v198
	v_sub_f32_e32 v87, v173, v87
	v_sub_f32_e32 v88, v174, v197
	buffer_store_dword v87, off, s[0:3], 0 offset:112
	buffer_store_dword v88, off, s[0:3], 0 offset:116
	s_and_saveexec_b64 s[4:5], vcc
	s_cbranch_execz .LBB105_239
; %bb.238:
	buffer_load_dword v87, off, s[0:3], 0 offset:104
	buffer_load_dword v88, off, s[0:3], 0 offset:108
	s_waitcnt vmcnt(0)
	ds_write_b64 v85, v[87:88]
	buffer_store_dword v86, off, s[0:3], 0 offset:104
	buffer_store_dword v86, off, s[0:3], 0 offset:108
.LBB105_239:
	s_or_b64 exec, exec, s[4:5]
	s_waitcnt lgkmcnt(0)
	; wave barrier
	buffer_load_dword v143, off, s[0:3], 0 offset:116
	buffer_load_dword v144, off, s[0:3], 0 offset:124
	;; [unrolled: 1-line block ×34, first 2 shown]
	ds_read_b128 v[87:90], v86 offset:448
	ds_read_b128 v[91:94], v86 offset:464
	buffer_load_dword v177, off, s[0:3], 0 offset:244
	buffer_load_dword v178, off, s[0:3], 0 offset:240
	;; [unrolled: 1-line block ×6, first 2 shown]
	ds_read_b128 v[95:98], v86 offset:480
	ds_read_b128 v[99:102], v86 offset:496
	;; [unrolled: 1-line block ×4, first 2 shown]
	buffer_load_dword v183, off, s[0:3], 0 offset:268
	buffer_load_dword v184, off, s[0:3], 0 offset:264
	;; [unrolled: 1-line block ×18, first 2 shown]
	v_cmp_lt_u32_e32 vcc, 12, v0
	s_waitcnt vmcnt(57) lgkmcnt(5)
	v_mul_f32_e32 v111, v87, v143
	s_waitcnt vmcnt(56)
	v_mul_f32_e32 v112, v89, v144
	s_waitcnt vmcnt(55) lgkmcnt(4)
	v_mul_f32_e32 v113, v91, v145
	s_waitcnt vmcnt(54)
	v_mul_f32_e32 v114, v93, v146
	;; [unrolled: 4-line block ×4, first 2 shown]
	s_waitcnt vmcnt(49)
	v_fmac_f32_e32 v111, v88, v151
	s_waitcnt vmcnt(48)
	v_fmac_f32_e32 v112, v90, v152
	v_add_f32_e32 v111, 0, v111
	s_waitcnt vmcnt(47)
	v_fmac_f32_e32 v113, v92, v153
	v_add_f32_e32 v111, v111, v112
	;; [unrolled: 3-line block ×4, first 2 shown]
	v_mul_f32_e32 v88, v88, v143
	s_waitcnt vmcnt(44)
	v_fmac_f32_e32 v116, v98, v156
	v_add_f32_e32 v111, v111, v115
	v_fma_f32 v87, v87, v151, -v88
	v_mul_f32_e32 v88, v90, v144
	s_waitcnt vmcnt(43)
	v_fmac_f32_e32 v117, v100, v157
	v_add_f32_e32 v111, v111, v116
	v_add_f32_e32 v87, 0, v87
	v_fma_f32 v88, v89, v152, -v88
	s_waitcnt vmcnt(42)
	v_fmac_f32_e32 v118, v102, v158
	v_add_f32_e32 v111, v111, v117
	s_waitcnt vmcnt(41) lgkmcnt(1)
	v_mul_f32_e32 v112, v103, v159
	v_add_f32_e32 v87, v87, v88
	v_mul_f32_e32 v88, v92, v145
	v_add_f32_e32 v111, v111, v118
	s_waitcnt vmcnt(40)
	v_fmac_f32_e32 v112, v104, v160
	v_fma_f32 v88, v91, v153, -v88
	v_add_f32_e32 v111, v111, v112
	s_waitcnt vmcnt(39)
	v_mul_f32_e32 v112, v105, v161
	v_add_f32_e32 v87, v87, v88
	v_mul_f32_e32 v88, v94, v146
	s_waitcnt vmcnt(38)
	v_fmac_f32_e32 v112, v106, v162
	v_fma_f32 v88, v93, v154, -v88
	v_add_f32_e32 v111, v111, v112
	s_waitcnt vmcnt(37) lgkmcnt(0)
	v_mul_f32_e32 v112, v107, v163
	v_add_f32_e32 v87, v87, v88
	v_mul_f32_e32 v88, v96, v147
	s_waitcnt vmcnt(36)
	v_fmac_f32_e32 v112, v108, v164
	v_fma_f32 v88, v95, v155, -v88
	v_add_f32_e32 v115, v111, v112
	ds_read_b128 v[111:114], v86 offset:544
	v_add_f32_e32 v87, v87, v88
	v_mul_f32_e32 v88, v98, v148
	v_fma_f32 v88, v97, v156, -v88
	s_waitcnt vmcnt(35)
	v_mul_f32_e32 v116, v109, v165
	v_add_f32_e32 v87, v87, v88
	v_mul_f32_e32 v88, v100, v149
	s_waitcnt vmcnt(34)
	v_fmac_f32_e32 v116, v110, v166
	v_fma_f32 v88, v99, v157, -v88
	v_add_f32_e32 v119, v115, v116
	ds_read_b128 v[115:118], v86 offset:560
	v_add_f32_e32 v87, v87, v88
	v_mul_f32_e32 v88, v102, v150
	s_waitcnt vmcnt(33) lgkmcnt(1)
	v_mul_f32_e32 v120, v111, v167
	v_fma_f32 v88, v101, v158, -v88
	s_waitcnt vmcnt(32)
	v_fmac_f32_e32 v120, v112, v168
	v_add_f32_e32 v87, v87, v88
	v_mul_f32_e32 v88, v104, v159
	v_add_f32_e32 v119, v119, v120
	s_waitcnt vmcnt(31)
	v_mul_f32_e32 v120, v113, v169
	v_fma_f32 v88, v103, v160, -v88
	s_waitcnt vmcnt(30)
	v_fmac_f32_e32 v120, v114, v170
	v_add_f32_e32 v87, v87, v88
	v_mul_f32_e32 v88, v106, v161
	v_add_f32_e32 v119, v119, v120
	s_waitcnt vmcnt(29) lgkmcnt(0)
	v_mul_f32_e32 v120, v115, v171
	v_fma_f32 v88, v105, v162, -v88
	s_waitcnt vmcnt(28)
	v_fmac_f32_e32 v120, v116, v172
	v_add_f32_e32 v87, v87, v88
	v_mul_f32_e32 v88, v108, v163
	v_add_f32_e32 v123, v119, v120
	ds_read_b128 v[119:122], v86 offset:576
	v_fma_f32 v88, v107, v164, -v88
	v_add_f32_e32 v87, v87, v88
	v_mul_f32_e32 v88, v110, v165
	s_waitcnt vmcnt(25)
	v_mul_f32_e32 v124, v117, v175
	v_fma_f32 v88, v109, v166, -v88
	s_waitcnt vmcnt(24)
	v_fmac_f32_e32 v124, v118, v176
	v_add_f32_e32 v87, v87, v88
	v_mul_f32_e32 v88, v112, v167
	v_add_f32_e32 v127, v123, v124
	ds_read_b128 v[123:126], v86 offset:592
	v_fma_f32 v88, v111, v168, -v88
	s_waitcnt vmcnt(23) lgkmcnt(1)
	v_mul_f32_e32 v128, v119, v177
	v_add_f32_e32 v87, v87, v88
	v_mul_f32_e32 v88, v114, v169
	s_waitcnt vmcnt(22)
	v_fmac_f32_e32 v128, v120, v178
	v_fma_f32 v88, v113, v170, -v88
	v_add_f32_e32 v127, v127, v128
	s_waitcnt vmcnt(20)
	v_mul_f32_e32 v128, v121, v180
	v_add_f32_e32 v87, v87, v88
	v_mul_f32_e32 v88, v116, v171
	v_fmac_f32_e32 v128, v122, v179
	v_fma_f32 v88, v115, v172, -v88
	v_add_f32_e32 v127, v127, v128
	s_waitcnt vmcnt(18) lgkmcnt(0)
	v_mul_f32_e32 v128, v123, v182
	v_add_f32_e32 v87, v87, v88
	v_mul_f32_e32 v88, v118, v175
	v_fmac_f32_e32 v128, v124, v181
	v_fma_f32 v88, v117, v176, -v88
	v_add_f32_e32 v131, v127, v128
	ds_read_b128 v[127:130], v86 offset:608
	v_add_f32_e32 v87, v87, v88
	v_mul_f32_e32 v88, v120, v177
	v_fma_f32 v88, v119, v178, -v88
	s_waitcnt vmcnt(17)
	v_mul_f32_e32 v132, v125, v183
	v_add_f32_e32 v87, v87, v88
	v_mul_f32_e32 v88, v122, v180
	s_waitcnt vmcnt(16)
	v_fmac_f32_e32 v132, v126, v184
	v_fma_f32 v88, v121, v179, -v88
	v_add_f32_e32 v135, v131, v132
	ds_read_b128 v[131:134], v86 offset:624
	v_add_f32_e32 v87, v87, v88
	v_mul_f32_e32 v88, v124, v182
	s_waitcnt vmcnt(14) lgkmcnt(1)
	v_mul_f32_e32 v136, v127, v186
	v_fma_f32 v88, v123, v181, -v88
	v_fmac_f32_e32 v136, v128, v185
	v_add_f32_e32 v87, v87, v88
	v_mul_f32_e32 v88, v126, v183
	v_add_f32_e32 v135, v135, v136
	s_waitcnt vmcnt(12)
	v_mul_f32_e32 v136, v129, v188
	v_fma_f32 v88, v125, v184, -v88
	v_fmac_f32_e32 v136, v130, v187
	v_add_f32_e32 v87, v87, v88
	v_mul_f32_e32 v88, v128, v186
	v_add_f32_e32 v135, v135, v136
	s_waitcnt vmcnt(10) lgkmcnt(0)
	v_mul_f32_e32 v136, v131, v190
	v_fma_f32 v88, v127, v185, -v88
	v_fmac_f32_e32 v136, v132, v189
	v_add_f32_e32 v87, v87, v88
	v_mul_f32_e32 v88, v130, v188
	v_add_f32_e32 v139, v135, v136
	ds_read_b128 v[135:138], v86 offset:640
	v_fma_f32 v88, v129, v187, -v88
	v_add_f32_e32 v87, v87, v88
	v_mul_f32_e32 v88, v132, v190
	s_waitcnt vmcnt(8)
	v_mul_f32_e32 v140, v133, v192
	v_fma_f32 v88, v131, v189, -v88
	v_fmac_f32_e32 v140, v134, v191
	v_add_f32_e32 v87, v87, v88
	v_mul_f32_e32 v88, v134, v192
	v_add_f32_e32 v201, v139, v140
	ds_read_b128 v[139:142], v86 offset:656
	v_fma_f32 v88, v133, v191, -v88
	v_add_f32_e32 v87, v87, v88
	s_waitcnt vmcnt(6) lgkmcnt(1)
	v_mul_f32_e32 v88, v136, v194
	v_mul_f32_e32 v86, v135, v194
	v_fma_f32 v88, v135, v193, -v88
	v_fmac_f32_e32 v86, v136, v193
	v_add_f32_e32 v87, v87, v88
	s_waitcnt vmcnt(4)
	v_mul_f32_e32 v88, v138, v196
	v_add_f32_e32 v86, v201, v86
	v_mul_f32_e32 v201, v137, v196
	v_fma_f32 v88, v137, v195, -v88
	v_fmac_f32_e32 v201, v138, v195
	v_add_f32_e32 v87, v87, v88
	s_waitcnt vmcnt(2) lgkmcnt(0)
	v_mul_f32_e32 v88, v140, v198
	v_add_f32_e32 v86, v86, v201
	v_mul_f32_e32 v201, v139, v198
	v_fma_f32 v88, v139, v197, -v88
	v_fmac_f32_e32 v201, v140, v197
	v_add_f32_e32 v87, v87, v88
	s_waitcnt vmcnt(0)
	v_mul_f32_e32 v88, v142, v200
	v_add_f32_e32 v86, v86, v201
	v_mul_f32_e32 v201, v141, v200
	v_fma_f32 v88, v141, v199, -v88
	v_fmac_f32_e32 v201, v142, v199
	v_add_f32_e32 v87, v87, v88
	v_add_f32_e32 v86, v86, v201
	v_sub_f32_e32 v87, v173, v87
	v_sub_f32_e32 v86, v174, v86
	buffer_store_dword v87, off, s[0:3], 0 offset:104
	buffer_store_dword v86, off, s[0:3], 0 offset:108
	s_and_saveexec_b64 s[4:5], vcc
	s_cbranch_execz .LBB105_241
; %bb.240:
	buffer_load_dword v86, off, s[0:3], 0 offset:96
	buffer_load_dword v87, off, s[0:3], 0 offset:100
	v_mov_b32_e32 v88, 0
	buffer_store_dword v88, off, s[0:3], 0 offset:96
	buffer_store_dword v88, off, s[0:3], 0 offset:100
	s_waitcnt vmcnt(2)
	ds_write_b64 v85, v[86:87]
.LBB105_241:
	s_or_b64 exec, exec, s[4:5]
	s_waitcnt lgkmcnt(0)
	; wave barrier
	buffer_load_dword v145, off, s[0:3], 0 offset:108
	buffer_load_dword v146, off, s[0:3], 0 offset:116
	;; [unrolled: 1-line block ×60, first 2 shown]
	v_mov_b32_e32 v86, 0
	ds_read2_b64 v[87:90], v86 offset0:55 offset1:56
	ds_read2_b64 v[91:94], v86 offset0:57 offset1:58
	;; [unrolled: 1-line block ×5, first 2 shown]
	v_cmp_lt_u32_e32 vcc, 11, v0
	s_waitcnt vmcnt(59) lgkmcnt(4)
	v_mul_f32_e32 v107, v87, v145
	s_waitcnt vmcnt(58)
	v_mul_f32_e32 v108, v89, v146
	s_waitcnt vmcnt(57) lgkmcnt(3)
	v_mul_f32_e32 v109, v91, v147
	s_waitcnt vmcnt(56)
	v_mul_f32_e32 v110, v93, v148
	;; [unrolled: 4-line block ×3, first 2 shown]
	s_waitcnt vmcnt(53) lgkmcnt(1)
	v_mul_f32_e32 v113, v99, v151
	s_waitcnt vmcnt(52)
	v_fmac_f32_e32 v107, v88, v152
	s_waitcnt vmcnt(51)
	v_fmac_f32_e32 v108, v90, v153
	v_add_f32_e32 v107, 0, v107
	s_waitcnt vmcnt(50)
	v_fmac_f32_e32 v109, v92, v154
	v_add_f32_e32 v107, v107, v108
	;; [unrolled: 3-line block ×6, first 2 shown]
	s_waitcnt vmcnt(45)
	v_mul_f32_e32 v108, v101, v159
	v_add_f32_e32 v107, v107, v113
	s_waitcnt vmcnt(44)
	v_fmac_f32_e32 v108, v102, v160
	v_mul_f32_e32 v88, v88, v145
	v_add_f32_e32 v111, v107, v108
	ds_read2_b64 v[107:110], v86 offset0:65 offset1:66
	v_fma_f32 v87, v87, v152, -v88
	v_mul_f32_e32 v88, v90, v146
	s_waitcnt vmcnt(43) lgkmcnt(1)
	v_mul_f32_e32 v112, v103, v161
	v_add_f32_e32 v87, 0, v87
	v_fma_f32 v88, v89, v153, -v88
	s_waitcnt vmcnt(42)
	v_fmac_f32_e32 v112, v104, v162
	v_add_f32_e32 v87, v87, v88
	v_mul_f32_e32 v88, v92, v147
	v_add_f32_e32 v111, v111, v112
	s_waitcnt vmcnt(41)
	v_mul_f32_e32 v112, v105, v163
	v_fma_f32 v88, v91, v154, -v88
	s_waitcnt vmcnt(40)
	v_fmac_f32_e32 v112, v106, v164
	v_add_f32_e32 v87, v87, v88
	v_mul_f32_e32 v88, v94, v148
	v_add_f32_e32 v111, v111, v112
	s_waitcnt vmcnt(39) lgkmcnt(0)
	v_mul_f32_e32 v112, v107, v165
	v_fma_f32 v88, v93, v155, -v88
	s_waitcnt vmcnt(38)
	v_fmac_f32_e32 v112, v108, v166
	v_add_f32_e32 v87, v87, v88
	v_mul_f32_e32 v88, v96, v149
	v_add_f32_e32 v115, v111, v112
	ds_read2_b64 v[111:114], v86 offset0:67 offset1:68
	v_fma_f32 v88, v95, v156, -v88
	v_add_f32_e32 v87, v87, v88
	v_mul_f32_e32 v88, v98, v150
	s_waitcnt vmcnt(37)
	v_mul_f32_e32 v116, v109, v167
	v_fma_f32 v88, v97, v157, -v88
	s_waitcnt vmcnt(36)
	v_fmac_f32_e32 v116, v110, v168
	v_add_f32_e32 v87, v87, v88
	v_mul_f32_e32 v88, v100, v151
	v_add_f32_e32 v119, v115, v116
	ds_read2_b64 v[115:118], v86 offset0:69 offset1:70
	v_fma_f32 v88, v99, v158, -v88
	s_waitcnt vmcnt(34) lgkmcnt(1)
	v_mul_f32_e32 v120, v111, v170
	v_add_f32_e32 v87, v87, v88
	v_mul_f32_e32 v88, v102, v159
	v_fmac_f32_e32 v120, v112, v169
	v_fma_f32 v88, v101, v160, -v88
	v_add_f32_e32 v119, v119, v120
	s_waitcnt vmcnt(31)
	v_mul_f32_e32 v120, v113, v173
	v_add_f32_e32 v87, v87, v88
	v_mul_f32_e32 v88, v104, v161
	s_waitcnt vmcnt(30)
	v_fmac_f32_e32 v120, v114, v174
	v_fma_f32 v88, v103, v162, -v88
	v_add_f32_e32 v119, v119, v120
	s_waitcnt vmcnt(28) lgkmcnt(0)
	v_mul_f32_e32 v120, v115, v176
	v_add_f32_e32 v87, v87, v88
	v_mul_f32_e32 v88, v106, v163
	v_fmac_f32_e32 v120, v116, v175
	v_fma_f32 v88, v105, v164, -v88
	v_add_f32_e32 v123, v119, v120
	ds_read2_b64 v[119:122], v86 offset0:71 offset1:72
	v_add_f32_e32 v87, v87, v88
	v_mul_f32_e32 v88, v108, v165
	v_fma_f32 v88, v107, v166, -v88
	s_waitcnt vmcnt(26)
	v_mul_f32_e32 v124, v117, v178
	v_add_f32_e32 v87, v87, v88
	v_mul_f32_e32 v88, v110, v167
	v_fmac_f32_e32 v124, v118, v177
	v_fma_f32 v88, v109, v168, -v88
	v_add_f32_e32 v127, v123, v124
	ds_read2_b64 v[123:126], v86 offset0:73 offset1:74
	v_add_f32_e32 v87, v87, v88
	v_mul_f32_e32 v88, v112, v170
	s_waitcnt vmcnt(24) lgkmcnt(1)
	v_mul_f32_e32 v128, v119, v180
	v_fma_f32 v88, v111, v169, -v88
	v_fmac_f32_e32 v128, v120, v179
	v_add_f32_e32 v87, v87, v88
	v_mul_f32_e32 v88, v114, v173
	v_add_f32_e32 v127, v127, v128
	s_waitcnt vmcnt(22)
	v_mul_f32_e32 v128, v121, v182
	v_fma_f32 v88, v113, v174, -v88
	v_fmac_f32_e32 v128, v122, v181
	v_add_f32_e32 v87, v87, v88
	v_mul_f32_e32 v88, v116, v176
	v_add_f32_e32 v127, v127, v128
	s_waitcnt vmcnt(20) lgkmcnt(0)
	v_mul_f32_e32 v128, v123, v184
	v_fma_f32 v88, v115, v175, -v88
	v_fmac_f32_e32 v128, v124, v183
	v_add_f32_e32 v87, v87, v88
	v_mul_f32_e32 v88, v118, v178
	v_add_f32_e32 v131, v127, v128
	ds_read2_b64 v[127:130], v86 offset0:75 offset1:76
	v_fma_f32 v88, v117, v177, -v88
	v_add_f32_e32 v87, v87, v88
	v_mul_f32_e32 v88, v120, v180
	s_waitcnt vmcnt(18)
	v_mul_f32_e32 v132, v125, v186
	v_fma_f32 v88, v119, v179, -v88
	v_fmac_f32_e32 v132, v126, v185
	v_add_f32_e32 v87, v87, v88
	v_mul_f32_e32 v88, v122, v182
	v_add_f32_e32 v135, v131, v132
	ds_read2_b64 v[131:134], v86 offset0:77 offset1:78
	v_fma_f32 v88, v121, v181, -v88
	s_waitcnt vmcnt(16) lgkmcnt(1)
	v_mul_f32_e32 v136, v127, v188
	v_add_f32_e32 v87, v87, v88
	v_mul_f32_e32 v88, v124, v184
	v_fmac_f32_e32 v136, v128, v187
	v_fma_f32 v88, v123, v183, -v88
	v_add_f32_e32 v135, v135, v136
	s_waitcnt vmcnt(14)
	v_mul_f32_e32 v136, v129, v190
	v_add_f32_e32 v87, v87, v88
	v_mul_f32_e32 v88, v126, v186
	v_fmac_f32_e32 v136, v130, v189
	v_fma_f32 v88, v125, v185, -v88
	v_add_f32_e32 v135, v135, v136
	s_waitcnt vmcnt(12) lgkmcnt(0)
	v_mul_f32_e32 v136, v131, v192
	v_add_f32_e32 v87, v87, v88
	v_mul_f32_e32 v88, v128, v188
	v_fmac_f32_e32 v136, v132, v191
	v_fma_f32 v88, v127, v187, -v88
	v_add_f32_e32 v139, v135, v136
	ds_read2_b64 v[135:138], v86 offset0:79 offset1:80
	v_add_f32_e32 v87, v87, v88
	v_mul_f32_e32 v88, v130, v190
	v_fma_f32 v88, v129, v189, -v88
	v_add_f32_e32 v87, v87, v88
	v_mul_f32_e32 v88, v132, v192
	s_waitcnt vmcnt(10)
	v_mul_f32_e32 v140, v133, v194
	v_fma_f32 v88, v131, v191, -v88
	v_fmac_f32_e32 v140, v134, v193
	v_add_f32_e32 v87, v87, v88
	v_mul_f32_e32 v88, v134, v194
	v_add_f32_e32 v143, v139, v140
	ds_read2_b64 v[139:142], v86 offset0:81 offset1:82
	s_waitcnt vmcnt(8) lgkmcnt(1)
	v_mul_f32_e32 v144, v135, v196
	v_fma_f32 v88, v133, v193, -v88
	v_fmac_f32_e32 v144, v136, v195
	v_add_f32_e32 v87, v87, v88
	v_mul_f32_e32 v88, v136, v196
	v_add_f32_e32 v143, v143, v144
	s_waitcnt vmcnt(6)
	v_mul_f32_e32 v144, v137, v198
	v_fma_f32 v88, v135, v195, -v88
	v_fmac_f32_e32 v144, v138, v197
	v_add_f32_e32 v87, v87, v88
	v_mul_f32_e32 v88, v138, v198
	v_add_f32_e32 v205, v143, v144
	ds_read_b64 v[143:144], v86 offset:664
	v_fma_f32 v88, v137, v197, -v88
	v_add_f32_e32 v87, v87, v88
	s_waitcnt vmcnt(4) lgkmcnt(1)
	v_mul_f32_e32 v88, v140, v200
	v_mul_f32_e32 v206, v139, v200
	v_fma_f32 v88, v139, v199, -v88
	v_fmac_f32_e32 v206, v140, v199
	v_add_f32_e32 v87, v87, v88
	s_waitcnt vmcnt(2)
	v_mul_f32_e32 v88, v142, v202
	v_add_f32_e32 v205, v205, v206
	v_mul_f32_e32 v206, v141, v202
	v_fma_f32 v88, v141, v201, -v88
	v_fmac_f32_e32 v206, v142, v201
	v_add_f32_e32 v87, v87, v88
	s_waitcnt vmcnt(0) lgkmcnt(0)
	v_mul_f32_e32 v88, v144, v204
	v_add_f32_e32 v205, v205, v206
	v_mul_f32_e32 v206, v143, v204
	v_fma_f32 v88, v143, v203, -v88
	v_fmac_f32_e32 v206, v144, v203
	v_add_f32_e32 v87, v87, v88
	v_add_f32_e32 v205, v205, v206
	v_sub_f32_e32 v87, v171, v87
	v_sub_f32_e32 v88, v172, v205
	buffer_store_dword v87, off, s[0:3], 0 offset:96
	buffer_store_dword v88, off, s[0:3], 0 offset:100
	s_and_saveexec_b64 s[4:5], vcc
	s_cbranch_execz .LBB105_243
; %bb.242:
	buffer_load_dword v87, off, s[0:3], 0 offset:88
	buffer_load_dword v88, off, s[0:3], 0 offset:92
	s_waitcnt vmcnt(0)
	ds_write_b64 v85, v[87:88]
	buffer_store_dword v86, off, s[0:3], 0 offset:88
	buffer_store_dword v86, off, s[0:3], 0 offset:92
.LBB105_243:
	s_or_b64 exec, exec, s[4:5]
	s_waitcnt lgkmcnt(0)
	; wave barrier
	buffer_load_dword v147, off, s[0:3], 0 offset:100
	buffer_load_dword v148, off, s[0:3], 0 offset:108
	;; [unrolled: 1-line block ×32, first 2 shown]
	ds_read_b128 v[87:90], v86 offset:432
	ds_read_b128 v[91:94], v86 offset:448
	;; [unrolled: 1-line block ×4, first 2 shown]
	buffer_load_dword v179, off, s[0:3], 0 offset:220
	buffer_load_dword v180, off, s[0:3], 0 offset:216
	buffer_load_dword v181, off, s[0:3], 0 offset:224
	buffer_load_dword v182, off, s[0:3], 0 offset:228
	buffer_load_dword v183, off, s[0:3], 0 offset:232
	buffer_load_dword v184, off, s[0:3], 0 offset:236
	buffer_load_dword v185, off, s[0:3], 0 offset:240
	buffer_load_dword v186, off, s[0:3], 0 offset:244
	buffer_load_dword v187, off, s[0:3], 0 offset:248
	buffer_load_dword v188, off, s[0:3], 0 offset:252
	buffer_load_dword v189, off, s[0:3], 0 offset:256
	buffer_load_dword v190, off, s[0:3], 0 offset:260
	buffer_load_dword v191, off, s[0:3], 0 offset:264
	buffer_load_dword v192, off, s[0:3], 0 offset:268
	buffer_load_dword v193, off, s[0:3], 0 offset:272
	buffer_load_dword v194, off, s[0:3], 0 offset:276
	buffer_load_dword v195, off, s[0:3], 0 offset:280
	buffer_load_dword v196, off, s[0:3], 0 offset:284
	buffer_load_dword v197, off, s[0:3], 0 offset:288
	buffer_load_dword v198, off, s[0:3], 0 offset:292
	buffer_load_dword v199, off, s[0:3], 0 offset:296
	buffer_load_dword v200, off, s[0:3], 0 offset:300
	buffer_load_dword v201, off, s[0:3], 0 offset:304
	buffer_load_dword v202, off, s[0:3], 0 offset:308
	buffer_load_dword v203, off, s[0:3], 0 offset:312
	buffer_load_dword v204, off, s[0:3], 0 offset:316
	buffer_load_dword v205, off, s[0:3], 0 offset:320
	buffer_load_dword v206, off, s[0:3], 0 offset:324
	buffer_load_dword v207, off, s[0:3], 0 offset:328
	buffer_load_dword v208, off, s[0:3], 0 offset:332
	v_cmp_lt_u32_e32 vcc, 10, v0
	s_waitcnt vmcnt(61) lgkmcnt(3)
	v_mul_f32_e32 v103, v87, v147
	s_waitcnt vmcnt(60)
	v_mul_f32_e32 v104, v89, v148
	s_waitcnt vmcnt(59) lgkmcnt(2)
	v_mul_f32_e32 v105, v91, v149
	s_waitcnt vmcnt(58)
	v_mul_f32_e32 v106, v93, v150
	;; [unrolled: 4-line block ×3, first 2 shown]
	s_waitcnt vmcnt(55) lgkmcnt(0)
	v_mul_f32_e32 v109, v99, v153
	s_waitcnt vmcnt(54)
	v_fmac_f32_e32 v103, v88, v154
	s_waitcnt vmcnt(53)
	v_fmac_f32_e32 v104, v90, v155
	v_add_f32_e32 v103, 0, v103
	s_waitcnt vmcnt(52)
	v_fmac_f32_e32 v105, v92, v156
	v_add_f32_e32 v103, v103, v104
	s_waitcnt vmcnt(51)
	v_fmac_f32_e32 v106, v94, v157
	v_add_f32_e32 v103, v103, v105
	s_waitcnt vmcnt(50)
	v_fmac_f32_e32 v107, v96, v158
	v_add_f32_e32 v103, v103, v106
	s_waitcnt vmcnt(49)
	v_fmac_f32_e32 v108, v98, v159
	v_add_f32_e32 v103, v103, v107
	s_waitcnt vmcnt(48)
	v_fmac_f32_e32 v109, v100, v160
	v_add_f32_e32 v103, v103, v108
	v_add_f32_e32 v107, v103, v109
	ds_read_b128 v[103:106], v86 offset:496
	s_waitcnt vmcnt(47)
	v_mul_f32_e32 v108, v101, v161
	s_waitcnt vmcnt(46)
	v_fmac_f32_e32 v108, v102, v162
	v_mul_f32_e32 v88, v88, v147
	v_add_f32_e32 v111, v107, v108
	ds_read_b128 v[107:110], v86 offset:512
	v_fma_f32 v87, v87, v154, -v88
	v_mul_f32_e32 v88, v90, v148
	s_waitcnt vmcnt(45) lgkmcnt(1)
	v_mul_f32_e32 v112, v103, v163
	v_add_f32_e32 v87, 0, v87
	v_fma_f32 v88, v89, v155, -v88
	s_waitcnt vmcnt(44)
	v_fmac_f32_e32 v112, v104, v164
	v_add_f32_e32 v87, v87, v88
	v_mul_f32_e32 v88, v92, v149
	v_add_f32_e32 v111, v111, v112
	s_waitcnt vmcnt(43)
	v_mul_f32_e32 v112, v105, v165
	v_fma_f32 v88, v91, v156, -v88
	s_waitcnt vmcnt(42)
	v_fmac_f32_e32 v112, v106, v166
	v_add_f32_e32 v87, v87, v88
	v_mul_f32_e32 v88, v94, v150
	v_add_f32_e32 v111, v111, v112
	s_waitcnt vmcnt(41) lgkmcnt(0)
	v_mul_f32_e32 v112, v107, v167
	v_fma_f32 v88, v93, v157, -v88
	s_waitcnt vmcnt(40)
	v_fmac_f32_e32 v112, v108, v168
	v_add_f32_e32 v87, v87, v88
	v_mul_f32_e32 v88, v96, v151
	v_add_f32_e32 v115, v111, v112
	ds_read_b128 v[111:114], v86 offset:528
	v_fma_f32 v88, v95, v158, -v88
	v_add_f32_e32 v87, v87, v88
	v_mul_f32_e32 v88, v98, v152
	s_waitcnt vmcnt(39)
	v_mul_f32_e32 v116, v109, v169
	v_fma_f32 v88, v97, v159, -v88
	s_waitcnt vmcnt(38)
	v_fmac_f32_e32 v116, v110, v170
	v_add_f32_e32 v87, v87, v88
	v_mul_f32_e32 v88, v100, v153
	v_add_f32_e32 v119, v115, v116
	ds_read_b128 v[115:118], v86 offset:544
	v_fma_f32 v88, v99, v160, -v88
	s_waitcnt vmcnt(35) lgkmcnt(1)
	v_mul_f32_e32 v120, v111, v173
	v_add_f32_e32 v87, v87, v88
	v_mul_f32_e32 v88, v102, v161
	s_waitcnt vmcnt(34)
	v_fmac_f32_e32 v120, v112, v174
	v_fma_f32 v88, v101, v162, -v88
	v_add_f32_e32 v119, v119, v120
	s_waitcnt vmcnt(32)
	v_mul_f32_e32 v120, v113, v176
	v_add_f32_e32 v87, v87, v88
	v_mul_f32_e32 v88, v104, v163
	v_fmac_f32_e32 v120, v114, v175
	v_fma_f32 v88, v103, v164, -v88
	v_add_f32_e32 v119, v119, v120
	s_waitcnt vmcnt(30) lgkmcnt(0)
	v_mul_f32_e32 v120, v115, v178
	v_add_f32_e32 v87, v87, v88
	v_mul_f32_e32 v88, v106, v165
	v_fmac_f32_e32 v120, v116, v177
	v_fma_f32 v88, v105, v166, -v88
	v_add_f32_e32 v123, v119, v120
	ds_read_b128 v[119:122], v86 offset:560
	v_add_f32_e32 v87, v87, v88
	v_mul_f32_e32 v88, v108, v167
	v_fma_f32 v88, v107, v168, -v88
	s_waitcnt vmcnt(29)
	v_mul_f32_e32 v124, v117, v179
	v_add_f32_e32 v87, v87, v88
	v_mul_f32_e32 v88, v110, v169
	s_waitcnt vmcnt(28)
	v_fmac_f32_e32 v124, v118, v180
	v_fma_f32 v88, v109, v170, -v88
	v_add_f32_e32 v127, v123, v124
	ds_read_b128 v[123:126], v86 offset:576
	v_add_f32_e32 v87, v87, v88
	v_mul_f32_e32 v88, v112, v173
	s_waitcnt vmcnt(26) lgkmcnt(1)
	v_mul_f32_e32 v128, v119, v182
	v_fma_f32 v88, v111, v174, -v88
	v_fmac_f32_e32 v128, v120, v181
	v_add_f32_e32 v87, v87, v88
	v_mul_f32_e32 v88, v114, v176
	v_add_f32_e32 v127, v127, v128
	s_waitcnt vmcnt(24)
	v_mul_f32_e32 v128, v121, v184
	v_fma_f32 v88, v113, v175, -v88
	v_fmac_f32_e32 v128, v122, v183
	v_add_f32_e32 v87, v87, v88
	v_mul_f32_e32 v88, v116, v178
	v_add_f32_e32 v127, v127, v128
	s_waitcnt vmcnt(22) lgkmcnt(0)
	v_mul_f32_e32 v128, v123, v186
	v_fma_f32 v88, v115, v177, -v88
	v_fmac_f32_e32 v128, v124, v185
	v_add_f32_e32 v87, v87, v88
	v_mul_f32_e32 v88, v118, v179
	v_add_f32_e32 v131, v127, v128
	ds_read_b128 v[127:130], v86 offset:592
	v_fma_f32 v88, v117, v180, -v88
	v_add_f32_e32 v87, v87, v88
	v_mul_f32_e32 v88, v120, v182
	s_waitcnt vmcnt(20)
	v_mul_f32_e32 v132, v125, v188
	v_fma_f32 v88, v119, v181, -v88
	v_fmac_f32_e32 v132, v126, v187
	v_add_f32_e32 v87, v87, v88
	v_mul_f32_e32 v88, v122, v184
	v_add_f32_e32 v135, v131, v132
	ds_read_b128 v[131:134], v86 offset:608
	v_fma_f32 v88, v121, v183, -v88
	s_waitcnt vmcnt(18) lgkmcnt(1)
	v_mul_f32_e32 v136, v127, v190
	v_add_f32_e32 v87, v87, v88
	v_mul_f32_e32 v88, v124, v186
	v_fmac_f32_e32 v136, v128, v189
	v_fma_f32 v88, v123, v185, -v88
	v_add_f32_e32 v135, v135, v136
	s_waitcnt vmcnt(16)
	v_mul_f32_e32 v136, v129, v192
	v_add_f32_e32 v87, v87, v88
	v_mul_f32_e32 v88, v126, v188
	v_fmac_f32_e32 v136, v130, v191
	v_fma_f32 v88, v125, v187, -v88
	v_add_f32_e32 v135, v135, v136
	s_waitcnt vmcnt(14) lgkmcnt(0)
	v_mul_f32_e32 v136, v131, v194
	v_add_f32_e32 v87, v87, v88
	v_mul_f32_e32 v88, v128, v190
	v_fmac_f32_e32 v136, v132, v193
	v_fma_f32 v88, v127, v189, -v88
	v_add_f32_e32 v139, v135, v136
	ds_read_b128 v[135:138], v86 offset:624
	v_add_f32_e32 v87, v87, v88
	v_mul_f32_e32 v88, v130, v192
	v_fma_f32 v88, v129, v191, -v88
	v_add_f32_e32 v87, v87, v88
	v_mul_f32_e32 v88, v132, v194
	s_waitcnt vmcnt(12)
	v_mul_f32_e32 v140, v133, v196
	v_fma_f32 v88, v131, v193, -v88
	v_fmac_f32_e32 v140, v134, v195
	v_add_f32_e32 v87, v87, v88
	v_mul_f32_e32 v88, v134, v196
	v_add_f32_e32 v143, v139, v140
	ds_read_b128 v[139:142], v86 offset:640
	s_waitcnt vmcnt(10) lgkmcnt(1)
	v_mul_f32_e32 v144, v135, v198
	v_fma_f32 v88, v133, v195, -v88
	v_fmac_f32_e32 v144, v136, v197
	v_add_f32_e32 v87, v87, v88
	v_mul_f32_e32 v88, v136, v198
	v_add_f32_e32 v143, v143, v144
	s_waitcnt vmcnt(8)
	v_mul_f32_e32 v144, v137, v200
	v_fma_f32 v88, v135, v197, -v88
	v_fmac_f32_e32 v144, v138, v199
	v_add_f32_e32 v87, v87, v88
	v_mul_f32_e32 v88, v138, v200
	v_add_f32_e32 v209, v143, v144
	ds_read_b128 v[143:146], v86 offset:656
	v_fma_f32 v88, v137, v199, -v88
	v_add_f32_e32 v87, v87, v88
	s_waitcnt vmcnt(6) lgkmcnt(1)
	v_mul_f32_e32 v88, v140, v202
	v_mul_f32_e32 v210, v139, v202
	v_fma_f32 v88, v139, v201, -v88
	v_fmac_f32_e32 v210, v140, v201
	v_add_f32_e32 v87, v87, v88
	s_waitcnt vmcnt(4)
	v_mul_f32_e32 v88, v142, v204
	v_add_f32_e32 v86, v209, v210
	v_mul_f32_e32 v209, v141, v204
	v_fma_f32 v88, v141, v203, -v88
	v_fmac_f32_e32 v209, v142, v203
	v_add_f32_e32 v87, v87, v88
	s_waitcnt vmcnt(2) lgkmcnt(0)
	v_mul_f32_e32 v88, v144, v206
	v_add_f32_e32 v86, v86, v209
	v_mul_f32_e32 v209, v143, v206
	v_fma_f32 v88, v143, v205, -v88
	v_fmac_f32_e32 v209, v144, v205
	v_add_f32_e32 v87, v87, v88
	s_waitcnt vmcnt(0)
	v_mul_f32_e32 v88, v146, v208
	v_add_f32_e32 v86, v86, v209
	v_mul_f32_e32 v209, v145, v208
	v_fma_f32 v88, v145, v207, -v88
	v_fmac_f32_e32 v209, v146, v207
	v_add_f32_e32 v87, v87, v88
	v_add_f32_e32 v86, v86, v209
	v_sub_f32_e32 v87, v171, v87
	v_sub_f32_e32 v86, v172, v86
	buffer_store_dword v87, off, s[0:3], 0 offset:88
	buffer_store_dword v86, off, s[0:3], 0 offset:92
	s_and_saveexec_b64 s[4:5], vcc
	s_cbranch_execz .LBB105_245
; %bb.244:
	buffer_load_dword v86, off, s[0:3], 0 offset:80
	buffer_load_dword v87, off, s[0:3], 0 offset:84
	v_mov_b32_e32 v88, 0
	buffer_store_dword v88, off, s[0:3], 0 offset:80
	buffer_store_dword v88, off, s[0:3], 0 offset:84
	s_waitcnt vmcnt(2)
	ds_write_b64 v85, v[86:87]
.LBB105_245:
	s_or_b64 exec, exec, s[4:5]
	s_waitcnt lgkmcnt(0)
	; wave barrier
	buffer_load_dword v149, off, s[0:3], 0 offset:92
	buffer_load_dword v150, off, s[0:3], 0 offset:100
	;; [unrolled: 1-line block ×56, first 2 shown]
	v_mov_b32_e32 v86, 0
	ds_read2_b64 v[87:90], v86 offset0:53 offset1:54
	buffer_load_dword v205, off, s[0:3], 0 offset:304
	buffer_load_dword v206, off, s[0:3], 0 offset:308
	;; [unrolled: 1-line block ×4, first 2 shown]
	ds_read2_b64 v[91:94], v86 offset0:55 offset1:56
	ds_read2_b64 v[95:98], v86 offset0:57 offset1:58
	;; [unrolled: 1-line block ×3, first 2 shown]
	v_cmp_lt_u32_e32 vcc, 9, v0
	s_waitcnt vmcnt(59) lgkmcnt(3)
	v_mul_f32_e32 v103, v87, v149
	s_waitcnt vmcnt(58)
	v_mul_f32_e32 v104, v89, v150
	s_waitcnt vmcnt(57) lgkmcnt(2)
	v_mul_f32_e32 v105, v91, v151
	s_waitcnt vmcnt(56)
	v_mul_f32_e32 v106, v93, v152
	s_waitcnt vmcnt(55) lgkmcnt(1)
	v_mul_f32_e32 v107, v95, v153
	s_waitcnt vmcnt(54)
	v_mul_f32_e32 v108, v97, v154
	s_waitcnt vmcnt(53) lgkmcnt(0)
	v_mul_f32_e32 v109, v99, v155
	s_waitcnt vmcnt(52)
	v_mul_f32_e32 v110, v101, v156
	s_waitcnt vmcnt(51)
	v_fmac_f32_e32 v103, v88, v157
	s_waitcnt vmcnt(50)
	v_fmac_f32_e32 v104, v90, v158
	v_add_f32_e32 v103, 0, v103
	s_waitcnt vmcnt(49)
	v_fmac_f32_e32 v105, v92, v159
	v_add_f32_e32 v103, v103, v104
	s_waitcnt vmcnt(48)
	v_fmac_f32_e32 v106, v94, v160
	v_add_f32_e32 v103, v103, v105
	s_waitcnt vmcnt(47)
	v_fmac_f32_e32 v107, v96, v161
	v_add_f32_e32 v103, v103, v106
	s_waitcnt vmcnt(46)
	v_fmac_f32_e32 v108, v98, v162
	v_add_f32_e32 v103, v103, v107
	s_waitcnt vmcnt(45)
	v_fmac_f32_e32 v109, v100, v163
	v_add_f32_e32 v103, v103, v108
	v_add_f32_e32 v107, v103, v109
	ds_read2_b64 v[103:106], v86 offset0:61 offset1:62
	buffer_load_dword v209, off, s[0:3], 0 offset:324
	buffer_load_dword v210, off, s[0:3], 0 offset:320
	;; [unrolled: 1-line block ×4, first 2 shown]
	s_waitcnt vmcnt(48)
	v_fmac_f32_e32 v110, v102, v164
	v_add_f32_e32 v111, v107, v110
	ds_read2_b64 v[107:110], v86 offset0:63 offset1:64
	s_waitcnt vmcnt(47) lgkmcnt(1)
	v_mul_f32_e32 v112, v103, v165
	v_mul_f32_e32 v88, v88, v149
	s_waitcnt vmcnt(46)
	v_fmac_f32_e32 v112, v104, v166
	v_fma_f32 v87, v87, v157, -v88
	v_mul_f32_e32 v88, v90, v150
	v_add_f32_e32 v111, v111, v112
	s_waitcnt vmcnt(45)
	v_mul_f32_e32 v112, v105, v167
	v_add_f32_e32 v87, 0, v87
	v_fma_f32 v88, v89, v158, -v88
	s_waitcnt vmcnt(44)
	v_fmac_f32_e32 v112, v106, v168
	v_add_f32_e32 v87, v87, v88
	v_mul_f32_e32 v88, v92, v151
	v_add_f32_e32 v111, v111, v112
	s_waitcnt vmcnt(42) lgkmcnt(0)
	v_mul_f32_e32 v112, v107, v170
	v_fma_f32 v88, v91, v159, -v88
	v_fmac_f32_e32 v112, v108, v169
	v_add_f32_e32 v87, v87, v88
	v_mul_f32_e32 v88, v94, v152
	v_add_f32_e32 v115, v111, v112
	ds_read2_b64 v[111:114], v86 offset0:65 offset1:66
	v_fma_f32 v88, v93, v160, -v88
	v_add_f32_e32 v87, v87, v88
	v_mul_f32_e32 v88, v96, v153
	s_waitcnt vmcnt(39)
	v_mul_f32_e32 v116, v109, v173
	v_fma_f32 v88, v95, v161, -v88
	s_waitcnt vmcnt(38)
	v_fmac_f32_e32 v116, v110, v174
	v_add_f32_e32 v87, v87, v88
	v_mul_f32_e32 v88, v98, v154
	v_add_f32_e32 v119, v115, v116
	ds_read2_b64 v[115:118], v86 offset0:67 offset1:68
	v_fma_f32 v88, v97, v162, -v88
	s_waitcnt vmcnt(36) lgkmcnt(1)
	v_mul_f32_e32 v120, v111, v176
	v_add_f32_e32 v87, v87, v88
	v_mul_f32_e32 v88, v100, v155
	v_fmac_f32_e32 v120, v112, v175
	v_fma_f32 v88, v99, v163, -v88
	v_add_f32_e32 v119, v119, v120
	s_waitcnt vmcnt(34)
	v_mul_f32_e32 v120, v113, v178
	v_add_f32_e32 v87, v87, v88
	v_mul_f32_e32 v88, v102, v156
	v_fmac_f32_e32 v120, v114, v177
	v_fma_f32 v88, v101, v164, -v88
	v_add_f32_e32 v119, v119, v120
	s_waitcnt vmcnt(32) lgkmcnt(0)
	v_mul_f32_e32 v120, v115, v180
	v_add_f32_e32 v87, v87, v88
	v_mul_f32_e32 v88, v104, v165
	v_fmac_f32_e32 v120, v116, v179
	v_fma_f32 v88, v103, v166, -v88
	v_add_f32_e32 v123, v119, v120
	ds_read2_b64 v[119:122], v86 offset0:69 offset1:70
	v_add_f32_e32 v87, v87, v88
	v_mul_f32_e32 v88, v106, v167
	v_fma_f32 v88, v105, v168, -v88
	s_waitcnt vmcnt(30)
	v_mul_f32_e32 v124, v117, v182
	v_add_f32_e32 v87, v87, v88
	v_mul_f32_e32 v88, v108, v170
	v_fmac_f32_e32 v124, v118, v181
	v_fma_f32 v88, v107, v169, -v88
	v_add_f32_e32 v127, v123, v124
	ds_read2_b64 v[123:126], v86 offset0:71 offset1:72
	v_add_f32_e32 v87, v87, v88
	v_mul_f32_e32 v88, v110, v173
	s_waitcnt vmcnt(28) lgkmcnt(1)
	v_mul_f32_e32 v128, v119, v184
	v_fma_f32 v88, v109, v174, -v88
	v_fmac_f32_e32 v128, v120, v183
	v_add_f32_e32 v87, v87, v88
	v_mul_f32_e32 v88, v112, v176
	v_add_f32_e32 v127, v127, v128
	s_waitcnt vmcnt(26)
	v_mul_f32_e32 v128, v121, v186
	v_fma_f32 v88, v111, v175, -v88
	v_fmac_f32_e32 v128, v122, v185
	v_add_f32_e32 v87, v87, v88
	v_mul_f32_e32 v88, v114, v178
	v_add_f32_e32 v127, v127, v128
	s_waitcnt vmcnt(24) lgkmcnt(0)
	v_mul_f32_e32 v128, v123, v188
	v_fma_f32 v88, v113, v177, -v88
	v_fmac_f32_e32 v128, v124, v187
	v_add_f32_e32 v87, v87, v88
	v_mul_f32_e32 v88, v116, v180
	v_add_f32_e32 v131, v127, v128
	ds_read2_b64 v[127:130], v86 offset0:73 offset1:74
	v_fma_f32 v88, v115, v179, -v88
	v_add_f32_e32 v87, v87, v88
	v_mul_f32_e32 v88, v118, v182
	s_waitcnt vmcnt(22)
	v_mul_f32_e32 v132, v125, v190
	v_fma_f32 v88, v117, v181, -v88
	v_fmac_f32_e32 v132, v126, v189
	v_add_f32_e32 v87, v87, v88
	v_mul_f32_e32 v88, v120, v184
	v_add_f32_e32 v135, v131, v132
	ds_read2_b64 v[131:134], v86 offset0:75 offset1:76
	v_fma_f32 v88, v119, v183, -v88
	s_waitcnt vmcnt(20) lgkmcnt(1)
	v_mul_f32_e32 v136, v127, v192
	v_add_f32_e32 v87, v87, v88
	v_mul_f32_e32 v88, v122, v186
	v_fmac_f32_e32 v136, v128, v191
	v_fma_f32 v88, v121, v185, -v88
	v_add_f32_e32 v135, v135, v136
	s_waitcnt vmcnt(18)
	v_mul_f32_e32 v136, v129, v194
	v_add_f32_e32 v87, v87, v88
	v_mul_f32_e32 v88, v124, v188
	v_fmac_f32_e32 v136, v130, v193
	v_fma_f32 v88, v123, v187, -v88
	v_add_f32_e32 v135, v135, v136
	s_waitcnt vmcnt(16) lgkmcnt(0)
	v_mul_f32_e32 v136, v131, v196
	v_add_f32_e32 v87, v87, v88
	v_mul_f32_e32 v88, v126, v190
	v_fmac_f32_e32 v136, v132, v195
	v_fma_f32 v88, v125, v189, -v88
	v_add_f32_e32 v139, v135, v136
	ds_read2_b64 v[135:138], v86 offset0:77 offset1:78
	v_add_f32_e32 v87, v87, v88
	v_mul_f32_e32 v88, v128, v192
	v_fma_f32 v88, v127, v191, -v88
	s_waitcnt vmcnt(14)
	v_mul_f32_e32 v140, v133, v198
	v_add_f32_e32 v87, v87, v88
	v_mul_f32_e32 v88, v130, v194
	v_fmac_f32_e32 v140, v134, v197
	v_fma_f32 v88, v129, v193, -v88
	v_add_f32_e32 v143, v139, v140
	ds_read2_b64 v[139:142], v86 offset0:79 offset1:80
	v_add_f32_e32 v87, v87, v88
	v_mul_f32_e32 v88, v132, v196
	s_waitcnt vmcnt(12) lgkmcnt(1)
	v_mul_f32_e32 v144, v135, v200
	v_fma_f32 v88, v131, v195, -v88
	v_fmac_f32_e32 v144, v136, v199
	v_add_f32_e32 v87, v87, v88
	v_mul_f32_e32 v88, v134, v198
	v_add_f32_e32 v143, v143, v144
	s_waitcnt vmcnt(10)
	v_mul_f32_e32 v144, v137, v202
	v_fma_f32 v88, v133, v197, -v88
	v_fmac_f32_e32 v144, v138, v201
	v_add_f32_e32 v87, v87, v88
	v_mul_f32_e32 v88, v136, v200
	v_add_f32_e32 v143, v143, v144
	s_waitcnt vmcnt(8) lgkmcnt(0)
	v_mul_f32_e32 v144, v139, v204
	v_fma_f32 v88, v135, v199, -v88
	v_fmac_f32_e32 v144, v140, v203
	v_add_f32_e32 v87, v87, v88
	v_mul_f32_e32 v88, v138, v202
	v_add_f32_e32 v147, v143, v144
	ds_read2_b64 v[143:146], v86 offset0:81 offset1:82
	v_fma_f32 v88, v137, v201, -v88
	v_add_f32_e32 v87, v87, v88
	v_mul_f32_e32 v88, v140, v204
	s_waitcnt vmcnt(6)
	v_mul_f32_e32 v148, v141, v206
	v_fma_f32 v88, v139, v203, -v88
	v_fmac_f32_e32 v148, v142, v205
	v_add_f32_e32 v87, v87, v88
	v_mul_f32_e32 v88, v142, v206
	v_add_f32_e32 v213, v147, v148
	ds_read_b64 v[147:148], v86 offset:664
	v_fma_f32 v88, v141, v205, -v88
	v_add_f32_e32 v87, v87, v88
	s_waitcnt vmcnt(4) lgkmcnt(1)
	v_mul_f32_e32 v88, v144, v208
	v_mul_f32_e32 v214, v143, v208
	v_fma_f32 v88, v143, v207, -v88
	v_fmac_f32_e32 v214, v144, v207
	v_add_f32_e32 v87, v87, v88
	s_waitcnt vmcnt(3)
	v_mul_f32_e32 v88, v146, v209
	v_add_f32_e32 v213, v213, v214
	v_mul_f32_e32 v214, v145, v209
	s_waitcnt vmcnt(2)
	v_fma_f32 v88, v145, v210, -v88
	v_fmac_f32_e32 v214, v146, v210
	v_add_f32_e32 v87, v87, v88
	s_waitcnt vmcnt(0) lgkmcnt(0)
	v_mul_f32_e32 v88, v148, v212
	v_add_f32_e32 v213, v213, v214
	v_mul_f32_e32 v214, v147, v212
	v_fma_f32 v88, v147, v211, -v88
	v_fmac_f32_e32 v214, v148, v211
	v_add_f32_e32 v87, v87, v88
	v_add_f32_e32 v213, v213, v214
	v_sub_f32_e32 v87, v171, v87
	v_sub_f32_e32 v88, v172, v213
	buffer_store_dword v87, off, s[0:3], 0 offset:80
	buffer_store_dword v88, off, s[0:3], 0 offset:84
	s_and_saveexec_b64 s[4:5], vcc
	s_cbranch_execz .LBB105_247
; %bb.246:
	buffer_load_dword v87, off, s[0:3], 0 offset:72
	buffer_load_dword v88, off, s[0:3], 0 offset:76
	s_waitcnt vmcnt(0)
	ds_write_b64 v85, v[87:88]
	buffer_store_dword v86, off, s[0:3], 0 offset:72
	buffer_store_dword v86, off, s[0:3], 0 offset:76
.LBB105_247:
	s_or_b64 exec, exec, s[4:5]
	s_waitcnt lgkmcnt(0)
	; wave barrier
	buffer_load_dword v151, off, s[0:3], 0 offset:84
	buffer_load_dword v152, off, s[0:3], 0 offset:92
	;; [unrolled: 1-line block ×26, first 2 shown]
	ds_read_b128 v[87:90], v86 offset:416
	ds_read_b128 v[91:94], v86 offset:432
	;; [unrolled: 1-line block ×4, first 2 shown]
	buffer_load_dword v177, off, s[0:3], 0 offset:180
	buffer_load_dword v178, off, s[0:3], 0 offset:176
	;; [unrolled: 1-line block ×34, first 2 shown]
	v_cmp_lt_u32_e32 vcc, 8, v0
	s_waitcnt vmcnt(59) lgkmcnt(3)
	v_mul_f32_e32 v103, v87, v151
	s_waitcnt vmcnt(58)
	v_mul_f32_e32 v104, v89, v152
	s_waitcnt vmcnt(57) lgkmcnt(2)
	v_mul_f32_e32 v105, v91, v153
	s_waitcnt vmcnt(56)
	v_mul_f32_e32 v106, v93, v154
	s_waitcnt vmcnt(55) lgkmcnt(1)
	v_mul_f32_e32 v107, v95, v155
	s_waitcnt vmcnt(54)
	v_mul_f32_e32 v108, v97, v156
	s_waitcnt vmcnt(53) lgkmcnt(0)
	v_mul_f32_e32 v109, v99, v157
	s_waitcnt vmcnt(52)
	v_mul_f32_e32 v110, v101, v158
	s_waitcnt vmcnt(51)
	v_fmac_f32_e32 v103, v88, v159
	s_waitcnt vmcnt(50)
	v_fmac_f32_e32 v104, v90, v160
	v_add_f32_e32 v103, 0, v103
	s_waitcnt vmcnt(49)
	v_fmac_f32_e32 v105, v92, v161
	v_add_f32_e32 v103, v103, v104
	;; [unrolled: 3-line block ×7, first 2 shown]
	v_add_f32_e32 v111, v103, v110
	ds_read_b128 v[103:106], v86 offset:480
	buffer_load_dword v211, off, s[0:3], 0 offset:316
	buffer_load_dword v212, off, s[0:3], 0 offset:312
	;; [unrolled: 1-line block ×4, first 2 shown]
	ds_read_b128 v[107:110], v86 offset:496
	buffer_load_dword v215, off, s[0:3], 0 offset:328
	buffer_load_dword v216, off, s[0:3], 0 offset:332
	v_mul_f32_e32 v88, v88, v151
	s_waitcnt vmcnt(49) lgkmcnt(1)
	v_mul_f32_e32 v112, v103, v167
	s_waitcnt vmcnt(48)
	v_fmac_f32_e32 v112, v104, v168
	v_fma_f32 v87, v87, v159, -v88
	v_mul_f32_e32 v88, v90, v152
	v_add_f32_e32 v111, v111, v112
	s_waitcnt vmcnt(46)
	v_mul_f32_e32 v112, v105, v170
	v_add_f32_e32 v87, 0, v87
	v_fma_f32 v88, v89, v160, -v88
	v_fmac_f32_e32 v112, v106, v169
	v_add_f32_e32 v87, v87, v88
	v_mul_f32_e32 v88, v92, v153
	v_add_f32_e32 v111, v111, v112
	s_waitcnt vmcnt(43) lgkmcnt(0)
	v_mul_f32_e32 v112, v107, v173
	v_fma_f32 v88, v91, v161, -v88
	s_waitcnt vmcnt(42)
	v_fmac_f32_e32 v112, v108, v174
	v_add_f32_e32 v87, v87, v88
	v_mul_f32_e32 v88, v94, v154
	v_add_f32_e32 v115, v111, v112
	ds_read_b128 v[111:114], v86 offset:512
	v_fma_f32 v88, v93, v162, -v88
	v_add_f32_e32 v87, v87, v88
	v_mul_f32_e32 v88, v96, v155
	s_waitcnt vmcnt(40)
	v_mul_f32_e32 v116, v109, v176
	v_fma_f32 v88, v95, v163, -v88
	v_fmac_f32_e32 v116, v110, v175
	v_add_f32_e32 v87, v87, v88
	v_mul_f32_e32 v88, v98, v156
	v_add_f32_e32 v119, v115, v116
	ds_read_b128 v[115:118], v86 offset:528
	v_fma_f32 v88, v97, v164, -v88
	s_waitcnt vmcnt(39) lgkmcnt(1)
	v_mul_f32_e32 v120, v111, v177
	v_add_f32_e32 v87, v87, v88
	v_mul_f32_e32 v88, v100, v157
	s_waitcnt vmcnt(38)
	v_fmac_f32_e32 v120, v112, v178
	v_fma_f32 v88, v99, v165, -v88
	v_add_f32_e32 v119, v119, v120
	s_waitcnt vmcnt(36)
	v_mul_f32_e32 v120, v113, v180
	v_add_f32_e32 v87, v87, v88
	v_mul_f32_e32 v88, v102, v158
	v_fmac_f32_e32 v120, v114, v179
	v_fma_f32 v88, v101, v166, -v88
	v_add_f32_e32 v119, v119, v120
	s_waitcnt vmcnt(34) lgkmcnt(0)
	v_mul_f32_e32 v120, v115, v182
	v_add_f32_e32 v87, v87, v88
	v_mul_f32_e32 v88, v104, v167
	v_fmac_f32_e32 v120, v116, v181
	v_fma_f32 v88, v103, v168, -v88
	v_add_f32_e32 v123, v119, v120
	ds_read_b128 v[119:122], v86 offset:544
	v_add_f32_e32 v87, v87, v88
	v_mul_f32_e32 v88, v106, v170
	v_fma_f32 v88, v105, v169, -v88
	s_waitcnt vmcnt(32)
	v_mul_f32_e32 v124, v117, v184
	v_add_f32_e32 v87, v87, v88
	v_mul_f32_e32 v88, v108, v173
	v_fmac_f32_e32 v124, v118, v183
	v_fma_f32 v88, v107, v174, -v88
	v_add_f32_e32 v127, v123, v124
	ds_read_b128 v[123:126], v86 offset:560
	v_add_f32_e32 v87, v87, v88
	v_mul_f32_e32 v88, v110, v176
	s_waitcnt vmcnt(30) lgkmcnt(1)
	v_mul_f32_e32 v128, v119, v186
	v_fma_f32 v88, v109, v175, -v88
	v_fmac_f32_e32 v128, v120, v185
	v_add_f32_e32 v87, v87, v88
	v_mul_f32_e32 v88, v112, v177
	v_add_f32_e32 v127, v127, v128
	s_waitcnt vmcnt(28)
	v_mul_f32_e32 v128, v121, v188
	v_fma_f32 v88, v111, v178, -v88
	v_fmac_f32_e32 v128, v122, v187
	v_add_f32_e32 v87, v87, v88
	v_mul_f32_e32 v88, v114, v180
	v_add_f32_e32 v127, v127, v128
	s_waitcnt vmcnt(26) lgkmcnt(0)
	v_mul_f32_e32 v128, v123, v190
	v_fma_f32 v88, v113, v179, -v88
	v_fmac_f32_e32 v128, v124, v189
	v_add_f32_e32 v87, v87, v88
	v_mul_f32_e32 v88, v116, v182
	v_add_f32_e32 v131, v127, v128
	ds_read_b128 v[127:130], v86 offset:576
	v_fma_f32 v88, v115, v181, -v88
	v_add_f32_e32 v87, v87, v88
	v_mul_f32_e32 v88, v118, v184
	s_waitcnt vmcnt(24)
	v_mul_f32_e32 v132, v125, v192
	v_fma_f32 v88, v117, v183, -v88
	v_fmac_f32_e32 v132, v126, v191
	v_add_f32_e32 v87, v87, v88
	v_mul_f32_e32 v88, v120, v186
	v_add_f32_e32 v135, v131, v132
	ds_read_b128 v[131:134], v86 offset:592
	v_fma_f32 v88, v119, v185, -v88
	s_waitcnt vmcnt(22) lgkmcnt(1)
	v_mul_f32_e32 v136, v127, v194
	v_add_f32_e32 v87, v87, v88
	v_mul_f32_e32 v88, v122, v188
	v_fmac_f32_e32 v136, v128, v193
	v_fma_f32 v88, v121, v187, -v88
	v_add_f32_e32 v135, v135, v136
	s_waitcnt vmcnt(20)
	v_mul_f32_e32 v136, v129, v196
	v_add_f32_e32 v87, v87, v88
	v_mul_f32_e32 v88, v124, v190
	v_fmac_f32_e32 v136, v130, v195
	v_fma_f32 v88, v123, v189, -v88
	v_add_f32_e32 v135, v135, v136
	s_waitcnt vmcnt(18) lgkmcnt(0)
	v_mul_f32_e32 v136, v131, v198
	v_add_f32_e32 v87, v87, v88
	v_mul_f32_e32 v88, v126, v192
	v_fmac_f32_e32 v136, v132, v197
	v_fma_f32 v88, v125, v191, -v88
	v_add_f32_e32 v139, v135, v136
	ds_read_b128 v[135:138], v86 offset:608
	v_add_f32_e32 v87, v87, v88
	v_mul_f32_e32 v88, v128, v194
	v_fma_f32 v88, v127, v193, -v88
	s_waitcnt vmcnt(16)
	v_mul_f32_e32 v140, v133, v200
	v_add_f32_e32 v87, v87, v88
	v_mul_f32_e32 v88, v130, v196
	v_fmac_f32_e32 v140, v134, v199
	v_fma_f32 v88, v129, v195, -v88
	v_add_f32_e32 v143, v139, v140
	ds_read_b128 v[139:142], v86 offset:624
	v_add_f32_e32 v87, v87, v88
	v_mul_f32_e32 v88, v132, v198
	s_waitcnt vmcnt(14) lgkmcnt(1)
	v_mul_f32_e32 v144, v135, v202
	v_fma_f32 v88, v131, v197, -v88
	v_fmac_f32_e32 v144, v136, v201
	v_add_f32_e32 v87, v87, v88
	v_mul_f32_e32 v88, v134, v200
	v_add_f32_e32 v143, v143, v144
	s_waitcnt vmcnt(12)
	v_mul_f32_e32 v144, v137, v204
	v_fma_f32 v88, v133, v199, -v88
	v_fmac_f32_e32 v144, v138, v203
	v_add_f32_e32 v87, v87, v88
	v_mul_f32_e32 v88, v136, v202
	v_add_f32_e32 v143, v143, v144
	s_waitcnt vmcnt(10) lgkmcnt(0)
	v_mul_f32_e32 v144, v139, v206
	v_fma_f32 v88, v135, v201, -v88
	v_fmac_f32_e32 v144, v140, v205
	v_add_f32_e32 v87, v87, v88
	v_mul_f32_e32 v88, v138, v204
	v_add_f32_e32 v147, v143, v144
	ds_read_b128 v[143:146], v86 offset:640
	v_fma_f32 v88, v137, v203, -v88
	v_add_f32_e32 v87, v87, v88
	v_mul_f32_e32 v88, v140, v206
	s_waitcnt vmcnt(8)
	v_mul_f32_e32 v148, v141, v208
	v_fma_f32 v88, v139, v205, -v88
	v_fmac_f32_e32 v148, v142, v207
	v_add_f32_e32 v87, v87, v88
	v_mul_f32_e32 v88, v142, v208
	v_add_f32_e32 v217, v147, v148
	ds_read_b128 v[147:150], v86 offset:656
	v_fma_f32 v88, v141, v207, -v88
	v_add_f32_e32 v87, v87, v88
	s_waitcnt vmcnt(6) lgkmcnt(1)
	v_mul_f32_e32 v88, v144, v210
	v_mul_f32_e32 v86, v143, v210
	v_fma_f32 v88, v143, v209, -v88
	v_fmac_f32_e32 v86, v144, v209
	v_add_f32_e32 v87, v87, v88
	s_waitcnt vmcnt(5)
	v_mul_f32_e32 v88, v146, v211
	v_add_f32_e32 v86, v217, v86
	v_mul_f32_e32 v217, v145, v211
	s_waitcnt vmcnt(4)
	v_fma_f32 v88, v145, v212, -v88
	v_fmac_f32_e32 v217, v146, v212
	v_add_f32_e32 v87, v87, v88
	s_waitcnt vmcnt(2) lgkmcnt(0)
	v_mul_f32_e32 v88, v148, v214
	v_add_f32_e32 v86, v86, v217
	v_mul_f32_e32 v217, v147, v214
	v_fma_f32 v88, v147, v213, -v88
	v_fmac_f32_e32 v217, v148, v213
	v_add_f32_e32 v87, v87, v88
	s_waitcnt vmcnt(0)
	v_mul_f32_e32 v88, v150, v216
	v_add_f32_e32 v86, v86, v217
	v_mul_f32_e32 v217, v149, v216
	v_fma_f32 v88, v149, v215, -v88
	v_fmac_f32_e32 v217, v150, v215
	v_add_f32_e32 v87, v87, v88
	v_add_f32_e32 v86, v86, v217
	v_sub_f32_e32 v87, v171, v87
	v_sub_f32_e32 v86, v172, v86
	buffer_store_dword v87, off, s[0:3], 0 offset:72
	buffer_store_dword v86, off, s[0:3], 0 offset:76
	s_and_saveexec_b64 s[4:5], vcc
	s_cbranch_execz .LBB105_249
; %bb.248:
	buffer_load_dword v86, off, s[0:3], 0 offset:64
	buffer_load_dword v87, off, s[0:3], 0 offset:68
	v_mov_b32_e32 v88, 0
	buffer_store_dword v88, off, s[0:3], 0 offset:64
	buffer_store_dword v88, off, s[0:3], 0 offset:68
	s_waitcnt vmcnt(2)
	ds_write_b64 v85, v[86:87]
.LBB105_249:
	s_or_b64 exec, exec, s[4:5]
	s_waitcnt lgkmcnt(0)
	; wave barrier
	buffer_load_dword v153, off, s[0:3], 0 offset:76
	buffer_load_dword v154, off, s[0:3], 0 offset:84
	;; [unrolled: 1-line block ×58, first 2 shown]
	v_mov_b32_e32 v86, 0
	ds_read2_b64 v[87:90], v86 offset0:51 offset1:52
	ds_read2_b64 v[91:94], v86 offset0:53 offset1:54
	;; [unrolled: 1-line block ×5, first 2 shown]
	buffer_load_dword v211, off, s[0:3], 0 offset:296
	buffer_load_dword v212, off, s[0:3], 0 offset:300
	v_cmp_lt_u32_e32 vcc, 7, v0
	s_waitcnt vmcnt(59) lgkmcnt(4)
	v_mul_f32_e32 v107, v87, v153
	s_waitcnt vmcnt(58)
	v_mul_f32_e32 v108, v89, v154
	s_waitcnt vmcnt(57) lgkmcnt(3)
	v_mul_f32_e32 v109, v91, v155
	s_waitcnt vmcnt(56)
	v_mul_f32_e32 v110, v93, v156
	;; [unrolled: 4-line block ×4, first 2 shown]
	s_waitcnt vmcnt(51)
	v_fmac_f32_e32 v107, v88, v161
	s_waitcnt vmcnt(50)
	v_fmac_f32_e32 v108, v90, v162
	v_add_f32_e32 v107, 0, v107
	s_waitcnt vmcnt(49)
	v_fmac_f32_e32 v109, v92, v163
	v_add_f32_e32 v107, v107, v108
	;; [unrolled: 3-line block ×7, first 2 shown]
	v_add_f32_e32 v111, v107, v114
	ds_read2_b64 v[107:110], v86 offset0:61 offset1:62
	buffer_load_dword v213, off, s[0:3], 0 offset:308
	buffer_load_dword v214, off, s[0:3], 0 offset:304
	;; [unrolled: 1-line block ×8, first 2 shown]
	s_waitcnt vmcnt(51) lgkmcnt(1)
	v_mul_f32_e32 v112, v103, v169
	s_waitcnt vmcnt(50)
	v_fmac_f32_e32 v112, v104, v170
	v_mul_f32_e32 v88, v88, v153
	v_add_f32_e32 v111, v111, v112
	s_waitcnt vmcnt(49)
	v_mul_f32_e32 v112, v105, v171
	v_fma_f32 v87, v87, v161, -v88
	v_mul_f32_e32 v88, v90, v154
	s_waitcnt vmcnt(46)
	v_fmac_f32_e32 v112, v106, v174
	v_add_f32_e32 v87, 0, v87
	v_fma_f32 v88, v89, v162, -v88
	v_add_f32_e32 v111, v111, v112
	s_waitcnt vmcnt(44) lgkmcnt(0)
	v_mul_f32_e32 v112, v107, v176
	v_add_f32_e32 v87, v87, v88
	v_mul_f32_e32 v88, v92, v155
	v_fmac_f32_e32 v112, v108, v175
	v_fma_f32 v88, v91, v163, -v88
	v_add_f32_e32 v115, v111, v112
	ds_read2_b64 v[111:114], v86 offset0:63 offset1:64
	v_add_f32_e32 v87, v87, v88
	v_mul_f32_e32 v88, v94, v156
	v_fma_f32 v88, v93, v164, -v88
	s_waitcnt vmcnt(42)
	v_mul_f32_e32 v116, v109, v178
	v_add_f32_e32 v87, v87, v88
	v_mul_f32_e32 v88, v96, v157
	v_fmac_f32_e32 v116, v110, v177
	v_fma_f32 v88, v95, v165, -v88
	v_add_f32_e32 v119, v115, v116
	ds_read2_b64 v[115:118], v86 offset0:65 offset1:66
	v_add_f32_e32 v87, v87, v88
	v_mul_f32_e32 v88, v98, v158
	s_waitcnt vmcnt(40) lgkmcnt(1)
	v_mul_f32_e32 v120, v111, v180
	v_fma_f32 v88, v97, v166, -v88
	v_fmac_f32_e32 v120, v112, v179
	v_add_f32_e32 v87, v87, v88
	v_mul_f32_e32 v88, v100, v159
	v_add_f32_e32 v119, v119, v120
	s_waitcnt vmcnt(38)
	v_mul_f32_e32 v120, v113, v182
	v_fma_f32 v88, v99, v167, -v88
	v_fmac_f32_e32 v120, v114, v181
	v_add_f32_e32 v87, v87, v88
	v_mul_f32_e32 v88, v102, v160
	v_add_f32_e32 v119, v119, v120
	s_waitcnt vmcnt(36) lgkmcnt(0)
	v_mul_f32_e32 v120, v115, v184
	v_fma_f32 v88, v101, v168, -v88
	v_fmac_f32_e32 v120, v116, v183
	v_add_f32_e32 v87, v87, v88
	v_mul_f32_e32 v88, v104, v169
	v_add_f32_e32 v123, v119, v120
	ds_read2_b64 v[119:122], v86 offset0:67 offset1:68
	v_fma_f32 v88, v103, v170, -v88
	v_add_f32_e32 v87, v87, v88
	v_mul_f32_e32 v88, v106, v171
	s_waitcnt vmcnt(34)
	v_mul_f32_e32 v124, v117, v186
	v_fma_f32 v88, v105, v174, -v88
	v_fmac_f32_e32 v124, v118, v185
	v_add_f32_e32 v87, v87, v88
	v_mul_f32_e32 v88, v108, v176
	v_add_f32_e32 v127, v123, v124
	ds_read2_b64 v[123:126], v86 offset0:69 offset1:70
	v_fma_f32 v88, v107, v175, -v88
	s_waitcnt vmcnt(32) lgkmcnt(1)
	v_mul_f32_e32 v128, v119, v188
	v_add_f32_e32 v87, v87, v88
	v_mul_f32_e32 v88, v110, v178
	v_fmac_f32_e32 v128, v120, v187
	v_fma_f32 v88, v109, v177, -v88
	v_add_f32_e32 v127, v127, v128
	s_waitcnt vmcnt(30)
	v_mul_f32_e32 v128, v121, v190
	v_add_f32_e32 v87, v87, v88
	v_mul_f32_e32 v88, v112, v180
	v_fmac_f32_e32 v128, v122, v189
	v_fma_f32 v88, v111, v179, -v88
	v_add_f32_e32 v127, v127, v128
	s_waitcnt vmcnt(28) lgkmcnt(0)
	v_mul_f32_e32 v128, v123, v192
	v_add_f32_e32 v87, v87, v88
	v_mul_f32_e32 v88, v114, v182
	v_fmac_f32_e32 v128, v124, v191
	v_fma_f32 v88, v113, v181, -v88
	v_add_f32_e32 v131, v127, v128
	ds_read2_b64 v[127:130], v86 offset0:71 offset1:72
	v_add_f32_e32 v87, v87, v88
	v_mul_f32_e32 v88, v116, v184
	v_fma_f32 v88, v115, v183, -v88
	s_waitcnt vmcnt(26)
	v_mul_f32_e32 v132, v125, v194
	v_add_f32_e32 v87, v87, v88
	v_mul_f32_e32 v88, v118, v186
	v_fmac_f32_e32 v132, v126, v193
	v_fma_f32 v88, v117, v185, -v88
	v_add_f32_e32 v135, v131, v132
	ds_read2_b64 v[131:134], v86 offset0:73 offset1:74
	v_add_f32_e32 v87, v87, v88
	v_mul_f32_e32 v88, v120, v188
	s_waitcnt vmcnt(24) lgkmcnt(1)
	v_mul_f32_e32 v136, v127, v196
	v_fma_f32 v88, v119, v187, -v88
	v_fmac_f32_e32 v136, v128, v195
	v_add_f32_e32 v87, v87, v88
	v_mul_f32_e32 v88, v122, v190
	v_add_f32_e32 v135, v135, v136
	s_waitcnt vmcnt(22)
	v_mul_f32_e32 v136, v129, v198
	v_fma_f32 v88, v121, v189, -v88
	v_fmac_f32_e32 v136, v130, v197
	v_add_f32_e32 v87, v87, v88
	v_mul_f32_e32 v88, v124, v192
	v_add_f32_e32 v135, v135, v136
	s_waitcnt vmcnt(20) lgkmcnt(0)
	v_mul_f32_e32 v136, v131, v200
	v_fma_f32 v88, v123, v191, -v88
	v_fmac_f32_e32 v136, v132, v199
	v_add_f32_e32 v87, v87, v88
	v_mul_f32_e32 v88, v126, v194
	v_add_f32_e32 v139, v135, v136
	ds_read2_b64 v[135:138], v86 offset0:75 offset1:76
	v_fma_f32 v88, v125, v193, -v88
	v_add_f32_e32 v87, v87, v88
	v_mul_f32_e32 v88, v128, v196
	s_waitcnt vmcnt(18)
	v_mul_f32_e32 v140, v133, v202
	v_fma_f32 v88, v127, v195, -v88
	v_fmac_f32_e32 v140, v134, v201
	v_add_f32_e32 v87, v87, v88
	v_mul_f32_e32 v88, v130, v198
	v_add_f32_e32 v143, v139, v140
	ds_read2_b64 v[139:142], v86 offset0:77 offset1:78
	v_fma_f32 v88, v129, v197, -v88
	s_waitcnt vmcnt(16) lgkmcnt(1)
	v_mul_f32_e32 v144, v135, v204
	v_add_f32_e32 v87, v87, v88
	v_mul_f32_e32 v88, v132, v200
	v_fmac_f32_e32 v144, v136, v203
	v_fma_f32 v88, v131, v199, -v88
	v_add_f32_e32 v143, v143, v144
	s_waitcnt vmcnt(14)
	v_mul_f32_e32 v144, v137, v206
	v_add_f32_e32 v87, v87, v88
	v_mul_f32_e32 v88, v134, v202
	v_fmac_f32_e32 v144, v138, v205
	v_fma_f32 v88, v133, v201, -v88
	v_add_f32_e32 v143, v143, v144
	s_waitcnt vmcnt(12) lgkmcnt(0)
	v_mul_f32_e32 v144, v139, v208
	v_add_f32_e32 v87, v87, v88
	v_mul_f32_e32 v88, v136, v204
	v_fmac_f32_e32 v144, v140, v207
	v_fma_f32 v88, v135, v203, -v88
	v_add_f32_e32 v147, v143, v144
	ds_read2_b64 v[143:146], v86 offset0:79 offset1:80
	v_add_f32_e32 v87, v87, v88
	v_mul_f32_e32 v88, v138, v206
	v_fma_f32 v88, v137, v205, -v88
	v_add_f32_e32 v87, v87, v88
	v_mul_f32_e32 v88, v140, v208
	s_waitcnt vmcnt(10)
	v_mul_f32_e32 v148, v141, v210
	v_fma_f32 v88, v139, v207, -v88
	v_fmac_f32_e32 v148, v142, v209
	v_add_f32_e32 v87, v87, v88
	v_mul_f32_e32 v88, v142, v210
	v_add_f32_e32 v151, v147, v148
	ds_read2_b64 v[147:150], v86 offset0:81 offset1:82
	s_waitcnt vmcnt(8) lgkmcnt(1)
	v_mul_f32_e32 v152, v143, v212
	v_fma_f32 v88, v141, v209, -v88
	v_fmac_f32_e32 v152, v144, v211
	v_add_f32_e32 v87, v87, v88
	v_mul_f32_e32 v88, v144, v212
	v_add_f32_e32 v151, v151, v152
	s_waitcnt vmcnt(7)
	v_mul_f32_e32 v152, v145, v213
	v_fma_f32 v88, v143, v211, -v88
	s_waitcnt vmcnt(6)
	v_fmac_f32_e32 v152, v146, v214
	v_add_f32_e32 v87, v87, v88
	v_mul_f32_e32 v88, v146, v213
	v_add_f32_e32 v221, v151, v152
	ds_read_b64 v[151:152], v86 offset:664
	v_fma_f32 v88, v145, v214, -v88
	v_add_f32_e32 v87, v87, v88
	s_waitcnt vmcnt(4) lgkmcnt(1)
	v_mul_f32_e32 v88, v148, v216
	v_mul_f32_e32 v222, v147, v216
	v_fma_f32 v88, v147, v215, -v88
	v_fmac_f32_e32 v222, v148, v215
	v_add_f32_e32 v87, v87, v88
	s_waitcnt vmcnt(3)
	v_mul_f32_e32 v88, v150, v217
	v_add_f32_e32 v221, v221, v222
	v_mul_f32_e32 v222, v149, v217
	s_waitcnt vmcnt(2)
	v_fma_f32 v88, v149, v218, -v88
	v_fmac_f32_e32 v222, v150, v218
	v_add_f32_e32 v87, v87, v88
	s_waitcnt vmcnt(0) lgkmcnt(0)
	v_mul_f32_e32 v88, v152, v220
	v_add_f32_e32 v221, v221, v222
	v_mul_f32_e32 v222, v151, v220
	v_fma_f32 v88, v151, v219, -v88
	v_fmac_f32_e32 v222, v152, v219
	v_add_f32_e32 v87, v87, v88
	v_add_f32_e32 v221, v221, v222
	v_sub_f32_e32 v87, v172, v87
	v_sub_f32_e32 v88, v173, v221
	buffer_store_dword v87, off, s[0:3], 0 offset:64
	buffer_store_dword v88, off, s[0:3], 0 offset:68
	s_and_saveexec_b64 s[4:5], vcc
	s_cbranch_execz .LBB105_251
; %bb.250:
	buffer_load_dword v87, off, s[0:3], 0 offset:56
	buffer_load_dword v88, off, s[0:3], 0 offset:60
	s_waitcnt vmcnt(0)
	ds_write_b64 v85, v[87:88]
	buffer_store_dword v86, off, s[0:3], 0 offset:56
	buffer_store_dword v86, off, s[0:3], 0 offset:60
.LBB105_251:
	s_or_b64 exec, exec, s[4:5]
	s_waitcnt lgkmcnt(0)
	; wave barrier
	buffer_load_dword v155, off, s[0:3], 0 offset:68
	buffer_load_dword v156, off, s[0:3], 0 offset:76
	;; [unrolled: 1-line block ×24, first 2 shown]
	ds_read_b128 v[87:90], v86 offset:400
	ds_read_b128 v[91:94], v86 offset:416
	;; [unrolled: 1-line block ×6, first 2 shown]
	buffer_load_dword v179, off, s[0:3], 0 offset:156
	buffer_load_dword v180, off, s[0:3], 0 offset:152
	;; [unrolled: 1-line block ×46, first 2 shown]
	v_cmp_lt_u32_e32 vcc, 6, v0
	s_waitcnt vmcnt(62) lgkmcnt(5)
	v_mul_f32_e32 v111, v87, v155
	v_mul_f32_e32 v112, v89, v156
	s_waitcnt lgkmcnt(4)
	v_mul_f32_e32 v113, v91, v157
	v_mul_f32_e32 v114, v93, v158
	s_waitcnt lgkmcnt(3)
	;; [unrolled: 3-line block ×3, first 2 shown]
	v_mul_f32_e32 v117, v99, v161
	v_mul_f32_e32 v118, v101, v162
	s_waitcnt vmcnt(61)
	v_fmac_f32_e32 v111, v88, v163
	s_waitcnt vmcnt(60)
	v_fmac_f32_e32 v112, v90, v164
	v_add_f32_e32 v111, 0, v111
	s_waitcnt vmcnt(59)
	v_fmac_f32_e32 v113, v92, v165
	v_add_f32_e32 v111, v111, v112
	;; [unrolled: 3-line block ×7, first 2 shown]
	s_waitcnt vmcnt(53) lgkmcnt(1)
	v_mul_f32_e32 v112, v103, v171
	v_add_f32_e32 v111, v111, v118
	s_waitcnt vmcnt(52)
	v_fmac_f32_e32 v112, v104, v172
	v_mul_f32_e32 v88, v88, v155
	v_add_f32_e32 v111, v111, v112
	s_waitcnt vmcnt(51)
	v_mul_f32_e32 v112, v105, v173
	v_fma_f32 v87, v87, v163, -v88
	v_mul_f32_e32 v88, v90, v156
	s_waitcnt vmcnt(50)
	v_fmac_f32_e32 v112, v106, v174
	v_add_f32_e32 v87, 0, v87
	v_fma_f32 v88, v89, v164, -v88
	v_add_f32_e32 v111, v111, v112
	s_waitcnt vmcnt(47) lgkmcnt(0)
	v_mul_f32_e32 v112, v107, v177
	v_add_f32_e32 v87, v87, v88
	v_mul_f32_e32 v88, v92, v157
	s_waitcnt vmcnt(46)
	v_fmac_f32_e32 v112, v108, v178
	v_fma_f32 v88, v91, v165, -v88
	v_add_f32_e32 v115, v111, v112
	ds_read_b128 v[111:114], v86 offset:496
	v_add_f32_e32 v87, v87, v88
	v_mul_f32_e32 v88, v94, v158
	v_fma_f32 v88, v93, v166, -v88
	s_waitcnt vmcnt(45)
	v_mul_f32_e32 v116, v109, v179
	v_add_f32_e32 v87, v87, v88
	v_mul_f32_e32 v88, v96, v159
	s_waitcnt vmcnt(44)
	v_fmac_f32_e32 v116, v110, v180
	v_fma_f32 v88, v95, v167, -v88
	v_add_f32_e32 v119, v115, v116
	ds_read_b128 v[115:118], v86 offset:512
	v_add_f32_e32 v87, v87, v88
	v_mul_f32_e32 v88, v98, v160
	s_waitcnt vmcnt(42) lgkmcnt(1)
	v_mul_f32_e32 v120, v111, v182
	v_fma_f32 v88, v97, v168, -v88
	v_fmac_f32_e32 v120, v112, v181
	v_add_f32_e32 v87, v87, v88
	v_mul_f32_e32 v88, v100, v161
	v_add_f32_e32 v119, v119, v120
	s_waitcnt vmcnt(40)
	v_mul_f32_e32 v120, v113, v184
	v_fma_f32 v88, v99, v169, -v88
	v_fmac_f32_e32 v120, v114, v183
	v_add_f32_e32 v87, v87, v88
	v_mul_f32_e32 v88, v102, v162
	v_add_f32_e32 v119, v119, v120
	s_waitcnt vmcnt(38) lgkmcnt(0)
	v_mul_f32_e32 v120, v115, v186
	v_fma_f32 v88, v101, v170, -v88
	v_fmac_f32_e32 v120, v116, v185
	v_add_f32_e32 v87, v87, v88
	v_mul_f32_e32 v88, v104, v171
	v_add_f32_e32 v123, v119, v120
	ds_read_b128 v[119:122], v86 offset:528
	v_fma_f32 v88, v103, v172, -v88
	v_add_f32_e32 v87, v87, v88
	v_mul_f32_e32 v88, v106, v173
	s_waitcnt vmcnt(36)
	v_mul_f32_e32 v124, v117, v188
	v_fma_f32 v88, v105, v174, -v88
	v_fmac_f32_e32 v124, v118, v187
	v_add_f32_e32 v87, v87, v88
	v_mul_f32_e32 v88, v108, v177
	v_add_f32_e32 v127, v123, v124
	ds_read_b128 v[123:126], v86 offset:544
	v_fma_f32 v88, v107, v178, -v88
	s_waitcnt vmcnt(34) lgkmcnt(1)
	v_mul_f32_e32 v128, v119, v190
	v_add_f32_e32 v87, v87, v88
	v_mul_f32_e32 v88, v110, v179
	v_fmac_f32_e32 v128, v120, v189
	v_fma_f32 v88, v109, v180, -v88
	v_add_f32_e32 v127, v127, v128
	s_waitcnt vmcnt(32)
	v_mul_f32_e32 v128, v121, v192
	v_add_f32_e32 v87, v87, v88
	v_mul_f32_e32 v88, v112, v182
	v_fmac_f32_e32 v128, v122, v191
	v_fma_f32 v88, v111, v181, -v88
	v_add_f32_e32 v127, v127, v128
	s_waitcnt vmcnt(30) lgkmcnt(0)
	v_mul_f32_e32 v128, v123, v194
	v_add_f32_e32 v87, v87, v88
	v_mul_f32_e32 v88, v114, v184
	v_fmac_f32_e32 v128, v124, v193
	v_fma_f32 v88, v113, v183, -v88
	v_add_f32_e32 v131, v127, v128
	ds_read_b128 v[127:130], v86 offset:560
	v_add_f32_e32 v87, v87, v88
	v_mul_f32_e32 v88, v116, v186
	v_fma_f32 v88, v115, v185, -v88
	s_waitcnt vmcnt(28)
	v_mul_f32_e32 v132, v125, v196
	v_add_f32_e32 v87, v87, v88
	v_mul_f32_e32 v88, v118, v188
	v_fmac_f32_e32 v132, v126, v195
	v_fma_f32 v88, v117, v187, -v88
	v_add_f32_e32 v135, v131, v132
	ds_read_b128 v[131:134], v86 offset:576
	v_add_f32_e32 v87, v87, v88
	v_mul_f32_e32 v88, v120, v190
	s_waitcnt vmcnt(26) lgkmcnt(1)
	v_mul_f32_e32 v136, v127, v198
	v_fma_f32 v88, v119, v189, -v88
	v_fmac_f32_e32 v136, v128, v197
	v_add_f32_e32 v87, v87, v88
	v_mul_f32_e32 v88, v122, v192
	v_add_f32_e32 v135, v135, v136
	s_waitcnt vmcnt(24)
	v_mul_f32_e32 v136, v129, v200
	v_fma_f32 v88, v121, v191, -v88
	v_fmac_f32_e32 v136, v130, v199
	v_add_f32_e32 v87, v87, v88
	v_mul_f32_e32 v88, v124, v194
	v_add_f32_e32 v135, v135, v136
	s_waitcnt vmcnt(22) lgkmcnt(0)
	v_mul_f32_e32 v136, v131, v202
	v_fma_f32 v88, v123, v193, -v88
	v_fmac_f32_e32 v136, v132, v201
	v_add_f32_e32 v87, v87, v88
	v_mul_f32_e32 v88, v126, v196
	v_add_f32_e32 v139, v135, v136
	ds_read_b128 v[135:138], v86 offset:592
	v_fma_f32 v88, v125, v195, -v88
	v_add_f32_e32 v87, v87, v88
	v_mul_f32_e32 v88, v128, v198
	s_waitcnt vmcnt(20)
	v_mul_f32_e32 v140, v133, v204
	v_fma_f32 v88, v127, v197, -v88
	v_fmac_f32_e32 v140, v134, v203
	v_add_f32_e32 v87, v87, v88
	v_mul_f32_e32 v88, v130, v200
	v_add_f32_e32 v143, v139, v140
	ds_read_b128 v[139:142], v86 offset:608
	v_fma_f32 v88, v129, v199, -v88
	s_waitcnt vmcnt(18) lgkmcnt(1)
	v_mul_f32_e32 v144, v135, v206
	v_add_f32_e32 v87, v87, v88
	v_mul_f32_e32 v88, v132, v202
	v_fmac_f32_e32 v144, v136, v205
	v_fma_f32 v88, v131, v201, -v88
	v_add_f32_e32 v143, v143, v144
	s_waitcnt vmcnt(16)
	v_mul_f32_e32 v144, v137, v208
	v_add_f32_e32 v87, v87, v88
	v_mul_f32_e32 v88, v134, v204
	v_fmac_f32_e32 v144, v138, v207
	v_fma_f32 v88, v133, v203, -v88
	v_add_f32_e32 v143, v143, v144
	s_waitcnt vmcnt(14) lgkmcnt(0)
	v_mul_f32_e32 v144, v139, v210
	v_add_f32_e32 v87, v87, v88
	v_mul_f32_e32 v88, v136, v206
	v_fmac_f32_e32 v144, v140, v209
	v_fma_f32 v88, v135, v205, -v88
	v_add_f32_e32 v147, v143, v144
	ds_read_b128 v[143:146], v86 offset:624
	v_add_f32_e32 v87, v87, v88
	v_mul_f32_e32 v88, v138, v208
	v_fma_f32 v88, v137, v207, -v88
	v_add_f32_e32 v87, v87, v88
	v_mul_f32_e32 v88, v140, v210
	s_waitcnt vmcnt(12)
	v_mul_f32_e32 v148, v141, v212
	v_fma_f32 v88, v139, v209, -v88
	v_fmac_f32_e32 v148, v142, v211
	v_add_f32_e32 v87, v87, v88
	v_mul_f32_e32 v88, v142, v212
	v_add_f32_e32 v151, v147, v148
	ds_read_b128 v[147:150], v86 offset:640
	s_waitcnt vmcnt(10) lgkmcnt(1)
	v_mul_f32_e32 v152, v143, v214
	v_fma_f32 v88, v141, v211, -v88
	v_fmac_f32_e32 v152, v144, v213
	v_add_f32_e32 v87, v87, v88
	v_mul_f32_e32 v88, v144, v214
	v_add_f32_e32 v151, v151, v152
	s_waitcnt vmcnt(9)
	v_mul_f32_e32 v152, v145, v215
	v_fma_f32 v88, v143, v213, -v88
	s_waitcnt vmcnt(8)
	v_fmac_f32_e32 v152, v146, v216
	v_add_f32_e32 v87, v87, v88
	v_mul_f32_e32 v88, v146, v215
	v_add_f32_e32 v225, v151, v152
	ds_read_b128 v[151:154], v86 offset:656
	v_fma_f32 v88, v145, v216, -v88
	v_add_f32_e32 v87, v87, v88
	s_waitcnt vmcnt(6) lgkmcnt(1)
	v_mul_f32_e32 v88, v148, v218
	v_mul_f32_e32 v226, v147, v218
	v_fma_f32 v88, v147, v217, -v88
	v_fmac_f32_e32 v226, v148, v217
	v_add_f32_e32 v87, v87, v88
	s_waitcnt vmcnt(4)
	v_mul_f32_e32 v88, v150, v220
	v_add_f32_e32 v86, v225, v226
	v_mul_f32_e32 v225, v149, v220
	v_fma_f32 v88, v149, v219, -v88
	v_fmac_f32_e32 v225, v150, v219
	v_add_f32_e32 v87, v87, v88
	s_waitcnt vmcnt(3) lgkmcnt(0)
	v_mul_f32_e32 v88, v152, v221
	v_add_f32_e32 v86, v86, v225
	v_mul_f32_e32 v225, v151, v221
	s_waitcnt vmcnt(2)
	v_fma_f32 v88, v151, v222, -v88
	v_fmac_f32_e32 v225, v152, v222
	v_add_f32_e32 v87, v87, v88
	s_waitcnt vmcnt(0)
	v_mul_f32_e32 v88, v154, v224
	v_add_f32_e32 v86, v86, v225
	v_mul_f32_e32 v225, v153, v224
	v_fma_f32 v88, v153, v223, -v88
	v_fmac_f32_e32 v225, v154, v223
	v_add_f32_e32 v87, v87, v88
	v_add_f32_e32 v86, v86, v225
	v_sub_f32_e32 v87, v175, v87
	v_sub_f32_e32 v86, v176, v86
	buffer_store_dword v87, off, s[0:3], 0 offset:56
	buffer_store_dword v86, off, s[0:3], 0 offset:60
	s_and_saveexec_b64 s[4:5], vcc
	s_cbranch_execz .LBB105_253
; %bb.252:
	buffer_load_dword v86, off, s[0:3], 0 offset:48
	buffer_load_dword v87, off, s[0:3], 0 offset:52
	v_mov_b32_e32 v88, 0
	buffer_store_dword v88, off, s[0:3], 0 offset:48
	buffer_store_dword v88, off, s[0:3], 0 offset:52
	s_waitcnt vmcnt(2)
	ds_write_b64 v85, v[86:87]
.LBB105_253:
	s_or_b64 exec, exec, s[4:5]
	s_waitcnt lgkmcnt(0)
	; wave barrier
	buffer_load_dword v157, off, s[0:3], 0 offset:60
	buffer_load_dword v158, off, s[0:3], 0 offset:68
	;; [unrolled: 1-line block ×56, first 2 shown]
	v_mov_b32_e32 v86, 0
	ds_read2_b64 v[87:90], v86 offset0:49 offset1:50
	ds_read2_b64 v[91:94], v86 offset0:51 offset1:52
	;; [unrolled: 1-line block ×6, first 2 shown]
	buffer_load_dword v213, off, s[0:3], 0 offset:272
	buffer_load_dword v214, off, s[0:3], 0 offset:276
	;; [unrolled: 1-line block ×12, first 2 shown]
	v_cmp_lt_u32_e32 vcc, 5, v0
	s_waitcnt vmcnt(62) lgkmcnt(5)
	v_mul_f32_e32 v111, v87, v157
	v_mul_f32_e32 v112, v89, v158
	s_waitcnt lgkmcnt(4)
	v_mul_f32_e32 v113, v91, v159
	v_mul_f32_e32 v114, v93, v160
	s_waitcnt lgkmcnt(3)
	v_mul_f32_e32 v115, v95, v161
	v_mul_f32_e32 v116, v97, v162
	s_waitcnt vmcnt(61) lgkmcnt(2)
	v_mul_f32_e32 v117, v99, v163
	s_waitcnt vmcnt(60)
	v_mul_f32_e32 v118, v101, v164
	s_waitcnt vmcnt(59) lgkmcnt(1)
	v_mul_f32_e32 v119, v103, v165
	s_waitcnt vmcnt(58)
	v_fmac_f32_e32 v111, v88, v166
	s_waitcnt vmcnt(57)
	v_fmac_f32_e32 v112, v90, v167
	v_add_f32_e32 v111, 0, v111
	s_waitcnt vmcnt(56)
	v_fmac_f32_e32 v113, v92, v168
	v_add_f32_e32 v111, v111, v112
	;; [unrolled: 3-line block ×7, first 2 shown]
	v_add_f32_e32 v111, v111, v118
	s_waitcnt vmcnt(50)
	v_fmac_f32_e32 v119, v104, v174
	s_waitcnt vmcnt(49)
	v_mul_f32_e32 v112, v105, v175
	v_add_f32_e32 v111, v111, v119
	s_waitcnt vmcnt(48)
	v_fmac_f32_e32 v112, v106, v176
	v_add_f32_e32 v111, v111, v112
	s_waitcnt vmcnt(47) lgkmcnt(0)
	v_mul_f32_e32 v112, v107, v177
	s_waitcnt vmcnt(44)
	v_fmac_f32_e32 v112, v108, v180
	v_add_f32_e32 v115, v111, v112
	ds_read2_b64 v[111:114], v86 offset0:61 offset1:62
	buffer_load_dword v225, off, s[0:3], 0 offset:324
	buffer_load_dword v226, off, s[0:3], 0 offset:320
	;; [unrolled: 1-line block ×4, first 2 shown]
	v_mul_f32_e32 v88, v88, v157
	v_fma_f32 v87, v87, v166, -v88
	v_mul_f32_e32 v88, v90, v158
	v_add_f32_e32 v87, 0, v87
	v_fma_f32 v88, v89, v167, -v88
	v_add_f32_e32 v87, v87, v88
	v_mul_f32_e32 v88, v92, v159
	v_fma_f32 v88, v91, v168, -v88
	s_waitcnt vmcnt(46)
	v_mul_f32_e32 v116, v109, v182
	v_add_f32_e32 v87, v87, v88
	v_mul_f32_e32 v88, v94, v160
	v_fmac_f32_e32 v116, v110, v181
	v_fma_f32 v88, v93, v169, -v88
	v_add_f32_e32 v119, v115, v116
	ds_read2_b64 v[115:118], v86 offset0:63 offset1:64
	v_add_f32_e32 v87, v87, v88
	v_mul_f32_e32 v88, v96, v161
	s_waitcnt vmcnt(44) lgkmcnt(1)
	v_mul_f32_e32 v120, v111, v184
	v_fma_f32 v88, v95, v170, -v88
	v_fmac_f32_e32 v120, v112, v183
	v_add_f32_e32 v87, v87, v88
	v_mul_f32_e32 v88, v98, v162
	v_add_f32_e32 v119, v119, v120
	s_waitcnt vmcnt(42)
	v_mul_f32_e32 v120, v113, v186
	v_fma_f32 v88, v97, v171, -v88
	v_fmac_f32_e32 v120, v114, v185
	v_add_f32_e32 v87, v87, v88
	v_mul_f32_e32 v88, v100, v163
	v_add_f32_e32 v119, v119, v120
	s_waitcnt vmcnt(40) lgkmcnt(0)
	v_mul_f32_e32 v120, v115, v188
	v_fma_f32 v88, v99, v172, -v88
	v_fmac_f32_e32 v120, v116, v187
	v_add_f32_e32 v87, v87, v88
	v_mul_f32_e32 v88, v102, v164
	v_add_f32_e32 v123, v119, v120
	ds_read2_b64 v[119:122], v86 offset0:65 offset1:66
	v_fma_f32 v88, v101, v173, -v88
	v_add_f32_e32 v87, v87, v88
	v_mul_f32_e32 v88, v104, v165
	s_waitcnt vmcnt(38)
	v_mul_f32_e32 v124, v117, v190
	v_fma_f32 v88, v103, v174, -v88
	v_fmac_f32_e32 v124, v118, v189
	v_add_f32_e32 v87, v87, v88
	v_mul_f32_e32 v88, v106, v175
	v_add_f32_e32 v127, v123, v124
	ds_read2_b64 v[123:126], v86 offset0:67 offset1:68
	v_fma_f32 v88, v105, v176, -v88
	s_waitcnt vmcnt(36) lgkmcnt(1)
	v_mul_f32_e32 v128, v119, v192
	v_add_f32_e32 v87, v87, v88
	v_mul_f32_e32 v88, v108, v177
	v_fmac_f32_e32 v128, v120, v191
	v_fma_f32 v88, v107, v180, -v88
	v_add_f32_e32 v127, v127, v128
	s_waitcnt vmcnt(34)
	v_mul_f32_e32 v128, v121, v194
	v_add_f32_e32 v87, v87, v88
	v_mul_f32_e32 v88, v110, v182
	v_fmac_f32_e32 v128, v122, v193
	v_fma_f32 v88, v109, v181, -v88
	v_add_f32_e32 v127, v127, v128
	s_waitcnt vmcnt(32) lgkmcnt(0)
	v_mul_f32_e32 v128, v123, v196
	v_add_f32_e32 v87, v87, v88
	v_mul_f32_e32 v88, v112, v184
	v_fmac_f32_e32 v128, v124, v195
	v_fma_f32 v88, v111, v183, -v88
	v_add_f32_e32 v131, v127, v128
	ds_read2_b64 v[127:130], v86 offset0:69 offset1:70
	v_add_f32_e32 v87, v87, v88
	v_mul_f32_e32 v88, v114, v186
	v_fma_f32 v88, v113, v185, -v88
	s_waitcnt vmcnt(30)
	v_mul_f32_e32 v132, v125, v198
	v_add_f32_e32 v87, v87, v88
	v_mul_f32_e32 v88, v116, v188
	v_fmac_f32_e32 v132, v126, v197
	v_fma_f32 v88, v115, v187, -v88
	v_add_f32_e32 v135, v131, v132
	ds_read2_b64 v[131:134], v86 offset0:71 offset1:72
	v_add_f32_e32 v87, v87, v88
	v_mul_f32_e32 v88, v118, v190
	s_waitcnt vmcnt(28) lgkmcnt(1)
	v_mul_f32_e32 v136, v127, v200
	v_fma_f32 v88, v117, v189, -v88
	v_fmac_f32_e32 v136, v128, v199
	v_add_f32_e32 v87, v87, v88
	v_mul_f32_e32 v88, v120, v192
	v_add_f32_e32 v135, v135, v136
	s_waitcnt vmcnt(26)
	v_mul_f32_e32 v136, v129, v202
	v_fma_f32 v88, v119, v191, -v88
	v_fmac_f32_e32 v136, v130, v201
	v_add_f32_e32 v87, v87, v88
	v_mul_f32_e32 v88, v122, v194
	v_add_f32_e32 v135, v135, v136
	s_waitcnt vmcnt(24) lgkmcnt(0)
	v_mul_f32_e32 v136, v131, v204
	v_fma_f32 v88, v121, v193, -v88
	v_fmac_f32_e32 v136, v132, v203
	v_add_f32_e32 v87, v87, v88
	v_mul_f32_e32 v88, v124, v196
	v_add_f32_e32 v139, v135, v136
	ds_read2_b64 v[135:138], v86 offset0:73 offset1:74
	v_fma_f32 v88, v123, v195, -v88
	v_add_f32_e32 v87, v87, v88
	v_mul_f32_e32 v88, v126, v198
	s_waitcnt vmcnt(22)
	v_mul_f32_e32 v140, v133, v206
	v_fma_f32 v88, v125, v197, -v88
	v_fmac_f32_e32 v140, v134, v205
	v_add_f32_e32 v87, v87, v88
	v_mul_f32_e32 v88, v128, v200
	v_add_f32_e32 v143, v139, v140
	ds_read2_b64 v[139:142], v86 offset0:75 offset1:76
	v_fma_f32 v88, v127, v199, -v88
	s_waitcnt vmcnt(20) lgkmcnt(1)
	v_mul_f32_e32 v144, v135, v208
	v_add_f32_e32 v87, v87, v88
	v_mul_f32_e32 v88, v130, v202
	v_fmac_f32_e32 v144, v136, v207
	v_fma_f32 v88, v129, v201, -v88
	v_add_f32_e32 v143, v143, v144
	s_waitcnt vmcnt(18)
	v_mul_f32_e32 v144, v137, v210
	v_add_f32_e32 v87, v87, v88
	v_mul_f32_e32 v88, v132, v204
	v_fmac_f32_e32 v144, v138, v209
	v_fma_f32 v88, v131, v203, -v88
	v_add_f32_e32 v143, v143, v144
	s_waitcnt vmcnt(16) lgkmcnt(0)
	v_mul_f32_e32 v144, v139, v212
	v_add_f32_e32 v87, v87, v88
	v_mul_f32_e32 v88, v134, v206
	v_fmac_f32_e32 v144, v140, v211
	v_fma_f32 v88, v133, v205, -v88
	v_add_f32_e32 v147, v143, v144
	ds_read2_b64 v[143:146], v86 offset0:77 offset1:78
	v_add_f32_e32 v87, v87, v88
	v_mul_f32_e32 v88, v136, v208
	v_fma_f32 v88, v135, v207, -v88
	s_waitcnt vmcnt(14)
	v_mul_f32_e32 v148, v141, v214
	v_add_f32_e32 v87, v87, v88
	v_mul_f32_e32 v88, v138, v210
	v_fmac_f32_e32 v148, v142, v213
	v_fma_f32 v88, v137, v209, -v88
	v_add_f32_e32 v151, v147, v148
	ds_read2_b64 v[147:150], v86 offset0:79 offset1:80
	v_add_f32_e32 v87, v87, v88
	v_mul_f32_e32 v88, v140, v212
	s_waitcnt vmcnt(12) lgkmcnt(1)
	v_mul_f32_e32 v152, v143, v216
	v_fma_f32 v88, v139, v211, -v88
	v_fmac_f32_e32 v152, v144, v215
	v_add_f32_e32 v87, v87, v88
	v_mul_f32_e32 v88, v142, v214
	v_add_f32_e32 v151, v151, v152
	s_waitcnt vmcnt(11)
	v_mul_f32_e32 v152, v145, v217
	v_fma_f32 v88, v141, v213, -v88
	s_waitcnt vmcnt(10)
	v_fmac_f32_e32 v152, v146, v218
	v_add_f32_e32 v87, v87, v88
	v_mul_f32_e32 v88, v144, v216
	v_add_f32_e32 v151, v151, v152
	s_waitcnt vmcnt(8) lgkmcnt(0)
	v_mul_f32_e32 v152, v147, v220
	v_fma_f32 v88, v143, v215, -v88
	v_fmac_f32_e32 v152, v148, v219
	v_add_f32_e32 v87, v87, v88
	v_mul_f32_e32 v88, v146, v217
	v_add_f32_e32 v155, v151, v152
	ds_read2_b64 v[151:154], v86 offset0:81 offset1:82
	v_fma_f32 v88, v145, v218, -v88
	v_add_f32_e32 v87, v87, v88
	v_mul_f32_e32 v88, v148, v220
	s_waitcnt vmcnt(6)
	v_mul_f32_e32 v156, v149, v222
	v_fma_f32 v88, v147, v219, -v88
	v_fmac_f32_e32 v156, v150, v221
	v_add_f32_e32 v87, v87, v88
	v_mul_f32_e32 v88, v150, v222
	v_add_f32_e32 v229, v155, v156
	ds_read_b64 v[155:156], v86 offset:664
	v_fma_f32 v88, v149, v221, -v88
	v_add_f32_e32 v87, v87, v88
	s_waitcnt vmcnt(4) lgkmcnt(1)
	v_mul_f32_e32 v88, v152, v224
	v_mul_f32_e32 v230, v151, v224
	v_fma_f32 v88, v151, v223, -v88
	v_fmac_f32_e32 v230, v152, v223
	v_add_f32_e32 v87, v87, v88
	s_waitcnt vmcnt(3)
	v_mul_f32_e32 v88, v154, v225
	v_add_f32_e32 v229, v229, v230
	v_mul_f32_e32 v230, v153, v225
	s_waitcnt vmcnt(2)
	v_fma_f32 v88, v153, v226, -v88
	v_fmac_f32_e32 v230, v154, v226
	v_add_f32_e32 v87, v87, v88
	s_waitcnt vmcnt(0) lgkmcnt(0)
	v_mul_f32_e32 v88, v156, v228
	v_add_f32_e32 v229, v229, v230
	v_mul_f32_e32 v230, v155, v228
	v_fma_f32 v88, v155, v227, -v88
	v_fmac_f32_e32 v230, v156, v227
	v_add_f32_e32 v87, v87, v88
	v_add_f32_e32 v229, v229, v230
	v_sub_f32_e32 v87, v178, v87
	v_sub_f32_e32 v88, v179, v229
	buffer_store_dword v87, off, s[0:3], 0 offset:48
	buffer_store_dword v88, off, s[0:3], 0 offset:52
	s_and_saveexec_b64 s[4:5], vcc
	s_cbranch_execz .LBB105_255
; %bb.254:
	buffer_load_dword v87, off, s[0:3], 0 offset:40
	buffer_load_dword v88, off, s[0:3], 0 offset:44
	s_waitcnt vmcnt(0)
	ds_write_b64 v85, v[87:88]
	buffer_store_dword v86, off, s[0:3], 0 offset:40
	buffer_store_dword v86, off, s[0:3], 0 offset:44
.LBB105_255:
	s_or_b64 exec, exec, s[4:5]
	s_waitcnt lgkmcnt(0)
	; wave barrier
	buffer_load_dword v159, off, s[0:3], 0 offset:52
	buffer_load_dword v160, off, s[0:3], 0 offset:60
	;; [unrolled: 1-line block ×26, first 2 shown]
	ds_read_b128 v[87:90], v86 offset:384
	ds_read_b128 v[91:94], v86 offset:400
	;; [unrolled: 1-line block ×6, first 2 shown]
	buffer_load_dword v185, off, s[0:3], 0 offset:144
	buffer_load_dword v186, off, s[0:3], 0 offset:148
	;; [unrolled: 1-line block ×42, first 2 shown]
	v_cmp_lt_u32_e32 vcc, 4, v0
	s_waitcnt vmcnt(62) lgkmcnt(5)
	v_mul_f32_e32 v111, v87, v159
	v_mul_f32_e32 v112, v89, v160
	s_waitcnt lgkmcnt(4)
	v_mul_f32_e32 v113, v91, v161
	v_mul_f32_e32 v114, v93, v162
	s_waitcnt lgkmcnt(3)
	v_mul_f32_e32 v115, v95, v163
	v_mul_f32_e32 v116, v97, v164
	s_waitcnt vmcnt(61) lgkmcnt(2)
	v_mul_f32_e32 v117, v99, v165
	s_waitcnt vmcnt(60)
	v_mul_f32_e32 v118, v101, v166
	s_waitcnt vmcnt(59) lgkmcnt(1)
	v_mul_f32_e32 v119, v103, v167
	s_waitcnt vmcnt(58)
	v_fmac_f32_e32 v111, v88, v168
	s_waitcnt vmcnt(57)
	v_fmac_f32_e32 v112, v90, v169
	v_add_f32_e32 v111, 0, v111
	s_waitcnt vmcnt(56)
	v_fmac_f32_e32 v113, v92, v170
	v_add_f32_e32 v111, v111, v112
	;; [unrolled: 3-line block ×8, first 2 shown]
	s_waitcnt vmcnt(49)
	v_mul_f32_e32 v112, v105, v177
	v_add_f32_e32 v111, v111, v119
	s_waitcnt vmcnt(48)
	v_fmac_f32_e32 v112, v106, v178
	v_add_f32_e32 v111, v111, v112
	s_waitcnt vmcnt(47) lgkmcnt(0)
	v_mul_f32_e32 v112, v107, v179
	s_waitcnt vmcnt(46)
	v_fmac_f32_e32 v112, v108, v180
	v_add_f32_e32 v111, v111, v112
	s_waitcnt vmcnt(42)
	v_mul_f32_e32 v112, v109, v184
	v_fmac_f32_e32 v112, v110, v183
	v_add_f32_e32 v119, v111, v112
	ds_read_b128 v[111:114], v86 offset:480
	buffer_load_dword v227, off, s[0:3], 0 offset:316
	buffer_load_dword v228, off, s[0:3], 0 offset:312
	;; [unrolled: 1-line block ×4, first 2 shown]
	ds_read_b128 v[115:118], v86 offset:496
	buffer_load_dword v231, off, s[0:3], 0 offset:328
	buffer_load_dword v232, off, s[0:3], 0 offset:332
	v_mul_f32_e32 v88, v88, v159
	v_fma_f32 v87, v87, v168, -v88
	v_mul_f32_e32 v88, v90, v160
	v_add_f32_e32 v87, 0, v87
	v_fma_f32 v88, v89, v169, -v88
	v_add_f32_e32 v87, v87, v88
	v_mul_f32_e32 v88, v92, v161
	v_fma_f32 v88, v91, v170, -v88
	v_add_f32_e32 v87, v87, v88
	v_mul_f32_e32 v88, v94, v162
	;; [unrolled: 3-line block ×3, first 2 shown]
	s_waitcnt vmcnt(46) lgkmcnt(1)
	v_mul_f32_e32 v120, v111, v186
	v_fma_f32 v88, v95, v172, -v88
	v_fmac_f32_e32 v120, v112, v185
	v_add_f32_e32 v87, v87, v88
	v_mul_f32_e32 v88, v98, v164
	v_add_f32_e32 v119, v119, v120
	s_waitcnt vmcnt(44)
	v_mul_f32_e32 v120, v113, v188
	v_fma_f32 v88, v97, v173, -v88
	v_fmac_f32_e32 v120, v114, v187
	v_add_f32_e32 v87, v87, v88
	v_mul_f32_e32 v88, v100, v165
	v_add_f32_e32 v119, v119, v120
	s_waitcnt vmcnt(42) lgkmcnt(0)
	v_mul_f32_e32 v120, v115, v190
	v_fma_f32 v88, v99, v174, -v88
	v_fmac_f32_e32 v120, v116, v189
	v_add_f32_e32 v87, v87, v88
	v_mul_f32_e32 v88, v102, v166
	v_add_f32_e32 v123, v119, v120
	ds_read_b128 v[119:122], v86 offset:512
	v_fma_f32 v88, v101, v175, -v88
	v_add_f32_e32 v87, v87, v88
	v_mul_f32_e32 v88, v104, v167
	s_waitcnt vmcnt(40)
	v_mul_f32_e32 v124, v117, v192
	v_fma_f32 v88, v103, v176, -v88
	v_fmac_f32_e32 v124, v118, v191
	v_add_f32_e32 v87, v87, v88
	v_mul_f32_e32 v88, v106, v177
	v_add_f32_e32 v127, v123, v124
	ds_read_b128 v[123:126], v86 offset:528
	v_fma_f32 v88, v105, v178, -v88
	s_waitcnt vmcnt(38) lgkmcnt(1)
	v_mul_f32_e32 v128, v119, v194
	v_add_f32_e32 v87, v87, v88
	v_mul_f32_e32 v88, v108, v179
	v_fmac_f32_e32 v128, v120, v193
	v_fma_f32 v88, v107, v180, -v88
	v_add_f32_e32 v127, v127, v128
	s_waitcnt vmcnt(36)
	v_mul_f32_e32 v128, v121, v196
	v_add_f32_e32 v87, v87, v88
	v_mul_f32_e32 v88, v110, v184
	v_fmac_f32_e32 v128, v122, v195
	v_fma_f32 v88, v109, v183, -v88
	v_add_f32_e32 v127, v127, v128
	s_waitcnt vmcnt(34) lgkmcnt(0)
	v_mul_f32_e32 v128, v123, v198
	v_add_f32_e32 v87, v87, v88
	v_mul_f32_e32 v88, v112, v186
	v_fmac_f32_e32 v128, v124, v197
	v_fma_f32 v88, v111, v185, -v88
	v_add_f32_e32 v131, v127, v128
	ds_read_b128 v[127:130], v86 offset:544
	v_add_f32_e32 v87, v87, v88
	v_mul_f32_e32 v88, v114, v188
	v_fma_f32 v88, v113, v187, -v88
	s_waitcnt vmcnt(32)
	v_mul_f32_e32 v132, v125, v200
	v_add_f32_e32 v87, v87, v88
	v_mul_f32_e32 v88, v116, v190
	v_fmac_f32_e32 v132, v126, v199
	v_fma_f32 v88, v115, v189, -v88
	v_add_f32_e32 v135, v131, v132
	ds_read_b128 v[131:134], v86 offset:560
	v_add_f32_e32 v87, v87, v88
	v_mul_f32_e32 v88, v118, v192
	s_waitcnt vmcnt(30) lgkmcnt(1)
	v_mul_f32_e32 v136, v127, v202
	v_fma_f32 v88, v117, v191, -v88
	v_fmac_f32_e32 v136, v128, v201
	v_add_f32_e32 v87, v87, v88
	v_mul_f32_e32 v88, v120, v194
	v_add_f32_e32 v135, v135, v136
	s_waitcnt vmcnt(28)
	v_mul_f32_e32 v136, v129, v204
	v_fma_f32 v88, v119, v193, -v88
	v_fmac_f32_e32 v136, v130, v203
	v_add_f32_e32 v87, v87, v88
	v_mul_f32_e32 v88, v122, v196
	v_add_f32_e32 v135, v135, v136
	s_waitcnt vmcnt(26) lgkmcnt(0)
	v_mul_f32_e32 v136, v131, v206
	v_fma_f32 v88, v121, v195, -v88
	v_fmac_f32_e32 v136, v132, v205
	v_add_f32_e32 v87, v87, v88
	v_mul_f32_e32 v88, v124, v198
	v_add_f32_e32 v139, v135, v136
	ds_read_b128 v[135:138], v86 offset:576
	v_fma_f32 v88, v123, v197, -v88
	v_add_f32_e32 v87, v87, v88
	v_mul_f32_e32 v88, v126, v200
	s_waitcnt vmcnt(24)
	v_mul_f32_e32 v140, v133, v208
	v_fma_f32 v88, v125, v199, -v88
	v_fmac_f32_e32 v140, v134, v207
	v_add_f32_e32 v87, v87, v88
	v_mul_f32_e32 v88, v128, v202
	v_add_f32_e32 v143, v139, v140
	ds_read_b128 v[139:142], v86 offset:592
	v_fma_f32 v88, v127, v201, -v88
	s_waitcnt vmcnt(22) lgkmcnt(1)
	v_mul_f32_e32 v144, v135, v210
	v_add_f32_e32 v87, v87, v88
	v_mul_f32_e32 v88, v130, v204
	v_fmac_f32_e32 v144, v136, v209
	v_fma_f32 v88, v129, v203, -v88
	v_add_f32_e32 v143, v143, v144
	s_waitcnt vmcnt(20)
	v_mul_f32_e32 v144, v137, v212
	v_add_f32_e32 v87, v87, v88
	v_mul_f32_e32 v88, v132, v206
	v_fmac_f32_e32 v144, v138, v211
	v_fma_f32 v88, v131, v205, -v88
	v_add_f32_e32 v143, v143, v144
	s_waitcnt vmcnt(18) lgkmcnt(0)
	v_mul_f32_e32 v144, v139, v214
	v_add_f32_e32 v87, v87, v88
	v_mul_f32_e32 v88, v134, v208
	v_fmac_f32_e32 v144, v140, v213
	v_fma_f32 v88, v133, v207, -v88
	v_add_f32_e32 v147, v143, v144
	ds_read_b128 v[143:146], v86 offset:608
	v_add_f32_e32 v87, v87, v88
	v_mul_f32_e32 v88, v136, v210
	v_fma_f32 v88, v135, v209, -v88
	s_waitcnt vmcnt(16)
	v_mul_f32_e32 v148, v141, v216
	v_add_f32_e32 v87, v87, v88
	v_mul_f32_e32 v88, v138, v212
	v_fmac_f32_e32 v148, v142, v215
	v_fma_f32 v88, v137, v211, -v88
	v_add_f32_e32 v151, v147, v148
	ds_read_b128 v[147:150], v86 offset:624
	v_add_f32_e32 v87, v87, v88
	v_mul_f32_e32 v88, v140, v214
	s_waitcnt vmcnt(14) lgkmcnt(1)
	v_mul_f32_e32 v152, v143, v218
	v_fma_f32 v88, v139, v213, -v88
	v_fmac_f32_e32 v152, v144, v217
	v_add_f32_e32 v87, v87, v88
	v_mul_f32_e32 v88, v142, v216
	v_add_f32_e32 v151, v151, v152
	s_waitcnt vmcnt(13)
	v_mul_f32_e32 v152, v145, v219
	v_fma_f32 v88, v141, v215, -v88
	s_waitcnt vmcnt(12)
	v_fmac_f32_e32 v152, v146, v220
	v_add_f32_e32 v87, v87, v88
	v_mul_f32_e32 v88, v144, v218
	v_add_f32_e32 v151, v151, v152
	s_waitcnt vmcnt(10) lgkmcnt(0)
	v_mul_f32_e32 v152, v147, v222
	v_fma_f32 v88, v143, v217, -v88
	v_fmac_f32_e32 v152, v148, v221
	v_add_f32_e32 v87, v87, v88
	v_mul_f32_e32 v88, v146, v219
	v_add_f32_e32 v155, v151, v152
	ds_read_b128 v[151:154], v86 offset:640
	v_fma_f32 v88, v145, v220, -v88
	v_add_f32_e32 v87, v87, v88
	v_mul_f32_e32 v88, v148, v222
	s_waitcnt vmcnt(8)
	v_mul_f32_e32 v156, v149, v224
	v_fma_f32 v88, v147, v221, -v88
	v_fmac_f32_e32 v156, v150, v223
	v_add_f32_e32 v87, v87, v88
	v_mul_f32_e32 v88, v150, v224
	v_add_f32_e32 v233, v155, v156
	ds_read_b128 v[155:158], v86 offset:656
	v_fma_f32 v88, v149, v223, -v88
	v_add_f32_e32 v87, v87, v88
	s_waitcnt vmcnt(6) lgkmcnt(1)
	v_mul_f32_e32 v88, v152, v226
	v_mul_f32_e32 v86, v151, v226
	v_fma_f32 v88, v151, v225, -v88
	v_fmac_f32_e32 v86, v152, v225
	v_add_f32_e32 v87, v87, v88
	s_waitcnt vmcnt(5)
	v_mul_f32_e32 v88, v154, v227
	v_add_f32_e32 v86, v233, v86
	v_mul_f32_e32 v233, v153, v227
	s_waitcnt vmcnt(4)
	v_fma_f32 v88, v153, v228, -v88
	v_fmac_f32_e32 v233, v154, v228
	v_add_f32_e32 v87, v87, v88
	s_waitcnt vmcnt(2) lgkmcnt(0)
	v_mul_f32_e32 v88, v156, v230
	v_add_f32_e32 v86, v86, v233
	v_mul_f32_e32 v233, v155, v230
	v_fma_f32 v88, v155, v229, -v88
	v_fmac_f32_e32 v233, v156, v229
	v_add_f32_e32 v87, v87, v88
	s_waitcnt vmcnt(0)
	v_mul_f32_e32 v88, v158, v232
	v_add_f32_e32 v86, v86, v233
	v_mul_f32_e32 v233, v157, v232
	v_fma_f32 v88, v157, v231, -v88
	v_fmac_f32_e32 v233, v158, v231
	v_add_f32_e32 v87, v87, v88
	v_add_f32_e32 v86, v86, v233
	v_sub_f32_e32 v87, v181, v87
	v_sub_f32_e32 v86, v182, v86
	buffer_store_dword v87, off, s[0:3], 0 offset:40
	buffer_store_dword v86, off, s[0:3], 0 offset:44
	s_and_saveexec_b64 s[4:5], vcc
	s_cbranch_execz .LBB105_257
; %bb.256:
	buffer_load_dword v86, off, s[0:3], 0 offset:32
	buffer_load_dword v87, off, s[0:3], 0 offset:36
	v_mov_b32_e32 v88, 0
	buffer_store_dword v88, off, s[0:3], 0 offset:32
	buffer_store_dword v88, off, s[0:3], 0 offset:36
	s_waitcnt vmcnt(2)
	ds_write_b64 v85, v[86:87]
.LBB105_257:
	s_or_b64 exec, exec, s[4:5]
	s_waitcnt lgkmcnt(0)
	; wave barrier
	buffer_load_dword v161, off, s[0:3], 0 offset:44
	buffer_load_dword v162, off, s[0:3], 0 offset:52
	buffer_load_dword v163, off, s[0:3], 0 offset:60
	buffer_load_dword v164, off, s[0:3], 0 offset:68
	buffer_load_dword v165, off, s[0:3], 0 offset:76
	buffer_load_dword v166, off, s[0:3], 0 offset:84
	buffer_load_dword v167, off, s[0:3], 0 offset:92
	buffer_load_dword v168, off, s[0:3], 0 offset:100
	buffer_load_dword v169, off, s[0:3], 0 offset:108
	buffer_load_dword v170, off, s[0:3], 0 offset:40
	buffer_load_dword v171, off, s[0:3], 0 offset:48
	buffer_load_dword v172, off, s[0:3], 0 offset:56
	buffer_load_dword v173, off, s[0:3], 0 offset:64
	buffer_load_dword v174, off, s[0:3], 0 offset:72
	buffer_load_dword v175, off, s[0:3], 0 offset:80
	buffer_load_dword v176, off, s[0:3], 0 offset:88
	buffer_load_dword v177, off, s[0:3], 0 offset:96
	buffer_load_dword v178, off, s[0:3], 0 offset:104
	buffer_load_dword v179, off, s[0:3], 0 offset:116
	buffer_load_dword v180, off, s[0:3], 0 offset:112
	buffer_load_dword v181, off, s[0:3], 0 offset:124
	buffer_load_dword v182, off, s[0:3], 0 offset:120
	buffer_load_dword v183, off, s[0:3], 0 offset:32
	buffer_load_dword v184, off, s[0:3], 0 offset:36
	buffer_load_dword v185, off, s[0:3], 0 offset:132
	buffer_load_dword v186, off, s[0:3], 0 offset:128
	buffer_load_dword v187, off, s[0:3], 0 offset:136
	buffer_load_dword v188, off, s[0:3], 0 offset:140
	buffer_load_dword v189, off, s[0:3], 0 offset:144
	buffer_load_dword v190, off, s[0:3], 0 offset:148
	buffer_load_dword v191, off, s[0:3], 0 offset:152
	buffer_load_dword v192, off, s[0:3], 0 offset:156
	buffer_load_dword v193, off, s[0:3], 0 offset:160
	buffer_load_dword v194, off, s[0:3], 0 offset:164
	buffer_load_dword v195, off, s[0:3], 0 offset:168
	buffer_load_dword v196, off, s[0:3], 0 offset:172
	buffer_load_dword v197, off, s[0:3], 0 offset:176
	buffer_load_dword v198, off, s[0:3], 0 offset:180
	buffer_load_dword v199, off, s[0:3], 0 offset:184
	buffer_load_dword v200, off, s[0:3], 0 offset:188
	buffer_load_dword v201, off, s[0:3], 0 offset:192
	buffer_load_dword v202, off, s[0:3], 0 offset:196
	buffer_load_dword v203, off, s[0:3], 0 offset:200
	buffer_load_dword v204, off, s[0:3], 0 offset:204
	buffer_load_dword v205, off, s[0:3], 0 offset:208
	buffer_load_dword v206, off, s[0:3], 0 offset:212
	buffer_load_dword v207, off, s[0:3], 0 offset:216
	buffer_load_dword v208, off, s[0:3], 0 offset:220
	buffer_load_dword v209, off, s[0:3], 0 offset:224
	buffer_load_dword v210, off, s[0:3], 0 offset:228
	buffer_load_dword v211, off, s[0:3], 0 offset:232
	buffer_load_dword v212, off, s[0:3], 0 offset:236
	v_mov_b32_e32 v86, 0
	ds_read2_b64 v[87:90], v86 offset0:47 offset1:48
	ds_read2_b64 v[91:94], v86 offset0:49 offset1:50
	;; [unrolled: 1-line block ×6, first 2 shown]
	buffer_load_dword v213, off, s[0:3], 0 offset:244
	buffer_load_dword v214, off, s[0:3], 0 offset:240
	;; [unrolled: 1-line block ×14, first 2 shown]
	v_cmp_lt_u32_e32 vcc, 3, v0
	s_waitcnt vmcnt(62) lgkmcnt(5)
	v_mul_f32_e32 v111, v87, v161
	v_mul_f32_e32 v112, v89, v162
	s_waitcnt lgkmcnt(4)
	v_mul_f32_e32 v113, v91, v163
	v_mul_f32_e32 v114, v93, v164
	s_waitcnt vmcnt(61) lgkmcnt(3)
	v_mul_f32_e32 v115, v95, v165
	s_waitcnt vmcnt(60)
	v_mul_f32_e32 v116, v97, v166
	s_waitcnt vmcnt(59) lgkmcnt(2)
	v_mul_f32_e32 v117, v99, v167
	s_waitcnt vmcnt(58)
	v_mul_f32_e32 v118, v101, v168
	s_waitcnt vmcnt(57) lgkmcnt(1)
	v_mul_f32_e32 v119, v103, v169
	s_waitcnt vmcnt(56)
	v_fmac_f32_e32 v111, v88, v170
	s_waitcnt vmcnt(55)
	v_fmac_f32_e32 v112, v90, v171
	v_add_f32_e32 v111, 0, v111
	s_waitcnt vmcnt(54)
	v_fmac_f32_e32 v113, v92, v172
	v_add_f32_e32 v111, v111, v112
	;; [unrolled: 3-line block ×8, first 2 shown]
	s_waitcnt vmcnt(47)
	v_mul_f32_e32 v112, v105, v179
	v_add_f32_e32 v111, v111, v119
	s_waitcnt vmcnt(46)
	v_fmac_f32_e32 v112, v106, v180
	v_add_f32_e32 v111, v111, v112
	s_waitcnt vmcnt(45) lgkmcnt(0)
	v_mul_f32_e32 v112, v107, v181
	s_waitcnt vmcnt(44)
	v_fmac_f32_e32 v112, v108, v182
	v_add_f32_e32 v115, v111, v112
	ds_read2_b64 v[111:114], v86 offset0:59 offset1:60
	buffer_load_dword v227, off, s[0:3], 0 offset:296
	buffer_load_dword v228, off, s[0:3], 0 offset:300
	s_waitcnt vmcnt(43)
	v_mul_f32_e32 v116, v109, v185
	s_waitcnt vmcnt(42)
	v_fmac_f32_e32 v116, v110, v186
	v_add_f32_e32 v119, v115, v116
	ds_read2_b64 v[115:118], v86 offset0:61 offset1:62
	buffer_load_dword v229, off, s[0:3], 0 offset:308
	buffer_load_dword v230, off, s[0:3], 0 offset:304
	;; [unrolled: 1-line block ×8, first 2 shown]
	v_mul_f32_e32 v88, v88, v161
	v_fma_f32 v87, v87, v170, -v88
	v_mul_f32_e32 v88, v90, v162
	v_add_f32_e32 v87, 0, v87
	v_fma_f32 v88, v89, v171, -v88
	v_add_f32_e32 v87, v87, v88
	v_mul_f32_e32 v88, v92, v163
	v_fma_f32 v88, v91, v172, -v88
	v_add_f32_e32 v87, v87, v88
	v_mul_f32_e32 v88, v94, v164
	v_fma_f32 v88, v93, v173, -v88
	s_waitcnt vmcnt(48) lgkmcnt(1)
	v_mul_f32_e32 v120, v111, v188
	v_add_f32_e32 v87, v87, v88
	v_mul_f32_e32 v88, v96, v165
	v_fmac_f32_e32 v120, v112, v187
	v_fma_f32 v88, v95, v174, -v88
	v_add_f32_e32 v119, v119, v120
	s_waitcnt vmcnt(46)
	v_mul_f32_e32 v120, v113, v190
	v_add_f32_e32 v87, v87, v88
	v_mul_f32_e32 v88, v98, v166
	v_fmac_f32_e32 v120, v114, v189
	v_fma_f32 v88, v97, v175, -v88
	v_add_f32_e32 v119, v119, v120
	s_waitcnt vmcnt(44) lgkmcnt(0)
	v_mul_f32_e32 v120, v115, v192
	v_add_f32_e32 v87, v87, v88
	v_mul_f32_e32 v88, v100, v167
	v_fmac_f32_e32 v120, v116, v191
	v_fma_f32 v88, v99, v176, -v88
	v_add_f32_e32 v123, v119, v120
	ds_read2_b64 v[119:122], v86 offset0:63 offset1:64
	v_add_f32_e32 v87, v87, v88
	v_mul_f32_e32 v88, v102, v168
	v_fma_f32 v88, v101, v177, -v88
	s_waitcnt vmcnt(42)
	v_mul_f32_e32 v124, v117, v194
	v_add_f32_e32 v87, v87, v88
	v_mul_f32_e32 v88, v104, v169
	v_fmac_f32_e32 v124, v118, v193
	v_fma_f32 v88, v103, v178, -v88
	v_add_f32_e32 v127, v123, v124
	ds_read2_b64 v[123:126], v86 offset0:65 offset1:66
	v_add_f32_e32 v87, v87, v88
	v_mul_f32_e32 v88, v106, v179
	s_waitcnt vmcnt(40) lgkmcnt(1)
	v_mul_f32_e32 v128, v119, v196
	v_fma_f32 v88, v105, v180, -v88
	v_fmac_f32_e32 v128, v120, v195
	v_add_f32_e32 v87, v87, v88
	v_mul_f32_e32 v88, v108, v181
	v_add_f32_e32 v127, v127, v128
	s_waitcnt vmcnt(38)
	v_mul_f32_e32 v128, v121, v198
	v_fma_f32 v88, v107, v182, -v88
	v_fmac_f32_e32 v128, v122, v197
	v_add_f32_e32 v87, v87, v88
	v_mul_f32_e32 v88, v110, v185
	v_add_f32_e32 v127, v127, v128
	s_waitcnt vmcnt(36) lgkmcnt(0)
	v_mul_f32_e32 v128, v123, v200
	v_fma_f32 v88, v109, v186, -v88
	v_fmac_f32_e32 v128, v124, v199
	v_add_f32_e32 v87, v87, v88
	v_mul_f32_e32 v88, v112, v188
	v_add_f32_e32 v131, v127, v128
	ds_read2_b64 v[127:130], v86 offset0:67 offset1:68
	v_fma_f32 v88, v111, v187, -v88
	v_add_f32_e32 v87, v87, v88
	v_mul_f32_e32 v88, v114, v190
	s_waitcnt vmcnt(34)
	v_mul_f32_e32 v132, v125, v202
	v_fma_f32 v88, v113, v189, -v88
	v_fmac_f32_e32 v132, v126, v201
	v_add_f32_e32 v87, v87, v88
	v_mul_f32_e32 v88, v116, v192
	v_add_f32_e32 v135, v131, v132
	ds_read2_b64 v[131:134], v86 offset0:69 offset1:70
	v_fma_f32 v88, v115, v191, -v88
	s_waitcnt vmcnt(32) lgkmcnt(1)
	v_mul_f32_e32 v136, v127, v204
	v_add_f32_e32 v87, v87, v88
	v_mul_f32_e32 v88, v118, v194
	v_fmac_f32_e32 v136, v128, v203
	v_fma_f32 v88, v117, v193, -v88
	v_add_f32_e32 v135, v135, v136
	s_waitcnt vmcnt(30)
	v_mul_f32_e32 v136, v129, v206
	v_add_f32_e32 v87, v87, v88
	v_mul_f32_e32 v88, v120, v196
	v_fmac_f32_e32 v136, v130, v205
	v_fma_f32 v88, v119, v195, -v88
	v_add_f32_e32 v135, v135, v136
	s_waitcnt vmcnt(28) lgkmcnt(0)
	v_mul_f32_e32 v136, v131, v208
	v_add_f32_e32 v87, v87, v88
	v_mul_f32_e32 v88, v122, v198
	v_fmac_f32_e32 v136, v132, v207
	v_fma_f32 v88, v121, v197, -v88
	v_add_f32_e32 v139, v135, v136
	ds_read2_b64 v[135:138], v86 offset0:71 offset1:72
	v_add_f32_e32 v87, v87, v88
	v_mul_f32_e32 v88, v124, v200
	v_fma_f32 v88, v123, v199, -v88
	s_waitcnt vmcnt(26)
	v_mul_f32_e32 v140, v133, v210
	v_add_f32_e32 v87, v87, v88
	v_mul_f32_e32 v88, v126, v202
	v_fmac_f32_e32 v140, v134, v209
	v_fma_f32 v88, v125, v201, -v88
	v_add_f32_e32 v143, v139, v140
	ds_read2_b64 v[139:142], v86 offset0:73 offset1:74
	v_add_f32_e32 v87, v87, v88
	v_mul_f32_e32 v88, v128, v204
	s_waitcnt vmcnt(24) lgkmcnt(1)
	v_mul_f32_e32 v144, v135, v212
	v_fma_f32 v88, v127, v203, -v88
	v_fmac_f32_e32 v144, v136, v211
	v_add_f32_e32 v87, v87, v88
	v_mul_f32_e32 v88, v130, v206
	v_add_f32_e32 v143, v143, v144
	s_waitcnt vmcnt(23)
	v_mul_f32_e32 v144, v137, v213
	v_fma_f32 v88, v129, v205, -v88
	s_waitcnt vmcnt(22)
	v_fmac_f32_e32 v144, v138, v214
	v_add_f32_e32 v87, v87, v88
	v_mul_f32_e32 v88, v132, v208
	v_add_f32_e32 v143, v143, v144
	s_waitcnt vmcnt(20) lgkmcnt(0)
	v_mul_f32_e32 v144, v139, v216
	v_fma_f32 v88, v131, v207, -v88
	v_fmac_f32_e32 v144, v140, v215
	v_add_f32_e32 v87, v87, v88
	v_mul_f32_e32 v88, v134, v210
	v_add_f32_e32 v147, v143, v144
	ds_read2_b64 v[143:146], v86 offset0:75 offset1:76
	v_fma_f32 v88, v133, v209, -v88
	v_add_f32_e32 v87, v87, v88
	v_mul_f32_e32 v88, v136, v212
	s_waitcnt vmcnt(18)
	v_mul_f32_e32 v148, v141, v218
	v_fma_f32 v88, v135, v211, -v88
	v_fmac_f32_e32 v148, v142, v217
	v_add_f32_e32 v87, v87, v88
	v_mul_f32_e32 v88, v138, v213
	v_add_f32_e32 v151, v147, v148
	ds_read2_b64 v[147:150], v86 offset0:77 offset1:78
	v_fma_f32 v88, v137, v214, -v88
	s_waitcnt vmcnt(16) lgkmcnt(1)
	v_mul_f32_e32 v152, v143, v220
	v_add_f32_e32 v87, v87, v88
	v_mul_f32_e32 v88, v140, v216
	v_fmac_f32_e32 v152, v144, v219
	v_fma_f32 v88, v139, v215, -v88
	v_add_f32_e32 v151, v151, v152
	s_waitcnt vmcnt(15)
	v_mul_f32_e32 v152, v145, v221
	v_add_f32_e32 v87, v87, v88
	v_mul_f32_e32 v88, v142, v218
	s_waitcnt vmcnt(14)
	v_fmac_f32_e32 v152, v146, v222
	v_fma_f32 v88, v141, v217, -v88
	v_add_f32_e32 v151, v151, v152
	s_waitcnt vmcnt(12) lgkmcnt(0)
	v_mul_f32_e32 v152, v147, v224
	v_add_f32_e32 v87, v87, v88
	v_mul_f32_e32 v88, v144, v220
	v_fmac_f32_e32 v152, v148, v223
	v_fma_f32 v88, v143, v219, -v88
	v_add_f32_e32 v155, v151, v152
	ds_read2_b64 v[151:154], v86 offset0:79 offset1:80
	v_add_f32_e32 v87, v87, v88
	v_mul_f32_e32 v88, v146, v221
	v_fma_f32 v88, v145, v222, -v88
	v_add_f32_e32 v87, v87, v88
	v_mul_f32_e32 v88, v148, v224
	s_waitcnt vmcnt(10)
	v_mul_f32_e32 v156, v149, v226
	v_fma_f32 v88, v147, v223, -v88
	v_fmac_f32_e32 v156, v150, v225
	v_add_f32_e32 v87, v87, v88
	v_mul_f32_e32 v88, v150, v226
	v_add_f32_e32 v159, v155, v156
	ds_read2_b64 v[155:158], v86 offset0:81 offset1:82
	s_waitcnt vmcnt(8) lgkmcnt(1)
	v_mul_f32_e32 v160, v151, v228
	v_fma_f32 v88, v149, v225, -v88
	v_fmac_f32_e32 v160, v152, v227
	v_add_f32_e32 v87, v87, v88
	v_mul_f32_e32 v88, v152, v228
	v_add_f32_e32 v159, v159, v160
	s_waitcnt vmcnt(7)
	v_mul_f32_e32 v160, v153, v229
	v_fma_f32 v88, v151, v227, -v88
	s_waitcnt vmcnt(6)
	v_fmac_f32_e32 v160, v154, v230
	v_add_f32_e32 v87, v87, v88
	v_mul_f32_e32 v88, v154, v229
	v_add_f32_e32 v237, v159, v160
	ds_read_b64 v[159:160], v86 offset:664
	v_fma_f32 v88, v153, v230, -v88
	v_add_f32_e32 v87, v87, v88
	s_waitcnt vmcnt(4) lgkmcnt(1)
	v_mul_f32_e32 v88, v156, v232
	v_mul_f32_e32 v238, v155, v232
	v_fma_f32 v88, v155, v231, -v88
	v_fmac_f32_e32 v238, v156, v231
	v_add_f32_e32 v87, v87, v88
	s_waitcnt vmcnt(3)
	v_mul_f32_e32 v88, v158, v233
	v_add_f32_e32 v237, v237, v238
	v_mul_f32_e32 v238, v157, v233
	s_waitcnt vmcnt(2)
	v_fma_f32 v88, v157, v234, -v88
	v_fmac_f32_e32 v238, v158, v234
	v_add_f32_e32 v87, v87, v88
	s_waitcnt vmcnt(0) lgkmcnt(0)
	v_mul_f32_e32 v88, v160, v236
	v_add_f32_e32 v237, v237, v238
	v_mul_f32_e32 v238, v159, v236
	v_fma_f32 v88, v159, v235, -v88
	v_fmac_f32_e32 v238, v160, v235
	v_add_f32_e32 v87, v87, v88
	v_add_f32_e32 v237, v237, v238
	v_sub_f32_e32 v87, v183, v87
	v_sub_f32_e32 v88, v184, v237
	buffer_store_dword v87, off, s[0:3], 0 offset:32
	buffer_store_dword v88, off, s[0:3], 0 offset:36
	s_and_saveexec_b64 s[4:5], vcc
	s_cbranch_execz .LBB105_259
; %bb.258:
	buffer_load_dword v87, off, s[0:3], 0 offset:24
	buffer_load_dword v88, off, s[0:3], 0 offset:28
	s_waitcnt vmcnt(0)
	ds_write_b64 v85, v[87:88]
	buffer_store_dword v86, off, s[0:3], 0 offset:24
	buffer_store_dword v86, off, s[0:3], 0 offset:28
.LBB105_259:
	s_or_b64 exec, exec, s[4:5]
	s_waitcnt lgkmcnt(0)
	; wave barrier
	buffer_load_dword v163, off, s[0:3], 0 offset:36
	buffer_load_dword v164, off, s[0:3], 0 offset:44
	;; [unrolled: 1-line block ×26, first 2 shown]
	ds_read_b128 v[87:90], v86 offset:368
	ds_read_b128 v[91:94], v86 offset:384
	;; [unrolled: 1-line block ×4, first 2 shown]
	buffer_load_dword v189, off, s[0:3], 0 offset:132
	ds_read_b128 v[103:106], v86 offset:432
	ds_read_b128 v[107:110], v86 offset:448
	buffer_load_dword v190, off, s[0:3], 0 offset:128
	buffer_load_dword v191, off, s[0:3], 0 offset:136
	;; [unrolled: 1-line block ×37, first 2 shown]
	v_cmp_lt_u32_e32 vcc, 2, v0
	s_waitcnt vmcnt(62) lgkmcnt(5)
	v_mul_f32_e32 v111, v87, v163
	v_mul_f32_e32 v112, v89, v164
	s_waitcnt vmcnt(61) lgkmcnt(4)
	v_mul_f32_e32 v113, v91, v165
	s_waitcnt vmcnt(60)
	v_mul_f32_e32 v114, v93, v166
	s_waitcnt vmcnt(59) lgkmcnt(3)
	v_mul_f32_e32 v115, v95, v167
	s_waitcnt vmcnt(58)
	v_mul_f32_e32 v116, v97, v168
	s_waitcnt vmcnt(57) lgkmcnt(2)
	v_mul_f32_e32 v117, v99, v169
	s_waitcnt vmcnt(56)
	v_mul_f32_e32 v118, v101, v170
	s_waitcnt vmcnt(55) lgkmcnt(1)
	v_mul_f32_e32 v119, v103, v171
	s_waitcnt vmcnt(54)
	v_mul_f32_e32 v120, v105, v172
	s_waitcnt vmcnt(53)
	v_fmac_f32_e32 v111, v88, v173
	s_waitcnt vmcnt(52)
	v_fmac_f32_e32 v112, v90, v174
	v_add_f32_e32 v111, 0, v111
	s_waitcnt vmcnt(51)
	v_fmac_f32_e32 v113, v92, v175
	v_add_f32_e32 v111, v111, v112
	s_waitcnt vmcnt(50)
	v_fmac_f32_e32 v114, v94, v176
	v_add_f32_e32 v111, v111, v113
	s_waitcnt vmcnt(49)
	v_fmac_f32_e32 v115, v96, v177
	v_add_f32_e32 v111, v111, v114
	s_waitcnt vmcnt(48)
	v_fmac_f32_e32 v116, v98, v178
	v_add_f32_e32 v111, v111, v115
	s_waitcnt vmcnt(47)
	v_fmac_f32_e32 v117, v100, v179
	v_add_f32_e32 v111, v111, v116
	s_waitcnt vmcnt(46)
	v_fmac_f32_e32 v118, v102, v180
	v_add_f32_e32 v111, v111, v117
	s_waitcnt vmcnt(45)
	v_fmac_f32_e32 v119, v104, v181
	v_add_f32_e32 v111, v111, v118
	s_waitcnt vmcnt(44)
	v_fmac_f32_e32 v120, v106, v182
	v_add_f32_e32 v111, v111, v119
	s_waitcnt vmcnt(43) lgkmcnt(0)
	v_mul_f32_e32 v112, v107, v183
	v_add_f32_e32 v111, v111, v120
	s_waitcnt vmcnt(42)
	v_fmac_f32_e32 v112, v108, v184
	v_add_f32_e32 v115, v111, v112
	s_waitcnt vmcnt(41)
	v_mul_f32_e32 v116, v109, v185
	ds_read_b128 v[111:114], v86 offset:464
	buffer_load_dword v227, off, s[0:3], 0 offset:280
	buffer_load_dword v228, off, s[0:3], 0 offset:284
	s_waitcnt vmcnt(42)
	v_fmac_f32_e32 v116, v110, v186
	v_add_f32_e32 v119, v115, v116
	ds_read_b128 v[115:118], v86 offset:480
	buffer_load_dword v229, off, s[0:3], 0 offset:288
	buffer_load_dword v230, off, s[0:3], 0 offset:292
	;; [unrolled: 1-line block ×12, first 2 shown]
	v_mul_f32_e32 v88, v88, v163
	v_fma_f32 v87, v87, v173, -v88
	v_mul_f32_e32 v88, v90, v164
	v_add_f32_e32 v87, 0, v87
	v_fma_f32 v88, v89, v174, -v88
	v_add_f32_e32 v87, v87, v88
	v_mul_f32_e32 v88, v92, v165
	v_fma_f32 v88, v91, v175, -v88
	v_add_f32_e32 v87, v87, v88
	v_mul_f32_e32 v88, v94, v166
	v_fma_f32 v88, v93, v176, -v88
	s_waitcnt vmcnt(51) lgkmcnt(1)
	v_mul_f32_e32 v120, v111, v189
	v_add_f32_e32 v87, v87, v88
	v_mul_f32_e32 v88, v96, v167
	s_waitcnt vmcnt(50)
	v_fmac_f32_e32 v120, v112, v190
	v_fma_f32 v88, v95, v177, -v88
	v_add_f32_e32 v119, v119, v120
	s_waitcnt vmcnt(48)
	v_mul_f32_e32 v120, v113, v192
	v_add_f32_e32 v87, v87, v88
	v_mul_f32_e32 v88, v98, v168
	v_fmac_f32_e32 v120, v114, v191
	v_fma_f32 v88, v97, v178, -v88
	v_add_f32_e32 v119, v119, v120
	s_waitcnt vmcnt(46) lgkmcnt(0)
	v_mul_f32_e32 v120, v115, v194
	v_add_f32_e32 v87, v87, v88
	v_mul_f32_e32 v88, v100, v169
	v_fmac_f32_e32 v120, v116, v193
	v_fma_f32 v88, v99, v179, -v88
	v_add_f32_e32 v123, v119, v120
	ds_read_b128 v[119:122], v86 offset:496
	v_add_f32_e32 v87, v87, v88
	v_mul_f32_e32 v88, v102, v170
	v_fma_f32 v88, v101, v180, -v88
	s_waitcnt vmcnt(44)
	v_mul_f32_e32 v124, v117, v196
	v_add_f32_e32 v87, v87, v88
	v_mul_f32_e32 v88, v104, v171
	v_fmac_f32_e32 v124, v118, v195
	v_fma_f32 v88, v103, v181, -v88
	v_add_f32_e32 v127, v123, v124
	ds_read_b128 v[123:126], v86 offset:512
	v_add_f32_e32 v87, v87, v88
	v_mul_f32_e32 v88, v106, v172
	s_waitcnt vmcnt(42) lgkmcnt(1)
	v_mul_f32_e32 v128, v119, v198
	v_fma_f32 v88, v105, v182, -v88
	v_fmac_f32_e32 v128, v120, v197
	v_add_f32_e32 v87, v87, v88
	v_mul_f32_e32 v88, v108, v183
	v_add_f32_e32 v127, v127, v128
	s_waitcnt vmcnt(40)
	v_mul_f32_e32 v128, v121, v200
	v_fma_f32 v88, v107, v184, -v88
	v_fmac_f32_e32 v128, v122, v199
	v_add_f32_e32 v87, v87, v88
	v_mul_f32_e32 v88, v110, v185
	v_add_f32_e32 v127, v127, v128
	s_waitcnt vmcnt(38) lgkmcnt(0)
	v_mul_f32_e32 v128, v123, v202
	v_fma_f32 v88, v109, v186, -v88
	v_fmac_f32_e32 v128, v124, v201
	v_add_f32_e32 v87, v87, v88
	v_mul_f32_e32 v88, v112, v189
	v_add_f32_e32 v131, v127, v128
	ds_read_b128 v[127:130], v86 offset:528
	v_fma_f32 v88, v111, v190, -v88
	v_add_f32_e32 v87, v87, v88
	v_mul_f32_e32 v88, v114, v192
	s_waitcnt vmcnt(36)
	v_mul_f32_e32 v132, v125, v204
	v_fma_f32 v88, v113, v191, -v88
	v_fmac_f32_e32 v132, v126, v203
	v_add_f32_e32 v87, v87, v88
	v_mul_f32_e32 v88, v116, v194
	v_add_f32_e32 v135, v131, v132
	ds_read_b128 v[131:134], v86 offset:544
	v_fma_f32 v88, v115, v193, -v88
	s_waitcnt vmcnt(34) lgkmcnt(1)
	v_mul_f32_e32 v136, v127, v206
	v_add_f32_e32 v87, v87, v88
	v_mul_f32_e32 v88, v118, v196
	v_fmac_f32_e32 v136, v128, v205
	v_fma_f32 v88, v117, v195, -v88
	v_add_f32_e32 v135, v135, v136
	s_waitcnt vmcnt(32)
	v_mul_f32_e32 v136, v129, v208
	v_add_f32_e32 v87, v87, v88
	v_mul_f32_e32 v88, v120, v198
	v_fmac_f32_e32 v136, v130, v207
	v_fma_f32 v88, v119, v197, -v88
	v_add_f32_e32 v135, v135, v136
	s_waitcnt vmcnt(30) lgkmcnt(0)
	v_mul_f32_e32 v136, v131, v210
	v_add_f32_e32 v87, v87, v88
	v_mul_f32_e32 v88, v122, v200
	v_fmac_f32_e32 v136, v132, v209
	v_fma_f32 v88, v121, v199, -v88
	v_add_f32_e32 v139, v135, v136
	ds_read_b128 v[135:138], v86 offset:560
	v_add_f32_e32 v87, v87, v88
	v_mul_f32_e32 v88, v124, v202
	v_fma_f32 v88, v123, v201, -v88
	s_waitcnt vmcnt(28)
	v_mul_f32_e32 v140, v133, v212
	v_add_f32_e32 v87, v87, v88
	v_mul_f32_e32 v88, v126, v204
	v_fmac_f32_e32 v140, v134, v211
	v_fma_f32 v88, v125, v203, -v88
	v_add_f32_e32 v143, v139, v140
	ds_read_b128 v[139:142], v86 offset:576
	v_add_f32_e32 v87, v87, v88
	v_mul_f32_e32 v88, v128, v206
	s_waitcnt vmcnt(26) lgkmcnt(1)
	v_mul_f32_e32 v144, v135, v214
	v_fma_f32 v88, v127, v205, -v88
	v_fmac_f32_e32 v144, v136, v213
	v_add_f32_e32 v87, v87, v88
	v_mul_f32_e32 v88, v130, v208
	v_add_f32_e32 v143, v143, v144
	s_waitcnt vmcnt(25)
	v_mul_f32_e32 v144, v137, v215
	v_fma_f32 v88, v129, v207, -v88
	s_waitcnt vmcnt(24)
	v_fmac_f32_e32 v144, v138, v216
	v_add_f32_e32 v87, v87, v88
	v_mul_f32_e32 v88, v132, v210
	v_add_f32_e32 v143, v143, v144
	s_waitcnt vmcnt(22) lgkmcnt(0)
	v_mul_f32_e32 v144, v139, v218
	v_fma_f32 v88, v131, v209, -v88
	v_fmac_f32_e32 v144, v140, v217
	v_add_f32_e32 v87, v87, v88
	v_mul_f32_e32 v88, v134, v212
	v_add_f32_e32 v147, v143, v144
	ds_read_b128 v[143:146], v86 offset:592
	v_fma_f32 v88, v133, v211, -v88
	v_add_f32_e32 v87, v87, v88
	v_mul_f32_e32 v88, v136, v214
	s_waitcnt vmcnt(20)
	v_mul_f32_e32 v148, v141, v220
	v_fma_f32 v88, v135, v213, -v88
	v_fmac_f32_e32 v148, v142, v219
	v_add_f32_e32 v87, v87, v88
	v_mul_f32_e32 v88, v138, v215
	v_add_f32_e32 v151, v147, v148
	ds_read_b128 v[147:150], v86 offset:608
	v_fma_f32 v88, v137, v216, -v88
	s_waitcnt vmcnt(18) lgkmcnt(1)
	v_mul_f32_e32 v152, v143, v222
	v_add_f32_e32 v87, v87, v88
	v_mul_f32_e32 v88, v140, v218
	v_fmac_f32_e32 v152, v144, v221
	v_fma_f32 v88, v139, v217, -v88
	v_add_f32_e32 v151, v151, v152
	s_waitcnt vmcnt(17)
	v_mul_f32_e32 v152, v145, v223
	v_add_f32_e32 v87, v87, v88
	v_mul_f32_e32 v88, v142, v220
	s_waitcnt vmcnt(16)
	v_fmac_f32_e32 v152, v146, v224
	v_fma_f32 v88, v141, v219, -v88
	v_add_f32_e32 v151, v151, v152
	s_waitcnt vmcnt(14) lgkmcnt(0)
	v_mul_f32_e32 v152, v147, v226
	v_add_f32_e32 v87, v87, v88
	v_mul_f32_e32 v88, v144, v222
	v_fmac_f32_e32 v152, v148, v225
	v_fma_f32 v88, v143, v221, -v88
	v_add_f32_e32 v155, v151, v152
	ds_read_b128 v[151:154], v86 offset:624
	v_add_f32_e32 v87, v87, v88
	v_mul_f32_e32 v88, v146, v223
	v_fma_f32 v88, v145, v224, -v88
	v_add_f32_e32 v87, v87, v88
	v_mul_f32_e32 v88, v148, v226
	s_waitcnt vmcnt(12)
	v_mul_f32_e32 v156, v149, v228
	v_fma_f32 v88, v147, v225, -v88
	v_fmac_f32_e32 v156, v150, v227
	v_add_f32_e32 v87, v87, v88
	v_mul_f32_e32 v88, v150, v228
	v_add_f32_e32 v159, v155, v156
	ds_read_b128 v[155:158], v86 offset:640
	s_waitcnt vmcnt(10) lgkmcnt(1)
	v_mul_f32_e32 v160, v151, v230
	v_fma_f32 v88, v149, v227, -v88
	v_fmac_f32_e32 v160, v152, v229
	v_add_f32_e32 v87, v87, v88
	v_mul_f32_e32 v88, v152, v230
	v_add_f32_e32 v159, v159, v160
	s_waitcnt vmcnt(9)
	v_mul_f32_e32 v160, v153, v231
	v_fma_f32 v88, v151, v229, -v88
	s_waitcnt vmcnt(8)
	v_fmac_f32_e32 v160, v154, v232
	v_add_f32_e32 v87, v87, v88
	v_mul_f32_e32 v88, v154, v231
	v_add_f32_e32 v241, v159, v160
	ds_read_b128 v[159:162], v86 offset:656
	v_fma_f32 v88, v153, v232, -v88
	v_add_f32_e32 v87, v87, v88
	s_waitcnt vmcnt(6) lgkmcnt(1)
	v_mul_f32_e32 v88, v156, v234
	v_mul_f32_e32 v242, v155, v234
	v_fma_f32 v88, v155, v233, -v88
	v_fmac_f32_e32 v242, v156, v233
	v_add_f32_e32 v87, v87, v88
	s_waitcnt vmcnt(4)
	v_mul_f32_e32 v88, v158, v236
	v_add_f32_e32 v86, v241, v242
	v_mul_f32_e32 v241, v157, v236
	v_fma_f32 v88, v157, v235, -v88
	v_fmac_f32_e32 v241, v158, v235
	v_add_f32_e32 v87, v87, v88
	s_waitcnt vmcnt(3) lgkmcnt(0)
	v_mul_f32_e32 v88, v160, v237
	v_add_f32_e32 v86, v86, v241
	v_mul_f32_e32 v241, v159, v237
	s_waitcnt vmcnt(2)
	v_fma_f32 v88, v159, v238, -v88
	v_fmac_f32_e32 v241, v160, v238
	v_add_f32_e32 v87, v87, v88
	s_waitcnt vmcnt(0)
	v_mul_f32_e32 v88, v162, v240
	v_add_f32_e32 v86, v86, v241
	v_mul_f32_e32 v241, v161, v240
	v_fma_f32 v88, v161, v239, -v88
	v_fmac_f32_e32 v241, v162, v239
	v_add_f32_e32 v87, v87, v88
	v_add_f32_e32 v86, v86, v241
	v_sub_f32_e32 v87, v187, v87
	v_sub_f32_e32 v86, v188, v86
	buffer_store_dword v87, off, s[0:3], 0 offset:24
	buffer_store_dword v86, off, s[0:3], 0 offset:28
	s_and_saveexec_b64 s[4:5], vcc
	s_cbranch_execz .LBB105_261
; %bb.260:
	buffer_load_dword v86, off, s[0:3], 0 offset:16
	buffer_load_dword v87, off, s[0:3], 0 offset:20
	v_mov_b32_e32 v88, 0
	buffer_store_dword v88, off, s[0:3], 0 offset:16
	buffer_store_dword v88, off, s[0:3], 0 offset:20
	s_waitcnt vmcnt(2)
	ds_write_b64 v85, v[86:87]
.LBB105_261:
	s_or_b64 exec, exec, s[4:5]
	s_waitcnt lgkmcnt(0)
	; wave barrier
	buffer_load_dword v165, off, s[0:3], 0 offset:28
	buffer_load_dword v166, off, s[0:3], 0 offset:36
	buffer_load_dword v167, off, s[0:3], 0 offset:44
	buffer_load_dword v168, off, s[0:3], 0 offset:52
	buffer_load_dword v169, off, s[0:3], 0 offset:60
	buffer_load_dword v170, off, s[0:3], 0 offset:68
	buffer_load_dword v171, off, s[0:3], 0 offset:76
	buffer_load_dword v172, off, s[0:3], 0 offset:84
	buffer_load_dword v173, off, s[0:3], 0 offset:92
	buffer_load_dword v174, off, s[0:3], 0 offset:100
	buffer_load_dword v175, off, s[0:3], 0 offset:108
	buffer_load_dword v176, off, s[0:3], 0 offset:24
	buffer_load_dword v177, off, s[0:3], 0 offset:32
	buffer_load_dword v178, off, s[0:3], 0 offset:40
	buffer_load_dword v179, off, s[0:3], 0 offset:48
	buffer_load_dword v180, off, s[0:3], 0 offset:56
	buffer_load_dword v181, off, s[0:3], 0 offset:64
	buffer_load_dword v182, off, s[0:3], 0 offset:72
	buffer_load_dword v183, off, s[0:3], 0 offset:80
	buffer_load_dword v184, off, s[0:3], 0 offset:88
	buffer_load_dword v185, off, s[0:3], 0 offset:96
	buffer_load_dword v186, off, s[0:3], 0 offset:104
	buffer_load_dword v187, off, s[0:3], 0 offset:116
	buffer_load_dword v188, off, s[0:3], 0 offset:112
	buffer_load_dword v189, off, s[0:3], 0 offset:16
	buffer_load_dword v190, off, s[0:3], 0 offset:20
	buffer_load_dword v191, off, s[0:3], 0 offset:120
	buffer_load_dword v192, off, s[0:3], 0 offset:124
	buffer_load_dword v193, off, s[0:3], 0 offset:128
	buffer_load_dword v194, off, s[0:3], 0 offset:132
	buffer_load_dword v195, off, s[0:3], 0 offset:136
	buffer_load_dword v196, off, s[0:3], 0 offset:140
	buffer_load_dword v197, off, s[0:3], 0 offset:144
	buffer_load_dword v198, off, s[0:3], 0 offset:148
	buffer_load_dword v199, off, s[0:3], 0 offset:152
	buffer_load_dword v200, off, s[0:3], 0 offset:156
	buffer_load_dword v201, off, s[0:3], 0 offset:160
	buffer_load_dword v202, off, s[0:3], 0 offset:164
	buffer_load_dword v203, off, s[0:3], 0 offset:168
	buffer_load_dword v204, off, s[0:3], 0 offset:172
	buffer_load_dword v205, off, s[0:3], 0 offset:176
	buffer_load_dword v206, off, s[0:3], 0 offset:180
	buffer_load_dword v207, off, s[0:3], 0 offset:184
	buffer_load_dword v208, off, s[0:3], 0 offset:188
	buffer_load_dword v209, off, s[0:3], 0 offset:192
	buffer_load_dword v210, off, s[0:3], 0 offset:196
	buffer_load_dword v211, off, s[0:3], 0 offset:200
	buffer_load_dword v212, off, s[0:3], 0 offset:204
	buffer_load_dword v213, off, s[0:3], 0 offset:208
	buffer_load_dword v214, off, s[0:3], 0 offset:212
	buffer_load_dword v215, off, s[0:3], 0 offset:216
	buffer_load_dword v216, off, s[0:3], 0 offset:220
	v_mov_b32_e32 v86, 0
	ds_read2_b64 v[87:90], v86 offset0:45 offset1:46
	ds_read2_b64 v[91:94], v86 offset0:47 offset1:48
	;; [unrolled: 1-line block ×6, first 2 shown]
	buffer_load_dword v217, off, s[0:3], 0 offset:228
	buffer_load_dword v218, off, s[0:3], 0 offset:224
	;; [unrolled: 1-line block ×8, first 2 shown]
	v_cmp_lt_u32_e32 vcc, 1, v0
	s_waitcnt vmcnt(59) lgkmcnt(5)
	v_mul_f32_e32 v111, v87, v165
	s_waitcnt vmcnt(58)
	v_mul_f32_e32 v112, v89, v166
	s_waitcnt vmcnt(57) lgkmcnt(4)
	v_mul_f32_e32 v113, v91, v167
	s_waitcnt vmcnt(56)
	v_mul_f32_e32 v114, v93, v168
	;; [unrolled: 4-line block ×5, first 2 shown]
	s_waitcnt vmcnt(49) lgkmcnt(0)
	v_mul_f32_e32 v121, v107, v175
	s_waitcnt vmcnt(48)
	v_fmac_f32_e32 v111, v88, v176
	s_waitcnt vmcnt(47)
	v_fmac_f32_e32 v112, v90, v177
	v_add_f32_e32 v111, 0, v111
	s_waitcnt vmcnt(46)
	v_fmac_f32_e32 v113, v92, v178
	v_add_f32_e32 v111, v111, v112
	;; [unrolled: 3-line block ×9, first 2 shown]
	v_add_f32_e32 v111, v111, v120
	s_waitcnt vmcnt(38)
	v_fmac_f32_e32 v121, v108, v186
	s_waitcnt vmcnt(37)
	v_mul_f32_e32 v112, v109, v187
	v_add_f32_e32 v111, v111, v121
	s_waitcnt vmcnt(36)
	v_fmac_f32_e32 v112, v110, v188
	v_add_f32_e32 v119, v111, v112
	ds_read2_b64 v[111:114], v86 offset0:57 offset1:58
	buffer_load_dword v225, off, s[0:3], 0 offset:260
	buffer_load_dword v226, off, s[0:3], 0 offset:256
	;; [unrolled: 1-line block ×4, first 2 shown]
	ds_read2_b64 v[115:118], v86 offset0:59 offset1:60
	buffer_load_dword v229, off, s[0:3], 0 offset:272
	buffer_load_dword v230, off, s[0:3], 0 offset:276
	;; [unrolled: 1-line block ×10, first 2 shown]
	s_waitcnt vmcnt(46) lgkmcnt(1)
	v_mul_f32_e32 v120, v111, v192
	v_fmac_f32_e32 v120, v112, v191
	v_add_f32_e32 v119, v119, v120
	s_waitcnt vmcnt(44)
	v_mul_f32_e32 v120, v113, v194
	buffer_load_dword v239, off, s[0:3], 0 offset:312
	buffer_load_dword v240, off, s[0:3], 0 offset:316
	v_fmac_f32_e32 v120, v114, v193
	v_add_f32_e32 v119, v119, v120
	s_waitcnt vmcnt(44) lgkmcnt(0)
	v_mul_f32_e32 v120, v115, v196
	v_fmac_f32_e32 v120, v116, v195
	v_add_f32_e32 v123, v119, v120
	ds_read2_b64 v[119:122], v86 offset0:61 offset1:62
	buffer_load_dword v241, off, s[0:3], 0 offset:324
	buffer_load_dword v242, off, s[0:3], 0 offset:320
	;; [unrolled: 1-line block ×4, first 2 shown]
	v_mul_f32_e32 v88, v88, v165
	v_fma_f32 v87, v87, v176, -v88
	v_mul_f32_e32 v88, v90, v166
	v_add_f32_e32 v87, 0, v87
	v_fma_f32 v88, v89, v177, -v88
	v_add_f32_e32 v87, v87, v88
	v_mul_f32_e32 v88, v92, v167
	v_fma_f32 v88, v91, v178, -v88
	v_add_f32_e32 v87, v87, v88
	v_mul_f32_e32 v88, v94, v168
	;; [unrolled: 3-line block ×5, first 2 shown]
	v_fma_f32 v88, v99, v182, -v88
	s_waitcnt vmcnt(46)
	v_mul_f32_e32 v124, v117, v198
	v_add_f32_e32 v87, v87, v88
	v_mul_f32_e32 v88, v102, v172
	v_fmac_f32_e32 v124, v118, v197
	v_fma_f32 v88, v101, v183, -v88
	v_add_f32_e32 v127, v123, v124
	ds_read2_b64 v[123:126], v86 offset0:63 offset1:64
	v_add_f32_e32 v87, v87, v88
	v_mul_f32_e32 v88, v104, v173
	s_waitcnt vmcnt(44) lgkmcnt(1)
	v_mul_f32_e32 v128, v119, v200
	v_fma_f32 v88, v103, v184, -v88
	v_fmac_f32_e32 v128, v120, v199
	v_add_f32_e32 v87, v87, v88
	v_mul_f32_e32 v88, v106, v174
	v_add_f32_e32 v127, v127, v128
	s_waitcnt vmcnt(42)
	v_mul_f32_e32 v128, v121, v202
	v_fma_f32 v88, v105, v185, -v88
	v_fmac_f32_e32 v128, v122, v201
	v_add_f32_e32 v87, v87, v88
	v_mul_f32_e32 v88, v108, v175
	v_add_f32_e32 v127, v127, v128
	s_waitcnt vmcnt(40) lgkmcnt(0)
	v_mul_f32_e32 v128, v123, v204
	v_fma_f32 v88, v107, v186, -v88
	v_fmac_f32_e32 v128, v124, v203
	v_add_f32_e32 v87, v87, v88
	v_mul_f32_e32 v88, v110, v187
	v_add_f32_e32 v131, v127, v128
	ds_read2_b64 v[127:130], v86 offset0:65 offset1:66
	v_fma_f32 v88, v109, v188, -v88
	v_add_f32_e32 v87, v87, v88
	v_mul_f32_e32 v88, v112, v192
	s_waitcnt vmcnt(38)
	v_mul_f32_e32 v132, v125, v206
	v_fma_f32 v88, v111, v191, -v88
	v_fmac_f32_e32 v132, v126, v205
	v_add_f32_e32 v87, v87, v88
	v_mul_f32_e32 v88, v114, v194
	v_add_f32_e32 v135, v131, v132
	ds_read2_b64 v[131:134], v86 offset0:67 offset1:68
	v_fma_f32 v88, v113, v193, -v88
	s_waitcnt vmcnt(36) lgkmcnt(1)
	v_mul_f32_e32 v136, v127, v208
	v_add_f32_e32 v87, v87, v88
	v_mul_f32_e32 v88, v116, v196
	v_fmac_f32_e32 v136, v128, v207
	v_fma_f32 v88, v115, v195, -v88
	v_add_f32_e32 v135, v135, v136
	s_waitcnt vmcnt(34)
	v_mul_f32_e32 v136, v129, v210
	v_add_f32_e32 v87, v87, v88
	v_mul_f32_e32 v88, v118, v198
	v_fmac_f32_e32 v136, v130, v209
	v_fma_f32 v88, v117, v197, -v88
	v_add_f32_e32 v135, v135, v136
	s_waitcnt vmcnt(32) lgkmcnt(0)
	v_mul_f32_e32 v136, v131, v212
	v_add_f32_e32 v87, v87, v88
	v_mul_f32_e32 v88, v120, v200
	v_fmac_f32_e32 v136, v132, v211
	v_fma_f32 v88, v119, v199, -v88
	v_add_f32_e32 v139, v135, v136
	ds_read2_b64 v[135:138], v86 offset0:69 offset1:70
	v_add_f32_e32 v87, v87, v88
	v_mul_f32_e32 v88, v122, v202
	v_fma_f32 v88, v121, v201, -v88
	s_waitcnt vmcnt(30)
	v_mul_f32_e32 v140, v133, v214
	v_add_f32_e32 v87, v87, v88
	v_mul_f32_e32 v88, v124, v204
	v_fmac_f32_e32 v140, v134, v213
	v_fma_f32 v88, v123, v203, -v88
	v_add_f32_e32 v143, v139, v140
	ds_read2_b64 v[139:142], v86 offset0:71 offset1:72
	v_add_f32_e32 v87, v87, v88
	v_mul_f32_e32 v88, v126, v206
	s_waitcnt vmcnt(28) lgkmcnt(1)
	v_mul_f32_e32 v144, v135, v216
	v_fma_f32 v88, v125, v205, -v88
	v_fmac_f32_e32 v144, v136, v215
	v_add_f32_e32 v87, v87, v88
	v_mul_f32_e32 v88, v128, v208
	v_add_f32_e32 v143, v143, v144
	s_waitcnt vmcnt(27)
	v_mul_f32_e32 v144, v137, v217
	v_fma_f32 v88, v127, v207, -v88
	s_waitcnt vmcnt(26)
	v_fmac_f32_e32 v144, v138, v218
	v_add_f32_e32 v87, v87, v88
	v_mul_f32_e32 v88, v130, v210
	v_add_f32_e32 v143, v143, v144
	s_waitcnt vmcnt(24) lgkmcnt(0)
	v_mul_f32_e32 v144, v139, v220
	v_fma_f32 v88, v129, v209, -v88
	v_fmac_f32_e32 v144, v140, v219
	v_add_f32_e32 v87, v87, v88
	v_mul_f32_e32 v88, v132, v212
	v_add_f32_e32 v147, v143, v144
	ds_read2_b64 v[143:146], v86 offset0:73 offset1:74
	v_fma_f32 v88, v131, v211, -v88
	v_add_f32_e32 v87, v87, v88
	v_mul_f32_e32 v88, v134, v214
	s_waitcnt vmcnt(22)
	v_mul_f32_e32 v148, v141, v222
	v_fma_f32 v88, v133, v213, -v88
	v_fmac_f32_e32 v148, v142, v221
	v_add_f32_e32 v87, v87, v88
	v_mul_f32_e32 v88, v136, v216
	v_add_f32_e32 v151, v147, v148
	ds_read2_b64 v[147:150], v86 offset0:75 offset1:76
	v_fma_f32 v88, v135, v215, -v88
	s_waitcnt vmcnt(20) lgkmcnt(1)
	v_mul_f32_e32 v152, v143, v224
	v_add_f32_e32 v87, v87, v88
	v_mul_f32_e32 v88, v138, v217
	v_fmac_f32_e32 v152, v144, v223
	v_fma_f32 v88, v137, v218, -v88
	v_add_f32_e32 v151, v151, v152
	s_waitcnt vmcnt(19)
	v_mul_f32_e32 v152, v145, v225
	v_add_f32_e32 v87, v87, v88
	v_mul_f32_e32 v88, v140, v220
	s_waitcnt vmcnt(18)
	v_fmac_f32_e32 v152, v146, v226
	v_fma_f32 v88, v139, v219, -v88
	v_add_f32_e32 v151, v151, v152
	s_waitcnt vmcnt(16) lgkmcnt(0)
	v_mul_f32_e32 v152, v147, v228
	v_add_f32_e32 v87, v87, v88
	v_mul_f32_e32 v88, v142, v222
	v_fmac_f32_e32 v152, v148, v227
	v_fma_f32 v88, v141, v221, -v88
	v_add_f32_e32 v155, v151, v152
	ds_read2_b64 v[151:154], v86 offset0:77 offset1:78
	v_add_f32_e32 v87, v87, v88
	v_mul_f32_e32 v88, v144, v224
	v_fma_f32 v88, v143, v223, -v88
	s_waitcnt vmcnt(14)
	v_mul_f32_e32 v156, v149, v230
	v_add_f32_e32 v87, v87, v88
	v_mul_f32_e32 v88, v146, v225
	v_fmac_f32_e32 v156, v150, v229
	v_fma_f32 v88, v145, v226, -v88
	v_add_f32_e32 v159, v155, v156
	ds_read2_b64 v[155:158], v86 offset0:79 offset1:80
	v_add_f32_e32 v87, v87, v88
	v_mul_f32_e32 v88, v148, v228
	s_waitcnt vmcnt(12) lgkmcnt(1)
	v_mul_f32_e32 v160, v151, v232
	v_fma_f32 v88, v147, v227, -v88
	v_fmac_f32_e32 v160, v152, v231
	v_add_f32_e32 v87, v87, v88
	v_mul_f32_e32 v88, v150, v230
	v_add_f32_e32 v159, v159, v160
	s_waitcnt vmcnt(11)
	v_mul_f32_e32 v160, v153, v233
	v_fma_f32 v88, v149, v229, -v88
	s_waitcnt vmcnt(10)
	v_fmac_f32_e32 v160, v154, v234
	v_add_f32_e32 v87, v87, v88
	v_mul_f32_e32 v88, v152, v232
	v_add_f32_e32 v159, v159, v160
	s_waitcnt vmcnt(8) lgkmcnt(0)
	v_mul_f32_e32 v160, v155, v236
	v_fma_f32 v88, v151, v231, -v88
	v_fmac_f32_e32 v160, v156, v235
	v_add_f32_e32 v87, v87, v88
	v_mul_f32_e32 v88, v154, v233
	v_add_f32_e32 v163, v159, v160
	ds_read2_b64 v[159:162], v86 offset0:81 offset1:82
	v_fma_f32 v88, v153, v234, -v88
	v_add_f32_e32 v87, v87, v88
	v_mul_f32_e32 v88, v156, v236
	s_waitcnt vmcnt(6)
	v_mul_f32_e32 v164, v157, v238
	v_fma_f32 v88, v155, v235, -v88
	v_fmac_f32_e32 v164, v158, v237
	v_add_f32_e32 v87, v87, v88
	v_mul_f32_e32 v88, v158, v238
	v_add_f32_e32 v245, v163, v164
	ds_read_b64 v[163:164], v86 offset:664
	v_fma_f32 v88, v157, v237, -v88
	v_add_f32_e32 v87, v87, v88
	s_waitcnt vmcnt(4) lgkmcnt(1)
	v_mul_f32_e32 v88, v160, v240
	v_mul_f32_e32 v246, v159, v240
	v_fma_f32 v88, v159, v239, -v88
	v_fmac_f32_e32 v246, v160, v239
	v_add_f32_e32 v87, v87, v88
	s_waitcnt vmcnt(3)
	v_mul_f32_e32 v88, v162, v241
	v_add_f32_e32 v245, v245, v246
	v_mul_f32_e32 v246, v161, v241
	s_waitcnt vmcnt(2)
	v_fma_f32 v88, v161, v242, -v88
	v_fmac_f32_e32 v246, v162, v242
	v_add_f32_e32 v87, v87, v88
	s_waitcnt vmcnt(0) lgkmcnt(0)
	v_mul_f32_e32 v88, v164, v244
	v_add_f32_e32 v245, v245, v246
	v_mul_f32_e32 v246, v163, v244
	v_fma_f32 v88, v163, v243, -v88
	v_fmac_f32_e32 v246, v164, v243
	v_add_f32_e32 v87, v87, v88
	v_add_f32_e32 v245, v245, v246
	v_sub_f32_e32 v87, v189, v87
	v_sub_f32_e32 v88, v190, v245
	buffer_store_dword v87, off, s[0:3], 0 offset:16
	buffer_store_dword v88, off, s[0:3], 0 offset:20
	s_and_saveexec_b64 s[4:5], vcc
	s_cbranch_execz .LBB105_263
; %bb.262:
	buffer_load_dword v87, off, s[0:3], 0 offset:8
	buffer_load_dword v88, off, s[0:3], 0 offset:12
	s_waitcnt vmcnt(0)
	ds_write_b64 v85, v[87:88]
	buffer_store_dword v86, off, s[0:3], 0 offset:8
	buffer_store_dword v86, off, s[0:3], 0 offset:12
.LBB105_263:
	s_or_b64 exec, exec, s[4:5]
	s_waitcnt lgkmcnt(0)
	; wave barrier
	buffer_load_dword v167, off, s[0:3], 0 offset:20
	buffer_load_dword v168, off, s[0:3], 0 offset:28
	;; [unrolled: 1-line block ×28, first 2 shown]
	ds_read_b128 v[87:90], v86 offset:352
	ds_read_b128 v[91:94], v86 offset:368
	;; [unrolled: 1-line block ×4, first 2 shown]
	buffer_load_dword v195, off, s[0:3], 0 offset:120
	buffer_load_dword v196, off, s[0:3], 0 offset:124
	ds_read_b128 v[103:106], v86 offset:416
	ds_read_b128 v[107:110], v86 offset:432
	buffer_load_dword v197, off, s[0:3], 0 offset:128
	buffer_load_dword v198, off, s[0:3], 0 offset:132
	;; [unrolled: 1-line block ×28, first 2 shown]
	v_cmp_ne_u32_e32 vcc, 0, v0
	s_waitcnt vmcnt(57) lgkmcnt(5)
	v_mul_f32_e32 v111, v87, v167
	s_waitcnt vmcnt(56)
	v_mul_f32_e32 v112, v89, v168
	s_waitcnt vmcnt(55) lgkmcnt(4)
	v_mul_f32_e32 v113, v91, v169
	s_waitcnt vmcnt(54)
	v_mul_f32_e32 v114, v93, v170
	;; [unrolled: 4-line block ×5, first 2 shown]
	s_waitcnt vmcnt(47) lgkmcnt(0)
	v_mul_f32_e32 v121, v107, v177
	s_waitcnt vmcnt(46)
	v_fmac_f32_e32 v111, v88, v178
	s_waitcnt vmcnt(45)
	v_fmac_f32_e32 v112, v90, v179
	v_add_f32_e32 v111, 0, v111
	s_waitcnt vmcnt(44)
	v_fmac_f32_e32 v113, v92, v180
	v_add_f32_e32 v111, v111, v112
	;; [unrolled: 3-line block ×10, first 2 shown]
	v_add_f32_e32 v115, v111, v121
	ds_read_b128 v[111:114], v86 offset:448
	buffer_load_dword v225, off, s[0:3], 0 offset:240
	buffer_load_dword v226, off, s[0:3], 0 offset:244
	s_waitcnt vmcnt(37)
	v_mul_f32_e32 v116, v109, v189
	s_waitcnt vmcnt(36)
	v_fmac_f32_e32 v116, v110, v190
	v_add_f32_e32 v119, v115, v116
	ds_read_b128 v[115:118], v86 offset:464
	buffer_load_dword v227, off, s[0:3], 0 offset:252
	buffer_load_dword v228, off, s[0:3], 0 offset:248
	;; [unrolled: 1-line block ×12, first 2 shown]
	s_waitcnt vmcnt(47) lgkmcnt(1)
	v_mul_f32_e32 v120, v111, v191
	s_waitcnt vmcnt(44)
	v_fmac_f32_e32 v120, v112, v194
	buffer_load_dword v239, off, s[0:3], 0 offset:296
	buffer_load_dword v240, off, s[0:3], 0 offset:300
	v_add_f32_e32 v119, v119, v120
	s_waitcnt vmcnt(44)
	v_mul_f32_e32 v120, v113, v196
	v_fmac_f32_e32 v120, v114, v195
	v_add_f32_e32 v119, v119, v120
	s_waitcnt vmcnt(42) lgkmcnt(0)
	v_mul_f32_e32 v120, v115, v198
	buffer_load_dword v241, off, s[0:3], 0 offset:304
	buffer_load_dword v242, off, s[0:3], 0 offset:308
	v_fmac_f32_e32 v120, v116, v197
	v_add_f32_e32 v119, v119, v120
	s_waitcnt vmcnt(42)
	v_mul_f32_e32 v120, v117, v200
	v_fmac_f32_e32 v120, v118, v199
	v_add_f32_e32 v127, v119, v120
	ds_read_b128 v[119:122], v86 offset:480
	buffer_load_dword v243, off, s[0:3], 0 offset:316
	buffer_load_dword v244, off, s[0:3], 0 offset:312
	;; [unrolled: 1-line block ×4, first 2 shown]
	ds_read_b128 v[123:126], v86 offset:496
	buffer_load_dword v247, off, s[0:3], 0 offset:328
	buffer_load_dword v248, off, s[0:3], 0 offset:332
	v_mul_f32_e32 v88, v88, v167
	v_fma_f32 v87, v87, v178, -v88
	v_mul_f32_e32 v88, v90, v168
	v_add_f32_e32 v87, 0, v87
	v_fma_f32 v88, v89, v179, -v88
	v_add_f32_e32 v87, v87, v88
	v_mul_f32_e32 v88, v92, v169
	v_fma_f32 v88, v91, v180, -v88
	v_add_f32_e32 v87, v87, v88
	v_mul_f32_e32 v88, v94, v170
	;; [unrolled: 3-line block ×7, first 2 shown]
	s_waitcnt vmcnt(46) lgkmcnt(1)
	v_mul_f32_e32 v128, v119, v202
	v_fma_f32 v88, v103, v186, -v88
	v_fmac_f32_e32 v128, v120, v201
	v_add_f32_e32 v87, v87, v88
	v_mul_f32_e32 v88, v106, v176
	v_add_f32_e32 v127, v127, v128
	s_waitcnt vmcnt(44)
	v_mul_f32_e32 v128, v121, v204
	v_fma_f32 v88, v105, v187, -v88
	v_fmac_f32_e32 v128, v122, v203
	v_add_f32_e32 v87, v87, v88
	v_mul_f32_e32 v88, v108, v177
	v_add_f32_e32 v127, v127, v128
	s_waitcnt vmcnt(42) lgkmcnt(0)
	v_mul_f32_e32 v128, v123, v206
	v_fma_f32 v88, v107, v188, -v88
	v_fmac_f32_e32 v128, v124, v205
	v_add_f32_e32 v87, v87, v88
	v_mul_f32_e32 v88, v110, v189
	v_add_f32_e32 v131, v127, v128
	ds_read_b128 v[127:130], v86 offset:512
	v_fma_f32 v88, v109, v190, -v88
	v_add_f32_e32 v87, v87, v88
	v_mul_f32_e32 v88, v112, v191
	s_waitcnt vmcnt(40)
	v_mul_f32_e32 v132, v125, v208
	v_fma_f32 v88, v111, v194, -v88
	v_fmac_f32_e32 v132, v126, v207
	v_add_f32_e32 v87, v87, v88
	v_mul_f32_e32 v88, v114, v196
	v_add_f32_e32 v135, v131, v132
	ds_read_b128 v[131:134], v86 offset:528
	v_fma_f32 v88, v113, v195, -v88
	s_waitcnt vmcnt(38) lgkmcnt(1)
	v_mul_f32_e32 v136, v127, v210
	v_add_f32_e32 v87, v87, v88
	v_mul_f32_e32 v88, v116, v198
	v_fmac_f32_e32 v136, v128, v209
	v_fma_f32 v88, v115, v197, -v88
	v_add_f32_e32 v135, v135, v136
	s_waitcnt vmcnt(36)
	v_mul_f32_e32 v136, v129, v212
	v_add_f32_e32 v87, v87, v88
	v_mul_f32_e32 v88, v118, v200
	v_fmac_f32_e32 v136, v130, v211
	v_fma_f32 v88, v117, v199, -v88
	v_add_f32_e32 v135, v135, v136
	s_waitcnt vmcnt(34) lgkmcnt(0)
	v_mul_f32_e32 v136, v131, v214
	v_add_f32_e32 v87, v87, v88
	v_mul_f32_e32 v88, v120, v202
	v_fmac_f32_e32 v136, v132, v213
	v_fma_f32 v88, v119, v201, -v88
	v_add_f32_e32 v139, v135, v136
	ds_read_b128 v[135:138], v86 offset:544
	v_add_f32_e32 v87, v87, v88
	v_mul_f32_e32 v88, v122, v204
	v_fma_f32 v88, v121, v203, -v88
	s_waitcnt vmcnt(32)
	v_mul_f32_e32 v140, v133, v216
	v_add_f32_e32 v87, v87, v88
	v_mul_f32_e32 v88, v124, v206
	v_fmac_f32_e32 v140, v134, v215
	v_fma_f32 v88, v123, v205, -v88
	v_add_f32_e32 v143, v139, v140
	ds_read_b128 v[139:142], v86 offset:560
	v_add_f32_e32 v87, v87, v88
	v_mul_f32_e32 v88, v126, v208
	s_waitcnt vmcnt(30) lgkmcnt(1)
	v_mul_f32_e32 v144, v135, v218
	v_fma_f32 v88, v125, v207, -v88
	v_fmac_f32_e32 v144, v136, v217
	v_add_f32_e32 v87, v87, v88
	v_mul_f32_e32 v88, v128, v210
	v_add_f32_e32 v143, v143, v144
	s_waitcnt vmcnt(29)
	v_mul_f32_e32 v144, v137, v219
	v_fma_f32 v88, v127, v209, -v88
	s_waitcnt vmcnt(28)
	v_fmac_f32_e32 v144, v138, v220
	v_add_f32_e32 v87, v87, v88
	v_mul_f32_e32 v88, v130, v212
	v_add_f32_e32 v143, v143, v144
	s_waitcnt vmcnt(26) lgkmcnt(0)
	v_mul_f32_e32 v144, v139, v222
	v_fma_f32 v88, v129, v211, -v88
	v_fmac_f32_e32 v144, v140, v221
	v_add_f32_e32 v87, v87, v88
	v_mul_f32_e32 v88, v132, v214
	v_add_f32_e32 v147, v143, v144
	ds_read_b128 v[143:146], v86 offset:576
	v_fma_f32 v88, v131, v213, -v88
	v_add_f32_e32 v87, v87, v88
	v_mul_f32_e32 v88, v134, v216
	s_waitcnt vmcnt(24)
	v_mul_f32_e32 v148, v141, v224
	v_fma_f32 v88, v133, v215, -v88
	v_fmac_f32_e32 v148, v142, v223
	v_add_f32_e32 v87, v87, v88
	v_mul_f32_e32 v88, v136, v218
	v_add_f32_e32 v151, v147, v148
	ds_read_b128 v[147:150], v86 offset:592
	v_fma_f32 v88, v135, v217, -v88
	s_waitcnt vmcnt(22) lgkmcnt(1)
	v_mul_f32_e32 v152, v143, v226
	v_add_f32_e32 v87, v87, v88
	v_mul_f32_e32 v88, v138, v219
	v_fmac_f32_e32 v152, v144, v225
	v_fma_f32 v88, v137, v220, -v88
	v_add_f32_e32 v151, v151, v152
	s_waitcnt vmcnt(21)
	v_mul_f32_e32 v152, v145, v227
	v_add_f32_e32 v87, v87, v88
	v_mul_f32_e32 v88, v140, v222
	s_waitcnt vmcnt(20)
	v_fmac_f32_e32 v152, v146, v228
	v_fma_f32 v88, v139, v221, -v88
	v_add_f32_e32 v151, v151, v152
	s_waitcnt vmcnt(18) lgkmcnt(0)
	v_mul_f32_e32 v152, v147, v230
	v_add_f32_e32 v87, v87, v88
	v_mul_f32_e32 v88, v142, v224
	v_fmac_f32_e32 v152, v148, v229
	v_fma_f32 v88, v141, v223, -v88
	v_add_f32_e32 v155, v151, v152
	ds_read_b128 v[151:154], v86 offset:608
	v_add_f32_e32 v87, v87, v88
	v_mul_f32_e32 v88, v144, v226
	v_fma_f32 v88, v143, v225, -v88
	s_waitcnt vmcnt(16)
	v_mul_f32_e32 v156, v149, v232
	v_add_f32_e32 v87, v87, v88
	v_mul_f32_e32 v88, v146, v227
	v_fmac_f32_e32 v156, v150, v231
	v_fma_f32 v88, v145, v228, -v88
	v_add_f32_e32 v159, v155, v156
	ds_read_b128 v[155:158], v86 offset:624
	v_add_f32_e32 v87, v87, v88
	v_mul_f32_e32 v88, v148, v230
	s_waitcnt vmcnt(14) lgkmcnt(1)
	v_mul_f32_e32 v160, v151, v234
	v_fma_f32 v88, v147, v229, -v88
	v_fmac_f32_e32 v160, v152, v233
	v_add_f32_e32 v87, v87, v88
	v_mul_f32_e32 v88, v150, v232
	v_add_f32_e32 v159, v159, v160
	s_waitcnt vmcnt(13)
	v_mul_f32_e32 v160, v153, v235
	v_fma_f32 v88, v149, v231, -v88
	s_waitcnt vmcnt(12)
	v_fmac_f32_e32 v160, v154, v236
	v_add_f32_e32 v87, v87, v88
	v_mul_f32_e32 v88, v152, v234
	v_add_f32_e32 v159, v159, v160
	s_waitcnt vmcnt(10) lgkmcnt(0)
	v_mul_f32_e32 v160, v155, v238
	v_fma_f32 v88, v151, v233, -v88
	v_fmac_f32_e32 v160, v156, v237
	v_add_f32_e32 v87, v87, v88
	v_mul_f32_e32 v88, v154, v235
	v_add_f32_e32 v163, v159, v160
	ds_read_b128 v[159:162], v86 offset:640
	v_fma_f32 v88, v153, v236, -v88
	v_add_f32_e32 v87, v87, v88
	v_mul_f32_e32 v88, v156, v238
	s_waitcnt vmcnt(8)
	v_mul_f32_e32 v164, v157, v240
	v_fma_f32 v88, v155, v237, -v88
	v_fmac_f32_e32 v164, v158, v239
	v_add_f32_e32 v87, v87, v88
	v_mul_f32_e32 v88, v158, v240
	v_add_f32_e32 v249, v163, v164
	ds_read_b128 v[163:166], v86 offset:656
	v_fma_f32 v88, v157, v239, -v88
	v_add_f32_e32 v87, v87, v88
	s_waitcnt vmcnt(6) lgkmcnt(1)
	v_mul_f32_e32 v88, v160, v242
	v_mul_f32_e32 v86, v159, v242
	v_fma_f32 v88, v159, v241, -v88
	v_fmac_f32_e32 v86, v160, v241
	v_add_f32_e32 v87, v87, v88
	s_waitcnt vmcnt(5)
	v_mul_f32_e32 v88, v162, v243
	v_add_f32_e32 v86, v249, v86
	v_mul_f32_e32 v249, v161, v243
	s_waitcnt vmcnt(4)
	v_fma_f32 v88, v161, v244, -v88
	v_fmac_f32_e32 v249, v162, v244
	v_add_f32_e32 v87, v87, v88
	s_waitcnt vmcnt(2) lgkmcnt(0)
	v_mul_f32_e32 v88, v164, v246
	v_add_f32_e32 v86, v86, v249
	v_mul_f32_e32 v249, v163, v246
	v_fma_f32 v88, v163, v245, -v88
	v_fmac_f32_e32 v249, v164, v245
	v_add_f32_e32 v87, v87, v88
	s_waitcnt vmcnt(0)
	v_mul_f32_e32 v88, v166, v248
	v_add_f32_e32 v86, v86, v249
	v_mul_f32_e32 v249, v165, v248
	v_fma_f32 v88, v165, v247, -v88
	v_fmac_f32_e32 v249, v166, v247
	v_add_f32_e32 v87, v87, v88
	v_add_f32_e32 v86, v86, v249
	v_sub_f32_e32 v87, v192, v87
	v_sub_f32_e32 v86, v193, v86
	buffer_store_dword v87, off, s[0:3], 0 offset:8
	buffer_store_dword v86, off, s[0:3], 0 offset:12
	s_and_saveexec_b64 s[4:5], vcc
	s_cbranch_execz .LBB105_265
; %bb.264:
	buffer_load_dword v86, off, s[0:3], 0
	buffer_load_dword v87, off, s[0:3], 0 offset:4
	v_mov_b32_e32 v0, 0
	buffer_store_dword v0, off, s[0:3], 0
	buffer_store_dword v0, off, s[0:3], 0 offset:4
	s_waitcnt vmcnt(2)
	ds_write_b64 v85, v[86:87]
.LBB105_265:
	s_or_b64 exec, exec, s[4:5]
	s_waitcnt lgkmcnt(0)
	; wave barrier
	buffer_load_dword v167, off, s[0:3], 0 offset:12
	buffer_load_dword v168, off, s[0:3], 0 offset:20
	;; [unrolled: 1-line block ×26, first 2 shown]
	buffer_load_dword v193, off, s[0:3], 0
	buffer_load_dword v194, off, s[0:3], 0 offset:4
	buffer_load_dword v195, off, s[0:3], 0 offset:112
	;; [unrolled: 1-line block ×23, first 2 shown]
	v_mov_b32_e32 v0, 0
	ds_read2_b64 v[85:88], v0 offset0:43 offset1:44
	ds_read2_b64 v[89:92], v0 offset0:45 offset1:46
	;; [unrolled: 1-line block ×6, first 2 shown]
	buffer_load_dword v217, off, s[0:3], 0 offset:200
	buffer_load_dword v218, off, s[0:3], 0 offset:204
	buffer_load_dword v219, off, s[0:3], 0 offset:212
	buffer_load_dword v220, off, s[0:3], 0 offset:208
	buffer_load_dword v221, off, s[0:3], 0 offset:216
	buffer_load_dword v222, off, s[0:3], 0 offset:220
	s_and_b64 vcc, exec, s[14:15]
	s_waitcnt vmcnt(55) lgkmcnt(5)
	v_mul_f32_e32 v109, v85, v167
	s_waitcnt vmcnt(54)
	v_mul_f32_e32 v110, v87, v168
	s_waitcnt vmcnt(53) lgkmcnt(4)
	v_mul_f32_e32 v111, v89, v169
	s_waitcnt vmcnt(52)
	v_mul_f32_e32 v112, v91, v170
	;; [unrolled: 4-line block ×5, first 2 shown]
	s_waitcnt vmcnt(45) lgkmcnt(0)
	v_mul_f32_e32 v119, v105, v177
	s_waitcnt vmcnt(44)
	v_fmac_f32_e32 v109, v86, v178
	s_waitcnt vmcnt(43)
	v_fmac_f32_e32 v110, v88, v179
	v_add_f32_e32 v109, 0, v109
	s_waitcnt vmcnt(42)
	v_fmac_f32_e32 v111, v90, v180
	v_add_f32_e32 v109, v109, v110
	;; [unrolled: 3-line block ×10, first 2 shown]
	v_add_f32_e32 v113, v109, v119
	ds_read2_b64 v[109:112], v0 offset0:55 offset1:56
	buffer_load_dword v223, off, s[0:3], 0 offset:224
	buffer_load_dword v224, off, s[0:3], 0 offset:228
	s_waitcnt vmcnt(35)
	v_mul_f32_e32 v114, v107, v189
	s_waitcnt vmcnt(34)
	v_fmac_f32_e32 v114, v108, v190
	v_add_f32_e32 v117, v113, v114
	ds_read2_b64 v[113:116], v0 offset0:57 offset1:58
	buffer_load_dword v225, off, s[0:3], 0 offset:232
	buffer_load_dword v226, off, s[0:3], 0 offset:236
	;; [unrolled: 1-line block ×14, first 2 shown]
	s_waitcnt vmcnt(47) lgkmcnt(1)
	v_mul_f32_e32 v118, v109, v191
	s_waitcnt vmcnt(46)
	v_fmac_f32_e32 v118, v110, v192
	v_add_f32_e32 v117, v117, v118
	s_waitcnt vmcnt(42)
	v_mul_f32_e32 v118, v111, v196
	v_fmac_f32_e32 v118, v112, v195
	v_add_f32_e32 v117, v117, v118
	s_waitcnt vmcnt(40) lgkmcnt(0)
	v_mul_f32_e32 v118, v113, v198
	buffer_load_dword v239, off, s[0:3], 0 offset:288
	buffer_load_dword v240, off, s[0:3], 0 offset:292
	v_fmac_f32_e32 v118, v114, v197
	v_add_f32_e32 v121, v117, v118
	ds_read2_b64 v[117:120], v0 offset0:59 offset1:60
	buffer_load_dword v241, off, s[0:3], 0 offset:296
	buffer_load_dword v242, off, s[0:3], 0 offset:300
	s_waitcnt vmcnt(42)
	v_mul_f32_e32 v122, v115, v200
	v_fmac_f32_e32 v122, v116, v199
	v_add_f32_e32 v125, v121, v122
	ds_read2_b64 v[121:124], v0 offset0:61 offset1:62
	buffer_load_dword v243, off, s[0:3], 0 offset:308
	buffer_load_dword v244, off, s[0:3], 0 offset:304
	;; [unrolled: 1-line block ×8, first 2 shown]
	v_mul_f32_e32 v86, v86, v167
	v_fma_f32 v85, v85, v178, -v86
	v_mul_f32_e32 v86, v88, v168
	v_add_f32_e32 v85, 0, v85
	v_fma_f32 v86, v87, v179, -v86
	v_add_f32_e32 v85, v85, v86
	v_mul_f32_e32 v86, v90, v169
	v_fma_f32 v86, v89, v180, -v86
	v_add_f32_e32 v85, v85, v86
	v_mul_f32_e32 v86, v92, v170
	;; [unrolled: 3-line block ×6, first 2 shown]
	v_fma_f32 v86, v99, v185, -v86
	s_waitcnt vmcnt(48) lgkmcnt(1)
	v_mul_f32_e32 v126, v117, v202
	v_add_f32_e32 v85, v85, v86
	v_mul_f32_e32 v86, v102, v175
	v_fmac_f32_e32 v126, v118, v201
	v_fma_f32 v86, v101, v186, -v86
	v_add_f32_e32 v125, v125, v126
	s_waitcnt vmcnt(46)
	v_mul_f32_e32 v126, v119, v204
	v_add_f32_e32 v85, v85, v86
	v_mul_f32_e32 v86, v104, v176
	v_fmac_f32_e32 v126, v120, v203
	v_fma_f32 v86, v103, v187, -v86
	v_add_f32_e32 v125, v125, v126
	s_waitcnt vmcnt(44) lgkmcnt(0)
	v_mul_f32_e32 v126, v121, v206
	v_add_f32_e32 v85, v85, v86
	v_mul_f32_e32 v86, v106, v177
	v_fmac_f32_e32 v126, v122, v205
	v_fma_f32 v86, v105, v188, -v86
	v_add_f32_e32 v129, v125, v126
	ds_read2_b64 v[125:128], v0 offset0:63 offset1:64
	v_add_f32_e32 v85, v85, v86
	v_mul_f32_e32 v86, v108, v189
	v_fma_f32 v86, v107, v190, -v86
	s_waitcnt vmcnt(42)
	v_mul_f32_e32 v130, v123, v208
	v_add_f32_e32 v85, v85, v86
	v_mul_f32_e32 v86, v110, v191
	v_fmac_f32_e32 v130, v124, v207
	v_fma_f32 v86, v109, v192, -v86
	v_add_f32_e32 v133, v129, v130
	ds_read2_b64 v[129:132], v0 offset0:65 offset1:66
	v_add_f32_e32 v85, v85, v86
	v_mul_f32_e32 v86, v112, v196
	s_waitcnt vmcnt(40) lgkmcnt(1)
	v_mul_f32_e32 v134, v125, v210
	v_fma_f32 v86, v111, v195, -v86
	v_fmac_f32_e32 v134, v126, v209
	v_add_f32_e32 v85, v85, v86
	v_mul_f32_e32 v86, v114, v198
	v_add_f32_e32 v133, v133, v134
	s_waitcnt vmcnt(38)
	v_mul_f32_e32 v134, v127, v212
	v_fma_f32 v86, v113, v197, -v86
	v_fmac_f32_e32 v134, v128, v211
	v_add_f32_e32 v85, v85, v86
	v_mul_f32_e32 v86, v116, v200
	v_add_f32_e32 v133, v133, v134
	s_waitcnt vmcnt(36) lgkmcnt(0)
	v_mul_f32_e32 v134, v129, v214
	v_fma_f32 v86, v115, v199, -v86
	v_fmac_f32_e32 v134, v130, v213
	v_add_f32_e32 v85, v85, v86
	v_mul_f32_e32 v86, v118, v202
	v_add_f32_e32 v137, v133, v134
	ds_read2_b64 v[133:136], v0 offset0:67 offset1:68
	v_fma_f32 v86, v117, v201, -v86
	v_add_f32_e32 v85, v85, v86
	v_mul_f32_e32 v86, v120, v204
	s_waitcnt vmcnt(34)
	v_mul_f32_e32 v138, v131, v216
	v_fma_f32 v86, v119, v203, -v86
	v_fmac_f32_e32 v138, v132, v215
	v_add_f32_e32 v85, v85, v86
	v_mul_f32_e32 v86, v122, v206
	v_add_f32_e32 v141, v137, v138
	ds_read2_b64 v[137:140], v0 offset0:69 offset1:70
	v_fma_f32 v86, v121, v205, -v86
	s_waitcnt vmcnt(32) lgkmcnt(1)
	v_mul_f32_e32 v142, v133, v218
	v_add_f32_e32 v85, v85, v86
	v_mul_f32_e32 v86, v124, v208
	v_fmac_f32_e32 v142, v134, v217
	v_fma_f32 v86, v123, v207, -v86
	v_add_f32_e32 v141, v141, v142
	s_waitcnt vmcnt(31)
	v_mul_f32_e32 v142, v135, v219
	v_add_f32_e32 v85, v85, v86
	v_mul_f32_e32 v86, v126, v210
	s_waitcnt vmcnt(30)
	v_fmac_f32_e32 v142, v136, v220
	v_fma_f32 v86, v125, v209, -v86
	v_add_f32_e32 v141, v141, v142
	s_waitcnt vmcnt(28) lgkmcnt(0)
	v_mul_f32_e32 v142, v137, v222
	v_add_f32_e32 v85, v85, v86
	v_mul_f32_e32 v86, v128, v212
	v_fmac_f32_e32 v142, v138, v221
	v_fma_f32 v86, v127, v211, -v86
	v_add_f32_e32 v145, v141, v142
	ds_read2_b64 v[141:144], v0 offset0:71 offset1:72
	v_add_f32_e32 v85, v85, v86
	v_mul_f32_e32 v86, v130, v214
	v_fma_f32 v86, v129, v213, -v86
	s_waitcnt vmcnt(26)
	v_mul_f32_e32 v146, v139, v224
	v_add_f32_e32 v85, v85, v86
	v_mul_f32_e32 v86, v132, v216
	v_fmac_f32_e32 v146, v140, v223
	v_fma_f32 v86, v131, v215, -v86
	v_add_f32_e32 v149, v145, v146
	ds_read2_b64 v[145:148], v0 offset0:73 offset1:74
	v_add_f32_e32 v85, v85, v86
	v_mul_f32_e32 v86, v134, v218
	s_waitcnt vmcnt(24) lgkmcnt(1)
	v_mul_f32_e32 v150, v141, v226
	v_fma_f32 v86, v133, v217, -v86
	v_fmac_f32_e32 v150, v142, v225
	v_add_f32_e32 v85, v85, v86
	v_mul_f32_e32 v86, v136, v219
	v_add_f32_e32 v149, v149, v150
	s_waitcnt vmcnt(23)
	v_mul_f32_e32 v150, v143, v227
	v_fma_f32 v86, v135, v220, -v86
	s_waitcnt vmcnt(22)
	v_fmac_f32_e32 v150, v144, v228
	v_add_f32_e32 v85, v85, v86
	v_mul_f32_e32 v86, v138, v222
	v_add_f32_e32 v149, v149, v150
	s_waitcnt vmcnt(20) lgkmcnt(0)
	v_mul_f32_e32 v150, v145, v230
	v_fma_f32 v86, v137, v221, -v86
	v_fmac_f32_e32 v150, v146, v229
	v_add_f32_e32 v85, v85, v86
	v_mul_f32_e32 v86, v140, v224
	v_add_f32_e32 v153, v149, v150
	ds_read2_b64 v[149:152], v0 offset0:75 offset1:76
	v_fma_f32 v86, v139, v223, -v86
	v_add_f32_e32 v85, v85, v86
	v_mul_f32_e32 v86, v142, v226
	s_waitcnt vmcnt(18)
	v_mul_f32_e32 v154, v147, v232
	v_fma_f32 v86, v141, v225, -v86
	v_fmac_f32_e32 v154, v148, v231
	v_add_f32_e32 v85, v85, v86
	v_mul_f32_e32 v86, v144, v227
	v_add_f32_e32 v157, v153, v154
	ds_read2_b64 v[153:156], v0 offset0:77 offset1:78
	v_fma_f32 v86, v143, v228, -v86
	s_waitcnt vmcnt(16) lgkmcnt(1)
	v_mul_f32_e32 v158, v149, v234
	v_add_f32_e32 v85, v85, v86
	v_mul_f32_e32 v86, v146, v230
	v_fmac_f32_e32 v158, v150, v233
	v_fma_f32 v86, v145, v229, -v86
	v_add_f32_e32 v157, v157, v158
	s_waitcnt vmcnt(15)
	v_mul_f32_e32 v158, v151, v235
	v_add_f32_e32 v85, v85, v86
	v_mul_f32_e32 v86, v148, v232
	s_waitcnt vmcnt(14)
	v_fmac_f32_e32 v158, v152, v236
	v_fma_f32 v86, v147, v231, -v86
	v_add_f32_e32 v157, v157, v158
	s_waitcnt vmcnt(12) lgkmcnt(0)
	v_mul_f32_e32 v158, v153, v238
	v_add_f32_e32 v85, v85, v86
	v_mul_f32_e32 v86, v150, v234
	v_fmac_f32_e32 v158, v154, v237
	v_fma_f32 v86, v149, v233, -v86
	v_add_f32_e32 v161, v157, v158
	ds_read2_b64 v[157:160], v0 offset0:79 offset1:80
	v_add_f32_e32 v85, v85, v86
	v_mul_f32_e32 v86, v152, v235
	v_fma_f32 v86, v151, v236, -v86
	v_add_f32_e32 v85, v85, v86
	v_mul_f32_e32 v86, v154, v238
	s_waitcnt vmcnt(10)
	v_mul_f32_e32 v162, v155, v240
	v_fma_f32 v86, v153, v237, -v86
	v_fmac_f32_e32 v162, v156, v239
	v_add_f32_e32 v85, v85, v86
	v_mul_f32_e32 v86, v156, v240
	v_add_f32_e32 v165, v161, v162
	ds_read2_b64 v[161:164], v0 offset0:81 offset1:82
	s_waitcnt vmcnt(8) lgkmcnt(1)
	v_mul_f32_e32 v166, v157, v242
	v_fma_f32 v86, v155, v239, -v86
	v_fmac_f32_e32 v166, v158, v241
	v_add_f32_e32 v85, v85, v86
	v_mul_f32_e32 v86, v158, v242
	v_add_f32_e32 v165, v165, v166
	s_waitcnt vmcnt(7)
	v_mul_f32_e32 v166, v159, v243
	v_fma_f32 v86, v157, v241, -v86
	s_waitcnt vmcnt(6)
	v_fmac_f32_e32 v166, v160, v244
	v_add_f32_e32 v85, v85, v86
	v_mul_f32_e32 v86, v160, v243
	v_add_f32_e32 v251, v165, v166
	ds_read_b64 v[165:166], v0 offset:664
	v_fma_f32 v86, v159, v244, -v86
	v_add_f32_e32 v85, v85, v86
	s_waitcnt vmcnt(4) lgkmcnt(1)
	v_mul_f32_e32 v86, v162, v246
	v_mul_f32_e32 v252, v161, v246
	v_fma_f32 v86, v161, v245, -v86
	v_fmac_f32_e32 v252, v162, v245
	v_add_f32_e32 v85, v85, v86
	s_waitcnt vmcnt(3)
	v_mul_f32_e32 v86, v164, v247
	v_add_f32_e32 v251, v251, v252
	v_mul_f32_e32 v252, v163, v247
	s_waitcnt vmcnt(2)
	v_fma_f32 v86, v163, v248, -v86
	v_fmac_f32_e32 v252, v164, v248
	v_add_f32_e32 v85, v85, v86
	s_waitcnt vmcnt(0) lgkmcnt(0)
	v_mul_f32_e32 v86, v166, v250
	v_add_f32_e32 v251, v251, v252
	v_mul_f32_e32 v252, v165, v250
	v_fma_f32 v86, v165, v249, -v86
	v_fmac_f32_e32 v252, v166, v249
	v_add_f32_e32 v85, v85, v86
	v_add_f32_e32 v251, v251, v252
	v_sub_f32_e32 v85, v193, v85
	v_sub_f32_e32 v86, v194, v251
	buffer_store_dword v85, off, s[0:3], 0
	buffer_store_dword v86, off, s[0:3], 0 offset:4
	s_cbranch_vccz .LBB105_348
; %bb.266:
	global_load_dword v0, v0, s[12:13] offset:160
	s_waitcnt vmcnt(0)
	v_add_u32_e32 v0, -1, v0
	v_cmp_ne_u32_e32 vcc, 40, v0
	s_cbranch_vccz .LBB105_268
; %bb.267:
	v_lshlrev_b32_e32 v0, 3, v0
	buffer_load_dword v85, v0, s[0:3], 0 offen
	buffer_load_dword v86, v0, s[0:3], 0 offen offset:4
	buffer_load_dword v87, off, s[0:3], 0 offset:324
	buffer_load_dword v88, off, s[0:3], 0 offset:320
	s_waitcnt vmcnt(3)
	buffer_store_dword v85, off, s[0:3], 0 offset:320
	s_waitcnt vmcnt(3)
	buffer_store_dword v86, off, s[0:3], 0 offset:324
	s_waitcnt vmcnt(3)
	buffer_store_dword v87, v0, s[0:3], 0 offen offset:4
	s_waitcnt vmcnt(3)
	buffer_store_dword v88, v0, s[0:3], 0 offen
.LBB105_268:
	v_mov_b32_e32 v0, 0
	global_load_dword v85, v0, s[12:13] offset:156
	s_waitcnt vmcnt(0)
	v_add_u32_e32 v85, -1, v85
	v_cmp_eq_u32_e32 vcc, 39, v85
	s_cbranch_vccnz .LBB105_270
; %bb.269:
	v_lshlrev_b32_e32 v85, 3, v85
	buffer_load_dword v86, v85, s[0:3], 0 offen
	buffer_load_dword v87, v85, s[0:3], 0 offen offset:4
	buffer_load_dword v88, off, s[0:3], 0 offset:312
	buffer_load_dword v89, off, s[0:3], 0 offset:316
	s_waitcnt vmcnt(3)
	buffer_store_dword v86, off, s[0:3], 0 offset:312
	s_waitcnt vmcnt(3)
	buffer_store_dword v87, off, s[0:3], 0 offset:316
	s_waitcnt vmcnt(3)
	buffer_store_dword v88, v85, s[0:3], 0 offen
	s_waitcnt vmcnt(3)
	buffer_store_dword v89, v85, s[0:3], 0 offen offset:4
.LBB105_270:
	global_load_dword v0, v0, s[12:13] offset:152
	s_waitcnt vmcnt(0)
	v_add_u32_e32 v0, -1, v0
	v_cmp_eq_u32_e32 vcc, 38, v0
	s_cbranch_vccnz .LBB105_272
; %bb.271:
	v_lshlrev_b32_e32 v0, 3, v0
	buffer_load_dword v85, v0, s[0:3], 0 offen
	buffer_load_dword v86, v0, s[0:3], 0 offen offset:4
	buffer_load_dword v87, off, s[0:3], 0 offset:308
	buffer_load_dword v88, off, s[0:3], 0 offset:304
	s_waitcnt vmcnt(3)
	buffer_store_dword v85, off, s[0:3], 0 offset:304
	s_waitcnt vmcnt(3)
	buffer_store_dword v86, off, s[0:3], 0 offset:308
	s_waitcnt vmcnt(3)
	buffer_store_dword v87, v0, s[0:3], 0 offen offset:4
	s_waitcnt vmcnt(3)
	buffer_store_dword v88, v0, s[0:3], 0 offen
.LBB105_272:
	v_mov_b32_e32 v0, 0
	global_load_dword v85, v0, s[12:13] offset:148
	s_waitcnt vmcnt(0)
	v_add_u32_e32 v85, -1, v85
	v_cmp_eq_u32_e32 vcc, 37, v85
	s_cbranch_vccnz .LBB105_274
; %bb.273:
	v_lshlrev_b32_e32 v85, 3, v85
	buffer_load_dword v86, v85, s[0:3], 0 offen
	buffer_load_dword v87, v85, s[0:3], 0 offen offset:4
	buffer_load_dword v88, off, s[0:3], 0 offset:296
	buffer_load_dword v89, off, s[0:3], 0 offset:300
	s_waitcnt vmcnt(3)
	buffer_store_dword v86, off, s[0:3], 0 offset:296
	s_waitcnt vmcnt(3)
	buffer_store_dword v87, off, s[0:3], 0 offset:300
	s_waitcnt vmcnt(3)
	buffer_store_dword v88, v85, s[0:3], 0 offen
	s_waitcnt vmcnt(3)
	buffer_store_dword v89, v85, s[0:3], 0 offen offset:4
.LBB105_274:
	global_load_dword v0, v0, s[12:13] offset:144
	s_waitcnt vmcnt(0)
	v_add_u32_e32 v0, -1, v0
	v_cmp_eq_u32_e32 vcc, 36, v0
	s_cbranch_vccnz .LBB105_276
; %bb.275:
	v_lshlrev_b32_e32 v0, 3, v0
	buffer_load_dword v85, v0, s[0:3], 0 offen
	buffer_load_dword v86, v0, s[0:3], 0 offen offset:4
	buffer_load_dword v87, off, s[0:3], 0 offset:292
	buffer_load_dword v88, off, s[0:3], 0 offset:288
	s_waitcnt vmcnt(3)
	buffer_store_dword v85, off, s[0:3], 0 offset:288
	s_waitcnt vmcnt(3)
	buffer_store_dword v86, off, s[0:3], 0 offset:292
	s_waitcnt vmcnt(3)
	buffer_store_dword v87, v0, s[0:3], 0 offen offset:4
	s_waitcnt vmcnt(3)
	buffer_store_dword v88, v0, s[0:3], 0 offen
.LBB105_276:
	;; [unrolled: 41-line block ×19, first 2 shown]
	v_mov_b32_e32 v0, 0
	global_load_dword v85, v0, s[12:13] offset:4
	s_waitcnt vmcnt(0)
	v_add_u32_e32 v85, -1, v85
	v_cmp_eq_u32_e32 vcc, 1, v85
	s_cbranch_vccnz .LBB105_346
; %bb.345:
	v_lshlrev_b32_e32 v85, 3, v85
	buffer_load_dword v86, v85, s[0:3], 0 offen
	buffer_load_dword v87, v85, s[0:3], 0 offen offset:4
	buffer_load_dword v88, off, s[0:3], 0 offset:8
	buffer_load_dword v89, off, s[0:3], 0 offset:12
	s_waitcnt vmcnt(3)
	buffer_store_dword v86, off, s[0:3], 0 offset:8
	s_waitcnt vmcnt(3)
	buffer_store_dword v87, off, s[0:3], 0 offset:12
	s_waitcnt vmcnt(3)
	buffer_store_dword v88, v85, s[0:3], 0 offen
	s_waitcnt vmcnt(3)
	buffer_store_dword v89, v85, s[0:3], 0 offen offset:4
.LBB105_346:
	global_load_dword v0, v0, s[12:13]
	s_waitcnt vmcnt(0)
	v_add_u32_e32 v0, -1, v0
	v_cmp_eq_u32_e32 vcc, 0, v0
	s_cbranch_vccnz .LBB105_348
; %bb.347:
	v_lshlrev_b32_e32 v0, 3, v0
	buffer_load_dword v85, v0, s[0:3], 0 offen
	buffer_load_dword v86, v0, s[0:3], 0 offen offset:4
	buffer_load_dword v87, off, s[0:3], 0 offset:4
	buffer_load_dword v88, off, s[0:3], 0
	s_waitcnt vmcnt(3)
	buffer_store_dword v85, off, s[0:3], 0
	s_waitcnt vmcnt(3)
	buffer_store_dword v86, off, s[0:3], 0 offset:4
	s_waitcnt vmcnt(3)
	buffer_store_dword v87, v0, s[0:3], 0 offen offset:4
	s_waitcnt vmcnt(3)
	buffer_store_dword v88, v0, s[0:3], 0 offen
.LBB105_348:
	buffer_load_dword v85, off, s[0:3], 0
	buffer_load_dword v86, off, s[0:3], 0 offset:4
	s_waitcnt vmcnt(0)
	flat_store_dwordx2 v[1:2], v[85:86]
	buffer_load_dword v0, off, s[0:3], 0 offset:8
	s_nop 0
	buffer_load_dword v1, off, s[0:3], 0 offset:12
	s_waitcnt vmcnt(0)
	flat_store_dwordx2 v[3:4], v[0:1]
	buffer_load_dword v0, off, s[0:3], 0 offset:16
	s_nop 0
	;; [unrolled: 5-line block ×41, first 2 shown]
	buffer_load_dword v1, off, s[0:3], 0 offset:332
	s_waitcnt vmcnt(0)
	flat_store_dwordx2 v[83:84], v[0:1]
	s_endpgm
	.section	.rodata,"a",@progbits
	.p2align	6, 0x0
	.amdhsa_kernel _ZN9rocsolver6v33100L18getri_kernel_smallILi42E19rocblas_complex_numIfEPKPS3_EEvT1_iilPiilS8_bb
		.amdhsa_group_segment_fixed_size 676
		.amdhsa_private_segment_fixed_size 352
		.amdhsa_kernarg_size 60
		.amdhsa_user_sgpr_count 6
		.amdhsa_user_sgpr_private_segment_buffer 1
		.amdhsa_user_sgpr_dispatch_ptr 0
		.amdhsa_user_sgpr_queue_ptr 0
		.amdhsa_user_sgpr_kernarg_segment_ptr 1
		.amdhsa_user_sgpr_dispatch_id 0
		.amdhsa_user_sgpr_flat_scratch_init 0
		.amdhsa_user_sgpr_private_segment_size 0
		.amdhsa_uses_dynamic_stack 0
		.amdhsa_system_sgpr_private_segment_wavefront_offset 1
		.amdhsa_system_sgpr_workgroup_id_x 1
		.amdhsa_system_sgpr_workgroup_id_y 0
		.amdhsa_system_sgpr_workgroup_id_z 0
		.amdhsa_system_sgpr_workgroup_info 0
		.amdhsa_system_vgpr_workitem_id 0
		.amdhsa_next_free_vgpr 253
		.amdhsa_next_free_sgpr 21
		.amdhsa_reserve_vcc 1
		.amdhsa_reserve_flat_scratch 0
		.amdhsa_float_round_mode_32 0
		.amdhsa_float_round_mode_16_64 0
		.amdhsa_float_denorm_mode_32 3
		.amdhsa_float_denorm_mode_16_64 3
		.amdhsa_dx10_clamp 1
		.amdhsa_ieee_mode 1
		.amdhsa_fp16_overflow 0
		.amdhsa_exception_fp_ieee_invalid_op 0
		.amdhsa_exception_fp_denorm_src 0
		.amdhsa_exception_fp_ieee_div_zero 0
		.amdhsa_exception_fp_ieee_overflow 0
		.amdhsa_exception_fp_ieee_underflow 0
		.amdhsa_exception_fp_ieee_inexact 0
		.amdhsa_exception_int_div_zero 0
	.end_amdhsa_kernel
	.section	.text._ZN9rocsolver6v33100L18getri_kernel_smallILi42E19rocblas_complex_numIfEPKPS3_EEvT1_iilPiilS8_bb,"axG",@progbits,_ZN9rocsolver6v33100L18getri_kernel_smallILi42E19rocblas_complex_numIfEPKPS3_EEvT1_iilPiilS8_bb,comdat
.Lfunc_end105:
	.size	_ZN9rocsolver6v33100L18getri_kernel_smallILi42E19rocblas_complex_numIfEPKPS3_EEvT1_iilPiilS8_bb, .Lfunc_end105-_ZN9rocsolver6v33100L18getri_kernel_smallILi42E19rocblas_complex_numIfEPKPS3_EEvT1_iilPiilS8_bb
                                        ; -- End function
	.set _ZN9rocsolver6v33100L18getri_kernel_smallILi42E19rocblas_complex_numIfEPKPS3_EEvT1_iilPiilS8_bb.num_vgpr, 253
	.set _ZN9rocsolver6v33100L18getri_kernel_smallILi42E19rocblas_complex_numIfEPKPS3_EEvT1_iilPiilS8_bb.num_agpr, 0
	.set _ZN9rocsolver6v33100L18getri_kernel_smallILi42E19rocblas_complex_numIfEPKPS3_EEvT1_iilPiilS8_bb.numbered_sgpr, 21
	.set _ZN9rocsolver6v33100L18getri_kernel_smallILi42E19rocblas_complex_numIfEPKPS3_EEvT1_iilPiilS8_bb.num_named_barrier, 0
	.set _ZN9rocsolver6v33100L18getri_kernel_smallILi42E19rocblas_complex_numIfEPKPS3_EEvT1_iilPiilS8_bb.private_seg_size, 352
	.set _ZN9rocsolver6v33100L18getri_kernel_smallILi42E19rocblas_complex_numIfEPKPS3_EEvT1_iilPiilS8_bb.uses_vcc, 1
	.set _ZN9rocsolver6v33100L18getri_kernel_smallILi42E19rocblas_complex_numIfEPKPS3_EEvT1_iilPiilS8_bb.uses_flat_scratch, 0
	.set _ZN9rocsolver6v33100L18getri_kernel_smallILi42E19rocblas_complex_numIfEPKPS3_EEvT1_iilPiilS8_bb.has_dyn_sized_stack, 0
	.set _ZN9rocsolver6v33100L18getri_kernel_smallILi42E19rocblas_complex_numIfEPKPS3_EEvT1_iilPiilS8_bb.has_recursion, 0
	.set _ZN9rocsolver6v33100L18getri_kernel_smallILi42E19rocblas_complex_numIfEPKPS3_EEvT1_iilPiilS8_bb.has_indirect_call, 0
	.section	.AMDGPU.csdata,"",@progbits
; Kernel info:
; codeLenInByte = 69584
; TotalNumSgprs: 25
; NumVgprs: 253
; ScratchSize: 352
; MemoryBound: 0
; FloatMode: 240
; IeeeMode: 1
; LDSByteSize: 676 bytes/workgroup (compile time only)
; SGPRBlocks: 3
; VGPRBlocks: 63
; NumSGPRsForWavesPerEU: 25
; NumVGPRsForWavesPerEU: 253
; Occupancy: 1
; WaveLimiterHint : 1
; COMPUTE_PGM_RSRC2:SCRATCH_EN: 1
; COMPUTE_PGM_RSRC2:USER_SGPR: 6
; COMPUTE_PGM_RSRC2:TRAP_HANDLER: 0
; COMPUTE_PGM_RSRC2:TGID_X_EN: 1
; COMPUTE_PGM_RSRC2:TGID_Y_EN: 0
; COMPUTE_PGM_RSRC2:TGID_Z_EN: 0
; COMPUTE_PGM_RSRC2:TIDIG_COMP_CNT: 0
	.section	.text._ZN9rocsolver6v33100L18getri_kernel_smallILi43E19rocblas_complex_numIfEPKPS3_EEvT1_iilPiilS8_bb,"axG",@progbits,_ZN9rocsolver6v33100L18getri_kernel_smallILi43E19rocblas_complex_numIfEPKPS3_EEvT1_iilPiilS8_bb,comdat
	.globl	_ZN9rocsolver6v33100L18getri_kernel_smallILi43E19rocblas_complex_numIfEPKPS3_EEvT1_iilPiilS8_bb ; -- Begin function _ZN9rocsolver6v33100L18getri_kernel_smallILi43E19rocblas_complex_numIfEPKPS3_EEvT1_iilPiilS8_bb
	.p2align	8
	.type	_ZN9rocsolver6v33100L18getri_kernel_smallILi43E19rocblas_complex_numIfEPKPS3_EEvT1_iilPiilS8_bb,@function
_ZN9rocsolver6v33100L18getri_kernel_smallILi43E19rocblas_complex_numIfEPKPS3_EEvT1_iilPiilS8_bb: ; @_ZN9rocsolver6v33100L18getri_kernel_smallILi43E19rocblas_complex_numIfEPKPS3_EEvT1_iilPiilS8_bb
; %bb.0:
	s_add_u32 s0, s0, s7
	s_addc_u32 s1, s1, 0
	v_cmp_gt_u32_e32 vcc, 43, v0
	s_and_saveexec_b64 s[8:9], vcc
	s_cbranch_execz .LBB106_186
; %bb.1:
	s_load_dword s18, s[4:5], 0x38
	s_load_dwordx2 s[12:13], s[4:5], 0x0
	s_load_dwordx4 s[8:11], s[4:5], 0x28
	s_waitcnt lgkmcnt(0)
	s_bitcmp1_b32 s18, 8
	s_cselect_b64 s[14:15], -1, 0
	s_ashr_i32 s7, s6, 31
	s_lshl_b64 s[16:17], s[6:7], 3
	s_add_u32 s12, s12, s16
	s_addc_u32 s13, s13, s17
	s_load_dwordx2 s[16:17], s[12:13], 0x0
	s_bfe_u32 s12, s18, 0x10008
	s_cmp_eq_u32 s12, 0
                                        ; implicit-def: $sgpr12_sgpr13
	s_cbranch_scc1 .LBB106_3
; %bb.2:
	s_load_dword s12, s[4:5], 0x20
	s_load_dwordx2 s[18:19], s[4:5], 0x18
	s_mul_i32 s13, s8, s7
	s_mul_hi_u32 s20, s8, s6
	s_add_i32 s20, s20, s13
	s_mul_i32 s9, s9, s6
	s_add_i32 s9, s20, s9
	s_mul_i32 s8, s8, s6
	s_waitcnt lgkmcnt(0)
	s_ashr_i32 s13, s12, 31
	s_lshl_b64 s[8:9], s[8:9], 2
	s_add_u32 s18, s18, s8
	s_addc_u32 s19, s19, s9
	s_lshl_b64 s[8:9], s[12:13], 2
	s_add_u32 s12, s18, s8
	s_addc_u32 s13, s19, s9
.LBB106_3:
	s_load_dwordx2 s[8:9], s[4:5], 0x8
	s_load_dword s18, s[4:5], 0x38
	v_lshlrev_b32_e32 v89, 3, v0
	s_waitcnt lgkmcnt(0)
	s_ashr_i32 s5, s8, 31
	s_mov_b32 s4, s8
	s_lshl_b64 s[4:5], s[4:5], 3
	s_add_u32 s4, s16, s4
	s_addc_u32 s5, s17, s5
	v_mov_b32_e32 v2, s5
	v_add_co_u32_e32 v1, vcc, s4, v89
	v_addc_co_u32_e32 v2, vcc, 0, v2, vcc
	flat_load_dwordx2 v[5:6], v[1:2]
	s_mov_b32 s16, s9
	s_ashr_i32 s17, s9, 31
	s_lshl_b64 s[16:17], s[16:17], 3
	v_mov_b32_e32 v4, s17
	v_add_co_u32_e32 v3, vcc, s16, v1
	v_addc_co_u32_e32 v4, vcc, v2, v4, vcc
	s_add_i32 s8, s9, s9
	v_add_u32_e32 v9, s8, v0
	v_ashrrev_i32_e32 v10, 31, v9
	v_mov_b32_e32 v11, s5
	v_add_u32_e32 v12, s9, v9
	v_ashrrev_i32_e32 v13, 31, v12
	v_mov_b32_e32 v14, s5
	v_mov_b32_e32 v15, s5
	;; [unrolled: 1-line block ×39, first 2 shown]
	s_bitcmp0_b32 s18, 0
	s_waitcnt vmcnt(0) lgkmcnt(0)
	buffer_store_dword v6, off, s[0:3], 0 offset:4
	buffer_store_dword v5, off, s[0:3], 0
	buffer_store_dword v3, off, s[0:3], 0 offset:344 ; 4-byte Folded Spill
	s_nop 0
	buffer_store_dword v4, off, s[0:3], 0 offset:348 ; 4-byte Folded Spill
	v_lshlrev_b64 v[5:6], 3, v[9:10]
	flat_load_dwordx2 v[7:8], v[3:4]
	v_add_co_u32_e32 v3, vcc, s4, v5
	v_addc_co_u32_e32 v4, vcc, v11, v6, vcc
	s_waitcnt vmcnt(0) lgkmcnt(0)
	buffer_store_dword v8, off, s[0:3], 0 offset:12
	buffer_store_dword v7, off, s[0:3], 0 offset:8
	buffer_store_dword v3, off, s[0:3], 0 offset:352 ; 4-byte Folded Spill
	s_nop 0
	buffer_store_dword v4, off, s[0:3], 0 offset:356 ; 4-byte Folded Spill
	v_lshlrev_b64 v[7:8], 3, v[12:13]
	v_add_co_u32_e32 v7, vcc, s4, v7
	v_addc_co_u32_e32 v8, vcc, v14, v8, vcc
	flat_load_dwordx2 v[10:11], v[3:4]
	s_waitcnt vmcnt(0) lgkmcnt(0)
	buffer_store_dword v11, off, s[0:3], 0 offset:20
	buffer_store_dword v10, off, s[0:3], 0 offset:16
	flat_load_dwordx2 v[13:14], v[7:8]
	v_add_u32_e32 v11, s9, v12
	v_ashrrev_i32_e32 v12, 31, v11
	v_lshlrev_b64 v[9:10], 3, v[11:12]
	s_waitcnt vmcnt(0) lgkmcnt(0)
	buffer_store_dword v14, off, s[0:3], 0 offset:28
	buffer_store_dword v13, off, s[0:3], 0 offset:24
	v_add_co_u32_e32 v9, vcc, s4, v9
	v_addc_co_u32_e32 v10, vcc, v15, v10, vcc
	flat_load_dwordx2 v[13:14], v[9:10]
	v_add_u32_e32 v15, s9, v11
	v_ashrrev_i32_e32 v16, 31, v15
	v_lshlrev_b64 v[11:12], 3, v[15:16]
	v_add_u32_e32 v18, s9, v15
	v_add_co_u32_e32 v11, vcc, s4, v11
	v_addc_co_u32_e32 v12, vcc, v17, v12, vcc
	v_ashrrev_i32_e32 v19, 31, v18
	s_waitcnt vmcnt(0) lgkmcnt(0)
	buffer_store_dword v14, off, s[0:3], 0 offset:36
	buffer_store_dword v13, off, s[0:3], 0 offset:32
	flat_load_dwordx2 v[16:17], v[11:12]
	v_lshlrev_b64 v[13:14], 3, v[18:19]
	s_waitcnt vmcnt(0) lgkmcnt(0)
	buffer_store_dword v17, off, s[0:3], 0 offset:44
	buffer_store_dword v16, off, s[0:3], 0 offset:40
	v_add_co_u32_e32 v13, vcc, s4, v13
	v_addc_co_u32_e32 v14, vcc, v20, v14, vcc
	flat_load_dwordx2 v[19:20], v[13:14]
	v_add_u32_e32 v17, s9, v18
	v_ashrrev_i32_e32 v18, 31, v17
	v_lshlrev_b64 v[15:16], 3, v[17:18]
	s_waitcnt vmcnt(0) lgkmcnt(0)
	buffer_store_dword v20, off, s[0:3], 0 offset:52
	buffer_store_dword v19, off, s[0:3], 0 offset:48
	v_add_co_u32_e32 v15, vcc, s4, v15
	v_addc_co_u32_e32 v16, vcc, v21, v16, vcc
	flat_load_dwordx2 v[19:20], v[15:16]
	v_add_u32_e32 v21, s9, v17
	v_ashrrev_i32_e32 v22, 31, v21
	v_lshlrev_b64 v[17:18], 3, v[21:22]
	v_add_u32_e32 v24, s9, v21
	v_add_co_u32_e32 v17, vcc, s4, v17
	v_addc_co_u32_e32 v18, vcc, v23, v18, vcc
	v_ashrrev_i32_e32 v25, 31, v24
	s_waitcnt vmcnt(0) lgkmcnt(0)
	buffer_store_dword v20, off, s[0:3], 0 offset:60
	buffer_store_dword v19, off, s[0:3], 0 offset:56
	flat_load_dwordx2 v[22:23], v[17:18]
	v_lshlrev_b64 v[19:20], 3, v[24:25]
	s_waitcnt vmcnt(0) lgkmcnt(0)
	buffer_store_dword v23, off, s[0:3], 0 offset:68
	buffer_store_dword v22, off, s[0:3], 0 offset:64
	v_add_co_u32_e32 v19, vcc, s4, v19
	v_addc_co_u32_e32 v20, vcc, v26, v20, vcc
	;; [unrolled: 27-line block ×8, first 2 shown]
	flat_load_dwordx2 v[61:62], v[55:56]
	v_add_u32_e32 v59, s9, v60
	v_ashrrev_i32_e32 v60, 31, v59
	v_lshlrev_b64 v[57:58], 3, v[59:60]
	s_waitcnt vmcnt(0) lgkmcnt(0)
	buffer_store_dword v62, off, s[0:3], 0 offset:220
	buffer_store_dword v61, off, s[0:3], 0 offset:216
	v_add_co_u32_e32 v57, vcc, s4, v57
	v_addc_co_u32_e32 v58, vcc, v63, v58, vcc
	flat_load_dwordx2 v[61:62], v[57:58]
	v_add_u32_e32 v63, s9, v59
	v_ashrrev_i32_e32 v64, 31, v63
	v_lshlrev_b64 v[59:60], 3, v[63:64]
	v_add_u32_e32 v66, s9, v63
	v_add_co_u32_e32 v59, vcc, s4, v59
	v_addc_co_u32_e32 v60, vcc, v65, v60, vcc
	s_waitcnt vmcnt(0) lgkmcnt(0)
	buffer_store_dword v62, off, s[0:3], 0 offset:228
	buffer_store_dword v61, off, s[0:3], 0 offset:224
	flat_load_dwordx2 v[64:65], v[59:60]
	v_ashrrev_i32_e32 v67, 31, v66
	v_lshlrev_b64 v[61:62], 3, v[66:67]
	s_waitcnt vmcnt(0) lgkmcnt(0)
	buffer_store_dword v65, off, s[0:3], 0 offset:236
	buffer_store_dword v64, off, s[0:3], 0 offset:232
	v_add_co_u32_e32 v61, vcc, s4, v61
	v_addc_co_u32_e32 v62, vcc, v68, v62, vcc
	flat_load_dwordx2 v[67:68], v[61:62]
	v_add_u32_e32 v65, s9, v66
	v_ashrrev_i32_e32 v66, 31, v65
	v_lshlrev_b64 v[63:64], 3, v[65:66]
	s_waitcnt vmcnt(0) lgkmcnt(0)
	buffer_store_dword v68, off, s[0:3], 0 offset:244
	buffer_store_dword v67, off, s[0:3], 0 offset:240
	v_add_co_u32_e32 v63, vcc, s4, v63
	v_addc_co_u32_e32 v64, vcc, v69, v64, vcc
	flat_load_dwordx2 v[67:68], v[63:64]
	v_add_u32_e32 v69, s9, v65
	;; [unrolled: 9-line block ×12, first 2 shown]
	v_ashrrev_i32_e32 v86, 31, v85
	v_lshlrev_b64 v[85:86], 3, v[85:86]
	v_mov_b32_e32 v88, s5
	v_add_co_u32_e32 v85, vcc, s4, v85
	v_addc_co_u32_e32 v86, vcc, v88, v86, vcc
	s_waitcnt vmcnt(0) lgkmcnt(0)
	buffer_store_dword v91, off, s[0:3], 0 offset:332
	buffer_store_dword v90, off, s[0:3], 0 offset:328
	flat_load_dwordx2 v[87:88], v[85:86]
	s_mov_b64 s[8:9], -1
	s_waitcnt vmcnt(0) lgkmcnt(0)
	buffer_store_dword v88, off, s[0:3], 0 offset:340
	buffer_store_dword v87, off, s[0:3], 0 offset:336
	s_cbranch_scc1 .LBB106_184
; %bb.4:
	v_cmp_eq_u32_e64 s[4:5], 0, v0
	s_and_saveexec_b64 s[8:9], s[4:5]
; %bb.5:
	v_mov_b32_e32 v87, 0
	ds_write_b32 v87, v87 offset:344
; %bb.6:
	s_or_b64 exec, exec, s[8:9]
	v_mov_b32_e32 v87, 0
	v_lshl_add_u32 v91, v0, 3, v87
	s_waitcnt lgkmcnt(0)
	; wave barrier
	buffer_load_dword v87, v91, s[0:3], 0 offen
	buffer_load_dword v88, v91, s[0:3], 0 offen offset:4
	s_waitcnt vmcnt(1)
	v_cmp_eq_f32_e32 vcc, 0, v87
	s_waitcnt vmcnt(0)
	v_cmp_eq_f32_e64 s[8:9], 0, v88
	s_and_b64 s[8:9], vcc, s[8:9]
	s_and_saveexec_b64 s[16:17], s[8:9]
	s_cbranch_execz .LBB106_10
; %bb.7:
	v_mov_b32_e32 v87, 0
	ds_read_b32 v90, v87 offset:344
	v_add_u32_e32 v88, 1, v0
	s_waitcnt lgkmcnt(0)
	v_readfirstlane_b32 s8, v90
	s_cmp_eq_u32 s8, 0
	s_cselect_b64 s[18:19], -1, 0
	v_cmp_gt_i32_e32 vcc, s8, v88
	s_or_b64 s[18:19], s[18:19], vcc
	s_and_b64 exec, exec, s[18:19]
	s_cbranch_execz .LBB106_10
; %bb.8:
	s_mov_b64 s[18:19], 0
	v_mov_b32_e32 v90, s8
.LBB106_9:                              ; =>This Inner Loop Header: Depth=1
	ds_cmpst_rtn_b32 v90, v87, v90, v88 offset:344
	s_waitcnt lgkmcnt(0)
	v_cmp_ne_u32_e32 vcc, 0, v90
	v_cmp_le_i32_e64 s[8:9], v90, v88
	s_and_b64 s[8:9], vcc, s[8:9]
	s_and_b64 s[8:9], exec, s[8:9]
	s_or_b64 s[18:19], s[8:9], s[18:19]
	s_andn2_b64 exec, exec, s[18:19]
	s_cbranch_execnz .LBB106_9
.LBB106_10:
	s_or_b64 exec, exec, s[16:17]
	v_mov_b32_e32 v88, 0
	; wave barrier
	ds_read_b32 v87, v88 offset:344
	s_and_saveexec_b64 s[8:9], s[4:5]
	s_cbranch_execz .LBB106_12
; %bb.11:
	s_lshl_b64 s[16:17], s[6:7], 2
	s_add_u32 s16, s10, s16
	s_addc_u32 s17, s11, s17
	s_waitcnt lgkmcnt(0)
	global_store_dword v88, v87, s[16:17]
.LBB106_12:
	s_or_b64 exec, exec, s[8:9]
	s_waitcnt lgkmcnt(0)
	v_cmp_ne_u32_e32 vcc, 0, v87
	s_mov_b64 s[8:9], 0
	s_cbranch_vccnz .LBB106_184
; %bb.13:
	buffer_load_dword v88, v91, s[0:3], 0 offen
	buffer_load_dword v90, v91, s[0:3], 0 offen offset:4
                                        ; implicit-def: $vgpr93
                                        ; implicit-def: $vgpr92
                                        ; implicit-def: $vgpr87
	s_waitcnt vmcnt(0)
	v_cmp_ngt_f32_e64 s[8:9], |v88|, |v90|
	s_and_saveexec_b64 s[16:17], s[8:9]
	s_xor_b64 s[8:9], exec, s[16:17]
	s_cbranch_execz .LBB106_15
; %bb.14:
	v_div_scale_f32 v87, s[16:17], v90, v90, v88
	v_div_scale_f32 v92, vcc, v88, v90, v88
	v_rcp_f32_e32 v93, v87
	v_fma_f32 v94, -v87, v93, 1.0
	v_fmac_f32_e32 v93, v94, v93
	v_mul_f32_e32 v94, v92, v93
	v_fma_f32 v95, -v87, v94, v92
	v_fmac_f32_e32 v94, v95, v93
	v_fma_f32 v87, -v87, v94, v92
	v_div_fmas_f32 v87, v87, v93, v94
	v_div_fixup_f32 v87, v87, v90, v88
	v_fmac_f32_e32 v90, v88, v87
	v_div_scale_f32 v88, s[16:17], v90, v90, 1.0
	v_div_scale_f32 v92, vcc, 1.0, v90, 1.0
	v_rcp_f32_e32 v93, v88
	v_fma_f32 v94, -v88, v93, 1.0
	v_fmac_f32_e32 v93, v94, v93
	v_mul_f32_e32 v94, v92, v93
	v_fma_f32 v95, -v88, v94, v92
	v_fmac_f32_e32 v94, v95, v93
	v_fma_f32 v88, -v88, v94, v92
	v_div_fmas_f32 v88, v88, v93, v94
	v_div_fixup_f32 v88, v88, v90, 1.0
	v_mul_f32_e32 v93, v87, v88
	v_xor_b32_e32 v92, 0x80000000, v88
	v_xor_b32_e32 v87, 0x80000000, v93
                                        ; implicit-def: $vgpr88
                                        ; implicit-def: $vgpr90
.LBB106_15:
	s_andn2_saveexec_b64 s[8:9], s[8:9]
	s_cbranch_execz .LBB106_17
; %bb.16:
	v_div_scale_f32 v87, s[16:17], v88, v88, v90
	v_div_scale_f32 v92, vcc, v90, v88, v90
	v_rcp_f32_e32 v93, v87
	v_fma_f32 v94, -v87, v93, 1.0
	v_fmac_f32_e32 v93, v94, v93
	v_mul_f32_e32 v94, v92, v93
	v_fma_f32 v95, -v87, v94, v92
	v_fmac_f32_e32 v94, v95, v93
	v_fma_f32 v87, -v87, v94, v92
	v_div_fmas_f32 v87, v87, v93, v94
	v_div_fixup_f32 v92, v87, v88, v90
	v_fmac_f32_e32 v88, v90, v92
	v_div_scale_f32 v87, s[16:17], v88, v88, 1.0
	v_div_scale_f32 v90, vcc, 1.0, v88, 1.0
	v_rcp_f32_e32 v93, v87
	v_fma_f32 v94, -v87, v93, 1.0
	v_fmac_f32_e32 v93, v94, v93
	v_mul_f32_e32 v94, v90, v93
	v_fma_f32 v95, -v87, v94, v90
	v_fmac_f32_e32 v94, v95, v93
	v_fma_f32 v87, -v87, v94, v90
	v_div_fmas_f32 v87, v87, v93, v94
	v_div_fixup_f32 v93, v87, v88, 1.0
	v_xor_b32_e32 v87, 0x80000000, v93
	v_mul_f32_e64 v92, v92, -v93
.LBB106_17:
	s_or_b64 exec, exec, s[8:9]
	buffer_store_dword v93, v91, s[0:3], 0 offen
	buffer_store_dword v92, v91, s[0:3], 0 offen offset:4
	buffer_load_dword v94, off, s[0:3], 0 offset:12
	s_nop 0
	buffer_load_dword v93, off, s[0:3], 0 offset:8
	v_xor_b32_e32 v88, 0x80000000, v92
	v_add_u32_e32 v90, 0x160, v89
	s_waitcnt vmcnt(0)
	ds_write2_b64 v89, v[87:88], v[93:94] offset1:44
	s_waitcnt lgkmcnt(0)
	; wave barrier
	s_and_saveexec_b64 s[8:9], s[4:5]
	s_cbranch_execz .LBB106_19
; %bb.18:
	buffer_load_dword v94, v91, s[0:3], 0 offen offset:4
	buffer_load_dword v95, v91, s[0:3], 0 offen
	ds_read_b64 v[87:88], v90
	v_mov_b32_e32 v92, 0
	ds_read_b64 v[92:93], v92 offset:8
	s_waitcnt vmcnt(1) lgkmcnt(1)
	v_mul_f32_e32 v96, v88, v94
	v_mul_f32_e32 v94, v87, v94
	s_waitcnt vmcnt(0)
	v_fmac_f32_e32 v94, v88, v95
	v_fma_f32 v87, v87, v95, -v96
	v_add_f32_e32 v88, 0, v94
	v_add_f32_e32 v87, 0, v87
	s_waitcnt lgkmcnt(0)
	v_mul_f32_e32 v94, v88, v93
	v_mul_f32_e32 v93, v87, v93
	v_fma_f32 v87, v87, v92, -v94
	v_fmac_f32_e32 v93, v88, v92
	buffer_store_dword v87, off, s[0:3], 0 offset:8
	buffer_store_dword v93, off, s[0:3], 0 offset:12
.LBB106_19:
	s_or_b64 exec, exec, s[8:9]
	; wave barrier
	buffer_load_dword v87, off, s[0:3], 0 offset:16
	buffer_load_dword v88, off, s[0:3], 0 offset:20
	v_cmp_gt_u32_e32 vcc, 2, v0
	s_waitcnt vmcnt(0)
	ds_write_b64 v90, v[87:88]
	s_waitcnt lgkmcnt(0)
	; wave barrier
	s_and_saveexec_b64 s[8:9], vcc
	s_cbranch_execz .LBB106_23
; %bb.20:
	buffer_load_dword v92, v91, s[0:3], 0 offen offset:4
	buffer_load_dword v93, v91, s[0:3], 0 offen
	ds_read_b64 v[87:88], v90
	s_waitcnt vmcnt(1) lgkmcnt(0)
	v_mul_f32_e32 v91, v88, v92
	v_mul_f32_e32 v92, v87, v92
	s_waitcnt vmcnt(0)
	v_fma_f32 v87, v87, v93, -v91
	v_fmac_f32_e32 v92, v88, v93
	v_add_f32_e32 v88, 0, v87
	v_add_f32_e32 v87, 0, v92
	s_and_saveexec_b64 s[16:17], s[4:5]
	s_cbranch_execz .LBB106_22
; %bb.21:
	buffer_load_dword v93, off, s[0:3], 0 offset:12
	buffer_load_dword v94, off, s[0:3], 0 offset:8
	v_mov_b32_e32 v91, 0
	ds_read_b64 v[91:92], v91 offset:360
	s_waitcnt vmcnt(1) lgkmcnt(0)
	v_mul_f32_e32 v95, v91, v93
	v_mul_f32_e32 v93, v92, v93
	s_waitcnt vmcnt(0)
	v_fmac_f32_e32 v95, v92, v94
	v_fma_f32 v91, v91, v94, -v93
	v_add_f32_e32 v87, v87, v95
	v_add_f32_e32 v88, v88, v91
.LBB106_22:
	s_or_b64 exec, exec, s[16:17]
	v_mov_b32_e32 v91, 0
	ds_read_b64 v[91:92], v91 offset:16
	s_waitcnt lgkmcnt(0)
	v_mul_f32_e32 v93, v87, v92
	v_mul_f32_e32 v92, v88, v92
	v_fma_f32 v88, v88, v91, -v93
	v_fmac_f32_e32 v92, v87, v91
	buffer_store_dword v88, off, s[0:3], 0 offset:16
	buffer_store_dword v92, off, s[0:3], 0 offset:20
.LBB106_23:
	s_or_b64 exec, exec, s[8:9]
	; wave barrier
	buffer_load_dword v87, off, s[0:3], 0 offset:24
	buffer_load_dword v88, off, s[0:3], 0 offset:28
	v_cmp_gt_u32_e32 vcc, 3, v0
	s_waitcnt vmcnt(0)
	ds_write_b64 v90, v[87:88]
	v_add_u32_e32 v87, -1, v0
	s_waitcnt lgkmcnt(0)
	; wave barrier
	s_and_saveexec_b64 s[4:5], vcc
	s_cbranch_execz .LBB106_27
; %bb.24:
	v_add_u32_e32 v91, -1, v0
	v_add_u32_e32 v92, 0x160, v89
	v_mov_b32_e32 v93, v89
	v_mov_b32_e32 v88, 0
	s_mov_b64 s[8:9], 0
	v_mov_b32_e32 v94, 0
.LBB106_25:                             ; =>This Inner Loop Header: Depth=1
	buffer_load_dword v97, v93, s[0:3], 0 offen offset:4
	buffer_load_dword v98, v93, s[0:3], 0 offen
	ds_read_b64 v[95:96], v92
	v_add_u32_e32 v91, 1, v91
	v_cmp_lt_u32_e32 vcc, 1, v91
	v_add_u32_e32 v92, 8, v92
	v_add_u32_e32 v93, 8, v93
	s_or_b64 s[8:9], vcc, s[8:9]
	s_waitcnt vmcnt(1) lgkmcnt(0)
	v_mul_f32_e32 v99, v96, v97
	v_mul_f32_e32 v97, v95, v97
	s_waitcnt vmcnt(0)
	v_fma_f32 v95, v95, v98, -v99
	v_fmac_f32_e32 v97, v96, v98
	v_add_f32_e32 v94, v94, v95
	v_add_f32_e32 v88, v88, v97
	s_andn2_b64 exec, exec, s[8:9]
	s_cbranch_execnz .LBB106_25
; %bb.26:
	s_or_b64 exec, exec, s[8:9]
	v_mov_b32_e32 v91, 0
	ds_read_b64 v[91:92], v91 offset:24
	s_waitcnt lgkmcnt(0)
	v_mul_f32_e32 v93, v88, v92
	v_mul_f32_e32 v92, v94, v92
	v_fma_f32 v93, v94, v91, -v93
	v_fmac_f32_e32 v92, v88, v91
	buffer_store_dword v93, off, s[0:3], 0 offset:24
	buffer_store_dword v92, off, s[0:3], 0 offset:28
.LBB106_27:
	s_or_b64 exec, exec, s[4:5]
	; wave barrier
	buffer_load_dword v91, off, s[0:3], 0 offset:32
	buffer_load_dword v92, off, s[0:3], 0 offset:36
	v_cmp_gt_u32_e32 vcc, 4, v0
	s_waitcnt vmcnt(0)
	ds_write_b64 v90, v[91:92]
	s_waitcnt lgkmcnt(0)
	; wave barrier
	s_and_saveexec_b64 s[4:5], vcc
	s_cbranch_execz .LBB106_31
; %bb.28:
	v_add_u32_e32 v91, -1, v0
	v_add_u32_e32 v92, 0x160, v89
	v_mov_b32_e32 v93, v89
	v_mov_b32_e32 v88, 0
	s_mov_b64 s[8:9], 0
	v_mov_b32_e32 v94, 0
.LBB106_29:                             ; =>This Inner Loop Header: Depth=1
	buffer_load_dword v97, v93, s[0:3], 0 offen offset:4
	buffer_load_dword v98, v93, s[0:3], 0 offen
	ds_read_b64 v[95:96], v92
	v_add_u32_e32 v91, 1, v91
	v_cmp_lt_u32_e32 vcc, 2, v91
	v_add_u32_e32 v92, 8, v92
	v_add_u32_e32 v93, 8, v93
	s_or_b64 s[8:9], vcc, s[8:9]
	s_waitcnt vmcnt(1) lgkmcnt(0)
	v_mul_f32_e32 v99, v96, v97
	v_mul_f32_e32 v97, v95, v97
	s_waitcnt vmcnt(0)
	v_fma_f32 v95, v95, v98, -v99
	v_fmac_f32_e32 v97, v96, v98
	v_add_f32_e32 v94, v94, v95
	v_add_f32_e32 v88, v88, v97
	s_andn2_b64 exec, exec, s[8:9]
	s_cbranch_execnz .LBB106_29
; %bb.30:
	s_or_b64 exec, exec, s[8:9]
	v_mov_b32_e32 v91, 0
	ds_read_b64 v[91:92], v91 offset:32
	s_waitcnt lgkmcnt(0)
	v_mul_f32_e32 v93, v88, v92
	v_mul_f32_e32 v92, v94, v92
	v_fma_f32 v93, v94, v91, -v93
	v_fmac_f32_e32 v92, v88, v91
	buffer_store_dword v93, off, s[0:3], 0 offset:32
	buffer_store_dword v92, off, s[0:3], 0 offset:36
.LBB106_31:
	s_or_b64 exec, exec, s[4:5]
	; wave barrier
	buffer_load_dword v91, off, s[0:3], 0 offset:40
	buffer_load_dword v92, off, s[0:3], 0 offset:44
	v_cmp_gt_u32_e32 vcc, 5, v0
	s_waitcnt vmcnt(0)
	ds_write_b64 v90, v[91:92]
	s_waitcnt lgkmcnt(0)
	; wave barrier
	s_and_saveexec_b64 s[4:5], vcc
	s_cbranch_execz .LBB106_35
; %bb.32:
	v_add_u32_e32 v91, -1, v0
	v_add_u32_e32 v92, 0x160, v89
	v_mov_b32_e32 v93, v89
	v_mov_b32_e32 v88, 0
	s_mov_b64 s[8:9], 0
	v_mov_b32_e32 v94, 0
.LBB106_33:                             ; =>This Inner Loop Header: Depth=1
	buffer_load_dword v97, v93, s[0:3], 0 offen offset:4
	buffer_load_dword v98, v93, s[0:3], 0 offen
	ds_read_b64 v[95:96], v92
	v_add_u32_e32 v91, 1, v91
	v_cmp_lt_u32_e32 vcc, 3, v91
	v_add_u32_e32 v92, 8, v92
	v_add_u32_e32 v93, 8, v93
	s_or_b64 s[8:9], vcc, s[8:9]
	s_waitcnt vmcnt(1) lgkmcnt(0)
	v_mul_f32_e32 v99, v96, v97
	v_mul_f32_e32 v97, v95, v97
	s_waitcnt vmcnt(0)
	v_fma_f32 v95, v95, v98, -v99
	v_fmac_f32_e32 v97, v96, v98
	v_add_f32_e32 v94, v94, v95
	v_add_f32_e32 v88, v88, v97
	s_andn2_b64 exec, exec, s[8:9]
	s_cbranch_execnz .LBB106_33
; %bb.34:
	s_or_b64 exec, exec, s[8:9]
	v_mov_b32_e32 v91, 0
	ds_read_b64 v[91:92], v91 offset:40
	s_waitcnt lgkmcnt(0)
	v_mul_f32_e32 v93, v88, v92
	v_mul_f32_e32 v92, v94, v92
	v_fma_f32 v93, v94, v91, -v93
	v_fmac_f32_e32 v92, v88, v91
	buffer_store_dword v93, off, s[0:3], 0 offset:40
	buffer_store_dword v92, off, s[0:3], 0 offset:44
.LBB106_35:
	s_or_b64 exec, exec, s[4:5]
	; wave barrier
	buffer_load_dword v91, off, s[0:3], 0 offset:48
	buffer_load_dword v92, off, s[0:3], 0 offset:52
	v_cmp_gt_u32_e32 vcc, 6, v0
	s_waitcnt vmcnt(0)
	ds_write_b64 v90, v[91:92]
	s_waitcnt lgkmcnt(0)
	; wave barrier
	s_and_saveexec_b64 s[4:5], vcc
	s_cbranch_execz .LBB106_39
; %bb.36:
	v_add_u32_e32 v91, -1, v0
	v_add_u32_e32 v92, 0x160, v89
	v_mov_b32_e32 v93, v89
	v_mov_b32_e32 v88, 0
	s_mov_b64 s[8:9], 0
	v_mov_b32_e32 v94, 0
.LBB106_37:                             ; =>This Inner Loop Header: Depth=1
	buffer_load_dword v97, v93, s[0:3], 0 offen offset:4
	buffer_load_dword v98, v93, s[0:3], 0 offen
	ds_read_b64 v[95:96], v92
	v_add_u32_e32 v91, 1, v91
	v_cmp_lt_u32_e32 vcc, 4, v91
	v_add_u32_e32 v92, 8, v92
	v_add_u32_e32 v93, 8, v93
	s_or_b64 s[8:9], vcc, s[8:9]
	s_waitcnt vmcnt(1) lgkmcnt(0)
	v_mul_f32_e32 v99, v96, v97
	v_mul_f32_e32 v97, v95, v97
	s_waitcnt vmcnt(0)
	v_fma_f32 v95, v95, v98, -v99
	v_fmac_f32_e32 v97, v96, v98
	v_add_f32_e32 v94, v94, v95
	v_add_f32_e32 v88, v88, v97
	s_andn2_b64 exec, exec, s[8:9]
	s_cbranch_execnz .LBB106_37
; %bb.38:
	s_or_b64 exec, exec, s[8:9]
	v_mov_b32_e32 v91, 0
	ds_read_b64 v[91:92], v91 offset:48
	s_waitcnt lgkmcnt(0)
	v_mul_f32_e32 v93, v88, v92
	v_mul_f32_e32 v92, v94, v92
	v_fma_f32 v93, v94, v91, -v93
	v_fmac_f32_e32 v92, v88, v91
	buffer_store_dword v93, off, s[0:3], 0 offset:48
	buffer_store_dword v92, off, s[0:3], 0 offset:52
.LBB106_39:
	s_or_b64 exec, exec, s[4:5]
	; wave barrier
	buffer_load_dword v91, off, s[0:3], 0 offset:56
	buffer_load_dword v92, off, s[0:3], 0 offset:60
	v_cmp_gt_u32_e32 vcc, 7, v0
	s_waitcnt vmcnt(0)
	ds_write_b64 v90, v[91:92]
	s_waitcnt lgkmcnt(0)
	; wave barrier
	s_and_saveexec_b64 s[4:5], vcc
	s_cbranch_execz .LBB106_43
; %bb.40:
	v_add_u32_e32 v91, -1, v0
	v_add_u32_e32 v92, 0x160, v89
	v_mov_b32_e32 v93, v89
	v_mov_b32_e32 v88, 0
	s_mov_b64 s[8:9], 0
	v_mov_b32_e32 v94, 0
.LBB106_41:                             ; =>This Inner Loop Header: Depth=1
	buffer_load_dword v97, v93, s[0:3], 0 offen offset:4
	buffer_load_dword v98, v93, s[0:3], 0 offen
	ds_read_b64 v[95:96], v92
	v_add_u32_e32 v91, 1, v91
	v_cmp_lt_u32_e32 vcc, 5, v91
	v_add_u32_e32 v92, 8, v92
	v_add_u32_e32 v93, 8, v93
	s_or_b64 s[8:9], vcc, s[8:9]
	s_waitcnt vmcnt(1) lgkmcnt(0)
	v_mul_f32_e32 v99, v96, v97
	v_mul_f32_e32 v97, v95, v97
	s_waitcnt vmcnt(0)
	v_fma_f32 v95, v95, v98, -v99
	v_fmac_f32_e32 v97, v96, v98
	v_add_f32_e32 v94, v94, v95
	v_add_f32_e32 v88, v88, v97
	s_andn2_b64 exec, exec, s[8:9]
	s_cbranch_execnz .LBB106_41
; %bb.42:
	s_or_b64 exec, exec, s[8:9]
	v_mov_b32_e32 v91, 0
	ds_read_b64 v[91:92], v91 offset:56
	s_waitcnt lgkmcnt(0)
	v_mul_f32_e32 v93, v88, v92
	v_mul_f32_e32 v92, v94, v92
	v_fma_f32 v93, v94, v91, -v93
	v_fmac_f32_e32 v92, v88, v91
	buffer_store_dword v93, off, s[0:3], 0 offset:56
	buffer_store_dword v92, off, s[0:3], 0 offset:60
.LBB106_43:
	s_or_b64 exec, exec, s[4:5]
	; wave barrier
	buffer_load_dword v91, off, s[0:3], 0 offset:64
	buffer_load_dword v92, off, s[0:3], 0 offset:68
	v_cmp_gt_u32_e32 vcc, 8, v0
	s_waitcnt vmcnt(0)
	ds_write_b64 v90, v[91:92]
	s_waitcnt lgkmcnt(0)
	; wave barrier
	s_and_saveexec_b64 s[4:5], vcc
	s_cbranch_execz .LBB106_47
; %bb.44:
	v_add_u32_e32 v91, -1, v0
	v_add_u32_e32 v92, 0x160, v89
	v_mov_b32_e32 v93, v89
	v_mov_b32_e32 v88, 0
	s_mov_b64 s[8:9], 0
	v_mov_b32_e32 v94, 0
.LBB106_45:                             ; =>This Inner Loop Header: Depth=1
	buffer_load_dword v97, v93, s[0:3], 0 offen offset:4
	buffer_load_dword v98, v93, s[0:3], 0 offen
	ds_read_b64 v[95:96], v92
	v_add_u32_e32 v91, 1, v91
	v_cmp_lt_u32_e32 vcc, 6, v91
	v_add_u32_e32 v92, 8, v92
	v_add_u32_e32 v93, 8, v93
	s_or_b64 s[8:9], vcc, s[8:9]
	s_waitcnt vmcnt(1) lgkmcnt(0)
	v_mul_f32_e32 v99, v96, v97
	v_mul_f32_e32 v97, v95, v97
	s_waitcnt vmcnt(0)
	v_fma_f32 v95, v95, v98, -v99
	v_fmac_f32_e32 v97, v96, v98
	v_add_f32_e32 v94, v94, v95
	v_add_f32_e32 v88, v88, v97
	s_andn2_b64 exec, exec, s[8:9]
	s_cbranch_execnz .LBB106_45
; %bb.46:
	s_or_b64 exec, exec, s[8:9]
	v_mov_b32_e32 v91, 0
	ds_read_b64 v[91:92], v91 offset:64
	s_waitcnt lgkmcnt(0)
	v_mul_f32_e32 v93, v88, v92
	v_mul_f32_e32 v92, v94, v92
	v_fma_f32 v93, v94, v91, -v93
	v_fmac_f32_e32 v92, v88, v91
	buffer_store_dword v93, off, s[0:3], 0 offset:64
	buffer_store_dword v92, off, s[0:3], 0 offset:68
.LBB106_47:
	s_or_b64 exec, exec, s[4:5]
	; wave barrier
	buffer_load_dword v91, off, s[0:3], 0 offset:72
	buffer_load_dword v92, off, s[0:3], 0 offset:76
	v_cmp_gt_u32_e32 vcc, 9, v0
	s_waitcnt vmcnt(0)
	ds_write_b64 v90, v[91:92]
	s_waitcnt lgkmcnt(0)
	; wave barrier
	s_and_saveexec_b64 s[4:5], vcc
	s_cbranch_execz .LBB106_51
; %bb.48:
	v_add_u32_e32 v91, -1, v0
	v_add_u32_e32 v92, 0x160, v89
	v_mov_b32_e32 v93, v89
	v_mov_b32_e32 v88, 0
	s_mov_b64 s[8:9], 0
	v_mov_b32_e32 v94, 0
.LBB106_49:                             ; =>This Inner Loop Header: Depth=1
	buffer_load_dword v97, v93, s[0:3], 0 offen offset:4
	buffer_load_dword v98, v93, s[0:3], 0 offen
	ds_read_b64 v[95:96], v92
	v_add_u32_e32 v91, 1, v91
	v_cmp_lt_u32_e32 vcc, 7, v91
	v_add_u32_e32 v92, 8, v92
	v_add_u32_e32 v93, 8, v93
	s_or_b64 s[8:9], vcc, s[8:9]
	s_waitcnt vmcnt(1) lgkmcnt(0)
	v_mul_f32_e32 v99, v96, v97
	v_mul_f32_e32 v97, v95, v97
	s_waitcnt vmcnt(0)
	v_fma_f32 v95, v95, v98, -v99
	v_fmac_f32_e32 v97, v96, v98
	v_add_f32_e32 v94, v94, v95
	v_add_f32_e32 v88, v88, v97
	s_andn2_b64 exec, exec, s[8:9]
	s_cbranch_execnz .LBB106_49
; %bb.50:
	s_or_b64 exec, exec, s[8:9]
	v_mov_b32_e32 v91, 0
	ds_read_b64 v[91:92], v91 offset:72
	s_waitcnt lgkmcnt(0)
	v_mul_f32_e32 v93, v88, v92
	v_mul_f32_e32 v92, v94, v92
	v_fma_f32 v93, v94, v91, -v93
	v_fmac_f32_e32 v92, v88, v91
	buffer_store_dword v93, off, s[0:3], 0 offset:72
	buffer_store_dword v92, off, s[0:3], 0 offset:76
.LBB106_51:
	s_or_b64 exec, exec, s[4:5]
	; wave barrier
	buffer_load_dword v91, off, s[0:3], 0 offset:80
	buffer_load_dword v92, off, s[0:3], 0 offset:84
	v_cmp_gt_u32_e32 vcc, 10, v0
	s_waitcnt vmcnt(0)
	ds_write_b64 v90, v[91:92]
	s_waitcnt lgkmcnt(0)
	; wave barrier
	s_and_saveexec_b64 s[4:5], vcc
	s_cbranch_execz .LBB106_55
; %bb.52:
	v_add_u32_e32 v91, -1, v0
	v_add_u32_e32 v92, 0x160, v89
	v_mov_b32_e32 v93, v89
	v_mov_b32_e32 v88, 0
	s_mov_b64 s[8:9], 0
	v_mov_b32_e32 v94, 0
.LBB106_53:                             ; =>This Inner Loop Header: Depth=1
	buffer_load_dword v97, v93, s[0:3], 0 offen offset:4
	buffer_load_dword v98, v93, s[0:3], 0 offen
	ds_read_b64 v[95:96], v92
	v_add_u32_e32 v91, 1, v91
	v_cmp_lt_u32_e32 vcc, 8, v91
	v_add_u32_e32 v92, 8, v92
	v_add_u32_e32 v93, 8, v93
	s_or_b64 s[8:9], vcc, s[8:9]
	s_waitcnt vmcnt(1) lgkmcnt(0)
	v_mul_f32_e32 v99, v96, v97
	v_mul_f32_e32 v97, v95, v97
	s_waitcnt vmcnt(0)
	v_fma_f32 v95, v95, v98, -v99
	v_fmac_f32_e32 v97, v96, v98
	v_add_f32_e32 v94, v94, v95
	v_add_f32_e32 v88, v88, v97
	s_andn2_b64 exec, exec, s[8:9]
	s_cbranch_execnz .LBB106_53
; %bb.54:
	s_or_b64 exec, exec, s[8:9]
	v_mov_b32_e32 v91, 0
	ds_read_b64 v[91:92], v91 offset:80
	s_waitcnt lgkmcnt(0)
	v_mul_f32_e32 v93, v88, v92
	v_mul_f32_e32 v92, v94, v92
	v_fma_f32 v93, v94, v91, -v93
	v_fmac_f32_e32 v92, v88, v91
	buffer_store_dword v93, off, s[0:3], 0 offset:80
	buffer_store_dword v92, off, s[0:3], 0 offset:84
.LBB106_55:
	s_or_b64 exec, exec, s[4:5]
	; wave barrier
	buffer_load_dword v91, off, s[0:3], 0 offset:88
	buffer_load_dword v92, off, s[0:3], 0 offset:92
	v_cmp_gt_u32_e32 vcc, 11, v0
	s_waitcnt vmcnt(0)
	ds_write_b64 v90, v[91:92]
	s_waitcnt lgkmcnt(0)
	; wave barrier
	s_and_saveexec_b64 s[4:5], vcc
	s_cbranch_execz .LBB106_59
; %bb.56:
	v_add_u32_e32 v91, -1, v0
	v_add_u32_e32 v92, 0x160, v89
	v_mov_b32_e32 v93, v89
	v_mov_b32_e32 v88, 0
	s_mov_b64 s[8:9], 0
	v_mov_b32_e32 v94, 0
.LBB106_57:                             ; =>This Inner Loop Header: Depth=1
	buffer_load_dword v97, v93, s[0:3], 0 offen offset:4
	buffer_load_dword v98, v93, s[0:3], 0 offen
	ds_read_b64 v[95:96], v92
	v_add_u32_e32 v91, 1, v91
	v_cmp_lt_u32_e32 vcc, 9, v91
	v_add_u32_e32 v92, 8, v92
	v_add_u32_e32 v93, 8, v93
	s_or_b64 s[8:9], vcc, s[8:9]
	s_waitcnt vmcnt(1) lgkmcnt(0)
	v_mul_f32_e32 v99, v96, v97
	v_mul_f32_e32 v97, v95, v97
	s_waitcnt vmcnt(0)
	v_fma_f32 v95, v95, v98, -v99
	v_fmac_f32_e32 v97, v96, v98
	v_add_f32_e32 v94, v94, v95
	v_add_f32_e32 v88, v88, v97
	s_andn2_b64 exec, exec, s[8:9]
	s_cbranch_execnz .LBB106_57
; %bb.58:
	s_or_b64 exec, exec, s[8:9]
	v_mov_b32_e32 v91, 0
	ds_read_b64 v[91:92], v91 offset:88
	s_waitcnt lgkmcnt(0)
	v_mul_f32_e32 v93, v88, v92
	v_mul_f32_e32 v92, v94, v92
	v_fma_f32 v93, v94, v91, -v93
	v_fmac_f32_e32 v92, v88, v91
	buffer_store_dword v93, off, s[0:3], 0 offset:88
	buffer_store_dword v92, off, s[0:3], 0 offset:92
.LBB106_59:
	s_or_b64 exec, exec, s[4:5]
	; wave barrier
	buffer_load_dword v91, off, s[0:3], 0 offset:96
	buffer_load_dword v92, off, s[0:3], 0 offset:100
	v_cmp_gt_u32_e32 vcc, 12, v0
	s_waitcnt vmcnt(0)
	ds_write_b64 v90, v[91:92]
	s_waitcnt lgkmcnt(0)
	; wave barrier
	s_and_saveexec_b64 s[4:5], vcc
	s_cbranch_execz .LBB106_63
; %bb.60:
	v_add_u32_e32 v91, -1, v0
	v_add_u32_e32 v92, 0x160, v89
	v_mov_b32_e32 v93, v89
	v_mov_b32_e32 v88, 0
	s_mov_b64 s[8:9], 0
	v_mov_b32_e32 v94, 0
.LBB106_61:                             ; =>This Inner Loop Header: Depth=1
	buffer_load_dword v97, v93, s[0:3], 0 offen offset:4
	buffer_load_dword v98, v93, s[0:3], 0 offen
	ds_read_b64 v[95:96], v92
	v_add_u32_e32 v91, 1, v91
	v_cmp_lt_u32_e32 vcc, 10, v91
	v_add_u32_e32 v92, 8, v92
	v_add_u32_e32 v93, 8, v93
	s_or_b64 s[8:9], vcc, s[8:9]
	s_waitcnt vmcnt(1) lgkmcnt(0)
	v_mul_f32_e32 v99, v96, v97
	v_mul_f32_e32 v97, v95, v97
	s_waitcnt vmcnt(0)
	v_fma_f32 v95, v95, v98, -v99
	v_fmac_f32_e32 v97, v96, v98
	v_add_f32_e32 v94, v94, v95
	v_add_f32_e32 v88, v88, v97
	s_andn2_b64 exec, exec, s[8:9]
	s_cbranch_execnz .LBB106_61
; %bb.62:
	s_or_b64 exec, exec, s[8:9]
	v_mov_b32_e32 v91, 0
	ds_read_b64 v[91:92], v91 offset:96
	s_waitcnt lgkmcnt(0)
	v_mul_f32_e32 v93, v88, v92
	v_mul_f32_e32 v92, v94, v92
	v_fma_f32 v93, v94, v91, -v93
	v_fmac_f32_e32 v92, v88, v91
	buffer_store_dword v93, off, s[0:3], 0 offset:96
	buffer_store_dword v92, off, s[0:3], 0 offset:100
.LBB106_63:
	s_or_b64 exec, exec, s[4:5]
	; wave barrier
	buffer_load_dword v91, off, s[0:3], 0 offset:104
	buffer_load_dword v92, off, s[0:3], 0 offset:108
	v_cmp_gt_u32_e32 vcc, 13, v0
	s_waitcnt vmcnt(0)
	ds_write_b64 v90, v[91:92]
	s_waitcnt lgkmcnt(0)
	; wave barrier
	s_and_saveexec_b64 s[4:5], vcc
	s_cbranch_execz .LBB106_67
; %bb.64:
	v_add_u32_e32 v91, -1, v0
	v_add_u32_e32 v92, 0x160, v89
	v_mov_b32_e32 v93, v89
	v_mov_b32_e32 v88, 0
	s_mov_b64 s[8:9], 0
	v_mov_b32_e32 v94, 0
.LBB106_65:                             ; =>This Inner Loop Header: Depth=1
	buffer_load_dword v97, v93, s[0:3], 0 offen offset:4
	buffer_load_dword v98, v93, s[0:3], 0 offen
	ds_read_b64 v[95:96], v92
	v_add_u32_e32 v91, 1, v91
	v_cmp_lt_u32_e32 vcc, 11, v91
	v_add_u32_e32 v92, 8, v92
	v_add_u32_e32 v93, 8, v93
	s_or_b64 s[8:9], vcc, s[8:9]
	s_waitcnt vmcnt(1) lgkmcnt(0)
	v_mul_f32_e32 v99, v96, v97
	v_mul_f32_e32 v97, v95, v97
	s_waitcnt vmcnt(0)
	v_fma_f32 v95, v95, v98, -v99
	v_fmac_f32_e32 v97, v96, v98
	v_add_f32_e32 v94, v94, v95
	v_add_f32_e32 v88, v88, v97
	s_andn2_b64 exec, exec, s[8:9]
	s_cbranch_execnz .LBB106_65
; %bb.66:
	s_or_b64 exec, exec, s[8:9]
	v_mov_b32_e32 v91, 0
	ds_read_b64 v[91:92], v91 offset:104
	s_waitcnt lgkmcnt(0)
	v_mul_f32_e32 v93, v88, v92
	v_mul_f32_e32 v92, v94, v92
	v_fma_f32 v93, v94, v91, -v93
	v_fmac_f32_e32 v92, v88, v91
	buffer_store_dword v93, off, s[0:3], 0 offset:104
	buffer_store_dword v92, off, s[0:3], 0 offset:108
.LBB106_67:
	s_or_b64 exec, exec, s[4:5]
	; wave barrier
	buffer_load_dword v91, off, s[0:3], 0 offset:112
	buffer_load_dword v92, off, s[0:3], 0 offset:116
	v_cmp_gt_u32_e32 vcc, 14, v0
	s_waitcnt vmcnt(0)
	ds_write_b64 v90, v[91:92]
	s_waitcnt lgkmcnt(0)
	; wave barrier
	s_and_saveexec_b64 s[4:5], vcc
	s_cbranch_execz .LBB106_71
; %bb.68:
	v_add_u32_e32 v91, -1, v0
	v_add_u32_e32 v92, 0x160, v89
	v_mov_b32_e32 v93, v89
	v_mov_b32_e32 v88, 0
	s_mov_b64 s[8:9], 0
	v_mov_b32_e32 v94, 0
.LBB106_69:                             ; =>This Inner Loop Header: Depth=1
	buffer_load_dword v97, v93, s[0:3], 0 offen offset:4
	buffer_load_dword v98, v93, s[0:3], 0 offen
	ds_read_b64 v[95:96], v92
	v_add_u32_e32 v91, 1, v91
	v_cmp_lt_u32_e32 vcc, 12, v91
	v_add_u32_e32 v92, 8, v92
	v_add_u32_e32 v93, 8, v93
	s_or_b64 s[8:9], vcc, s[8:9]
	s_waitcnt vmcnt(1) lgkmcnt(0)
	v_mul_f32_e32 v99, v96, v97
	v_mul_f32_e32 v97, v95, v97
	s_waitcnt vmcnt(0)
	v_fma_f32 v95, v95, v98, -v99
	v_fmac_f32_e32 v97, v96, v98
	v_add_f32_e32 v94, v94, v95
	v_add_f32_e32 v88, v88, v97
	s_andn2_b64 exec, exec, s[8:9]
	s_cbranch_execnz .LBB106_69
; %bb.70:
	s_or_b64 exec, exec, s[8:9]
	v_mov_b32_e32 v91, 0
	ds_read_b64 v[91:92], v91 offset:112
	s_waitcnt lgkmcnt(0)
	v_mul_f32_e32 v93, v88, v92
	v_mul_f32_e32 v92, v94, v92
	v_fma_f32 v93, v94, v91, -v93
	v_fmac_f32_e32 v92, v88, v91
	buffer_store_dword v93, off, s[0:3], 0 offset:112
	buffer_store_dword v92, off, s[0:3], 0 offset:116
.LBB106_71:
	s_or_b64 exec, exec, s[4:5]
	; wave barrier
	buffer_load_dword v91, off, s[0:3], 0 offset:120
	buffer_load_dword v92, off, s[0:3], 0 offset:124
	v_cmp_gt_u32_e32 vcc, 15, v0
	s_waitcnt vmcnt(0)
	ds_write_b64 v90, v[91:92]
	s_waitcnt lgkmcnt(0)
	; wave barrier
	s_and_saveexec_b64 s[4:5], vcc
	s_cbranch_execz .LBB106_75
; %bb.72:
	v_add_u32_e32 v91, -1, v0
	v_add_u32_e32 v92, 0x160, v89
	v_mov_b32_e32 v93, v89
	v_mov_b32_e32 v88, 0
	s_mov_b64 s[8:9], 0
	v_mov_b32_e32 v94, 0
.LBB106_73:                             ; =>This Inner Loop Header: Depth=1
	buffer_load_dword v97, v93, s[0:3], 0 offen offset:4
	buffer_load_dword v98, v93, s[0:3], 0 offen
	ds_read_b64 v[95:96], v92
	v_add_u32_e32 v91, 1, v91
	v_cmp_lt_u32_e32 vcc, 13, v91
	v_add_u32_e32 v92, 8, v92
	v_add_u32_e32 v93, 8, v93
	s_or_b64 s[8:9], vcc, s[8:9]
	s_waitcnt vmcnt(1) lgkmcnt(0)
	v_mul_f32_e32 v99, v96, v97
	v_mul_f32_e32 v97, v95, v97
	s_waitcnt vmcnt(0)
	v_fma_f32 v95, v95, v98, -v99
	v_fmac_f32_e32 v97, v96, v98
	v_add_f32_e32 v94, v94, v95
	v_add_f32_e32 v88, v88, v97
	s_andn2_b64 exec, exec, s[8:9]
	s_cbranch_execnz .LBB106_73
; %bb.74:
	s_or_b64 exec, exec, s[8:9]
	v_mov_b32_e32 v91, 0
	ds_read_b64 v[91:92], v91 offset:120
	s_waitcnt lgkmcnt(0)
	v_mul_f32_e32 v93, v88, v92
	v_mul_f32_e32 v92, v94, v92
	v_fma_f32 v93, v94, v91, -v93
	v_fmac_f32_e32 v92, v88, v91
	buffer_store_dword v93, off, s[0:3], 0 offset:120
	buffer_store_dword v92, off, s[0:3], 0 offset:124
.LBB106_75:
	s_or_b64 exec, exec, s[4:5]
	; wave barrier
	buffer_load_dword v91, off, s[0:3], 0 offset:128
	buffer_load_dword v92, off, s[0:3], 0 offset:132
	v_cmp_gt_u32_e32 vcc, 16, v0
	s_waitcnt vmcnt(0)
	ds_write_b64 v90, v[91:92]
	s_waitcnt lgkmcnt(0)
	; wave barrier
	s_and_saveexec_b64 s[4:5], vcc
	s_cbranch_execz .LBB106_79
; %bb.76:
	v_add_u32_e32 v91, -1, v0
	v_add_u32_e32 v92, 0x160, v89
	v_mov_b32_e32 v93, v89
	v_mov_b32_e32 v88, 0
	s_mov_b64 s[8:9], 0
	v_mov_b32_e32 v94, 0
.LBB106_77:                             ; =>This Inner Loop Header: Depth=1
	buffer_load_dword v97, v93, s[0:3], 0 offen offset:4
	buffer_load_dword v98, v93, s[0:3], 0 offen
	ds_read_b64 v[95:96], v92
	v_add_u32_e32 v91, 1, v91
	v_cmp_lt_u32_e32 vcc, 14, v91
	v_add_u32_e32 v92, 8, v92
	v_add_u32_e32 v93, 8, v93
	s_or_b64 s[8:9], vcc, s[8:9]
	s_waitcnt vmcnt(1) lgkmcnt(0)
	v_mul_f32_e32 v99, v96, v97
	v_mul_f32_e32 v97, v95, v97
	s_waitcnt vmcnt(0)
	v_fma_f32 v95, v95, v98, -v99
	v_fmac_f32_e32 v97, v96, v98
	v_add_f32_e32 v94, v94, v95
	v_add_f32_e32 v88, v88, v97
	s_andn2_b64 exec, exec, s[8:9]
	s_cbranch_execnz .LBB106_77
; %bb.78:
	s_or_b64 exec, exec, s[8:9]
	v_mov_b32_e32 v91, 0
	ds_read_b64 v[91:92], v91 offset:128
	s_waitcnt lgkmcnt(0)
	v_mul_f32_e32 v93, v88, v92
	v_mul_f32_e32 v92, v94, v92
	v_fma_f32 v93, v94, v91, -v93
	v_fmac_f32_e32 v92, v88, v91
	buffer_store_dword v93, off, s[0:3], 0 offset:128
	buffer_store_dword v92, off, s[0:3], 0 offset:132
.LBB106_79:
	s_or_b64 exec, exec, s[4:5]
	; wave barrier
	buffer_load_dword v91, off, s[0:3], 0 offset:136
	buffer_load_dword v92, off, s[0:3], 0 offset:140
	v_cmp_gt_u32_e32 vcc, 17, v0
	s_waitcnt vmcnt(0)
	ds_write_b64 v90, v[91:92]
	s_waitcnt lgkmcnt(0)
	; wave barrier
	s_and_saveexec_b64 s[4:5], vcc
	s_cbranch_execz .LBB106_83
; %bb.80:
	v_add_u32_e32 v91, -1, v0
	v_add_u32_e32 v92, 0x160, v89
	v_mov_b32_e32 v93, v89
	v_mov_b32_e32 v88, 0
	s_mov_b64 s[8:9], 0
	v_mov_b32_e32 v94, 0
.LBB106_81:                             ; =>This Inner Loop Header: Depth=1
	buffer_load_dword v97, v93, s[0:3], 0 offen offset:4
	buffer_load_dword v98, v93, s[0:3], 0 offen
	ds_read_b64 v[95:96], v92
	v_add_u32_e32 v91, 1, v91
	v_cmp_lt_u32_e32 vcc, 15, v91
	v_add_u32_e32 v92, 8, v92
	v_add_u32_e32 v93, 8, v93
	s_or_b64 s[8:9], vcc, s[8:9]
	s_waitcnt vmcnt(1) lgkmcnt(0)
	v_mul_f32_e32 v99, v96, v97
	v_mul_f32_e32 v97, v95, v97
	s_waitcnt vmcnt(0)
	v_fma_f32 v95, v95, v98, -v99
	v_fmac_f32_e32 v97, v96, v98
	v_add_f32_e32 v94, v94, v95
	v_add_f32_e32 v88, v88, v97
	s_andn2_b64 exec, exec, s[8:9]
	s_cbranch_execnz .LBB106_81
; %bb.82:
	s_or_b64 exec, exec, s[8:9]
	v_mov_b32_e32 v91, 0
	ds_read_b64 v[91:92], v91 offset:136
	s_waitcnt lgkmcnt(0)
	v_mul_f32_e32 v93, v88, v92
	v_mul_f32_e32 v92, v94, v92
	v_fma_f32 v93, v94, v91, -v93
	v_fmac_f32_e32 v92, v88, v91
	buffer_store_dword v93, off, s[0:3], 0 offset:136
	buffer_store_dword v92, off, s[0:3], 0 offset:140
.LBB106_83:
	s_or_b64 exec, exec, s[4:5]
	; wave barrier
	buffer_load_dword v91, off, s[0:3], 0 offset:144
	buffer_load_dword v92, off, s[0:3], 0 offset:148
	v_cmp_gt_u32_e32 vcc, 18, v0
	s_waitcnt vmcnt(0)
	ds_write_b64 v90, v[91:92]
	s_waitcnt lgkmcnt(0)
	; wave barrier
	s_and_saveexec_b64 s[4:5], vcc
	s_cbranch_execz .LBB106_87
; %bb.84:
	v_add_u32_e32 v91, -1, v0
	v_add_u32_e32 v92, 0x160, v89
	v_mov_b32_e32 v93, v89
	v_mov_b32_e32 v88, 0
	s_mov_b64 s[8:9], 0
	v_mov_b32_e32 v94, 0
.LBB106_85:                             ; =>This Inner Loop Header: Depth=1
	buffer_load_dword v97, v93, s[0:3], 0 offen offset:4
	buffer_load_dword v98, v93, s[0:3], 0 offen
	ds_read_b64 v[95:96], v92
	v_add_u32_e32 v91, 1, v91
	v_cmp_lt_u32_e32 vcc, 16, v91
	v_add_u32_e32 v92, 8, v92
	v_add_u32_e32 v93, 8, v93
	s_or_b64 s[8:9], vcc, s[8:9]
	s_waitcnt vmcnt(1) lgkmcnt(0)
	v_mul_f32_e32 v99, v96, v97
	v_mul_f32_e32 v97, v95, v97
	s_waitcnt vmcnt(0)
	v_fma_f32 v95, v95, v98, -v99
	v_fmac_f32_e32 v97, v96, v98
	v_add_f32_e32 v94, v94, v95
	v_add_f32_e32 v88, v88, v97
	s_andn2_b64 exec, exec, s[8:9]
	s_cbranch_execnz .LBB106_85
; %bb.86:
	s_or_b64 exec, exec, s[8:9]
	v_mov_b32_e32 v91, 0
	ds_read_b64 v[91:92], v91 offset:144
	s_waitcnt lgkmcnt(0)
	v_mul_f32_e32 v93, v88, v92
	v_mul_f32_e32 v92, v94, v92
	v_fma_f32 v93, v94, v91, -v93
	v_fmac_f32_e32 v92, v88, v91
	buffer_store_dword v93, off, s[0:3], 0 offset:144
	buffer_store_dword v92, off, s[0:3], 0 offset:148
.LBB106_87:
	s_or_b64 exec, exec, s[4:5]
	; wave barrier
	buffer_load_dword v91, off, s[0:3], 0 offset:152
	buffer_load_dword v92, off, s[0:3], 0 offset:156
	v_cmp_gt_u32_e32 vcc, 19, v0
	s_waitcnt vmcnt(0)
	ds_write_b64 v90, v[91:92]
	s_waitcnt lgkmcnt(0)
	; wave barrier
	s_and_saveexec_b64 s[4:5], vcc
	s_cbranch_execz .LBB106_91
; %bb.88:
	v_add_u32_e32 v91, -1, v0
	v_add_u32_e32 v92, 0x160, v89
	v_mov_b32_e32 v93, v89
	v_mov_b32_e32 v88, 0
	s_mov_b64 s[8:9], 0
	v_mov_b32_e32 v94, 0
.LBB106_89:                             ; =>This Inner Loop Header: Depth=1
	buffer_load_dword v97, v93, s[0:3], 0 offen offset:4
	buffer_load_dword v98, v93, s[0:3], 0 offen
	ds_read_b64 v[95:96], v92
	v_add_u32_e32 v91, 1, v91
	v_cmp_lt_u32_e32 vcc, 17, v91
	v_add_u32_e32 v92, 8, v92
	v_add_u32_e32 v93, 8, v93
	s_or_b64 s[8:9], vcc, s[8:9]
	s_waitcnt vmcnt(1) lgkmcnt(0)
	v_mul_f32_e32 v99, v96, v97
	v_mul_f32_e32 v97, v95, v97
	s_waitcnt vmcnt(0)
	v_fma_f32 v95, v95, v98, -v99
	v_fmac_f32_e32 v97, v96, v98
	v_add_f32_e32 v94, v94, v95
	v_add_f32_e32 v88, v88, v97
	s_andn2_b64 exec, exec, s[8:9]
	s_cbranch_execnz .LBB106_89
; %bb.90:
	s_or_b64 exec, exec, s[8:9]
	v_mov_b32_e32 v91, 0
	ds_read_b64 v[91:92], v91 offset:152
	s_waitcnt lgkmcnt(0)
	v_mul_f32_e32 v93, v88, v92
	v_mul_f32_e32 v92, v94, v92
	v_fma_f32 v93, v94, v91, -v93
	v_fmac_f32_e32 v92, v88, v91
	buffer_store_dword v93, off, s[0:3], 0 offset:152
	buffer_store_dword v92, off, s[0:3], 0 offset:156
.LBB106_91:
	s_or_b64 exec, exec, s[4:5]
	; wave barrier
	buffer_load_dword v91, off, s[0:3], 0 offset:160
	buffer_load_dword v92, off, s[0:3], 0 offset:164
	v_cmp_gt_u32_e32 vcc, 20, v0
	s_waitcnt vmcnt(0)
	ds_write_b64 v90, v[91:92]
	s_waitcnt lgkmcnt(0)
	; wave barrier
	s_and_saveexec_b64 s[4:5], vcc
	s_cbranch_execz .LBB106_95
; %bb.92:
	v_add_u32_e32 v91, -1, v0
	v_add_u32_e32 v92, 0x160, v89
	v_mov_b32_e32 v93, v89
	v_mov_b32_e32 v88, 0
	s_mov_b64 s[8:9], 0
	v_mov_b32_e32 v94, 0
.LBB106_93:                             ; =>This Inner Loop Header: Depth=1
	buffer_load_dword v97, v93, s[0:3], 0 offen offset:4
	buffer_load_dword v98, v93, s[0:3], 0 offen
	ds_read_b64 v[95:96], v92
	v_add_u32_e32 v91, 1, v91
	v_cmp_lt_u32_e32 vcc, 18, v91
	v_add_u32_e32 v92, 8, v92
	v_add_u32_e32 v93, 8, v93
	s_or_b64 s[8:9], vcc, s[8:9]
	s_waitcnt vmcnt(1) lgkmcnt(0)
	v_mul_f32_e32 v99, v96, v97
	v_mul_f32_e32 v97, v95, v97
	s_waitcnt vmcnt(0)
	v_fma_f32 v95, v95, v98, -v99
	v_fmac_f32_e32 v97, v96, v98
	v_add_f32_e32 v94, v94, v95
	v_add_f32_e32 v88, v88, v97
	s_andn2_b64 exec, exec, s[8:9]
	s_cbranch_execnz .LBB106_93
; %bb.94:
	s_or_b64 exec, exec, s[8:9]
	v_mov_b32_e32 v91, 0
	ds_read_b64 v[91:92], v91 offset:160
	s_waitcnt lgkmcnt(0)
	v_mul_f32_e32 v93, v88, v92
	v_mul_f32_e32 v92, v94, v92
	v_fma_f32 v93, v94, v91, -v93
	v_fmac_f32_e32 v92, v88, v91
	buffer_store_dword v93, off, s[0:3], 0 offset:160
	buffer_store_dword v92, off, s[0:3], 0 offset:164
.LBB106_95:
	s_or_b64 exec, exec, s[4:5]
	; wave barrier
	buffer_load_dword v91, off, s[0:3], 0 offset:168
	buffer_load_dword v92, off, s[0:3], 0 offset:172
	v_cmp_gt_u32_e32 vcc, 21, v0
	s_waitcnt vmcnt(0)
	ds_write_b64 v90, v[91:92]
	s_waitcnt lgkmcnt(0)
	; wave barrier
	s_and_saveexec_b64 s[4:5], vcc
	s_cbranch_execz .LBB106_99
; %bb.96:
	v_add_u32_e32 v91, -1, v0
	v_add_u32_e32 v92, 0x160, v89
	v_mov_b32_e32 v93, v89
	v_mov_b32_e32 v88, 0
	s_mov_b64 s[8:9], 0
	v_mov_b32_e32 v94, 0
.LBB106_97:                             ; =>This Inner Loop Header: Depth=1
	buffer_load_dword v97, v93, s[0:3], 0 offen offset:4
	buffer_load_dword v98, v93, s[0:3], 0 offen
	ds_read_b64 v[95:96], v92
	v_add_u32_e32 v91, 1, v91
	v_cmp_lt_u32_e32 vcc, 19, v91
	v_add_u32_e32 v92, 8, v92
	v_add_u32_e32 v93, 8, v93
	s_or_b64 s[8:9], vcc, s[8:9]
	s_waitcnt vmcnt(1) lgkmcnt(0)
	v_mul_f32_e32 v99, v96, v97
	v_mul_f32_e32 v97, v95, v97
	s_waitcnt vmcnt(0)
	v_fma_f32 v95, v95, v98, -v99
	v_fmac_f32_e32 v97, v96, v98
	v_add_f32_e32 v94, v94, v95
	v_add_f32_e32 v88, v88, v97
	s_andn2_b64 exec, exec, s[8:9]
	s_cbranch_execnz .LBB106_97
; %bb.98:
	s_or_b64 exec, exec, s[8:9]
	v_mov_b32_e32 v91, 0
	ds_read_b64 v[91:92], v91 offset:168
	s_waitcnt lgkmcnt(0)
	v_mul_f32_e32 v93, v88, v92
	v_mul_f32_e32 v92, v94, v92
	v_fma_f32 v93, v94, v91, -v93
	v_fmac_f32_e32 v92, v88, v91
	buffer_store_dword v93, off, s[0:3], 0 offset:168
	buffer_store_dword v92, off, s[0:3], 0 offset:172
.LBB106_99:
	s_or_b64 exec, exec, s[4:5]
	; wave barrier
	buffer_load_dword v91, off, s[0:3], 0 offset:176
	buffer_load_dword v92, off, s[0:3], 0 offset:180
	v_cmp_gt_u32_e32 vcc, 22, v0
	s_waitcnt vmcnt(0)
	ds_write_b64 v90, v[91:92]
	s_waitcnt lgkmcnt(0)
	; wave barrier
	s_and_saveexec_b64 s[4:5], vcc
	s_cbranch_execz .LBB106_103
; %bb.100:
	v_add_u32_e32 v91, -1, v0
	v_add_u32_e32 v92, 0x160, v89
	v_mov_b32_e32 v93, v89
	v_mov_b32_e32 v88, 0
	s_mov_b64 s[8:9], 0
	v_mov_b32_e32 v94, 0
.LBB106_101:                            ; =>This Inner Loop Header: Depth=1
	buffer_load_dword v97, v93, s[0:3], 0 offen offset:4
	buffer_load_dword v98, v93, s[0:3], 0 offen
	ds_read_b64 v[95:96], v92
	v_add_u32_e32 v91, 1, v91
	v_cmp_lt_u32_e32 vcc, 20, v91
	v_add_u32_e32 v92, 8, v92
	v_add_u32_e32 v93, 8, v93
	s_or_b64 s[8:9], vcc, s[8:9]
	s_waitcnt vmcnt(1) lgkmcnt(0)
	v_mul_f32_e32 v99, v96, v97
	v_mul_f32_e32 v97, v95, v97
	s_waitcnt vmcnt(0)
	v_fma_f32 v95, v95, v98, -v99
	v_fmac_f32_e32 v97, v96, v98
	v_add_f32_e32 v94, v94, v95
	v_add_f32_e32 v88, v88, v97
	s_andn2_b64 exec, exec, s[8:9]
	s_cbranch_execnz .LBB106_101
; %bb.102:
	s_or_b64 exec, exec, s[8:9]
	v_mov_b32_e32 v91, 0
	ds_read_b64 v[91:92], v91 offset:176
	s_waitcnt lgkmcnt(0)
	v_mul_f32_e32 v93, v88, v92
	v_mul_f32_e32 v92, v94, v92
	v_fma_f32 v93, v94, v91, -v93
	v_fmac_f32_e32 v92, v88, v91
	buffer_store_dword v93, off, s[0:3], 0 offset:176
	buffer_store_dword v92, off, s[0:3], 0 offset:180
.LBB106_103:
	s_or_b64 exec, exec, s[4:5]
	; wave barrier
	buffer_load_dword v91, off, s[0:3], 0 offset:184
	buffer_load_dword v92, off, s[0:3], 0 offset:188
	v_cmp_gt_u32_e32 vcc, 23, v0
	s_waitcnt vmcnt(0)
	ds_write_b64 v90, v[91:92]
	s_waitcnt lgkmcnt(0)
	; wave barrier
	s_and_saveexec_b64 s[4:5], vcc
	s_cbranch_execz .LBB106_107
; %bb.104:
	v_add_u32_e32 v91, -1, v0
	v_add_u32_e32 v92, 0x160, v89
	v_mov_b32_e32 v93, v89
	v_mov_b32_e32 v88, 0
	s_mov_b64 s[8:9], 0
	v_mov_b32_e32 v94, 0
.LBB106_105:                            ; =>This Inner Loop Header: Depth=1
	buffer_load_dword v97, v93, s[0:3], 0 offen offset:4
	buffer_load_dword v98, v93, s[0:3], 0 offen
	ds_read_b64 v[95:96], v92
	v_add_u32_e32 v91, 1, v91
	v_cmp_lt_u32_e32 vcc, 21, v91
	v_add_u32_e32 v92, 8, v92
	v_add_u32_e32 v93, 8, v93
	s_or_b64 s[8:9], vcc, s[8:9]
	s_waitcnt vmcnt(1) lgkmcnt(0)
	v_mul_f32_e32 v99, v96, v97
	v_mul_f32_e32 v97, v95, v97
	s_waitcnt vmcnt(0)
	v_fma_f32 v95, v95, v98, -v99
	v_fmac_f32_e32 v97, v96, v98
	v_add_f32_e32 v94, v94, v95
	v_add_f32_e32 v88, v88, v97
	s_andn2_b64 exec, exec, s[8:9]
	s_cbranch_execnz .LBB106_105
; %bb.106:
	s_or_b64 exec, exec, s[8:9]
	v_mov_b32_e32 v91, 0
	ds_read_b64 v[91:92], v91 offset:184
	s_waitcnt lgkmcnt(0)
	v_mul_f32_e32 v93, v88, v92
	v_mul_f32_e32 v92, v94, v92
	v_fma_f32 v93, v94, v91, -v93
	v_fmac_f32_e32 v92, v88, v91
	buffer_store_dword v93, off, s[0:3], 0 offset:184
	buffer_store_dword v92, off, s[0:3], 0 offset:188
.LBB106_107:
	s_or_b64 exec, exec, s[4:5]
	; wave barrier
	buffer_load_dword v91, off, s[0:3], 0 offset:192
	buffer_load_dword v92, off, s[0:3], 0 offset:196
	v_cmp_gt_u32_e32 vcc, 24, v0
	s_waitcnt vmcnt(0)
	ds_write_b64 v90, v[91:92]
	s_waitcnt lgkmcnt(0)
	; wave barrier
	s_and_saveexec_b64 s[4:5], vcc
	s_cbranch_execz .LBB106_111
; %bb.108:
	v_add_u32_e32 v91, -1, v0
	v_add_u32_e32 v92, 0x160, v89
	v_mov_b32_e32 v93, v89
	v_mov_b32_e32 v88, 0
	s_mov_b64 s[8:9], 0
	v_mov_b32_e32 v94, 0
.LBB106_109:                            ; =>This Inner Loop Header: Depth=1
	buffer_load_dword v97, v93, s[0:3], 0 offen offset:4
	buffer_load_dword v98, v93, s[0:3], 0 offen
	ds_read_b64 v[95:96], v92
	v_add_u32_e32 v91, 1, v91
	v_cmp_lt_u32_e32 vcc, 22, v91
	v_add_u32_e32 v92, 8, v92
	v_add_u32_e32 v93, 8, v93
	s_or_b64 s[8:9], vcc, s[8:9]
	s_waitcnt vmcnt(1) lgkmcnt(0)
	v_mul_f32_e32 v99, v96, v97
	v_mul_f32_e32 v97, v95, v97
	s_waitcnt vmcnt(0)
	v_fma_f32 v95, v95, v98, -v99
	v_fmac_f32_e32 v97, v96, v98
	v_add_f32_e32 v94, v94, v95
	v_add_f32_e32 v88, v88, v97
	s_andn2_b64 exec, exec, s[8:9]
	s_cbranch_execnz .LBB106_109
; %bb.110:
	s_or_b64 exec, exec, s[8:9]
	v_mov_b32_e32 v91, 0
	ds_read_b64 v[91:92], v91 offset:192
	s_waitcnt lgkmcnt(0)
	v_mul_f32_e32 v93, v88, v92
	v_mul_f32_e32 v92, v94, v92
	v_fma_f32 v93, v94, v91, -v93
	v_fmac_f32_e32 v92, v88, v91
	buffer_store_dword v93, off, s[0:3], 0 offset:192
	buffer_store_dword v92, off, s[0:3], 0 offset:196
.LBB106_111:
	s_or_b64 exec, exec, s[4:5]
	; wave barrier
	buffer_load_dword v91, off, s[0:3], 0 offset:200
	buffer_load_dword v92, off, s[0:3], 0 offset:204
	v_cmp_gt_u32_e32 vcc, 25, v0
	s_waitcnt vmcnt(0)
	ds_write_b64 v90, v[91:92]
	s_waitcnt lgkmcnt(0)
	; wave barrier
	s_and_saveexec_b64 s[4:5], vcc
	s_cbranch_execz .LBB106_115
; %bb.112:
	v_add_u32_e32 v91, -1, v0
	v_add_u32_e32 v92, 0x160, v89
	v_mov_b32_e32 v93, v89
	v_mov_b32_e32 v88, 0
	s_mov_b64 s[8:9], 0
	v_mov_b32_e32 v94, 0
.LBB106_113:                            ; =>This Inner Loop Header: Depth=1
	buffer_load_dword v97, v93, s[0:3], 0 offen offset:4
	buffer_load_dword v98, v93, s[0:3], 0 offen
	ds_read_b64 v[95:96], v92
	v_add_u32_e32 v91, 1, v91
	v_cmp_lt_u32_e32 vcc, 23, v91
	v_add_u32_e32 v92, 8, v92
	v_add_u32_e32 v93, 8, v93
	s_or_b64 s[8:9], vcc, s[8:9]
	s_waitcnt vmcnt(1) lgkmcnt(0)
	v_mul_f32_e32 v99, v96, v97
	v_mul_f32_e32 v97, v95, v97
	s_waitcnt vmcnt(0)
	v_fma_f32 v95, v95, v98, -v99
	v_fmac_f32_e32 v97, v96, v98
	v_add_f32_e32 v94, v94, v95
	v_add_f32_e32 v88, v88, v97
	s_andn2_b64 exec, exec, s[8:9]
	s_cbranch_execnz .LBB106_113
; %bb.114:
	s_or_b64 exec, exec, s[8:9]
	v_mov_b32_e32 v91, 0
	ds_read_b64 v[91:92], v91 offset:200
	s_waitcnt lgkmcnt(0)
	v_mul_f32_e32 v93, v88, v92
	v_mul_f32_e32 v92, v94, v92
	v_fma_f32 v93, v94, v91, -v93
	v_fmac_f32_e32 v92, v88, v91
	buffer_store_dword v93, off, s[0:3], 0 offset:200
	buffer_store_dword v92, off, s[0:3], 0 offset:204
.LBB106_115:
	s_or_b64 exec, exec, s[4:5]
	; wave barrier
	buffer_load_dword v91, off, s[0:3], 0 offset:208
	buffer_load_dword v92, off, s[0:3], 0 offset:212
	v_cmp_gt_u32_e32 vcc, 26, v0
	s_waitcnt vmcnt(0)
	ds_write_b64 v90, v[91:92]
	s_waitcnt lgkmcnt(0)
	; wave barrier
	s_and_saveexec_b64 s[4:5], vcc
	s_cbranch_execz .LBB106_119
; %bb.116:
	v_add_u32_e32 v91, -1, v0
	v_add_u32_e32 v92, 0x160, v89
	v_mov_b32_e32 v93, v89
	v_mov_b32_e32 v88, 0
	s_mov_b64 s[8:9], 0
	v_mov_b32_e32 v94, 0
.LBB106_117:                            ; =>This Inner Loop Header: Depth=1
	buffer_load_dword v97, v93, s[0:3], 0 offen offset:4
	buffer_load_dword v98, v93, s[0:3], 0 offen
	ds_read_b64 v[95:96], v92
	v_add_u32_e32 v91, 1, v91
	v_cmp_lt_u32_e32 vcc, 24, v91
	v_add_u32_e32 v92, 8, v92
	v_add_u32_e32 v93, 8, v93
	s_or_b64 s[8:9], vcc, s[8:9]
	s_waitcnt vmcnt(1) lgkmcnt(0)
	v_mul_f32_e32 v99, v96, v97
	v_mul_f32_e32 v97, v95, v97
	s_waitcnt vmcnt(0)
	v_fma_f32 v95, v95, v98, -v99
	v_fmac_f32_e32 v97, v96, v98
	v_add_f32_e32 v94, v94, v95
	v_add_f32_e32 v88, v88, v97
	s_andn2_b64 exec, exec, s[8:9]
	s_cbranch_execnz .LBB106_117
; %bb.118:
	s_or_b64 exec, exec, s[8:9]
	v_mov_b32_e32 v91, 0
	ds_read_b64 v[91:92], v91 offset:208
	s_waitcnt lgkmcnt(0)
	v_mul_f32_e32 v93, v88, v92
	v_mul_f32_e32 v92, v94, v92
	v_fma_f32 v93, v94, v91, -v93
	v_fmac_f32_e32 v92, v88, v91
	buffer_store_dword v93, off, s[0:3], 0 offset:208
	buffer_store_dword v92, off, s[0:3], 0 offset:212
.LBB106_119:
	s_or_b64 exec, exec, s[4:5]
	; wave barrier
	buffer_load_dword v91, off, s[0:3], 0 offset:216
	buffer_load_dword v92, off, s[0:3], 0 offset:220
	v_cmp_gt_u32_e32 vcc, 27, v0
	s_waitcnt vmcnt(0)
	ds_write_b64 v90, v[91:92]
	s_waitcnt lgkmcnt(0)
	; wave barrier
	s_and_saveexec_b64 s[4:5], vcc
	s_cbranch_execz .LBB106_123
; %bb.120:
	v_add_u32_e32 v91, -1, v0
	v_add_u32_e32 v92, 0x160, v89
	v_mov_b32_e32 v93, v89
	v_mov_b32_e32 v88, 0
	s_mov_b64 s[8:9], 0
	v_mov_b32_e32 v94, 0
.LBB106_121:                            ; =>This Inner Loop Header: Depth=1
	buffer_load_dword v97, v93, s[0:3], 0 offen offset:4
	buffer_load_dword v98, v93, s[0:3], 0 offen
	ds_read_b64 v[95:96], v92
	v_add_u32_e32 v91, 1, v91
	v_cmp_lt_u32_e32 vcc, 25, v91
	v_add_u32_e32 v92, 8, v92
	v_add_u32_e32 v93, 8, v93
	s_or_b64 s[8:9], vcc, s[8:9]
	s_waitcnt vmcnt(1) lgkmcnt(0)
	v_mul_f32_e32 v99, v96, v97
	v_mul_f32_e32 v97, v95, v97
	s_waitcnt vmcnt(0)
	v_fma_f32 v95, v95, v98, -v99
	v_fmac_f32_e32 v97, v96, v98
	v_add_f32_e32 v94, v94, v95
	v_add_f32_e32 v88, v88, v97
	s_andn2_b64 exec, exec, s[8:9]
	s_cbranch_execnz .LBB106_121
; %bb.122:
	s_or_b64 exec, exec, s[8:9]
	v_mov_b32_e32 v91, 0
	ds_read_b64 v[91:92], v91 offset:216
	s_waitcnt lgkmcnt(0)
	v_mul_f32_e32 v93, v88, v92
	v_mul_f32_e32 v92, v94, v92
	v_fma_f32 v93, v94, v91, -v93
	v_fmac_f32_e32 v92, v88, v91
	buffer_store_dword v93, off, s[0:3], 0 offset:216
	buffer_store_dword v92, off, s[0:3], 0 offset:220
.LBB106_123:
	s_or_b64 exec, exec, s[4:5]
	; wave barrier
	buffer_load_dword v91, off, s[0:3], 0 offset:224
	buffer_load_dword v92, off, s[0:3], 0 offset:228
	v_cmp_gt_u32_e32 vcc, 28, v0
	s_waitcnt vmcnt(0)
	ds_write_b64 v90, v[91:92]
	s_waitcnt lgkmcnt(0)
	; wave barrier
	s_and_saveexec_b64 s[4:5], vcc
	s_cbranch_execz .LBB106_127
; %bb.124:
	v_add_u32_e32 v91, -1, v0
	v_add_u32_e32 v92, 0x160, v89
	v_mov_b32_e32 v93, v89
	v_mov_b32_e32 v88, 0
	s_mov_b64 s[8:9], 0
	v_mov_b32_e32 v94, 0
.LBB106_125:                            ; =>This Inner Loop Header: Depth=1
	buffer_load_dword v97, v93, s[0:3], 0 offen offset:4
	buffer_load_dword v98, v93, s[0:3], 0 offen
	ds_read_b64 v[95:96], v92
	v_add_u32_e32 v91, 1, v91
	v_cmp_lt_u32_e32 vcc, 26, v91
	v_add_u32_e32 v92, 8, v92
	v_add_u32_e32 v93, 8, v93
	s_or_b64 s[8:9], vcc, s[8:9]
	s_waitcnt vmcnt(1) lgkmcnt(0)
	v_mul_f32_e32 v99, v96, v97
	v_mul_f32_e32 v97, v95, v97
	s_waitcnt vmcnt(0)
	v_fma_f32 v95, v95, v98, -v99
	v_fmac_f32_e32 v97, v96, v98
	v_add_f32_e32 v94, v94, v95
	v_add_f32_e32 v88, v88, v97
	s_andn2_b64 exec, exec, s[8:9]
	s_cbranch_execnz .LBB106_125
; %bb.126:
	s_or_b64 exec, exec, s[8:9]
	v_mov_b32_e32 v91, 0
	ds_read_b64 v[91:92], v91 offset:224
	s_waitcnt lgkmcnt(0)
	v_mul_f32_e32 v93, v88, v92
	v_mul_f32_e32 v92, v94, v92
	v_fma_f32 v93, v94, v91, -v93
	v_fmac_f32_e32 v92, v88, v91
	buffer_store_dword v93, off, s[0:3], 0 offset:224
	buffer_store_dword v92, off, s[0:3], 0 offset:228
.LBB106_127:
	s_or_b64 exec, exec, s[4:5]
	; wave barrier
	buffer_load_dword v91, off, s[0:3], 0 offset:232
	buffer_load_dword v92, off, s[0:3], 0 offset:236
	v_cmp_gt_u32_e32 vcc, 29, v0
	s_waitcnt vmcnt(0)
	ds_write_b64 v90, v[91:92]
	s_waitcnt lgkmcnt(0)
	; wave barrier
	s_and_saveexec_b64 s[4:5], vcc
	s_cbranch_execz .LBB106_131
; %bb.128:
	v_add_u32_e32 v91, -1, v0
	v_add_u32_e32 v92, 0x160, v89
	v_mov_b32_e32 v93, v89
	v_mov_b32_e32 v88, 0
	s_mov_b64 s[8:9], 0
	v_mov_b32_e32 v94, 0
.LBB106_129:                            ; =>This Inner Loop Header: Depth=1
	buffer_load_dword v97, v93, s[0:3], 0 offen offset:4
	buffer_load_dword v98, v93, s[0:3], 0 offen
	ds_read_b64 v[95:96], v92
	v_add_u32_e32 v91, 1, v91
	v_cmp_lt_u32_e32 vcc, 27, v91
	v_add_u32_e32 v92, 8, v92
	v_add_u32_e32 v93, 8, v93
	s_or_b64 s[8:9], vcc, s[8:9]
	s_waitcnt vmcnt(1) lgkmcnt(0)
	v_mul_f32_e32 v99, v96, v97
	v_mul_f32_e32 v97, v95, v97
	s_waitcnt vmcnt(0)
	v_fma_f32 v95, v95, v98, -v99
	v_fmac_f32_e32 v97, v96, v98
	v_add_f32_e32 v94, v94, v95
	v_add_f32_e32 v88, v88, v97
	s_andn2_b64 exec, exec, s[8:9]
	s_cbranch_execnz .LBB106_129
; %bb.130:
	s_or_b64 exec, exec, s[8:9]
	v_mov_b32_e32 v91, 0
	ds_read_b64 v[91:92], v91 offset:232
	s_waitcnt lgkmcnt(0)
	v_mul_f32_e32 v93, v88, v92
	v_mul_f32_e32 v92, v94, v92
	v_fma_f32 v93, v94, v91, -v93
	v_fmac_f32_e32 v92, v88, v91
	buffer_store_dword v93, off, s[0:3], 0 offset:232
	buffer_store_dword v92, off, s[0:3], 0 offset:236
.LBB106_131:
	s_or_b64 exec, exec, s[4:5]
	; wave barrier
	buffer_load_dword v91, off, s[0:3], 0 offset:240
	buffer_load_dword v92, off, s[0:3], 0 offset:244
	v_cmp_gt_u32_e32 vcc, 30, v0
	s_waitcnt vmcnt(0)
	ds_write_b64 v90, v[91:92]
	s_waitcnt lgkmcnt(0)
	; wave barrier
	s_and_saveexec_b64 s[4:5], vcc
	s_cbranch_execz .LBB106_135
; %bb.132:
	v_add_u32_e32 v91, -1, v0
	v_add_u32_e32 v92, 0x160, v89
	v_mov_b32_e32 v93, v89
	v_mov_b32_e32 v88, 0
	s_mov_b64 s[8:9], 0
	v_mov_b32_e32 v94, 0
.LBB106_133:                            ; =>This Inner Loop Header: Depth=1
	buffer_load_dword v97, v93, s[0:3], 0 offen offset:4
	buffer_load_dword v98, v93, s[0:3], 0 offen
	ds_read_b64 v[95:96], v92
	v_add_u32_e32 v91, 1, v91
	v_cmp_lt_u32_e32 vcc, 28, v91
	v_add_u32_e32 v92, 8, v92
	v_add_u32_e32 v93, 8, v93
	s_or_b64 s[8:9], vcc, s[8:9]
	s_waitcnt vmcnt(1) lgkmcnt(0)
	v_mul_f32_e32 v99, v96, v97
	v_mul_f32_e32 v97, v95, v97
	s_waitcnt vmcnt(0)
	v_fma_f32 v95, v95, v98, -v99
	v_fmac_f32_e32 v97, v96, v98
	v_add_f32_e32 v94, v94, v95
	v_add_f32_e32 v88, v88, v97
	s_andn2_b64 exec, exec, s[8:9]
	s_cbranch_execnz .LBB106_133
; %bb.134:
	s_or_b64 exec, exec, s[8:9]
	v_mov_b32_e32 v91, 0
	ds_read_b64 v[91:92], v91 offset:240
	s_waitcnt lgkmcnt(0)
	v_mul_f32_e32 v93, v88, v92
	v_mul_f32_e32 v92, v94, v92
	v_fma_f32 v93, v94, v91, -v93
	v_fmac_f32_e32 v92, v88, v91
	buffer_store_dword v93, off, s[0:3], 0 offset:240
	buffer_store_dword v92, off, s[0:3], 0 offset:244
.LBB106_135:
	s_or_b64 exec, exec, s[4:5]
	; wave barrier
	buffer_load_dword v91, off, s[0:3], 0 offset:248
	buffer_load_dword v92, off, s[0:3], 0 offset:252
	v_cmp_gt_u32_e32 vcc, 31, v0
	s_waitcnt vmcnt(0)
	ds_write_b64 v90, v[91:92]
	s_waitcnt lgkmcnt(0)
	; wave barrier
	s_and_saveexec_b64 s[4:5], vcc
	s_cbranch_execz .LBB106_139
; %bb.136:
	v_add_u32_e32 v91, -1, v0
	v_add_u32_e32 v92, 0x160, v89
	v_mov_b32_e32 v93, v89
	v_mov_b32_e32 v88, 0
	s_mov_b64 s[8:9], 0
	v_mov_b32_e32 v94, 0
.LBB106_137:                            ; =>This Inner Loop Header: Depth=1
	buffer_load_dword v97, v93, s[0:3], 0 offen offset:4
	buffer_load_dword v98, v93, s[0:3], 0 offen
	ds_read_b64 v[95:96], v92
	v_add_u32_e32 v91, 1, v91
	v_cmp_lt_u32_e32 vcc, 29, v91
	v_add_u32_e32 v92, 8, v92
	v_add_u32_e32 v93, 8, v93
	s_or_b64 s[8:9], vcc, s[8:9]
	s_waitcnt vmcnt(1) lgkmcnt(0)
	v_mul_f32_e32 v99, v96, v97
	v_mul_f32_e32 v97, v95, v97
	s_waitcnt vmcnt(0)
	v_fma_f32 v95, v95, v98, -v99
	v_fmac_f32_e32 v97, v96, v98
	v_add_f32_e32 v94, v94, v95
	v_add_f32_e32 v88, v88, v97
	s_andn2_b64 exec, exec, s[8:9]
	s_cbranch_execnz .LBB106_137
; %bb.138:
	s_or_b64 exec, exec, s[8:9]
	v_mov_b32_e32 v91, 0
	ds_read_b64 v[91:92], v91 offset:248
	s_waitcnt lgkmcnt(0)
	v_mul_f32_e32 v93, v88, v92
	v_mul_f32_e32 v92, v94, v92
	v_fma_f32 v93, v94, v91, -v93
	v_fmac_f32_e32 v92, v88, v91
	buffer_store_dword v93, off, s[0:3], 0 offset:248
	buffer_store_dword v92, off, s[0:3], 0 offset:252
.LBB106_139:
	s_or_b64 exec, exec, s[4:5]
	; wave barrier
	buffer_load_dword v91, off, s[0:3], 0 offset:256
	buffer_load_dword v92, off, s[0:3], 0 offset:260
	v_cmp_gt_u32_e32 vcc, 32, v0
	s_waitcnt vmcnt(0)
	ds_write_b64 v90, v[91:92]
	s_waitcnt lgkmcnt(0)
	; wave barrier
	s_and_saveexec_b64 s[4:5], vcc
	s_cbranch_execz .LBB106_143
; %bb.140:
	v_add_u32_e32 v91, -1, v0
	v_add_u32_e32 v92, 0x160, v89
	v_mov_b32_e32 v93, v89
	v_mov_b32_e32 v88, 0
	s_mov_b64 s[8:9], 0
	v_mov_b32_e32 v94, 0
.LBB106_141:                            ; =>This Inner Loop Header: Depth=1
	buffer_load_dword v97, v93, s[0:3], 0 offen offset:4
	buffer_load_dword v98, v93, s[0:3], 0 offen
	ds_read_b64 v[95:96], v92
	v_add_u32_e32 v91, 1, v91
	v_cmp_lt_u32_e32 vcc, 30, v91
	v_add_u32_e32 v92, 8, v92
	v_add_u32_e32 v93, 8, v93
	s_or_b64 s[8:9], vcc, s[8:9]
	s_waitcnt vmcnt(1) lgkmcnt(0)
	v_mul_f32_e32 v99, v96, v97
	v_mul_f32_e32 v97, v95, v97
	s_waitcnt vmcnt(0)
	v_fma_f32 v95, v95, v98, -v99
	v_fmac_f32_e32 v97, v96, v98
	v_add_f32_e32 v94, v94, v95
	v_add_f32_e32 v88, v88, v97
	s_andn2_b64 exec, exec, s[8:9]
	s_cbranch_execnz .LBB106_141
; %bb.142:
	s_or_b64 exec, exec, s[8:9]
	v_mov_b32_e32 v91, 0
	ds_read_b64 v[91:92], v91 offset:256
	s_waitcnt lgkmcnt(0)
	v_mul_f32_e32 v93, v88, v92
	v_mul_f32_e32 v92, v94, v92
	v_fma_f32 v93, v94, v91, -v93
	v_fmac_f32_e32 v92, v88, v91
	buffer_store_dword v93, off, s[0:3], 0 offset:256
	buffer_store_dword v92, off, s[0:3], 0 offset:260
.LBB106_143:
	s_or_b64 exec, exec, s[4:5]
	; wave barrier
	buffer_load_dword v91, off, s[0:3], 0 offset:264
	buffer_load_dword v92, off, s[0:3], 0 offset:268
	v_cmp_gt_u32_e32 vcc, 33, v0
	s_waitcnt vmcnt(0)
	ds_write_b64 v90, v[91:92]
	s_waitcnt lgkmcnt(0)
	; wave barrier
	s_and_saveexec_b64 s[4:5], vcc
	s_cbranch_execz .LBB106_147
; %bb.144:
	v_add_u32_e32 v91, -1, v0
	v_add_u32_e32 v92, 0x160, v89
	v_mov_b32_e32 v93, v89
	v_mov_b32_e32 v88, 0
	s_mov_b64 s[8:9], 0
	v_mov_b32_e32 v94, 0
.LBB106_145:                            ; =>This Inner Loop Header: Depth=1
	buffer_load_dword v97, v93, s[0:3], 0 offen offset:4
	buffer_load_dword v98, v93, s[0:3], 0 offen
	ds_read_b64 v[95:96], v92
	v_add_u32_e32 v91, 1, v91
	v_cmp_lt_u32_e32 vcc, 31, v91
	v_add_u32_e32 v92, 8, v92
	v_add_u32_e32 v93, 8, v93
	s_or_b64 s[8:9], vcc, s[8:9]
	s_waitcnt vmcnt(1) lgkmcnt(0)
	v_mul_f32_e32 v99, v96, v97
	v_mul_f32_e32 v97, v95, v97
	s_waitcnt vmcnt(0)
	v_fma_f32 v95, v95, v98, -v99
	v_fmac_f32_e32 v97, v96, v98
	v_add_f32_e32 v94, v94, v95
	v_add_f32_e32 v88, v88, v97
	s_andn2_b64 exec, exec, s[8:9]
	s_cbranch_execnz .LBB106_145
; %bb.146:
	s_or_b64 exec, exec, s[8:9]
	v_mov_b32_e32 v91, 0
	ds_read_b64 v[91:92], v91 offset:264
	s_waitcnt lgkmcnt(0)
	v_mul_f32_e32 v93, v88, v92
	v_mul_f32_e32 v92, v94, v92
	v_fma_f32 v93, v94, v91, -v93
	v_fmac_f32_e32 v92, v88, v91
	buffer_store_dword v93, off, s[0:3], 0 offset:264
	buffer_store_dword v92, off, s[0:3], 0 offset:268
.LBB106_147:
	s_or_b64 exec, exec, s[4:5]
	; wave barrier
	buffer_load_dword v91, off, s[0:3], 0 offset:272
	buffer_load_dword v92, off, s[0:3], 0 offset:276
	v_cmp_gt_u32_e32 vcc, 34, v0
	s_waitcnt vmcnt(0)
	ds_write_b64 v90, v[91:92]
	s_waitcnt lgkmcnt(0)
	; wave barrier
	s_and_saveexec_b64 s[4:5], vcc
	s_cbranch_execz .LBB106_151
; %bb.148:
	v_add_u32_e32 v91, -1, v0
	v_add_u32_e32 v92, 0x160, v89
	v_mov_b32_e32 v93, v89
	v_mov_b32_e32 v88, 0
	s_mov_b64 s[8:9], 0
	v_mov_b32_e32 v94, 0
.LBB106_149:                            ; =>This Inner Loop Header: Depth=1
	buffer_load_dword v97, v93, s[0:3], 0 offen offset:4
	buffer_load_dword v98, v93, s[0:3], 0 offen
	ds_read_b64 v[95:96], v92
	v_add_u32_e32 v91, 1, v91
	v_cmp_lt_u32_e32 vcc, 32, v91
	v_add_u32_e32 v92, 8, v92
	v_add_u32_e32 v93, 8, v93
	s_or_b64 s[8:9], vcc, s[8:9]
	s_waitcnt vmcnt(1) lgkmcnt(0)
	v_mul_f32_e32 v99, v96, v97
	v_mul_f32_e32 v97, v95, v97
	s_waitcnt vmcnt(0)
	v_fma_f32 v95, v95, v98, -v99
	v_fmac_f32_e32 v97, v96, v98
	v_add_f32_e32 v94, v94, v95
	v_add_f32_e32 v88, v88, v97
	s_andn2_b64 exec, exec, s[8:9]
	s_cbranch_execnz .LBB106_149
; %bb.150:
	s_or_b64 exec, exec, s[8:9]
	v_mov_b32_e32 v91, 0
	ds_read_b64 v[91:92], v91 offset:272
	s_waitcnt lgkmcnt(0)
	v_mul_f32_e32 v93, v88, v92
	v_mul_f32_e32 v92, v94, v92
	v_fma_f32 v93, v94, v91, -v93
	v_fmac_f32_e32 v92, v88, v91
	buffer_store_dword v93, off, s[0:3], 0 offset:272
	buffer_store_dword v92, off, s[0:3], 0 offset:276
.LBB106_151:
	s_or_b64 exec, exec, s[4:5]
	; wave barrier
	buffer_load_dword v91, off, s[0:3], 0 offset:280
	buffer_load_dword v92, off, s[0:3], 0 offset:284
	v_cmp_gt_u32_e32 vcc, 35, v0
	s_waitcnt vmcnt(0)
	ds_write_b64 v90, v[91:92]
	s_waitcnt lgkmcnt(0)
	; wave barrier
	s_and_saveexec_b64 s[4:5], vcc
	s_cbranch_execz .LBB106_155
; %bb.152:
	v_add_u32_e32 v91, -1, v0
	v_add_u32_e32 v92, 0x160, v89
	v_mov_b32_e32 v93, v89
	v_mov_b32_e32 v88, 0
	s_mov_b64 s[8:9], 0
	v_mov_b32_e32 v94, 0
.LBB106_153:                            ; =>This Inner Loop Header: Depth=1
	buffer_load_dword v97, v93, s[0:3], 0 offen offset:4
	buffer_load_dword v98, v93, s[0:3], 0 offen
	ds_read_b64 v[95:96], v92
	v_add_u32_e32 v91, 1, v91
	v_cmp_lt_u32_e32 vcc, 33, v91
	v_add_u32_e32 v92, 8, v92
	v_add_u32_e32 v93, 8, v93
	s_or_b64 s[8:9], vcc, s[8:9]
	s_waitcnt vmcnt(1) lgkmcnt(0)
	v_mul_f32_e32 v99, v96, v97
	v_mul_f32_e32 v97, v95, v97
	s_waitcnt vmcnt(0)
	v_fma_f32 v95, v95, v98, -v99
	v_fmac_f32_e32 v97, v96, v98
	v_add_f32_e32 v94, v94, v95
	v_add_f32_e32 v88, v88, v97
	s_andn2_b64 exec, exec, s[8:9]
	s_cbranch_execnz .LBB106_153
; %bb.154:
	s_or_b64 exec, exec, s[8:9]
	v_mov_b32_e32 v91, 0
	ds_read_b64 v[91:92], v91 offset:280
	s_waitcnt lgkmcnt(0)
	v_mul_f32_e32 v93, v88, v92
	v_mul_f32_e32 v92, v94, v92
	v_fma_f32 v93, v94, v91, -v93
	v_fmac_f32_e32 v92, v88, v91
	buffer_store_dword v93, off, s[0:3], 0 offset:280
	buffer_store_dword v92, off, s[0:3], 0 offset:284
.LBB106_155:
	s_or_b64 exec, exec, s[4:5]
	; wave barrier
	buffer_load_dword v91, off, s[0:3], 0 offset:288
	buffer_load_dword v92, off, s[0:3], 0 offset:292
	v_cmp_gt_u32_e32 vcc, 36, v0
	s_waitcnt vmcnt(0)
	ds_write_b64 v90, v[91:92]
	s_waitcnt lgkmcnt(0)
	; wave barrier
	s_and_saveexec_b64 s[4:5], vcc
	s_cbranch_execz .LBB106_159
; %bb.156:
	v_add_u32_e32 v91, -1, v0
	v_add_u32_e32 v92, 0x160, v89
	v_mov_b32_e32 v93, v89
	v_mov_b32_e32 v88, 0
	s_mov_b64 s[8:9], 0
	v_mov_b32_e32 v94, 0
.LBB106_157:                            ; =>This Inner Loop Header: Depth=1
	buffer_load_dword v97, v93, s[0:3], 0 offen offset:4
	buffer_load_dword v98, v93, s[0:3], 0 offen
	ds_read_b64 v[95:96], v92
	v_add_u32_e32 v91, 1, v91
	v_cmp_lt_u32_e32 vcc, 34, v91
	v_add_u32_e32 v92, 8, v92
	v_add_u32_e32 v93, 8, v93
	s_or_b64 s[8:9], vcc, s[8:9]
	s_waitcnt vmcnt(1) lgkmcnt(0)
	v_mul_f32_e32 v99, v96, v97
	v_mul_f32_e32 v97, v95, v97
	s_waitcnt vmcnt(0)
	v_fma_f32 v95, v95, v98, -v99
	v_fmac_f32_e32 v97, v96, v98
	v_add_f32_e32 v94, v94, v95
	v_add_f32_e32 v88, v88, v97
	s_andn2_b64 exec, exec, s[8:9]
	s_cbranch_execnz .LBB106_157
; %bb.158:
	s_or_b64 exec, exec, s[8:9]
	v_mov_b32_e32 v91, 0
	ds_read_b64 v[91:92], v91 offset:288
	s_waitcnt lgkmcnt(0)
	v_mul_f32_e32 v93, v88, v92
	v_mul_f32_e32 v92, v94, v92
	v_fma_f32 v93, v94, v91, -v93
	v_fmac_f32_e32 v92, v88, v91
	buffer_store_dword v93, off, s[0:3], 0 offset:288
	buffer_store_dword v92, off, s[0:3], 0 offset:292
.LBB106_159:
	s_or_b64 exec, exec, s[4:5]
	; wave barrier
	buffer_load_dword v91, off, s[0:3], 0 offset:296
	buffer_load_dword v92, off, s[0:3], 0 offset:300
	v_cmp_gt_u32_e32 vcc, 37, v0
	s_waitcnt vmcnt(0)
	ds_write_b64 v90, v[91:92]
	s_waitcnt lgkmcnt(0)
	; wave barrier
	s_and_saveexec_b64 s[4:5], vcc
	s_cbranch_execz .LBB106_163
; %bb.160:
	v_add_u32_e32 v91, -1, v0
	v_add_u32_e32 v92, 0x160, v89
	v_mov_b32_e32 v93, v89
	v_mov_b32_e32 v88, 0
	s_mov_b64 s[8:9], 0
	v_mov_b32_e32 v94, 0
.LBB106_161:                            ; =>This Inner Loop Header: Depth=1
	buffer_load_dword v97, v93, s[0:3], 0 offen offset:4
	buffer_load_dword v98, v93, s[0:3], 0 offen
	ds_read_b64 v[95:96], v92
	v_add_u32_e32 v91, 1, v91
	v_cmp_lt_u32_e32 vcc, 35, v91
	v_add_u32_e32 v92, 8, v92
	v_add_u32_e32 v93, 8, v93
	s_or_b64 s[8:9], vcc, s[8:9]
	s_waitcnt vmcnt(1) lgkmcnt(0)
	v_mul_f32_e32 v99, v96, v97
	v_mul_f32_e32 v97, v95, v97
	s_waitcnt vmcnt(0)
	v_fma_f32 v95, v95, v98, -v99
	v_fmac_f32_e32 v97, v96, v98
	v_add_f32_e32 v94, v94, v95
	v_add_f32_e32 v88, v88, v97
	s_andn2_b64 exec, exec, s[8:9]
	s_cbranch_execnz .LBB106_161
; %bb.162:
	s_or_b64 exec, exec, s[8:9]
	v_mov_b32_e32 v91, 0
	ds_read_b64 v[91:92], v91 offset:296
	s_waitcnt lgkmcnt(0)
	v_mul_f32_e32 v93, v88, v92
	v_mul_f32_e32 v92, v94, v92
	v_fma_f32 v93, v94, v91, -v93
	v_fmac_f32_e32 v92, v88, v91
	buffer_store_dword v93, off, s[0:3], 0 offset:296
	buffer_store_dword v92, off, s[0:3], 0 offset:300
.LBB106_163:
	s_or_b64 exec, exec, s[4:5]
	; wave barrier
	buffer_load_dword v91, off, s[0:3], 0 offset:304
	buffer_load_dword v92, off, s[0:3], 0 offset:308
	v_cmp_gt_u32_e32 vcc, 38, v0
	s_waitcnt vmcnt(0)
	ds_write_b64 v90, v[91:92]
	s_waitcnt lgkmcnt(0)
	; wave barrier
	s_and_saveexec_b64 s[4:5], vcc
	s_cbranch_execz .LBB106_167
; %bb.164:
	v_add_u32_e32 v91, -1, v0
	v_add_u32_e32 v92, 0x160, v89
	v_mov_b32_e32 v93, v89
	v_mov_b32_e32 v88, 0
	s_mov_b64 s[8:9], 0
	v_mov_b32_e32 v94, 0
.LBB106_165:                            ; =>This Inner Loop Header: Depth=1
	buffer_load_dword v97, v93, s[0:3], 0 offen offset:4
	buffer_load_dword v98, v93, s[0:3], 0 offen
	ds_read_b64 v[95:96], v92
	v_add_u32_e32 v91, 1, v91
	v_cmp_lt_u32_e32 vcc, 36, v91
	v_add_u32_e32 v92, 8, v92
	v_add_u32_e32 v93, 8, v93
	s_or_b64 s[8:9], vcc, s[8:9]
	s_waitcnt vmcnt(1) lgkmcnt(0)
	v_mul_f32_e32 v99, v96, v97
	v_mul_f32_e32 v97, v95, v97
	s_waitcnt vmcnt(0)
	v_fma_f32 v95, v95, v98, -v99
	v_fmac_f32_e32 v97, v96, v98
	v_add_f32_e32 v94, v94, v95
	v_add_f32_e32 v88, v88, v97
	s_andn2_b64 exec, exec, s[8:9]
	s_cbranch_execnz .LBB106_165
; %bb.166:
	s_or_b64 exec, exec, s[8:9]
	v_mov_b32_e32 v91, 0
	ds_read_b64 v[91:92], v91 offset:304
	s_waitcnt lgkmcnt(0)
	v_mul_f32_e32 v93, v88, v92
	v_mul_f32_e32 v92, v94, v92
	v_fma_f32 v93, v94, v91, -v93
	v_fmac_f32_e32 v92, v88, v91
	buffer_store_dword v93, off, s[0:3], 0 offset:304
	buffer_store_dword v92, off, s[0:3], 0 offset:308
.LBB106_167:
	s_or_b64 exec, exec, s[4:5]
	; wave barrier
	buffer_load_dword v91, off, s[0:3], 0 offset:312
	buffer_load_dword v92, off, s[0:3], 0 offset:316
	v_cmp_gt_u32_e32 vcc, 39, v0
	s_waitcnt vmcnt(0)
	ds_write_b64 v90, v[91:92]
	s_waitcnt lgkmcnt(0)
	; wave barrier
	s_and_saveexec_b64 s[4:5], vcc
	s_cbranch_execz .LBB106_171
; %bb.168:
	v_add_u32_e32 v91, -1, v0
	v_add_u32_e32 v92, 0x160, v89
	v_mov_b32_e32 v93, v89
	v_mov_b32_e32 v88, 0
	s_mov_b64 s[8:9], 0
	v_mov_b32_e32 v94, 0
.LBB106_169:                            ; =>This Inner Loop Header: Depth=1
	buffer_load_dword v97, v93, s[0:3], 0 offen offset:4
	buffer_load_dword v98, v93, s[0:3], 0 offen
	ds_read_b64 v[95:96], v92
	v_add_u32_e32 v91, 1, v91
	v_cmp_lt_u32_e32 vcc, 37, v91
	v_add_u32_e32 v92, 8, v92
	v_add_u32_e32 v93, 8, v93
	s_or_b64 s[8:9], vcc, s[8:9]
	s_waitcnt vmcnt(1) lgkmcnt(0)
	v_mul_f32_e32 v99, v96, v97
	v_mul_f32_e32 v97, v95, v97
	s_waitcnt vmcnt(0)
	v_fma_f32 v95, v95, v98, -v99
	v_fmac_f32_e32 v97, v96, v98
	v_add_f32_e32 v94, v94, v95
	v_add_f32_e32 v88, v88, v97
	s_andn2_b64 exec, exec, s[8:9]
	s_cbranch_execnz .LBB106_169
; %bb.170:
	s_or_b64 exec, exec, s[8:9]
	v_mov_b32_e32 v91, 0
	ds_read_b64 v[91:92], v91 offset:312
	s_waitcnt lgkmcnt(0)
	v_mul_f32_e32 v93, v88, v92
	v_mul_f32_e32 v92, v94, v92
	v_fma_f32 v93, v94, v91, -v93
	v_fmac_f32_e32 v92, v88, v91
	buffer_store_dword v93, off, s[0:3], 0 offset:312
	buffer_store_dword v92, off, s[0:3], 0 offset:316
.LBB106_171:
	s_or_b64 exec, exec, s[4:5]
	; wave barrier
	buffer_load_dword v91, off, s[0:3], 0 offset:320
	buffer_load_dword v92, off, s[0:3], 0 offset:324
	v_cmp_gt_u32_e32 vcc, 40, v0
	s_waitcnt vmcnt(0)
	ds_write_b64 v90, v[91:92]
	s_waitcnt lgkmcnt(0)
	; wave barrier
	s_and_saveexec_b64 s[4:5], vcc
	s_cbranch_execz .LBB106_175
; %bb.172:
	v_add_u32_e32 v91, -1, v0
	v_add_u32_e32 v92, 0x160, v89
	v_mov_b32_e32 v93, v89
	v_mov_b32_e32 v88, 0
	s_mov_b64 s[8:9], 0
	v_mov_b32_e32 v94, 0
.LBB106_173:                            ; =>This Inner Loop Header: Depth=1
	buffer_load_dword v97, v93, s[0:3], 0 offen offset:4
	buffer_load_dword v98, v93, s[0:3], 0 offen
	ds_read_b64 v[95:96], v92
	v_add_u32_e32 v91, 1, v91
	v_cmp_lt_u32_e32 vcc, 38, v91
	v_add_u32_e32 v92, 8, v92
	v_add_u32_e32 v93, 8, v93
	s_or_b64 s[8:9], vcc, s[8:9]
	s_waitcnt vmcnt(1) lgkmcnt(0)
	v_mul_f32_e32 v99, v96, v97
	v_mul_f32_e32 v97, v95, v97
	s_waitcnt vmcnt(0)
	v_fma_f32 v95, v95, v98, -v99
	v_fmac_f32_e32 v97, v96, v98
	v_add_f32_e32 v94, v94, v95
	v_add_f32_e32 v88, v88, v97
	s_andn2_b64 exec, exec, s[8:9]
	s_cbranch_execnz .LBB106_173
; %bb.174:
	s_or_b64 exec, exec, s[8:9]
	v_mov_b32_e32 v91, 0
	ds_read_b64 v[91:92], v91 offset:320
	s_waitcnt lgkmcnt(0)
	v_mul_f32_e32 v93, v88, v92
	v_mul_f32_e32 v92, v94, v92
	v_fma_f32 v93, v94, v91, -v93
	v_fmac_f32_e32 v92, v88, v91
	buffer_store_dword v93, off, s[0:3], 0 offset:320
	buffer_store_dword v92, off, s[0:3], 0 offset:324
.LBB106_175:
	s_or_b64 exec, exec, s[4:5]
	; wave barrier
	buffer_load_dword v91, off, s[0:3], 0 offset:328
	buffer_load_dword v92, off, s[0:3], 0 offset:332
	v_cmp_gt_u32_e32 vcc, 41, v0
	s_waitcnt vmcnt(0)
	ds_write_b64 v90, v[91:92]
	s_waitcnt lgkmcnt(0)
	; wave barrier
	s_and_saveexec_b64 s[4:5], vcc
	s_cbranch_execz .LBB106_179
; %bb.176:
	v_add_u32_e32 v91, -1, v0
	v_add_u32_e32 v92, 0x160, v89
	v_mov_b32_e32 v93, v89
	v_mov_b32_e32 v88, 0
	s_mov_b64 s[8:9], 0
	v_mov_b32_e32 v94, 0
.LBB106_177:                            ; =>This Inner Loop Header: Depth=1
	buffer_load_dword v97, v93, s[0:3], 0 offen offset:4
	buffer_load_dword v98, v93, s[0:3], 0 offen
	ds_read_b64 v[95:96], v92
	v_add_u32_e32 v91, 1, v91
	v_cmp_lt_u32_e32 vcc, 39, v91
	v_add_u32_e32 v92, 8, v92
	v_add_u32_e32 v93, 8, v93
	s_or_b64 s[8:9], vcc, s[8:9]
	s_waitcnt vmcnt(1) lgkmcnt(0)
	v_mul_f32_e32 v99, v96, v97
	v_mul_f32_e32 v97, v95, v97
	s_waitcnt vmcnt(0)
	v_fma_f32 v95, v95, v98, -v99
	v_fmac_f32_e32 v97, v96, v98
	v_add_f32_e32 v94, v94, v95
	v_add_f32_e32 v88, v88, v97
	s_andn2_b64 exec, exec, s[8:9]
	s_cbranch_execnz .LBB106_177
; %bb.178:
	s_or_b64 exec, exec, s[8:9]
	v_mov_b32_e32 v91, 0
	ds_read_b64 v[91:92], v91 offset:328
	s_waitcnt lgkmcnt(0)
	v_mul_f32_e32 v93, v88, v92
	v_mul_f32_e32 v92, v94, v92
	v_fma_f32 v93, v94, v91, -v93
	v_fmac_f32_e32 v92, v88, v91
	buffer_store_dword v93, off, s[0:3], 0 offset:328
	buffer_store_dword v92, off, s[0:3], 0 offset:332
.LBB106_179:
	s_or_b64 exec, exec, s[4:5]
	; wave barrier
	buffer_load_dword v91, off, s[0:3], 0 offset:336
	buffer_load_dword v92, off, s[0:3], 0 offset:340
	v_cmp_ne_u32_e32 vcc, 42, v0
	s_waitcnt vmcnt(0)
	ds_write_b64 v90, v[91:92]
	s_waitcnt lgkmcnt(0)
	; wave barrier
	s_and_saveexec_b64 s[4:5], vcc
	s_cbranch_execz .LBB106_183
; %bb.180:
	v_add_u32_e32 v90, 0x160, v89
	v_mov_b32_e32 v88, 0
	s_mov_b64 s[8:9], 0
	v_mov_b32_e32 v91, 0
.LBB106_181:                            ; =>This Inner Loop Header: Depth=1
	buffer_load_dword v94, v89, s[0:3], 0 offen offset:4
	buffer_load_dword v95, v89, s[0:3], 0 offen
	ds_read_b64 v[92:93], v90
	v_add_u32_e32 v87, 1, v87
	v_cmp_lt_u32_e32 vcc, 40, v87
	v_add_u32_e32 v90, 8, v90
	v_add_u32_e32 v89, 8, v89
	s_or_b64 s[8:9], vcc, s[8:9]
	s_waitcnt vmcnt(1) lgkmcnt(0)
	v_mul_f32_e32 v96, v93, v94
	v_mul_f32_e32 v94, v92, v94
	s_waitcnt vmcnt(0)
	v_fma_f32 v92, v92, v95, -v96
	v_fmac_f32_e32 v94, v93, v95
	v_add_f32_e32 v91, v91, v92
	v_add_f32_e32 v88, v88, v94
	s_andn2_b64 exec, exec, s[8:9]
	s_cbranch_execnz .LBB106_181
; %bb.182:
	s_or_b64 exec, exec, s[8:9]
	v_mov_b32_e32 v87, 0
	ds_read_b64 v[89:90], v87 offset:336
	s_waitcnt lgkmcnt(0)
	v_mul_f32_e32 v87, v88, v90
	v_mul_f32_e32 v90, v91, v90
	v_fma_f32 v87, v91, v89, -v87
	v_fmac_f32_e32 v90, v88, v89
	buffer_store_dword v87, off, s[0:3], 0 offset:336
	buffer_store_dword v90, off, s[0:3], 0 offset:340
.LBB106_183:
	s_or_b64 exec, exec, s[4:5]
	s_mov_b64 s[8:9], -1
	; wave barrier
.LBB106_184:
	s_and_b64 vcc, exec, s[8:9]
	s_cbranch_vccz .LBB106_186
; %bb.185:
	s_lshl_b64 s[4:5], s[6:7], 2
	s_add_u32 s4, s10, s4
	s_addc_u32 s5, s11, s5
	v_mov_b32_e32 v87, 0
	global_load_dword v87, v87, s[4:5]
	s_waitcnt vmcnt(0)
	v_cmp_ne_u32_e32 vcc, 0, v87
	s_cbranch_vccz .LBB106_187
.LBB106_186:
	s_endpgm
.LBB106_187:
	v_mov_b32_e32 v87, 0x160
	v_lshl_add_u32 v87, v0, 3, v87
	v_cmp_eq_u32_e32 vcc, 42, v0
	s_and_saveexec_b64 s[4:5], vcc
	s_cbranch_execz .LBB106_189
; %bb.188:
	buffer_load_dword v88, off, s[0:3], 0 offset:328
	buffer_load_dword v89, off, s[0:3], 0 offset:332
	v_mov_b32_e32 v90, 0
	buffer_store_dword v90, off, s[0:3], 0 offset:328
	buffer_store_dword v90, off, s[0:3], 0 offset:332
	s_waitcnt vmcnt(2)
	ds_write_b64 v87, v[88:89]
.LBB106_189:
	s_or_b64 exec, exec, s[4:5]
	s_waitcnt lgkmcnt(0)
	; wave barrier
	buffer_load_dword v91, off, s[0:3], 0 offset:340
	buffer_load_dword v92, off, s[0:3], 0 offset:336
	;; [unrolled: 1-line block ×4, first 2 shown]
	v_mov_b32_e32 v88, 0
	ds_read_b64 v[89:90], v88 offset:688
	v_cmp_lt_u32_e32 vcc, 40, v0
	s_waitcnt vmcnt(3) lgkmcnt(0)
	v_mul_f32_e32 v95, v89, v91
	v_mul_f32_e32 v91, v90, v91
	s_waitcnt vmcnt(2)
	v_fma_f32 v89, v89, v92, -v91
	v_fmac_f32_e32 v95, v90, v92
	v_add_f32_e32 v89, 0, v89
	v_add_f32_e32 v90, 0, v95
	s_waitcnt vmcnt(1)
	v_sub_f32_e32 v89, v93, v89
	s_waitcnt vmcnt(0)
	v_sub_f32_e32 v90, v94, v90
	buffer_store_dword v89, off, s[0:3], 0 offset:328
	buffer_store_dword v90, off, s[0:3], 0 offset:332
	s_and_saveexec_b64 s[4:5], vcc
	s_cbranch_execz .LBB106_191
; %bb.190:
	buffer_load_dword v89, off, s[0:3], 0 offset:320
	buffer_load_dword v90, off, s[0:3], 0 offset:324
	s_waitcnt vmcnt(0)
	ds_write_b64 v87, v[89:90]
	buffer_store_dword v88, off, s[0:3], 0 offset:320
	buffer_store_dword v88, off, s[0:3], 0 offset:324
.LBB106_191:
	s_or_b64 exec, exec, s[4:5]
	s_waitcnt lgkmcnt(0)
	; wave barrier
	buffer_load_dword v92, off, s[0:3], 0 offset:332
	buffer_load_dword v93, off, s[0:3], 0 offset:340
	;; [unrolled: 1-line block ×6, first 2 shown]
	ds_read2_b64 v[88:91], v88 offset0:85 offset1:86
	v_cmp_lt_u32_e32 vcc, 39, v0
	s_waitcnt vmcnt(5) lgkmcnt(0)
	v_mul_f32_e32 v98, v88, v92
	v_mul_f32_e32 v92, v89, v92
	s_waitcnt vmcnt(4)
	v_mul_f32_e32 v99, v90, v93
	v_mul_f32_e32 v93, v91, v93
	s_waitcnt vmcnt(3)
	v_fma_f32 v88, v88, v94, -v92
	v_fmac_f32_e32 v98, v89, v94
	s_waitcnt vmcnt(2)
	v_fma_f32 v89, v90, v95, -v93
	v_add_f32_e32 v88, 0, v88
	v_fmac_f32_e32 v99, v91, v95
	v_add_f32_e32 v90, 0, v98
	v_add_f32_e32 v88, v88, v89
	;; [unrolled: 1-line block ×3, first 2 shown]
	s_waitcnt vmcnt(1)
	v_sub_f32_e32 v88, v96, v88
	s_waitcnt vmcnt(0)
	v_sub_f32_e32 v89, v97, v90
	buffer_store_dword v88, off, s[0:3], 0 offset:320
	buffer_store_dword v89, off, s[0:3], 0 offset:324
	s_and_saveexec_b64 s[4:5], vcc
	s_cbranch_execz .LBB106_193
; %bb.192:
	buffer_load_dword v88, off, s[0:3], 0 offset:312
	buffer_load_dword v89, off, s[0:3], 0 offset:316
	v_mov_b32_e32 v90, 0
	buffer_store_dword v90, off, s[0:3], 0 offset:312
	buffer_store_dword v90, off, s[0:3], 0 offset:316
	s_waitcnt vmcnt(2)
	ds_write_b64 v87, v[88:89]
.LBB106_193:
	s_or_b64 exec, exec, s[4:5]
	s_waitcnt lgkmcnt(0)
	; wave barrier
	buffer_load_dword v95, off, s[0:3], 0 offset:324
	buffer_load_dword v96, off, s[0:3], 0 offset:332
	buffer_load_dword v97, off, s[0:3], 0 offset:340
	buffer_load_dword v98, off, s[0:3], 0 offset:320
	buffer_load_dword v99, off, s[0:3], 0 offset:328
	buffer_load_dword v100, off, s[0:3], 0 offset:336
	buffer_load_dword v101, off, s[0:3], 0 offset:312
	buffer_load_dword v102, off, s[0:3], 0 offset:316
	v_mov_b32_e32 v88, 0
	ds_read_b128 v[89:92], v88 offset:672
	ds_read_b64 v[93:94], v88 offset:688
	v_cmp_lt_u32_e32 vcc, 38, v0
	s_waitcnt vmcnt(7) lgkmcnt(1)
	v_mul_f32_e32 v103, v89, v95
	v_mul_f32_e32 v95, v90, v95
	s_waitcnt vmcnt(6)
	v_mul_f32_e32 v104, v91, v96
	v_mul_f32_e32 v96, v92, v96
	s_waitcnt vmcnt(4)
	v_fma_f32 v89, v89, v98, -v95
	s_waitcnt lgkmcnt(0)
	v_mul_f32_e32 v105, v93, v97
	v_mul_f32_e32 v97, v94, v97
	v_fmac_f32_e32 v103, v90, v98
	s_waitcnt vmcnt(3)
	v_fma_f32 v90, v91, v99, -v96
	v_add_f32_e32 v89, 0, v89
	v_fmac_f32_e32 v104, v92, v99
	s_waitcnt vmcnt(2)
	v_fma_f32 v91, v93, v100, -v97
	v_add_f32_e32 v92, 0, v103
	v_add_f32_e32 v89, v89, v90
	v_fmac_f32_e32 v105, v94, v100
	v_add_f32_e32 v92, v92, v104
	v_add_f32_e32 v89, v89, v91
	;; [unrolled: 1-line block ×3, first 2 shown]
	s_waitcnt vmcnt(1)
	v_sub_f32_e32 v89, v101, v89
	s_waitcnt vmcnt(0)
	v_sub_f32_e32 v90, v102, v90
	buffer_store_dword v89, off, s[0:3], 0 offset:312
	buffer_store_dword v90, off, s[0:3], 0 offset:316
	s_and_saveexec_b64 s[4:5], vcc
	s_cbranch_execz .LBB106_195
; %bb.194:
	buffer_load_dword v89, off, s[0:3], 0 offset:304
	buffer_load_dword v90, off, s[0:3], 0 offset:308
	s_waitcnt vmcnt(0)
	ds_write_b64 v87, v[89:90]
	buffer_store_dword v88, off, s[0:3], 0 offset:304
	buffer_store_dword v88, off, s[0:3], 0 offset:308
.LBB106_195:
	s_or_b64 exec, exec, s[4:5]
	s_waitcnt lgkmcnt(0)
	; wave barrier
	buffer_load_dword v97, off, s[0:3], 0 offset:316
	buffer_load_dword v98, off, s[0:3], 0 offset:324
	;; [unrolled: 1-line block ×10, first 2 shown]
	ds_read2_b64 v[89:92], v88 offset0:83 offset1:84
	ds_read2_b64 v[93:96], v88 offset0:85 offset1:86
	v_cmp_lt_u32_e32 vcc, 37, v0
	s_waitcnt vmcnt(9) lgkmcnt(1)
	v_mul_f32_e32 v88, v89, v97
	v_mul_f32_e32 v97, v90, v97
	s_waitcnt vmcnt(8)
	v_mul_f32_e32 v107, v91, v98
	v_mul_f32_e32 v98, v92, v98
	s_waitcnt vmcnt(5)
	v_fma_f32 v89, v89, v101, -v97
	s_waitcnt lgkmcnt(0)
	v_mul_f32_e32 v108, v93, v99
	v_mul_f32_e32 v99, v94, v99
	v_fmac_f32_e32 v88, v90, v101
	s_waitcnt vmcnt(4)
	v_fma_f32 v90, v91, v102, -v98
	v_add_f32_e32 v89, 0, v89
	v_mul_f32_e32 v109, v95, v100
	v_mul_f32_e32 v100, v96, v100
	v_fmac_f32_e32 v107, v92, v102
	s_waitcnt vmcnt(3)
	v_fma_f32 v91, v93, v103, -v99
	v_add_f32_e32 v88, 0, v88
	v_add_f32_e32 v89, v89, v90
	v_fmac_f32_e32 v108, v94, v103
	s_waitcnt vmcnt(2)
	v_fma_f32 v92, v95, v104, -v100
	v_add_f32_e32 v88, v88, v107
	v_add_f32_e32 v89, v89, v91
	v_fmac_f32_e32 v109, v96, v104
	v_add_f32_e32 v88, v88, v108
	v_add_f32_e32 v89, v89, v92
	;; [unrolled: 1-line block ×3, first 2 shown]
	s_waitcnt vmcnt(1)
	v_sub_f32_e32 v89, v105, v89
	s_waitcnt vmcnt(0)
	v_sub_f32_e32 v88, v106, v88
	buffer_store_dword v89, off, s[0:3], 0 offset:304
	buffer_store_dword v88, off, s[0:3], 0 offset:308
	s_and_saveexec_b64 s[4:5], vcc
	s_cbranch_execz .LBB106_197
; %bb.196:
	buffer_load_dword v88, off, s[0:3], 0 offset:296
	buffer_load_dword v89, off, s[0:3], 0 offset:300
	v_mov_b32_e32 v90, 0
	buffer_store_dword v90, off, s[0:3], 0 offset:296
	buffer_store_dword v90, off, s[0:3], 0 offset:300
	s_waitcnt vmcnt(2)
	ds_write_b64 v87, v[88:89]
.LBB106_197:
	s_or_b64 exec, exec, s[4:5]
	s_waitcnt lgkmcnt(0)
	; wave barrier
	buffer_load_dword v99, off, s[0:3], 0 offset:308
	buffer_load_dword v100, off, s[0:3], 0 offset:316
	;; [unrolled: 1-line block ×12, first 2 shown]
	v_mov_b32_e32 v88, 0
	ds_read_b128 v[89:92], v88 offset:656
	ds_read_b128 v[93:96], v88 offset:672
	ds_read_b64 v[97:98], v88 offset:688
	v_cmp_lt_u32_e32 vcc, 36, v0
	s_waitcnt vmcnt(11) lgkmcnt(2)
	v_mul_f32_e32 v111, v89, v99
	v_mul_f32_e32 v99, v90, v99
	s_waitcnt vmcnt(10)
	v_mul_f32_e32 v112, v91, v100
	v_mul_f32_e32 v100, v92, v100
	s_waitcnt vmcnt(9) lgkmcnt(1)
	v_mul_f32_e32 v113, v93, v101
	s_waitcnt vmcnt(6)
	v_fma_f32 v89, v89, v104, -v99
	v_mul_f32_e32 v101, v94, v101
	v_fmac_f32_e32 v111, v90, v104
	s_waitcnt vmcnt(5)
	v_fma_f32 v90, v91, v105, -v100
	v_add_f32_e32 v89, 0, v89
	v_mul_f32_e32 v114, v95, v102
	v_mul_f32_e32 v102, v96, v102
	v_fmac_f32_e32 v112, v92, v105
	s_waitcnt vmcnt(4)
	v_fmac_f32_e32 v113, v94, v106
	v_fma_f32 v91, v93, v106, -v101
	v_add_f32_e32 v94, 0, v111
	v_add_f32_e32 v89, v89, v90
	s_waitcnt lgkmcnt(0)
	v_mul_f32_e32 v115, v97, v103
	v_mul_f32_e32 v103, v98, v103
	s_waitcnt vmcnt(3)
	v_fma_f32 v92, v95, v107, -v102
	v_add_f32_e32 v94, v94, v112
	v_add_f32_e32 v89, v89, v91
	v_fmac_f32_e32 v114, v96, v107
	s_waitcnt vmcnt(2)
	v_fma_f32 v93, v97, v108, -v103
	v_add_f32_e32 v90, v94, v113
	v_add_f32_e32 v89, v89, v92
	v_fmac_f32_e32 v115, v98, v108
	v_add_f32_e32 v90, v90, v114
	v_add_f32_e32 v89, v89, v93
	;; [unrolled: 1-line block ×3, first 2 shown]
	s_waitcnt vmcnt(1)
	v_sub_f32_e32 v89, v109, v89
	s_waitcnt vmcnt(0)
	v_sub_f32_e32 v90, v110, v90
	buffer_store_dword v89, off, s[0:3], 0 offset:296
	buffer_store_dword v90, off, s[0:3], 0 offset:300
	s_and_saveexec_b64 s[4:5], vcc
	s_cbranch_execz .LBB106_199
; %bb.198:
	buffer_load_dword v89, off, s[0:3], 0 offset:288
	buffer_load_dword v90, off, s[0:3], 0 offset:292
	s_waitcnt vmcnt(0)
	ds_write_b64 v87, v[89:90]
	buffer_store_dword v88, off, s[0:3], 0 offset:288
	buffer_store_dword v88, off, s[0:3], 0 offset:292
.LBB106_199:
	s_or_b64 exec, exec, s[4:5]
	s_waitcnt lgkmcnt(0)
	; wave barrier
	buffer_load_dword v101, off, s[0:3], 0 offset:300
	buffer_load_dword v102, off, s[0:3], 0 offset:308
	;; [unrolled: 1-line block ×14, first 2 shown]
	ds_read2_b64 v[89:92], v88 offset0:81 offset1:82
	ds_read2_b64 v[93:96], v88 offset0:83 offset1:84
	;; [unrolled: 1-line block ×3, first 2 shown]
	v_cmp_lt_u32_e32 vcc, 35, v0
	s_waitcnt vmcnt(13) lgkmcnt(2)
	v_mul_f32_e32 v88, v89, v101
	v_mul_f32_e32 v101, v90, v101
	s_waitcnt vmcnt(12)
	v_mul_f32_e32 v115, v91, v102
	v_mul_f32_e32 v102, v92, v102
	s_waitcnt vmcnt(11) lgkmcnt(1)
	v_mul_f32_e32 v116, v93, v103
	v_mul_f32_e32 v103, v94, v103
	s_waitcnt vmcnt(7)
	v_fma_f32 v89, v89, v107, -v101
	v_fmac_f32_e32 v88, v90, v107
	s_waitcnt vmcnt(6)
	v_fma_f32 v90, v91, v108, -v102
	v_add_f32_e32 v89, 0, v89
	v_mul_f32_e32 v117, v95, v104
	v_mul_f32_e32 v104, v96, v104
	v_fmac_f32_e32 v115, v92, v108
	s_waitcnt vmcnt(5)
	v_fma_f32 v91, v93, v109, -v103
	v_add_f32_e32 v88, 0, v88
	v_add_f32_e32 v89, v89, v90
	s_waitcnt lgkmcnt(0)
	v_mul_f32_e32 v118, v97, v105
	v_mul_f32_e32 v105, v98, v105
	v_fmac_f32_e32 v116, v94, v109
	s_waitcnt vmcnt(4)
	v_fma_f32 v92, v95, v110, -v104
	v_add_f32_e32 v88, v88, v115
	v_add_f32_e32 v89, v89, v91
	v_mul_f32_e32 v119, v99, v106
	v_mul_f32_e32 v106, v100, v106
	v_fmac_f32_e32 v117, v96, v110
	s_waitcnt vmcnt(3)
	v_fma_f32 v93, v97, v111, -v105
	v_add_f32_e32 v88, v88, v116
	v_add_f32_e32 v89, v89, v92
	v_fmac_f32_e32 v118, v98, v111
	s_waitcnt vmcnt(2)
	v_fma_f32 v94, v99, v112, -v106
	v_add_f32_e32 v88, v88, v117
	v_add_f32_e32 v89, v89, v93
	v_fmac_f32_e32 v119, v100, v112
	v_add_f32_e32 v88, v88, v118
	v_add_f32_e32 v89, v89, v94
	;; [unrolled: 1-line block ×3, first 2 shown]
	s_waitcnt vmcnt(1)
	v_sub_f32_e32 v89, v113, v89
	s_waitcnt vmcnt(0)
	v_sub_f32_e32 v88, v114, v88
	buffer_store_dword v89, off, s[0:3], 0 offset:288
	buffer_store_dword v88, off, s[0:3], 0 offset:292
	s_and_saveexec_b64 s[4:5], vcc
	s_cbranch_execz .LBB106_201
; %bb.200:
	buffer_load_dword v88, off, s[0:3], 0 offset:280
	buffer_load_dword v89, off, s[0:3], 0 offset:284
	v_mov_b32_e32 v90, 0
	buffer_store_dword v90, off, s[0:3], 0 offset:280
	buffer_store_dword v90, off, s[0:3], 0 offset:284
	s_waitcnt vmcnt(2)
	ds_write_b64 v87, v[88:89]
.LBB106_201:
	s_or_b64 exec, exec, s[4:5]
	s_waitcnt lgkmcnt(0)
	; wave barrier
	buffer_load_dword v103, off, s[0:3], 0 offset:292
	buffer_load_dword v104, off, s[0:3], 0 offset:300
	;; [unrolled: 1-line block ×16, first 2 shown]
	v_mov_b32_e32 v88, 0
	ds_read_b128 v[89:92], v88 offset:640
	ds_read_b128 v[93:96], v88 offset:656
	;; [unrolled: 1-line block ×3, first 2 shown]
	ds_read_b64 v[101:102], v88 offset:688
	v_cmp_lt_u32_e32 vcc, 34, v0
	s_waitcnt vmcnt(15) lgkmcnt(3)
	v_mul_f32_e32 v119, v89, v103
	v_mul_f32_e32 v103, v90, v103
	s_waitcnt vmcnt(14)
	v_mul_f32_e32 v120, v91, v104
	v_mul_f32_e32 v104, v92, v104
	s_waitcnt vmcnt(13) lgkmcnt(2)
	v_mul_f32_e32 v121, v93, v105
	s_waitcnt vmcnt(12)
	v_mul_f32_e32 v122, v95, v106
	v_mul_f32_e32 v105, v94, v105
	s_waitcnt vmcnt(8)
	v_fma_f32 v89, v89, v110, -v103
	v_fmac_f32_e32 v119, v90, v110
	s_waitcnt vmcnt(7)
	v_fma_f32 v90, v91, v111, -v104
	v_add_f32_e32 v89, 0, v89
	v_mul_f32_e32 v106, v96, v106
	v_fmac_f32_e32 v120, v92, v111
	s_waitcnt vmcnt(5)
	v_fmac_f32_e32 v122, v96, v113
	v_fma_f32 v91, v93, v112, -v105
	v_add_f32_e32 v96, 0, v119
	v_add_f32_e32 v89, v89, v90
	s_waitcnt lgkmcnt(1)
	v_mul_f32_e32 v123, v97, v107
	v_mul_f32_e32 v107, v98, v107
	v_fmac_f32_e32 v121, v94, v112
	v_fma_f32 v92, v95, v113, -v106
	v_add_f32_e32 v96, v96, v120
	v_add_f32_e32 v89, v89, v91
	v_mul_f32_e32 v124, v99, v108
	v_mul_f32_e32 v108, v100, v108
	s_waitcnt vmcnt(4)
	v_fma_f32 v93, v97, v114, -v107
	v_add_f32_e32 v90, v96, v121
	v_add_f32_e32 v89, v89, v92
	s_waitcnt lgkmcnt(0)
	v_mul_f32_e32 v125, v101, v109
	v_mul_f32_e32 v109, v102, v109
	v_fmac_f32_e32 v123, v98, v114
	s_waitcnt vmcnt(3)
	v_fma_f32 v94, v99, v115, -v108
	v_add_f32_e32 v90, v90, v122
	v_add_f32_e32 v89, v89, v93
	v_fmac_f32_e32 v124, v100, v115
	s_waitcnt vmcnt(2)
	v_fma_f32 v95, v101, v116, -v109
	v_add_f32_e32 v90, v90, v123
	v_add_f32_e32 v89, v89, v94
	v_fmac_f32_e32 v125, v102, v116
	v_add_f32_e32 v90, v90, v124
	v_add_f32_e32 v89, v89, v95
	;; [unrolled: 1-line block ×3, first 2 shown]
	s_waitcnt vmcnt(1)
	v_sub_f32_e32 v89, v117, v89
	s_waitcnt vmcnt(0)
	v_sub_f32_e32 v90, v118, v90
	buffer_store_dword v89, off, s[0:3], 0 offset:280
	buffer_store_dword v90, off, s[0:3], 0 offset:284
	s_and_saveexec_b64 s[4:5], vcc
	s_cbranch_execz .LBB106_203
; %bb.202:
	buffer_load_dword v89, off, s[0:3], 0 offset:272
	buffer_load_dword v90, off, s[0:3], 0 offset:276
	s_waitcnt vmcnt(0)
	ds_write_b64 v87, v[89:90]
	buffer_store_dword v88, off, s[0:3], 0 offset:272
	buffer_store_dword v88, off, s[0:3], 0 offset:276
.LBB106_203:
	s_or_b64 exec, exec, s[4:5]
	s_waitcnt lgkmcnt(0)
	; wave barrier
	ds_read2_b64 v[89:92], v88 offset0:79 offset1:80
	buffer_load_dword v105, off, s[0:3], 0 offset:272
	buffer_load_dword v106, off, s[0:3], 0 offset:276
	;; [unrolled: 1-line block ×16, first 2 shown]
	v_cmp_lt_u32_e32 vcc, 33, v0
	s_waitcnt vmcnt(12) lgkmcnt(0)
	v_mul_f32_e32 v93, v89, v108
	v_fmac_f32_e32 v93, v90, v107
	s_waitcnt vmcnt(10)
	v_mul_f32_e32 v94, v91, v110
	v_add_f32_e32 v93, 0, v93
	v_fmac_f32_e32 v94, v92, v109
	v_add_f32_e32 v97, v93, v94
	ds_read2_b64 v[93:96], v88 offset0:81 offset1:82
	v_mul_f32_e32 v90, v90, v108
	v_fma_f32 v89, v89, v107, -v90
	v_mul_f32_e32 v90, v92, v110
	v_add_f32_e32 v89, 0, v89
	s_waitcnt vmcnt(8) lgkmcnt(0)
	v_mul_f32_e32 v98, v93, v112
	v_fmac_f32_e32 v98, v94, v111
	v_add_f32_e32 v97, v97, v98
	s_waitcnt vmcnt(6)
	v_mul_f32_e32 v98, v95, v114
	v_fmac_f32_e32 v98, v96, v113
	v_add_f32_e32 v101, v97, v98
	ds_read2_b64 v[97:100], v88 offset0:83 offset1:84
	v_fma_f32 v90, v91, v109, -v90
	v_add_f32_e32 v89, v89, v90
	v_mul_f32_e32 v90, v94, v112
	v_fma_f32 v90, v93, v111, -v90
	s_waitcnt vmcnt(4) lgkmcnt(0)
	v_mul_f32_e32 v102, v97, v116
	v_fmac_f32_e32 v102, v98, v115
	v_add_f32_e32 v101, v101, v102
	s_waitcnt vmcnt(2)
	v_mul_f32_e32 v102, v99, v118
	v_fmac_f32_e32 v102, v100, v117
	v_add_f32_e32 v121, v101, v102
	ds_read2_b64 v[101:104], v88 offset0:85 offset1:86
	v_add_f32_e32 v89, v89, v90
	v_mul_f32_e32 v90, v96, v114
	v_fma_f32 v90, v95, v113, -v90
	v_add_f32_e32 v89, v89, v90
	s_waitcnt vmcnt(0) lgkmcnt(0)
	v_mul_f32_e32 v88, v101, v120
	v_fmac_f32_e32 v88, v102, v119
	v_add_f32_e32 v88, v121, v88
	buffer_load_dword v121, off, s[0:3], 0 offset:336
	buffer_load_dword v122, off, s[0:3], 0 offset:340
	v_mul_f32_e32 v90, v98, v116
	v_fma_f32 v90, v97, v115, -v90
	v_add_f32_e32 v89, v89, v90
	v_mul_f32_e32 v90, v100, v118
	v_fma_f32 v90, v99, v117, -v90
	v_add_f32_e32 v89, v89, v90
	;; [unrolled: 3-line block ×3, first 2 shown]
	s_waitcnt vmcnt(0)
	v_mul_f32_e32 v90, v104, v122
	v_mul_f32_e32 v123, v103, v122
	v_fma_f32 v90, v103, v121, -v90
	v_fmac_f32_e32 v123, v104, v121
	v_add_f32_e32 v89, v89, v90
	v_add_f32_e32 v88, v88, v123
	v_sub_f32_e32 v89, v105, v89
	v_sub_f32_e32 v88, v106, v88
	buffer_store_dword v89, off, s[0:3], 0 offset:272
	buffer_store_dword v88, off, s[0:3], 0 offset:276
	s_and_saveexec_b64 s[4:5], vcc
	s_cbranch_execz .LBB106_205
; %bb.204:
	buffer_load_dword v88, off, s[0:3], 0 offset:264
	buffer_load_dword v89, off, s[0:3], 0 offset:268
	v_mov_b32_e32 v90, 0
	buffer_store_dword v90, off, s[0:3], 0 offset:264
	buffer_store_dword v90, off, s[0:3], 0 offset:268
	s_waitcnt vmcnt(2)
	ds_write_b64 v87, v[88:89]
.LBB106_205:
	s_or_b64 exec, exec, s[4:5]
	s_waitcnt lgkmcnt(0)
	; wave barrier
	buffer_load_dword v107, off, s[0:3], 0 offset:276
	buffer_load_dword v108, off, s[0:3], 0 offset:284
	;; [unrolled: 1-line block ×20, first 2 shown]
	v_mov_b32_e32 v88, 0
	ds_read_b128 v[89:92], v88 offset:624
	ds_read_b128 v[93:96], v88 offset:640
	;; [unrolled: 1-line block ×4, first 2 shown]
	ds_read_b64 v[105:106], v88 offset:688
	v_cmp_lt_u32_e32 vcc, 32, v0
	s_waitcnt vmcnt(19) lgkmcnt(4)
	v_mul_f32_e32 v127, v89, v107
	v_mul_f32_e32 v107, v90, v107
	s_waitcnt vmcnt(18)
	v_mul_f32_e32 v128, v91, v108
	v_mul_f32_e32 v108, v92, v108
	s_waitcnt vmcnt(17) lgkmcnt(3)
	v_mul_f32_e32 v129, v93, v109
	s_waitcnt vmcnt(15) lgkmcnt(2)
	v_mul_f32_e32 v131, v97, v111
	v_mul_f32_e32 v109, v94, v109
	;; [unrolled: 1-line block ×4, first 2 shown]
	s_waitcnt vmcnt(10)
	v_fma_f32 v89, v89, v116, -v107
	v_fmac_f32_e32 v127, v90, v116
	s_waitcnt vmcnt(9)
	v_fma_f32 v90, v91, v117, -v108
	v_add_f32_e32 v89, 0, v89
	v_mul_f32_e32 v111, v98, v111
	v_fmac_f32_e32 v128, v92, v117
	s_waitcnt vmcnt(6)
	v_fmac_f32_e32 v131, v98, v120
	v_fma_f32 v91, v93, v118, -v109
	v_add_f32_e32 v98, 0, v127
	v_add_f32_e32 v89, v89, v90
	v_fmac_f32_e32 v129, v94, v118
	v_fma_f32 v92, v95, v119, -v110
	v_add_f32_e32 v98, v98, v128
	v_add_f32_e32 v89, v89, v91
	v_mul_f32_e32 v132, v99, v112
	v_mul_f32_e32 v112, v100, v112
	v_fmac_f32_e32 v130, v96, v119
	v_fma_f32 v93, v97, v120, -v111
	v_add_f32_e32 v90, v98, v129
	v_add_f32_e32 v89, v89, v92
	s_waitcnt lgkmcnt(1)
	v_mul_f32_e32 v133, v101, v113
	v_mul_f32_e32 v113, v102, v113
	s_waitcnt vmcnt(5)
	v_fma_f32 v94, v99, v121, -v112
	v_add_f32_e32 v90, v90, v130
	v_add_f32_e32 v89, v89, v93
	v_mul_f32_e32 v134, v103, v114
	v_mul_f32_e32 v114, v104, v114
	v_fmac_f32_e32 v132, v100, v121
	s_waitcnt vmcnt(4)
	v_fma_f32 v95, v101, v122, -v113
	v_add_f32_e32 v90, v90, v131
	v_add_f32_e32 v89, v89, v94
	s_waitcnt lgkmcnt(0)
	v_mul_f32_e32 v135, v105, v115
	v_mul_f32_e32 v115, v106, v115
	v_fmac_f32_e32 v133, v102, v122
	s_waitcnt vmcnt(3)
	v_fma_f32 v96, v103, v123, -v114
	v_add_f32_e32 v90, v90, v132
	v_add_f32_e32 v89, v89, v95
	v_fmac_f32_e32 v134, v104, v123
	s_waitcnt vmcnt(2)
	v_fma_f32 v97, v105, v124, -v115
	v_add_f32_e32 v90, v90, v133
	v_add_f32_e32 v89, v89, v96
	v_fmac_f32_e32 v135, v106, v124
	v_add_f32_e32 v90, v90, v134
	v_add_f32_e32 v89, v89, v97
	;; [unrolled: 1-line block ×3, first 2 shown]
	s_waitcnt vmcnt(1)
	v_sub_f32_e32 v89, v125, v89
	s_waitcnt vmcnt(0)
	v_sub_f32_e32 v90, v126, v90
	buffer_store_dword v89, off, s[0:3], 0 offset:264
	buffer_store_dword v90, off, s[0:3], 0 offset:268
	s_and_saveexec_b64 s[4:5], vcc
	s_cbranch_execz .LBB106_207
; %bb.206:
	buffer_load_dword v89, off, s[0:3], 0 offset:256
	buffer_load_dword v90, off, s[0:3], 0 offset:260
	s_waitcnt vmcnt(0)
	ds_write_b64 v87, v[89:90]
	buffer_store_dword v88, off, s[0:3], 0 offset:256
	buffer_store_dword v88, off, s[0:3], 0 offset:260
.LBB106_207:
	s_or_b64 exec, exec, s[4:5]
	s_waitcnt lgkmcnt(0)
	; wave barrier
	buffer_load_dword v109, off, s[0:3], 0 offset:268
	buffer_load_dword v110, off, s[0:3], 0 offset:276
	;; [unrolled: 1-line block ×22, first 2 shown]
	ds_read2_b64 v[89:92], v88 offset0:77 offset1:78
	ds_read2_b64 v[93:96], v88 offset0:79 offset1:80
	;; [unrolled: 1-line block ×5, first 2 shown]
	v_cmp_lt_u32_e32 vcc, 31, v0
	s_waitcnt vmcnt(21) lgkmcnt(4)
	v_mul_f32_e32 v88, v89, v109
	v_mul_f32_e32 v109, v90, v109
	s_waitcnt vmcnt(20)
	v_mul_f32_e32 v131, v91, v110
	v_mul_f32_e32 v110, v92, v110
	s_waitcnt vmcnt(19) lgkmcnt(3)
	v_mul_f32_e32 v132, v93, v111
	v_mul_f32_e32 v111, v94, v111
	s_waitcnt vmcnt(18)
	v_mul_f32_e32 v133, v95, v112
	v_mul_f32_e32 v112, v96, v112
	s_waitcnt vmcnt(17) lgkmcnt(2)
	v_mul_f32_e32 v134, v97, v113
	v_mul_f32_e32 v113, v98, v113
	s_waitcnt vmcnt(11)
	v_fma_f32 v89, v89, v119, -v109
	v_fmac_f32_e32 v88, v90, v119
	s_waitcnt vmcnt(10)
	v_fma_f32 v90, v91, v120, -v110
	v_add_f32_e32 v89, 0, v89
	v_fmac_f32_e32 v131, v92, v120
	s_waitcnt vmcnt(9)
	v_fma_f32 v91, v93, v121, -v111
	v_add_f32_e32 v88, 0, v88
	v_add_f32_e32 v89, v89, v90
	v_fmac_f32_e32 v132, v94, v121
	s_waitcnt vmcnt(8)
	v_fma_f32 v92, v95, v122, -v112
	v_add_f32_e32 v88, v88, v131
	v_add_f32_e32 v89, v89, v91
	v_mul_f32_e32 v135, v99, v114
	v_mul_f32_e32 v114, v100, v114
	v_fmac_f32_e32 v133, v96, v122
	s_waitcnt vmcnt(7)
	v_fma_f32 v93, v97, v123, -v113
	v_add_f32_e32 v88, v88, v132
	v_add_f32_e32 v89, v89, v92
	s_waitcnt lgkmcnt(1)
	v_mul_f32_e32 v136, v101, v115
	v_mul_f32_e32 v115, v102, v115
	v_fmac_f32_e32 v134, v98, v123
	s_waitcnt vmcnt(6)
	v_fma_f32 v94, v99, v124, -v114
	v_add_f32_e32 v88, v88, v133
	v_add_f32_e32 v89, v89, v93
	v_mul_f32_e32 v137, v103, v116
	v_mul_f32_e32 v116, v104, v116
	v_fmac_f32_e32 v135, v100, v124
	s_waitcnt vmcnt(5)
	v_fma_f32 v95, v101, v125, -v115
	v_add_f32_e32 v88, v88, v134
	v_add_f32_e32 v89, v89, v94
	s_waitcnt lgkmcnt(0)
	v_mul_f32_e32 v138, v105, v117
	v_mul_f32_e32 v117, v106, v117
	v_fmac_f32_e32 v136, v102, v125
	s_waitcnt vmcnt(4)
	v_fma_f32 v96, v103, v126, -v116
	v_add_f32_e32 v88, v88, v135
	v_add_f32_e32 v89, v89, v95
	v_mul_f32_e32 v139, v107, v118
	v_mul_f32_e32 v118, v108, v118
	v_fmac_f32_e32 v137, v104, v126
	s_waitcnt vmcnt(3)
	v_fma_f32 v97, v105, v127, -v117
	v_add_f32_e32 v88, v88, v136
	v_add_f32_e32 v89, v89, v96
	v_fmac_f32_e32 v138, v106, v127
	s_waitcnt vmcnt(2)
	v_fma_f32 v98, v107, v128, -v118
	v_add_f32_e32 v88, v88, v137
	v_add_f32_e32 v89, v89, v97
	v_fmac_f32_e32 v139, v108, v128
	v_add_f32_e32 v88, v88, v138
	v_add_f32_e32 v89, v89, v98
	;; [unrolled: 1-line block ×3, first 2 shown]
	s_waitcnt vmcnt(1)
	v_sub_f32_e32 v89, v129, v89
	s_waitcnt vmcnt(0)
	v_sub_f32_e32 v88, v130, v88
	buffer_store_dword v89, off, s[0:3], 0 offset:256
	buffer_store_dword v88, off, s[0:3], 0 offset:260
	s_and_saveexec_b64 s[4:5], vcc
	s_cbranch_execz .LBB106_209
; %bb.208:
	buffer_load_dword v88, off, s[0:3], 0 offset:248
	buffer_load_dword v89, off, s[0:3], 0 offset:252
	v_mov_b32_e32 v90, 0
	buffer_store_dword v90, off, s[0:3], 0 offset:248
	buffer_store_dword v90, off, s[0:3], 0 offset:252
	s_waitcnt vmcnt(2)
	ds_write_b64 v87, v[88:89]
.LBB106_209:
	s_or_b64 exec, exec, s[4:5]
	s_waitcnt lgkmcnt(0)
	; wave barrier
	buffer_load_dword v111, off, s[0:3], 0 offset:260
	buffer_load_dword v112, off, s[0:3], 0 offset:268
	;; [unrolled: 1-line block ×24, first 2 shown]
	v_mov_b32_e32 v88, 0
	ds_read_b128 v[89:92], v88 offset:608
	ds_read_b128 v[93:96], v88 offset:624
	;; [unrolled: 1-line block ×5, first 2 shown]
	ds_read_b64 v[109:110], v88 offset:688
	v_cmp_lt_u32_e32 vcc, 30, v0
	s_waitcnt vmcnt(23) lgkmcnt(5)
	v_mul_f32_e32 v135, v89, v111
	v_mul_f32_e32 v111, v90, v111
	s_waitcnt vmcnt(22)
	v_mul_f32_e32 v136, v91, v112
	v_mul_f32_e32 v112, v92, v112
	s_waitcnt vmcnt(21) lgkmcnt(4)
	v_mul_f32_e32 v137, v93, v113
	v_mul_f32_e32 v113, v94, v113
	s_waitcnt vmcnt(20)
	v_mul_f32_e32 v138, v95, v114
	s_waitcnt vmcnt(19) lgkmcnt(3)
	v_mul_f32_e32 v139, v97, v115
	v_mul_f32_e32 v114, v96, v114
	;; [unrolled: 1-line block ×3, first 2 shown]
	s_waitcnt vmcnt(18)
	v_mul_f32_e32 v140, v99, v116
	s_waitcnt vmcnt(12)
	v_fma_f32 v89, v89, v122, -v111
	v_fmac_f32_e32 v135, v90, v122
	s_waitcnt vmcnt(11)
	v_fma_f32 v90, v91, v123, -v112
	v_add_f32_e32 v89, 0, v89
	s_waitcnt vmcnt(10)
	v_fma_f32 v91, v93, v124, -v113
	v_add_f32_e32 v89, v89, v90
	v_fmac_f32_e32 v136, v92, v123
	s_waitcnt vmcnt(8)
	v_fmac_f32_e32 v139, v98, v126
	v_fma_f32 v92, v95, v125, -v114
	v_add_f32_e32 v98, 0, v135
	v_add_f32_e32 v89, v89, v91
	v_mul_f32_e32 v116, v100, v116
	v_fmac_f32_e32 v137, v94, v124
	v_fma_f32 v93, v97, v126, -v115
	v_add_f32_e32 v98, v98, v136
	v_add_f32_e32 v89, v89, v92
	s_waitcnt lgkmcnt(2)
	v_mul_f32_e32 v141, v101, v117
	v_mul_f32_e32 v117, v102, v117
	v_fmac_f32_e32 v138, v96, v125
	s_waitcnt vmcnt(7)
	v_fma_f32 v94, v99, v127, -v116
	v_add_f32_e32 v90, v98, v137
	v_add_f32_e32 v89, v89, v93
	v_mul_f32_e32 v142, v103, v118
	v_mul_f32_e32 v118, v104, v118
	s_waitcnt vmcnt(6)
	v_fma_f32 v95, v101, v128, -v117
	v_add_f32_e32 v90, v90, v138
	v_add_f32_e32 v89, v89, v94
	s_waitcnt lgkmcnt(1)
	v_mul_f32_e32 v143, v105, v119
	v_mul_f32_e32 v119, v106, v119
	v_fmac_f32_e32 v140, v100, v127
	s_waitcnt vmcnt(5)
	v_fma_f32 v96, v103, v129, -v118
	v_add_f32_e32 v90, v90, v139
	v_add_f32_e32 v89, v89, v95
	v_fmac_f32_e32 v141, v102, v128
	s_waitcnt vmcnt(4)
	v_fma_f32 v97, v105, v130, -v119
	v_add_f32_e32 v90, v90, v140
	v_add_f32_e32 v89, v89, v96
	v_mul_f32_e32 v91, v108, v120
	v_fmac_f32_e32 v142, v104, v129
	v_add_f32_e32 v90, v90, v141
	v_add_f32_e32 v89, v89, v97
	s_waitcnt vmcnt(3)
	v_fma_f32 v91, v107, v131, -v91
	v_mul_f32_e32 v144, v107, v120
	v_fmac_f32_e32 v143, v106, v130
	v_add_f32_e32 v90, v90, v142
	v_add_f32_e32 v89, v89, v91
	s_waitcnt lgkmcnt(0)
	v_mul_f32_e32 v91, v110, v121
	v_mul_f32_e32 v145, v109, v121
	v_fmac_f32_e32 v144, v108, v131
	v_add_f32_e32 v90, v90, v143
	s_waitcnt vmcnt(2)
	v_fma_f32 v91, v109, v132, -v91
	v_fmac_f32_e32 v145, v110, v132
	v_add_f32_e32 v90, v90, v144
	v_add_f32_e32 v89, v89, v91
	;; [unrolled: 1-line block ×3, first 2 shown]
	s_waitcnt vmcnt(1)
	v_sub_f32_e32 v89, v133, v89
	s_waitcnt vmcnt(0)
	v_sub_f32_e32 v90, v134, v90
	buffer_store_dword v89, off, s[0:3], 0 offset:248
	buffer_store_dword v90, off, s[0:3], 0 offset:252
	s_and_saveexec_b64 s[4:5], vcc
	s_cbranch_execz .LBB106_211
; %bb.210:
	buffer_load_dword v89, off, s[0:3], 0 offset:240
	buffer_load_dword v90, off, s[0:3], 0 offset:244
	s_waitcnt vmcnt(0)
	ds_write_b64 v87, v[89:90]
	buffer_store_dword v88, off, s[0:3], 0 offset:240
	buffer_store_dword v88, off, s[0:3], 0 offset:244
.LBB106_211:
	s_or_b64 exec, exec, s[4:5]
	s_waitcnt lgkmcnt(0)
	; wave barrier
	buffer_load_dword v113, off, s[0:3], 0 offset:252
	buffer_load_dword v114, off, s[0:3], 0 offset:260
	;; [unrolled: 1-line block ×26, first 2 shown]
	ds_read2_b64 v[89:92], v88 offset0:75 offset1:76
	ds_read2_b64 v[93:96], v88 offset0:77 offset1:78
	ds_read2_b64 v[97:100], v88 offset0:79 offset1:80
	ds_read2_b64 v[101:104], v88 offset0:81 offset1:82
	ds_read2_b64 v[105:108], v88 offset0:83 offset1:84
	ds_read2_b64 v[109:112], v88 offset0:85 offset1:86
	v_cmp_lt_u32_e32 vcc, 29, v0
	s_waitcnt vmcnt(25) lgkmcnt(5)
	v_mul_f32_e32 v88, v89, v113
	v_mul_f32_e32 v113, v90, v113
	s_waitcnt vmcnt(24)
	v_mul_f32_e32 v139, v91, v114
	v_mul_f32_e32 v114, v92, v114
	s_waitcnt vmcnt(23) lgkmcnt(4)
	v_mul_f32_e32 v140, v93, v115
	v_mul_f32_e32 v115, v94, v115
	s_waitcnt vmcnt(22)
	v_mul_f32_e32 v141, v95, v116
	v_mul_f32_e32 v116, v96, v116
	;; [unrolled: 6-line block ×3, first 2 shown]
	s_waitcnt vmcnt(13)
	v_fma_f32 v89, v89, v125, -v113
	v_fmac_f32_e32 v88, v90, v125
	s_waitcnt vmcnt(12)
	v_fma_f32 v90, v91, v126, -v114
	v_add_f32_e32 v89, 0, v89
	s_waitcnt vmcnt(11)
	v_fma_f32 v91, v93, v127, -v115
	v_add_f32_e32 v89, v89, v90
	v_fmac_f32_e32 v139, v92, v126
	s_waitcnt vmcnt(10)
	v_fma_f32 v92, v95, v128, -v116
	v_add_f32_e32 v89, v89, v91
	s_waitcnt vmcnt(9)
	v_fma_f32 v93, v97, v129, -v117
	v_add_f32_e32 v89, v89, v92
	s_waitcnt lgkmcnt(2)
	v_mul_f32_e32 v144, v101, v119
	v_mul_f32_e32 v119, v102, v119
	v_fmac_f32_e32 v140, v94, v127
	s_waitcnt vmcnt(8)
	v_fma_f32 v94, v99, v130, -v118
	v_add_f32_e32 v88, 0, v88
	v_add_f32_e32 v89, v89, v93
	v_mul_f32_e32 v145, v103, v120
	v_mul_f32_e32 v120, v104, v120
	s_waitcnt vmcnt(7)
	v_fma_f32 v95, v101, v131, -v119
	v_add_f32_e32 v88, v88, v139
	v_add_f32_e32 v89, v89, v94
	v_fmac_f32_e32 v141, v96, v128
	s_waitcnt vmcnt(6)
	v_fma_f32 v96, v103, v132, -v120
	v_add_f32_e32 v88, v88, v140
	v_add_f32_e32 v89, v89, v95
	s_waitcnt lgkmcnt(1)
	v_mul_f32_e32 v90, v106, v121
	v_fmac_f32_e32 v142, v98, v129
	v_add_f32_e32 v88, v88, v141
	v_add_f32_e32 v89, v89, v96
	s_waitcnt vmcnt(5)
	v_fma_f32 v90, v105, v133, -v90
	v_fmac_f32_e32 v143, v100, v130
	v_add_f32_e32 v88, v88, v142
	v_add_f32_e32 v89, v89, v90
	v_mul_f32_e32 v90, v108, v122
	v_fmac_f32_e32 v144, v102, v131
	v_add_f32_e32 v88, v88, v143
	s_waitcnt vmcnt(4)
	v_fma_f32 v90, v107, v134, -v90
	v_mul_f32_e32 v146, v105, v121
	v_fmac_f32_e32 v145, v104, v132
	v_add_f32_e32 v88, v88, v144
	v_add_f32_e32 v89, v89, v90
	s_waitcnt lgkmcnt(0)
	v_mul_f32_e32 v90, v110, v123
	v_mul_f32_e32 v147, v107, v122
	v_fmac_f32_e32 v146, v106, v133
	v_add_f32_e32 v88, v88, v145
	s_waitcnt vmcnt(3)
	v_fma_f32 v90, v109, v135, -v90
	v_mul_f32_e32 v148, v109, v123
	v_fmac_f32_e32 v147, v108, v134
	v_add_f32_e32 v88, v88, v146
	v_add_f32_e32 v89, v89, v90
	v_mul_f32_e32 v90, v112, v124
	v_mul_f32_e32 v149, v111, v124
	v_fmac_f32_e32 v148, v110, v135
	v_add_f32_e32 v88, v88, v147
	s_waitcnt vmcnt(2)
	v_fma_f32 v90, v111, v136, -v90
	v_fmac_f32_e32 v149, v112, v136
	v_add_f32_e32 v88, v88, v148
	v_add_f32_e32 v89, v89, v90
	;; [unrolled: 1-line block ×3, first 2 shown]
	s_waitcnt vmcnt(1)
	v_sub_f32_e32 v89, v137, v89
	s_waitcnt vmcnt(0)
	v_sub_f32_e32 v88, v138, v88
	buffer_store_dword v89, off, s[0:3], 0 offset:240
	buffer_store_dword v88, off, s[0:3], 0 offset:244
	s_and_saveexec_b64 s[4:5], vcc
	s_cbranch_execz .LBB106_213
; %bb.212:
	buffer_load_dword v88, off, s[0:3], 0 offset:232
	buffer_load_dword v89, off, s[0:3], 0 offset:236
	v_mov_b32_e32 v90, 0
	buffer_store_dword v90, off, s[0:3], 0 offset:232
	buffer_store_dword v90, off, s[0:3], 0 offset:236
	s_waitcnt vmcnt(2)
	ds_write_b64 v87, v[88:89]
.LBB106_213:
	s_or_b64 exec, exec, s[4:5]
	s_waitcnt lgkmcnt(0)
	; wave barrier
	buffer_load_dword v115, off, s[0:3], 0 offset:244
	buffer_load_dword v116, off, s[0:3], 0 offset:252
	;; [unrolled: 1-line block ×28, first 2 shown]
	v_mov_b32_e32 v88, 0
	ds_read_b128 v[89:92], v88 offset:592
	ds_read_b128 v[93:96], v88 offset:608
	;; [unrolled: 1-line block ×6, first 2 shown]
	ds_read_b64 v[113:114], v88 offset:688
	v_cmp_lt_u32_e32 vcc, 28, v0
	s_waitcnt vmcnt(27) lgkmcnt(6)
	v_mul_f32_e32 v143, v89, v115
	v_mul_f32_e32 v115, v90, v115
	s_waitcnt vmcnt(26)
	v_mul_f32_e32 v144, v91, v116
	v_mul_f32_e32 v116, v92, v116
	s_waitcnt vmcnt(25) lgkmcnt(5)
	v_mul_f32_e32 v145, v93, v117
	v_mul_f32_e32 v117, v94, v117
	s_waitcnt vmcnt(24)
	v_mul_f32_e32 v146, v95, v118
	v_mul_f32_e32 v118, v96, v118
	;; [unrolled: 6-line block ×3, first 2 shown]
	s_waitcnt vmcnt(21) lgkmcnt(3)
	v_mul_f32_e32 v149, v101, v121
	s_waitcnt vmcnt(14)
	v_fma_f32 v89, v89, v128, -v115
	v_fmac_f32_e32 v143, v90, v128
	s_waitcnt vmcnt(13)
	v_fma_f32 v90, v91, v129, -v116
	v_add_f32_e32 v89, 0, v89
	s_waitcnt vmcnt(12)
	v_fma_f32 v91, v93, v130, -v117
	v_add_f32_e32 v89, v89, v90
	v_fmac_f32_e32 v144, v92, v129
	s_waitcnt vmcnt(11)
	v_fma_f32 v92, v95, v131, -v118
	v_add_f32_e32 v89, v89, v91
	s_waitcnt vmcnt(10)
	v_fma_f32 v93, v97, v132, -v119
	v_add_f32_e32 v89, v89, v92
	v_fmac_f32_e32 v145, v94, v130
	s_waitcnt vmcnt(9)
	v_fma_f32 v94, v99, v133, -v120
	v_add_f32_e32 v89, v89, v93
	v_mul_f32_e32 v91, v102, v121
	v_add_f32_e32 v89, v89, v94
	s_waitcnt vmcnt(8)
	v_fma_f32 v91, v101, v134, -v91
	v_add_f32_e32 v89, v89, v91
	v_mul_f32_e32 v91, v104, v122
	v_add_f32_e32 v95, 0, v143
	s_waitcnt vmcnt(7)
	v_fma_f32 v91, v103, v135, -v91
	v_add_f32_e32 v95, v95, v144
	v_add_f32_e32 v89, v89, v91
	s_waitcnt lgkmcnt(2)
	v_mul_f32_e32 v91, v106, v123
	v_fmac_f32_e32 v146, v96, v131
	v_add_f32_e32 v90, v95, v145
	s_waitcnt vmcnt(6)
	v_fma_f32 v91, v105, v136, -v91
	v_fmac_f32_e32 v147, v98, v132
	v_add_f32_e32 v90, v90, v146
	v_add_f32_e32 v89, v89, v91
	v_mul_f32_e32 v91, v108, v124
	v_fmac_f32_e32 v148, v100, v133
	v_add_f32_e32 v90, v90, v147
	s_waitcnt vmcnt(5)
	v_fma_f32 v91, v107, v137, -v91
	v_mul_f32_e32 v150, v103, v122
	v_fmac_f32_e32 v149, v102, v134
	v_add_f32_e32 v90, v90, v148
	v_add_f32_e32 v89, v89, v91
	s_waitcnt lgkmcnt(1)
	v_mul_f32_e32 v91, v110, v125
	v_mul_f32_e32 v151, v105, v123
	v_fmac_f32_e32 v150, v104, v135
	v_add_f32_e32 v90, v90, v149
	s_waitcnt vmcnt(4)
	v_fma_f32 v91, v109, v138, -v91
	v_mul_f32_e32 v152, v107, v124
	v_fmac_f32_e32 v151, v106, v136
	v_add_f32_e32 v90, v90, v150
	v_add_f32_e32 v89, v89, v91
	v_mul_f32_e32 v91, v112, v126
	v_mul_f32_e32 v153, v109, v125
	v_fmac_f32_e32 v152, v108, v137
	v_add_f32_e32 v90, v90, v151
	s_waitcnt vmcnt(3)
	v_fma_f32 v91, v111, v139, -v91
	v_mul_f32_e32 v154, v111, v126
	v_fmac_f32_e32 v153, v110, v138
	v_add_f32_e32 v90, v90, v152
	v_add_f32_e32 v89, v89, v91
	s_waitcnt lgkmcnt(0)
	v_mul_f32_e32 v91, v114, v127
	v_mul_f32_e32 v155, v113, v127
	v_fmac_f32_e32 v154, v112, v139
	v_add_f32_e32 v90, v90, v153
	s_waitcnt vmcnt(2)
	v_fma_f32 v91, v113, v140, -v91
	v_fmac_f32_e32 v155, v114, v140
	v_add_f32_e32 v90, v90, v154
	v_add_f32_e32 v89, v89, v91
	;; [unrolled: 1-line block ×3, first 2 shown]
	s_waitcnt vmcnt(1)
	v_sub_f32_e32 v89, v141, v89
	s_waitcnt vmcnt(0)
	v_sub_f32_e32 v90, v142, v90
	buffer_store_dword v89, off, s[0:3], 0 offset:232
	buffer_store_dword v90, off, s[0:3], 0 offset:236
	s_and_saveexec_b64 s[4:5], vcc
	s_cbranch_execz .LBB106_215
; %bb.214:
	buffer_load_dword v89, off, s[0:3], 0 offset:224
	buffer_load_dword v90, off, s[0:3], 0 offset:228
	s_waitcnt vmcnt(0)
	ds_write_b64 v87, v[89:90]
	buffer_store_dword v88, off, s[0:3], 0 offset:224
	buffer_store_dword v88, off, s[0:3], 0 offset:228
.LBB106_215:
	s_or_b64 exec, exec, s[4:5]
	s_waitcnt lgkmcnt(0)
	; wave barrier
	buffer_load_dword v117, off, s[0:3], 0 offset:236
	buffer_load_dword v118, off, s[0:3], 0 offset:244
	;; [unrolled: 1-line block ×30, first 2 shown]
	ds_read2_b64 v[89:92], v88 offset0:73 offset1:74
	ds_read2_b64 v[93:96], v88 offset0:75 offset1:76
	;; [unrolled: 1-line block ×7, first 2 shown]
	v_cmp_lt_u32_e32 vcc, 27, v0
	s_waitcnt vmcnt(29) lgkmcnt(6)
	v_mul_f32_e32 v88, v89, v117
	v_mul_f32_e32 v117, v90, v117
	s_waitcnt vmcnt(28)
	v_mul_f32_e32 v147, v91, v118
	v_mul_f32_e32 v118, v92, v118
	s_waitcnt vmcnt(27) lgkmcnt(5)
	v_mul_f32_e32 v148, v93, v119
	v_mul_f32_e32 v119, v94, v119
	s_waitcnt vmcnt(26)
	v_mul_f32_e32 v149, v95, v120
	v_mul_f32_e32 v120, v96, v120
	s_waitcnt vmcnt(25) lgkmcnt(4)
	v_mul_f32_e32 v150, v97, v121
	v_mul_f32_e32 v121, v98, v121
	s_waitcnt vmcnt(24)
	v_mul_f32_e32 v151, v99, v122
	s_waitcnt vmcnt(23) lgkmcnt(3)
	v_mul_f32_e32 v152, v101, v123
	s_waitcnt vmcnt(22)
	v_mul_f32_e32 v153, v103, v124
	s_waitcnt vmcnt(21) lgkmcnt(2)
	v_mul_f32_e32 v154, v105, v125
	s_waitcnt vmcnt(15)
	v_fma_f32 v89, v89, v131, -v117
	v_fmac_f32_e32 v88, v90, v131
	s_waitcnt vmcnt(14)
	v_fma_f32 v90, v91, v132, -v118
	v_add_f32_e32 v89, 0, v89
	s_waitcnt vmcnt(13)
	v_fma_f32 v91, v93, v133, -v119
	v_add_f32_e32 v89, v89, v90
	v_fmac_f32_e32 v147, v92, v132
	s_waitcnt vmcnt(12)
	v_fma_f32 v92, v95, v134, -v120
	v_add_f32_e32 v89, v89, v91
	s_waitcnt vmcnt(11)
	v_fma_f32 v93, v97, v135, -v121
	v_add_f32_e32 v89, v89, v92
	v_mul_f32_e32 v90, v100, v122
	v_add_f32_e32 v89, v89, v93
	s_waitcnt vmcnt(10)
	v_fma_f32 v90, v99, v136, -v90
	v_add_f32_e32 v89, v89, v90
	v_mul_f32_e32 v90, v102, v123
	s_waitcnt vmcnt(9)
	v_fma_f32 v90, v101, v137, -v90
	v_add_f32_e32 v89, v89, v90
	v_mul_f32_e32 v90, v104, v124
	s_waitcnt vmcnt(8)
	v_fma_f32 v90, v103, v138, -v90
	v_add_f32_e32 v88, 0, v88
	v_add_f32_e32 v89, v89, v90
	v_mul_f32_e32 v90, v106, v125
	v_fmac_f32_e32 v148, v94, v133
	v_add_f32_e32 v88, v88, v147
	s_waitcnt vmcnt(7)
	v_fma_f32 v90, v105, v139, -v90
	v_fmac_f32_e32 v149, v96, v134
	v_add_f32_e32 v88, v88, v148
	v_add_f32_e32 v89, v89, v90
	v_mul_f32_e32 v90, v108, v126
	v_fmac_f32_e32 v150, v98, v135
	v_add_f32_e32 v88, v88, v149
	s_waitcnt vmcnt(6)
	v_fma_f32 v90, v107, v140, -v90
	v_fmac_f32_e32 v151, v100, v136
	v_add_f32_e32 v88, v88, v150
	v_add_f32_e32 v89, v89, v90
	s_waitcnt lgkmcnt(1)
	v_mul_f32_e32 v90, v110, v127
	v_fmac_f32_e32 v152, v102, v137
	v_add_f32_e32 v88, v88, v151
	s_waitcnt vmcnt(5)
	v_fma_f32 v90, v109, v141, -v90
	v_fmac_f32_e32 v153, v104, v138
	v_add_f32_e32 v88, v88, v152
	v_add_f32_e32 v89, v89, v90
	v_mul_f32_e32 v90, v112, v128
	v_mul_f32_e32 v155, v107, v126
	v_fmac_f32_e32 v154, v106, v139
	v_add_f32_e32 v88, v88, v153
	s_waitcnt vmcnt(4)
	v_fma_f32 v90, v111, v142, -v90
	v_mul_f32_e32 v156, v109, v127
	v_fmac_f32_e32 v155, v108, v140
	v_add_f32_e32 v88, v88, v154
	v_add_f32_e32 v89, v89, v90
	s_waitcnt lgkmcnt(0)
	v_mul_f32_e32 v90, v114, v129
	v_mul_f32_e32 v157, v111, v128
	v_fmac_f32_e32 v156, v110, v141
	v_add_f32_e32 v88, v88, v155
	s_waitcnt vmcnt(3)
	v_fma_f32 v90, v113, v143, -v90
	v_mul_f32_e32 v158, v113, v129
	v_fmac_f32_e32 v157, v112, v142
	v_add_f32_e32 v88, v88, v156
	v_add_f32_e32 v89, v89, v90
	v_mul_f32_e32 v90, v116, v130
	v_mul_f32_e32 v159, v115, v130
	v_fmac_f32_e32 v158, v114, v143
	v_add_f32_e32 v88, v88, v157
	s_waitcnt vmcnt(2)
	v_fma_f32 v90, v115, v144, -v90
	v_fmac_f32_e32 v159, v116, v144
	v_add_f32_e32 v88, v88, v158
	v_add_f32_e32 v89, v89, v90
	;; [unrolled: 1-line block ×3, first 2 shown]
	s_waitcnt vmcnt(1)
	v_sub_f32_e32 v89, v145, v89
	s_waitcnt vmcnt(0)
	v_sub_f32_e32 v88, v146, v88
	buffer_store_dword v89, off, s[0:3], 0 offset:224
	buffer_store_dword v88, off, s[0:3], 0 offset:228
	s_and_saveexec_b64 s[4:5], vcc
	s_cbranch_execz .LBB106_217
; %bb.216:
	buffer_load_dword v88, off, s[0:3], 0 offset:216
	buffer_load_dword v89, off, s[0:3], 0 offset:220
	v_mov_b32_e32 v90, 0
	buffer_store_dword v90, off, s[0:3], 0 offset:216
	buffer_store_dword v90, off, s[0:3], 0 offset:220
	s_waitcnt vmcnt(2)
	ds_write_b64 v87, v[88:89]
.LBB106_217:
	s_or_b64 exec, exec, s[4:5]
	s_waitcnt lgkmcnt(0)
	; wave barrier
	buffer_load_dword v119, off, s[0:3], 0 offset:228
	buffer_load_dword v120, off, s[0:3], 0 offset:236
	;; [unrolled: 1-line block ×32, first 2 shown]
	v_mov_b32_e32 v88, 0
	ds_read_b128 v[89:92], v88 offset:576
	ds_read_b128 v[93:96], v88 offset:592
	;; [unrolled: 1-line block ×7, first 2 shown]
	ds_read_b64 v[117:118], v88 offset:688
	v_cmp_lt_u32_e32 vcc, 26, v0
	s_waitcnt vmcnt(31) lgkmcnt(7)
	v_mul_f32_e32 v151, v89, v119
	v_mul_f32_e32 v119, v90, v119
	s_waitcnt vmcnt(30)
	v_mul_f32_e32 v152, v91, v120
	v_mul_f32_e32 v120, v92, v120
	s_waitcnt vmcnt(29) lgkmcnt(6)
	v_mul_f32_e32 v153, v93, v121
	v_mul_f32_e32 v121, v94, v121
	s_waitcnt vmcnt(28)
	v_mul_f32_e32 v154, v95, v122
	s_waitcnt vmcnt(27) lgkmcnt(5)
	v_mul_f32_e32 v155, v97, v123
	s_waitcnt vmcnt(26)
	v_mul_f32_e32 v156, v99, v124
	s_waitcnt vmcnt(25) lgkmcnt(4)
	;; [unrolled: 4-line block ×4, first 2 shown]
	v_mul_f32_e32 v161, v109, v129
	s_waitcnt vmcnt(20)
	v_mul_f32_e32 v162, v111, v130
	s_waitcnt vmcnt(16)
	v_fma_f32 v89, v89, v134, -v119
	v_fmac_f32_e32 v151, v90, v134
	s_waitcnt vmcnt(15)
	v_fma_f32 v90, v91, v135, -v120
	v_add_f32_e32 v89, 0, v89
	s_waitcnt vmcnt(14)
	v_fma_f32 v91, v93, v136, -v121
	v_add_f32_e32 v89, v89, v90
	v_add_f32_e32 v89, v89, v91
	v_mul_f32_e32 v91, v96, v122
	s_waitcnt vmcnt(13)
	v_fma_f32 v91, v95, v137, -v91
	v_add_f32_e32 v89, v89, v91
	v_mul_f32_e32 v91, v98, v123
	s_waitcnt vmcnt(12)
	v_fma_f32 v91, v97, v138, -v91
	;; [unrolled: 4-line block ×5, first 2 shown]
	v_add_f32_e32 v89, v89, v91
	v_mul_f32_e32 v91, v106, v127
	v_fmac_f32_e32 v152, v92, v135
	v_add_f32_e32 v92, 0, v151
	s_waitcnt vmcnt(8)
	v_fma_f32 v91, v105, v142, -v91
	v_fmac_f32_e32 v153, v94, v136
	v_add_f32_e32 v92, v92, v152
	v_add_f32_e32 v89, v89, v91
	v_mul_f32_e32 v91, v108, v128
	v_fmac_f32_e32 v154, v96, v137
	v_add_f32_e32 v90, v92, v153
	s_waitcnt vmcnt(7)
	v_fma_f32 v91, v107, v143, -v91
	v_fmac_f32_e32 v155, v98, v138
	v_add_f32_e32 v90, v90, v154
	;; [unrolled: 8-line block ×4, first 2 shown]
	v_add_f32_e32 v89, v89, v91
	s_waitcnt lgkmcnt(1)
	v_mul_f32_e32 v91, v114, v131
	v_fmac_f32_e32 v160, v108, v143
	v_add_f32_e32 v90, v90, v159
	s_waitcnt vmcnt(4)
	v_fma_f32 v91, v113, v146, -v91
	v_fmac_f32_e32 v161, v110, v144
	v_add_f32_e32 v90, v90, v160
	v_add_f32_e32 v89, v89, v91
	v_mul_f32_e32 v91, v116, v132
	v_mul_f32_e32 v163, v113, v131
	v_fmac_f32_e32 v162, v112, v145
	v_add_f32_e32 v90, v90, v161
	s_waitcnt vmcnt(3)
	v_fma_f32 v91, v115, v147, -v91
	v_mul_f32_e32 v164, v115, v132
	v_fmac_f32_e32 v163, v114, v146
	v_add_f32_e32 v90, v90, v162
	v_add_f32_e32 v89, v89, v91
	s_waitcnt lgkmcnt(0)
	v_mul_f32_e32 v91, v118, v133
	v_mul_f32_e32 v165, v117, v133
	v_fmac_f32_e32 v164, v116, v147
	v_add_f32_e32 v90, v90, v163
	s_waitcnt vmcnt(2)
	v_fma_f32 v91, v117, v148, -v91
	v_fmac_f32_e32 v165, v118, v148
	v_add_f32_e32 v90, v90, v164
	v_add_f32_e32 v89, v89, v91
	;; [unrolled: 1-line block ×3, first 2 shown]
	s_waitcnt vmcnt(1)
	v_sub_f32_e32 v89, v149, v89
	s_waitcnt vmcnt(0)
	v_sub_f32_e32 v90, v150, v90
	buffer_store_dword v89, off, s[0:3], 0 offset:216
	buffer_store_dword v90, off, s[0:3], 0 offset:220
	s_and_saveexec_b64 s[4:5], vcc
	s_cbranch_execz .LBB106_219
; %bb.218:
	buffer_load_dword v89, off, s[0:3], 0 offset:208
	buffer_load_dword v90, off, s[0:3], 0 offset:212
	s_waitcnt vmcnt(0)
	ds_write_b64 v87, v[89:90]
	buffer_store_dword v88, off, s[0:3], 0 offset:208
	buffer_store_dword v88, off, s[0:3], 0 offset:212
.LBB106_219:
	s_or_b64 exec, exec, s[4:5]
	s_waitcnt lgkmcnt(0)
	; wave barrier
	buffer_load_dword v121, off, s[0:3], 0 offset:220
	buffer_load_dword v122, off, s[0:3], 0 offset:228
	;; [unrolled: 1-line block ×34, first 2 shown]
	ds_read2_b64 v[89:92], v88 offset0:71 offset1:72
	ds_read2_b64 v[93:96], v88 offset0:73 offset1:74
	;; [unrolled: 1-line block ×8, first 2 shown]
	v_cmp_lt_u32_e32 vcc, 25, v0
	s_waitcnt vmcnt(33) lgkmcnt(7)
	v_mul_f32_e32 v88, v89, v121
	v_mul_f32_e32 v121, v90, v121
	s_waitcnt vmcnt(32)
	v_mul_f32_e32 v155, v91, v122
	v_mul_f32_e32 v122, v92, v122
	s_waitcnt vmcnt(31) lgkmcnt(6)
	v_mul_f32_e32 v156, v93, v123
	s_waitcnt vmcnt(30)
	v_mul_f32_e32 v157, v95, v124
	s_waitcnt vmcnt(29) lgkmcnt(5)
	v_mul_f32_e32 v158, v97, v125
	s_waitcnt vmcnt(28)
	;; [unrolled: 4-line block ×6, first 2 shown]
	v_mul_f32_e32 v167, v115, v134
	s_waitcnt vmcnt(17)
	v_fma_f32 v89, v89, v137, -v121
	v_fmac_f32_e32 v88, v90, v137
	s_waitcnt vmcnt(16)
	v_fma_f32 v90, v91, v138, -v122
	v_add_f32_e32 v89, 0, v89
	v_add_f32_e32 v89, v89, v90
	v_mul_f32_e32 v90, v94, v123
	s_waitcnt vmcnt(15)
	v_fma_f32 v90, v93, v139, -v90
	v_add_f32_e32 v89, v89, v90
	v_mul_f32_e32 v90, v96, v124
	s_waitcnt vmcnt(14)
	v_fma_f32 v90, v95, v140, -v90
	;; [unrolled: 4-line block ×7, first 2 shown]
	v_fmac_f32_e32 v155, v92, v138
	v_add_f32_e32 v88, 0, v88
	v_add_f32_e32 v89, v89, v90
	v_mul_f32_e32 v90, v108, v130
	v_fmac_f32_e32 v156, v94, v139
	v_add_f32_e32 v88, v88, v155
	s_waitcnt vmcnt(8)
	v_fma_f32 v90, v107, v146, -v90
	v_fmac_f32_e32 v157, v96, v140
	v_add_f32_e32 v88, v88, v156
	v_add_f32_e32 v89, v89, v90
	v_mul_f32_e32 v90, v110, v131
	v_fmac_f32_e32 v158, v98, v141
	v_add_f32_e32 v88, v88, v157
	s_waitcnt vmcnt(7)
	v_fma_f32 v90, v109, v147, -v90
	;; [unrolled: 8-line block ×5, first 2 shown]
	v_fmac_f32_e32 v165, v112, v148
	v_add_f32_e32 v88, v88, v164
	v_add_f32_e32 v89, v89, v90
	s_waitcnt lgkmcnt(0)
	v_mul_f32_e32 v90, v118, v135
	v_fmac_f32_e32 v166, v114, v149
	v_add_f32_e32 v88, v88, v165
	s_waitcnt vmcnt(3)
	v_fma_f32 v90, v117, v151, -v90
	v_mul_f32_e32 v168, v117, v135
	v_fmac_f32_e32 v167, v116, v150
	v_add_f32_e32 v88, v88, v166
	v_add_f32_e32 v89, v89, v90
	v_mul_f32_e32 v90, v120, v136
	v_mul_f32_e32 v169, v119, v136
	v_fmac_f32_e32 v168, v118, v151
	v_add_f32_e32 v88, v88, v167
	s_waitcnt vmcnt(2)
	v_fma_f32 v90, v119, v152, -v90
	v_fmac_f32_e32 v169, v120, v152
	v_add_f32_e32 v88, v88, v168
	v_add_f32_e32 v89, v89, v90
	;; [unrolled: 1-line block ×3, first 2 shown]
	s_waitcnt vmcnt(1)
	v_sub_f32_e32 v89, v153, v89
	s_waitcnt vmcnt(0)
	v_sub_f32_e32 v88, v154, v88
	buffer_store_dword v89, off, s[0:3], 0 offset:208
	buffer_store_dword v88, off, s[0:3], 0 offset:212
	s_and_saveexec_b64 s[4:5], vcc
	s_cbranch_execz .LBB106_221
; %bb.220:
	buffer_load_dword v88, off, s[0:3], 0 offset:200
	buffer_load_dword v89, off, s[0:3], 0 offset:204
	v_mov_b32_e32 v90, 0
	buffer_store_dword v90, off, s[0:3], 0 offset:200
	buffer_store_dword v90, off, s[0:3], 0 offset:204
	s_waitcnt vmcnt(2)
	ds_write_b64 v87, v[88:89]
.LBB106_221:
	s_or_b64 exec, exec, s[4:5]
	s_waitcnt lgkmcnt(0)
	; wave barrier
	buffer_load_dword v123, off, s[0:3], 0 offset:212
	buffer_load_dword v124, off, s[0:3], 0 offset:220
	;; [unrolled: 1-line block ×36, first 2 shown]
	v_mov_b32_e32 v88, 0
	ds_read_b128 v[89:92], v88 offset:560
	ds_read_b128 v[93:96], v88 offset:576
	;; [unrolled: 1-line block ×8, first 2 shown]
	ds_read_b64 v[121:122], v88 offset:688
	v_cmp_lt_u32_e32 vcc, 24, v0
	s_waitcnt vmcnt(35) lgkmcnt(8)
	v_mul_f32_e32 v159, v89, v123
	s_waitcnt vmcnt(34)
	v_mul_f32_e32 v160, v91, v124
	s_waitcnt vmcnt(33) lgkmcnt(7)
	v_mul_f32_e32 v161, v93, v125
	s_waitcnt vmcnt(32)
	v_mul_f32_e32 v162, v95, v126
	;; [unrolled: 4-line block ×8, first 2 shown]
	s_waitcnt vmcnt(19) lgkmcnt(0)
	v_mul_f32_e32 v175, v121, v139
	s_waitcnt vmcnt(18)
	v_fmac_f32_e32 v159, v90, v140
	v_mul_f32_e32 v90, v90, v123
	v_fma_f32 v89, v89, v140, -v90
	v_mul_f32_e32 v90, v92, v124
	v_add_f32_e32 v89, 0, v89
	s_waitcnt vmcnt(17)
	v_fma_f32 v90, v91, v141, -v90
	v_add_f32_e32 v89, v89, v90
	v_mul_f32_e32 v90, v94, v125
	s_waitcnt vmcnt(16)
	v_fma_f32 v90, v93, v142, -v90
	v_add_f32_e32 v89, v89, v90
	v_mul_f32_e32 v90, v96, v126
	;; [unrolled: 4-line block ×8, first 2 shown]
	v_fmac_f32_e32 v160, v92, v141
	v_add_f32_e32 v159, 0, v159
	s_waitcnt vmcnt(9)
	v_fma_f32 v90, v107, v149, -v90
	v_fmac_f32_e32 v161, v94, v142
	v_add_f32_e32 v159, v159, v160
	v_add_f32_e32 v89, v89, v90
	v_mul_f32_e32 v90, v110, v133
	v_fmac_f32_e32 v162, v96, v143
	v_add_f32_e32 v159, v159, v161
	s_waitcnt vmcnt(8)
	v_fma_f32 v90, v109, v150, -v90
	v_fmac_f32_e32 v163, v98, v144
	v_add_f32_e32 v159, v159, v162
	v_add_f32_e32 v89, v89, v90
	v_mul_f32_e32 v90, v112, v134
	;; [unrolled: 8-line block ×7, first 2 shown]
	v_fmac_f32_e32 v174, v120, v155
	v_add_f32_e32 v159, v159, v173
	s_waitcnt vmcnt(2)
	v_fma_f32 v90, v121, v156, -v90
	v_fmac_f32_e32 v175, v122, v156
	v_add_f32_e32 v159, v159, v174
	v_add_f32_e32 v89, v89, v90
	;; [unrolled: 1-line block ×3, first 2 shown]
	s_waitcnt vmcnt(1)
	v_sub_f32_e32 v89, v157, v89
	s_waitcnt vmcnt(0)
	v_sub_f32_e32 v90, v158, v159
	buffer_store_dword v89, off, s[0:3], 0 offset:200
	buffer_store_dword v90, off, s[0:3], 0 offset:204
	s_and_saveexec_b64 s[4:5], vcc
	s_cbranch_execz .LBB106_223
; %bb.222:
	buffer_load_dword v89, off, s[0:3], 0 offset:192
	buffer_load_dword v90, off, s[0:3], 0 offset:196
	s_waitcnt vmcnt(0)
	ds_write_b64 v87, v[89:90]
	buffer_store_dword v88, off, s[0:3], 0 offset:192
	buffer_store_dword v88, off, s[0:3], 0 offset:196
.LBB106_223:
	s_or_b64 exec, exec, s[4:5]
	s_waitcnt lgkmcnt(0)
	; wave barrier
	buffer_load_dword v125, off, s[0:3], 0 offset:204
	buffer_load_dword v126, off, s[0:3], 0 offset:212
	;; [unrolled: 1-line block ×38, first 2 shown]
	ds_read2_b64 v[89:92], v88 offset0:69 offset1:70
	ds_read2_b64 v[93:96], v88 offset0:71 offset1:72
	;; [unrolled: 1-line block ×9, first 2 shown]
	v_cmp_lt_u32_e32 vcc, 23, v0
	s_waitcnt vmcnt(37) lgkmcnt(8)
	v_mul_f32_e32 v88, v89, v125
	s_waitcnt vmcnt(36)
	v_mul_f32_e32 v163, v91, v126
	s_waitcnt vmcnt(35) lgkmcnt(7)
	v_mul_f32_e32 v164, v93, v127
	s_waitcnt vmcnt(34)
	v_mul_f32_e32 v165, v95, v128
	;; [unrolled: 4-line block ×8, first 2 shown]
	s_waitcnt vmcnt(21) lgkmcnt(0)
	v_mul_f32_e32 v178, v121, v141
	s_waitcnt vmcnt(20)
	v_fmac_f32_e32 v88, v90, v142
	v_mul_f32_e32 v90, v90, v125
	v_fma_f32 v89, v89, v142, -v90
	v_mul_f32_e32 v90, v92, v126
	v_add_f32_e32 v89, 0, v89
	s_waitcnt vmcnt(19)
	v_fma_f32 v90, v91, v143, -v90
	v_add_f32_e32 v89, v89, v90
	v_mul_f32_e32 v90, v94, v127
	s_waitcnt vmcnt(18)
	v_fma_f32 v90, v93, v144, -v90
	v_add_f32_e32 v89, v89, v90
	v_mul_f32_e32 v90, v96, v128
	;; [unrolled: 4-line block ×8, first 2 shown]
	s_waitcnt vmcnt(11)
	v_fma_f32 v90, v107, v151, -v90
	v_fmac_f32_e32 v163, v92, v143
	v_add_f32_e32 v88, 0, v88
	v_add_f32_e32 v89, v89, v90
	v_mul_f32_e32 v90, v110, v135
	v_fmac_f32_e32 v164, v94, v144
	v_add_f32_e32 v88, v88, v163
	s_waitcnt vmcnt(10)
	v_fma_f32 v90, v109, v152, -v90
	v_fmac_f32_e32 v165, v96, v145
	v_add_f32_e32 v88, v88, v164
	v_add_f32_e32 v89, v89, v90
	v_mul_f32_e32 v90, v112, v136
	v_fmac_f32_e32 v166, v98, v146
	v_add_f32_e32 v88, v88, v165
	;; [unrolled: 8-line block ×7, first 2 shown]
	s_waitcnt vmcnt(4)
	v_fma_f32 v90, v121, v158, -v90
	v_fmac_f32_e32 v177, v120, v157
	v_add_f32_e32 v88, v88, v176
	v_add_f32_e32 v89, v89, v90
	s_waitcnt vmcnt(3)
	v_mul_f32_e32 v90, v124, v159
	v_add_f32_e32 v88, v88, v177
	v_fmac_f32_e32 v178, v122, v158
	v_mul_f32_e32 v163, v123, v159
	s_waitcnt vmcnt(2)
	v_fma_f32 v90, v123, v160, -v90
	v_add_f32_e32 v88, v88, v178
	v_fmac_f32_e32 v163, v124, v160
	v_add_f32_e32 v89, v89, v90
	v_add_f32_e32 v88, v88, v163
	s_waitcnt vmcnt(1)
	v_sub_f32_e32 v89, v161, v89
	s_waitcnt vmcnt(0)
	v_sub_f32_e32 v88, v162, v88
	buffer_store_dword v89, off, s[0:3], 0 offset:192
	buffer_store_dword v88, off, s[0:3], 0 offset:196
	s_and_saveexec_b64 s[4:5], vcc
	s_cbranch_execz .LBB106_225
; %bb.224:
	buffer_load_dword v88, off, s[0:3], 0 offset:184
	buffer_load_dword v89, off, s[0:3], 0 offset:188
	v_mov_b32_e32 v90, 0
	buffer_store_dword v90, off, s[0:3], 0 offset:184
	buffer_store_dword v90, off, s[0:3], 0 offset:188
	s_waitcnt vmcnt(2)
	ds_write_b64 v87, v[88:89]
.LBB106_225:
	s_or_b64 exec, exec, s[4:5]
	s_waitcnt lgkmcnt(0)
	; wave barrier
	buffer_load_dword v127, off, s[0:3], 0 offset:196
	buffer_load_dword v128, off, s[0:3], 0 offset:204
	;; [unrolled: 1-line block ×40, first 2 shown]
	v_mov_b32_e32 v88, 0
	ds_read_b128 v[89:92], v88 offset:544
	ds_read_b128 v[93:96], v88 offset:560
	;; [unrolled: 1-line block ×9, first 2 shown]
	v_cmp_lt_u32_e32 vcc, 22, v0
	s_waitcnt vmcnt(39) lgkmcnt(8)
	v_mul_f32_e32 v125, v89, v127
	s_waitcnt vmcnt(38)
	v_mul_f32_e32 v126, v91, v128
	s_waitcnt vmcnt(37) lgkmcnt(7)
	v_mul_f32_e32 v167, v93, v129
	s_waitcnt vmcnt(36)
	v_mul_f32_e32 v168, v95, v130
	;; [unrolled: 4-line block ×7, first 2 shown]
	s_waitcnt vmcnt(25) lgkmcnt(1)
	v_mul_f32_e32 v179, v117, v141
	s_waitcnt vmcnt(24)
	v_fmac_f32_e32 v125, v90, v142
	v_mul_f32_e32 v90, v90, v127
	v_fma_f32 v89, v89, v142, -v90
	v_mul_f32_e32 v90, v92, v128
	v_add_f32_e32 v89, 0, v89
	s_waitcnt vmcnt(23)
	v_fma_f32 v90, v91, v143, -v90
	v_add_f32_e32 v89, v89, v90
	v_mul_f32_e32 v90, v94, v129
	s_waitcnt vmcnt(22)
	v_fma_f32 v90, v93, v144, -v90
	v_add_f32_e32 v89, v89, v90
	v_mul_f32_e32 v90, v96, v130
	;; [unrolled: 4-line block ×6, first 2 shown]
	s_waitcnt vmcnt(17)
	v_fma_f32 v90, v103, v149, -v90
	v_fmac_f32_e32 v126, v92, v143
	v_add_f32_e32 v125, 0, v125
	v_add_f32_e32 v89, v89, v90
	v_mul_f32_e32 v90, v106, v135
	v_fmac_f32_e32 v167, v94, v144
	v_add_f32_e32 v125, v125, v126
	s_waitcnt vmcnt(16)
	v_fma_f32 v90, v105, v150, -v90
	v_fmac_f32_e32 v168, v96, v145
	v_add_f32_e32 v125, v125, v167
	v_add_f32_e32 v89, v89, v90
	v_mul_f32_e32 v90, v108, v136
	v_fmac_f32_e32 v169, v98, v146
	v_add_f32_e32 v125, v125, v168
	s_waitcnt vmcnt(15)
	v_fma_f32 v90, v107, v151, -v90
	v_fmac_f32_e32 v170, v100, v147
	v_add_f32_e32 v125, v125, v169
	v_add_f32_e32 v89, v89, v90
	v_mul_f32_e32 v90, v110, v137
	v_fmac_f32_e32 v171, v102, v148
	v_add_f32_e32 v125, v125, v170
	s_waitcnt vmcnt(14)
	v_fma_f32 v90, v109, v152, -v90
	v_fmac_f32_e32 v172, v104, v149
	v_add_f32_e32 v125, v125, v171
	v_add_f32_e32 v89, v89, v90
	v_mul_f32_e32 v90, v112, v138
	v_fmac_f32_e32 v173, v106, v150
	v_add_f32_e32 v125, v125, v172
	s_waitcnt vmcnt(13)
	v_fma_f32 v90, v111, v153, -v90
	v_fmac_f32_e32 v174, v108, v151
	v_add_f32_e32 v125, v125, v173
	v_add_f32_e32 v89, v89, v90
	v_mul_f32_e32 v90, v114, v139
	v_fmac_f32_e32 v175, v110, v152
	v_add_f32_e32 v125, v125, v174
	s_waitcnt vmcnt(12)
	v_fma_f32 v90, v113, v154, -v90
	v_fmac_f32_e32 v176, v112, v153
	v_add_f32_e32 v125, v125, v175
	v_add_f32_e32 v89, v89, v90
	v_mul_f32_e32 v90, v116, v140
	v_fmac_f32_e32 v177, v114, v154
	v_add_f32_e32 v125, v125, v176
	s_waitcnt vmcnt(11)
	v_fma_f32 v90, v115, v155, -v90
	v_fmac_f32_e32 v178, v116, v155
	v_add_f32_e32 v125, v125, v177
	v_add_f32_e32 v89, v89, v90
	v_mul_f32_e32 v90, v118, v141
	s_waitcnt vmcnt(10)
	v_fmac_f32_e32 v179, v118, v156
	v_add_f32_e32 v125, v125, v178
	s_waitcnt vmcnt(9)
	v_mul_f32_e32 v126, v119, v157
	v_fma_f32 v90, v117, v156, -v90
	v_add_f32_e32 v125, v125, v179
	s_waitcnt vmcnt(8)
	v_fmac_f32_e32 v126, v120, v158
	v_add_f32_e32 v89, v89, v90
	v_mul_f32_e32 v90, v120, v157
	v_add_f32_e32 v167, v125, v126
	ds_read_b64 v[125:126], v88 offset:688
	v_fma_f32 v90, v119, v158, -v90
	v_add_f32_e32 v89, v89, v90
	s_waitcnt vmcnt(7) lgkmcnt(1)
	v_mul_f32_e32 v90, v122, v159
	v_mul_f32_e32 v168, v121, v159
	s_waitcnt vmcnt(6)
	v_fma_f32 v90, v121, v160, -v90
	v_fmac_f32_e32 v168, v122, v160
	v_add_f32_e32 v89, v89, v90
	s_waitcnt vmcnt(5)
	v_mul_f32_e32 v90, v124, v161
	v_add_f32_e32 v167, v167, v168
	v_mul_f32_e32 v168, v123, v161
	s_waitcnt vmcnt(4)
	v_fma_f32 v90, v123, v162, -v90
	v_fmac_f32_e32 v168, v124, v162
	v_add_f32_e32 v89, v89, v90
	s_waitcnt vmcnt(3) lgkmcnt(0)
	v_mul_f32_e32 v90, v126, v163
	v_add_f32_e32 v167, v167, v168
	v_mul_f32_e32 v168, v125, v163
	s_waitcnt vmcnt(2)
	v_fma_f32 v90, v125, v164, -v90
	v_fmac_f32_e32 v168, v126, v164
	v_add_f32_e32 v89, v89, v90
	v_add_f32_e32 v167, v167, v168
	s_waitcnt vmcnt(1)
	v_sub_f32_e32 v89, v165, v89
	s_waitcnt vmcnt(0)
	v_sub_f32_e32 v90, v166, v167
	buffer_store_dword v89, off, s[0:3], 0 offset:184
	buffer_store_dword v90, off, s[0:3], 0 offset:188
	s_and_saveexec_b64 s[4:5], vcc
	s_cbranch_execz .LBB106_227
; %bb.226:
	buffer_load_dword v89, off, s[0:3], 0 offset:176
	buffer_load_dword v90, off, s[0:3], 0 offset:180
	s_waitcnt vmcnt(0)
	ds_write_b64 v87, v[89:90]
	buffer_store_dword v88, off, s[0:3], 0 offset:176
	buffer_store_dword v88, off, s[0:3], 0 offset:180
.LBB106_227:
	s_or_b64 exec, exec, s[4:5]
	s_waitcnt lgkmcnt(0)
	; wave barrier
	buffer_load_dword v129, off, s[0:3], 0 offset:188
	buffer_load_dword v130, off, s[0:3], 0 offset:196
	;; [unrolled: 1-line block ×42, first 2 shown]
	ds_read2_b64 v[89:92], v88 offset0:67 offset1:68
	ds_read2_b64 v[93:96], v88 offset0:69 offset1:70
	;; [unrolled: 1-line block ×8, first 2 shown]
	v_cmp_lt_u32_e32 vcc, 21, v0
	s_waitcnt vmcnt(41) lgkmcnt(7)
	v_mul_f32_e32 v121, v89, v129
	s_waitcnt vmcnt(40)
	v_mul_f32_e32 v122, v91, v130
	s_waitcnt vmcnt(39) lgkmcnt(6)
	v_mul_f32_e32 v123, v93, v131
	s_waitcnt vmcnt(38)
	v_mul_f32_e32 v124, v95, v132
	;; [unrolled: 4-line block ×7, first 2 shown]
	s_waitcnt vmcnt(27) lgkmcnt(0)
	v_mul_f32_e32 v177, v117, v143
	s_waitcnt vmcnt(26)
	v_fmac_f32_e32 v121, v90, v144
	v_mul_f32_e32 v90, v90, v129
	v_fma_f32 v89, v89, v144, -v90
	v_mul_f32_e32 v90, v92, v130
	v_add_f32_e32 v89, 0, v89
	s_waitcnt vmcnt(25)
	v_fma_f32 v90, v91, v145, -v90
	v_add_f32_e32 v89, v89, v90
	v_mul_f32_e32 v90, v94, v131
	s_waitcnt vmcnt(24)
	v_fma_f32 v90, v93, v146, -v90
	v_add_f32_e32 v89, v89, v90
	v_mul_f32_e32 v90, v96, v132
	;; [unrolled: 4-line block ×5, first 2 shown]
	v_fmac_f32_e32 v122, v92, v145
	v_add_f32_e32 v121, 0, v121
	s_waitcnt vmcnt(20)
	v_fma_f32 v90, v101, v150, -v90
	v_fmac_f32_e32 v123, v94, v146
	v_add_f32_e32 v121, v121, v122
	v_add_f32_e32 v89, v89, v90
	v_mul_f32_e32 v90, v104, v136
	v_fmac_f32_e32 v124, v96, v147
	v_add_f32_e32 v121, v121, v123
	s_waitcnt vmcnt(19)
	v_fma_f32 v90, v103, v151, -v90
	v_fmac_f32_e32 v125, v98, v148
	v_add_f32_e32 v121, v121, v124
	v_add_f32_e32 v89, v89, v90
	v_mul_f32_e32 v90, v106, v137
	;; [unrolled: 8-line block ×5, first 2 shown]
	s_waitcnt vmcnt(15)
	v_fmac_f32_e32 v174, v112, v155
	v_add_f32_e32 v121, v121, v173
	v_fma_f32 v90, v111, v155, -v90
	s_waitcnt vmcnt(14)
	v_fmac_f32_e32 v175, v114, v156
	v_add_f32_e32 v121, v121, v174
	v_add_f32_e32 v89, v89, v90
	v_mul_f32_e32 v90, v114, v141
	s_waitcnt vmcnt(13)
	v_fmac_f32_e32 v176, v116, v157
	v_add_f32_e32 v121, v121, v175
	v_fma_f32 v90, v113, v156, -v90
	s_waitcnt vmcnt(12)
	v_fmac_f32_e32 v177, v118, v158
	v_add_f32_e32 v121, v121, v176
	v_add_f32_e32 v89, v89, v90
	v_mul_f32_e32 v90, v116, v142
	v_add_f32_e32 v125, v121, v177
	ds_read2_b64 v[121:124], v88 offset0:83 offset1:84
	v_fma_f32 v90, v115, v157, -v90
	v_add_f32_e32 v89, v89, v90
	v_mul_f32_e32 v90, v118, v143
	s_waitcnt vmcnt(11)
	v_mul_f32_e32 v126, v119, v159
	v_fma_f32 v90, v117, v158, -v90
	s_waitcnt vmcnt(10)
	v_fmac_f32_e32 v126, v120, v160
	v_add_f32_e32 v89, v89, v90
	v_mul_f32_e32 v90, v120, v159
	v_add_f32_e32 v171, v125, v126
	ds_read2_b64 v[125:128], v88 offset0:85 offset1:86
	v_fma_f32 v90, v119, v160, -v90
	v_add_f32_e32 v89, v89, v90
	s_waitcnt vmcnt(9) lgkmcnt(1)
	v_mul_f32_e32 v90, v122, v161
	v_mul_f32_e32 v88, v121, v161
	s_waitcnt vmcnt(8)
	v_fma_f32 v90, v121, v162, -v90
	v_fmac_f32_e32 v88, v122, v162
	v_add_f32_e32 v89, v89, v90
	s_waitcnt vmcnt(7)
	v_mul_f32_e32 v90, v124, v163
	v_add_f32_e32 v88, v171, v88
	v_mul_f32_e32 v171, v123, v163
	s_waitcnt vmcnt(6)
	v_fma_f32 v90, v123, v164, -v90
	v_fmac_f32_e32 v171, v124, v164
	v_add_f32_e32 v89, v89, v90
	s_waitcnt vmcnt(5) lgkmcnt(0)
	v_mul_f32_e32 v90, v126, v165
	v_add_f32_e32 v88, v88, v171
	v_mul_f32_e32 v171, v125, v165
	s_waitcnt vmcnt(4)
	v_fma_f32 v90, v125, v166, -v90
	v_fmac_f32_e32 v171, v126, v166
	v_add_f32_e32 v89, v89, v90
	s_waitcnt vmcnt(3)
	v_mul_f32_e32 v90, v128, v167
	v_add_f32_e32 v88, v88, v171
	v_mul_f32_e32 v171, v127, v167
	s_waitcnt vmcnt(2)
	v_fma_f32 v90, v127, v168, -v90
	v_fmac_f32_e32 v171, v128, v168
	v_add_f32_e32 v89, v89, v90
	v_add_f32_e32 v88, v88, v171
	s_waitcnt vmcnt(1)
	v_sub_f32_e32 v89, v169, v89
	s_waitcnt vmcnt(0)
	v_sub_f32_e32 v88, v170, v88
	buffer_store_dword v89, off, s[0:3], 0 offset:176
	buffer_store_dword v88, off, s[0:3], 0 offset:180
	s_and_saveexec_b64 s[4:5], vcc
	s_cbranch_execz .LBB106_229
; %bb.228:
	buffer_load_dword v88, off, s[0:3], 0 offset:168
	buffer_load_dword v89, off, s[0:3], 0 offset:172
	v_mov_b32_e32 v90, 0
	buffer_store_dword v90, off, s[0:3], 0 offset:168
	buffer_store_dword v90, off, s[0:3], 0 offset:172
	s_waitcnt vmcnt(2)
	ds_write_b64 v87, v[88:89]
.LBB106_229:
	s_or_b64 exec, exec, s[4:5]
	s_waitcnt lgkmcnt(0)
	; wave barrier
	buffer_load_dword v131, off, s[0:3], 0 offset:180
	buffer_load_dword v132, off, s[0:3], 0 offset:188
	;; [unrolled: 1-line block ×44, first 2 shown]
	v_mov_b32_e32 v88, 0
	ds_read_b128 v[89:92], v88 offset:528
	ds_read_b128 v[93:96], v88 offset:544
	ds_read_b128 v[97:100], v88 offset:560
	ds_read_b128 v[101:104], v88 offset:576
	ds_read_b128 v[105:108], v88 offset:592
	ds_read_b128 v[109:112], v88 offset:608
	ds_read_b128 v[113:116], v88 offset:624
	ds_read_b128 v[117:120], v88 offset:640
	v_cmp_lt_u32_e32 vcc, 20, v0
	s_waitcnt vmcnt(43) lgkmcnt(7)
	v_mul_f32_e32 v121, v89, v131
	s_waitcnt vmcnt(42)
	v_mul_f32_e32 v122, v91, v132
	s_waitcnt vmcnt(41) lgkmcnt(6)
	v_mul_f32_e32 v123, v93, v133
	s_waitcnt vmcnt(40)
	v_mul_f32_e32 v124, v95, v134
	s_waitcnt vmcnt(39) lgkmcnt(5)
	v_mul_f32_e32 v125, v97, v135
	s_waitcnt vmcnt(38)
	v_mul_f32_e32 v126, v99, v136
	s_waitcnt vmcnt(37) lgkmcnt(4)
	v_mul_f32_e32 v127, v101, v137
	s_waitcnt vmcnt(36)
	v_mul_f32_e32 v128, v103, v138
	s_waitcnt vmcnt(35) lgkmcnt(3)
	v_mul_f32_e32 v129, v105, v139
	s_waitcnt vmcnt(34)
	v_mul_f32_e32 v130, v107, v140
	s_waitcnt vmcnt(33) lgkmcnt(2)
	v_mul_f32_e32 v175, v109, v141
	s_waitcnt vmcnt(32)
	v_mul_f32_e32 v176, v111, v142
	s_waitcnt vmcnt(31) lgkmcnt(1)
	v_mul_f32_e32 v177, v113, v143
	s_waitcnt vmcnt(30)
	v_mul_f32_e32 v178, v115, v144
	s_waitcnt vmcnt(29)
	v_fmac_f32_e32 v121, v90, v145
	v_mul_f32_e32 v90, v90, v131
	v_fma_f32 v89, v89, v145, -v90
	v_mul_f32_e32 v90, v92, v132
	v_add_f32_e32 v89, 0, v89
	s_waitcnt vmcnt(28)
	v_fma_f32 v90, v91, v146, -v90
	v_add_f32_e32 v89, v89, v90
	v_mul_f32_e32 v90, v94, v133
	s_waitcnt vmcnt(27)
	v_fma_f32 v90, v93, v147, -v90
	v_add_f32_e32 v89, v89, v90
	v_mul_f32_e32 v90, v96, v134
	;; [unrolled: 4-line block ×4, first 2 shown]
	s_waitcnt vmcnt(24)
	v_fma_f32 v90, v99, v150, -v90
	v_fmac_f32_e32 v122, v92, v146
	v_add_f32_e32 v121, 0, v121
	v_add_f32_e32 v89, v89, v90
	v_mul_f32_e32 v90, v102, v137
	v_fmac_f32_e32 v123, v94, v147
	v_add_f32_e32 v121, v121, v122
	s_waitcnt vmcnt(23)
	v_fma_f32 v90, v101, v151, -v90
	v_fmac_f32_e32 v124, v96, v148
	v_add_f32_e32 v121, v121, v123
	v_add_f32_e32 v89, v89, v90
	v_mul_f32_e32 v90, v104, v138
	v_fmac_f32_e32 v125, v98, v149
	v_add_f32_e32 v121, v121, v124
	;; [unrolled: 8-line block ×4, first 2 shown]
	s_waitcnt vmcnt(20)
	v_fma_f32 v90, v107, v154, -v90
	v_fmac_f32_e32 v130, v108, v154
	v_add_f32_e32 v121, v121, v129
	v_add_f32_e32 v89, v89, v90
	v_mul_f32_e32 v90, v110, v141
	s_waitcnt vmcnt(19)
	v_fmac_f32_e32 v175, v110, v155
	v_add_f32_e32 v121, v121, v130
	v_fma_f32 v90, v109, v155, -v90
	s_waitcnt vmcnt(18)
	v_fmac_f32_e32 v176, v112, v156
	v_add_f32_e32 v121, v121, v175
	v_add_f32_e32 v89, v89, v90
	v_mul_f32_e32 v90, v112, v142
	s_waitcnt vmcnt(17)
	v_fmac_f32_e32 v177, v114, v157
	v_add_f32_e32 v121, v121, v176
	v_fma_f32 v90, v111, v156, -v90
	v_add_f32_e32 v121, v121, v177
	s_waitcnt vmcnt(16)
	v_fmac_f32_e32 v178, v116, v158
	s_waitcnt vmcnt(15) lgkmcnt(0)
	v_mul_f32_e32 v122, v117, v159
	v_add_f32_e32 v89, v89, v90
	v_mul_f32_e32 v90, v114, v143
	v_add_f32_e32 v121, v121, v178
	s_waitcnt vmcnt(14)
	v_fmac_f32_e32 v122, v118, v160
	v_fma_f32 v90, v113, v157, -v90
	v_add_f32_e32 v125, v121, v122
	ds_read_b128 v[121:124], v88 offset:656
	v_add_f32_e32 v89, v89, v90
	v_mul_f32_e32 v90, v116, v144
	v_fma_f32 v90, v115, v158, -v90
	v_add_f32_e32 v89, v89, v90
	v_mul_f32_e32 v90, v118, v159
	s_waitcnt vmcnt(13)
	v_mul_f32_e32 v126, v119, v161
	v_fma_f32 v90, v117, v160, -v90
	s_waitcnt vmcnt(12)
	v_fmac_f32_e32 v126, v120, v162
	v_add_f32_e32 v89, v89, v90
	v_mul_f32_e32 v90, v120, v161
	v_add_f32_e32 v129, v125, v126
	ds_read_b128 v[125:128], v88 offset:672
	s_waitcnt vmcnt(11) lgkmcnt(1)
	v_mul_f32_e32 v130, v121, v163
	v_fma_f32 v90, v119, v162, -v90
	s_waitcnt vmcnt(10)
	v_fmac_f32_e32 v130, v122, v164
	v_add_f32_e32 v89, v89, v90
	v_mul_f32_e32 v90, v122, v163
	v_add_f32_e32 v129, v129, v130
	s_waitcnt vmcnt(9)
	v_mul_f32_e32 v130, v123, v165
	v_fma_f32 v90, v121, v164, -v90
	s_waitcnt vmcnt(8)
	v_fmac_f32_e32 v130, v124, v166
	v_add_f32_e32 v89, v89, v90
	v_mul_f32_e32 v90, v124, v165
	v_add_f32_e32 v175, v129, v130
	ds_read_b64 v[129:130], v88 offset:688
	v_fma_f32 v90, v123, v166, -v90
	v_add_f32_e32 v89, v89, v90
	s_waitcnt vmcnt(7) lgkmcnt(1)
	v_mul_f32_e32 v90, v126, v167
	v_mul_f32_e32 v176, v125, v167
	s_waitcnt vmcnt(6)
	v_fma_f32 v90, v125, v168, -v90
	v_fmac_f32_e32 v176, v126, v168
	v_add_f32_e32 v89, v89, v90
	s_waitcnt vmcnt(5)
	v_mul_f32_e32 v90, v128, v169
	v_add_f32_e32 v175, v175, v176
	v_mul_f32_e32 v176, v127, v169
	s_waitcnt vmcnt(4)
	v_fma_f32 v90, v127, v170, -v90
	v_fmac_f32_e32 v176, v128, v170
	v_add_f32_e32 v89, v89, v90
	s_waitcnt vmcnt(3) lgkmcnt(0)
	v_mul_f32_e32 v90, v130, v171
	v_add_f32_e32 v175, v175, v176
	v_mul_f32_e32 v176, v129, v171
	s_waitcnt vmcnt(2)
	v_fma_f32 v90, v129, v172, -v90
	v_fmac_f32_e32 v176, v130, v172
	v_add_f32_e32 v89, v89, v90
	v_add_f32_e32 v175, v175, v176
	s_waitcnt vmcnt(1)
	v_sub_f32_e32 v89, v173, v89
	s_waitcnt vmcnt(0)
	v_sub_f32_e32 v90, v174, v175
	buffer_store_dword v89, off, s[0:3], 0 offset:168
	buffer_store_dword v90, off, s[0:3], 0 offset:172
	s_and_saveexec_b64 s[4:5], vcc
	s_cbranch_execz .LBB106_231
; %bb.230:
	buffer_load_dword v89, off, s[0:3], 0 offset:160
	buffer_load_dword v90, off, s[0:3], 0 offset:164
	s_waitcnt vmcnt(0)
	ds_write_b64 v87, v[89:90]
	buffer_store_dword v88, off, s[0:3], 0 offset:160
	buffer_store_dword v88, off, s[0:3], 0 offset:164
.LBB106_231:
	s_or_b64 exec, exec, s[4:5]
	s_waitcnt lgkmcnt(0)
	; wave barrier
	buffer_load_dword v133, off, s[0:3], 0 offset:172
	buffer_load_dword v134, off, s[0:3], 0 offset:180
	;; [unrolled: 1-line block ×46, first 2 shown]
	ds_read2_b64 v[89:92], v88 offset0:65 offset1:66
	ds_read2_b64 v[93:96], v88 offset0:67 offset1:68
	ds_read2_b64 v[97:100], v88 offset0:69 offset1:70
	ds_read2_b64 v[101:104], v88 offset0:71 offset1:72
	ds_read2_b64 v[105:108], v88 offset0:73 offset1:74
	ds_read2_b64 v[109:112], v88 offset0:75 offset1:76
	ds_read2_b64 v[113:116], v88 offset0:77 offset1:78
	ds_read2_b64 v[117:120], v88 offset0:79 offset1:80
	v_cmp_lt_u32_e32 vcc, 19, v0
	s_waitcnt vmcnt(45) lgkmcnt(7)
	v_mul_f32_e32 v121, v89, v133
	s_waitcnt vmcnt(44)
	v_mul_f32_e32 v122, v91, v134
	s_waitcnt vmcnt(43) lgkmcnt(6)
	v_mul_f32_e32 v123, v93, v135
	s_waitcnt vmcnt(42)
	v_mul_f32_e32 v124, v95, v136
	s_waitcnt vmcnt(41) lgkmcnt(5)
	v_mul_f32_e32 v125, v97, v137
	s_waitcnt vmcnt(40)
	v_mul_f32_e32 v126, v99, v138
	s_waitcnt vmcnt(39) lgkmcnt(4)
	v_mul_f32_e32 v127, v101, v139
	s_waitcnt vmcnt(38)
	v_mul_f32_e32 v128, v103, v140
	s_waitcnt vmcnt(37) lgkmcnt(3)
	v_mul_f32_e32 v129, v105, v141
	s_waitcnt vmcnt(36)
	v_mul_f32_e32 v130, v107, v142
	s_waitcnt vmcnt(35) lgkmcnt(2)
	v_mul_f32_e32 v131, v109, v143
	s_waitcnt vmcnt(34)
	v_mul_f32_e32 v132, v111, v144
	s_waitcnt vmcnt(33) lgkmcnt(1)
	v_mul_f32_e32 v179, v113, v145
	s_waitcnt vmcnt(32)
	v_fmac_f32_e32 v121, v90, v146
	v_mul_f32_e32 v90, v90, v133
	v_fma_f32 v89, v89, v146, -v90
	v_mul_f32_e32 v90, v92, v134
	v_add_f32_e32 v89, 0, v89
	s_waitcnt vmcnt(31)
	v_fma_f32 v90, v91, v147, -v90
	v_add_f32_e32 v89, v89, v90
	v_mul_f32_e32 v90, v94, v135
	s_waitcnt vmcnt(30)
	v_fma_f32 v90, v93, v148, -v90
	v_add_f32_e32 v89, v89, v90
	v_mul_f32_e32 v90, v96, v136
	s_waitcnt vmcnt(29)
	v_fma_f32 v90, v95, v149, -v90
	v_add_f32_e32 v89, v89, v90
	v_mul_f32_e32 v90, v98, v137
	s_waitcnt vmcnt(28)
	v_fma_f32 v90, v97, v150, -v90
	v_add_f32_e32 v89, v89, v90
	v_mul_f32_e32 v90, v100, v138
	v_fmac_f32_e32 v122, v92, v147
	v_add_f32_e32 v121, 0, v121
	s_waitcnt vmcnt(27)
	v_fma_f32 v90, v99, v151, -v90
	v_fmac_f32_e32 v123, v94, v148
	v_add_f32_e32 v121, v121, v122
	v_add_f32_e32 v89, v89, v90
	v_mul_f32_e32 v90, v102, v139
	v_fmac_f32_e32 v124, v96, v149
	v_add_f32_e32 v121, v121, v123
	s_waitcnt vmcnt(26)
	v_fma_f32 v90, v101, v152, -v90
	v_fmac_f32_e32 v125, v98, v150
	v_add_f32_e32 v121, v121, v124
	v_add_f32_e32 v89, v89, v90
	v_mul_f32_e32 v90, v104, v140
	v_fmac_f32_e32 v126, v100, v151
	v_add_f32_e32 v121, v121, v125
	s_waitcnt vmcnt(25)
	v_fma_f32 v90, v103, v153, -v90
	v_fmac_f32_e32 v127, v102, v152
	v_add_f32_e32 v121, v121, v126
	v_add_f32_e32 v89, v89, v90
	v_mul_f32_e32 v90, v106, v141
	v_fmac_f32_e32 v128, v104, v153
	v_add_f32_e32 v121, v121, v127
	s_waitcnt vmcnt(24)
	v_fma_f32 v90, v105, v154, -v90
	v_fmac_f32_e32 v129, v106, v154
	v_add_f32_e32 v121, v121, v128
	v_add_f32_e32 v89, v89, v90
	v_mul_f32_e32 v90, v108, v142
	s_waitcnt vmcnt(23)
	v_fmac_f32_e32 v130, v108, v155
	v_add_f32_e32 v121, v121, v129
	v_fma_f32 v90, v107, v155, -v90
	s_waitcnt vmcnt(22)
	v_fmac_f32_e32 v131, v110, v156
	v_add_f32_e32 v121, v121, v130
	v_add_f32_e32 v89, v89, v90
	v_mul_f32_e32 v90, v110, v143
	s_waitcnt vmcnt(21)
	v_fmac_f32_e32 v132, v112, v157
	v_add_f32_e32 v121, v121, v131
	v_fma_f32 v90, v109, v156, -v90
	s_waitcnt vmcnt(20)
	v_fmac_f32_e32 v179, v114, v158
	v_add_f32_e32 v121, v121, v132
	s_waitcnt vmcnt(19)
	v_mul_f32_e32 v122, v115, v159
	v_add_f32_e32 v89, v89, v90
	v_mul_f32_e32 v90, v112, v144
	v_add_f32_e32 v121, v121, v179
	s_waitcnt vmcnt(18)
	v_fmac_f32_e32 v122, v116, v160
	v_fma_f32 v90, v111, v157, -v90
	v_add_f32_e32 v121, v121, v122
	s_waitcnt vmcnt(17) lgkmcnt(0)
	v_mul_f32_e32 v122, v117, v161
	v_add_f32_e32 v89, v89, v90
	v_mul_f32_e32 v90, v114, v145
	s_waitcnt vmcnt(16)
	v_fmac_f32_e32 v122, v118, v162
	v_fma_f32 v90, v113, v158, -v90
	v_add_f32_e32 v125, v121, v122
	ds_read2_b64 v[121:124], v88 offset0:81 offset1:82
	v_add_f32_e32 v89, v89, v90
	v_mul_f32_e32 v90, v116, v159
	v_fma_f32 v90, v115, v160, -v90
	v_add_f32_e32 v89, v89, v90
	v_mul_f32_e32 v90, v118, v161
	s_waitcnt vmcnt(15)
	v_mul_f32_e32 v126, v119, v163
	v_fma_f32 v90, v117, v162, -v90
	s_waitcnt vmcnt(14)
	v_fmac_f32_e32 v126, v120, v164
	v_add_f32_e32 v89, v89, v90
	v_mul_f32_e32 v90, v120, v163
	v_add_f32_e32 v129, v125, v126
	ds_read2_b64 v[125:128], v88 offset0:83 offset1:84
	s_waitcnt vmcnt(13) lgkmcnt(1)
	v_mul_f32_e32 v130, v121, v165
	v_fma_f32 v90, v119, v164, -v90
	s_waitcnt vmcnt(12)
	v_fmac_f32_e32 v130, v122, v166
	v_add_f32_e32 v89, v89, v90
	v_mul_f32_e32 v90, v122, v165
	v_add_f32_e32 v129, v129, v130
	s_waitcnt vmcnt(11)
	v_mul_f32_e32 v130, v123, v167
	v_fma_f32 v90, v121, v166, -v90
	s_waitcnt vmcnt(10)
	v_fmac_f32_e32 v130, v124, v168
	v_add_f32_e32 v89, v89, v90
	v_mul_f32_e32 v90, v124, v167
	v_add_f32_e32 v179, v129, v130
	ds_read2_b64 v[129:132], v88 offset0:85 offset1:86
	v_fma_f32 v90, v123, v168, -v90
	v_add_f32_e32 v89, v89, v90
	s_waitcnt vmcnt(9) lgkmcnt(1)
	v_mul_f32_e32 v90, v126, v169
	v_mul_f32_e32 v180, v125, v169
	s_waitcnt vmcnt(8)
	v_fma_f32 v90, v125, v170, -v90
	v_fmac_f32_e32 v180, v126, v170
	v_add_f32_e32 v89, v89, v90
	s_waitcnt vmcnt(7)
	v_mul_f32_e32 v90, v128, v171
	v_add_f32_e32 v88, v179, v180
	v_mul_f32_e32 v179, v127, v171
	s_waitcnt vmcnt(6)
	v_fma_f32 v90, v127, v172, -v90
	v_fmac_f32_e32 v179, v128, v172
	v_add_f32_e32 v89, v89, v90
	s_waitcnt vmcnt(5) lgkmcnt(0)
	v_mul_f32_e32 v90, v130, v173
	v_add_f32_e32 v88, v88, v179
	v_mul_f32_e32 v179, v129, v173
	s_waitcnt vmcnt(4)
	v_fma_f32 v90, v129, v174, -v90
	v_fmac_f32_e32 v179, v130, v174
	v_add_f32_e32 v89, v89, v90
	s_waitcnt vmcnt(3)
	v_mul_f32_e32 v90, v132, v175
	v_add_f32_e32 v88, v88, v179
	v_mul_f32_e32 v179, v131, v175
	s_waitcnt vmcnt(2)
	v_fma_f32 v90, v131, v176, -v90
	v_fmac_f32_e32 v179, v132, v176
	v_add_f32_e32 v89, v89, v90
	v_add_f32_e32 v88, v88, v179
	s_waitcnt vmcnt(1)
	v_sub_f32_e32 v89, v177, v89
	s_waitcnt vmcnt(0)
	v_sub_f32_e32 v88, v178, v88
	buffer_store_dword v89, off, s[0:3], 0 offset:160
	buffer_store_dword v88, off, s[0:3], 0 offset:164
	s_and_saveexec_b64 s[4:5], vcc
	s_cbranch_execz .LBB106_233
; %bb.232:
	buffer_load_dword v88, off, s[0:3], 0 offset:152
	buffer_load_dword v89, off, s[0:3], 0 offset:156
	v_mov_b32_e32 v90, 0
	buffer_store_dword v90, off, s[0:3], 0 offset:152
	buffer_store_dword v90, off, s[0:3], 0 offset:156
	s_waitcnt vmcnt(2)
	ds_write_b64 v87, v[88:89]
.LBB106_233:
	s_or_b64 exec, exec, s[4:5]
	s_waitcnt lgkmcnt(0)
	; wave barrier
	buffer_load_dword v135, off, s[0:3], 0 offset:164
	buffer_load_dword v136, off, s[0:3], 0 offset:172
	;; [unrolled: 1-line block ×48, first 2 shown]
	v_mov_b32_e32 v88, 0
	ds_read_b128 v[89:92], v88 offset:512
	ds_read_b128 v[93:96], v88 offset:528
	;; [unrolled: 1-line block ×7, first 2 shown]
	v_cmp_lt_u32_e32 vcc, 18, v0
	s_waitcnt vmcnt(47) lgkmcnt(6)
	v_mul_f32_e32 v117, v89, v135
	s_waitcnt vmcnt(46)
	v_mul_f32_e32 v118, v91, v136
	s_waitcnt vmcnt(45) lgkmcnt(5)
	v_mul_f32_e32 v119, v93, v137
	s_waitcnt vmcnt(44)
	v_mul_f32_e32 v120, v95, v138
	;; [unrolled: 4-line block ×6, first 2 shown]
	s_waitcnt vmcnt(35)
	v_fmac_f32_e32 v117, v90, v147
	v_mul_f32_e32 v90, v90, v135
	v_fma_f32 v89, v89, v147, -v90
	v_mul_f32_e32 v90, v92, v136
	v_add_f32_e32 v89, 0, v89
	s_waitcnt vmcnt(34)
	v_fma_f32 v90, v91, v148, -v90
	v_add_f32_e32 v89, v89, v90
	v_mul_f32_e32 v90, v94, v137
	s_waitcnt vmcnt(33)
	v_fma_f32 v90, v93, v149, -v90
	v_fmac_f32_e32 v118, v92, v148
	v_add_f32_e32 v117, 0, v117
	v_add_f32_e32 v89, v89, v90
	v_mul_f32_e32 v90, v96, v138
	v_fmac_f32_e32 v119, v94, v149
	v_add_f32_e32 v117, v117, v118
	s_waitcnt vmcnt(32)
	v_fma_f32 v90, v95, v150, -v90
	v_fmac_f32_e32 v120, v96, v150
	v_add_f32_e32 v117, v117, v119
	v_add_f32_e32 v89, v89, v90
	v_mul_f32_e32 v90, v98, v139
	s_waitcnt vmcnt(31)
	v_fmac_f32_e32 v121, v98, v151
	v_add_f32_e32 v117, v117, v120
	v_fma_f32 v90, v97, v151, -v90
	s_waitcnt vmcnt(30)
	v_fmac_f32_e32 v122, v100, v152
	v_add_f32_e32 v117, v117, v121
	v_add_f32_e32 v89, v89, v90
	v_mul_f32_e32 v90, v100, v140
	s_waitcnt vmcnt(29)
	v_fmac_f32_e32 v123, v102, v153
	v_add_f32_e32 v117, v117, v122
	v_fma_f32 v90, v99, v152, -v90
	s_waitcnt vmcnt(28)
	;; [unrolled: 9-line block ×4, first 2 shown]
	v_fmac_f32_e32 v128, v112, v158
	v_add_f32_e32 v117, v117, v127
	v_add_f32_e32 v89, v89, v90
	v_mul_f32_e32 v90, v106, v143
	v_add_f32_e32 v121, v117, v128
	ds_read_b128 v[117:120], v88 offset:624
	v_fma_f32 v90, v105, v155, -v90
	s_waitcnt vmcnt(23) lgkmcnt(1)
	v_mul_f32_e32 v122, v113, v159
	v_add_f32_e32 v89, v89, v90
	v_mul_f32_e32 v90, v108, v144
	s_waitcnt vmcnt(22)
	v_fmac_f32_e32 v122, v114, v160
	v_fma_f32 v90, v107, v156, -v90
	v_add_f32_e32 v121, v121, v122
	s_waitcnt vmcnt(21)
	v_mul_f32_e32 v122, v115, v161
	v_add_f32_e32 v89, v89, v90
	v_mul_f32_e32 v90, v110, v145
	s_waitcnt vmcnt(20)
	v_fmac_f32_e32 v122, v116, v162
	v_fma_f32 v90, v109, v157, -v90
	v_add_f32_e32 v121, v121, v122
	s_waitcnt vmcnt(19) lgkmcnt(0)
	v_mul_f32_e32 v122, v117, v163
	v_add_f32_e32 v89, v89, v90
	v_mul_f32_e32 v90, v112, v146
	s_waitcnt vmcnt(18)
	v_fmac_f32_e32 v122, v118, v164
	v_fma_f32 v90, v111, v158, -v90
	v_add_f32_e32 v125, v121, v122
	ds_read_b128 v[121:124], v88 offset:640
	v_add_f32_e32 v89, v89, v90
	v_mul_f32_e32 v90, v114, v159
	v_fma_f32 v90, v113, v160, -v90
	s_waitcnt vmcnt(17)
	v_mul_f32_e32 v126, v119, v165
	v_add_f32_e32 v89, v89, v90
	v_mul_f32_e32 v90, v116, v161
	s_waitcnt vmcnt(16)
	v_fmac_f32_e32 v126, v120, v166
	v_fma_f32 v90, v115, v162, -v90
	v_add_f32_e32 v129, v125, v126
	ds_read_b128 v[125:128], v88 offset:656
	v_add_f32_e32 v89, v89, v90
	v_mul_f32_e32 v90, v118, v163
	s_waitcnt vmcnt(15) lgkmcnt(1)
	v_mul_f32_e32 v130, v121, v167
	v_fma_f32 v90, v117, v164, -v90
	s_waitcnt vmcnt(14)
	v_fmac_f32_e32 v130, v122, v168
	v_add_f32_e32 v89, v89, v90
	v_mul_f32_e32 v90, v120, v165
	v_add_f32_e32 v129, v129, v130
	s_waitcnt vmcnt(13)
	v_mul_f32_e32 v130, v123, v169
	v_fma_f32 v90, v119, v166, -v90
	s_waitcnt vmcnt(12)
	v_fmac_f32_e32 v130, v124, v170
	v_add_f32_e32 v89, v89, v90
	v_mul_f32_e32 v90, v122, v167
	v_add_f32_e32 v129, v129, v130
	s_waitcnt vmcnt(11) lgkmcnt(0)
	v_mul_f32_e32 v130, v125, v171
	v_fma_f32 v90, v121, v168, -v90
	s_waitcnt vmcnt(10)
	v_fmac_f32_e32 v130, v126, v172
	v_add_f32_e32 v89, v89, v90
	v_mul_f32_e32 v90, v124, v169
	v_add_f32_e32 v133, v129, v130
	ds_read_b128 v[129:132], v88 offset:672
	v_fma_f32 v90, v123, v170, -v90
	v_add_f32_e32 v89, v89, v90
	v_mul_f32_e32 v90, v126, v171
	s_waitcnt vmcnt(9)
	v_mul_f32_e32 v134, v127, v173
	v_fma_f32 v90, v125, v172, -v90
	s_waitcnt vmcnt(8)
	v_fmac_f32_e32 v134, v128, v174
	v_add_f32_e32 v89, v89, v90
	v_mul_f32_e32 v90, v128, v173
	v_add_f32_e32 v183, v133, v134
	ds_read_b64 v[133:134], v88 offset:688
	v_fma_f32 v90, v127, v174, -v90
	v_add_f32_e32 v89, v89, v90
	s_waitcnt vmcnt(6) lgkmcnt(1)
	v_mul_f32_e32 v90, v130, v176
	v_mul_f32_e32 v184, v129, v176
	v_fma_f32 v90, v129, v175, -v90
	v_fmac_f32_e32 v184, v130, v175
	v_add_f32_e32 v89, v89, v90
	s_waitcnt vmcnt(3)
	v_mul_f32_e32 v90, v132, v179
	v_add_f32_e32 v183, v183, v184
	v_mul_f32_e32 v184, v131, v179
	s_waitcnt vmcnt(2)
	v_fma_f32 v90, v131, v180, -v90
	v_fmac_f32_e32 v184, v132, v180
	v_add_f32_e32 v89, v89, v90
	s_waitcnt vmcnt(0) lgkmcnt(0)
	v_mul_f32_e32 v90, v134, v182
	v_add_f32_e32 v183, v183, v184
	v_mul_f32_e32 v184, v133, v182
	v_fma_f32 v90, v133, v181, -v90
	v_fmac_f32_e32 v184, v134, v181
	v_add_f32_e32 v89, v89, v90
	v_add_f32_e32 v183, v183, v184
	v_sub_f32_e32 v89, v177, v89
	v_sub_f32_e32 v90, v178, v183
	buffer_store_dword v89, off, s[0:3], 0 offset:152
	buffer_store_dword v90, off, s[0:3], 0 offset:156
	s_and_saveexec_b64 s[4:5], vcc
	s_cbranch_execz .LBB106_235
; %bb.234:
	buffer_load_dword v89, off, s[0:3], 0 offset:144
	buffer_load_dword v90, off, s[0:3], 0 offset:148
	s_waitcnt vmcnt(0)
	ds_write_b64 v87, v[89:90]
	buffer_store_dword v88, off, s[0:3], 0 offset:144
	buffer_store_dword v88, off, s[0:3], 0 offset:148
.LBB106_235:
	s_or_b64 exec, exec, s[4:5]
	s_waitcnt lgkmcnt(0)
	; wave barrier
	buffer_load_dword v137, off, s[0:3], 0 offset:156
	buffer_load_dword v138, off, s[0:3], 0 offset:164
	;; [unrolled: 1-line block ×48, first 2 shown]
	ds_read2_b64 v[89:92], v88 offset0:63 offset1:64
	ds_read2_b64 v[93:96], v88 offset0:65 offset1:66
	buffer_load_dword v185, off, s[0:3], 0 offset:336
	buffer_load_dword v186, off, s[0:3], 0 offset:340
	ds_read2_b64 v[97:100], v88 offset0:67 offset1:68
	ds_read2_b64 v[101:104], v88 offset0:69 offset1:70
	;; [unrolled: 1-line block ×5, first 2 shown]
	v_cmp_lt_u32_e32 vcc, 17, v0
	s_waitcnt vmcnt(49) lgkmcnt(6)
	v_mul_f32_e32 v117, v89, v137
	s_waitcnt vmcnt(48)
	v_mul_f32_e32 v118, v91, v138
	s_waitcnt vmcnt(47) lgkmcnt(5)
	v_mul_f32_e32 v119, v93, v139
	s_waitcnt vmcnt(46)
	v_mul_f32_e32 v120, v95, v140
	;; [unrolled: 4-line block ×6, first 2 shown]
	s_waitcnt vmcnt(37)
	v_fmac_f32_e32 v117, v90, v149
	v_mul_f32_e32 v90, v90, v137
	v_fma_f32 v89, v89, v149, -v90
	v_mul_f32_e32 v90, v92, v138
	v_add_f32_e32 v89, 0, v89
	s_waitcnt vmcnt(36)
	v_fma_f32 v90, v91, v150, -v90
	v_add_f32_e32 v89, v89, v90
	v_mul_f32_e32 v90, v94, v139
	s_waitcnt vmcnt(35)
	v_fma_f32 v90, v93, v151, -v90
	v_fmac_f32_e32 v118, v92, v150
	v_add_f32_e32 v117, 0, v117
	v_add_f32_e32 v89, v89, v90
	v_mul_f32_e32 v90, v96, v140
	v_fmac_f32_e32 v119, v94, v151
	v_add_f32_e32 v117, v117, v118
	s_waitcnt vmcnt(34)
	v_fma_f32 v90, v95, v152, -v90
	v_fmac_f32_e32 v120, v96, v152
	v_add_f32_e32 v117, v117, v119
	v_add_f32_e32 v89, v89, v90
	v_mul_f32_e32 v90, v98, v141
	s_waitcnt vmcnt(33)
	v_fmac_f32_e32 v121, v98, v153
	v_add_f32_e32 v117, v117, v120
	v_fma_f32 v90, v97, v153, -v90
	s_waitcnt vmcnt(32)
	v_fmac_f32_e32 v122, v100, v154
	v_add_f32_e32 v117, v117, v121
	v_add_f32_e32 v89, v89, v90
	v_mul_f32_e32 v90, v100, v142
	s_waitcnt vmcnt(31)
	v_fmac_f32_e32 v123, v102, v155
	v_add_f32_e32 v117, v117, v122
	v_fma_f32 v90, v99, v154, -v90
	s_waitcnt vmcnt(30)
	;; [unrolled: 9-line block ×3, first 2 shown]
	v_fmac_f32_e32 v126, v108, v158
	v_add_f32_e32 v117, v117, v125
	v_add_f32_e32 v89, v89, v90
	v_mul_f32_e32 v90, v104, v144
	s_waitcnt vmcnt(27)
	v_fmac_f32_e32 v127, v110, v159
	v_add_f32_e32 v117, v117, v126
	v_fma_f32 v90, v103, v156, -v90
	v_add_f32_e32 v117, v117, v127
	s_waitcnt vmcnt(26)
	v_fmac_f32_e32 v128, v112, v160
	v_add_f32_e32 v89, v89, v90
	v_mul_f32_e32 v90, v106, v145
	v_add_f32_e32 v121, v117, v128
	ds_read2_b64 v[117:120], v88 offset0:77 offset1:78
	v_fma_f32 v90, v105, v157, -v90
	s_waitcnt vmcnt(25) lgkmcnt(1)
	v_mul_f32_e32 v122, v113, v161
	v_add_f32_e32 v89, v89, v90
	v_mul_f32_e32 v90, v108, v146
	s_waitcnt vmcnt(24)
	v_fmac_f32_e32 v122, v114, v162
	v_fma_f32 v90, v107, v158, -v90
	v_add_f32_e32 v121, v121, v122
	s_waitcnt vmcnt(23)
	v_mul_f32_e32 v122, v115, v163
	v_add_f32_e32 v89, v89, v90
	v_mul_f32_e32 v90, v110, v147
	s_waitcnt vmcnt(22)
	v_fmac_f32_e32 v122, v116, v164
	v_fma_f32 v90, v109, v159, -v90
	v_add_f32_e32 v121, v121, v122
	s_waitcnt vmcnt(21) lgkmcnt(0)
	v_mul_f32_e32 v122, v117, v165
	v_add_f32_e32 v89, v89, v90
	v_mul_f32_e32 v90, v112, v148
	s_waitcnt vmcnt(20)
	v_fmac_f32_e32 v122, v118, v166
	v_fma_f32 v90, v111, v160, -v90
	v_add_f32_e32 v125, v121, v122
	ds_read2_b64 v[121:124], v88 offset0:79 offset1:80
	v_add_f32_e32 v89, v89, v90
	v_mul_f32_e32 v90, v114, v161
	v_fma_f32 v90, v113, v162, -v90
	s_waitcnt vmcnt(19)
	v_mul_f32_e32 v126, v119, v167
	v_add_f32_e32 v89, v89, v90
	v_mul_f32_e32 v90, v116, v163
	s_waitcnt vmcnt(18)
	v_fmac_f32_e32 v126, v120, v168
	v_fma_f32 v90, v115, v164, -v90
	v_add_f32_e32 v129, v125, v126
	ds_read2_b64 v[125:128], v88 offset0:81 offset1:82
	v_add_f32_e32 v89, v89, v90
	v_mul_f32_e32 v90, v118, v165
	s_waitcnt vmcnt(17) lgkmcnt(1)
	v_mul_f32_e32 v130, v121, v169
	v_fma_f32 v90, v117, v166, -v90
	s_waitcnt vmcnt(16)
	v_fmac_f32_e32 v130, v122, v170
	v_add_f32_e32 v89, v89, v90
	v_mul_f32_e32 v90, v120, v167
	v_add_f32_e32 v129, v129, v130
	s_waitcnt vmcnt(15)
	v_mul_f32_e32 v130, v123, v171
	v_fma_f32 v90, v119, v168, -v90
	s_waitcnt vmcnt(14)
	v_fmac_f32_e32 v130, v124, v172
	v_add_f32_e32 v89, v89, v90
	v_mul_f32_e32 v90, v122, v169
	v_add_f32_e32 v129, v129, v130
	s_waitcnt vmcnt(13) lgkmcnt(0)
	v_mul_f32_e32 v130, v125, v173
	v_fma_f32 v90, v121, v170, -v90
	s_waitcnt vmcnt(12)
	v_fmac_f32_e32 v130, v126, v174
	v_add_f32_e32 v89, v89, v90
	v_mul_f32_e32 v90, v124, v171
	v_add_f32_e32 v133, v129, v130
	ds_read2_b64 v[129:132], v88 offset0:83 offset1:84
	v_fma_f32 v90, v123, v172, -v90
	v_add_f32_e32 v89, v89, v90
	v_mul_f32_e32 v90, v126, v173
	s_waitcnt vmcnt(11)
	v_mul_f32_e32 v134, v127, v175
	v_fma_f32 v90, v125, v174, -v90
	s_waitcnt vmcnt(10)
	v_fmac_f32_e32 v134, v128, v176
	v_add_f32_e32 v89, v89, v90
	v_mul_f32_e32 v90, v128, v175
	v_add_f32_e32 v187, v133, v134
	ds_read2_b64 v[133:136], v88 offset0:85 offset1:86
	v_fma_f32 v90, v127, v176, -v90
	v_add_f32_e32 v89, v89, v90
	s_waitcnt vmcnt(7) lgkmcnt(1)
	v_mul_f32_e32 v90, v130, v179
	v_mul_f32_e32 v88, v129, v179
	s_waitcnt vmcnt(6)
	v_fma_f32 v90, v129, v180, -v90
	v_fmac_f32_e32 v88, v130, v180
	v_add_f32_e32 v89, v89, v90
	s_waitcnt vmcnt(4)
	v_mul_f32_e32 v90, v132, v182
	v_add_f32_e32 v88, v187, v88
	v_mul_f32_e32 v187, v131, v182
	v_fma_f32 v90, v131, v181, -v90
	v_fmac_f32_e32 v187, v132, v181
	v_add_f32_e32 v89, v89, v90
	s_waitcnt vmcnt(2) lgkmcnt(0)
	v_mul_f32_e32 v90, v134, v184
	v_add_f32_e32 v88, v88, v187
	v_mul_f32_e32 v187, v133, v184
	v_fma_f32 v90, v133, v183, -v90
	v_fmac_f32_e32 v187, v134, v183
	v_add_f32_e32 v89, v89, v90
	s_waitcnt vmcnt(0)
	v_mul_f32_e32 v90, v136, v186
	v_add_f32_e32 v88, v88, v187
	v_mul_f32_e32 v187, v135, v186
	v_fma_f32 v90, v135, v185, -v90
	v_fmac_f32_e32 v187, v136, v185
	v_add_f32_e32 v89, v89, v90
	v_add_f32_e32 v88, v88, v187
	v_sub_f32_e32 v89, v177, v89
	v_sub_f32_e32 v88, v178, v88
	buffer_store_dword v89, off, s[0:3], 0 offset:144
	buffer_store_dword v88, off, s[0:3], 0 offset:148
	s_and_saveexec_b64 s[4:5], vcc
	s_cbranch_execz .LBB106_237
; %bb.236:
	buffer_load_dword v88, off, s[0:3], 0 offset:136
	buffer_load_dword v89, off, s[0:3], 0 offset:140
	v_mov_b32_e32 v90, 0
	buffer_store_dword v90, off, s[0:3], 0 offset:136
	buffer_store_dword v90, off, s[0:3], 0 offset:140
	s_waitcnt vmcnt(2)
	ds_write_b64 v87, v[88:89]
.LBB106_237:
	s_or_b64 exec, exec, s[4:5]
	s_waitcnt lgkmcnt(0)
	; wave barrier
	buffer_load_dword v139, off, s[0:3], 0 offset:148
	buffer_load_dword v140, off, s[0:3], 0 offset:156
	;; [unrolled: 1-line block ×52, first 2 shown]
	v_mov_b32_e32 v88, 0
	ds_read_b128 v[89:92], v88 offset:496
	ds_read_b128 v[93:96], v88 offset:512
	;; [unrolled: 1-line block ×6, first 2 shown]
	v_cmp_lt_u32_e32 vcc, 16, v0
	s_waitcnt vmcnt(51) lgkmcnt(5)
	v_mul_f32_e32 v113, v89, v139
	s_waitcnt vmcnt(50)
	v_mul_f32_e32 v114, v91, v140
	s_waitcnt vmcnt(49) lgkmcnt(4)
	v_mul_f32_e32 v115, v93, v141
	s_waitcnt vmcnt(48)
	v_mul_f32_e32 v116, v95, v142
	;; [unrolled: 4-line block ×5, first 2 shown]
	s_waitcnt vmcnt(41) lgkmcnt(0)
	v_mul_f32_e32 v123, v109, v149
	s_waitcnt vmcnt(40)
	v_fmac_f32_e32 v113, v90, v150
	v_mul_f32_e32 v90, v90, v139
	s_waitcnt vmcnt(39)
	v_fmac_f32_e32 v114, v92, v151
	v_add_f32_e32 v113, 0, v113
	v_fma_f32 v89, v89, v150, -v90
	v_mul_f32_e32 v90, v92, v140
	s_waitcnt vmcnt(38)
	v_fmac_f32_e32 v115, v94, v152
	v_add_f32_e32 v113, v113, v114
	v_add_f32_e32 v89, 0, v89
	v_fma_f32 v90, v91, v151, -v90
	s_waitcnt vmcnt(37)
	v_fmac_f32_e32 v116, v96, v153
	v_add_f32_e32 v113, v113, v115
	v_add_f32_e32 v89, v89, v90
	v_mul_f32_e32 v90, v94, v141
	s_waitcnt vmcnt(36)
	v_fmac_f32_e32 v117, v98, v154
	v_add_f32_e32 v113, v113, v116
	v_fma_f32 v90, v93, v152, -v90
	s_waitcnt vmcnt(35)
	v_fmac_f32_e32 v118, v100, v155
	v_add_f32_e32 v113, v113, v117
	v_add_f32_e32 v89, v89, v90
	v_mul_f32_e32 v90, v96, v142
	s_waitcnt vmcnt(34)
	v_fmac_f32_e32 v119, v102, v156
	;; [unrolled: 9-line block ×3, first 2 shown]
	v_add_f32_e32 v113, v113, v120
	v_fma_f32 v90, v97, v154, -v90
	s_waitcnt vmcnt(31)
	v_fmac_f32_e32 v122, v108, v159
	v_add_f32_e32 v113, v113, v121
	v_add_f32_e32 v89, v89, v90
	v_mul_f32_e32 v90, v100, v144
	v_add_f32_e32 v113, v113, v122
	s_waitcnt vmcnt(30)
	v_fmac_f32_e32 v123, v110, v160
	v_fma_f32 v90, v99, v155, -v90
	v_add_f32_e32 v117, v113, v123
	ds_read_b128 v[113:116], v88 offset:592
	v_add_f32_e32 v89, v89, v90
	v_mul_f32_e32 v90, v102, v145
	v_fma_f32 v90, v101, v156, -v90
	s_waitcnt vmcnt(29)
	v_mul_f32_e32 v118, v111, v161
	v_add_f32_e32 v89, v89, v90
	v_mul_f32_e32 v90, v104, v146
	s_waitcnt vmcnt(28)
	v_fmac_f32_e32 v118, v112, v162
	v_fma_f32 v90, v103, v157, -v90
	v_add_f32_e32 v121, v117, v118
	ds_read_b128 v[117:120], v88 offset:608
	v_add_f32_e32 v89, v89, v90
	v_mul_f32_e32 v90, v106, v147
	s_waitcnt vmcnt(27) lgkmcnt(1)
	v_mul_f32_e32 v122, v113, v163
	v_fma_f32 v90, v105, v158, -v90
	s_waitcnt vmcnt(26)
	v_fmac_f32_e32 v122, v114, v164
	v_add_f32_e32 v89, v89, v90
	v_mul_f32_e32 v90, v108, v148
	v_add_f32_e32 v121, v121, v122
	s_waitcnt vmcnt(25)
	v_mul_f32_e32 v122, v115, v165
	v_fma_f32 v90, v107, v159, -v90
	s_waitcnt vmcnt(24)
	v_fmac_f32_e32 v122, v116, v166
	v_add_f32_e32 v89, v89, v90
	v_mul_f32_e32 v90, v110, v149
	v_add_f32_e32 v121, v121, v122
	s_waitcnt vmcnt(23) lgkmcnt(0)
	v_mul_f32_e32 v122, v117, v167
	v_fma_f32 v90, v109, v160, -v90
	s_waitcnt vmcnt(22)
	v_fmac_f32_e32 v122, v118, v168
	v_add_f32_e32 v89, v89, v90
	v_mul_f32_e32 v90, v112, v161
	v_add_f32_e32 v125, v121, v122
	ds_read_b128 v[121:124], v88 offset:624
	v_fma_f32 v90, v111, v162, -v90
	v_add_f32_e32 v89, v89, v90
	v_mul_f32_e32 v90, v114, v163
	s_waitcnt vmcnt(21)
	v_mul_f32_e32 v126, v119, v169
	v_fma_f32 v90, v113, v164, -v90
	s_waitcnt vmcnt(20)
	v_fmac_f32_e32 v126, v120, v170
	v_add_f32_e32 v89, v89, v90
	v_mul_f32_e32 v90, v116, v165
	v_add_f32_e32 v129, v125, v126
	ds_read_b128 v[125:128], v88 offset:640
	v_fma_f32 v90, v115, v166, -v90
	s_waitcnt vmcnt(19) lgkmcnt(1)
	v_mul_f32_e32 v130, v121, v171
	v_add_f32_e32 v89, v89, v90
	v_mul_f32_e32 v90, v118, v167
	s_waitcnt vmcnt(18)
	v_fmac_f32_e32 v130, v122, v172
	v_fma_f32 v90, v117, v168, -v90
	v_add_f32_e32 v129, v129, v130
	s_waitcnt vmcnt(17)
	v_mul_f32_e32 v130, v123, v173
	v_add_f32_e32 v89, v89, v90
	v_mul_f32_e32 v90, v120, v169
	s_waitcnt vmcnt(16)
	v_fmac_f32_e32 v130, v124, v174
	v_fma_f32 v90, v119, v170, -v90
	v_add_f32_e32 v129, v129, v130
	s_waitcnt vmcnt(14) lgkmcnt(0)
	v_mul_f32_e32 v130, v125, v176
	v_add_f32_e32 v89, v89, v90
	v_mul_f32_e32 v90, v122, v171
	v_fmac_f32_e32 v130, v126, v175
	v_fma_f32 v90, v121, v172, -v90
	v_add_f32_e32 v133, v129, v130
	ds_read_b128 v[129:132], v88 offset:656
	v_add_f32_e32 v89, v89, v90
	v_mul_f32_e32 v90, v124, v173
	v_fma_f32 v90, v123, v174, -v90
	v_add_f32_e32 v89, v89, v90
	v_mul_f32_e32 v90, v126, v176
	s_waitcnt vmcnt(11)
	v_mul_f32_e32 v134, v127, v179
	v_fma_f32 v90, v125, v175, -v90
	s_waitcnt vmcnt(10)
	v_fmac_f32_e32 v134, v128, v180
	v_add_f32_e32 v89, v89, v90
	v_mul_f32_e32 v90, v128, v179
	v_add_f32_e32 v137, v133, v134
	ds_read_b128 v[133:136], v88 offset:672
	s_waitcnt vmcnt(8) lgkmcnt(1)
	v_mul_f32_e32 v138, v129, v182
	v_fma_f32 v90, v127, v180, -v90
	v_fmac_f32_e32 v138, v130, v181
	v_add_f32_e32 v89, v89, v90
	v_mul_f32_e32 v90, v130, v182
	v_add_f32_e32 v137, v137, v138
	s_waitcnt vmcnt(6)
	v_mul_f32_e32 v138, v131, v184
	v_fma_f32 v90, v129, v181, -v90
	v_fmac_f32_e32 v138, v132, v183
	v_add_f32_e32 v89, v89, v90
	v_mul_f32_e32 v90, v132, v184
	v_add_f32_e32 v191, v137, v138
	ds_read_b64 v[137:138], v88 offset:688
	v_fma_f32 v90, v131, v183, -v90
	v_add_f32_e32 v89, v89, v90
	s_waitcnt vmcnt(4) lgkmcnt(1)
	v_mul_f32_e32 v90, v134, v186
	v_mul_f32_e32 v192, v133, v186
	v_fma_f32 v90, v133, v185, -v90
	v_fmac_f32_e32 v192, v134, v185
	v_add_f32_e32 v89, v89, v90
	s_waitcnt vmcnt(2)
	v_mul_f32_e32 v90, v136, v188
	v_add_f32_e32 v191, v191, v192
	v_mul_f32_e32 v192, v135, v188
	v_fma_f32 v90, v135, v187, -v90
	v_fmac_f32_e32 v192, v136, v187
	v_add_f32_e32 v89, v89, v90
	s_waitcnt vmcnt(0) lgkmcnt(0)
	v_mul_f32_e32 v90, v138, v190
	v_add_f32_e32 v191, v191, v192
	v_mul_f32_e32 v192, v137, v190
	v_fma_f32 v90, v137, v189, -v90
	v_fmac_f32_e32 v192, v138, v189
	v_add_f32_e32 v89, v89, v90
	v_add_f32_e32 v191, v191, v192
	v_sub_f32_e32 v89, v177, v89
	v_sub_f32_e32 v90, v178, v191
	buffer_store_dword v89, off, s[0:3], 0 offset:136
	buffer_store_dword v90, off, s[0:3], 0 offset:140
	s_and_saveexec_b64 s[4:5], vcc
	s_cbranch_execz .LBB106_239
; %bb.238:
	buffer_load_dword v89, off, s[0:3], 0 offset:128
	buffer_load_dword v90, off, s[0:3], 0 offset:132
	s_waitcnt vmcnt(0)
	ds_write_b64 v87, v[89:90]
	buffer_store_dword v88, off, s[0:3], 0 offset:128
	buffer_store_dword v88, off, s[0:3], 0 offset:132
.LBB106_239:
	s_or_b64 exec, exec, s[4:5]
	s_waitcnt lgkmcnt(0)
	; wave barrier
	buffer_load_dword v141, off, s[0:3], 0 offset:140
	buffer_load_dword v142, off, s[0:3], 0 offset:148
	;; [unrolled: 1-line block ×42, first 2 shown]
	ds_read2_b64 v[89:92], v88 offset0:61 offset1:62
	ds_read2_b64 v[93:96], v88 offset0:63 offset1:64
	;; [unrolled: 1-line block ×4, first 2 shown]
	buffer_load_dword v183, off, s[0:3], 0 offset:300
	buffer_load_dword v184, off, s[0:3], 0 offset:296
	;; [unrolled: 1-line block ×6, first 2 shown]
	ds_read2_b64 v[105:108], v88 offset0:69 offset1:70
	ds_read2_b64 v[109:112], v88 offset0:71 offset1:72
	buffer_load_dword v189, off, s[0:3], 0 offset:320
	buffer_load_dword v190, off, s[0:3], 0 offset:324
	;; [unrolled: 1-line block ×6, first 2 shown]
	v_cmp_lt_u32_e32 vcc, 15, v0
	s_waitcnt vmcnt(53) lgkmcnt(5)
	v_mul_f32_e32 v113, v89, v141
	s_waitcnt vmcnt(52)
	v_mul_f32_e32 v114, v91, v142
	s_waitcnt vmcnt(51) lgkmcnt(4)
	v_mul_f32_e32 v115, v93, v143
	s_waitcnt vmcnt(50)
	v_mul_f32_e32 v116, v95, v144
	;; [unrolled: 4-line block ×5, first 2 shown]
	s_waitcnt vmcnt(43)
	v_fmac_f32_e32 v113, v90, v151
	v_mul_f32_e32 v90, v90, v141
	s_waitcnt vmcnt(42)
	v_fmac_f32_e32 v114, v92, v152
	v_add_f32_e32 v113, 0, v113
	v_fma_f32 v89, v89, v151, -v90
	v_mul_f32_e32 v90, v92, v142
	s_waitcnt vmcnt(41)
	v_fmac_f32_e32 v115, v94, v153
	v_add_f32_e32 v113, v113, v114
	v_add_f32_e32 v89, 0, v89
	v_fma_f32 v90, v91, v152, -v90
	s_waitcnt vmcnt(40)
	v_fmac_f32_e32 v116, v96, v154
	v_add_f32_e32 v113, v113, v115
	v_add_f32_e32 v89, v89, v90
	v_mul_f32_e32 v90, v94, v143
	s_waitcnt vmcnt(39)
	v_fmac_f32_e32 v117, v98, v155
	v_add_f32_e32 v113, v113, v116
	v_fma_f32 v90, v93, v153, -v90
	s_waitcnt vmcnt(38)
	v_fmac_f32_e32 v118, v100, v156
	v_add_f32_e32 v113, v113, v117
	v_add_f32_e32 v89, v89, v90
	v_mul_f32_e32 v90, v96, v144
	s_waitcnt vmcnt(37)
	v_fmac_f32_e32 v119, v102, v157
	;; [unrolled: 9-line block ×3, first 2 shown]
	v_add_f32_e32 v113, v113, v120
	v_fma_f32 v90, v97, v155, -v90
	s_waitcnt vmcnt(34)
	v_fmac_f32_e32 v122, v108, v160
	v_add_f32_e32 v113, v113, v121
	s_waitcnt vmcnt(33) lgkmcnt(0)
	v_mul_f32_e32 v114, v109, v161
	v_add_f32_e32 v89, v89, v90
	v_mul_f32_e32 v90, v100, v146
	v_add_f32_e32 v113, v113, v122
	s_waitcnt vmcnt(32)
	v_fmac_f32_e32 v114, v110, v162
	v_fma_f32 v90, v99, v156, -v90
	v_add_f32_e32 v117, v113, v114
	ds_read2_b64 v[113:116], v88 offset0:73 offset1:74
	v_add_f32_e32 v89, v89, v90
	v_mul_f32_e32 v90, v102, v147
	v_fma_f32 v90, v101, v157, -v90
	s_waitcnt vmcnt(31)
	v_mul_f32_e32 v118, v111, v163
	v_add_f32_e32 v89, v89, v90
	v_mul_f32_e32 v90, v104, v148
	s_waitcnt vmcnt(30)
	v_fmac_f32_e32 v118, v112, v164
	v_fma_f32 v90, v103, v158, -v90
	v_add_f32_e32 v121, v117, v118
	ds_read2_b64 v[117:120], v88 offset0:75 offset1:76
	v_add_f32_e32 v89, v89, v90
	v_mul_f32_e32 v90, v106, v149
	s_waitcnt vmcnt(29) lgkmcnt(1)
	v_mul_f32_e32 v122, v113, v165
	v_fma_f32 v90, v105, v159, -v90
	s_waitcnt vmcnt(28)
	v_fmac_f32_e32 v122, v114, v166
	v_add_f32_e32 v89, v89, v90
	v_mul_f32_e32 v90, v108, v150
	v_add_f32_e32 v121, v121, v122
	s_waitcnt vmcnt(27)
	v_mul_f32_e32 v122, v115, v167
	v_fma_f32 v90, v107, v160, -v90
	s_waitcnt vmcnt(26)
	v_fmac_f32_e32 v122, v116, v168
	v_add_f32_e32 v89, v89, v90
	v_mul_f32_e32 v90, v110, v161
	v_add_f32_e32 v121, v121, v122
	s_waitcnt vmcnt(25) lgkmcnt(0)
	v_mul_f32_e32 v122, v117, v169
	v_fma_f32 v90, v109, v162, -v90
	s_waitcnt vmcnt(24)
	v_fmac_f32_e32 v122, v118, v170
	v_add_f32_e32 v89, v89, v90
	v_mul_f32_e32 v90, v112, v163
	v_add_f32_e32 v125, v121, v122
	ds_read2_b64 v[121:124], v88 offset0:77 offset1:78
	v_fma_f32 v90, v111, v164, -v90
	v_add_f32_e32 v89, v89, v90
	v_mul_f32_e32 v90, v114, v165
	s_waitcnt vmcnt(23)
	v_mul_f32_e32 v126, v119, v171
	v_fma_f32 v90, v113, v166, -v90
	s_waitcnt vmcnt(22)
	v_fmac_f32_e32 v126, v120, v172
	v_add_f32_e32 v89, v89, v90
	v_mul_f32_e32 v90, v116, v167
	v_add_f32_e32 v129, v125, v126
	ds_read2_b64 v[125:128], v88 offset0:79 offset1:80
	v_fma_f32 v90, v115, v168, -v90
	s_waitcnt vmcnt(21) lgkmcnt(1)
	v_mul_f32_e32 v130, v121, v173
	v_add_f32_e32 v89, v89, v90
	v_mul_f32_e32 v90, v118, v169
	s_waitcnt vmcnt(20)
	v_fmac_f32_e32 v130, v122, v174
	v_fma_f32 v90, v117, v170, -v90
	v_add_f32_e32 v129, v129, v130
	s_waitcnt vmcnt(18)
	v_mul_f32_e32 v130, v123, v176
	v_add_f32_e32 v89, v89, v90
	v_mul_f32_e32 v90, v120, v171
	v_fmac_f32_e32 v130, v124, v175
	v_fma_f32 v90, v119, v172, -v90
	v_add_f32_e32 v129, v129, v130
	s_waitcnt vmcnt(15) lgkmcnt(0)
	v_mul_f32_e32 v130, v125, v179
	v_add_f32_e32 v89, v89, v90
	v_mul_f32_e32 v90, v122, v173
	s_waitcnt vmcnt(14)
	v_fmac_f32_e32 v130, v126, v180
	v_fma_f32 v90, v121, v174, -v90
	v_add_f32_e32 v133, v129, v130
	ds_read2_b64 v[129:132], v88 offset0:81 offset1:82
	v_add_f32_e32 v89, v89, v90
	v_mul_f32_e32 v90, v124, v176
	v_fma_f32 v90, v123, v175, -v90
	v_add_f32_e32 v89, v89, v90
	v_mul_f32_e32 v90, v126, v179
	s_waitcnt vmcnt(12)
	v_mul_f32_e32 v134, v127, v182
	v_fma_f32 v90, v125, v180, -v90
	v_fmac_f32_e32 v134, v128, v181
	v_add_f32_e32 v89, v89, v90
	v_mul_f32_e32 v90, v128, v182
	v_add_f32_e32 v137, v133, v134
	ds_read2_b64 v[133:136], v88 offset0:83 offset1:84
	s_waitcnt vmcnt(11) lgkmcnt(1)
	v_mul_f32_e32 v138, v129, v183
	v_fma_f32 v90, v127, v181, -v90
	s_waitcnt vmcnt(10)
	v_fmac_f32_e32 v138, v130, v184
	v_add_f32_e32 v89, v89, v90
	v_mul_f32_e32 v90, v130, v183
	v_add_f32_e32 v137, v137, v138
	s_waitcnt vmcnt(8)
	v_mul_f32_e32 v138, v131, v186
	v_fma_f32 v90, v129, v184, -v90
	v_fmac_f32_e32 v138, v132, v185
	v_add_f32_e32 v89, v89, v90
	v_mul_f32_e32 v90, v132, v186
	v_add_f32_e32 v195, v137, v138
	ds_read2_b64 v[137:140], v88 offset0:85 offset1:86
	v_fma_f32 v90, v131, v185, -v90
	v_add_f32_e32 v89, v89, v90
	s_waitcnt vmcnt(6) lgkmcnt(1)
	v_mul_f32_e32 v90, v134, v188
	v_mul_f32_e32 v196, v133, v188
	v_fma_f32 v90, v133, v187, -v90
	v_fmac_f32_e32 v196, v134, v187
	v_add_f32_e32 v89, v89, v90
	s_waitcnt vmcnt(4)
	v_mul_f32_e32 v90, v136, v190
	v_add_f32_e32 v88, v195, v196
	v_mul_f32_e32 v195, v135, v190
	v_fma_f32 v90, v135, v189, -v90
	v_fmac_f32_e32 v195, v136, v189
	v_add_f32_e32 v89, v89, v90
	s_waitcnt vmcnt(2) lgkmcnt(0)
	v_mul_f32_e32 v90, v138, v192
	v_add_f32_e32 v88, v88, v195
	v_mul_f32_e32 v195, v137, v192
	v_fma_f32 v90, v137, v191, -v90
	v_fmac_f32_e32 v195, v138, v191
	v_add_f32_e32 v89, v89, v90
	s_waitcnt vmcnt(0)
	v_mul_f32_e32 v90, v140, v194
	v_add_f32_e32 v88, v88, v195
	v_mul_f32_e32 v195, v139, v194
	v_fma_f32 v90, v139, v193, -v90
	v_fmac_f32_e32 v195, v140, v193
	v_add_f32_e32 v89, v89, v90
	v_add_f32_e32 v88, v88, v195
	v_sub_f32_e32 v89, v177, v89
	v_sub_f32_e32 v88, v178, v88
	buffer_store_dword v89, off, s[0:3], 0 offset:128
	buffer_store_dword v88, off, s[0:3], 0 offset:132
	s_and_saveexec_b64 s[4:5], vcc
	s_cbranch_execz .LBB106_241
; %bb.240:
	buffer_load_dword v88, off, s[0:3], 0 offset:120
	buffer_load_dword v89, off, s[0:3], 0 offset:124
	v_mov_b32_e32 v90, 0
	buffer_store_dword v90, off, s[0:3], 0 offset:120
	buffer_store_dword v90, off, s[0:3], 0 offset:124
	s_waitcnt vmcnt(2)
	ds_write_b64 v87, v[88:89]
.LBB106_241:
	s_or_b64 exec, exec, s[4:5]
	s_waitcnt lgkmcnt(0)
	; wave barrier
	buffer_load_dword v143, off, s[0:3], 0 offset:132
	buffer_load_dword v144, off, s[0:3], 0 offset:140
	;; [unrolled: 1-line block ×56, first 2 shown]
	v_mov_b32_e32 v88, 0
	ds_read_b128 v[89:92], v88 offset:480
	ds_read_b128 v[93:96], v88 offset:496
	;; [unrolled: 1-line block ×6, first 2 shown]
	v_cmp_lt_u32_e32 vcc, 14, v0
	s_waitcnt vmcnt(55) lgkmcnt(5)
	v_mul_f32_e32 v113, v89, v143
	s_waitcnt vmcnt(54)
	v_mul_f32_e32 v114, v91, v144
	s_waitcnt vmcnt(53) lgkmcnt(4)
	v_mul_f32_e32 v115, v93, v145
	s_waitcnt vmcnt(52)
	v_mul_f32_e32 v116, v95, v146
	;; [unrolled: 4-line block ×4, first 2 shown]
	s_waitcnt vmcnt(47) lgkmcnt(1)
	v_mul_f32_e32 v121, v105, v151
	s_waitcnt vmcnt(46)
	v_fmac_f32_e32 v113, v90, v152
	s_waitcnt vmcnt(45)
	v_fmac_f32_e32 v114, v92, v153
	v_add_f32_e32 v113, 0, v113
	s_waitcnt vmcnt(44)
	v_fmac_f32_e32 v115, v94, v154
	v_add_f32_e32 v113, v113, v114
	;; [unrolled: 3-line block ×3, first 2 shown]
	v_mul_f32_e32 v90, v90, v143
	s_waitcnt vmcnt(42)
	v_fmac_f32_e32 v117, v98, v156
	v_add_f32_e32 v113, v113, v116
	v_fma_f32 v89, v89, v152, -v90
	v_mul_f32_e32 v90, v92, v144
	s_waitcnt vmcnt(41)
	v_fmac_f32_e32 v118, v100, v157
	v_add_f32_e32 v113, v113, v117
	v_add_f32_e32 v89, 0, v89
	v_fma_f32 v90, v91, v153, -v90
	s_waitcnt vmcnt(40)
	v_fmac_f32_e32 v119, v102, v158
	v_add_f32_e32 v113, v113, v118
	v_add_f32_e32 v89, v89, v90
	v_mul_f32_e32 v90, v94, v145
	s_waitcnt vmcnt(39)
	v_fmac_f32_e32 v120, v104, v159
	v_add_f32_e32 v113, v113, v119
	v_fma_f32 v90, v93, v154, -v90
	v_add_f32_e32 v113, v113, v120
	s_waitcnt vmcnt(38)
	v_fmac_f32_e32 v121, v106, v160
	s_waitcnt vmcnt(37)
	v_mul_f32_e32 v114, v107, v161
	v_add_f32_e32 v89, v89, v90
	v_mul_f32_e32 v90, v96, v146
	v_add_f32_e32 v113, v113, v121
	s_waitcnt vmcnt(36)
	v_fmac_f32_e32 v114, v108, v162
	v_fma_f32 v90, v95, v155, -v90
	v_add_f32_e32 v113, v113, v114
	s_waitcnt vmcnt(35) lgkmcnt(0)
	v_mul_f32_e32 v114, v109, v163
	v_add_f32_e32 v89, v89, v90
	v_mul_f32_e32 v90, v98, v147
	s_waitcnt vmcnt(34)
	v_fmac_f32_e32 v114, v110, v164
	v_fma_f32 v90, v97, v156, -v90
	v_add_f32_e32 v117, v113, v114
	ds_read_b128 v[113:116], v88 offset:576
	v_add_f32_e32 v89, v89, v90
	v_mul_f32_e32 v90, v100, v148
	v_fma_f32 v90, v99, v157, -v90
	s_waitcnt vmcnt(33)
	v_mul_f32_e32 v118, v111, v165
	v_add_f32_e32 v89, v89, v90
	v_mul_f32_e32 v90, v102, v149
	s_waitcnt vmcnt(32)
	v_fmac_f32_e32 v118, v112, v166
	v_fma_f32 v90, v101, v158, -v90
	v_add_f32_e32 v121, v117, v118
	ds_read_b128 v[117:120], v88 offset:592
	v_add_f32_e32 v89, v89, v90
	v_mul_f32_e32 v90, v104, v150
	s_waitcnt vmcnt(31) lgkmcnt(1)
	v_mul_f32_e32 v122, v113, v167
	v_fma_f32 v90, v103, v159, -v90
	s_waitcnt vmcnt(30)
	v_fmac_f32_e32 v122, v114, v168
	v_add_f32_e32 v89, v89, v90
	v_mul_f32_e32 v90, v106, v151
	v_add_f32_e32 v121, v121, v122
	s_waitcnt vmcnt(29)
	v_mul_f32_e32 v122, v115, v169
	v_fma_f32 v90, v105, v160, -v90
	s_waitcnt vmcnt(28)
	v_fmac_f32_e32 v122, v116, v170
	v_add_f32_e32 v89, v89, v90
	v_mul_f32_e32 v90, v108, v161
	v_add_f32_e32 v121, v121, v122
	s_waitcnt vmcnt(27) lgkmcnt(0)
	v_mul_f32_e32 v122, v117, v171
	v_fma_f32 v90, v107, v162, -v90
	s_waitcnt vmcnt(26)
	v_fmac_f32_e32 v122, v118, v172
	v_add_f32_e32 v89, v89, v90
	v_mul_f32_e32 v90, v110, v163
	v_add_f32_e32 v125, v121, v122
	ds_read_b128 v[121:124], v88 offset:608
	v_fma_f32 v90, v109, v164, -v90
	v_add_f32_e32 v89, v89, v90
	v_mul_f32_e32 v90, v112, v165
	s_waitcnt vmcnt(24)
	v_mul_f32_e32 v126, v119, v174
	v_fma_f32 v90, v111, v166, -v90
	v_fmac_f32_e32 v126, v120, v173
	v_add_f32_e32 v89, v89, v90
	v_mul_f32_e32 v90, v114, v167
	v_add_f32_e32 v129, v125, v126
	ds_read_b128 v[125:128], v88 offset:624
	v_fma_f32 v90, v113, v168, -v90
	s_waitcnt vmcnt(21) lgkmcnt(1)
	v_mul_f32_e32 v130, v121, v177
	v_add_f32_e32 v89, v89, v90
	v_mul_f32_e32 v90, v116, v169
	s_waitcnt vmcnt(20)
	v_fmac_f32_e32 v130, v122, v178
	v_fma_f32 v90, v115, v170, -v90
	v_add_f32_e32 v129, v129, v130
	s_waitcnt vmcnt(18)
	v_mul_f32_e32 v130, v123, v180
	v_add_f32_e32 v89, v89, v90
	v_mul_f32_e32 v90, v118, v171
	v_fmac_f32_e32 v130, v124, v179
	v_fma_f32 v90, v117, v172, -v90
	v_add_f32_e32 v129, v129, v130
	s_waitcnt vmcnt(16) lgkmcnt(0)
	v_mul_f32_e32 v130, v125, v182
	v_add_f32_e32 v89, v89, v90
	v_mul_f32_e32 v90, v120, v174
	v_fmac_f32_e32 v130, v126, v181
	v_fma_f32 v90, v119, v173, -v90
	v_add_f32_e32 v133, v129, v130
	ds_read_b128 v[129:132], v88 offset:640
	v_add_f32_e32 v89, v89, v90
	v_mul_f32_e32 v90, v122, v177
	v_fma_f32 v90, v121, v178, -v90
	s_waitcnt vmcnt(14)
	v_mul_f32_e32 v134, v127, v184
	v_add_f32_e32 v89, v89, v90
	v_mul_f32_e32 v90, v124, v180
	v_fmac_f32_e32 v134, v128, v183
	v_fma_f32 v90, v123, v179, -v90
	v_add_f32_e32 v137, v133, v134
	ds_read_b128 v[133:136], v88 offset:656
	v_add_f32_e32 v89, v89, v90
	v_mul_f32_e32 v90, v126, v182
	s_waitcnt vmcnt(12) lgkmcnt(1)
	v_mul_f32_e32 v138, v129, v186
	v_fma_f32 v90, v125, v181, -v90
	v_fmac_f32_e32 v138, v130, v185
	v_add_f32_e32 v89, v89, v90
	v_mul_f32_e32 v90, v128, v184
	v_add_f32_e32 v137, v137, v138
	s_waitcnt vmcnt(10)
	v_mul_f32_e32 v138, v131, v188
	v_fma_f32 v90, v127, v183, -v90
	v_fmac_f32_e32 v138, v132, v187
	v_add_f32_e32 v89, v89, v90
	v_mul_f32_e32 v90, v130, v186
	v_add_f32_e32 v137, v137, v138
	s_waitcnt vmcnt(8) lgkmcnt(0)
	v_mul_f32_e32 v138, v133, v190
	v_fma_f32 v90, v129, v185, -v90
	v_fmac_f32_e32 v138, v134, v189
	v_add_f32_e32 v89, v89, v90
	v_mul_f32_e32 v90, v132, v188
	v_add_f32_e32 v141, v137, v138
	ds_read_b128 v[137:140], v88 offset:672
	v_fma_f32 v90, v131, v187, -v90
	v_add_f32_e32 v89, v89, v90
	v_mul_f32_e32 v90, v134, v190
	s_waitcnt vmcnt(6)
	v_mul_f32_e32 v142, v135, v192
	v_fma_f32 v90, v133, v189, -v90
	v_fmac_f32_e32 v142, v136, v191
	v_add_f32_e32 v89, v89, v90
	v_mul_f32_e32 v90, v136, v192
	v_add_f32_e32 v199, v141, v142
	ds_read_b64 v[141:142], v88 offset:688
	v_fma_f32 v90, v135, v191, -v90
	v_add_f32_e32 v89, v89, v90
	s_waitcnt vmcnt(4) lgkmcnt(1)
	v_mul_f32_e32 v90, v138, v194
	v_mul_f32_e32 v200, v137, v194
	v_fma_f32 v90, v137, v193, -v90
	v_fmac_f32_e32 v200, v138, v193
	v_add_f32_e32 v89, v89, v90
	s_waitcnt vmcnt(2)
	v_mul_f32_e32 v90, v140, v196
	v_add_f32_e32 v199, v199, v200
	v_mul_f32_e32 v200, v139, v196
	v_fma_f32 v90, v139, v195, -v90
	v_fmac_f32_e32 v200, v140, v195
	v_add_f32_e32 v89, v89, v90
	s_waitcnt vmcnt(0) lgkmcnt(0)
	v_mul_f32_e32 v90, v142, v198
	v_add_f32_e32 v199, v199, v200
	v_mul_f32_e32 v200, v141, v198
	v_fma_f32 v90, v141, v197, -v90
	v_fmac_f32_e32 v200, v142, v197
	v_add_f32_e32 v89, v89, v90
	v_add_f32_e32 v199, v199, v200
	v_sub_f32_e32 v89, v175, v89
	v_sub_f32_e32 v90, v176, v199
	buffer_store_dword v89, off, s[0:3], 0 offset:120
	buffer_store_dword v90, off, s[0:3], 0 offset:124
	s_and_saveexec_b64 s[4:5], vcc
	s_cbranch_execz .LBB106_243
; %bb.242:
	buffer_load_dword v89, off, s[0:3], 0 offset:112
	buffer_load_dword v90, off, s[0:3], 0 offset:116
	s_waitcnt vmcnt(0)
	ds_write_b64 v87, v[89:90]
	buffer_store_dword v88, off, s[0:3], 0 offset:112
	buffer_store_dword v88, off, s[0:3], 0 offset:116
.LBB106_243:
	s_or_b64 exec, exec, s[4:5]
	s_waitcnt lgkmcnt(0)
	; wave barrier
	buffer_load_dword v145, off, s[0:3], 0 offset:124
	buffer_load_dword v146, off, s[0:3], 0 offset:132
	;; [unrolled: 1-line block ×34, first 2 shown]
	ds_read2_b64 v[89:92], v88 offset0:59 offset1:60
	ds_read2_b64 v[93:96], v88 offset0:61 offset1:62
	buffer_load_dword v179, off, s[0:3], 0 offset:252
	buffer_load_dword v180, off, s[0:3], 0 offset:248
	;; [unrolled: 1-line block ×6, first 2 shown]
	ds_read2_b64 v[97:100], v88 offset0:63 offset1:64
	ds_read2_b64 v[101:104], v88 offset0:65 offset1:66
	;; [unrolled: 1-line block ×4, first 2 shown]
	buffer_load_dword v185, off, s[0:3], 0 offset:276
	buffer_load_dword v186, off, s[0:3], 0 offset:272
	;; [unrolled: 1-line block ×18, first 2 shown]
	v_cmp_lt_u32_e32 vcc, 13, v0
	s_waitcnt vmcnt(57) lgkmcnt(5)
	v_mul_f32_e32 v113, v89, v145
	s_waitcnt vmcnt(56)
	v_mul_f32_e32 v114, v91, v146
	s_waitcnt vmcnt(55) lgkmcnt(4)
	v_mul_f32_e32 v115, v93, v147
	s_waitcnt vmcnt(54)
	v_mul_f32_e32 v116, v95, v148
	;; [unrolled: 4-line block ×4, first 2 shown]
	s_waitcnt vmcnt(49)
	v_fmac_f32_e32 v113, v90, v153
	s_waitcnt vmcnt(48)
	v_fmac_f32_e32 v114, v92, v154
	v_add_f32_e32 v113, 0, v113
	s_waitcnt vmcnt(47)
	v_fmac_f32_e32 v115, v94, v155
	v_add_f32_e32 v113, v113, v114
	;; [unrolled: 3-line block ×4, first 2 shown]
	v_mul_f32_e32 v90, v90, v145
	s_waitcnt vmcnt(44)
	v_fmac_f32_e32 v118, v100, v158
	v_add_f32_e32 v113, v113, v117
	v_fma_f32 v89, v89, v153, -v90
	v_mul_f32_e32 v90, v92, v146
	s_waitcnt vmcnt(43)
	v_fmac_f32_e32 v119, v102, v159
	v_add_f32_e32 v113, v113, v118
	v_add_f32_e32 v89, 0, v89
	v_fma_f32 v90, v91, v154, -v90
	s_waitcnt vmcnt(42)
	v_fmac_f32_e32 v120, v104, v160
	v_add_f32_e32 v113, v113, v119
	s_waitcnt vmcnt(41) lgkmcnt(1)
	v_mul_f32_e32 v114, v105, v161
	v_add_f32_e32 v89, v89, v90
	v_mul_f32_e32 v90, v94, v147
	v_add_f32_e32 v113, v113, v120
	s_waitcnt vmcnt(40)
	v_fmac_f32_e32 v114, v106, v162
	v_fma_f32 v90, v93, v155, -v90
	v_add_f32_e32 v113, v113, v114
	s_waitcnt vmcnt(39)
	v_mul_f32_e32 v114, v107, v163
	v_add_f32_e32 v89, v89, v90
	v_mul_f32_e32 v90, v96, v148
	s_waitcnt vmcnt(38)
	v_fmac_f32_e32 v114, v108, v164
	v_fma_f32 v90, v95, v156, -v90
	v_add_f32_e32 v113, v113, v114
	s_waitcnt vmcnt(37) lgkmcnt(0)
	v_mul_f32_e32 v114, v109, v165
	v_add_f32_e32 v89, v89, v90
	v_mul_f32_e32 v90, v98, v149
	s_waitcnt vmcnt(36)
	v_fmac_f32_e32 v114, v110, v166
	v_fma_f32 v90, v97, v157, -v90
	v_add_f32_e32 v117, v113, v114
	ds_read2_b64 v[113:116], v88 offset0:71 offset1:72
	v_add_f32_e32 v89, v89, v90
	v_mul_f32_e32 v90, v100, v150
	v_fma_f32 v90, v99, v158, -v90
	s_waitcnt vmcnt(35)
	v_mul_f32_e32 v118, v111, v167
	v_add_f32_e32 v89, v89, v90
	v_mul_f32_e32 v90, v102, v151
	s_waitcnt vmcnt(34)
	v_fmac_f32_e32 v118, v112, v168
	v_fma_f32 v90, v101, v159, -v90
	v_add_f32_e32 v121, v117, v118
	ds_read2_b64 v[117:120], v88 offset0:73 offset1:74
	v_add_f32_e32 v89, v89, v90
	v_mul_f32_e32 v90, v104, v152
	s_waitcnt vmcnt(33) lgkmcnt(1)
	v_mul_f32_e32 v122, v113, v169
	v_fma_f32 v90, v103, v160, -v90
	s_waitcnt vmcnt(32)
	v_fmac_f32_e32 v122, v114, v170
	v_add_f32_e32 v89, v89, v90
	v_mul_f32_e32 v90, v106, v161
	v_add_f32_e32 v121, v121, v122
	s_waitcnt vmcnt(31)
	v_mul_f32_e32 v122, v115, v171
	v_fma_f32 v90, v105, v162, -v90
	s_waitcnt vmcnt(30)
	v_fmac_f32_e32 v122, v116, v172
	v_add_f32_e32 v89, v89, v90
	v_mul_f32_e32 v90, v108, v163
	v_add_f32_e32 v121, v121, v122
	s_waitcnt vmcnt(29) lgkmcnt(0)
	v_mul_f32_e32 v122, v117, v173
	v_fma_f32 v90, v107, v164, -v90
	s_waitcnt vmcnt(28)
	v_fmac_f32_e32 v122, v118, v174
	v_add_f32_e32 v89, v89, v90
	v_mul_f32_e32 v90, v110, v165
	v_add_f32_e32 v125, v121, v122
	ds_read2_b64 v[121:124], v88 offset0:75 offset1:76
	v_fma_f32 v90, v109, v166, -v90
	v_add_f32_e32 v89, v89, v90
	v_mul_f32_e32 v90, v112, v167
	s_waitcnt vmcnt(25)
	v_mul_f32_e32 v126, v119, v177
	v_fma_f32 v90, v111, v168, -v90
	s_waitcnt vmcnt(24)
	v_fmac_f32_e32 v126, v120, v178
	v_add_f32_e32 v89, v89, v90
	v_mul_f32_e32 v90, v114, v169
	v_add_f32_e32 v129, v125, v126
	ds_read2_b64 v[125:128], v88 offset0:77 offset1:78
	v_fma_f32 v90, v113, v170, -v90
	s_waitcnt vmcnt(23) lgkmcnt(1)
	v_mul_f32_e32 v130, v121, v179
	v_add_f32_e32 v89, v89, v90
	v_mul_f32_e32 v90, v116, v171
	s_waitcnt vmcnt(22)
	v_fmac_f32_e32 v130, v122, v180
	v_fma_f32 v90, v115, v172, -v90
	v_add_f32_e32 v129, v129, v130
	s_waitcnt vmcnt(20)
	v_mul_f32_e32 v130, v123, v182
	v_add_f32_e32 v89, v89, v90
	v_mul_f32_e32 v90, v118, v173
	v_fmac_f32_e32 v130, v124, v181
	v_fma_f32 v90, v117, v174, -v90
	v_add_f32_e32 v129, v129, v130
	s_waitcnt vmcnt(18) lgkmcnt(0)
	v_mul_f32_e32 v130, v125, v184
	v_add_f32_e32 v89, v89, v90
	v_mul_f32_e32 v90, v120, v177
	v_fmac_f32_e32 v130, v126, v183
	v_fma_f32 v90, v119, v178, -v90
	v_add_f32_e32 v133, v129, v130
	ds_read2_b64 v[129:132], v88 offset0:79 offset1:80
	v_add_f32_e32 v89, v89, v90
	v_mul_f32_e32 v90, v122, v179
	v_fma_f32 v90, v121, v180, -v90
	s_waitcnt vmcnt(17)
	v_mul_f32_e32 v134, v127, v185
	v_add_f32_e32 v89, v89, v90
	v_mul_f32_e32 v90, v124, v182
	s_waitcnt vmcnt(16)
	v_fmac_f32_e32 v134, v128, v186
	v_fma_f32 v90, v123, v181, -v90
	v_add_f32_e32 v137, v133, v134
	ds_read2_b64 v[133:136], v88 offset0:81 offset1:82
	v_add_f32_e32 v89, v89, v90
	v_mul_f32_e32 v90, v126, v184
	s_waitcnt vmcnt(14) lgkmcnt(1)
	v_mul_f32_e32 v138, v129, v188
	v_fma_f32 v90, v125, v183, -v90
	v_fmac_f32_e32 v138, v130, v187
	v_add_f32_e32 v89, v89, v90
	v_mul_f32_e32 v90, v128, v185
	v_add_f32_e32 v137, v137, v138
	s_waitcnt vmcnt(12)
	v_mul_f32_e32 v138, v131, v190
	v_fma_f32 v90, v127, v186, -v90
	v_fmac_f32_e32 v138, v132, v189
	v_add_f32_e32 v89, v89, v90
	v_mul_f32_e32 v90, v130, v188
	v_add_f32_e32 v137, v137, v138
	s_waitcnt vmcnt(10) lgkmcnt(0)
	v_mul_f32_e32 v138, v133, v192
	v_fma_f32 v90, v129, v187, -v90
	v_fmac_f32_e32 v138, v134, v191
	v_add_f32_e32 v89, v89, v90
	v_mul_f32_e32 v90, v132, v190
	v_add_f32_e32 v141, v137, v138
	ds_read2_b64 v[137:140], v88 offset0:83 offset1:84
	v_fma_f32 v90, v131, v189, -v90
	v_add_f32_e32 v89, v89, v90
	v_mul_f32_e32 v90, v134, v192
	s_waitcnt vmcnt(8)
	v_mul_f32_e32 v142, v135, v194
	v_fma_f32 v90, v133, v191, -v90
	v_fmac_f32_e32 v142, v136, v193
	v_add_f32_e32 v89, v89, v90
	v_mul_f32_e32 v90, v136, v194
	v_add_f32_e32 v203, v141, v142
	ds_read2_b64 v[141:144], v88 offset0:85 offset1:86
	v_fma_f32 v90, v135, v193, -v90
	v_add_f32_e32 v89, v89, v90
	s_waitcnt vmcnt(6) lgkmcnt(1)
	v_mul_f32_e32 v90, v138, v196
	v_mul_f32_e32 v88, v137, v196
	v_fma_f32 v90, v137, v195, -v90
	v_fmac_f32_e32 v88, v138, v195
	v_add_f32_e32 v89, v89, v90
	s_waitcnt vmcnt(4)
	v_mul_f32_e32 v90, v140, v198
	v_add_f32_e32 v88, v203, v88
	v_mul_f32_e32 v203, v139, v198
	v_fma_f32 v90, v139, v197, -v90
	v_fmac_f32_e32 v203, v140, v197
	v_add_f32_e32 v89, v89, v90
	s_waitcnt vmcnt(2) lgkmcnt(0)
	v_mul_f32_e32 v90, v142, v200
	v_add_f32_e32 v88, v88, v203
	v_mul_f32_e32 v203, v141, v200
	v_fma_f32 v90, v141, v199, -v90
	v_fmac_f32_e32 v203, v142, v199
	v_add_f32_e32 v89, v89, v90
	s_waitcnt vmcnt(0)
	v_mul_f32_e32 v90, v144, v202
	v_add_f32_e32 v88, v88, v203
	v_mul_f32_e32 v203, v143, v202
	v_fma_f32 v90, v143, v201, -v90
	v_fmac_f32_e32 v203, v144, v201
	v_add_f32_e32 v89, v89, v90
	v_add_f32_e32 v88, v88, v203
	v_sub_f32_e32 v89, v175, v89
	v_sub_f32_e32 v88, v176, v88
	buffer_store_dword v89, off, s[0:3], 0 offset:112
	buffer_store_dword v88, off, s[0:3], 0 offset:116
	s_and_saveexec_b64 s[4:5], vcc
	s_cbranch_execz .LBB106_245
; %bb.244:
	buffer_load_dword v88, off, s[0:3], 0 offset:104
	buffer_load_dword v89, off, s[0:3], 0 offset:108
	v_mov_b32_e32 v90, 0
	buffer_store_dword v90, off, s[0:3], 0 offset:104
	buffer_store_dword v90, off, s[0:3], 0 offset:108
	s_waitcnt vmcnt(2)
	ds_write_b64 v87, v[88:89]
.LBB106_245:
	s_or_b64 exec, exec, s[4:5]
	s_waitcnt lgkmcnt(0)
	; wave barrier
	buffer_load_dword v147, off, s[0:3], 0 offset:116
	buffer_load_dword v148, off, s[0:3], 0 offset:124
	;; [unrolled: 1-line block ×60, first 2 shown]
	v_mov_b32_e32 v88, 0
	ds_read_b128 v[89:92], v88 offset:464
	ds_read_b128 v[93:96], v88 offset:480
	;; [unrolled: 1-line block ×5, first 2 shown]
	v_cmp_lt_u32_e32 vcc, 12, v0
	s_waitcnt vmcnt(59) lgkmcnt(4)
	v_mul_f32_e32 v109, v89, v147
	s_waitcnt vmcnt(58)
	v_mul_f32_e32 v110, v91, v148
	s_waitcnt vmcnt(57) lgkmcnt(3)
	v_mul_f32_e32 v111, v93, v149
	s_waitcnt vmcnt(56)
	v_mul_f32_e32 v112, v95, v150
	;; [unrolled: 4-line block ×3, first 2 shown]
	s_waitcnt vmcnt(53) lgkmcnt(1)
	v_mul_f32_e32 v115, v101, v153
	s_waitcnt vmcnt(52)
	v_fmac_f32_e32 v109, v90, v154
	s_waitcnt vmcnt(51)
	v_fmac_f32_e32 v110, v92, v155
	v_add_f32_e32 v109, 0, v109
	s_waitcnt vmcnt(50)
	v_fmac_f32_e32 v111, v94, v156
	v_add_f32_e32 v109, v109, v110
	;; [unrolled: 3-line block ×6, first 2 shown]
	s_waitcnt vmcnt(45)
	v_mul_f32_e32 v110, v103, v161
	v_add_f32_e32 v109, v109, v115
	s_waitcnt vmcnt(44)
	v_fmac_f32_e32 v110, v104, v162
	v_mul_f32_e32 v90, v90, v147
	v_add_f32_e32 v113, v109, v110
	ds_read_b128 v[109:112], v88 offset:544
	v_fma_f32 v89, v89, v154, -v90
	v_mul_f32_e32 v90, v92, v148
	s_waitcnt vmcnt(43) lgkmcnt(1)
	v_mul_f32_e32 v114, v105, v163
	v_add_f32_e32 v89, 0, v89
	v_fma_f32 v90, v91, v155, -v90
	s_waitcnt vmcnt(42)
	v_fmac_f32_e32 v114, v106, v164
	v_add_f32_e32 v89, v89, v90
	v_mul_f32_e32 v90, v94, v149
	v_add_f32_e32 v113, v113, v114
	s_waitcnt vmcnt(41)
	v_mul_f32_e32 v114, v107, v165
	v_fma_f32 v90, v93, v156, -v90
	s_waitcnt vmcnt(40)
	v_fmac_f32_e32 v114, v108, v166
	v_add_f32_e32 v89, v89, v90
	v_mul_f32_e32 v90, v96, v150
	v_add_f32_e32 v113, v113, v114
	s_waitcnt vmcnt(39) lgkmcnt(0)
	v_mul_f32_e32 v114, v109, v167
	v_fma_f32 v90, v95, v157, -v90
	s_waitcnt vmcnt(38)
	v_fmac_f32_e32 v114, v110, v168
	v_add_f32_e32 v89, v89, v90
	v_mul_f32_e32 v90, v98, v151
	v_add_f32_e32 v117, v113, v114
	ds_read_b128 v[113:116], v88 offset:560
	v_fma_f32 v90, v97, v158, -v90
	v_add_f32_e32 v89, v89, v90
	v_mul_f32_e32 v90, v100, v152
	s_waitcnt vmcnt(37)
	v_mul_f32_e32 v118, v111, v169
	v_fma_f32 v90, v99, v159, -v90
	s_waitcnt vmcnt(36)
	v_fmac_f32_e32 v118, v112, v170
	v_add_f32_e32 v89, v89, v90
	v_mul_f32_e32 v90, v102, v153
	v_add_f32_e32 v121, v117, v118
	ds_read_b128 v[117:120], v88 offset:576
	v_fma_f32 v90, v101, v160, -v90
	s_waitcnt vmcnt(34) lgkmcnt(1)
	v_mul_f32_e32 v122, v113, v172
	v_add_f32_e32 v89, v89, v90
	v_mul_f32_e32 v90, v104, v161
	v_fmac_f32_e32 v122, v114, v171
	v_fma_f32 v90, v103, v162, -v90
	v_add_f32_e32 v121, v121, v122
	s_waitcnt vmcnt(31)
	v_mul_f32_e32 v122, v115, v175
	v_add_f32_e32 v89, v89, v90
	v_mul_f32_e32 v90, v106, v163
	s_waitcnt vmcnt(30)
	v_fmac_f32_e32 v122, v116, v176
	v_fma_f32 v90, v105, v164, -v90
	v_add_f32_e32 v121, v121, v122
	s_waitcnt vmcnt(28) lgkmcnt(0)
	v_mul_f32_e32 v122, v117, v178
	v_add_f32_e32 v89, v89, v90
	v_mul_f32_e32 v90, v108, v165
	v_fmac_f32_e32 v122, v118, v177
	v_fma_f32 v90, v107, v166, -v90
	v_add_f32_e32 v125, v121, v122
	ds_read_b128 v[121:124], v88 offset:592
	v_add_f32_e32 v89, v89, v90
	v_mul_f32_e32 v90, v110, v167
	v_fma_f32 v90, v109, v168, -v90
	s_waitcnt vmcnt(26)
	v_mul_f32_e32 v126, v119, v180
	v_add_f32_e32 v89, v89, v90
	v_mul_f32_e32 v90, v112, v169
	v_fmac_f32_e32 v126, v120, v179
	v_fma_f32 v90, v111, v170, -v90
	v_add_f32_e32 v129, v125, v126
	ds_read_b128 v[125:128], v88 offset:608
	v_add_f32_e32 v89, v89, v90
	v_mul_f32_e32 v90, v114, v172
	s_waitcnt vmcnt(24) lgkmcnt(1)
	v_mul_f32_e32 v130, v121, v182
	v_fma_f32 v90, v113, v171, -v90
	v_fmac_f32_e32 v130, v122, v181
	v_add_f32_e32 v89, v89, v90
	v_mul_f32_e32 v90, v116, v175
	v_add_f32_e32 v129, v129, v130
	s_waitcnt vmcnt(22)
	v_mul_f32_e32 v130, v123, v184
	v_fma_f32 v90, v115, v176, -v90
	v_fmac_f32_e32 v130, v124, v183
	v_add_f32_e32 v89, v89, v90
	v_mul_f32_e32 v90, v118, v178
	v_add_f32_e32 v129, v129, v130
	s_waitcnt vmcnt(20) lgkmcnt(0)
	v_mul_f32_e32 v130, v125, v186
	v_fma_f32 v90, v117, v177, -v90
	v_fmac_f32_e32 v130, v126, v185
	v_add_f32_e32 v89, v89, v90
	v_mul_f32_e32 v90, v120, v180
	v_add_f32_e32 v133, v129, v130
	ds_read_b128 v[129:132], v88 offset:624
	v_fma_f32 v90, v119, v179, -v90
	v_add_f32_e32 v89, v89, v90
	v_mul_f32_e32 v90, v122, v182
	s_waitcnt vmcnt(18)
	v_mul_f32_e32 v134, v127, v188
	v_fma_f32 v90, v121, v181, -v90
	v_fmac_f32_e32 v134, v128, v187
	v_add_f32_e32 v89, v89, v90
	v_mul_f32_e32 v90, v124, v184
	v_add_f32_e32 v137, v133, v134
	ds_read_b128 v[133:136], v88 offset:640
	v_fma_f32 v90, v123, v183, -v90
	s_waitcnt vmcnt(16) lgkmcnt(1)
	v_mul_f32_e32 v138, v129, v190
	v_add_f32_e32 v89, v89, v90
	v_mul_f32_e32 v90, v126, v186
	v_fmac_f32_e32 v138, v130, v189
	v_fma_f32 v90, v125, v185, -v90
	v_add_f32_e32 v137, v137, v138
	s_waitcnt vmcnt(14)
	v_mul_f32_e32 v138, v131, v192
	v_add_f32_e32 v89, v89, v90
	v_mul_f32_e32 v90, v128, v188
	v_fmac_f32_e32 v138, v132, v191
	v_fma_f32 v90, v127, v187, -v90
	v_add_f32_e32 v137, v137, v138
	s_waitcnt vmcnt(12) lgkmcnt(0)
	v_mul_f32_e32 v138, v133, v194
	v_add_f32_e32 v89, v89, v90
	v_mul_f32_e32 v90, v130, v190
	v_fmac_f32_e32 v138, v134, v193
	v_fma_f32 v90, v129, v189, -v90
	v_add_f32_e32 v141, v137, v138
	ds_read_b128 v[137:140], v88 offset:656
	v_add_f32_e32 v89, v89, v90
	v_mul_f32_e32 v90, v132, v192
	v_fma_f32 v90, v131, v191, -v90
	v_add_f32_e32 v89, v89, v90
	v_mul_f32_e32 v90, v134, v194
	s_waitcnt vmcnt(10)
	v_mul_f32_e32 v142, v135, v196
	v_fma_f32 v90, v133, v193, -v90
	v_fmac_f32_e32 v142, v136, v195
	v_add_f32_e32 v89, v89, v90
	v_mul_f32_e32 v90, v136, v196
	v_add_f32_e32 v145, v141, v142
	ds_read_b128 v[141:144], v88 offset:672
	s_waitcnt vmcnt(8) lgkmcnt(1)
	v_mul_f32_e32 v146, v137, v198
	v_fma_f32 v90, v135, v195, -v90
	v_fmac_f32_e32 v146, v138, v197
	v_add_f32_e32 v89, v89, v90
	v_mul_f32_e32 v90, v138, v198
	v_add_f32_e32 v145, v145, v146
	s_waitcnt vmcnt(6)
	v_mul_f32_e32 v146, v139, v200
	v_fma_f32 v90, v137, v197, -v90
	v_fmac_f32_e32 v146, v140, v199
	v_add_f32_e32 v89, v89, v90
	v_mul_f32_e32 v90, v140, v200
	v_add_f32_e32 v207, v145, v146
	ds_read_b64 v[145:146], v88 offset:688
	v_fma_f32 v90, v139, v199, -v90
	v_add_f32_e32 v89, v89, v90
	s_waitcnt vmcnt(4) lgkmcnt(1)
	v_mul_f32_e32 v90, v142, v202
	v_mul_f32_e32 v208, v141, v202
	v_fma_f32 v90, v141, v201, -v90
	v_fmac_f32_e32 v208, v142, v201
	v_add_f32_e32 v89, v89, v90
	s_waitcnt vmcnt(2)
	v_mul_f32_e32 v90, v144, v204
	v_add_f32_e32 v207, v207, v208
	v_mul_f32_e32 v208, v143, v204
	v_fma_f32 v90, v143, v203, -v90
	v_fmac_f32_e32 v208, v144, v203
	v_add_f32_e32 v89, v89, v90
	s_waitcnt vmcnt(0) lgkmcnt(0)
	v_mul_f32_e32 v90, v146, v206
	v_add_f32_e32 v207, v207, v208
	v_mul_f32_e32 v208, v145, v206
	v_fma_f32 v90, v145, v205, -v90
	v_fmac_f32_e32 v208, v146, v205
	v_add_f32_e32 v89, v89, v90
	v_add_f32_e32 v207, v207, v208
	v_sub_f32_e32 v89, v173, v89
	v_sub_f32_e32 v90, v174, v207
	buffer_store_dword v89, off, s[0:3], 0 offset:104
	buffer_store_dword v90, off, s[0:3], 0 offset:108
	s_and_saveexec_b64 s[4:5], vcc
	s_cbranch_execz .LBB106_247
; %bb.246:
	buffer_load_dword v89, off, s[0:3], 0 offset:96
	buffer_load_dword v90, off, s[0:3], 0 offset:100
	s_waitcnt vmcnt(0)
	ds_write_b64 v87, v[89:90]
	buffer_store_dword v88, off, s[0:3], 0 offset:96
	buffer_store_dword v88, off, s[0:3], 0 offset:100
.LBB106_247:
	s_or_b64 exec, exec, s[4:5]
	s_waitcnt lgkmcnt(0)
	; wave barrier
	buffer_load_dword v149, off, s[0:3], 0 offset:108
	buffer_load_dword v150, off, s[0:3], 0 offset:116
	;; [unrolled: 1-line block ×32, first 2 shown]
	ds_read2_b64 v[89:92], v88 offset0:57 offset1:58
	ds_read2_b64 v[93:96], v88 offset0:59 offset1:60
	ds_read2_b64 v[97:100], v88 offset0:61 offset1:62
	ds_read2_b64 v[101:104], v88 offset0:63 offset1:64
	buffer_load_dword v181, off, s[0:3], 0 offset:228
	buffer_load_dword v182, off, s[0:3], 0 offset:224
	;; [unrolled: 1-line block ×30, first 2 shown]
	v_cmp_lt_u32_e32 vcc, 11, v0
	s_waitcnt vmcnt(61) lgkmcnt(3)
	v_mul_f32_e32 v105, v89, v149
	s_waitcnt vmcnt(60)
	v_mul_f32_e32 v106, v91, v150
	s_waitcnt vmcnt(59) lgkmcnt(2)
	v_mul_f32_e32 v107, v93, v151
	s_waitcnt vmcnt(58)
	v_mul_f32_e32 v108, v95, v152
	s_waitcnt vmcnt(57) lgkmcnt(1)
	v_mul_f32_e32 v109, v97, v153
	s_waitcnt vmcnt(56)
	v_mul_f32_e32 v110, v99, v154
	s_waitcnt vmcnt(55) lgkmcnt(0)
	v_mul_f32_e32 v111, v101, v155
	s_waitcnt vmcnt(54)
	v_fmac_f32_e32 v105, v90, v156
	s_waitcnt vmcnt(53)
	v_fmac_f32_e32 v106, v92, v157
	v_add_f32_e32 v105, 0, v105
	s_waitcnt vmcnt(52)
	v_fmac_f32_e32 v107, v94, v158
	v_add_f32_e32 v105, v105, v106
	;; [unrolled: 3-line block ×6, first 2 shown]
	v_add_f32_e32 v109, v105, v111
	ds_read2_b64 v[105:108], v88 offset0:65 offset1:66
	s_waitcnt vmcnt(47)
	v_mul_f32_e32 v110, v103, v163
	s_waitcnt vmcnt(46)
	v_fmac_f32_e32 v110, v104, v164
	v_mul_f32_e32 v90, v90, v149
	v_add_f32_e32 v113, v109, v110
	ds_read2_b64 v[109:112], v88 offset0:67 offset1:68
	v_fma_f32 v89, v89, v156, -v90
	v_mul_f32_e32 v90, v92, v150
	s_waitcnt vmcnt(45) lgkmcnt(1)
	v_mul_f32_e32 v114, v105, v165
	v_add_f32_e32 v89, 0, v89
	v_fma_f32 v90, v91, v157, -v90
	s_waitcnt vmcnt(44)
	v_fmac_f32_e32 v114, v106, v166
	v_add_f32_e32 v89, v89, v90
	v_mul_f32_e32 v90, v94, v151
	v_add_f32_e32 v113, v113, v114
	s_waitcnt vmcnt(43)
	v_mul_f32_e32 v114, v107, v167
	v_fma_f32 v90, v93, v158, -v90
	s_waitcnt vmcnt(42)
	v_fmac_f32_e32 v114, v108, v168
	v_add_f32_e32 v89, v89, v90
	v_mul_f32_e32 v90, v96, v152
	v_add_f32_e32 v113, v113, v114
	s_waitcnt vmcnt(41) lgkmcnt(0)
	v_mul_f32_e32 v114, v109, v169
	v_fma_f32 v90, v95, v159, -v90
	s_waitcnt vmcnt(40)
	v_fmac_f32_e32 v114, v110, v170
	v_add_f32_e32 v89, v89, v90
	v_mul_f32_e32 v90, v98, v153
	v_add_f32_e32 v117, v113, v114
	ds_read2_b64 v[113:116], v88 offset0:69 offset1:70
	v_fma_f32 v90, v97, v160, -v90
	v_add_f32_e32 v89, v89, v90
	v_mul_f32_e32 v90, v100, v154
	s_waitcnt vmcnt(39)
	v_mul_f32_e32 v118, v111, v171
	v_fma_f32 v90, v99, v161, -v90
	s_waitcnt vmcnt(38)
	v_fmac_f32_e32 v118, v112, v172
	v_add_f32_e32 v89, v89, v90
	v_mul_f32_e32 v90, v102, v155
	v_add_f32_e32 v121, v117, v118
	ds_read2_b64 v[117:120], v88 offset0:71 offset1:72
	v_fma_f32 v90, v101, v162, -v90
	s_waitcnt vmcnt(35) lgkmcnt(1)
	v_mul_f32_e32 v122, v113, v175
	v_add_f32_e32 v89, v89, v90
	v_mul_f32_e32 v90, v104, v163
	s_waitcnt vmcnt(34)
	v_fmac_f32_e32 v122, v114, v176
	v_fma_f32 v90, v103, v164, -v90
	v_add_f32_e32 v121, v121, v122
	s_waitcnt vmcnt(32)
	v_mul_f32_e32 v122, v115, v178
	v_add_f32_e32 v89, v89, v90
	v_mul_f32_e32 v90, v106, v165
	v_fmac_f32_e32 v122, v116, v177
	v_fma_f32 v90, v105, v166, -v90
	v_add_f32_e32 v121, v121, v122
	s_waitcnt vmcnt(30) lgkmcnt(0)
	v_mul_f32_e32 v122, v117, v180
	v_add_f32_e32 v89, v89, v90
	v_mul_f32_e32 v90, v108, v167
	v_fmac_f32_e32 v122, v118, v179
	v_fma_f32 v90, v107, v168, -v90
	v_add_f32_e32 v125, v121, v122
	ds_read2_b64 v[121:124], v88 offset0:73 offset1:74
	v_add_f32_e32 v89, v89, v90
	v_mul_f32_e32 v90, v110, v169
	v_fma_f32 v90, v109, v170, -v90
	s_waitcnt vmcnt(29)
	v_mul_f32_e32 v126, v119, v181
	v_add_f32_e32 v89, v89, v90
	v_mul_f32_e32 v90, v112, v171
	s_waitcnt vmcnt(28)
	v_fmac_f32_e32 v126, v120, v182
	v_fma_f32 v90, v111, v172, -v90
	v_add_f32_e32 v129, v125, v126
	ds_read2_b64 v[125:128], v88 offset0:75 offset1:76
	v_add_f32_e32 v89, v89, v90
	v_mul_f32_e32 v90, v114, v175
	s_waitcnt vmcnt(26) lgkmcnt(1)
	v_mul_f32_e32 v130, v121, v184
	v_fma_f32 v90, v113, v176, -v90
	v_fmac_f32_e32 v130, v122, v183
	v_add_f32_e32 v89, v89, v90
	v_mul_f32_e32 v90, v116, v178
	v_add_f32_e32 v129, v129, v130
	s_waitcnt vmcnt(24)
	v_mul_f32_e32 v130, v123, v186
	v_fma_f32 v90, v115, v177, -v90
	v_fmac_f32_e32 v130, v124, v185
	v_add_f32_e32 v89, v89, v90
	v_mul_f32_e32 v90, v118, v180
	v_add_f32_e32 v129, v129, v130
	s_waitcnt vmcnt(22) lgkmcnt(0)
	v_mul_f32_e32 v130, v125, v188
	v_fma_f32 v90, v117, v179, -v90
	v_fmac_f32_e32 v130, v126, v187
	v_add_f32_e32 v89, v89, v90
	v_mul_f32_e32 v90, v120, v181
	v_add_f32_e32 v133, v129, v130
	ds_read2_b64 v[129:132], v88 offset0:77 offset1:78
	v_fma_f32 v90, v119, v182, -v90
	v_add_f32_e32 v89, v89, v90
	v_mul_f32_e32 v90, v122, v184
	s_waitcnt vmcnt(20)
	v_mul_f32_e32 v134, v127, v190
	v_fma_f32 v90, v121, v183, -v90
	v_fmac_f32_e32 v134, v128, v189
	v_add_f32_e32 v89, v89, v90
	v_mul_f32_e32 v90, v124, v186
	v_add_f32_e32 v137, v133, v134
	ds_read2_b64 v[133:136], v88 offset0:79 offset1:80
	v_fma_f32 v90, v123, v185, -v90
	s_waitcnt vmcnt(18) lgkmcnt(1)
	v_mul_f32_e32 v138, v129, v192
	v_add_f32_e32 v89, v89, v90
	v_mul_f32_e32 v90, v126, v188
	v_fmac_f32_e32 v138, v130, v191
	v_fma_f32 v90, v125, v187, -v90
	v_add_f32_e32 v137, v137, v138
	s_waitcnt vmcnt(16)
	v_mul_f32_e32 v138, v131, v194
	v_add_f32_e32 v89, v89, v90
	v_mul_f32_e32 v90, v128, v190
	v_fmac_f32_e32 v138, v132, v193
	v_fma_f32 v90, v127, v189, -v90
	v_add_f32_e32 v137, v137, v138
	s_waitcnt vmcnt(14) lgkmcnt(0)
	v_mul_f32_e32 v138, v133, v196
	v_add_f32_e32 v89, v89, v90
	v_mul_f32_e32 v90, v130, v192
	v_fmac_f32_e32 v138, v134, v195
	v_fma_f32 v90, v129, v191, -v90
	v_add_f32_e32 v141, v137, v138
	ds_read2_b64 v[137:140], v88 offset0:81 offset1:82
	v_add_f32_e32 v89, v89, v90
	v_mul_f32_e32 v90, v132, v194
	v_fma_f32 v90, v131, v193, -v90
	v_add_f32_e32 v89, v89, v90
	v_mul_f32_e32 v90, v134, v196
	s_waitcnt vmcnt(12)
	v_mul_f32_e32 v142, v135, v198
	v_fma_f32 v90, v133, v195, -v90
	v_fmac_f32_e32 v142, v136, v197
	v_add_f32_e32 v89, v89, v90
	v_mul_f32_e32 v90, v136, v198
	v_add_f32_e32 v145, v141, v142
	ds_read2_b64 v[141:144], v88 offset0:83 offset1:84
	s_waitcnt vmcnt(10) lgkmcnt(1)
	v_mul_f32_e32 v146, v137, v200
	v_fma_f32 v90, v135, v197, -v90
	v_fmac_f32_e32 v146, v138, v199
	v_add_f32_e32 v89, v89, v90
	v_mul_f32_e32 v90, v138, v200
	v_add_f32_e32 v145, v145, v146
	s_waitcnt vmcnt(8)
	v_mul_f32_e32 v146, v139, v202
	v_fma_f32 v90, v137, v199, -v90
	v_fmac_f32_e32 v146, v140, v201
	v_add_f32_e32 v89, v89, v90
	v_mul_f32_e32 v90, v140, v202
	v_add_f32_e32 v211, v145, v146
	ds_read2_b64 v[145:148], v88 offset0:85 offset1:86
	v_fma_f32 v90, v139, v201, -v90
	v_add_f32_e32 v89, v89, v90
	s_waitcnt vmcnt(6) lgkmcnt(1)
	v_mul_f32_e32 v90, v142, v204
	v_mul_f32_e32 v212, v141, v204
	v_fma_f32 v90, v141, v203, -v90
	v_fmac_f32_e32 v212, v142, v203
	v_add_f32_e32 v89, v89, v90
	s_waitcnt vmcnt(4)
	v_mul_f32_e32 v90, v144, v206
	v_add_f32_e32 v88, v211, v212
	v_mul_f32_e32 v211, v143, v206
	v_fma_f32 v90, v143, v205, -v90
	v_fmac_f32_e32 v211, v144, v205
	v_add_f32_e32 v89, v89, v90
	s_waitcnt vmcnt(2) lgkmcnt(0)
	v_mul_f32_e32 v90, v146, v208
	v_add_f32_e32 v88, v88, v211
	v_mul_f32_e32 v211, v145, v208
	v_fma_f32 v90, v145, v207, -v90
	v_fmac_f32_e32 v211, v146, v207
	v_add_f32_e32 v89, v89, v90
	s_waitcnt vmcnt(0)
	v_mul_f32_e32 v90, v148, v210
	v_add_f32_e32 v88, v88, v211
	v_mul_f32_e32 v211, v147, v210
	v_fma_f32 v90, v147, v209, -v90
	v_fmac_f32_e32 v211, v148, v209
	v_add_f32_e32 v89, v89, v90
	v_add_f32_e32 v88, v88, v211
	v_sub_f32_e32 v89, v173, v89
	v_sub_f32_e32 v88, v174, v88
	buffer_store_dword v89, off, s[0:3], 0 offset:96
	buffer_store_dword v88, off, s[0:3], 0 offset:100
	s_and_saveexec_b64 s[4:5], vcc
	s_cbranch_execz .LBB106_249
; %bb.248:
	buffer_load_dword v88, off, s[0:3], 0 offset:88
	buffer_load_dword v89, off, s[0:3], 0 offset:92
	v_mov_b32_e32 v90, 0
	buffer_store_dword v90, off, s[0:3], 0 offset:88
	buffer_store_dword v90, off, s[0:3], 0 offset:92
	s_waitcnt vmcnt(2)
	ds_write_b64 v87, v[88:89]
.LBB106_249:
	s_or_b64 exec, exec, s[4:5]
	s_waitcnt lgkmcnt(0)
	; wave barrier
	buffer_load_dword v151, off, s[0:3], 0 offset:100
	buffer_load_dword v152, off, s[0:3], 0 offset:108
	;; [unrolled: 1-line block ×56, first 2 shown]
	v_mov_b32_e32 v88, 0
	ds_read_b128 v[89:92], v88 offset:448
	buffer_load_dword v207, off, s[0:3], 0 offset:312
	buffer_load_dword v208, off, s[0:3], 0 offset:316
	;; [unrolled: 1-line block ×4, first 2 shown]
	ds_read_b128 v[93:96], v88 offset:464
	ds_read_b128 v[97:100], v88 offset:480
	;; [unrolled: 1-line block ×3, first 2 shown]
	v_cmp_lt_u32_e32 vcc, 10, v0
	s_waitcnt vmcnt(59) lgkmcnt(3)
	v_mul_f32_e32 v105, v89, v151
	s_waitcnt vmcnt(58)
	v_mul_f32_e32 v106, v91, v152
	s_waitcnt vmcnt(57) lgkmcnt(2)
	v_mul_f32_e32 v107, v93, v153
	s_waitcnt vmcnt(56)
	v_mul_f32_e32 v108, v95, v154
	;; [unrolled: 4-line block ×4, first 2 shown]
	s_waitcnt vmcnt(51)
	v_fmac_f32_e32 v105, v90, v159
	s_waitcnt vmcnt(50)
	v_fmac_f32_e32 v106, v92, v160
	v_add_f32_e32 v105, 0, v105
	s_waitcnt vmcnt(49)
	v_fmac_f32_e32 v107, v94, v161
	v_add_f32_e32 v105, v105, v106
	;; [unrolled: 3-line block ×6, first 2 shown]
	v_add_f32_e32 v109, v105, v111
	ds_read_b128 v[105:108], v88 offset:512
	buffer_load_dword v211, off, s[0:3], 0 offset:332
	buffer_load_dword v212, off, s[0:3], 0 offset:328
	;; [unrolled: 1-line block ×4, first 2 shown]
	s_waitcnt vmcnt(48)
	v_fmac_f32_e32 v112, v104, v166
	v_add_f32_e32 v113, v109, v112
	ds_read_b128 v[109:112], v88 offset:528
	s_waitcnt vmcnt(47) lgkmcnt(1)
	v_mul_f32_e32 v114, v105, v167
	v_mul_f32_e32 v90, v90, v151
	s_waitcnt vmcnt(46)
	v_fmac_f32_e32 v114, v106, v168
	v_fma_f32 v89, v89, v159, -v90
	v_mul_f32_e32 v90, v92, v152
	v_add_f32_e32 v113, v113, v114
	s_waitcnt vmcnt(45)
	v_mul_f32_e32 v114, v107, v169
	v_add_f32_e32 v89, 0, v89
	v_fma_f32 v90, v91, v160, -v90
	s_waitcnt vmcnt(44)
	v_fmac_f32_e32 v114, v108, v170
	v_add_f32_e32 v89, v89, v90
	v_mul_f32_e32 v90, v94, v153
	v_add_f32_e32 v113, v113, v114
	s_waitcnt vmcnt(42) lgkmcnt(0)
	v_mul_f32_e32 v114, v109, v172
	v_fma_f32 v90, v93, v161, -v90
	v_fmac_f32_e32 v114, v110, v171
	v_add_f32_e32 v89, v89, v90
	v_mul_f32_e32 v90, v96, v154
	v_add_f32_e32 v117, v113, v114
	ds_read_b128 v[113:116], v88 offset:544
	v_fma_f32 v90, v95, v162, -v90
	v_add_f32_e32 v89, v89, v90
	v_mul_f32_e32 v90, v98, v155
	s_waitcnt vmcnt(39)
	v_mul_f32_e32 v118, v111, v175
	v_fma_f32 v90, v97, v163, -v90
	s_waitcnt vmcnt(38)
	v_fmac_f32_e32 v118, v112, v176
	v_add_f32_e32 v89, v89, v90
	v_mul_f32_e32 v90, v100, v156
	v_add_f32_e32 v121, v117, v118
	ds_read_b128 v[117:120], v88 offset:560
	v_fma_f32 v90, v99, v164, -v90
	s_waitcnt vmcnt(36) lgkmcnt(1)
	v_mul_f32_e32 v122, v113, v178
	v_add_f32_e32 v89, v89, v90
	v_mul_f32_e32 v90, v102, v157
	v_fmac_f32_e32 v122, v114, v177
	v_fma_f32 v90, v101, v165, -v90
	v_add_f32_e32 v121, v121, v122
	s_waitcnt vmcnt(34)
	v_mul_f32_e32 v122, v115, v180
	v_add_f32_e32 v89, v89, v90
	v_mul_f32_e32 v90, v104, v158
	v_fmac_f32_e32 v122, v116, v179
	v_fma_f32 v90, v103, v166, -v90
	v_add_f32_e32 v121, v121, v122
	s_waitcnt vmcnt(32) lgkmcnt(0)
	v_mul_f32_e32 v122, v117, v182
	v_add_f32_e32 v89, v89, v90
	v_mul_f32_e32 v90, v106, v167
	v_fmac_f32_e32 v122, v118, v181
	v_fma_f32 v90, v105, v168, -v90
	v_add_f32_e32 v125, v121, v122
	ds_read_b128 v[121:124], v88 offset:576
	v_add_f32_e32 v89, v89, v90
	v_mul_f32_e32 v90, v108, v169
	v_fma_f32 v90, v107, v170, -v90
	s_waitcnt vmcnt(30)
	v_mul_f32_e32 v126, v119, v184
	v_add_f32_e32 v89, v89, v90
	v_mul_f32_e32 v90, v110, v172
	v_fmac_f32_e32 v126, v120, v183
	v_fma_f32 v90, v109, v171, -v90
	v_add_f32_e32 v129, v125, v126
	ds_read_b128 v[125:128], v88 offset:592
	v_add_f32_e32 v89, v89, v90
	v_mul_f32_e32 v90, v112, v175
	s_waitcnt vmcnt(28) lgkmcnt(1)
	v_mul_f32_e32 v130, v121, v186
	v_fma_f32 v90, v111, v176, -v90
	v_fmac_f32_e32 v130, v122, v185
	v_add_f32_e32 v89, v89, v90
	v_mul_f32_e32 v90, v114, v178
	v_add_f32_e32 v129, v129, v130
	s_waitcnt vmcnt(26)
	v_mul_f32_e32 v130, v123, v188
	v_fma_f32 v90, v113, v177, -v90
	v_fmac_f32_e32 v130, v124, v187
	v_add_f32_e32 v89, v89, v90
	v_mul_f32_e32 v90, v116, v180
	v_add_f32_e32 v129, v129, v130
	s_waitcnt vmcnt(24) lgkmcnt(0)
	v_mul_f32_e32 v130, v125, v190
	v_fma_f32 v90, v115, v179, -v90
	v_fmac_f32_e32 v130, v126, v189
	v_add_f32_e32 v89, v89, v90
	v_mul_f32_e32 v90, v118, v182
	v_add_f32_e32 v133, v129, v130
	ds_read_b128 v[129:132], v88 offset:608
	v_fma_f32 v90, v117, v181, -v90
	v_add_f32_e32 v89, v89, v90
	v_mul_f32_e32 v90, v120, v184
	s_waitcnt vmcnt(22)
	v_mul_f32_e32 v134, v127, v192
	v_fma_f32 v90, v119, v183, -v90
	v_fmac_f32_e32 v134, v128, v191
	v_add_f32_e32 v89, v89, v90
	v_mul_f32_e32 v90, v122, v186
	v_add_f32_e32 v137, v133, v134
	ds_read_b128 v[133:136], v88 offset:624
	v_fma_f32 v90, v121, v185, -v90
	s_waitcnt vmcnt(20) lgkmcnt(1)
	v_mul_f32_e32 v138, v129, v194
	v_add_f32_e32 v89, v89, v90
	v_mul_f32_e32 v90, v124, v188
	v_fmac_f32_e32 v138, v130, v193
	v_fma_f32 v90, v123, v187, -v90
	v_add_f32_e32 v137, v137, v138
	s_waitcnt vmcnt(18)
	v_mul_f32_e32 v138, v131, v196
	v_add_f32_e32 v89, v89, v90
	v_mul_f32_e32 v90, v126, v190
	v_fmac_f32_e32 v138, v132, v195
	v_fma_f32 v90, v125, v189, -v90
	v_add_f32_e32 v137, v137, v138
	s_waitcnt vmcnt(16) lgkmcnt(0)
	v_mul_f32_e32 v138, v133, v198
	v_add_f32_e32 v89, v89, v90
	v_mul_f32_e32 v90, v128, v192
	v_fmac_f32_e32 v138, v134, v197
	v_fma_f32 v90, v127, v191, -v90
	v_add_f32_e32 v141, v137, v138
	ds_read_b128 v[137:140], v88 offset:640
	v_add_f32_e32 v89, v89, v90
	v_mul_f32_e32 v90, v130, v194
	v_fma_f32 v90, v129, v193, -v90
	s_waitcnt vmcnt(14)
	v_mul_f32_e32 v142, v135, v200
	v_add_f32_e32 v89, v89, v90
	v_mul_f32_e32 v90, v132, v196
	v_fmac_f32_e32 v142, v136, v199
	v_fma_f32 v90, v131, v195, -v90
	v_add_f32_e32 v145, v141, v142
	ds_read_b128 v[141:144], v88 offset:656
	v_add_f32_e32 v89, v89, v90
	v_mul_f32_e32 v90, v134, v198
	s_waitcnt vmcnt(12) lgkmcnt(1)
	v_mul_f32_e32 v146, v137, v202
	v_fma_f32 v90, v133, v197, -v90
	v_fmac_f32_e32 v146, v138, v201
	v_add_f32_e32 v89, v89, v90
	v_mul_f32_e32 v90, v136, v200
	v_add_f32_e32 v145, v145, v146
	s_waitcnt vmcnt(10)
	v_mul_f32_e32 v146, v139, v204
	v_fma_f32 v90, v135, v199, -v90
	v_fmac_f32_e32 v146, v140, v203
	v_add_f32_e32 v89, v89, v90
	v_mul_f32_e32 v90, v138, v202
	v_add_f32_e32 v145, v145, v146
	s_waitcnt vmcnt(8) lgkmcnt(0)
	v_mul_f32_e32 v146, v141, v206
	v_fma_f32 v90, v137, v201, -v90
	v_fmac_f32_e32 v146, v142, v205
	v_add_f32_e32 v89, v89, v90
	v_mul_f32_e32 v90, v140, v204
	v_add_f32_e32 v149, v145, v146
	ds_read_b128 v[145:148], v88 offset:672
	v_fma_f32 v90, v139, v203, -v90
	v_add_f32_e32 v89, v89, v90
	v_mul_f32_e32 v90, v142, v206
	s_waitcnt vmcnt(6)
	v_mul_f32_e32 v150, v143, v208
	v_fma_f32 v90, v141, v205, -v90
	v_fmac_f32_e32 v150, v144, v207
	v_add_f32_e32 v89, v89, v90
	v_mul_f32_e32 v90, v144, v208
	v_add_f32_e32 v215, v149, v150
	ds_read_b64 v[149:150], v88 offset:688
	v_fma_f32 v90, v143, v207, -v90
	v_add_f32_e32 v89, v89, v90
	s_waitcnt vmcnt(4) lgkmcnt(1)
	v_mul_f32_e32 v90, v146, v210
	v_mul_f32_e32 v216, v145, v210
	v_fma_f32 v90, v145, v209, -v90
	v_fmac_f32_e32 v216, v146, v209
	v_add_f32_e32 v89, v89, v90
	s_waitcnt vmcnt(3)
	v_mul_f32_e32 v90, v148, v211
	v_add_f32_e32 v215, v215, v216
	v_mul_f32_e32 v216, v147, v211
	s_waitcnt vmcnt(2)
	v_fma_f32 v90, v147, v212, -v90
	v_fmac_f32_e32 v216, v148, v212
	v_add_f32_e32 v89, v89, v90
	s_waitcnt vmcnt(0) lgkmcnt(0)
	v_mul_f32_e32 v90, v150, v214
	v_add_f32_e32 v215, v215, v216
	v_mul_f32_e32 v216, v149, v214
	v_fma_f32 v90, v149, v213, -v90
	v_fmac_f32_e32 v216, v150, v213
	v_add_f32_e32 v89, v89, v90
	v_add_f32_e32 v215, v215, v216
	v_sub_f32_e32 v89, v173, v89
	v_sub_f32_e32 v90, v174, v215
	buffer_store_dword v89, off, s[0:3], 0 offset:88
	buffer_store_dword v90, off, s[0:3], 0 offset:92
	s_and_saveexec_b64 s[4:5], vcc
	s_cbranch_execz .LBB106_251
; %bb.250:
	buffer_load_dword v89, off, s[0:3], 0 offset:80
	buffer_load_dword v90, off, s[0:3], 0 offset:84
	s_waitcnt vmcnt(0)
	ds_write_b64 v87, v[89:90]
	buffer_store_dword v88, off, s[0:3], 0 offset:80
	buffer_store_dword v88, off, s[0:3], 0 offset:84
.LBB106_251:
	s_or_b64 exec, exec, s[4:5]
	s_waitcnt lgkmcnt(0)
	; wave barrier
	buffer_load_dword v153, off, s[0:3], 0 offset:92
	buffer_load_dword v154, off, s[0:3], 0 offset:100
	;; [unrolled: 1-line block ×26, first 2 shown]
	ds_read2_b64 v[89:92], v88 offset0:55 offset1:56
	ds_read2_b64 v[93:96], v88 offset0:57 offset1:58
	;; [unrolled: 1-line block ×4, first 2 shown]
	buffer_load_dword v179, off, s[0:3], 0 offset:188
	buffer_load_dword v180, off, s[0:3], 0 offset:184
	;; [unrolled: 1-line block ×34, first 2 shown]
	v_cmp_lt_u32_e32 vcc, 9, v0
	s_waitcnt vmcnt(59) lgkmcnt(3)
	v_mul_f32_e32 v105, v89, v153
	s_waitcnt vmcnt(58)
	v_mul_f32_e32 v106, v91, v154
	s_waitcnt vmcnt(57) lgkmcnt(2)
	v_mul_f32_e32 v107, v93, v155
	s_waitcnt vmcnt(56)
	v_mul_f32_e32 v108, v95, v156
	;; [unrolled: 4-line block ×4, first 2 shown]
	s_waitcnt vmcnt(51)
	v_fmac_f32_e32 v105, v90, v161
	s_waitcnt vmcnt(50)
	v_fmac_f32_e32 v106, v92, v162
	v_add_f32_e32 v105, 0, v105
	s_waitcnt vmcnt(49)
	v_fmac_f32_e32 v107, v94, v163
	v_add_f32_e32 v105, v105, v106
	;; [unrolled: 3-line block ×7, first 2 shown]
	v_add_f32_e32 v113, v105, v112
	ds_read2_b64 v[105:108], v88 offset0:63 offset1:64
	buffer_load_dword v213, off, s[0:3], 0 offset:324
	buffer_load_dword v214, off, s[0:3], 0 offset:320
	;; [unrolled: 1-line block ×4, first 2 shown]
	ds_read2_b64 v[109:112], v88 offset0:65 offset1:66
	buffer_load_dword v217, off, s[0:3], 0 offset:336
	buffer_load_dword v218, off, s[0:3], 0 offset:340
	v_mul_f32_e32 v90, v90, v153
	s_waitcnt vmcnt(49) lgkmcnt(1)
	v_mul_f32_e32 v114, v105, v169
	s_waitcnt vmcnt(48)
	v_fmac_f32_e32 v114, v106, v170
	v_fma_f32 v89, v89, v161, -v90
	v_mul_f32_e32 v90, v92, v154
	v_add_f32_e32 v113, v113, v114
	s_waitcnt vmcnt(46)
	v_mul_f32_e32 v114, v107, v172
	v_add_f32_e32 v89, 0, v89
	v_fma_f32 v90, v91, v162, -v90
	v_fmac_f32_e32 v114, v108, v171
	v_add_f32_e32 v89, v89, v90
	v_mul_f32_e32 v90, v94, v155
	v_add_f32_e32 v113, v113, v114
	s_waitcnt vmcnt(43) lgkmcnt(0)
	v_mul_f32_e32 v114, v109, v175
	v_fma_f32 v90, v93, v163, -v90
	s_waitcnt vmcnt(42)
	v_fmac_f32_e32 v114, v110, v176
	v_add_f32_e32 v89, v89, v90
	v_mul_f32_e32 v90, v96, v156
	v_add_f32_e32 v117, v113, v114
	ds_read2_b64 v[113:116], v88 offset0:67 offset1:68
	v_fma_f32 v90, v95, v164, -v90
	v_add_f32_e32 v89, v89, v90
	v_mul_f32_e32 v90, v98, v157
	s_waitcnt vmcnt(40)
	v_mul_f32_e32 v118, v111, v178
	v_fma_f32 v90, v97, v165, -v90
	v_fmac_f32_e32 v118, v112, v177
	v_add_f32_e32 v89, v89, v90
	v_mul_f32_e32 v90, v100, v158
	v_add_f32_e32 v121, v117, v118
	ds_read2_b64 v[117:120], v88 offset0:69 offset1:70
	v_fma_f32 v90, v99, v166, -v90
	s_waitcnt vmcnt(39) lgkmcnt(1)
	v_mul_f32_e32 v122, v113, v179
	v_add_f32_e32 v89, v89, v90
	v_mul_f32_e32 v90, v102, v159
	s_waitcnt vmcnt(38)
	v_fmac_f32_e32 v122, v114, v180
	v_fma_f32 v90, v101, v167, -v90
	v_add_f32_e32 v121, v121, v122
	s_waitcnt vmcnt(36)
	v_mul_f32_e32 v122, v115, v182
	v_add_f32_e32 v89, v89, v90
	v_mul_f32_e32 v90, v104, v160
	v_fmac_f32_e32 v122, v116, v181
	v_fma_f32 v90, v103, v168, -v90
	v_add_f32_e32 v121, v121, v122
	s_waitcnt vmcnt(34) lgkmcnt(0)
	v_mul_f32_e32 v122, v117, v184
	v_add_f32_e32 v89, v89, v90
	v_mul_f32_e32 v90, v106, v169
	v_fmac_f32_e32 v122, v118, v183
	v_fma_f32 v90, v105, v170, -v90
	v_add_f32_e32 v125, v121, v122
	ds_read2_b64 v[121:124], v88 offset0:71 offset1:72
	v_add_f32_e32 v89, v89, v90
	v_mul_f32_e32 v90, v108, v172
	v_fma_f32 v90, v107, v171, -v90
	s_waitcnt vmcnt(32)
	v_mul_f32_e32 v126, v119, v186
	v_add_f32_e32 v89, v89, v90
	v_mul_f32_e32 v90, v110, v175
	v_fmac_f32_e32 v126, v120, v185
	v_fma_f32 v90, v109, v176, -v90
	v_add_f32_e32 v129, v125, v126
	ds_read2_b64 v[125:128], v88 offset0:73 offset1:74
	v_add_f32_e32 v89, v89, v90
	v_mul_f32_e32 v90, v112, v178
	s_waitcnt vmcnt(30) lgkmcnt(1)
	v_mul_f32_e32 v130, v121, v188
	v_fma_f32 v90, v111, v177, -v90
	v_fmac_f32_e32 v130, v122, v187
	v_add_f32_e32 v89, v89, v90
	v_mul_f32_e32 v90, v114, v179
	v_add_f32_e32 v129, v129, v130
	s_waitcnt vmcnt(28)
	v_mul_f32_e32 v130, v123, v190
	v_fma_f32 v90, v113, v180, -v90
	v_fmac_f32_e32 v130, v124, v189
	v_add_f32_e32 v89, v89, v90
	v_mul_f32_e32 v90, v116, v182
	v_add_f32_e32 v129, v129, v130
	s_waitcnt vmcnt(26) lgkmcnt(0)
	v_mul_f32_e32 v130, v125, v192
	v_fma_f32 v90, v115, v181, -v90
	v_fmac_f32_e32 v130, v126, v191
	v_add_f32_e32 v89, v89, v90
	v_mul_f32_e32 v90, v118, v184
	v_add_f32_e32 v133, v129, v130
	ds_read2_b64 v[129:132], v88 offset0:75 offset1:76
	v_fma_f32 v90, v117, v183, -v90
	v_add_f32_e32 v89, v89, v90
	v_mul_f32_e32 v90, v120, v186
	s_waitcnt vmcnt(24)
	v_mul_f32_e32 v134, v127, v194
	v_fma_f32 v90, v119, v185, -v90
	v_fmac_f32_e32 v134, v128, v193
	v_add_f32_e32 v89, v89, v90
	v_mul_f32_e32 v90, v122, v188
	v_add_f32_e32 v137, v133, v134
	ds_read2_b64 v[133:136], v88 offset0:77 offset1:78
	v_fma_f32 v90, v121, v187, -v90
	s_waitcnt vmcnt(22) lgkmcnt(1)
	v_mul_f32_e32 v138, v129, v196
	v_add_f32_e32 v89, v89, v90
	v_mul_f32_e32 v90, v124, v190
	v_fmac_f32_e32 v138, v130, v195
	v_fma_f32 v90, v123, v189, -v90
	v_add_f32_e32 v137, v137, v138
	s_waitcnt vmcnt(20)
	v_mul_f32_e32 v138, v131, v198
	v_add_f32_e32 v89, v89, v90
	v_mul_f32_e32 v90, v126, v192
	v_fmac_f32_e32 v138, v132, v197
	v_fma_f32 v90, v125, v191, -v90
	v_add_f32_e32 v137, v137, v138
	s_waitcnt vmcnt(18) lgkmcnt(0)
	v_mul_f32_e32 v138, v133, v200
	v_add_f32_e32 v89, v89, v90
	v_mul_f32_e32 v90, v128, v194
	v_fmac_f32_e32 v138, v134, v199
	v_fma_f32 v90, v127, v193, -v90
	v_add_f32_e32 v141, v137, v138
	ds_read2_b64 v[137:140], v88 offset0:79 offset1:80
	v_add_f32_e32 v89, v89, v90
	v_mul_f32_e32 v90, v130, v196
	v_fma_f32 v90, v129, v195, -v90
	s_waitcnt vmcnt(16)
	v_mul_f32_e32 v142, v135, v202
	v_add_f32_e32 v89, v89, v90
	v_mul_f32_e32 v90, v132, v198
	v_fmac_f32_e32 v142, v136, v201
	v_fma_f32 v90, v131, v197, -v90
	v_add_f32_e32 v145, v141, v142
	ds_read2_b64 v[141:144], v88 offset0:81 offset1:82
	v_add_f32_e32 v89, v89, v90
	v_mul_f32_e32 v90, v134, v200
	s_waitcnt vmcnt(14) lgkmcnt(1)
	v_mul_f32_e32 v146, v137, v204
	v_fma_f32 v90, v133, v199, -v90
	v_fmac_f32_e32 v146, v138, v203
	v_add_f32_e32 v89, v89, v90
	v_mul_f32_e32 v90, v136, v202
	v_add_f32_e32 v145, v145, v146
	s_waitcnt vmcnt(12)
	v_mul_f32_e32 v146, v139, v206
	v_fma_f32 v90, v135, v201, -v90
	v_fmac_f32_e32 v146, v140, v205
	v_add_f32_e32 v89, v89, v90
	v_mul_f32_e32 v90, v138, v204
	v_add_f32_e32 v145, v145, v146
	s_waitcnt vmcnt(10) lgkmcnt(0)
	v_mul_f32_e32 v146, v141, v208
	v_fma_f32 v90, v137, v203, -v90
	v_fmac_f32_e32 v146, v142, v207
	v_add_f32_e32 v89, v89, v90
	v_mul_f32_e32 v90, v140, v206
	v_add_f32_e32 v149, v145, v146
	ds_read2_b64 v[145:148], v88 offset0:83 offset1:84
	v_fma_f32 v90, v139, v205, -v90
	v_add_f32_e32 v89, v89, v90
	v_mul_f32_e32 v90, v142, v208
	s_waitcnt vmcnt(8)
	v_mul_f32_e32 v150, v143, v210
	v_fma_f32 v90, v141, v207, -v90
	v_fmac_f32_e32 v150, v144, v209
	v_add_f32_e32 v89, v89, v90
	v_mul_f32_e32 v90, v144, v210
	v_add_f32_e32 v219, v149, v150
	ds_read2_b64 v[149:152], v88 offset0:85 offset1:86
	v_fma_f32 v90, v143, v209, -v90
	v_add_f32_e32 v89, v89, v90
	s_waitcnt vmcnt(6) lgkmcnt(1)
	v_mul_f32_e32 v90, v146, v212
	v_mul_f32_e32 v88, v145, v212
	v_fma_f32 v90, v145, v211, -v90
	v_fmac_f32_e32 v88, v146, v211
	v_add_f32_e32 v89, v89, v90
	s_waitcnt vmcnt(5)
	v_mul_f32_e32 v90, v148, v213
	v_add_f32_e32 v88, v219, v88
	v_mul_f32_e32 v219, v147, v213
	s_waitcnt vmcnt(4)
	v_fma_f32 v90, v147, v214, -v90
	v_fmac_f32_e32 v219, v148, v214
	v_add_f32_e32 v89, v89, v90
	s_waitcnt vmcnt(2) lgkmcnt(0)
	v_mul_f32_e32 v90, v150, v216
	v_add_f32_e32 v88, v88, v219
	v_mul_f32_e32 v219, v149, v216
	v_fma_f32 v90, v149, v215, -v90
	v_fmac_f32_e32 v219, v150, v215
	v_add_f32_e32 v89, v89, v90
	s_waitcnt vmcnt(0)
	v_mul_f32_e32 v90, v152, v218
	v_add_f32_e32 v88, v88, v219
	v_mul_f32_e32 v219, v151, v218
	v_fma_f32 v90, v151, v217, -v90
	v_fmac_f32_e32 v219, v152, v217
	v_add_f32_e32 v89, v89, v90
	v_add_f32_e32 v88, v88, v219
	v_sub_f32_e32 v89, v173, v89
	v_sub_f32_e32 v88, v174, v88
	buffer_store_dword v89, off, s[0:3], 0 offset:80
	buffer_store_dword v88, off, s[0:3], 0 offset:84
	s_and_saveexec_b64 s[4:5], vcc
	s_cbranch_execz .LBB106_253
; %bb.252:
	buffer_load_dword v88, off, s[0:3], 0 offset:72
	buffer_load_dword v89, off, s[0:3], 0 offset:76
	v_mov_b32_e32 v90, 0
	buffer_store_dword v90, off, s[0:3], 0 offset:72
	buffer_store_dword v90, off, s[0:3], 0 offset:76
	s_waitcnt vmcnt(2)
	ds_write_b64 v87, v[88:89]
.LBB106_253:
	s_or_b64 exec, exec, s[4:5]
	s_waitcnt lgkmcnt(0)
	; wave barrier
	buffer_load_dword v155, off, s[0:3], 0 offset:84
	buffer_load_dword v156, off, s[0:3], 0 offset:92
	;; [unrolled: 1-line block ×58, first 2 shown]
	v_mov_b32_e32 v88, 0
	ds_read_b128 v[89:92], v88 offset:432
	ds_read_b128 v[93:96], v88 offset:448
	;; [unrolled: 1-line block ×5, first 2 shown]
	buffer_load_dword v213, off, s[0:3], 0 offset:304
	buffer_load_dword v214, off, s[0:3], 0 offset:308
	v_cmp_lt_u32_e32 vcc, 8, v0
	s_waitcnt vmcnt(59) lgkmcnt(4)
	v_mul_f32_e32 v109, v89, v155
	s_waitcnt vmcnt(58)
	v_mul_f32_e32 v110, v91, v156
	s_waitcnt vmcnt(57) lgkmcnt(3)
	v_mul_f32_e32 v111, v93, v157
	s_waitcnt vmcnt(56)
	v_mul_f32_e32 v112, v95, v158
	;; [unrolled: 4-line block ×4, first 2 shown]
	s_waitcnt vmcnt(51)
	v_fmac_f32_e32 v109, v90, v163
	s_waitcnt vmcnt(50)
	v_fmac_f32_e32 v110, v92, v164
	v_add_f32_e32 v109, 0, v109
	s_waitcnt vmcnt(49)
	v_fmac_f32_e32 v111, v94, v165
	v_add_f32_e32 v109, v109, v110
	;; [unrolled: 3-line block ×7, first 2 shown]
	v_add_f32_e32 v113, v109, v116
	ds_read_b128 v[109:112], v88 offset:512
	buffer_load_dword v215, off, s[0:3], 0 offset:316
	buffer_load_dword v216, off, s[0:3], 0 offset:312
	;; [unrolled: 1-line block ×8, first 2 shown]
	s_waitcnt vmcnt(51) lgkmcnt(1)
	v_mul_f32_e32 v114, v105, v171
	s_waitcnt vmcnt(50)
	v_fmac_f32_e32 v114, v106, v172
	v_mul_f32_e32 v90, v90, v155
	v_add_f32_e32 v113, v113, v114
	s_waitcnt vmcnt(49)
	v_mul_f32_e32 v114, v107, v173
	v_fma_f32 v89, v89, v163, -v90
	v_mul_f32_e32 v90, v92, v156
	s_waitcnt vmcnt(46)
	v_fmac_f32_e32 v114, v108, v176
	v_add_f32_e32 v89, 0, v89
	v_fma_f32 v90, v91, v164, -v90
	v_add_f32_e32 v113, v113, v114
	s_waitcnt vmcnt(44) lgkmcnt(0)
	v_mul_f32_e32 v114, v109, v178
	v_add_f32_e32 v89, v89, v90
	v_mul_f32_e32 v90, v94, v157
	v_fmac_f32_e32 v114, v110, v177
	v_fma_f32 v90, v93, v165, -v90
	v_add_f32_e32 v117, v113, v114
	ds_read_b128 v[113:116], v88 offset:528
	v_add_f32_e32 v89, v89, v90
	v_mul_f32_e32 v90, v96, v158
	v_fma_f32 v90, v95, v166, -v90
	s_waitcnt vmcnt(42)
	v_mul_f32_e32 v118, v111, v180
	v_add_f32_e32 v89, v89, v90
	v_mul_f32_e32 v90, v98, v159
	v_fmac_f32_e32 v118, v112, v179
	v_fma_f32 v90, v97, v167, -v90
	v_add_f32_e32 v121, v117, v118
	ds_read_b128 v[117:120], v88 offset:544
	v_add_f32_e32 v89, v89, v90
	v_mul_f32_e32 v90, v100, v160
	s_waitcnt vmcnt(40) lgkmcnt(1)
	v_mul_f32_e32 v122, v113, v182
	v_fma_f32 v90, v99, v168, -v90
	v_fmac_f32_e32 v122, v114, v181
	v_add_f32_e32 v89, v89, v90
	v_mul_f32_e32 v90, v102, v161
	v_add_f32_e32 v121, v121, v122
	s_waitcnt vmcnt(38)
	v_mul_f32_e32 v122, v115, v184
	v_fma_f32 v90, v101, v169, -v90
	v_fmac_f32_e32 v122, v116, v183
	v_add_f32_e32 v89, v89, v90
	v_mul_f32_e32 v90, v104, v162
	v_add_f32_e32 v121, v121, v122
	s_waitcnt vmcnt(36) lgkmcnt(0)
	v_mul_f32_e32 v122, v117, v186
	v_fma_f32 v90, v103, v170, -v90
	v_fmac_f32_e32 v122, v118, v185
	v_add_f32_e32 v89, v89, v90
	v_mul_f32_e32 v90, v106, v171
	v_add_f32_e32 v125, v121, v122
	ds_read_b128 v[121:124], v88 offset:560
	v_fma_f32 v90, v105, v172, -v90
	v_add_f32_e32 v89, v89, v90
	v_mul_f32_e32 v90, v108, v173
	s_waitcnt vmcnt(34)
	v_mul_f32_e32 v126, v119, v188
	v_fma_f32 v90, v107, v176, -v90
	v_fmac_f32_e32 v126, v120, v187
	v_add_f32_e32 v89, v89, v90
	v_mul_f32_e32 v90, v110, v178
	v_add_f32_e32 v129, v125, v126
	ds_read_b128 v[125:128], v88 offset:576
	v_fma_f32 v90, v109, v177, -v90
	s_waitcnt vmcnt(32) lgkmcnt(1)
	v_mul_f32_e32 v130, v121, v190
	v_add_f32_e32 v89, v89, v90
	v_mul_f32_e32 v90, v112, v180
	v_fmac_f32_e32 v130, v122, v189
	v_fma_f32 v90, v111, v179, -v90
	v_add_f32_e32 v129, v129, v130
	s_waitcnt vmcnt(30)
	v_mul_f32_e32 v130, v123, v192
	v_add_f32_e32 v89, v89, v90
	v_mul_f32_e32 v90, v114, v182
	v_fmac_f32_e32 v130, v124, v191
	v_fma_f32 v90, v113, v181, -v90
	v_add_f32_e32 v129, v129, v130
	s_waitcnt vmcnt(28) lgkmcnt(0)
	v_mul_f32_e32 v130, v125, v194
	v_add_f32_e32 v89, v89, v90
	v_mul_f32_e32 v90, v116, v184
	v_fmac_f32_e32 v130, v126, v193
	v_fma_f32 v90, v115, v183, -v90
	v_add_f32_e32 v133, v129, v130
	ds_read_b128 v[129:132], v88 offset:592
	v_add_f32_e32 v89, v89, v90
	v_mul_f32_e32 v90, v118, v186
	v_fma_f32 v90, v117, v185, -v90
	s_waitcnt vmcnt(26)
	v_mul_f32_e32 v134, v127, v196
	v_add_f32_e32 v89, v89, v90
	v_mul_f32_e32 v90, v120, v188
	v_fmac_f32_e32 v134, v128, v195
	v_fma_f32 v90, v119, v187, -v90
	v_add_f32_e32 v137, v133, v134
	ds_read_b128 v[133:136], v88 offset:608
	v_add_f32_e32 v89, v89, v90
	v_mul_f32_e32 v90, v122, v190
	s_waitcnt vmcnt(24) lgkmcnt(1)
	v_mul_f32_e32 v138, v129, v198
	v_fma_f32 v90, v121, v189, -v90
	v_fmac_f32_e32 v138, v130, v197
	v_add_f32_e32 v89, v89, v90
	v_mul_f32_e32 v90, v124, v192
	v_add_f32_e32 v137, v137, v138
	s_waitcnt vmcnt(22)
	v_mul_f32_e32 v138, v131, v200
	v_fma_f32 v90, v123, v191, -v90
	v_fmac_f32_e32 v138, v132, v199
	v_add_f32_e32 v89, v89, v90
	v_mul_f32_e32 v90, v126, v194
	v_add_f32_e32 v137, v137, v138
	s_waitcnt vmcnt(20) lgkmcnt(0)
	v_mul_f32_e32 v138, v133, v202
	v_fma_f32 v90, v125, v193, -v90
	v_fmac_f32_e32 v138, v134, v201
	v_add_f32_e32 v89, v89, v90
	v_mul_f32_e32 v90, v128, v196
	v_add_f32_e32 v141, v137, v138
	ds_read_b128 v[137:140], v88 offset:624
	v_fma_f32 v90, v127, v195, -v90
	v_add_f32_e32 v89, v89, v90
	v_mul_f32_e32 v90, v130, v198
	s_waitcnt vmcnt(18)
	v_mul_f32_e32 v142, v135, v204
	v_fma_f32 v90, v129, v197, -v90
	v_fmac_f32_e32 v142, v136, v203
	v_add_f32_e32 v89, v89, v90
	v_mul_f32_e32 v90, v132, v200
	v_add_f32_e32 v145, v141, v142
	ds_read_b128 v[141:144], v88 offset:640
	v_fma_f32 v90, v131, v199, -v90
	s_waitcnt vmcnt(16) lgkmcnt(1)
	v_mul_f32_e32 v146, v137, v206
	v_add_f32_e32 v89, v89, v90
	v_mul_f32_e32 v90, v134, v202
	v_fmac_f32_e32 v146, v138, v205
	v_fma_f32 v90, v133, v201, -v90
	v_add_f32_e32 v145, v145, v146
	s_waitcnt vmcnt(14)
	v_mul_f32_e32 v146, v139, v208
	v_add_f32_e32 v89, v89, v90
	v_mul_f32_e32 v90, v136, v204
	v_fmac_f32_e32 v146, v140, v207
	v_fma_f32 v90, v135, v203, -v90
	v_add_f32_e32 v145, v145, v146
	s_waitcnt vmcnt(12) lgkmcnt(0)
	v_mul_f32_e32 v146, v141, v210
	v_add_f32_e32 v89, v89, v90
	v_mul_f32_e32 v90, v138, v206
	v_fmac_f32_e32 v146, v142, v209
	v_fma_f32 v90, v137, v205, -v90
	v_add_f32_e32 v149, v145, v146
	ds_read_b128 v[145:148], v88 offset:656
	v_add_f32_e32 v89, v89, v90
	v_mul_f32_e32 v90, v140, v208
	v_fma_f32 v90, v139, v207, -v90
	v_add_f32_e32 v89, v89, v90
	v_mul_f32_e32 v90, v142, v210
	s_waitcnt vmcnt(10)
	v_mul_f32_e32 v150, v143, v212
	v_fma_f32 v90, v141, v209, -v90
	v_fmac_f32_e32 v150, v144, v211
	v_add_f32_e32 v89, v89, v90
	v_mul_f32_e32 v90, v144, v212
	v_add_f32_e32 v153, v149, v150
	ds_read_b128 v[149:152], v88 offset:672
	s_waitcnt vmcnt(8) lgkmcnt(1)
	v_mul_f32_e32 v154, v145, v214
	v_fma_f32 v90, v143, v211, -v90
	v_fmac_f32_e32 v154, v146, v213
	v_add_f32_e32 v89, v89, v90
	v_mul_f32_e32 v90, v146, v214
	v_add_f32_e32 v153, v153, v154
	s_waitcnt vmcnt(7)
	v_mul_f32_e32 v154, v147, v215
	v_fma_f32 v90, v145, v213, -v90
	s_waitcnt vmcnt(6)
	v_fmac_f32_e32 v154, v148, v216
	v_add_f32_e32 v89, v89, v90
	v_mul_f32_e32 v90, v148, v215
	v_add_f32_e32 v223, v153, v154
	ds_read_b64 v[153:154], v88 offset:688
	v_fma_f32 v90, v147, v216, -v90
	v_add_f32_e32 v89, v89, v90
	s_waitcnt vmcnt(4) lgkmcnt(1)
	v_mul_f32_e32 v90, v150, v218
	v_mul_f32_e32 v224, v149, v218
	v_fma_f32 v90, v149, v217, -v90
	v_fmac_f32_e32 v224, v150, v217
	v_add_f32_e32 v89, v89, v90
	s_waitcnt vmcnt(3)
	v_mul_f32_e32 v90, v152, v219
	v_add_f32_e32 v223, v223, v224
	v_mul_f32_e32 v224, v151, v219
	s_waitcnt vmcnt(2)
	v_fma_f32 v90, v151, v220, -v90
	v_fmac_f32_e32 v224, v152, v220
	v_add_f32_e32 v89, v89, v90
	s_waitcnt vmcnt(0) lgkmcnt(0)
	v_mul_f32_e32 v90, v154, v222
	v_add_f32_e32 v223, v223, v224
	v_mul_f32_e32 v224, v153, v222
	v_fma_f32 v90, v153, v221, -v90
	v_fmac_f32_e32 v224, v154, v221
	v_add_f32_e32 v89, v89, v90
	v_add_f32_e32 v223, v223, v224
	v_sub_f32_e32 v89, v174, v89
	v_sub_f32_e32 v90, v175, v223
	buffer_store_dword v89, off, s[0:3], 0 offset:72
	buffer_store_dword v90, off, s[0:3], 0 offset:76
	s_and_saveexec_b64 s[4:5], vcc
	s_cbranch_execz .LBB106_255
; %bb.254:
	buffer_load_dword v89, off, s[0:3], 0 offset:64
	buffer_load_dword v90, off, s[0:3], 0 offset:68
	s_waitcnt vmcnt(0)
	ds_write_b64 v87, v[89:90]
	buffer_store_dword v88, off, s[0:3], 0 offset:64
	buffer_store_dword v88, off, s[0:3], 0 offset:68
.LBB106_255:
	s_or_b64 exec, exec, s[4:5]
	s_waitcnt lgkmcnt(0)
	; wave barrier
	buffer_load_dword v157, off, s[0:3], 0 offset:76
	buffer_load_dword v158, off, s[0:3], 0 offset:84
	;; [unrolled: 1-line block ×24, first 2 shown]
	ds_read2_b64 v[89:92], v88 offset0:53 offset1:54
	ds_read2_b64 v[93:96], v88 offset0:55 offset1:56
	;; [unrolled: 1-line block ×6, first 2 shown]
	buffer_load_dword v181, off, s[0:3], 0 offset:164
	buffer_load_dword v182, off, s[0:3], 0 offset:160
	;; [unrolled: 1-line block ×46, first 2 shown]
	v_cmp_lt_u32_e32 vcc, 7, v0
	s_waitcnt vmcnt(62) lgkmcnt(5)
	v_mul_f32_e32 v113, v89, v157
	v_mul_f32_e32 v114, v91, v158
	s_waitcnt lgkmcnt(4)
	v_mul_f32_e32 v115, v93, v159
	v_mul_f32_e32 v116, v95, v160
	s_waitcnt lgkmcnt(3)
	;; [unrolled: 3-line block ×3, first 2 shown]
	v_mul_f32_e32 v119, v101, v163
	v_mul_f32_e32 v120, v103, v164
	s_waitcnt vmcnt(61)
	v_fmac_f32_e32 v113, v90, v165
	s_waitcnt vmcnt(60)
	v_fmac_f32_e32 v114, v92, v166
	v_add_f32_e32 v113, 0, v113
	s_waitcnt vmcnt(59)
	v_fmac_f32_e32 v115, v94, v167
	v_add_f32_e32 v113, v113, v114
	;; [unrolled: 3-line block ×7, first 2 shown]
	s_waitcnt vmcnt(53) lgkmcnt(1)
	v_mul_f32_e32 v114, v105, v173
	v_add_f32_e32 v113, v113, v120
	s_waitcnt vmcnt(52)
	v_fmac_f32_e32 v114, v106, v174
	v_mul_f32_e32 v90, v90, v157
	v_add_f32_e32 v113, v113, v114
	s_waitcnt vmcnt(51)
	v_mul_f32_e32 v114, v107, v175
	v_fma_f32 v89, v89, v165, -v90
	v_mul_f32_e32 v90, v92, v158
	s_waitcnt vmcnt(50)
	v_fmac_f32_e32 v114, v108, v176
	v_add_f32_e32 v89, 0, v89
	v_fma_f32 v90, v91, v166, -v90
	v_add_f32_e32 v113, v113, v114
	s_waitcnt vmcnt(47) lgkmcnt(0)
	v_mul_f32_e32 v114, v109, v179
	v_add_f32_e32 v89, v89, v90
	v_mul_f32_e32 v90, v94, v159
	s_waitcnt vmcnt(46)
	v_fmac_f32_e32 v114, v110, v180
	v_fma_f32 v90, v93, v167, -v90
	v_add_f32_e32 v117, v113, v114
	ds_read2_b64 v[113:116], v88 offset0:65 offset1:66
	v_add_f32_e32 v89, v89, v90
	v_mul_f32_e32 v90, v96, v160
	v_fma_f32 v90, v95, v168, -v90
	s_waitcnt vmcnt(45)
	v_mul_f32_e32 v118, v111, v181
	v_add_f32_e32 v89, v89, v90
	v_mul_f32_e32 v90, v98, v161
	s_waitcnt vmcnt(44)
	v_fmac_f32_e32 v118, v112, v182
	v_fma_f32 v90, v97, v169, -v90
	v_add_f32_e32 v121, v117, v118
	ds_read2_b64 v[117:120], v88 offset0:67 offset1:68
	v_add_f32_e32 v89, v89, v90
	v_mul_f32_e32 v90, v100, v162
	s_waitcnt vmcnt(42) lgkmcnt(1)
	v_mul_f32_e32 v122, v113, v184
	v_fma_f32 v90, v99, v170, -v90
	v_fmac_f32_e32 v122, v114, v183
	v_add_f32_e32 v89, v89, v90
	v_mul_f32_e32 v90, v102, v163
	v_add_f32_e32 v121, v121, v122
	s_waitcnt vmcnt(40)
	v_mul_f32_e32 v122, v115, v186
	v_fma_f32 v90, v101, v171, -v90
	v_fmac_f32_e32 v122, v116, v185
	v_add_f32_e32 v89, v89, v90
	v_mul_f32_e32 v90, v104, v164
	v_add_f32_e32 v121, v121, v122
	s_waitcnt vmcnt(38) lgkmcnt(0)
	v_mul_f32_e32 v122, v117, v188
	v_fma_f32 v90, v103, v172, -v90
	v_fmac_f32_e32 v122, v118, v187
	v_add_f32_e32 v89, v89, v90
	v_mul_f32_e32 v90, v106, v173
	v_add_f32_e32 v125, v121, v122
	ds_read2_b64 v[121:124], v88 offset0:69 offset1:70
	v_fma_f32 v90, v105, v174, -v90
	v_add_f32_e32 v89, v89, v90
	v_mul_f32_e32 v90, v108, v175
	s_waitcnt vmcnt(36)
	v_mul_f32_e32 v126, v119, v190
	v_fma_f32 v90, v107, v176, -v90
	v_fmac_f32_e32 v126, v120, v189
	v_add_f32_e32 v89, v89, v90
	v_mul_f32_e32 v90, v110, v179
	v_add_f32_e32 v129, v125, v126
	ds_read2_b64 v[125:128], v88 offset0:71 offset1:72
	v_fma_f32 v90, v109, v180, -v90
	s_waitcnt vmcnt(34) lgkmcnt(1)
	v_mul_f32_e32 v130, v121, v192
	v_add_f32_e32 v89, v89, v90
	v_mul_f32_e32 v90, v112, v181
	v_fmac_f32_e32 v130, v122, v191
	v_fma_f32 v90, v111, v182, -v90
	v_add_f32_e32 v129, v129, v130
	s_waitcnt vmcnt(32)
	v_mul_f32_e32 v130, v123, v194
	v_add_f32_e32 v89, v89, v90
	v_mul_f32_e32 v90, v114, v184
	v_fmac_f32_e32 v130, v124, v193
	v_fma_f32 v90, v113, v183, -v90
	v_add_f32_e32 v129, v129, v130
	s_waitcnt vmcnt(30) lgkmcnt(0)
	v_mul_f32_e32 v130, v125, v196
	v_add_f32_e32 v89, v89, v90
	v_mul_f32_e32 v90, v116, v186
	v_fmac_f32_e32 v130, v126, v195
	v_fma_f32 v90, v115, v185, -v90
	v_add_f32_e32 v133, v129, v130
	ds_read2_b64 v[129:132], v88 offset0:73 offset1:74
	v_add_f32_e32 v89, v89, v90
	v_mul_f32_e32 v90, v118, v188
	v_fma_f32 v90, v117, v187, -v90
	s_waitcnt vmcnt(28)
	v_mul_f32_e32 v134, v127, v198
	v_add_f32_e32 v89, v89, v90
	v_mul_f32_e32 v90, v120, v190
	v_fmac_f32_e32 v134, v128, v197
	v_fma_f32 v90, v119, v189, -v90
	v_add_f32_e32 v137, v133, v134
	ds_read2_b64 v[133:136], v88 offset0:75 offset1:76
	v_add_f32_e32 v89, v89, v90
	v_mul_f32_e32 v90, v122, v192
	s_waitcnt vmcnt(26) lgkmcnt(1)
	v_mul_f32_e32 v138, v129, v200
	v_fma_f32 v90, v121, v191, -v90
	v_fmac_f32_e32 v138, v130, v199
	v_add_f32_e32 v89, v89, v90
	v_mul_f32_e32 v90, v124, v194
	v_add_f32_e32 v137, v137, v138
	s_waitcnt vmcnt(24)
	v_mul_f32_e32 v138, v131, v202
	v_fma_f32 v90, v123, v193, -v90
	v_fmac_f32_e32 v138, v132, v201
	v_add_f32_e32 v89, v89, v90
	v_mul_f32_e32 v90, v126, v196
	v_add_f32_e32 v137, v137, v138
	s_waitcnt vmcnt(22) lgkmcnt(0)
	v_mul_f32_e32 v138, v133, v204
	v_fma_f32 v90, v125, v195, -v90
	v_fmac_f32_e32 v138, v134, v203
	v_add_f32_e32 v89, v89, v90
	v_mul_f32_e32 v90, v128, v198
	v_add_f32_e32 v141, v137, v138
	ds_read2_b64 v[137:140], v88 offset0:77 offset1:78
	v_fma_f32 v90, v127, v197, -v90
	v_add_f32_e32 v89, v89, v90
	v_mul_f32_e32 v90, v130, v200
	s_waitcnt vmcnt(20)
	v_mul_f32_e32 v142, v135, v206
	v_fma_f32 v90, v129, v199, -v90
	v_fmac_f32_e32 v142, v136, v205
	v_add_f32_e32 v89, v89, v90
	v_mul_f32_e32 v90, v132, v202
	v_add_f32_e32 v145, v141, v142
	ds_read2_b64 v[141:144], v88 offset0:79 offset1:80
	v_fma_f32 v90, v131, v201, -v90
	s_waitcnt vmcnt(18) lgkmcnt(1)
	v_mul_f32_e32 v146, v137, v208
	v_add_f32_e32 v89, v89, v90
	v_mul_f32_e32 v90, v134, v204
	v_fmac_f32_e32 v146, v138, v207
	v_fma_f32 v90, v133, v203, -v90
	v_add_f32_e32 v145, v145, v146
	s_waitcnt vmcnt(16)
	v_mul_f32_e32 v146, v139, v210
	v_add_f32_e32 v89, v89, v90
	v_mul_f32_e32 v90, v136, v206
	v_fmac_f32_e32 v146, v140, v209
	v_fma_f32 v90, v135, v205, -v90
	v_add_f32_e32 v145, v145, v146
	s_waitcnt vmcnt(14) lgkmcnt(0)
	v_mul_f32_e32 v146, v141, v212
	v_add_f32_e32 v89, v89, v90
	v_mul_f32_e32 v90, v138, v208
	v_fmac_f32_e32 v146, v142, v211
	v_fma_f32 v90, v137, v207, -v90
	v_add_f32_e32 v149, v145, v146
	ds_read2_b64 v[145:148], v88 offset0:81 offset1:82
	v_add_f32_e32 v89, v89, v90
	v_mul_f32_e32 v90, v140, v210
	v_fma_f32 v90, v139, v209, -v90
	v_add_f32_e32 v89, v89, v90
	v_mul_f32_e32 v90, v142, v212
	s_waitcnt vmcnt(12)
	v_mul_f32_e32 v150, v143, v214
	v_fma_f32 v90, v141, v211, -v90
	v_fmac_f32_e32 v150, v144, v213
	v_add_f32_e32 v89, v89, v90
	v_mul_f32_e32 v90, v144, v214
	v_add_f32_e32 v153, v149, v150
	ds_read2_b64 v[149:152], v88 offset0:83 offset1:84
	s_waitcnt vmcnt(10) lgkmcnt(1)
	v_mul_f32_e32 v154, v145, v216
	v_fma_f32 v90, v143, v213, -v90
	v_fmac_f32_e32 v154, v146, v215
	v_add_f32_e32 v89, v89, v90
	v_mul_f32_e32 v90, v146, v216
	v_add_f32_e32 v153, v153, v154
	s_waitcnt vmcnt(9)
	v_mul_f32_e32 v154, v147, v217
	v_fma_f32 v90, v145, v215, -v90
	s_waitcnt vmcnt(8)
	v_fmac_f32_e32 v154, v148, v218
	v_add_f32_e32 v89, v89, v90
	v_mul_f32_e32 v90, v148, v217
	v_add_f32_e32 v227, v153, v154
	ds_read2_b64 v[153:156], v88 offset0:85 offset1:86
	v_fma_f32 v90, v147, v218, -v90
	v_add_f32_e32 v89, v89, v90
	s_waitcnt vmcnt(6) lgkmcnt(1)
	v_mul_f32_e32 v90, v150, v220
	v_mul_f32_e32 v228, v149, v220
	v_fma_f32 v90, v149, v219, -v90
	v_fmac_f32_e32 v228, v150, v219
	v_add_f32_e32 v89, v89, v90
	s_waitcnt vmcnt(4)
	v_mul_f32_e32 v90, v152, v222
	v_add_f32_e32 v88, v227, v228
	v_mul_f32_e32 v227, v151, v222
	v_fma_f32 v90, v151, v221, -v90
	v_fmac_f32_e32 v227, v152, v221
	v_add_f32_e32 v89, v89, v90
	s_waitcnt vmcnt(3) lgkmcnt(0)
	v_mul_f32_e32 v90, v154, v223
	v_add_f32_e32 v88, v88, v227
	v_mul_f32_e32 v227, v153, v223
	s_waitcnt vmcnt(2)
	v_fma_f32 v90, v153, v224, -v90
	v_fmac_f32_e32 v227, v154, v224
	v_add_f32_e32 v89, v89, v90
	s_waitcnt vmcnt(0)
	v_mul_f32_e32 v90, v156, v226
	v_add_f32_e32 v88, v88, v227
	v_mul_f32_e32 v227, v155, v226
	v_fma_f32 v90, v155, v225, -v90
	v_fmac_f32_e32 v227, v156, v225
	v_add_f32_e32 v89, v89, v90
	v_add_f32_e32 v88, v88, v227
	v_sub_f32_e32 v89, v177, v89
	v_sub_f32_e32 v88, v178, v88
	buffer_store_dword v89, off, s[0:3], 0 offset:64
	buffer_store_dword v88, off, s[0:3], 0 offset:68
	s_and_saveexec_b64 s[4:5], vcc
	s_cbranch_execz .LBB106_257
; %bb.256:
	buffer_load_dword v88, off, s[0:3], 0 offset:56
	buffer_load_dword v89, off, s[0:3], 0 offset:60
	v_mov_b32_e32 v90, 0
	buffer_store_dword v90, off, s[0:3], 0 offset:56
	buffer_store_dword v90, off, s[0:3], 0 offset:60
	s_waitcnt vmcnt(2)
	ds_write_b64 v87, v[88:89]
.LBB106_257:
	s_or_b64 exec, exec, s[4:5]
	s_waitcnt lgkmcnt(0)
	; wave barrier
	buffer_load_dword v159, off, s[0:3], 0 offset:68
	buffer_load_dword v160, off, s[0:3], 0 offset:76
	;; [unrolled: 1-line block ×56, first 2 shown]
	v_mov_b32_e32 v88, 0
	ds_read_b128 v[89:92], v88 offset:416
	ds_read_b128 v[93:96], v88 offset:432
	;; [unrolled: 1-line block ×6, first 2 shown]
	buffer_load_dword v215, off, s[0:3], 0 offset:280
	buffer_load_dword v216, off, s[0:3], 0 offset:284
	;; [unrolled: 1-line block ×12, first 2 shown]
	v_cmp_lt_u32_e32 vcc, 6, v0
	s_waitcnt vmcnt(62) lgkmcnt(5)
	v_mul_f32_e32 v113, v89, v159
	v_mul_f32_e32 v114, v91, v160
	s_waitcnt lgkmcnt(4)
	v_mul_f32_e32 v115, v93, v161
	v_mul_f32_e32 v116, v95, v162
	s_waitcnt lgkmcnt(3)
	v_mul_f32_e32 v117, v97, v163
	v_mul_f32_e32 v118, v99, v164
	s_waitcnt vmcnt(61) lgkmcnt(2)
	v_mul_f32_e32 v119, v101, v165
	s_waitcnt vmcnt(60)
	v_mul_f32_e32 v120, v103, v166
	s_waitcnt vmcnt(59) lgkmcnt(1)
	v_mul_f32_e32 v121, v105, v167
	s_waitcnt vmcnt(58)
	v_fmac_f32_e32 v113, v90, v168
	s_waitcnt vmcnt(57)
	v_fmac_f32_e32 v114, v92, v169
	v_add_f32_e32 v113, 0, v113
	s_waitcnt vmcnt(56)
	v_fmac_f32_e32 v115, v94, v170
	v_add_f32_e32 v113, v113, v114
	s_waitcnt vmcnt(55)
	v_fmac_f32_e32 v116, v96, v171
	v_add_f32_e32 v113, v113, v115
	s_waitcnt vmcnt(54)
	v_fmac_f32_e32 v117, v98, v172
	v_add_f32_e32 v113, v113, v116
	s_waitcnt vmcnt(53)
	v_fmac_f32_e32 v118, v100, v173
	v_add_f32_e32 v113, v113, v117
	s_waitcnt vmcnt(52)
	v_fmac_f32_e32 v119, v102, v174
	v_add_f32_e32 v113, v113, v118
	s_waitcnt vmcnt(51)
	v_fmac_f32_e32 v120, v104, v175
	v_add_f32_e32 v113, v113, v119
	v_add_f32_e32 v113, v113, v120
	s_waitcnt vmcnt(50)
	v_fmac_f32_e32 v121, v106, v176
	s_waitcnt vmcnt(49)
	v_mul_f32_e32 v114, v107, v177
	v_add_f32_e32 v113, v113, v121
	s_waitcnt vmcnt(48)
	v_fmac_f32_e32 v114, v108, v178
	v_add_f32_e32 v113, v113, v114
	s_waitcnt vmcnt(47) lgkmcnt(0)
	v_mul_f32_e32 v114, v109, v179
	s_waitcnt vmcnt(44)
	v_fmac_f32_e32 v114, v110, v182
	v_add_f32_e32 v117, v113, v114
	ds_read_b128 v[113:116], v88 offset:512
	buffer_load_dword v227, off, s[0:3], 0 offset:332
	buffer_load_dword v228, off, s[0:3], 0 offset:328
	;; [unrolled: 1-line block ×4, first 2 shown]
	v_mul_f32_e32 v90, v90, v159
	v_fma_f32 v89, v89, v168, -v90
	v_mul_f32_e32 v90, v92, v160
	v_add_f32_e32 v89, 0, v89
	v_fma_f32 v90, v91, v169, -v90
	v_add_f32_e32 v89, v89, v90
	v_mul_f32_e32 v90, v94, v161
	v_fma_f32 v90, v93, v170, -v90
	s_waitcnt vmcnt(46)
	v_mul_f32_e32 v118, v111, v184
	v_add_f32_e32 v89, v89, v90
	v_mul_f32_e32 v90, v96, v162
	v_fmac_f32_e32 v118, v112, v183
	v_fma_f32 v90, v95, v171, -v90
	v_add_f32_e32 v121, v117, v118
	ds_read_b128 v[117:120], v88 offset:528
	v_add_f32_e32 v89, v89, v90
	v_mul_f32_e32 v90, v98, v163
	s_waitcnt vmcnt(44) lgkmcnt(1)
	v_mul_f32_e32 v122, v113, v186
	v_fma_f32 v90, v97, v172, -v90
	v_fmac_f32_e32 v122, v114, v185
	v_add_f32_e32 v89, v89, v90
	v_mul_f32_e32 v90, v100, v164
	v_add_f32_e32 v121, v121, v122
	s_waitcnt vmcnt(42)
	v_mul_f32_e32 v122, v115, v188
	v_fma_f32 v90, v99, v173, -v90
	v_fmac_f32_e32 v122, v116, v187
	v_add_f32_e32 v89, v89, v90
	v_mul_f32_e32 v90, v102, v165
	v_add_f32_e32 v121, v121, v122
	s_waitcnt vmcnt(40) lgkmcnt(0)
	v_mul_f32_e32 v122, v117, v190
	v_fma_f32 v90, v101, v174, -v90
	v_fmac_f32_e32 v122, v118, v189
	v_add_f32_e32 v89, v89, v90
	v_mul_f32_e32 v90, v104, v166
	v_add_f32_e32 v125, v121, v122
	ds_read_b128 v[121:124], v88 offset:544
	v_fma_f32 v90, v103, v175, -v90
	v_add_f32_e32 v89, v89, v90
	v_mul_f32_e32 v90, v106, v167
	s_waitcnt vmcnt(38)
	v_mul_f32_e32 v126, v119, v192
	v_fma_f32 v90, v105, v176, -v90
	v_fmac_f32_e32 v126, v120, v191
	v_add_f32_e32 v89, v89, v90
	v_mul_f32_e32 v90, v108, v177
	v_add_f32_e32 v129, v125, v126
	ds_read_b128 v[125:128], v88 offset:560
	v_fma_f32 v90, v107, v178, -v90
	s_waitcnt vmcnt(36) lgkmcnt(1)
	v_mul_f32_e32 v130, v121, v194
	v_add_f32_e32 v89, v89, v90
	v_mul_f32_e32 v90, v110, v179
	v_fmac_f32_e32 v130, v122, v193
	v_fma_f32 v90, v109, v182, -v90
	v_add_f32_e32 v129, v129, v130
	s_waitcnt vmcnt(34)
	v_mul_f32_e32 v130, v123, v196
	v_add_f32_e32 v89, v89, v90
	v_mul_f32_e32 v90, v112, v184
	v_fmac_f32_e32 v130, v124, v195
	v_fma_f32 v90, v111, v183, -v90
	v_add_f32_e32 v129, v129, v130
	s_waitcnt vmcnt(32) lgkmcnt(0)
	v_mul_f32_e32 v130, v125, v198
	v_add_f32_e32 v89, v89, v90
	v_mul_f32_e32 v90, v114, v186
	v_fmac_f32_e32 v130, v126, v197
	v_fma_f32 v90, v113, v185, -v90
	v_add_f32_e32 v133, v129, v130
	ds_read_b128 v[129:132], v88 offset:576
	v_add_f32_e32 v89, v89, v90
	v_mul_f32_e32 v90, v116, v188
	v_fma_f32 v90, v115, v187, -v90
	s_waitcnt vmcnt(30)
	v_mul_f32_e32 v134, v127, v200
	v_add_f32_e32 v89, v89, v90
	v_mul_f32_e32 v90, v118, v190
	v_fmac_f32_e32 v134, v128, v199
	v_fma_f32 v90, v117, v189, -v90
	v_add_f32_e32 v137, v133, v134
	ds_read_b128 v[133:136], v88 offset:592
	v_add_f32_e32 v89, v89, v90
	v_mul_f32_e32 v90, v120, v192
	s_waitcnt vmcnt(28) lgkmcnt(1)
	v_mul_f32_e32 v138, v129, v202
	v_fma_f32 v90, v119, v191, -v90
	v_fmac_f32_e32 v138, v130, v201
	v_add_f32_e32 v89, v89, v90
	v_mul_f32_e32 v90, v122, v194
	v_add_f32_e32 v137, v137, v138
	s_waitcnt vmcnt(26)
	v_mul_f32_e32 v138, v131, v204
	v_fma_f32 v90, v121, v193, -v90
	v_fmac_f32_e32 v138, v132, v203
	v_add_f32_e32 v89, v89, v90
	v_mul_f32_e32 v90, v124, v196
	v_add_f32_e32 v137, v137, v138
	s_waitcnt vmcnt(24) lgkmcnt(0)
	v_mul_f32_e32 v138, v133, v206
	v_fma_f32 v90, v123, v195, -v90
	v_fmac_f32_e32 v138, v134, v205
	v_add_f32_e32 v89, v89, v90
	v_mul_f32_e32 v90, v126, v198
	v_add_f32_e32 v141, v137, v138
	ds_read_b128 v[137:140], v88 offset:608
	v_fma_f32 v90, v125, v197, -v90
	v_add_f32_e32 v89, v89, v90
	v_mul_f32_e32 v90, v128, v200
	s_waitcnt vmcnt(22)
	v_mul_f32_e32 v142, v135, v208
	v_fma_f32 v90, v127, v199, -v90
	v_fmac_f32_e32 v142, v136, v207
	v_add_f32_e32 v89, v89, v90
	v_mul_f32_e32 v90, v130, v202
	v_add_f32_e32 v145, v141, v142
	ds_read_b128 v[141:144], v88 offset:624
	v_fma_f32 v90, v129, v201, -v90
	s_waitcnt vmcnt(20) lgkmcnt(1)
	v_mul_f32_e32 v146, v137, v210
	v_add_f32_e32 v89, v89, v90
	v_mul_f32_e32 v90, v132, v204
	v_fmac_f32_e32 v146, v138, v209
	v_fma_f32 v90, v131, v203, -v90
	v_add_f32_e32 v145, v145, v146
	s_waitcnt vmcnt(18)
	v_mul_f32_e32 v146, v139, v212
	v_add_f32_e32 v89, v89, v90
	v_mul_f32_e32 v90, v134, v206
	v_fmac_f32_e32 v146, v140, v211
	v_fma_f32 v90, v133, v205, -v90
	v_add_f32_e32 v145, v145, v146
	s_waitcnt vmcnt(16) lgkmcnt(0)
	v_mul_f32_e32 v146, v141, v214
	v_add_f32_e32 v89, v89, v90
	v_mul_f32_e32 v90, v136, v208
	v_fmac_f32_e32 v146, v142, v213
	v_fma_f32 v90, v135, v207, -v90
	v_add_f32_e32 v149, v145, v146
	ds_read_b128 v[145:148], v88 offset:640
	v_add_f32_e32 v89, v89, v90
	v_mul_f32_e32 v90, v138, v210
	v_fma_f32 v90, v137, v209, -v90
	s_waitcnt vmcnt(14)
	v_mul_f32_e32 v150, v143, v216
	v_add_f32_e32 v89, v89, v90
	v_mul_f32_e32 v90, v140, v212
	v_fmac_f32_e32 v150, v144, v215
	v_fma_f32 v90, v139, v211, -v90
	v_add_f32_e32 v153, v149, v150
	ds_read_b128 v[149:152], v88 offset:656
	v_add_f32_e32 v89, v89, v90
	v_mul_f32_e32 v90, v142, v214
	s_waitcnt vmcnt(12) lgkmcnt(1)
	v_mul_f32_e32 v154, v145, v218
	v_fma_f32 v90, v141, v213, -v90
	v_fmac_f32_e32 v154, v146, v217
	v_add_f32_e32 v89, v89, v90
	v_mul_f32_e32 v90, v144, v216
	v_add_f32_e32 v153, v153, v154
	s_waitcnt vmcnt(11)
	v_mul_f32_e32 v154, v147, v219
	v_fma_f32 v90, v143, v215, -v90
	s_waitcnt vmcnt(10)
	v_fmac_f32_e32 v154, v148, v220
	v_add_f32_e32 v89, v89, v90
	v_mul_f32_e32 v90, v146, v218
	v_add_f32_e32 v153, v153, v154
	s_waitcnt vmcnt(8) lgkmcnt(0)
	v_mul_f32_e32 v154, v149, v222
	v_fma_f32 v90, v145, v217, -v90
	v_fmac_f32_e32 v154, v150, v221
	v_add_f32_e32 v89, v89, v90
	v_mul_f32_e32 v90, v148, v219
	v_add_f32_e32 v157, v153, v154
	ds_read_b128 v[153:156], v88 offset:672
	v_fma_f32 v90, v147, v220, -v90
	v_add_f32_e32 v89, v89, v90
	v_mul_f32_e32 v90, v150, v222
	s_waitcnt vmcnt(6)
	v_mul_f32_e32 v158, v151, v224
	v_fma_f32 v90, v149, v221, -v90
	v_fmac_f32_e32 v158, v152, v223
	v_add_f32_e32 v89, v89, v90
	v_mul_f32_e32 v90, v152, v224
	v_add_f32_e32 v231, v157, v158
	ds_read_b64 v[157:158], v88 offset:688
	v_fma_f32 v90, v151, v223, -v90
	v_add_f32_e32 v89, v89, v90
	s_waitcnt vmcnt(4) lgkmcnt(1)
	v_mul_f32_e32 v90, v154, v226
	v_mul_f32_e32 v232, v153, v226
	v_fma_f32 v90, v153, v225, -v90
	v_fmac_f32_e32 v232, v154, v225
	v_add_f32_e32 v89, v89, v90
	s_waitcnt vmcnt(3)
	v_mul_f32_e32 v90, v156, v227
	v_add_f32_e32 v231, v231, v232
	v_mul_f32_e32 v232, v155, v227
	s_waitcnt vmcnt(2)
	v_fma_f32 v90, v155, v228, -v90
	v_fmac_f32_e32 v232, v156, v228
	v_add_f32_e32 v89, v89, v90
	s_waitcnt vmcnt(0) lgkmcnt(0)
	v_mul_f32_e32 v90, v158, v230
	v_add_f32_e32 v231, v231, v232
	v_mul_f32_e32 v232, v157, v230
	v_fma_f32 v90, v157, v229, -v90
	v_fmac_f32_e32 v232, v158, v229
	v_add_f32_e32 v89, v89, v90
	v_add_f32_e32 v231, v231, v232
	v_sub_f32_e32 v89, v180, v89
	v_sub_f32_e32 v90, v181, v231
	buffer_store_dword v89, off, s[0:3], 0 offset:56
	buffer_store_dword v90, off, s[0:3], 0 offset:60
	s_and_saveexec_b64 s[4:5], vcc
	s_cbranch_execz .LBB106_259
; %bb.258:
	buffer_load_dword v89, off, s[0:3], 0 offset:48
	buffer_load_dword v90, off, s[0:3], 0 offset:52
	s_waitcnt vmcnt(0)
	ds_write_b64 v87, v[89:90]
	buffer_store_dword v88, off, s[0:3], 0 offset:48
	buffer_store_dword v88, off, s[0:3], 0 offset:52
.LBB106_259:
	s_or_b64 exec, exec, s[4:5]
	s_waitcnt lgkmcnt(0)
	; wave barrier
	buffer_load_dword v161, off, s[0:3], 0 offset:60
	buffer_load_dword v162, off, s[0:3], 0 offset:68
	;; [unrolled: 1-line block ×26, first 2 shown]
	ds_read2_b64 v[89:92], v88 offset0:51 offset1:52
	ds_read2_b64 v[93:96], v88 offset0:53 offset1:54
	;; [unrolled: 1-line block ×6, first 2 shown]
	buffer_load_dword v187, off, s[0:3], 0 offset:152
	buffer_load_dword v188, off, s[0:3], 0 offset:156
	;; [unrolled: 1-line block ×42, first 2 shown]
	v_cmp_lt_u32_e32 vcc, 5, v0
	s_waitcnt vmcnt(62) lgkmcnt(5)
	v_mul_f32_e32 v113, v89, v161
	v_mul_f32_e32 v114, v91, v162
	s_waitcnt lgkmcnt(4)
	v_mul_f32_e32 v115, v93, v163
	v_mul_f32_e32 v116, v95, v164
	s_waitcnt lgkmcnt(3)
	v_mul_f32_e32 v117, v97, v165
	v_mul_f32_e32 v118, v99, v166
	s_waitcnt vmcnt(61) lgkmcnt(2)
	v_mul_f32_e32 v119, v101, v167
	s_waitcnt vmcnt(60)
	v_mul_f32_e32 v120, v103, v168
	s_waitcnt vmcnt(59) lgkmcnt(1)
	v_mul_f32_e32 v121, v105, v169
	s_waitcnt vmcnt(58)
	v_fmac_f32_e32 v113, v90, v170
	s_waitcnt vmcnt(57)
	v_fmac_f32_e32 v114, v92, v171
	v_add_f32_e32 v113, 0, v113
	s_waitcnt vmcnt(56)
	v_fmac_f32_e32 v115, v94, v172
	v_add_f32_e32 v113, v113, v114
	s_waitcnt vmcnt(55)
	v_fmac_f32_e32 v116, v96, v173
	v_add_f32_e32 v113, v113, v115
	s_waitcnt vmcnt(54)
	v_fmac_f32_e32 v117, v98, v174
	v_add_f32_e32 v113, v113, v116
	s_waitcnt vmcnt(53)
	v_fmac_f32_e32 v118, v100, v175
	v_add_f32_e32 v113, v113, v117
	s_waitcnt vmcnt(52)
	v_fmac_f32_e32 v119, v102, v176
	v_add_f32_e32 v113, v113, v118
	s_waitcnt vmcnt(51)
	v_fmac_f32_e32 v120, v104, v177
	v_add_f32_e32 v113, v113, v119
	s_waitcnt vmcnt(50)
	v_fmac_f32_e32 v121, v106, v178
	v_add_f32_e32 v113, v113, v120
	s_waitcnt vmcnt(49)
	v_mul_f32_e32 v114, v107, v179
	v_add_f32_e32 v113, v113, v121
	s_waitcnt vmcnt(48)
	v_fmac_f32_e32 v114, v108, v180
	v_add_f32_e32 v113, v113, v114
	s_waitcnt vmcnt(47) lgkmcnt(0)
	v_mul_f32_e32 v114, v109, v181
	s_waitcnt vmcnt(46)
	v_fmac_f32_e32 v114, v110, v182
	v_add_f32_e32 v113, v113, v114
	s_waitcnt vmcnt(42)
	v_mul_f32_e32 v114, v111, v186
	v_fmac_f32_e32 v114, v112, v185
	v_add_f32_e32 v121, v113, v114
	ds_read2_b64 v[113:116], v88 offset0:63 offset1:64
	buffer_load_dword v229, off, s[0:3], 0 offset:324
	buffer_load_dword v230, off, s[0:3], 0 offset:320
	;; [unrolled: 1-line block ×4, first 2 shown]
	ds_read2_b64 v[117:120], v88 offset0:65 offset1:66
	buffer_load_dword v233, off, s[0:3], 0 offset:336
	buffer_load_dword v234, off, s[0:3], 0 offset:340
	v_mul_f32_e32 v90, v90, v161
	v_fma_f32 v89, v89, v170, -v90
	v_mul_f32_e32 v90, v92, v162
	v_add_f32_e32 v89, 0, v89
	v_fma_f32 v90, v91, v171, -v90
	v_add_f32_e32 v89, v89, v90
	v_mul_f32_e32 v90, v94, v163
	v_fma_f32 v90, v93, v172, -v90
	v_add_f32_e32 v89, v89, v90
	v_mul_f32_e32 v90, v96, v164
	;; [unrolled: 3-line block ×3, first 2 shown]
	s_waitcnt vmcnt(46) lgkmcnt(1)
	v_mul_f32_e32 v122, v113, v188
	v_fma_f32 v90, v97, v174, -v90
	v_fmac_f32_e32 v122, v114, v187
	v_add_f32_e32 v89, v89, v90
	v_mul_f32_e32 v90, v100, v166
	v_add_f32_e32 v121, v121, v122
	s_waitcnt vmcnt(44)
	v_mul_f32_e32 v122, v115, v190
	v_fma_f32 v90, v99, v175, -v90
	v_fmac_f32_e32 v122, v116, v189
	v_add_f32_e32 v89, v89, v90
	v_mul_f32_e32 v90, v102, v167
	v_add_f32_e32 v121, v121, v122
	s_waitcnt vmcnt(42) lgkmcnt(0)
	v_mul_f32_e32 v122, v117, v192
	v_fma_f32 v90, v101, v176, -v90
	v_fmac_f32_e32 v122, v118, v191
	v_add_f32_e32 v89, v89, v90
	v_mul_f32_e32 v90, v104, v168
	v_add_f32_e32 v125, v121, v122
	ds_read2_b64 v[121:124], v88 offset0:67 offset1:68
	v_fma_f32 v90, v103, v177, -v90
	v_add_f32_e32 v89, v89, v90
	v_mul_f32_e32 v90, v106, v169
	s_waitcnt vmcnt(40)
	v_mul_f32_e32 v126, v119, v194
	v_fma_f32 v90, v105, v178, -v90
	v_fmac_f32_e32 v126, v120, v193
	v_add_f32_e32 v89, v89, v90
	v_mul_f32_e32 v90, v108, v179
	v_add_f32_e32 v129, v125, v126
	ds_read2_b64 v[125:128], v88 offset0:69 offset1:70
	v_fma_f32 v90, v107, v180, -v90
	s_waitcnt vmcnt(38) lgkmcnt(1)
	v_mul_f32_e32 v130, v121, v196
	v_add_f32_e32 v89, v89, v90
	v_mul_f32_e32 v90, v110, v181
	v_fmac_f32_e32 v130, v122, v195
	v_fma_f32 v90, v109, v182, -v90
	v_add_f32_e32 v129, v129, v130
	s_waitcnt vmcnt(36)
	v_mul_f32_e32 v130, v123, v198
	v_add_f32_e32 v89, v89, v90
	v_mul_f32_e32 v90, v112, v186
	v_fmac_f32_e32 v130, v124, v197
	v_fma_f32 v90, v111, v185, -v90
	v_add_f32_e32 v129, v129, v130
	s_waitcnt vmcnt(34) lgkmcnt(0)
	v_mul_f32_e32 v130, v125, v200
	v_add_f32_e32 v89, v89, v90
	v_mul_f32_e32 v90, v114, v188
	v_fmac_f32_e32 v130, v126, v199
	v_fma_f32 v90, v113, v187, -v90
	v_add_f32_e32 v133, v129, v130
	ds_read2_b64 v[129:132], v88 offset0:71 offset1:72
	v_add_f32_e32 v89, v89, v90
	v_mul_f32_e32 v90, v116, v190
	v_fma_f32 v90, v115, v189, -v90
	s_waitcnt vmcnt(32)
	v_mul_f32_e32 v134, v127, v202
	v_add_f32_e32 v89, v89, v90
	v_mul_f32_e32 v90, v118, v192
	v_fmac_f32_e32 v134, v128, v201
	v_fma_f32 v90, v117, v191, -v90
	v_add_f32_e32 v137, v133, v134
	ds_read2_b64 v[133:136], v88 offset0:73 offset1:74
	v_add_f32_e32 v89, v89, v90
	v_mul_f32_e32 v90, v120, v194
	s_waitcnt vmcnt(30) lgkmcnt(1)
	v_mul_f32_e32 v138, v129, v204
	v_fma_f32 v90, v119, v193, -v90
	v_fmac_f32_e32 v138, v130, v203
	v_add_f32_e32 v89, v89, v90
	v_mul_f32_e32 v90, v122, v196
	v_add_f32_e32 v137, v137, v138
	s_waitcnt vmcnt(28)
	v_mul_f32_e32 v138, v131, v206
	v_fma_f32 v90, v121, v195, -v90
	v_fmac_f32_e32 v138, v132, v205
	v_add_f32_e32 v89, v89, v90
	v_mul_f32_e32 v90, v124, v198
	v_add_f32_e32 v137, v137, v138
	s_waitcnt vmcnt(26) lgkmcnt(0)
	v_mul_f32_e32 v138, v133, v208
	v_fma_f32 v90, v123, v197, -v90
	v_fmac_f32_e32 v138, v134, v207
	v_add_f32_e32 v89, v89, v90
	v_mul_f32_e32 v90, v126, v200
	v_add_f32_e32 v141, v137, v138
	ds_read2_b64 v[137:140], v88 offset0:75 offset1:76
	v_fma_f32 v90, v125, v199, -v90
	v_add_f32_e32 v89, v89, v90
	v_mul_f32_e32 v90, v128, v202
	s_waitcnt vmcnt(24)
	v_mul_f32_e32 v142, v135, v210
	v_fma_f32 v90, v127, v201, -v90
	v_fmac_f32_e32 v142, v136, v209
	v_add_f32_e32 v89, v89, v90
	v_mul_f32_e32 v90, v130, v204
	v_add_f32_e32 v145, v141, v142
	ds_read2_b64 v[141:144], v88 offset0:77 offset1:78
	v_fma_f32 v90, v129, v203, -v90
	s_waitcnt vmcnt(22) lgkmcnt(1)
	v_mul_f32_e32 v146, v137, v212
	v_add_f32_e32 v89, v89, v90
	v_mul_f32_e32 v90, v132, v206
	v_fmac_f32_e32 v146, v138, v211
	v_fma_f32 v90, v131, v205, -v90
	v_add_f32_e32 v145, v145, v146
	s_waitcnt vmcnt(20)
	v_mul_f32_e32 v146, v139, v214
	v_add_f32_e32 v89, v89, v90
	v_mul_f32_e32 v90, v134, v208
	v_fmac_f32_e32 v146, v140, v213
	v_fma_f32 v90, v133, v207, -v90
	v_add_f32_e32 v145, v145, v146
	s_waitcnt vmcnt(18) lgkmcnt(0)
	v_mul_f32_e32 v146, v141, v216
	v_add_f32_e32 v89, v89, v90
	v_mul_f32_e32 v90, v136, v210
	v_fmac_f32_e32 v146, v142, v215
	v_fma_f32 v90, v135, v209, -v90
	v_add_f32_e32 v149, v145, v146
	ds_read2_b64 v[145:148], v88 offset0:79 offset1:80
	v_add_f32_e32 v89, v89, v90
	v_mul_f32_e32 v90, v138, v212
	v_fma_f32 v90, v137, v211, -v90
	s_waitcnt vmcnt(16)
	v_mul_f32_e32 v150, v143, v218
	v_add_f32_e32 v89, v89, v90
	v_mul_f32_e32 v90, v140, v214
	v_fmac_f32_e32 v150, v144, v217
	v_fma_f32 v90, v139, v213, -v90
	v_add_f32_e32 v153, v149, v150
	ds_read2_b64 v[149:152], v88 offset0:81 offset1:82
	v_add_f32_e32 v89, v89, v90
	v_mul_f32_e32 v90, v142, v216
	s_waitcnt vmcnt(14) lgkmcnt(1)
	v_mul_f32_e32 v154, v145, v220
	v_fma_f32 v90, v141, v215, -v90
	v_fmac_f32_e32 v154, v146, v219
	v_add_f32_e32 v89, v89, v90
	v_mul_f32_e32 v90, v144, v218
	v_add_f32_e32 v153, v153, v154
	s_waitcnt vmcnt(13)
	v_mul_f32_e32 v154, v147, v221
	v_fma_f32 v90, v143, v217, -v90
	s_waitcnt vmcnt(12)
	v_fmac_f32_e32 v154, v148, v222
	v_add_f32_e32 v89, v89, v90
	v_mul_f32_e32 v90, v146, v220
	v_add_f32_e32 v153, v153, v154
	s_waitcnt vmcnt(10) lgkmcnt(0)
	v_mul_f32_e32 v154, v149, v224
	v_fma_f32 v90, v145, v219, -v90
	v_fmac_f32_e32 v154, v150, v223
	v_add_f32_e32 v89, v89, v90
	v_mul_f32_e32 v90, v148, v221
	v_add_f32_e32 v157, v153, v154
	ds_read2_b64 v[153:156], v88 offset0:83 offset1:84
	v_fma_f32 v90, v147, v222, -v90
	v_add_f32_e32 v89, v89, v90
	v_mul_f32_e32 v90, v150, v224
	s_waitcnt vmcnt(8)
	v_mul_f32_e32 v158, v151, v226
	v_fma_f32 v90, v149, v223, -v90
	v_fmac_f32_e32 v158, v152, v225
	v_add_f32_e32 v89, v89, v90
	v_mul_f32_e32 v90, v152, v226
	v_add_f32_e32 v235, v157, v158
	ds_read2_b64 v[157:160], v88 offset0:85 offset1:86
	v_fma_f32 v90, v151, v225, -v90
	v_add_f32_e32 v89, v89, v90
	s_waitcnt vmcnt(6) lgkmcnt(1)
	v_mul_f32_e32 v90, v154, v228
	v_mul_f32_e32 v88, v153, v228
	v_fma_f32 v90, v153, v227, -v90
	v_fmac_f32_e32 v88, v154, v227
	v_add_f32_e32 v89, v89, v90
	s_waitcnt vmcnt(5)
	v_mul_f32_e32 v90, v156, v229
	v_add_f32_e32 v88, v235, v88
	v_mul_f32_e32 v235, v155, v229
	s_waitcnt vmcnt(4)
	v_fma_f32 v90, v155, v230, -v90
	v_fmac_f32_e32 v235, v156, v230
	v_add_f32_e32 v89, v89, v90
	s_waitcnt vmcnt(2) lgkmcnt(0)
	v_mul_f32_e32 v90, v158, v232
	v_add_f32_e32 v88, v88, v235
	v_mul_f32_e32 v235, v157, v232
	v_fma_f32 v90, v157, v231, -v90
	v_fmac_f32_e32 v235, v158, v231
	v_add_f32_e32 v89, v89, v90
	s_waitcnt vmcnt(0)
	v_mul_f32_e32 v90, v160, v234
	v_add_f32_e32 v88, v88, v235
	v_mul_f32_e32 v235, v159, v234
	v_fma_f32 v90, v159, v233, -v90
	v_fmac_f32_e32 v235, v160, v233
	v_add_f32_e32 v89, v89, v90
	v_add_f32_e32 v88, v88, v235
	v_sub_f32_e32 v89, v183, v89
	v_sub_f32_e32 v88, v184, v88
	buffer_store_dword v89, off, s[0:3], 0 offset:48
	buffer_store_dword v88, off, s[0:3], 0 offset:52
	s_and_saveexec_b64 s[4:5], vcc
	s_cbranch_execz .LBB106_261
; %bb.260:
	buffer_load_dword v88, off, s[0:3], 0 offset:40
	buffer_load_dword v89, off, s[0:3], 0 offset:44
	v_mov_b32_e32 v90, 0
	buffer_store_dword v90, off, s[0:3], 0 offset:40
	buffer_store_dword v90, off, s[0:3], 0 offset:44
	s_waitcnt vmcnt(2)
	ds_write_b64 v87, v[88:89]
.LBB106_261:
	s_or_b64 exec, exec, s[4:5]
	s_waitcnt lgkmcnt(0)
	; wave barrier
	buffer_load_dword v163, off, s[0:3], 0 offset:52
	buffer_load_dword v164, off, s[0:3], 0 offset:60
	;; [unrolled: 1-line block ×52, first 2 shown]
	v_mov_b32_e32 v88, 0
	ds_read_b128 v[89:92], v88 offset:400
	ds_read_b128 v[93:96], v88 offset:416
	;; [unrolled: 1-line block ×6, first 2 shown]
	buffer_load_dword v215, off, s[0:3], 0 offset:252
	buffer_load_dword v216, off, s[0:3], 0 offset:248
	;; [unrolled: 1-line block ×14, first 2 shown]
	v_cmp_lt_u32_e32 vcc, 4, v0
	s_waitcnt vmcnt(62) lgkmcnt(5)
	v_mul_f32_e32 v113, v89, v163
	v_mul_f32_e32 v114, v91, v164
	s_waitcnt lgkmcnt(4)
	v_mul_f32_e32 v115, v93, v165
	v_mul_f32_e32 v116, v95, v166
	s_waitcnt vmcnt(61) lgkmcnt(3)
	v_mul_f32_e32 v117, v97, v167
	s_waitcnt vmcnt(60)
	v_mul_f32_e32 v118, v99, v168
	s_waitcnt vmcnt(59) lgkmcnt(2)
	v_mul_f32_e32 v119, v101, v169
	s_waitcnt vmcnt(58)
	;; [unrolled: 4-line block ×3, first 2 shown]
	v_fmac_f32_e32 v113, v90, v172
	s_waitcnt vmcnt(55)
	v_fmac_f32_e32 v114, v92, v173
	v_add_f32_e32 v113, 0, v113
	s_waitcnt vmcnt(54)
	v_fmac_f32_e32 v115, v94, v174
	v_add_f32_e32 v113, v113, v114
	;; [unrolled: 3-line block ×8, first 2 shown]
	s_waitcnt vmcnt(47)
	v_mul_f32_e32 v114, v107, v181
	v_add_f32_e32 v113, v113, v121
	s_waitcnt vmcnt(46)
	v_fmac_f32_e32 v114, v108, v182
	v_add_f32_e32 v113, v113, v114
	s_waitcnt vmcnt(45) lgkmcnt(0)
	v_mul_f32_e32 v114, v109, v183
	s_waitcnt vmcnt(44)
	v_fmac_f32_e32 v114, v110, v184
	v_add_f32_e32 v117, v113, v114
	ds_read_b128 v[113:116], v88 offset:496
	buffer_load_dword v229, off, s[0:3], 0 offset:304
	buffer_load_dword v230, off, s[0:3], 0 offset:308
	s_waitcnt vmcnt(43)
	v_mul_f32_e32 v118, v111, v187
	s_waitcnt vmcnt(42)
	v_fmac_f32_e32 v118, v112, v188
	v_add_f32_e32 v121, v117, v118
	ds_read_b128 v[117:120], v88 offset:512
	buffer_load_dword v231, off, s[0:3], 0 offset:316
	buffer_load_dword v232, off, s[0:3], 0 offset:312
	buffer_load_dword v233, off, s[0:3], 0 offset:320
	buffer_load_dword v234, off, s[0:3], 0 offset:324
	buffer_load_dword v235, off, s[0:3], 0 offset:332
	buffer_load_dword v236, off, s[0:3], 0 offset:328
	buffer_load_dword v237, off, s[0:3], 0 offset:336
	buffer_load_dword v238, off, s[0:3], 0 offset:340
	v_mul_f32_e32 v90, v90, v163
	v_fma_f32 v89, v89, v172, -v90
	v_mul_f32_e32 v90, v92, v164
	v_add_f32_e32 v89, 0, v89
	v_fma_f32 v90, v91, v173, -v90
	v_add_f32_e32 v89, v89, v90
	v_mul_f32_e32 v90, v94, v165
	v_fma_f32 v90, v93, v174, -v90
	v_add_f32_e32 v89, v89, v90
	v_mul_f32_e32 v90, v96, v166
	v_fma_f32 v90, v95, v175, -v90
	s_waitcnt vmcnt(48) lgkmcnt(1)
	v_mul_f32_e32 v122, v113, v190
	v_add_f32_e32 v89, v89, v90
	v_mul_f32_e32 v90, v98, v167
	v_fmac_f32_e32 v122, v114, v189
	v_fma_f32 v90, v97, v176, -v90
	v_add_f32_e32 v121, v121, v122
	s_waitcnt vmcnt(46)
	v_mul_f32_e32 v122, v115, v192
	v_add_f32_e32 v89, v89, v90
	v_mul_f32_e32 v90, v100, v168
	v_fmac_f32_e32 v122, v116, v191
	v_fma_f32 v90, v99, v177, -v90
	v_add_f32_e32 v121, v121, v122
	s_waitcnt vmcnt(44) lgkmcnt(0)
	v_mul_f32_e32 v122, v117, v194
	v_add_f32_e32 v89, v89, v90
	v_mul_f32_e32 v90, v102, v169
	v_fmac_f32_e32 v122, v118, v193
	v_fma_f32 v90, v101, v178, -v90
	v_add_f32_e32 v125, v121, v122
	ds_read_b128 v[121:124], v88 offset:528
	v_add_f32_e32 v89, v89, v90
	v_mul_f32_e32 v90, v104, v170
	v_fma_f32 v90, v103, v179, -v90
	s_waitcnt vmcnt(42)
	v_mul_f32_e32 v126, v119, v196
	v_add_f32_e32 v89, v89, v90
	v_mul_f32_e32 v90, v106, v171
	v_fmac_f32_e32 v126, v120, v195
	v_fma_f32 v90, v105, v180, -v90
	v_add_f32_e32 v129, v125, v126
	ds_read_b128 v[125:128], v88 offset:544
	v_add_f32_e32 v89, v89, v90
	v_mul_f32_e32 v90, v108, v181
	s_waitcnt vmcnt(40) lgkmcnt(1)
	v_mul_f32_e32 v130, v121, v198
	v_fma_f32 v90, v107, v182, -v90
	v_fmac_f32_e32 v130, v122, v197
	v_add_f32_e32 v89, v89, v90
	v_mul_f32_e32 v90, v110, v183
	v_add_f32_e32 v129, v129, v130
	s_waitcnt vmcnt(38)
	v_mul_f32_e32 v130, v123, v200
	v_fma_f32 v90, v109, v184, -v90
	v_fmac_f32_e32 v130, v124, v199
	v_add_f32_e32 v89, v89, v90
	v_mul_f32_e32 v90, v112, v187
	v_add_f32_e32 v129, v129, v130
	s_waitcnt vmcnt(36) lgkmcnt(0)
	v_mul_f32_e32 v130, v125, v202
	v_fma_f32 v90, v111, v188, -v90
	v_fmac_f32_e32 v130, v126, v201
	v_add_f32_e32 v89, v89, v90
	v_mul_f32_e32 v90, v114, v190
	v_add_f32_e32 v133, v129, v130
	ds_read_b128 v[129:132], v88 offset:560
	v_fma_f32 v90, v113, v189, -v90
	v_add_f32_e32 v89, v89, v90
	v_mul_f32_e32 v90, v116, v192
	s_waitcnt vmcnt(34)
	v_mul_f32_e32 v134, v127, v204
	v_fma_f32 v90, v115, v191, -v90
	v_fmac_f32_e32 v134, v128, v203
	v_add_f32_e32 v89, v89, v90
	v_mul_f32_e32 v90, v118, v194
	v_add_f32_e32 v137, v133, v134
	ds_read_b128 v[133:136], v88 offset:576
	v_fma_f32 v90, v117, v193, -v90
	s_waitcnt vmcnt(32) lgkmcnt(1)
	v_mul_f32_e32 v138, v129, v206
	v_add_f32_e32 v89, v89, v90
	v_mul_f32_e32 v90, v120, v196
	v_fmac_f32_e32 v138, v130, v205
	v_fma_f32 v90, v119, v195, -v90
	v_add_f32_e32 v137, v137, v138
	s_waitcnt vmcnt(30)
	v_mul_f32_e32 v138, v131, v208
	v_add_f32_e32 v89, v89, v90
	v_mul_f32_e32 v90, v122, v198
	v_fmac_f32_e32 v138, v132, v207
	v_fma_f32 v90, v121, v197, -v90
	v_add_f32_e32 v137, v137, v138
	s_waitcnt vmcnt(28) lgkmcnt(0)
	v_mul_f32_e32 v138, v133, v210
	v_add_f32_e32 v89, v89, v90
	v_mul_f32_e32 v90, v124, v200
	v_fmac_f32_e32 v138, v134, v209
	v_fma_f32 v90, v123, v199, -v90
	v_add_f32_e32 v141, v137, v138
	ds_read_b128 v[137:140], v88 offset:592
	v_add_f32_e32 v89, v89, v90
	v_mul_f32_e32 v90, v126, v202
	v_fma_f32 v90, v125, v201, -v90
	s_waitcnt vmcnt(26)
	v_mul_f32_e32 v142, v135, v212
	v_add_f32_e32 v89, v89, v90
	v_mul_f32_e32 v90, v128, v204
	v_fmac_f32_e32 v142, v136, v211
	v_fma_f32 v90, v127, v203, -v90
	v_add_f32_e32 v145, v141, v142
	ds_read_b128 v[141:144], v88 offset:608
	v_add_f32_e32 v89, v89, v90
	v_mul_f32_e32 v90, v130, v206
	s_waitcnt vmcnt(24) lgkmcnt(1)
	v_mul_f32_e32 v146, v137, v214
	v_fma_f32 v90, v129, v205, -v90
	v_fmac_f32_e32 v146, v138, v213
	v_add_f32_e32 v89, v89, v90
	v_mul_f32_e32 v90, v132, v208
	v_add_f32_e32 v145, v145, v146
	s_waitcnt vmcnt(23)
	v_mul_f32_e32 v146, v139, v215
	v_fma_f32 v90, v131, v207, -v90
	s_waitcnt vmcnt(22)
	v_fmac_f32_e32 v146, v140, v216
	v_add_f32_e32 v89, v89, v90
	v_mul_f32_e32 v90, v134, v210
	v_add_f32_e32 v145, v145, v146
	s_waitcnt vmcnt(20) lgkmcnt(0)
	v_mul_f32_e32 v146, v141, v218
	v_fma_f32 v90, v133, v209, -v90
	v_fmac_f32_e32 v146, v142, v217
	v_add_f32_e32 v89, v89, v90
	v_mul_f32_e32 v90, v136, v212
	v_add_f32_e32 v149, v145, v146
	ds_read_b128 v[145:148], v88 offset:624
	v_fma_f32 v90, v135, v211, -v90
	v_add_f32_e32 v89, v89, v90
	v_mul_f32_e32 v90, v138, v214
	s_waitcnt vmcnt(18)
	v_mul_f32_e32 v150, v143, v220
	v_fma_f32 v90, v137, v213, -v90
	v_fmac_f32_e32 v150, v144, v219
	v_add_f32_e32 v89, v89, v90
	v_mul_f32_e32 v90, v140, v215
	v_add_f32_e32 v153, v149, v150
	ds_read_b128 v[149:152], v88 offset:640
	v_fma_f32 v90, v139, v216, -v90
	s_waitcnt vmcnt(16) lgkmcnt(1)
	v_mul_f32_e32 v154, v145, v222
	v_add_f32_e32 v89, v89, v90
	v_mul_f32_e32 v90, v142, v218
	v_fmac_f32_e32 v154, v146, v221
	v_fma_f32 v90, v141, v217, -v90
	v_add_f32_e32 v153, v153, v154
	s_waitcnt vmcnt(15)
	v_mul_f32_e32 v154, v147, v223
	v_add_f32_e32 v89, v89, v90
	v_mul_f32_e32 v90, v144, v220
	s_waitcnt vmcnt(14)
	v_fmac_f32_e32 v154, v148, v224
	v_fma_f32 v90, v143, v219, -v90
	v_add_f32_e32 v153, v153, v154
	s_waitcnt vmcnt(12) lgkmcnt(0)
	v_mul_f32_e32 v154, v149, v226
	v_add_f32_e32 v89, v89, v90
	v_mul_f32_e32 v90, v146, v222
	v_fmac_f32_e32 v154, v150, v225
	v_fma_f32 v90, v145, v221, -v90
	v_add_f32_e32 v157, v153, v154
	ds_read_b128 v[153:156], v88 offset:656
	v_add_f32_e32 v89, v89, v90
	v_mul_f32_e32 v90, v148, v223
	v_fma_f32 v90, v147, v224, -v90
	v_add_f32_e32 v89, v89, v90
	v_mul_f32_e32 v90, v150, v226
	s_waitcnt vmcnt(10)
	v_mul_f32_e32 v158, v151, v228
	v_fma_f32 v90, v149, v225, -v90
	v_fmac_f32_e32 v158, v152, v227
	v_add_f32_e32 v89, v89, v90
	v_mul_f32_e32 v90, v152, v228
	v_add_f32_e32 v161, v157, v158
	ds_read_b128 v[157:160], v88 offset:672
	s_waitcnt vmcnt(8) lgkmcnt(1)
	v_mul_f32_e32 v162, v153, v230
	v_fma_f32 v90, v151, v227, -v90
	v_fmac_f32_e32 v162, v154, v229
	v_add_f32_e32 v89, v89, v90
	v_mul_f32_e32 v90, v154, v230
	v_add_f32_e32 v161, v161, v162
	s_waitcnt vmcnt(7)
	v_mul_f32_e32 v162, v155, v231
	v_fma_f32 v90, v153, v229, -v90
	s_waitcnt vmcnt(6)
	v_fmac_f32_e32 v162, v156, v232
	v_add_f32_e32 v89, v89, v90
	v_mul_f32_e32 v90, v156, v231
	v_add_f32_e32 v239, v161, v162
	ds_read_b64 v[161:162], v88 offset:688
	v_fma_f32 v90, v155, v232, -v90
	v_add_f32_e32 v89, v89, v90
	s_waitcnt vmcnt(4) lgkmcnt(1)
	v_mul_f32_e32 v90, v158, v234
	v_mul_f32_e32 v240, v157, v234
	v_fma_f32 v90, v157, v233, -v90
	v_fmac_f32_e32 v240, v158, v233
	v_add_f32_e32 v89, v89, v90
	s_waitcnt vmcnt(3)
	v_mul_f32_e32 v90, v160, v235
	v_add_f32_e32 v239, v239, v240
	v_mul_f32_e32 v240, v159, v235
	s_waitcnt vmcnt(2)
	v_fma_f32 v90, v159, v236, -v90
	v_fmac_f32_e32 v240, v160, v236
	v_add_f32_e32 v89, v89, v90
	s_waitcnt vmcnt(0) lgkmcnt(0)
	v_mul_f32_e32 v90, v162, v238
	v_add_f32_e32 v239, v239, v240
	v_mul_f32_e32 v240, v161, v238
	v_fma_f32 v90, v161, v237, -v90
	v_fmac_f32_e32 v240, v162, v237
	v_add_f32_e32 v89, v89, v90
	v_add_f32_e32 v239, v239, v240
	v_sub_f32_e32 v89, v185, v89
	v_sub_f32_e32 v90, v186, v239
	buffer_store_dword v89, off, s[0:3], 0 offset:40
	buffer_store_dword v90, off, s[0:3], 0 offset:44
	s_and_saveexec_b64 s[4:5], vcc
	s_cbranch_execz .LBB106_263
; %bb.262:
	buffer_load_dword v89, off, s[0:3], 0 offset:32
	buffer_load_dword v90, off, s[0:3], 0 offset:36
	s_waitcnt vmcnt(0)
	ds_write_b64 v87, v[89:90]
	buffer_store_dword v88, off, s[0:3], 0 offset:32
	buffer_store_dword v88, off, s[0:3], 0 offset:36
.LBB106_263:
	s_or_b64 exec, exec, s[4:5]
	s_waitcnt lgkmcnt(0)
	; wave barrier
	buffer_load_dword v165, off, s[0:3], 0 offset:44
	buffer_load_dword v166, off, s[0:3], 0 offset:52
	buffer_load_dword v167, off, s[0:3], 0 offset:60
	buffer_load_dword v168, off, s[0:3], 0 offset:68
	buffer_load_dword v169, off, s[0:3], 0 offset:76
	buffer_load_dword v170, off, s[0:3], 0 offset:84
	buffer_load_dword v171, off, s[0:3], 0 offset:92
	buffer_load_dword v172, off, s[0:3], 0 offset:100
	buffer_load_dword v173, off, s[0:3], 0 offset:108
	buffer_load_dword v174, off, s[0:3], 0 offset:116
	buffer_load_dword v175, off, s[0:3], 0 offset:40
	buffer_load_dword v176, off, s[0:3], 0 offset:48
	buffer_load_dword v177, off, s[0:3], 0 offset:56
	buffer_load_dword v178, off, s[0:3], 0 offset:64
	buffer_load_dword v179, off, s[0:3], 0 offset:72
	buffer_load_dword v180, off, s[0:3], 0 offset:80
	buffer_load_dword v181, off, s[0:3], 0 offset:88
	buffer_load_dword v182, off, s[0:3], 0 offset:96
	buffer_load_dword v183, off, s[0:3], 0 offset:104
	buffer_load_dword v184, off, s[0:3], 0 offset:112
	buffer_load_dword v185, off, s[0:3], 0 offset:124
	buffer_load_dword v186, off, s[0:3], 0 offset:120
	buffer_load_dword v187, off, s[0:3], 0 offset:132
	buffer_load_dword v188, off, s[0:3], 0 offset:128
	buffer_load_dword v189, off, s[0:3], 0 offset:32
	buffer_load_dword v190, off, s[0:3], 0 offset:36
	ds_read2_b64 v[89:92], v88 offset0:49 offset1:50
	ds_read2_b64 v[93:96], v88 offset0:51 offset1:52
	;; [unrolled: 1-line block ×4, first 2 shown]
	buffer_load_dword v191, off, s[0:3], 0 offset:140
	ds_read2_b64 v[105:108], v88 offset0:57 offset1:58
	ds_read2_b64 v[109:112], v88 offset0:59 offset1:60
	buffer_load_dword v192, off, s[0:3], 0 offset:136
	buffer_load_dword v193, off, s[0:3], 0 offset:144
	;; [unrolled: 1-line block ×37, first 2 shown]
	v_cmp_lt_u32_e32 vcc, 3, v0
	s_waitcnt vmcnt(62) lgkmcnt(5)
	v_mul_f32_e32 v113, v89, v165
	v_mul_f32_e32 v114, v91, v166
	s_waitcnt vmcnt(61) lgkmcnt(4)
	v_mul_f32_e32 v115, v93, v167
	s_waitcnt vmcnt(60)
	v_mul_f32_e32 v116, v95, v168
	s_waitcnt vmcnt(59) lgkmcnt(3)
	v_mul_f32_e32 v117, v97, v169
	s_waitcnt vmcnt(58)
	;; [unrolled: 4-line block ×4, first 2 shown]
	v_mul_f32_e32 v122, v107, v174
	s_waitcnt vmcnt(53)
	v_fmac_f32_e32 v113, v90, v175
	s_waitcnt vmcnt(52)
	v_fmac_f32_e32 v114, v92, v176
	v_add_f32_e32 v113, 0, v113
	s_waitcnt vmcnt(51)
	v_fmac_f32_e32 v115, v94, v177
	v_add_f32_e32 v113, v113, v114
	s_waitcnt vmcnt(50)
	v_fmac_f32_e32 v116, v96, v178
	v_add_f32_e32 v113, v113, v115
	s_waitcnt vmcnt(49)
	v_fmac_f32_e32 v117, v98, v179
	v_add_f32_e32 v113, v113, v116
	s_waitcnt vmcnt(48)
	v_fmac_f32_e32 v118, v100, v180
	v_add_f32_e32 v113, v113, v117
	s_waitcnt vmcnt(47)
	v_fmac_f32_e32 v119, v102, v181
	v_add_f32_e32 v113, v113, v118
	s_waitcnt vmcnt(46)
	v_fmac_f32_e32 v120, v104, v182
	v_add_f32_e32 v113, v113, v119
	s_waitcnt vmcnt(45)
	v_fmac_f32_e32 v121, v106, v183
	v_add_f32_e32 v113, v113, v120
	s_waitcnt vmcnt(44)
	v_fmac_f32_e32 v122, v108, v184
	v_add_f32_e32 v113, v113, v121
	s_waitcnt vmcnt(43) lgkmcnt(0)
	v_mul_f32_e32 v114, v109, v185
	v_add_f32_e32 v113, v113, v122
	s_waitcnt vmcnt(42)
	v_fmac_f32_e32 v114, v110, v186
	v_add_f32_e32 v117, v113, v114
	s_waitcnt vmcnt(41)
	v_mul_f32_e32 v118, v111, v187
	ds_read2_b64 v[113:116], v88 offset0:61 offset1:62
	buffer_load_dword v229, off, s[0:3], 0 offset:288
	buffer_load_dword v230, off, s[0:3], 0 offset:292
	s_waitcnt vmcnt(42)
	v_fmac_f32_e32 v118, v112, v188
	v_add_f32_e32 v121, v117, v118
	ds_read2_b64 v[117:120], v88 offset0:63 offset1:64
	buffer_load_dword v231, off, s[0:3], 0 offset:296
	buffer_load_dword v232, off, s[0:3], 0 offset:300
	;; [unrolled: 1-line block ×12, first 2 shown]
	v_mul_f32_e32 v90, v90, v165
	v_fma_f32 v89, v89, v175, -v90
	v_mul_f32_e32 v90, v92, v166
	v_add_f32_e32 v89, 0, v89
	v_fma_f32 v90, v91, v176, -v90
	v_add_f32_e32 v89, v89, v90
	v_mul_f32_e32 v90, v94, v167
	v_fma_f32 v90, v93, v177, -v90
	v_add_f32_e32 v89, v89, v90
	v_mul_f32_e32 v90, v96, v168
	v_fma_f32 v90, v95, v178, -v90
	s_waitcnt vmcnt(51) lgkmcnt(1)
	v_mul_f32_e32 v122, v113, v191
	v_add_f32_e32 v89, v89, v90
	v_mul_f32_e32 v90, v98, v169
	s_waitcnt vmcnt(50)
	v_fmac_f32_e32 v122, v114, v192
	v_fma_f32 v90, v97, v179, -v90
	v_add_f32_e32 v121, v121, v122
	s_waitcnt vmcnt(48)
	v_mul_f32_e32 v122, v115, v194
	v_add_f32_e32 v89, v89, v90
	v_mul_f32_e32 v90, v100, v170
	v_fmac_f32_e32 v122, v116, v193
	v_fma_f32 v90, v99, v180, -v90
	v_add_f32_e32 v121, v121, v122
	s_waitcnt vmcnt(46) lgkmcnt(0)
	v_mul_f32_e32 v122, v117, v196
	v_add_f32_e32 v89, v89, v90
	v_mul_f32_e32 v90, v102, v171
	v_fmac_f32_e32 v122, v118, v195
	v_fma_f32 v90, v101, v181, -v90
	v_add_f32_e32 v125, v121, v122
	ds_read2_b64 v[121:124], v88 offset0:65 offset1:66
	v_add_f32_e32 v89, v89, v90
	v_mul_f32_e32 v90, v104, v172
	v_fma_f32 v90, v103, v182, -v90
	s_waitcnt vmcnt(44)
	v_mul_f32_e32 v126, v119, v198
	v_add_f32_e32 v89, v89, v90
	v_mul_f32_e32 v90, v106, v173
	v_fmac_f32_e32 v126, v120, v197
	v_fma_f32 v90, v105, v183, -v90
	v_add_f32_e32 v129, v125, v126
	ds_read2_b64 v[125:128], v88 offset0:67 offset1:68
	v_add_f32_e32 v89, v89, v90
	v_mul_f32_e32 v90, v108, v174
	s_waitcnt vmcnt(42) lgkmcnt(1)
	v_mul_f32_e32 v130, v121, v200
	v_fma_f32 v90, v107, v184, -v90
	v_fmac_f32_e32 v130, v122, v199
	v_add_f32_e32 v89, v89, v90
	v_mul_f32_e32 v90, v110, v185
	v_add_f32_e32 v129, v129, v130
	s_waitcnt vmcnt(40)
	v_mul_f32_e32 v130, v123, v202
	v_fma_f32 v90, v109, v186, -v90
	v_fmac_f32_e32 v130, v124, v201
	v_add_f32_e32 v89, v89, v90
	v_mul_f32_e32 v90, v112, v187
	v_add_f32_e32 v129, v129, v130
	s_waitcnt vmcnt(38) lgkmcnt(0)
	v_mul_f32_e32 v130, v125, v204
	v_fma_f32 v90, v111, v188, -v90
	v_fmac_f32_e32 v130, v126, v203
	v_add_f32_e32 v89, v89, v90
	v_mul_f32_e32 v90, v114, v191
	v_add_f32_e32 v133, v129, v130
	ds_read2_b64 v[129:132], v88 offset0:69 offset1:70
	v_fma_f32 v90, v113, v192, -v90
	v_add_f32_e32 v89, v89, v90
	v_mul_f32_e32 v90, v116, v194
	s_waitcnt vmcnt(36)
	v_mul_f32_e32 v134, v127, v206
	v_fma_f32 v90, v115, v193, -v90
	v_fmac_f32_e32 v134, v128, v205
	v_add_f32_e32 v89, v89, v90
	v_mul_f32_e32 v90, v118, v196
	v_add_f32_e32 v137, v133, v134
	ds_read2_b64 v[133:136], v88 offset0:71 offset1:72
	v_fma_f32 v90, v117, v195, -v90
	s_waitcnt vmcnt(34) lgkmcnt(1)
	v_mul_f32_e32 v138, v129, v208
	v_add_f32_e32 v89, v89, v90
	v_mul_f32_e32 v90, v120, v198
	v_fmac_f32_e32 v138, v130, v207
	v_fma_f32 v90, v119, v197, -v90
	v_add_f32_e32 v137, v137, v138
	s_waitcnt vmcnt(32)
	v_mul_f32_e32 v138, v131, v210
	v_add_f32_e32 v89, v89, v90
	v_mul_f32_e32 v90, v122, v200
	v_fmac_f32_e32 v138, v132, v209
	v_fma_f32 v90, v121, v199, -v90
	v_add_f32_e32 v137, v137, v138
	s_waitcnt vmcnt(30) lgkmcnt(0)
	v_mul_f32_e32 v138, v133, v212
	v_add_f32_e32 v89, v89, v90
	v_mul_f32_e32 v90, v124, v202
	v_fmac_f32_e32 v138, v134, v211
	v_fma_f32 v90, v123, v201, -v90
	v_add_f32_e32 v141, v137, v138
	ds_read2_b64 v[137:140], v88 offset0:73 offset1:74
	v_add_f32_e32 v89, v89, v90
	v_mul_f32_e32 v90, v126, v204
	v_fma_f32 v90, v125, v203, -v90
	s_waitcnt vmcnt(28)
	v_mul_f32_e32 v142, v135, v214
	v_add_f32_e32 v89, v89, v90
	v_mul_f32_e32 v90, v128, v206
	v_fmac_f32_e32 v142, v136, v213
	v_fma_f32 v90, v127, v205, -v90
	v_add_f32_e32 v145, v141, v142
	ds_read2_b64 v[141:144], v88 offset0:75 offset1:76
	v_add_f32_e32 v89, v89, v90
	v_mul_f32_e32 v90, v130, v208
	s_waitcnt vmcnt(26) lgkmcnt(1)
	v_mul_f32_e32 v146, v137, v216
	v_fma_f32 v90, v129, v207, -v90
	v_fmac_f32_e32 v146, v138, v215
	v_add_f32_e32 v89, v89, v90
	v_mul_f32_e32 v90, v132, v210
	v_add_f32_e32 v145, v145, v146
	s_waitcnt vmcnt(25)
	v_mul_f32_e32 v146, v139, v217
	v_fma_f32 v90, v131, v209, -v90
	s_waitcnt vmcnt(24)
	v_fmac_f32_e32 v146, v140, v218
	v_add_f32_e32 v89, v89, v90
	v_mul_f32_e32 v90, v134, v212
	v_add_f32_e32 v145, v145, v146
	s_waitcnt vmcnt(22) lgkmcnt(0)
	v_mul_f32_e32 v146, v141, v220
	v_fma_f32 v90, v133, v211, -v90
	v_fmac_f32_e32 v146, v142, v219
	v_add_f32_e32 v89, v89, v90
	v_mul_f32_e32 v90, v136, v214
	v_add_f32_e32 v149, v145, v146
	ds_read2_b64 v[145:148], v88 offset0:77 offset1:78
	v_fma_f32 v90, v135, v213, -v90
	v_add_f32_e32 v89, v89, v90
	v_mul_f32_e32 v90, v138, v216
	s_waitcnt vmcnt(20)
	v_mul_f32_e32 v150, v143, v222
	v_fma_f32 v90, v137, v215, -v90
	v_fmac_f32_e32 v150, v144, v221
	v_add_f32_e32 v89, v89, v90
	v_mul_f32_e32 v90, v140, v217
	v_add_f32_e32 v153, v149, v150
	ds_read2_b64 v[149:152], v88 offset0:79 offset1:80
	v_fma_f32 v90, v139, v218, -v90
	s_waitcnt vmcnt(18) lgkmcnt(1)
	v_mul_f32_e32 v154, v145, v224
	v_add_f32_e32 v89, v89, v90
	v_mul_f32_e32 v90, v142, v220
	v_fmac_f32_e32 v154, v146, v223
	v_fma_f32 v90, v141, v219, -v90
	v_add_f32_e32 v153, v153, v154
	s_waitcnt vmcnt(17)
	v_mul_f32_e32 v154, v147, v225
	v_add_f32_e32 v89, v89, v90
	v_mul_f32_e32 v90, v144, v222
	s_waitcnt vmcnt(16)
	v_fmac_f32_e32 v154, v148, v226
	v_fma_f32 v90, v143, v221, -v90
	v_add_f32_e32 v153, v153, v154
	s_waitcnt vmcnt(14) lgkmcnt(0)
	v_mul_f32_e32 v154, v149, v228
	v_add_f32_e32 v89, v89, v90
	v_mul_f32_e32 v90, v146, v224
	v_fmac_f32_e32 v154, v150, v227
	v_fma_f32 v90, v145, v223, -v90
	v_add_f32_e32 v157, v153, v154
	ds_read2_b64 v[153:156], v88 offset0:81 offset1:82
	v_add_f32_e32 v89, v89, v90
	v_mul_f32_e32 v90, v148, v225
	v_fma_f32 v90, v147, v226, -v90
	v_add_f32_e32 v89, v89, v90
	v_mul_f32_e32 v90, v150, v228
	s_waitcnt vmcnt(12)
	v_mul_f32_e32 v158, v151, v230
	v_fma_f32 v90, v149, v227, -v90
	v_fmac_f32_e32 v158, v152, v229
	v_add_f32_e32 v89, v89, v90
	v_mul_f32_e32 v90, v152, v230
	v_add_f32_e32 v161, v157, v158
	ds_read2_b64 v[157:160], v88 offset0:83 offset1:84
	s_waitcnt vmcnt(10) lgkmcnt(1)
	v_mul_f32_e32 v162, v153, v232
	v_fma_f32 v90, v151, v229, -v90
	v_fmac_f32_e32 v162, v154, v231
	v_add_f32_e32 v89, v89, v90
	v_mul_f32_e32 v90, v154, v232
	v_add_f32_e32 v161, v161, v162
	s_waitcnt vmcnt(9)
	v_mul_f32_e32 v162, v155, v233
	v_fma_f32 v90, v153, v231, -v90
	s_waitcnt vmcnt(8)
	v_fmac_f32_e32 v162, v156, v234
	v_add_f32_e32 v89, v89, v90
	v_mul_f32_e32 v90, v156, v233
	v_add_f32_e32 v243, v161, v162
	ds_read2_b64 v[161:164], v88 offset0:85 offset1:86
	v_fma_f32 v90, v155, v234, -v90
	v_add_f32_e32 v89, v89, v90
	s_waitcnt vmcnt(6) lgkmcnt(1)
	v_mul_f32_e32 v90, v158, v236
	v_mul_f32_e32 v244, v157, v236
	v_fma_f32 v90, v157, v235, -v90
	v_fmac_f32_e32 v244, v158, v235
	v_add_f32_e32 v89, v89, v90
	s_waitcnt vmcnt(4)
	v_mul_f32_e32 v90, v160, v238
	v_add_f32_e32 v88, v243, v244
	v_mul_f32_e32 v243, v159, v238
	v_fma_f32 v90, v159, v237, -v90
	v_fmac_f32_e32 v243, v160, v237
	v_add_f32_e32 v89, v89, v90
	s_waitcnt vmcnt(3) lgkmcnt(0)
	v_mul_f32_e32 v90, v162, v239
	v_add_f32_e32 v88, v88, v243
	v_mul_f32_e32 v243, v161, v239
	s_waitcnt vmcnt(2)
	v_fma_f32 v90, v161, v240, -v90
	v_fmac_f32_e32 v243, v162, v240
	v_add_f32_e32 v89, v89, v90
	s_waitcnt vmcnt(0)
	v_mul_f32_e32 v90, v164, v242
	v_add_f32_e32 v88, v88, v243
	v_mul_f32_e32 v243, v163, v242
	v_fma_f32 v90, v163, v241, -v90
	v_fmac_f32_e32 v243, v164, v241
	v_add_f32_e32 v89, v89, v90
	v_add_f32_e32 v88, v88, v243
	v_sub_f32_e32 v89, v189, v89
	v_sub_f32_e32 v88, v190, v88
	buffer_store_dword v89, off, s[0:3], 0 offset:32
	buffer_store_dword v88, off, s[0:3], 0 offset:36
	s_and_saveexec_b64 s[4:5], vcc
	s_cbranch_execz .LBB106_265
; %bb.264:
	buffer_load_dword v88, off, s[0:3], 0 offset:24
	buffer_load_dword v89, off, s[0:3], 0 offset:28
	v_mov_b32_e32 v90, 0
	buffer_store_dword v90, off, s[0:3], 0 offset:24
	buffer_store_dword v90, off, s[0:3], 0 offset:28
	s_waitcnt vmcnt(2)
	ds_write_b64 v87, v[88:89]
.LBB106_265:
	s_or_b64 exec, exec, s[4:5]
	s_waitcnt lgkmcnt(0)
	; wave barrier
	buffer_load_dword v167, off, s[0:3], 0 offset:36
	buffer_load_dword v168, off, s[0:3], 0 offset:44
	;; [unrolled: 1-line block ×52, first 2 shown]
	v_mov_b32_e32 v88, 0
	ds_read_b128 v[89:92], v88 offset:384
	ds_read_b128 v[93:96], v88 offset:400
	;; [unrolled: 1-line block ×6, first 2 shown]
	buffer_load_dword v219, off, s[0:3], 0 offset:236
	buffer_load_dword v220, off, s[0:3], 0 offset:232
	;; [unrolled: 1-line block ×8, first 2 shown]
	v_cmp_lt_u32_e32 vcc, 2, v0
	s_waitcnt vmcnt(59) lgkmcnt(5)
	v_mul_f32_e32 v113, v89, v167
	s_waitcnt vmcnt(58)
	v_mul_f32_e32 v114, v91, v168
	s_waitcnt vmcnt(57) lgkmcnt(4)
	v_mul_f32_e32 v115, v93, v169
	s_waitcnt vmcnt(56)
	v_mul_f32_e32 v116, v95, v170
	;; [unrolled: 4-line block ×5, first 2 shown]
	s_waitcnt vmcnt(49) lgkmcnt(0)
	v_mul_f32_e32 v123, v109, v177
	s_waitcnt vmcnt(48)
	v_fmac_f32_e32 v113, v90, v178
	s_waitcnt vmcnt(47)
	v_fmac_f32_e32 v114, v92, v179
	v_add_f32_e32 v113, 0, v113
	s_waitcnt vmcnt(46)
	v_fmac_f32_e32 v115, v94, v180
	v_add_f32_e32 v113, v113, v114
	;; [unrolled: 3-line block ×9, first 2 shown]
	v_add_f32_e32 v113, v113, v122
	s_waitcnt vmcnt(38)
	v_fmac_f32_e32 v123, v110, v188
	s_waitcnt vmcnt(37)
	v_mul_f32_e32 v114, v111, v189
	v_add_f32_e32 v113, v113, v123
	s_waitcnt vmcnt(36)
	v_fmac_f32_e32 v114, v112, v190
	v_add_f32_e32 v121, v113, v114
	ds_read_b128 v[113:116], v88 offset:480
	buffer_load_dword v227, off, s[0:3], 0 offset:268
	buffer_load_dword v228, off, s[0:3], 0 offset:264
	;; [unrolled: 1-line block ×4, first 2 shown]
	ds_read_b128 v[117:120], v88 offset:496
	buffer_load_dword v231, off, s[0:3], 0 offset:280
	buffer_load_dword v232, off, s[0:3], 0 offset:284
	;; [unrolled: 1-line block ×10, first 2 shown]
	s_waitcnt vmcnt(46) lgkmcnt(1)
	v_mul_f32_e32 v122, v113, v194
	v_fmac_f32_e32 v122, v114, v193
	v_add_f32_e32 v121, v121, v122
	s_waitcnt vmcnt(44)
	v_mul_f32_e32 v122, v115, v196
	buffer_load_dword v241, off, s[0:3], 0 offset:320
	buffer_load_dword v242, off, s[0:3], 0 offset:324
	v_fmac_f32_e32 v122, v116, v195
	v_add_f32_e32 v121, v121, v122
	s_waitcnt vmcnt(44) lgkmcnt(0)
	v_mul_f32_e32 v122, v117, v198
	v_fmac_f32_e32 v122, v118, v197
	v_add_f32_e32 v125, v121, v122
	ds_read_b128 v[121:124], v88 offset:512
	buffer_load_dword v243, off, s[0:3], 0 offset:332
	buffer_load_dword v244, off, s[0:3], 0 offset:328
	;; [unrolled: 1-line block ×4, first 2 shown]
	v_mul_f32_e32 v90, v90, v167
	v_fma_f32 v89, v89, v178, -v90
	v_mul_f32_e32 v90, v92, v168
	v_add_f32_e32 v89, 0, v89
	v_fma_f32 v90, v91, v179, -v90
	v_add_f32_e32 v89, v89, v90
	v_mul_f32_e32 v90, v94, v169
	v_fma_f32 v90, v93, v180, -v90
	v_add_f32_e32 v89, v89, v90
	v_mul_f32_e32 v90, v96, v170
	v_fma_f32 v90, v95, v181, -v90
	v_add_f32_e32 v89, v89, v90
	v_mul_f32_e32 v90, v98, v171
	v_fma_f32 v90, v97, v182, -v90
	v_add_f32_e32 v89, v89, v90
	v_mul_f32_e32 v90, v100, v172
	v_fma_f32 v90, v99, v183, -v90
	v_add_f32_e32 v89, v89, v90
	v_mul_f32_e32 v90, v102, v173
	v_fma_f32 v90, v101, v184, -v90
	s_waitcnt vmcnt(46)
	v_mul_f32_e32 v126, v119, v200
	v_add_f32_e32 v89, v89, v90
	v_mul_f32_e32 v90, v104, v174
	v_fmac_f32_e32 v126, v120, v199
	v_fma_f32 v90, v103, v185, -v90
	v_add_f32_e32 v129, v125, v126
	ds_read_b128 v[125:128], v88 offset:528
	v_add_f32_e32 v89, v89, v90
	v_mul_f32_e32 v90, v106, v175
	s_waitcnt vmcnt(44) lgkmcnt(1)
	v_mul_f32_e32 v130, v121, v202
	v_fma_f32 v90, v105, v186, -v90
	v_fmac_f32_e32 v130, v122, v201
	v_add_f32_e32 v89, v89, v90
	v_mul_f32_e32 v90, v108, v176
	v_add_f32_e32 v129, v129, v130
	s_waitcnt vmcnt(42)
	v_mul_f32_e32 v130, v123, v204
	v_fma_f32 v90, v107, v187, -v90
	v_fmac_f32_e32 v130, v124, v203
	v_add_f32_e32 v89, v89, v90
	v_mul_f32_e32 v90, v110, v177
	v_add_f32_e32 v129, v129, v130
	s_waitcnt vmcnt(40) lgkmcnt(0)
	v_mul_f32_e32 v130, v125, v206
	v_fma_f32 v90, v109, v188, -v90
	v_fmac_f32_e32 v130, v126, v205
	v_add_f32_e32 v89, v89, v90
	v_mul_f32_e32 v90, v112, v189
	v_add_f32_e32 v133, v129, v130
	ds_read_b128 v[129:132], v88 offset:544
	v_fma_f32 v90, v111, v190, -v90
	v_add_f32_e32 v89, v89, v90
	v_mul_f32_e32 v90, v114, v194
	s_waitcnt vmcnt(38)
	v_mul_f32_e32 v134, v127, v208
	v_fma_f32 v90, v113, v193, -v90
	v_fmac_f32_e32 v134, v128, v207
	v_add_f32_e32 v89, v89, v90
	v_mul_f32_e32 v90, v116, v196
	v_add_f32_e32 v137, v133, v134
	ds_read_b128 v[133:136], v88 offset:560
	v_fma_f32 v90, v115, v195, -v90
	s_waitcnt vmcnt(36) lgkmcnt(1)
	v_mul_f32_e32 v138, v129, v210
	v_add_f32_e32 v89, v89, v90
	v_mul_f32_e32 v90, v118, v198
	v_fmac_f32_e32 v138, v130, v209
	v_fma_f32 v90, v117, v197, -v90
	v_add_f32_e32 v137, v137, v138
	s_waitcnt vmcnt(34)
	v_mul_f32_e32 v138, v131, v212
	v_add_f32_e32 v89, v89, v90
	v_mul_f32_e32 v90, v120, v200
	v_fmac_f32_e32 v138, v132, v211
	v_fma_f32 v90, v119, v199, -v90
	v_add_f32_e32 v137, v137, v138
	s_waitcnt vmcnt(32) lgkmcnt(0)
	v_mul_f32_e32 v138, v133, v214
	v_add_f32_e32 v89, v89, v90
	v_mul_f32_e32 v90, v122, v202
	v_fmac_f32_e32 v138, v134, v213
	v_fma_f32 v90, v121, v201, -v90
	v_add_f32_e32 v141, v137, v138
	ds_read_b128 v[137:140], v88 offset:576
	v_add_f32_e32 v89, v89, v90
	v_mul_f32_e32 v90, v124, v204
	v_fma_f32 v90, v123, v203, -v90
	s_waitcnt vmcnt(30)
	v_mul_f32_e32 v142, v135, v216
	v_add_f32_e32 v89, v89, v90
	v_mul_f32_e32 v90, v126, v206
	v_fmac_f32_e32 v142, v136, v215
	v_fma_f32 v90, v125, v205, -v90
	v_add_f32_e32 v145, v141, v142
	ds_read_b128 v[141:144], v88 offset:592
	v_add_f32_e32 v89, v89, v90
	v_mul_f32_e32 v90, v128, v208
	s_waitcnt vmcnt(28) lgkmcnt(1)
	v_mul_f32_e32 v146, v137, v218
	v_fma_f32 v90, v127, v207, -v90
	v_fmac_f32_e32 v146, v138, v217
	v_add_f32_e32 v89, v89, v90
	v_mul_f32_e32 v90, v130, v210
	v_add_f32_e32 v145, v145, v146
	s_waitcnt vmcnt(27)
	v_mul_f32_e32 v146, v139, v219
	v_fma_f32 v90, v129, v209, -v90
	s_waitcnt vmcnt(26)
	v_fmac_f32_e32 v146, v140, v220
	v_add_f32_e32 v89, v89, v90
	v_mul_f32_e32 v90, v132, v212
	v_add_f32_e32 v145, v145, v146
	s_waitcnt vmcnt(24) lgkmcnt(0)
	v_mul_f32_e32 v146, v141, v222
	v_fma_f32 v90, v131, v211, -v90
	v_fmac_f32_e32 v146, v142, v221
	v_add_f32_e32 v89, v89, v90
	v_mul_f32_e32 v90, v134, v214
	v_add_f32_e32 v149, v145, v146
	ds_read_b128 v[145:148], v88 offset:608
	v_fma_f32 v90, v133, v213, -v90
	v_add_f32_e32 v89, v89, v90
	v_mul_f32_e32 v90, v136, v216
	s_waitcnt vmcnt(22)
	v_mul_f32_e32 v150, v143, v224
	v_fma_f32 v90, v135, v215, -v90
	v_fmac_f32_e32 v150, v144, v223
	v_add_f32_e32 v89, v89, v90
	v_mul_f32_e32 v90, v138, v218
	v_add_f32_e32 v153, v149, v150
	ds_read_b128 v[149:152], v88 offset:624
	v_fma_f32 v90, v137, v217, -v90
	s_waitcnt vmcnt(20) lgkmcnt(1)
	v_mul_f32_e32 v154, v145, v226
	v_add_f32_e32 v89, v89, v90
	v_mul_f32_e32 v90, v140, v219
	v_fmac_f32_e32 v154, v146, v225
	v_fma_f32 v90, v139, v220, -v90
	v_add_f32_e32 v153, v153, v154
	s_waitcnt vmcnt(19)
	v_mul_f32_e32 v154, v147, v227
	v_add_f32_e32 v89, v89, v90
	v_mul_f32_e32 v90, v142, v222
	s_waitcnt vmcnt(18)
	v_fmac_f32_e32 v154, v148, v228
	v_fma_f32 v90, v141, v221, -v90
	v_add_f32_e32 v153, v153, v154
	s_waitcnt vmcnt(16) lgkmcnt(0)
	v_mul_f32_e32 v154, v149, v230
	v_add_f32_e32 v89, v89, v90
	v_mul_f32_e32 v90, v144, v224
	v_fmac_f32_e32 v154, v150, v229
	v_fma_f32 v90, v143, v223, -v90
	v_add_f32_e32 v157, v153, v154
	ds_read_b128 v[153:156], v88 offset:640
	v_add_f32_e32 v89, v89, v90
	v_mul_f32_e32 v90, v146, v226
	v_fma_f32 v90, v145, v225, -v90
	s_waitcnt vmcnt(14)
	v_mul_f32_e32 v158, v151, v232
	v_add_f32_e32 v89, v89, v90
	v_mul_f32_e32 v90, v148, v227
	v_fmac_f32_e32 v158, v152, v231
	v_fma_f32 v90, v147, v228, -v90
	v_add_f32_e32 v161, v157, v158
	ds_read_b128 v[157:160], v88 offset:656
	v_add_f32_e32 v89, v89, v90
	v_mul_f32_e32 v90, v150, v230
	s_waitcnt vmcnt(12) lgkmcnt(1)
	v_mul_f32_e32 v162, v153, v234
	v_fma_f32 v90, v149, v229, -v90
	v_fmac_f32_e32 v162, v154, v233
	v_add_f32_e32 v89, v89, v90
	v_mul_f32_e32 v90, v152, v232
	v_add_f32_e32 v161, v161, v162
	s_waitcnt vmcnt(11)
	v_mul_f32_e32 v162, v155, v235
	v_fma_f32 v90, v151, v231, -v90
	s_waitcnt vmcnt(10)
	v_fmac_f32_e32 v162, v156, v236
	v_add_f32_e32 v89, v89, v90
	v_mul_f32_e32 v90, v154, v234
	v_add_f32_e32 v161, v161, v162
	s_waitcnt vmcnt(8) lgkmcnt(0)
	v_mul_f32_e32 v162, v157, v238
	v_fma_f32 v90, v153, v233, -v90
	v_fmac_f32_e32 v162, v158, v237
	v_add_f32_e32 v89, v89, v90
	v_mul_f32_e32 v90, v156, v235
	v_add_f32_e32 v165, v161, v162
	ds_read_b128 v[161:164], v88 offset:672
	v_fma_f32 v90, v155, v236, -v90
	v_add_f32_e32 v89, v89, v90
	v_mul_f32_e32 v90, v158, v238
	s_waitcnt vmcnt(6)
	v_mul_f32_e32 v166, v159, v240
	v_fma_f32 v90, v157, v237, -v90
	v_fmac_f32_e32 v166, v160, v239
	v_add_f32_e32 v89, v89, v90
	v_mul_f32_e32 v90, v160, v240
	v_add_f32_e32 v247, v165, v166
	ds_read_b64 v[165:166], v88 offset:688
	v_fma_f32 v90, v159, v239, -v90
	v_add_f32_e32 v89, v89, v90
	s_waitcnt vmcnt(4) lgkmcnt(1)
	v_mul_f32_e32 v90, v162, v242
	v_mul_f32_e32 v248, v161, v242
	v_fma_f32 v90, v161, v241, -v90
	v_fmac_f32_e32 v248, v162, v241
	v_add_f32_e32 v89, v89, v90
	s_waitcnt vmcnt(3)
	v_mul_f32_e32 v90, v164, v243
	v_add_f32_e32 v247, v247, v248
	v_mul_f32_e32 v248, v163, v243
	s_waitcnt vmcnt(2)
	v_fma_f32 v90, v163, v244, -v90
	v_fmac_f32_e32 v248, v164, v244
	v_add_f32_e32 v89, v89, v90
	s_waitcnt vmcnt(0) lgkmcnt(0)
	v_mul_f32_e32 v90, v166, v246
	v_add_f32_e32 v247, v247, v248
	v_mul_f32_e32 v248, v165, v246
	v_fma_f32 v90, v165, v245, -v90
	v_fmac_f32_e32 v248, v166, v245
	v_add_f32_e32 v89, v89, v90
	v_add_f32_e32 v247, v247, v248
	v_sub_f32_e32 v89, v191, v89
	v_sub_f32_e32 v90, v192, v247
	buffer_store_dword v89, off, s[0:3], 0 offset:24
	buffer_store_dword v90, off, s[0:3], 0 offset:28
	s_and_saveexec_b64 s[4:5], vcc
	s_cbranch_execz .LBB106_267
; %bb.266:
	buffer_load_dword v89, off, s[0:3], 0 offset:16
	buffer_load_dword v90, off, s[0:3], 0 offset:20
	s_waitcnt vmcnt(0)
	ds_write_b64 v87, v[89:90]
	buffer_store_dword v88, off, s[0:3], 0 offset:16
	buffer_store_dword v88, off, s[0:3], 0 offset:20
.LBB106_267:
	s_or_b64 exec, exec, s[4:5]
	s_waitcnt lgkmcnt(0)
	; wave barrier
	buffer_load_dword v169, off, s[0:3], 0 offset:28
	buffer_load_dword v170, off, s[0:3], 0 offset:36
	;; [unrolled: 1-line block ×28, first 2 shown]
	ds_read2_b64 v[89:92], v88 offset0:47 offset1:48
	ds_read2_b64 v[93:96], v88 offset0:49 offset1:50
	;; [unrolled: 1-line block ×4, first 2 shown]
	buffer_load_dword v197, off, s[0:3], 0 offset:128
	buffer_load_dword v198, off, s[0:3], 0 offset:132
	ds_read2_b64 v[105:108], v88 offset0:55 offset1:56
	ds_read2_b64 v[109:112], v88 offset0:57 offset1:58
	buffer_load_dword v199, off, s[0:3], 0 offset:136
	buffer_load_dword v200, off, s[0:3], 0 offset:140
	;; [unrolled: 1-line block ×28, first 2 shown]
	v_cmp_lt_u32_e32 vcc, 1, v0
	s_waitcnt vmcnt(57) lgkmcnt(5)
	v_mul_f32_e32 v113, v89, v169
	s_waitcnt vmcnt(56)
	v_mul_f32_e32 v114, v91, v170
	s_waitcnt vmcnt(55) lgkmcnt(4)
	v_mul_f32_e32 v115, v93, v171
	s_waitcnt vmcnt(54)
	v_mul_f32_e32 v116, v95, v172
	;; [unrolled: 4-line block ×5, first 2 shown]
	s_waitcnt vmcnt(47) lgkmcnt(0)
	v_mul_f32_e32 v123, v109, v179
	s_waitcnt vmcnt(46)
	v_fmac_f32_e32 v113, v90, v180
	s_waitcnt vmcnt(45)
	v_fmac_f32_e32 v114, v92, v181
	v_add_f32_e32 v113, 0, v113
	s_waitcnt vmcnt(44)
	v_fmac_f32_e32 v115, v94, v182
	v_add_f32_e32 v113, v113, v114
	;; [unrolled: 3-line block ×10, first 2 shown]
	v_add_f32_e32 v117, v113, v123
	ds_read2_b64 v[113:116], v88 offset0:59 offset1:60
	buffer_load_dword v227, off, s[0:3], 0 offset:248
	buffer_load_dword v228, off, s[0:3], 0 offset:252
	s_waitcnt vmcnt(37)
	v_mul_f32_e32 v118, v111, v191
	s_waitcnt vmcnt(36)
	v_fmac_f32_e32 v118, v112, v192
	v_add_f32_e32 v121, v117, v118
	ds_read2_b64 v[117:120], v88 offset0:61 offset1:62
	buffer_load_dword v229, off, s[0:3], 0 offset:260
	buffer_load_dword v230, off, s[0:3], 0 offset:256
	;; [unrolled: 1-line block ×12, first 2 shown]
	s_waitcnt vmcnt(47) lgkmcnt(1)
	v_mul_f32_e32 v122, v113, v193
	s_waitcnt vmcnt(44)
	v_fmac_f32_e32 v122, v114, v196
	buffer_load_dword v241, off, s[0:3], 0 offset:304
	buffer_load_dword v242, off, s[0:3], 0 offset:308
	v_add_f32_e32 v121, v121, v122
	s_waitcnt vmcnt(44)
	v_mul_f32_e32 v122, v115, v198
	v_fmac_f32_e32 v122, v116, v197
	v_add_f32_e32 v121, v121, v122
	s_waitcnt vmcnt(42) lgkmcnt(0)
	v_mul_f32_e32 v122, v117, v200
	buffer_load_dword v243, off, s[0:3], 0 offset:312
	buffer_load_dword v244, off, s[0:3], 0 offset:316
	v_fmac_f32_e32 v122, v118, v199
	v_add_f32_e32 v121, v121, v122
	s_waitcnt vmcnt(42)
	v_mul_f32_e32 v122, v119, v202
	v_fmac_f32_e32 v122, v120, v201
	v_add_f32_e32 v129, v121, v122
	ds_read2_b64 v[121:124], v88 offset0:63 offset1:64
	buffer_load_dword v245, off, s[0:3], 0 offset:324
	buffer_load_dword v246, off, s[0:3], 0 offset:320
	buffer_load_dword v247, off, s[0:3], 0 offset:328
	buffer_load_dword v248, off, s[0:3], 0 offset:332
	ds_read2_b64 v[125:128], v88 offset0:65 offset1:66
	buffer_load_dword v249, off, s[0:3], 0 offset:336
	buffer_load_dword v250, off, s[0:3], 0 offset:340
	v_mul_f32_e32 v90, v90, v169
	v_fma_f32 v89, v89, v180, -v90
	v_mul_f32_e32 v90, v92, v170
	v_add_f32_e32 v89, 0, v89
	v_fma_f32 v90, v91, v181, -v90
	v_add_f32_e32 v89, v89, v90
	v_mul_f32_e32 v90, v94, v171
	v_fma_f32 v90, v93, v182, -v90
	v_add_f32_e32 v89, v89, v90
	v_mul_f32_e32 v90, v96, v172
	;; [unrolled: 3-line block ×7, first 2 shown]
	s_waitcnt vmcnt(46) lgkmcnt(1)
	v_mul_f32_e32 v130, v121, v204
	v_fma_f32 v90, v105, v188, -v90
	v_fmac_f32_e32 v130, v122, v203
	v_add_f32_e32 v89, v89, v90
	v_mul_f32_e32 v90, v108, v178
	v_add_f32_e32 v129, v129, v130
	s_waitcnt vmcnt(44)
	v_mul_f32_e32 v130, v123, v206
	v_fma_f32 v90, v107, v189, -v90
	v_fmac_f32_e32 v130, v124, v205
	v_add_f32_e32 v89, v89, v90
	v_mul_f32_e32 v90, v110, v179
	v_add_f32_e32 v129, v129, v130
	s_waitcnt vmcnt(42) lgkmcnt(0)
	v_mul_f32_e32 v130, v125, v208
	v_fma_f32 v90, v109, v190, -v90
	v_fmac_f32_e32 v130, v126, v207
	v_add_f32_e32 v89, v89, v90
	v_mul_f32_e32 v90, v112, v191
	v_add_f32_e32 v133, v129, v130
	ds_read2_b64 v[129:132], v88 offset0:67 offset1:68
	v_fma_f32 v90, v111, v192, -v90
	v_add_f32_e32 v89, v89, v90
	v_mul_f32_e32 v90, v114, v193
	s_waitcnt vmcnt(40)
	v_mul_f32_e32 v134, v127, v210
	v_fma_f32 v90, v113, v196, -v90
	v_fmac_f32_e32 v134, v128, v209
	v_add_f32_e32 v89, v89, v90
	v_mul_f32_e32 v90, v116, v198
	v_add_f32_e32 v137, v133, v134
	ds_read2_b64 v[133:136], v88 offset0:69 offset1:70
	v_fma_f32 v90, v115, v197, -v90
	s_waitcnt vmcnt(38) lgkmcnt(1)
	v_mul_f32_e32 v138, v129, v212
	v_add_f32_e32 v89, v89, v90
	v_mul_f32_e32 v90, v118, v200
	v_fmac_f32_e32 v138, v130, v211
	v_fma_f32 v90, v117, v199, -v90
	v_add_f32_e32 v137, v137, v138
	s_waitcnt vmcnt(36)
	v_mul_f32_e32 v138, v131, v214
	v_add_f32_e32 v89, v89, v90
	v_mul_f32_e32 v90, v120, v202
	v_fmac_f32_e32 v138, v132, v213
	v_fma_f32 v90, v119, v201, -v90
	v_add_f32_e32 v137, v137, v138
	s_waitcnt vmcnt(34) lgkmcnt(0)
	v_mul_f32_e32 v138, v133, v216
	v_add_f32_e32 v89, v89, v90
	v_mul_f32_e32 v90, v122, v204
	v_fmac_f32_e32 v138, v134, v215
	v_fma_f32 v90, v121, v203, -v90
	v_add_f32_e32 v141, v137, v138
	ds_read2_b64 v[137:140], v88 offset0:71 offset1:72
	v_add_f32_e32 v89, v89, v90
	v_mul_f32_e32 v90, v124, v206
	v_fma_f32 v90, v123, v205, -v90
	s_waitcnt vmcnt(32)
	v_mul_f32_e32 v142, v135, v218
	v_add_f32_e32 v89, v89, v90
	v_mul_f32_e32 v90, v126, v208
	v_fmac_f32_e32 v142, v136, v217
	v_fma_f32 v90, v125, v207, -v90
	v_add_f32_e32 v145, v141, v142
	ds_read2_b64 v[141:144], v88 offset0:73 offset1:74
	v_add_f32_e32 v89, v89, v90
	v_mul_f32_e32 v90, v128, v210
	s_waitcnt vmcnt(30) lgkmcnt(1)
	v_mul_f32_e32 v146, v137, v220
	v_fma_f32 v90, v127, v209, -v90
	v_fmac_f32_e32 v146, v138, v219
	v_add_f32_e32 v89, v89, v90
	v_mul_f32_e32 v90, v130, v212
	v_add_f32_e32 v145, v145, v146
	s_waitcnt vmcnt(29)
	v_mul_f32_e32 v146, v139, v221
	v_fma_f32 v90, v129, v211, -v90
	s_waitcnt vmcnt(28)
	v_fmac_f32_e32 v146, v140, v222
	v_add_f32_e32 v89, v89, v90
	v_mul_f32_e32 v90, v132, v214
	v_add_f32_e32 v145, v145, v146
	s_waitcnt vmcnt(26) lgkmcnt(0)
	v_mul_f32_e32 v146, v141, v224
	v_fma_f32 v90, v131, v213, -v90
	v_fmac_f32_e32 v146, v142, v223
	v_add_f32_e32 v89, v89, v90
	v_mul_f32_e32 v90, v134, v216
	v_add_f32_e32 v149, v145, v146
	ds_read2_b64 v[145:148], v88 offset0:75 offset1:76
	v_fma_f32 v90, v133, v215, -v90
	v_add_f32_e32 v89, v89, v90
	v_mul_f32_e32 v90, v136, v218
	s_waitcnt vmcnt(24)
	v_mul_f32_e32 v150, v143, v226
	v_fma_f32 v90, v135, v217, -v90
	v_fmac_f32_e32 v150, v144, v225
	v_add_f32_e32 v89, v89, v90
	v_mul_f32_e32 v90, v138, v220
	v_add_f32_e32 v153, v149, v150
	ds_read2_b64 v[149:152], v88 offset0:77 offset1:78
	v_fma_f32 v90, v137, v219, -v90
	s_waitcnt vmcnt(22) lgkmcnt(1)
	v_mul_f32_e32 v154, v145, v228
	v_add_f32_e32 v89, v89, v90
	v_mul_f32_e32 v90, v140, v221
	v_fmac_f32_e32 v154, v146, v227
	v_fma_f32 v90, v139, v222, -v90
	v_add_f32_e32 v153, v153, v154
	s_waitcnt vmcnt(21)
	v_mul_f32_e32 v154, v147, v229
	v_add_f32_e32 v89, v89, v90
	v_mul_f32_e32 v90, v142, v224
	s_waitcnt vmcnt(20)
	v_fmac_f32_e32 v154, v148, v230
	v_fma_f32 v90, v141, v223, -v90
	v_add_f32_e32 v153, v153, v154
	s_waitcnt vmcnt(18) lgkmcnt(0)
	v_mul_f32_e32 v154, v149, v232
	v_add_f32_e32 v89, v89, v90
	v_mul_f32_e32 v90, v144, v226
	v_fmac_f32_e32 v154, v150, v231
	v_fma_f32 v90, v143, v225, -v90
	v_add_f32_e32 v157, v153, v154
	ds_read2_b64 v[153:156], v88 offset0:79 offset1:80
	v_add_f32_e32 v89, v89, v90
	v_mul_f32_e32 v90, v146, v228
	v_fma_f32 v90, v145, v227, -v90
	s_waitcnt vmcnt(16)
	v_mul_f32_e32 v158, v151, v234
	v_add_f32_e32 v89, v89, v90
	v_mul_f32_e32 v90, v148, v229
	v_fmac_f32_e32 v158, v152, v233
	v_fma_f32 v90, v147, v230, -v90
	v_add_f32_e32 v161, v157, v158
	ds_read2_b64 v[157:160], v88 offset0:81 offset1:82
	v_add_f32_e32 v89, v89, v90
	v_mul_f32_e32 v90, v150, v232
	s_waitcnt vmcnt(14) lgkmcnt(1)
	v_mul_f32_e32 v162, v153, v236
	v_fma_f32 v90, v149, v231, -v90
	v_fmac_f32_e32 v162, v154, v235
	v_add_f32_e32 v89, v89, v90
	v_mul_f32_e32 v90, v152, v234
	v_add_f32_e32 v161, v161, v162
	s_waitcnt vmcnt(13)
	v_mul_f32_e32 v162, v155, v237
	v_fma_f32 v90, v151, v233, -v90
	s_waitcnt vmcnt(12)
	v_fmac_f32_e32 v162, v156, v238
	v_add_f32_e32 v89, v89, v90
	v_mul_f32_e32 v90, v154, v236
	v_add_f32_e32 v161, v161, v162
	s_waitcnt vmcnt(10) lgkmcnt(0)
	v_mul_f32_e32 v162, v157, v240
	v_fma_f32 v90, v153, v235, -v90
	v_fmac_f32_e32 v162, v158, v239
	v_add_f32_e32 v89, v89, v90
	v_mul_f32_e32 v90, v156, v237
	v_add_f32_e32 v165, v161, v162
	ds_read2_b64 v[161:164], v88 offset0:83 offset1:84
	v_fma_f32 v90, v155, v238, -v90
	v_add_f32_e32 v89, v89, v90
	v_mul_f32_e32 v90, v158, v240
	s_waitcnt vmcnt(8)
	v_mul_f32_e32 v166, v159, v242
	v_fma_f32 v90, v157, v239, -v90
	v_fmac_f32_e32 v166, v160, v241
	v_add_f32_e32 v89, v89, v90
	v_mul_f32_e32 v90, v160, v242
	v_add_f32_e32 v251, v165, v166
	ds_read2_b64 v[165:168], v88 offset0:85 offset1:86
	v_fma_f32 v90, v159, v241, -v90
	v_add_f32_e32 v89, v89, v90
	s_waitcnt vmcnt(6) lgkmcnt(1)
	v_mul_f32_e32 v90, v162, v244
	v_mul_f32_e32 v88, v161, v244
	v_fma_f32 v90, v161, v243, -v90
	v_fmac_f32_e32 v88, v162, v243
	v_add_f32_e32 v89, v89, v90
	s_waitcnt vmcnt(5)
	v_mul_f32_e32 v90, v164, v245
	v_add_f32_e32 v88, v251, v88
	v_mul_f32_e32 v251, v163, v245
	s_waitcnt vmcnt(4)
	v_fma_f32 v90, v163, v246, -v90
	v_fmac_f32_e32 v251, v164, v246
	v_add_f32_e32 v89, v89, v90
	s_waitcnt vmcnt(2) lgkmcnt(0)
	v_mul_f32_e32 v90, v166, v248
	v_add_f32_e32 v88, v88, v251
	v_mul_f32_e32 v251, v165, v248
	v_fma_f32 v90, v165, v247, -v90
	v_fmac_f32_e32 v251, v166, v247
	v_add_f32_e32 v89, v89, v90
	s_waitcnt vmcnt(0)
	v_mul_f32_e32 v90, v168, v250
	v_add_f32_e32 v88, v88, v251
	v_mul_f32_e32 v251, v167, v250
	v_fma_f32 v90, v167, v249, -v90
	v_fmac_f32_e32 v251, v168, v249
	v_add_f32_e32 v89, v89, v90
	v_add_f32_e32 v88, v88, v251
	v_sub_f32_e32 v89, v194, v89
	v_sub_f32_e32 v88, v195, v88
	buffer_store_dword v89, off, s[0:3], 0 offset:16
	buffer_store_dword v88, off, s[0:3], 0 offset:20
	s_and_saveexec_b64 s[4:5], vcc
	s_cbranch_execz .LBB106_269
; %bb.268:
	buffer_load_dword v88, off, s[0:3], 0 offset:8
	buffer_load_dword v89, off, s[0:3], 0 offset:12
	v_mov_b32_e32 v90, 0
	buffer_store_dword v90, off, s[0:3], 0 offset:8
	buffer_store_dword v90, off, s[0:3], 0 offset:12
	s_waitcnt vmcnt(2)
	ds_write_b64 v87, v[88:89]
.LBB106_269:
	s_or_b64 exec, exec, s[4:5]
	s_waitcnt lgkmcnt(0)
	; wave barrier
	buffer_load_dword v97, off, s[0:3], 0 offset:20
	buffer_load_dword v96, off, s[0:3], 0 offset:28
	;; [unrolled: 1-line block ×50, first 2 shown]
	v_mov_b32_e32 v88, 0
	ds_read_b128 v[98:101], v88 offset:368
	ds_read_b128 v[102:105], v88 offset:384
	;; [unrolled: 1-line block ×6, first 2 shown]
	buffer_load_dword v221, off, s[0:3], 0 offset:208
	buffer_load_dword v222, off, s[0:3], 0 offset:212
	;; [unrolled: 1-line block ×6, first 2 shown]
	v_cmp_ne_u32_e32 vcc, 0, v0
	s_waitcnt vmcnt(55) lgkmcnt(5)
	v_mul_f32_e32 v122, v98, v97
	s_waitcnt vmcnt(54)
	v_mul_f32_e32 v123, v100, v96
	s_waitcnt vmcnt(53) lgkmcnt(4)
	v_mul_f32_e32 v124, v102, v95
	s_waitcnt vmcnt(52)
	v_mul_f32_e32 v125, v104, v94
	;; [unrolled: 4-line block ×5, first 2 shown]
	s_waitcnt vmcnt(45) lgkmcnt(0)
	v_mul_f32_e32 v132, v118, v183
	s_waitcnt vmcnt(44)
	v_fmac_f32_e32 v124, v103, v184
	s_waitcnt vmcnt(43)
	v_fmac_f32_e32 v123, v101, v185
	s_waitcnt vmcnt(42)
	v_fmac_f32_e32 v122, v99, v186
	v_add_f32_e32 v122, 0, v122
	v_add_f32_e32 v122, v122, v123
	;; [unrolled: 1-line block ×3, first 2 shown]
	s_waitcnt vmcnt(38)
	v_fmac_f32_e32 v125, v105, v190
	v_fmac_f32_e32 v126, v107, v189
	v_add_f32_e32 v122, v122, v125
	v_fmac_f32_e32 v127, v109, v188
	v_add_f32_e32 v122, v122, v126
	;; [unrolled: 2-line block ×3, first 2 shown]
	s_waitcnt vmcnt(34)
	v_fmac_f32_e32 v129, v113, v194
	v_add_f32_e32 v122, v122, v128
	v_fmac_f32_e32 v130, v115, v193
	v_add_f32_e32 v122, v122, v129
	;; [unrolled: 2-line block ×4, first 2 shown]
	v_add_f32_e32 v126, v122, v132
	ds_read_b128 v[122:125], v88 offset:464
	buffer_load_dword v227, off, s[0:3], 0 offset:232
	buffer_load_dword v228, off, s[0:3], 0 offset:236
	s_waitcnt vmcnt(35)
	v_mul_f32_e32 v127, v120, v195
	s_waitcnt vmcnt(29)
	v_fmac_f32_e32 v127, v121, v201
	v_add_f32_e32 v130, v126, v127
	ds_read_b128 v[126:129], v88 offset:480
	buffer_load_dword v229, off, s[0:3], 0 offset:240
	buffer_load_dword v230, off, s[0:3], 0 offset:244
	;; [unrolled: 1-line block ×14, first 2 shown]
	s_waitcnt vmcnt(42) lgkmcnt(1)
	v_mul_f32_e32 v131, v122, v202
	v_fmac_f32_e32 v131, v123, v200
	buffer_load_dword v243, off, s[0:3], 0 offset:296
	buffer_load_dword v244, off, s[0:3], 0 offset:300
	v_add_f32_e32 v130, v130, v131
	v_mul_f32_e32 v131, v124, v197
	v_fmac_f32_e32 v131, v125, v196
	v_add_f32_e32 v130, v130, v131
	s_waitcnt lgkmcnt(0)
	v_mul_f32_e32 v131, v126, v199
	v_fmac_f32_e32 v131, v127, v198
	v_add_f32_e32 v134, v130, v131
	ds_read_b128 v[130:133], v88 offset:496
	buffer_load_dword v245, off, s[0:3], 0 offset:304
	buffer_load_dword v246, off, s[0:3], 0 offset:308
	;; [unrolled: 1-line block ×6, first 2 shown]
	s_waitcnt vmcnt(46)
	v_mul_f32_e32 v135, v128, v204
	v_fmac_f32_e32 v135, v129, v203
	v_add_f32_e32 v138, v134, v135
	ds_read_b128 v[134:137], v88 offset:512
	buffer_load_dword v251, off, s[0:3], 0 offset:332
	buffer_load_dword v252, off, s[0:3], 0 offset:336
	;; [unrolled: 1-line block ×4, first 2 shown]
	s_waitcnt vmcnt(48) lgkmcnt(1)
	v_mul_f32_e32 v139, v130, v206
	v_fmac_f32_e32 v139, v131, v205
	v_add_f32_e32 v138, v138, v139
	s_waitcnt vmcnt(46)
	v_mul_f32_e32 v139, v132, v208
	v_fmac_f32_e32 v139, v133, v207
	v_add_f32_e32 v138, v138, v139
	s_waitcnt vmcnt(44) lgkmcnt(0)
	v_mul_f32_e32 v139, v134, v210
	v_fmac_f32_e32 v139, v135, v209
	v_add_f32_e32 v142, v138, v139
	ds_read_b128 v[138:141], v88 offset:528
	s_waitcnt vmcnt(42)
	v_mul_f32_e32 v143, v136, v212
	v_fmac_f32_e32 v143, v137, v211
	v_add_f32_e32 v146, v142, v143
	ds_read_b128 v[142:145], v88 offset:544
	s_waitcnt vmcnt(40) lgkmcnt(1)
	v_mul_f32_e32 v147, v138, v214
	v_fmac_f32_e32 v147, v139, v213
	v_add_f32_e32 v146, v146, v147
	s_waitcnt vmcnt(38)
	v_mul_f32_e32 v147, v140, v216
	v_fmac_f32_e32 v147, v141, v215
	v_add_f32_e32 v146, v146, v147
	s_waitcnt vmcnt(36) lgkmcnt(0)
	v_mul_f32_e32 v147, v142, v218
	v_fmac_f32_e32 v147, v143, v217
	v_add_f32_e32 v150, v146, v147
	ds_read_b128 v[146:149], v88 offset:560
	s_waitcnt vmcnt(34)
	v_mul_f32_e32 v151, v144, v220
	v_fmac_f32_e32 v151, v145, v219
	v_add_f32_e32 v154, v150, v151
	ds_read_b128 v[150:153], v88 offset:576
	s_waitcnt vmcnt(32) lgkmcnt(1)
	v_mul_f32_e32 v155, v146, v222
	v_fmac_f32_e32 v155, v147, v221
	v_add_f32_e32 v154, v154, v155
	s_waitcnt vmcnt(31)
	v_mul_f32_e32 v155, v148, v223
	s_waitcnt vmcnt(28)
	v_fmac_f32_e32 v155, v149, v226
	v_add_f32_e32 v154, v154, v155
	s_waitcnt lgkmcnt(0)
	v_mul_f32_e32 v155, v150, v225
	v_fmac_f32_e32 v155, v151, v224
	v_add_f32_e32 v158, v154, v155
	ds_read_b128 v[154:157], v88 offset:592
	v_mul_f32_e32 v96, v101, v96
	v_fma_f32 v96, v100, v185, -v96
	v_mul_f32_e32 v95, v103, v95
	v_fma_f32 v95, v102, v184, -v95
	;; [unrolled: 2-line block ×6, first 2 shown]
	s_waitcnt vmcnt(26)
	v_mul_f32_e32 v159, v152, v228
	v_fmac_f32_e32 v159, v153, v227
	v_add_f32_e32 v162, v158, v159
	ds_read_b128 v[158:161], v88 offset:608
	s_waitcnt vmcnt(24) lgkmcnt(1)
	v_mul_f32_e32 v163, v154, v230
	v_fmac_f32_e32 v163, v155, v229
	v_add_f32_e32 v162, v162, v163
	s_waitcnt vmcnt(23)
	v_mul_f32_e32 v163, v156, v231
	s_waitcnt vmcnt(20)
	v_fmac_f32_e32 v163, v157, v234
	v_add_f32_e32 v162, v162, v163
	s_waitcnt lgkmcnt(0)
	v_mul_f32_e32 v163, v158, v233
	v_fmac_f32_e32 v163, v159, v232
	v_add_f32_e32 v166, v162, v163
	ds_read_b128 v[162:165], v88 offset:624
	s_waitcnt vmcnt(18)
	v_mul_f32_e32 v167, v160, v236
	v_fmac_f32_e32 v167, v161, v235
	v_add_f32_e32 v170, v166, v167
	ds_read_b128 v[166:169], v88 offset:640
	s_waitcnt vmcnt(16) lgkmcnt(1)
	v_mul_f32_e32 v171, v162, v238
	v_fmac_f32_e32 v171, v163, v237
	v_add_f32_e32 v170, v170, v171
	s_waitcnt vmcnt(15)
	v_mul_f32_e32 v171, v164, v239
	s_waitcnt vmcnt(12)
	v_fmac_f32_e32 v171, v165, v242
	v_add_f32_e32 v170, v170, v171
	s_waitcnt lgkmcnt(0)
	v_mul_f32_e32 v171, v166, v241
	v_fmac_f32_e32 v171, v167, v240
	v_add_f32_e32 v174, v170, v171
	ds_read_b128 v[170:173], v88 offset:656
	s_waitcnt vmcnt(10)
	v_mul_f32_e32 v175, v168, v244
	v_fmac_f32_e32 v175, v169, v243
	v_add_f32_e32 v178, v174, v175
	ds_read_b128 v[174:177], v88 offset:672
	s_waitcnt vmcnt(8) lgkmcnt(1)
	v_mul_f32_e32 v179, v170, v246
	v_fmac_f32_e32 v179, v171, v245
	v_add_f32_e32 v178, v178, v179
	s_waitcnt vmcnt(7)
	v_mul_f32_e32 v179, v172, v247
	s_waitcnt vmcnt(4)
	v_fmac_f32_e32 v179, v173, v250
	v_add_f32_e32 v255, v178, v179
	ds_read_b64 v[178:179], v88 offset:688
	s_waitcnt lgkmcnt(1)
	v_mul_f32_e32 v3, v174, v249
	v_fmac_f32_e32 v3, v175, v248
	s_waitcnt vmcnt(3)
	v_mul_f32_e32 v4, v176, v251
	v_add_f32_e32 v3, v255, v3
	s_waitcnt vmcnt(0)
	v_fmac_f32_e32 v4, v177, v254
	v_add_f32_e32 v3, v3, v4
	s_waitcnt lgkmcnt(0)
	v_mul_f32_e32 v4, v178, v253
	v_fmac_f32_e32 v4, v179, v252
	v_add_f32_e32 v3, v3, v4
	v_mul_f32_e32 v4, v99, v97
	v_fma_f32 v4, v98, v186, -v4
	v_add_f32_e32 v4, 0, v4
	v_add_f32_e32 v4, v4, v96
	;; [unrolled: 1-line block ×7, first 2 shown]
	v_mul_f32_e32 v91, v113, v180
	v_fma_f32 v91, v112, v194, -v91
	v_add_f32_e32 v4, v4, v91
	v_mul_f32_e32 v91, v115, v181
	v_fma_f32 v91, v114, v193, -v91
	v_add_f32_e32 v4, v4, v91
	;; [unrolled: 3-line block ×34, first 2 shown]
	v_sub_f32_e32 v4, v89, v4
	v_sub_f32_e32 v3, v90, v3
	buffer_store_dword v4, off, s[0:3], 0 offset:8
	buffer_store_dword v3, off, s[0:3], 0 offset:12
	s_and_saveexec_b64 s[4:5], vcc
	s_cbranch_execz .LBB106_271
; %bb.270:
	buffer_load_dword v89, off, s[0:3], 0
	buffer_load_dword v90, off, s[0:3], 0 offset:4
	s_waitcnt vmcnt(0)
	ds_write_b64 v87, v[89:90]
	buffer_store_dword v88, off, s[0:3], 0
	buffer_store_dword v88, off, s[0:3], 0 offset:4
.LBB106_271:
	s_or_b64 exec, exec, s[4:5]
	s_waitcnt lgkmcnt(0)
	; wave barrier
	buffer_load_dword v0, off, s[0:3], 0 offset:12
	buffer_load_dword v3, off, s[0:3], 0 offset:20
	;; [unrolled: 1-line block ×30, first 2 shown]
	buffer_load_dword v199, off, s[0:3], 0
	buffer_load_dword v200, off, s[0:3], 0 offset:4
	ds_read2_b64 v[89:92], v88 offset0:45 offset1:46
	ds_read2_b64 v[93:96], v88 offset0:47 offset1:48
	;; [unrolled: 1-line block ×6, first 2 shown]
	buffer_load_dword v201, off, s[0:3], 0 offset:128
	buffer_load_dword v202, off, s[0:3], 0 offset:132
	;; [unrolled: 1-line block ×18, first 2 shown]
	s_and_b64 vcc, exec, s[14:15]
	s_waitcnt vmcnt(49) lgkmcnt(5)
	v_mul_f32_e32 v113, v89, v0
	s_waitcnt vmcnt(48)
	v_mul_f32_e32 v114, v91, v3
	s_waitcnt vmcnt(47) lgkmcnt(4)
	v_mul_f32_e32 v115, v93, v4
	s_waitcnt vmcnt(46)
	v_mul_f32_e32 v116, v95, v87
	;; [unrolled: 4-line block ×6, first 2 shown]
	s_waitcnt vmcnt(37)
	v_fmac_f32_e32 v115, v94, v181
	s_waitcnt vmcnt(36)
	v_fmac_f32_e32 v114, v92, v182
	;; [unrolled: 2-line block ×3, first 2 shown]
	v_add_f32_e32 v113, 0, v113
	v_add_f32_e32 v113, v113, v114
	;; [unrolled: 1-line block ×3, first 2 shown]
	s_waitcnt vmcnt(31)
	v_fmac_f32_e32 v116, v96, v187
	v_fmac_f32_e32 v117, v98, v186
	v_add_f32_e32 v113, v113, v116
	v_fmac_f32_e32 v118, v100, v185
	v_add_f32_e32 v113, v113, v117
	;; [unrolled: 2-line block ×3, first 2 shown]
	s_waitcnt vmcnt(27)
	v_fmac_f32_e32 v120, v104, v191
	v_add_f32_e32 v113, v113, v119
	v_fmac_f32_e32 v121, v106, v190
	v_add_f32_e32 v113, v113, v120
	;; [unrolled: 2-line block ×3, first 2 shown]
	v_add_f32_e32 v117, v113, v122
	ds_read2_b64 v[113:116], v88 offset0:57 offset1:58
	buffer_load_dword v219, off, s[0:3], 0 offset:200
	buffer_load_dword v220, off, s[0:3], 0 offset:204
	;; [unrolled: 1-line block ×6, first 2 shown]
	v_fmac_f32_e32 v123, v110, v188
	s_waitcnt vmcnt(27)
	v_fmac_f32_e32 v124, v112, v197
	v_add_f32_e32 v117, v117, v123
	v_add_f32_e32 v121, v117, v124
	ds_read2_b64 v[117:120], v88 offset0:59 offset1:60
	buffer_load_dword v225, off, s[0:3], 0 offset:224
	buffer_load_dword v226, off, s[0:3], 0 offset:228
	;; [unrolled: 1-line block ×10, first 2 shown]
	s_waitcnt vmcnt(36) lgkmcnt(1)
	v_mul_f32_e32 v122, v113, v198
	buffer_load_dword v235, off, s[0:3], 0 offset:264
	buffer_load_dword v236, off, s[0:3], 0 offset:268
	buffer_load_dword v237, off, s[0:3], 0 offset:276
	buffer_load_dword v238, off, s[0:3], 0 offset:280
	buffer_load_dword v239, off, s[0:3], 0 offset:284
	buffer_load_dword v240, off, s[0:3], 0 offset:272
	v_fmac_f32_e32 v122, v114, v196
	v_add_f32_e32 v121, v121, v122
	v_mul_f32_e32 v122, v115, v193
	v_fmac_f32_e32 v122, v116, v192
	v_add_f32_e32 v121, v121, v122
	s_waitcnt lgkmcnt(0)
	v_mul_f32_e32 v122, v117, v195
	v_fmac_f32_e32 v122, v118, v194
	v_add_f32_e32 v125, v121, v122
	ds_read2_b64 v[121:124], v88 offset0:61 offset1:62
	buffer_load_dword v241, off, s[0:3], 0 offset:288
	buffer_load_dword v242, off, s[0:3], 0 offset:292
	s_waitcnt vmcnt(40)
	v_mul_f32_e32 v126, v119, v202
	v_fmac_f32_e32 v126, v120, v201
	v_add_f32_e32 v129, v125, v126
	ds_read2_b64 v[125:128], v88 offset0:63 offset1:64
	buffer_load_dword v243, off, s[0:3], 0 offset:296
	buffer_load_dword v244, off, s[0:3], 0 offset:300
	;; [unrolled: 1-line block ×12, first 2 shown]
	v_mul_f32_e32 v0, v90, v0
	v_fma_f32 v0, v89, v183, -v0
	v_mul_f32_e32 v3, v92, v3
	v_add_f32_e32 v0, 0, v0
	v_fma_f32 v3, v91, v182, -v3
	v_add_f32_e32 v0, v0, v3
	v_mul_f32_e32 v3, v94, v4
	v_fma_f32 v3, v93, v181, -v3
	v_add_f32_e32 v0, v0, v3
	v_mul_f32_e32 v3, v96, v87
	;; [unrolled: 3-line block ×6, first 2 shown]
	v_fma_f32 v3, v103, v191, -v3
	s_waitcnt vmcnt(50) lgkmcnt(1)
	v_mul_f32_e32 v130, v121, v204
	v_add_f32_e32 v0, v0, v3
	v_mul_f32_e32 v3, v106, v177
	v_fmac_f32_e32 v130, v122, v203
	v_fma_f32 v3, v105, v190, -v3
	v_add_f32_e32 v129, v129, v130
	s_waitcnt vmcnt(48)
	v_mul_f32_e32 v130, v123, v206
	v_add_f32_e32 v0, v0, v3
	v_mul_f32_e32 v3, v108, v178
	v_fmac_f32_e32 v130, v124, v205
	v_fma_f32 v3, v107, v189, -v3
	v_add_f32_e32 v129, v129, v130
	s_waitcnt vmcnt(46) lgkmcnt(0)
	v_mul_f32_e32 v130, v125, v208
	v_add_f32_e32 v0, v0, v3
	v_mul_f32_e32 v3, v110, v179
	v_fmac_f32_e32 v130, v126, v207
	v_fma_f32 v3, v109, v188, -v3
	v_add_f32_e32 v133, v129, v130
	ds_read2_b64 v[129:132], v88 offset0:65 offset1:66
	v_add_f32_e32 v0, v0, v3
	v_mul_f32_e32 v3, v112, v180
	v_fma_f32 v3, v111, v197, -v3
	s_waitcnt vmcnt(44)
	v_mul_f32_e32 v134, v127, v210
	v_add_f32_e32 v0, v0, v3
	v_mul_f32_e32 v3, v114, v198
	v_fmac_f32_e32 v134, v128, v209
	v_fma_f32 v3, v113, v196, -v3
	v_add_f32_e32 v137, v133, v134
	ds_read2_b64 v[133:136], v88 offset0:67 offset1:68
	v_add_f32_e32 v0, v0, v3
	v_mul_f32_e32 v3, v116, v193
	s_waitcnt vmcnt(42) lgkmcnt(1)
	v_mul_f32_e32 v138, v129, v212
	v_fma_f32 v3, v115, v192, -v3
	v_fmac_f32_e32 v138, v130, v211
	v_add_f32_e32 v0, v0, v3
	v_mul_f32_e32 v3, v118, v195
	v_add_f32_e32 v137, v137, v138
	s_waitcnt vmcnt(40)
	v_mul_f32_e32 v138, v131, v214
	v_fma_f32 v3, v117, v194, -v3
	v_fmac_f32_e32 v138, v132, v213
	v_add_f32_e32 v0, v0, v3
	v_mul_f32_e32 v3, v120, v202
	v_add_f32_e32 v137, v137, v138
	s_waitcnt vmcnt(38) lgkmcnt(0)
	v_mul_f32_e32 v138, v133, v216
	v_fma_f32 v3, v119, v201, -v3
	v_fmac_f32_e32 v138, v134, v215
	v_add_f32_e32 v0, v0, v3
	v_mul_f32_e32 v3, v122, v204
	v_add_f32_e32 v141, v137, v138
	ds_read2_b64 v[137:140], v88 offset0:69 offset1:70
	v_fma_f32 v3, v121, v203, -v3
	v_add_f32_e32 v0, v0, v3
	v_mul_f32_e32 v3, v124, v206
	s_waitcnt vmcnt(36)
	v_mul_f32_e32 v142, v135, v218
	v_fma_f32 v3, v123, v205, -v3
	v_fmac_f32_e32 v142, v136, v217
	v_add_f32_e32 v0, v0, v3
	v_mul_f32_e32 v3, v126, v208
	v_add_f32_e32 v145, v141, v142
	ds_read2_b64 v[141:144], v88 offset0:71 offset1:72
	v_fma_f32 v3, v125, v207, -v3
	s_waitcnt vmcnt(34) lgkmcnt(1)
	v_mul_f32_e32 v146, v137, v220
	v_add_f32_e32 v0, v0, v3
	v_mul_f32_e32 v3, v128, v210
	v_fmac_f32_e32 v146, v138, v219
	v_fma_f32 v3, v127, v209, -v3
	v_add_f32_e32 v145, v145, v146
	s_waitcnt vmcnt(33)
	v_mul_f32_e32 v146, v139, v221
	v_add_f32_e32 v0, v0, v3
	v_mul_f32_e32 v3, v130, v212
	s_waitcnt vmcnt(30)
	v_fmac_f32_e32 v146, v140, v224
	v_fma_f32 v3, v129, v211, -v3
	v_add_f32_e32 v145, v145, v146
	s_waitcnt lgkmcnt(0)
	v_mul_f32_e32 v146, v141, v223
	v_add_f32_e32 v0, v0, v3
	v_mul_f32_e32 v3, v132, v214
	v_fmac_f32_e32 v146, v142, v222
	v_fma_f32 v3, v131, v213, -v3
	v_add_f32_e32 v149, v145, v146
	ds_read2_b64 v[145:148], v88 offset0:73 offset1:74
	v_add_f32_e32 v0, v0, v3
	v_mul_f32_e32 v3, v134, v216
	v_fma_f32 v3, v133, v215, -v3
	s_waitcnt vmcnt(28)
	v_mul_f32_e32 v150, v143, v226
	v_add_f32_e32 v0, v0, v3
	v_mul_f32_e32 v3, v136, v218
	v_fmac_f32_e32 v150, v144, v225
	v_fma_f32 v3, v135, v217, -v3
	v_add_f32_e32 v153, v149, v150
	ds_read2_b64 v[149:152], v88 offset0:75 offset1:76
	v_add_f32_e32 v0, v0, v3
	v_mul_f32_e32 v3, v138, v220
	s_waitcnt vmcnt(26) lgkmcnt(1)
	v_mul_f32_e32 v154, v145, v228
	v_fma_f32 v3, v137, v219, -v3
	v_fmac_f32_e32 v154, v146, v227
	v_add_f32_e32 v0, v0, v3
	v_mul_f32_e32 v3, v140, v221
	v_add_f32_e32 v153, v153, v154
	s_waitcnt vmcnt(25)
	v_mul_f32_e32 v154, v147, v229
	v_fma_f32 v3, v139, v224, -v3
	s_waitcnt vmcnt(22)
	v_fmac_f32_e32 v154, v148, v232
	v_add_f32_e32 v0, v0, v3
	v_mul_f32_e32 v3, v142, v223
	v_add_f32_e32 v153, v153, v154
	s_waitcnt lgkmcnt(0)
	v_mul_f32_e32 v154, v149, v231
	v_fma_f32 v3, v141, v222, -v3
	v_fmac_f32_e32 v154, v150, v230
	v_add_f32_e32 v0, v0, v3
	v_mul_f32_e32 v3, v144, v226
	v_add_f32_e32 v157, v153, v154
	ds_read2_b64 v[153:156], v88 offset0:77 offset1:78
	v_fma_f32 v3, v143, v225, -v3
	v_add_f32_e32 v0, v0, v3
	v_mul_f32_e32 v3, v146, v228
	s_waitcnt vmcnt(20)
	v_mul_f32_e32 v158, v151, v234
	v_fma_f32 v3, v145, v227, -v3
	v_fmac_f32_e32 v158, v152, v233
	v_add_f32_e32 v0, v0, v3
	v_mul_f32_e32 v3, v148, v229
	v_add_f32_e32 v161, v157, v158
	ds_read2_b64 v[157:160], v88 offset0:79 offset1:80
	v_fma_f32 v3, v147, v232, -v3
	s_waitcnt vmcnt(18) lgkmcnt(1)
	v_mul_f32_e32 v162, v153, v236
	v_add_f32_e32 v0, v0, v3
	v_mul_f32_e32 v3, v150, v231
	v_fmac_f32_e32 v162, v154, v235
	v_fma_f32 v3, v149, v230, -v3
	v_add_f32_e32 v161, v161, v162
	s_waitcnt vmcnt(17)
	v_mul_f32_e32 v162, v155, v237
	v_add_f32_e32 v0, v0, v3
	v_mul_f32_e32 v3, v152, v234
	s_waitcnt vmcnt(14)
	v_fmac_f32_e32 v162, v156, v240
	v_fma_f32 v3, v151, v233, -v3
	v_add_f32_e32 v161, v161, v162
	s_waitcnt lgkmcnt(0)
	v_mul_f32_e32 v162, v157, v239
	v_add_f32_e32 v0, v0, v3
	v_mul_f32_e32 v3, v154, v236
	v_fmac_f32_e32 v162, v158, v238
	v_fma_f32 v3, v153, v235, -v3
	v_add_f32_e32 v165, v161, v162
	ds_read2_b64 v[161:164], v88 offset0:81 offset1:82
	v_add_f32_e32 v0, v0, v3
	v_mul_f32_e32 v3, v156, v237
	v_fma_f32 v3, v155, v240, -v3
	v_add_f32_e32 v0, v0, v3
	v_mul_f32_e32 v3, v158, v239
	s_waitcnt vmcnt(12)
	v_mul_f32_e32 v166, v159, v242
	v_fma_f32 v3, v157, v238, -v3
	v_fmac_f32_e32 v166, v160, v241
	v_add_f32_e32 v0, v0, v3
	v_mul_f32_e32 v3, v160, v242
	v_add_f32_e32 v169, v165, v166
	ds_read2_b64 v[165:168], v88 offset0:83 offset1:84
	s_waitcnt vmcnt(10) lgkmcnt(1)
	v_mul_f32_e32 v170, v161, v244
	v_fma_f32 v3, v159, v241, -v3
	v_fmac_f32_e32 v170, v162, v243
	v_add_f32_e32 v0, v0, v3
	v_mul_f32_e32 v3, v162, v244
	v_add_f32_e32 v169, v169, v170
	s_waitcnt vmcnt(9)
	v_mul_f32_e32 v170, v163, v245
	v_fma_f32 v3, v161, v243, -v3
	s_waitcnt vmcnt(6)
	v_fmac_f32_e32 v170, v164, v248
	v_add_f32_e32 v0, v0, v3
	v_mul_f32_e32 v3, v164, v245
	v_add_f32_e32 v255, v169, v170
	ds_read2_b64 v[169:172], v88 offset0:85 offset1:86
	v_fma_f32 v3, v163, v248, -v3
	v_add_f32_e32 v0, v0, v3
	s_waitcnt lgkmcnt(1)
	v_mul_f32_e32 v3, v166, v247
	v_fma_f32 v3, v165, v246, -v3
	v_mul_f32_e32 v5, v165, v247
	v_add_f32_e32 v0, v0, v3
	s_waitcnt vmcnt(4)
	v_mul_f32_e32 v3, v168, v250
	v_fmac_f32_e32 v5, v166, v246
	v_mul_f32_e32 v6, v167, v250
	v_fma_f32 v3, v167, v249, -v3
	v_add_f32_e32 v5, v255, v5
	v_fmac_f32_e32 v6, v168, v249
	v_add_f32_e32 v0, v0, v3
	s_waitcnt vmcnt(3) lgkmcnt(0)
	v_mul_f32_e32 v3, v170, v251
	v_add_f32_e32 v5, v5, v6
	v_mul_f32_e32 v6, v169, v251
	s_waitcnt vmcnt(0)
	v_fma_f32 v3, v169, v254, -v3
	v_fmac_f32_e32 v6, v170, v254
	v_add_f32_e32 v0, v0, v3
	v_mul_f32_e32 v3, v172, v253
	v_add_f32_e32 v5, v5, v6
	v_mul_f32_e32 v6, v171, v253
	v_fma_f32 v3, v171, v252, -v3
	v_fmac_f32_e32 v6, v172, v252
	v_add_f32_e32 v0, v0, v3
	v_add_f32_e32 v5, v5, v6
	v_sub_f32_e32 v0, v199, v0
	v_sub_f32_e32 v3, v200, v5
	buffer_store_dword v0, off, s[0:3], 0
	buffer_store_dword v3, off, s[0:3], 0 offset:4
	s_cbranch_vccz .LBB106_356
; %bb.272:
	v_mov_b32_e32 v0, 0
	global_load_dword v87, v0, s[12:13] offset:164
	s_waitcnt vmcnt(0)
	v_add_u32_e32 v87, -1, v87
	v_cmp_ne_u32_e32 vcc, 41, v87
	s_cbranch_vccz .LBB106_274
; %bb.273:
	v_lshlrev_b32_e32 v3, 3, v87
	buffer_load_dword v4, v3, s[0:3], 0 offen
	buffer_load_dword v5, v3, s[0:3], 0 offen offset:4
	buffer_load_dword v6, off, s[0:3], 0 offset:328
	buffer_load_dword v87, off, s[0:3], 0 offset:332
	s_waitcnt vmcnt(3)
	buffer_store_dword v4, off, s[0:3], 0 offset:328
	s_waitcnt vmcnt(3)
	buffer_store_dword v5, off, s[0:3], 0 offset:332
	s_waitcnt vmcnt(3)
	buffer_store_dword v6, v3, s[0:3], 0 offen
	s_waitcnt vmcnt(3)
	buffer_store_dword v87, v3, s[0:3], 0 offen offset:4
.LBB106_274:
	global_load_dword v0, v0, s[12:13] offset:160
	s_waitcnt vmcnt(0)
	v_add_u32_e32 v0, -1, v0
	v_cmp_eq_u32_e32 vcc, 40, v0
	s_cbranch_vccnz .LBB106_276
; %bb.275:
	v_lshlrev_b32_e32 v0, 3, v0
	buffer_load_dword v3, v0, s[0:3], 0 offen
	buffer_load_dword v4, v0, s[0:3], 0 offen offset:4
	buffer_load_dword v5, off, s[0:3], 0 offset:324
	buffer_load_dword v6, off, s[0:3], 0 offset:320
	s_waitcnt vmcnt(3)
	buffer_store_dword v3, off, s[0:3], 0 offset:320
	s_waitcnt vmcnt(3)
	buffer_store_dword v4, off, s[0:3], 0 offset:324
	s_waitcnt vmcnt(3)
	buffer_store_dword v5, v0, s[0:3], 0 offen offset:4
	s_waitcnt vmcnt(3)
	buffer_store_dword v6, v0, s[0:3], 0 offen
.LBB106_276:
	v_mov_b32_e32 v0, 0
	global_load_dword v3, v0, s[12:13] offset:156
	s_waitcnt vmcnt(0)
	v_add_u32_e32 v87, -1, v3
	v_cmp_eq_u32_e32 vcc, 39, v87
	s_cbranch_vccnz .LBB106_278
; %bb.277:
	v_lshlrev_b32_e32 v3, 3, v87
	buffer_load_dword v4, v3, s[0:3], 0 offen
	buffer_load_dword v5, v3, s[0:3], 0 offen offset:4
	buffer_load_dword v6, off, s[0:3], 0 offset:312
	buffer_load_dword v87, off, s[0:3], 0 offset:316
	s_waitcnt vmcnt(3)
	buffer_store_dword v4, off, s[0:3], 0 offset:312
	s_waitcnt vmcnt(3)
	buffer_store_dword v5, off, s[0:3], 0 offset:316
	s_waitcnt vmcnt(3)
	buffer_store_dword v6, v3, s[0:3], 0 offen
	s_waitcnt vmcnt(3)
	buffer_store_dword v87, v3, s[0:3], 0 offen offset:4
.LBB106_278:
	global_load_dword v0, v0, s[12:13] offset:152
	s_waitcnt vmcnt(0)
	v_add_u32_e32 v0, -1, v0
	v_cmp_eq_u32_e32 vcc, 38, v0
	s_cbranch_vccnz .LBB106_280
; %bb.279:
	v_lshlrev_b32_e32 v0, 3, v0
	buffer_load_dword v3, v0, s[0:3], 0 offen
	buffer_load_dword v4, v0, s[0:3], 0 offen offset:4
	buffer_load_dword v5, off, s[0:3], 0 offset:308
	buffer_load_dword v6, off, s[0:3], 0 offset:304
	s_waitcnt vmcnt(3)
	buffer_store_dword v3, off, s[0:3], 0 offset:304
	s_waitcnt vmcnt(3)
	buffer_store_dword v4, off, s[0:3], 0 offset:308
	s_waitcnt vmcnt(3)
	buffer_store_dword v5, v0, s[0:3], 0 offen offset:4
	s_waitcnt vmcnt(3)
	buffer_store_dword v6, v0, s[0:3], 0 offen
.LBB106_280:
	v_mov_b32_e32 v0, 0
	global_load_dword v3, v0, s[12:13] offset:148
	s_waitcnt vmcnt(0)
	v_add_u32_e32 v87, -1, v3
	v_cmp_eq_u32_e32 vcc, 37, v87
	s_cbranch_vccnz .LBB106_282
; %bb.281:
	v_lshlrev_b32_e32 v3, 3, v87
	buffer_load_dword v4, v3, s[0:3], 0 offen
	buffer_load_dword v5, v3, s[0:3], 0 offen offset:4
	buffer_load_dword v6, off, s[0:3], 0 offset:296
	buffer_load_dword v87, off, s[0:3], 0 offset:300
	s_waitcnt vmcnt(3)
	buffer_store_dword v4, off, s[0:3], 0 offset:296
	s_waitcnt vmcnt(3)
	buffer_store_dword v5, off, s[0:3], 0 offset:300
	s_waitcnt vmcnt(3)
	buffer_store_dword v6, v3, s[0:3], 0 offen
	s_waitcnt vmcnt(3)
	buffer_store_dword v87, v3, s[0:3], 0 offen offset:4
.LBB106_282:
	;; [unrolled: 41-line block ×20, first 2 shown]
	global_load_dword v0, v0, s[12:13]
	s_waitcnt vmcnt(0)
	v_add_u32_e32 v0, -1, v0
	v_cmp_eq_u32_e32 vcc, 0, v0
	s_cbranch_vccnz .LBB106_356
; %bb.355:
	v_lshlrev_b32_e32 v0, 3, v0
	buffer_load_dword v3, v0, s[0:3], 0 offen
	buffer_load_dword v4, v0, s[0:3], 0 offen offset:4
	buffer_load_dword v5, off, s[0:3], 0 offset:4
	buffer_load_dword v6, off, s[0:3], 0
	s_waitcnt vmcnt(3)
	buffer_store_dword v3, off, s[0:3], 0
	s_waitcnt vmcnt(3)
	buffer_store_dword v4, off, s[0:3], 0 offset:4
	s_waitcnt vmcnt(3)
	buffer_store_dword v5, v0, s[0:3], 0 offen offset:4
	s_waitcnt vmcnt(3)
	buffer_store_dword v6, v0, s[0:3], 0 offen
.LBB106_356:
	buffer_load_dword v87, off, s[0:3], 0
	buffer_load_dword v88, off, s[0:3], 0 offset:4
	s_waitcnt vmcnt(0)
	flat_store_dwordx2 v[1:2], v[87:88]
	buffer_load_dword v0, off, s[0:3], 0 offset:8
	s_nop 0
	buffer_load_dword v1, off, s[0:3], 0 offset:12
	buffer_load_dword v2, off, s[0:3], 0 offset:344 ; 4-byte Folded Reload
	buffer_load_dword v3, off, s[0:3], 0 offset:348 ; 4-byte Folded Reload
	s_waitcnt vmcnt(0)
	flat_store_dwordx2 v[2:3], v[0:1]
	buffer_load_dword v0, off, s[0:3], 0 offset:16
	s_nop 0
	buffer_load_dword v1, off, s[0:3], 0 offset:20
	buffer_load_dword v2, off, s[0:3], 0 offset:352 ; 4-byte Folded Reload
	buffer_load_dword v3, off, s[0:3], 0 offset:356 ; 4-byte Folded Reload
	s_waitcnt vmcnt(0)
	flat_store_dwordx2 v[2:3], v[0:1]
	buffer_load_dword v0, off, s[0:3], 0 offset:24
	s_nop 0
	buffer_load_dword v1, off, s[0:3], 0 offset:28
	s_waitcnt vmcnt(0)
	flat_store_dwordx2 v[7:8], v[0:1]
	buffer_load_dword v0, off, s[0:3], 0 offset:32
	s_nop 0
	buffer_load_dword v1, off, s[0:3], 0 offset:36
	;; [unrolled: 5-line block ×40, first 2 shown]
	s_waitcnt vmcnt(0)
	flat_store_dwordx2 v[85:86], v[0:1]
	s_endpgm
	.section	.rodata,"a",@progbits
	.p2align	6, 0x0
	.amdhsa_kernel _ZN9rocsolver6v33100L18getri_kernel_smallILi43E19rocblas_complex_numIfEPKPS3_EEvT1_iilPiilS8_bb
		.amdhsa_group_segment_fixed_size 696
		.amdhsa_private_segment_fixed_size 368
		.amdhsa_kernarg_size 60
		.amdhsa_user_sgpr_count 6
		.amdhsa_user_sgpr_private_segment_buffer 1
		.amdhsa_user_sgpr_dispatch_ptr 0
		.amdhsa_user_sgpr_queue_ptr 0
		.amdhsa_user_sgpr_kernarg_segment_ptr 1
		.amdhsa_user_sgpr_dispatch_id 0
		.amdhsa_user_sgpr_flat_scratch_init 0
		.amdhsa_user_sgpr_private_segment_size 0
		.amdhsa_uses_dynamic_stack 0
		.amdhsa_system_sgpr_private_segment_wavefront_offset 1
		.amdhsa_system_sgpr_workgroup_id_x 1
		.amdhsa_system_sgpr_workgroup_id_y 0
		.amdhsa_system_sgpr_workgroup_id_z 0
		.amdhsa_system_sgpr_workgroup_info 0
		.amdhsa_system_vgpr_workitem_id 0
		.amdhsa_next_free_vgpr 256
		.amdhsa_next_free_sgpr 21
		.amdhsa_reserve_vcc 1
		.amdhsa_reserve_flat_scratch 0
		.amdhsa_float_round_mode_32 0
		.amdhsa_float_round_mode_16_64 0
		.amdhsa_float_denorm_mode_32 3
		.amdhsa_float_denorm_mode_16_64 3
		.amdhsa_dx10_clamp 1
		.amdhsa_ieee_mode 1
		.amdhsa_fp16_overflow 0
		.amdhsa_exception_fp_ieee_invalid_op 0
		.amdhsa_exception_fp_denorm_src 0
		.amdhsa_exception_fp_ieee_div_zero 0
		.amdhsa_exception_fp_ieee_overflow 0
		.amdhsa_exception_fp_ieee_underflow 0
		.amdhsa_exception_fp_ieee_inexact 0
		.amdhsa_exception_int_div_zero 0
	.end_amdhsa_kernel
	.section	.text._ZN9rocsolver6v33100L18getri_kernel_smallILi43E19rocblas_complex_numIfEPKPS3_EEvT1_iilPiilS8_bb,"axG",@progbits,_ZN9rocsolver6v33100L18getri_kernel_smallILi43E19rocblas_complex_numIfEPKPS3_EEvT1_iilPiilS8_bb,comdat
.Lfunc_end106:
	.size	_ZN9rocsolver6v33100L18getri_kernel_smallILi43E19rocblas_complex_numIfEPKPS3_EEvT1_iilPiilS8_bb, .Lfunc_end106-_ZN9rocsolver6v33100L18getri_kernel_smallILi43E19rocblas_complex_numIfEPKPS3_EEvT1_iilPiilS8_bb
                                        ; -- End function
	.set _ZN9rocsolver6v33100L18getri_kernel_smallILi43E19rocblas_complex_numIfEPKPS3_EEvT1_iilPiilS8_bb.num_vgpr, 256
	.set _ZN9rocsolver6v33100L18getri_kernel_smallILi43E19rocblas_complex_numIfEPKPS3_EEvT1_iilPiilS8_bb.num_agpr, 0
	.set _ZN9rocsolver6v33100L18getri_kernel_smallILi43E19rocblas_complex_numIfEPKPS3_EEvT1_iilPiilS8_bb.numbered_sgpr, 21
	.set _ZN9rocsolver6v33100L18getri_kernel_smallILi43E19rocblas_complex_numIfEPKPS3_EEvT1_iilPiilS8_bb.num_named_barrier, 0
	.set _ZN9rocsolver6v33100L18getri_kernel_smallILi43E19rocblas_complex_numIfEPKPS3_EEvT1_iilPiilS8_bb.private_seg_size, 368
	.set _ZN9rocsolver6v33100L18getri_kernel_smallILi43E19rocblas_complex_numIfEPKPS3_EEvT1_iilPiilS8_bb.uses_vcc, 1
	.set _ZN9rocsolver6v33100L18getri_kernel_smallILi43E19rocblas_complex_numIfEPKPS3_EEvT1_iilPiilS8_bb.uses_flat_scratch, 0
	.set _ZN9rocsolver6v33100L18getri_kernel_smallILi43E19rocblas_complex_numIfEPKPS3_EEvT1_iilPiilS8_bb.has_dyn_sized_stack, 0
	.set _ZN9rocsolver6v33100L18getri_kernel_smallILi43E19rocblas_complex_numIfEPKPS3_EEvT1_iilPiilS8_bb.has_recursion, 0
	.set _ZN9rocsolver6v33100L18getri_kernel_smallILi43E19rocblas_complex_numIfEPKPS3_EEvT1_iilPiilS8_bb.has_indirect_call, 0
	.section	.AMDGPU.csdata,"",@progbits
; Kernel info:
; codeLenInByte = 72396
; TotalNumSgprs: 25
; NumVgprs: 256
; ScratchSize: 368
; MemoryBound: 0
; FloatMode: 240
; IeeeMode: 1
; LDSByteSize: 696 bytes/workgroup (compile time only)
; SGPRBlocks: 3
; VGPRBlocks: 63
; NumSGPRsForWavesPerEU: 25
; NumVGPRsForWavesPerEU: 256
; Occupancy: 1
; WaveLimiterHint : 1
; COMPUTE_PGM_RSRC2:SCRATCH_EN: 1
; COMPUTE_PGM_RSRC2:USER_SGPR: 6
; COMPUTE_PGM_RSRC2:TRAP_HANDLER: 0
; COMPUTE_PGM_RSRC2:TGID_X_EN: 1
; COMPUTE_PGM_RSRC2:TGID_Y_EN: 0
; COMPUTE_PGM_RSRC2:TGID_Z_EN: 0
; COMPUTE_PGM_RSRC2:TIDIG_COMP_CNT: 0
	.section	.text._ZN9rocsolver6v33100L18getri_kernel_smallILi44E19rocblas_complex_numIfEPKPS3_EEvT1_iilPiilS8_bb,"axG",@progbits,_ZN9rocsolver6v33100L18getri_kernel_smallILi44E19rocblas_complex_numIfEPKPS3_EEvT1_iilPiilS8_bb,comdat
	.globl	_ZN9rocsolver6v33100L18getri_kernel_smallILi44E19rocblas_complex_numIfEPKPS3_EEvT1_iilPiilS8_bb ; -- Begin function _ZN9rocsolver6v33100L18getri_kernel_smallILi44E19rocblas_complex_numIfEPKPS3_EEvT1_iilPiilS8_bb
	.p2align	8
	.type	_ZN9rocsolver6v33100L18getri_kernel_smallILi44E19rocblas_complex_numIfEPKPS3_EEvT1_iilPiilS8_bb,@function
_ZN9rocsolver6v33100L18getri_kernel_smallILi44E19rocblas_complex_numIfEPKPS3_EEvT1_iilPiilS8_bb: ; @_ZN9rocsolver6v33100L18getri_kernel_smallILi44E19rocblas_complex_numIfEPKPS3_EEvT1_iilPiilS8_bb
; %bb.0:
	s_add_u32 s0, s0, s7
	s_addc_u32 s1, s1, 0
	v_cmp_gt_u32_e32 vcc, 44, v0
	s_and_saveexec_b64 s[8:9], vcc
	s_cbranch_execz .LBB107_190
; %bb.1:
	s_load_dword s18, s[4:5], 0x38
	s_load_dwordx2 s[12:13], s[4:5], 0x0
	s_load_dwordx4 s[8:11], s[4:5], 0x28
	s_waitcnt lgkmcnt(0)
	s_bitcmp1_b32 s18, 8
	s_cselect_b64 s[14:15], -1, 0
	s_ashr_i32 s7, s6, 31
	s_lshl_b64 s[16:17], s[6:7], 3
	s_add_u32 s12, s12, s16
	s_addc_u32 s13, s13, s17
	s_load_dwordx2 s[16:17], s[12:13], 0x0
	s_bfe_u32 s12, s18, 0x10008
	s_cmp_eq_u32 s12, 0
                                        ; implicit-def: $sgpr12_sgpr13
	s_cbranch_scc1 .LBB107_3
; %bb.2:
	s_load_dword s12, s[4:5], 0x20
	s_load_dwordx2 s[18:19], s[4:5], 0x18
	s_mul_i32 s13, s8, s7
	s_mul_hi_u32 s20, s8, s6
	s_add_i32 s20, s20, s13
	s_mul_i32 s9, s9, s6
	s_add_i32 s9, s20, s9
	s_mul_i32 s8, s8, s6
	s_waitcnt lgkmcnt(0)
	s_ashr_i32 s13, s12, 31
	s_lshl_b64 s[8:9], s[8:9], 2
	s_add_u32 s18, s18, s8
	s_addc_u32 s19, s19, s9
	s_lshl_b64 s[8:9], s[12:13], 2
	s_add_u32 s12, s18, s8
	s_addc_u32 s13, s19, s9
.LBB107_3:
	s_load_dwordx2 s[8:9], s[4:5], 0x8
	s_load_dword s18, s[4:5], 0x38
	v_lshlrev_b32_e32 v91, 3, v0
	s_waitcnt lgkmcnt(0)
	s_ashr_i32 s5, s8, 31
	s_mov_b32 s4, s8
	s_lshl_b64 s[4:5], s[4:5], 3
	s_add_u32 s4, s16, s4
	s_addc_u32 s5, s17, s5
	v_mov_b32_e32 v2, s5
	v_add_co_u32_e32 v1, vcc, s4, v91
	v_addc_co_u32_e32 v2, vcc, 0, v2, vcc
	flat_load_dwordx2 v[5:6], v[1:2]
	s_mov_b32 s16, s9
	s_ashr_i32 s17, s9, 31
	s_lshl_b64 s[16:17], s[16:17], 3
	v_mov_b32_e32 v4, s17
	v_add_co_u32_e32 v3, vcc, s16, v1
	v_addc_co_u32_e32 v4, vcc, v2, v4, vcc
	s_add_i32 s8, s9, s9
	v_add_u32_e32 v9, s8, v0
	v_ashrrev_i32_e32 v10, 31, v9
	v_mov_b32_e32 v11, s5
	v_add_u32_e32 v12, s9, v9
	v_ashrrev_i32_e32 v13, 31, v12
	v_mov_b32_e32 v14, s5
	v_mov_b32_e32 v15, s5
	;; [unrolled: 1-line block ×40, first 2 shown]
	s_bitcmp0_b32 s18, 0
	s_waitcnt vmcnt(0) lgkmcnt(0)
	buffer_store_dword v6, off, s[0:3], 0 offset:4
	buffer_store_dword v5, off, s[0:3], 0
	buffer_store_dword v3, off, s[0:3], 0 offset:352 ; 4-byte Folded Spill
	s_nop 0
	buffer_store_dword v4, off, s[0:3], 0 offset:356 ; 4-byte Folded Spill
	v_lshlrev_b64 v[5:6], 3, v[9:10]
	flat_load_dwordx2 v[7:8], v[3:4]
	v_add_co_u32_e32 v3, vcc, s4, v5
	v_addc_co_u32_e32 v4, vcc, v11, v6, vcc
	s_waitcnt vmcnt(0) lgkmcnt(0)
	buffer_store_dword v8, off, s[0:3], 0 offset:12
	buffer_store_dword v7, off, s[0:3], 0 offset:8
	buffer_store_dword v3, off, s[0:3], 0 offset:360 ; 4-byte Folded Spill
	s_nop 0
	buffer_store_dword v4, off, s[0:3], 0 offset:364 ; 4-byte Folded Spill
	v_lshlrev_b64 v[7:8], 3, v[12:13]
	flat_load_dwordx2 v[10:11], v[3:4]
	v_add_co_u32_e32 v3, vcc, s4, v7
	v_addc_co_u32_e32 v4, vcc, v14, v8, vcc
	s_waitcnt vmcnt(0) lgkmcnt(0)
	buffer_store_dword v11, off, s[0:3], 0 offset:20
	buffer_store_dword v10, off, s[0:3], 0 offset:16
	buffer_store_dword v3, off, s[0:3], 0 offset:368 ; 4-byte Folded Spill
	s_nop 0
	buffer_store_dword v4, off, s[0:3], 0 offset:372 ; 4-byte Folded Spill
	v_add_u32_e32 v11, s9, v12
	v_ashrrev_i32_e32 v12, 31, v11
	v_lshlrev_b64 v[9:10], 3, v[11:12]
	flat_load_dwordx2 v[13:14], v[3:4]
	v_add_co_u32_e32 v3, vcc, s4, v9
	v_addc_co_u32_e32 v4, vcc, v15, v10, vcc
	v_add_u32_e32 v15, s9, v11
	v_ashrrev_i32_e32 v16, 31, v15
	v_lshlrev_b64 v[11:12], 3, v[15:16]
	v_add_u32_e32 v18, s9, v15
	v_ashrrev_i32_e32 v19, 31, v18
	s_waitcnt vmcnt(0) lgkmcnt(0)
	buffer_store_dword v14, off, s[0:3], 0 offset:28
	buffer_store_dword v13, off, s[0:3], 0 offset:24
	buffer_store_dword v3, off, s[0:3], 0 offset:376 ; 4-byte Folded Spill
	s_nop 0
	buffer_store_dword v4, off, s[0:3], 0 offset:380 ; 4-byte Folded Spill
	flat_load_dwordx2 v[13:14], v[3:4]
	v_add_co_u32_e32 v3, vcc, s4, v11
	v_addc_co_u32_e32 v4, vcc, v17, v12, vcc
	s_waitcnt vmcnt(0) lgkmcnt(0)
	buffer_store_dword v14, off, s[0:3], 0 offset:36
	buffer_store_dword v13, off, s[0:3], 0 offset:32
	buffer_store_dword v3, off, s[0:3], 0 offset:384 ; 4-byte Folded Spill
	s_nop 0
	buffer_store_dword v4, off, s[0:3], 0 offset:388 ; 4-byte Folded Spill
	v_lshlrev_b64 v[13:14], 3, v[18:19]
	v_add_co_u32_e32 v13, vcc, s4, v13
	v_addc_co_u32_e32 v14, vcc, v20, v14, vcc
	flat_load_dwordx2 v[16:17], v[3:4]
	s_waitcnt vmcnt(0) lgkmcnt(0)
	buffer_store_dword v17, off, s[0:3], 0 offset:44
	buffer_store_dword v16, off, s[0:3], 0 offset:40
	flat_load_dwordx2 v[19:20], v[13:14]
	v_add_u32_e32 v17, s9, v18
	v_ashrrev_i32_e32 v18, 31, v17
	v_lshlrev_b64 v[15:16], 3, v[17:18]
	s_waitcnt vmcnt(0) lgkmcnt(0)
	buffer_store_dword v20, off, s[0:3], 0 offset:52
	buffer_store_dword v19, off, s[0:3], 0 offset:48
	v_add_co_u32_e32 v15, vcc, s4, v15
	v_addc_co_u32_e32 v16, vcc, v21, v16, vcc
	flat_load_dwordx2 v[19:20], v[15:16]
	v_add_u32_e32 v21, s9, v17
	v_ashrrev_i32_e32 v22, 31, v21
	v_lshlrev_b64 v[17:18], 3, v[21:22]
	v_add_u32_e32 v24, s9, v21
	v_add_co_u32_e32 v17, vcc, s4, v17
	v_addc_co_u32_e32 v18, vcc, v23, v18, vcc
	v_ashrrev_i32_e32 v25, 31, v24
	s_waitcnt vmcnt(0) lgkmcnt(0)
	buffer_store_dword v20, off, s[0:3], 0 offset:60
	buffer_store_dword v19, off, s[0:3], 0 offset:56
	flat_load_dwordx2 v[22:23], v[17:18]
	v_lshlrev_b64 v[19:20], 3, v[24:25]
	s_waitcnt vmcnt(0) lgkmcnt(0)
	buffer_store_dword v23, off, s[0:3], 0 offset:68
	buffer_store_dword v22, off, s[0:3], 0 offset:64
	v_add_co_u32_e32 v19, vcc, s4, v19
	v_addc_co_u32_e32 v20, vcc, v26, v20, vcc
	flat_load_dwordx2 v[25:26], v[19:20]
	v_add_u32_e32 v23, s9, v24
	v_ashrrev_i32_e32 v24, 31, v23
	v_lshlrev_b64 v[21:22], 3, v[23:24]
	s_waitcnt vmcnt(0) lgkmcnt(0)
	buffer_store_dword v26, off, s[0:3], 0 offset:76
	buffer_store_dword v25, off, s[0:3], 0 offset:72
	v_add_co_u32_e32 v21, vcc, s4, v21
	v_addc_co_u32_e32 v22, vcc, v27, v22, vcc
	flat_load_dwordx2 v[25:26], v[21:22]
	v_add_u32_e32 v27, s9, v23
	v_ashrrev_i32_e32 v28, 31, v27
	v_lshlrev_b64 v[23:24], 3, v[27:28]
	v_add_u32_e32 v30, s9, v27
	v_add_co_u32_e32 v23, vcc, s4, v23
	v_addc_co_u32_e32 v24, vcc, v29, v24, vcc
	v_ashrrev_i32_e32 v31, 31, v30
	s_waitcnt vmcnt(0) lgkmcnt(0)
	buffer_store_dword v26, off, s[0:3], 0 offset:84
	buffer_store_dword v25, off, s[0:3], 0 offset:80
	flat_load_dwordx2 v[28:29], v[23:24]
	v_lshlrev_b64 v[25:26], 3, v[30:31]
	s_waitcnt vmcnt(0) lgkmcnt(0)
	buffer_store_dword v29, off, s[0:3], 0 offset:92
	buffer_store_dword v28, off, s[0:3], 0 offset:88
	v_add_co_u32_e32 v25, vcc, s4, v25
	v_addc_co_u32_e32 v26, vcc, v32, v26, vcc
	;; [unrolled: 27-line block ×8, first 2 shown]
	flat_load_dwordx2 v[67:68], v[61:62]
	v_add_u32_e32 v65, s9, v66
	v_ashrrev_i32_e32 v66, 31, v65
	v_lshlrev_b64 v[63:64], 3, v[65:66]
	s_waitcnt vmcnt(0) lgkmcnt(0)
	buffer_store_dword v68, off, s[0:3], 0 offset:244
	buffer_store_dword v67, off, s[0:3], 0 offset:240
	v_add_co_u32_e32 v63, vcc, s4, v63
	v_addc_co_u32_e32 v64, vcc, v69, v64, vcc
	flat_load_dwordx2 v[67:68], v[63:64]
	v_add_u32_e32 v69, s9, v65
	v_ashrrev_i32_e32 v70, 31, v69
	v_lshlrev_b64 v[65:66], 3, v[69:70]
	v_add_u32_e32 v72, s9, v69
	v_add_co_u32_e32 v65, vcc, s4, v65
	v_addc_co_u32_e32 v66, vcc, v71, v66, vcc
	s_waitcnt vmcnt(0) lgkmcnt(0)
	buffer_store_dword v68, off, s[0:3], 0 offset:252
	buffer_store_dword v67, off, s[0:3], 0 offset:248
	flat_load_dwordx2 v[70:71], v[65:66]
	v_ashrrev_i32_e32 v73, 31, v72
	v_lshlrev_b64 v[67:68], 3, v[72:73]
	s_waitcnt vmcnt(0) lgkmcnt(0)
	buffer_store_dword v71, off, s[0:3], 0 offset:260
	buffer_store_dword v70, off, s[0:3], 0 offset:256
	v_add_co_u32_e32 v67, vcc, s4, v67
	v_addc_co_u32_e32 v68, vcc, v74, v68, vcc
	flat_load_dwordx2 v[73:74], v[67:68]
	v_add_u32_e32 v71, s9, v72
	v_ashrrev_i32_e32 v72, 31, v71
	v_lshlrev_b64 v[69:70], 3, v[71:72]
	s_waitcnt vmcnt(0) lgkmcnt(0)
	buffer_store_dword v74, off, s[0:3], 0 offset:268
	buffer_store_dword v73, off, s[0:3], 0 offset:264
	v_add_co_u32_e32 v69, vcc, s4, v69
	v_addc_co_u32_e32 v70, vcc, v75, v70, vcc
	flat_load_dwordx2 v[73:74], v[69:70]
	v_add_u32_e32 v75, s9, v71
	;; [unrolled: 9-line block ×10, first 2 shown]
	v_ashrrev_i32_e32 v88, 31, v87
	v_lshlrev_b64 v[87:88], 3, v[87:88]
	v_mov_b32_e32 v93, s5
	v_add_co_u32_e32 v87, vcc, s4, v87
	v_addc_co_u32_e32 v88, vcc, v93, v88, vcc
	s_waitcnt vmcnt(0) lgkmcnt(0)
	buffer_store_dword v90, off, s[0:3], 0 offset:340
	buffer_store_dword v89, off, s[0:3], 0 offset:336
	flat_load_dwordx2 v[89:90], v[87:88]
	s_mov_b64 s[8:9], -1
	s_waitcnt vmcnt(0) lgkmcnt(0)
	buffer_store_dword v90, off, s[0:3], 0 offset:348
	buffer_store_dword v89, off, s[0:3], 0 offset:344
	s_cbranch_scc1 .LBB107_188
; %bb.4:
	v_cmp_eq_u32_e64 s[4:5], 0, v0
	s_and_saveexec_b64 s[8:9], s[4:5]
; %bb.5:
	v_mov_b32_e32 v89, 0
	ds_write_b32 v89, v89 offset:704
; %bb.6:
	s_or_b64 exec, exec, s[8:9]
	v_mov_b32_e32 v89, 0
	v_lshl_add_u32 v93, v0, 3, v89
	s_waitcnt lgkmcnt(0)
	; wave barrier
	buffer_load_dword v89, v93, s[0:3], 0 offen
	buffer_load_dword v90, v93, s[0:3], 0 offen offset:4
	s_waitcnt vmcnt(1)
	v_cmp_eq_f32_e32 vcc, 0, v89
	s_waitcnt vmcnt(0)
	v_cmp_eq_f32_e64 s[8:9], 0, v90
	s_and_b64 s[8:9], vcc, s[8:9]
	s_and_saveexec_b64 s[16:17], s[8:9]
	s_cbranch_execz .LBB107_10
; %bb.7:
	v_mov_b32_e32 v89, 0
	ds_read_b32 v92, v89 offset:704
	v_add_u32_e32 v90, 1, v0
	s_waitcnt lgkmcnt(0)
	v_readfirstlane_b32 s8, v92
	s_cmp_eq_u32 s8, 0
	s_cselect_b64 s[18:19], -1, 0
	v_cmp_gt_i32_e32 vcc, s8, v90
	s_or_b64 s[18:19], s[18:19], vcc
	s_and_b64 exec, exec, s[18:19]
	s_cbranch_execz .LBB107_10
; %bb.8:
	s_mov_b64 s[18:19], 0
	v_mov_b32_e32 v92, s8
.LBB107_9:                              ; =>This Inner Loop Header: Depth=1
	ds_cmpst_rtn_b32 v92, v89, v92, v90 offset:704
	s_waitcnt lgkmcnt(0)
	v_cmp_ne_u32_e32 vcc, 0, v92
	v_cmp_le_i32_e64 s[8:9], v92, v90
	s_and_b64 s[8:9], vcc, s[8:9]
	s_and_b64 s[8:9], exec, s[8:9]
	s_or_b64 s[18:19], s[8:9], s[18:19]
	s_andn2_b64 exec, exec, s[18:19]
	s_cbranch_execnz .LBB107_9
.LBB107_10:
	s_or_b64 exec, exec, s[16:17]
	v_mov_b32_e32 v90, 0
	; wave barrier
	ds_read_b32 v89, v90 offset:704
	s_and_saveexec_b64 s[8:9], s[4:5]
	s_cbranch_execz .LBB107_12
; %bb.11:
	s_lshl_b64 s[16:17], s[6:7], 2
	s_add_u32 s16, s10, s16
	s_addc_u32 s17, s11, s17
	s_waitcnt lgkmcnt(0)
	global_store_dword v90, v89, s[16:17]
.LBB107_12:
	s_or_b64 exec, exec, s[8:9]
	s_waitcnt lgkmcnt(0)
	v_cmp_ne_u32_e32 vcc, 0, v89
	s_mov_b64 s[8:9], 0
	s_cbranch_vccnz .LBB107_188
; %bb.13:
	buffer_load_dword v90, v93, s[0:3], 0 offen
	buffer_load_dword v92, v93, s[0:3], 0 offen offset:4
                                        ; implicit-def: $vgpr95
                                        ; implicit-def: $vgpr94
                                        ; implicit-def: $vgpr89
	s_waitcnt vmcnt(0)
	v_cmp_ngt_f32_e64 s[8:9], |v90|, |v92|
	s_and_saveexec_b64 s[16:17], s[8:9]
	s_xor_b64 s[8:9], exec, s[16:17]
	s_cbranch_execz .LBB107_15
; %bb.14:
	v_div_scale_f32 v89, s[16:17], v92, v92, v90
	v_div_scale_f32 v94, vcc, v90, v92, v90
	v_rcp_f32_e32 v95, v89
	v_fma_f32 v96, -v89, v95, 1.0
	v_fmac_f32_e32 v95, v96, v95
	v_mul_f32_e32 v96, v94, v95
	v_fma_f32 v97, -v89, v96, v94
	v_fmac_f32_e32 v96, v97, v95
	v_fma_f32 v89, -v89, v96, v94
	v_div_fmas_f32 v89, v89, v95, v96
	v_div_fixup_f32 v89, v89, v92, v90
	v_fmac_f32_e32 v92, v90, v89
	v_div_scale_f32 v90, s[16:17], v92, v92, 1.0
	v_div_scale_f32 v94, vcc, 1.0, v92, 1.0
	v_rcp_f32_e32 v95, v90
	v_fma_f32 v96, -v90, v95, 1.0
	v_fmac_f32_e32 v95, v96, v95
	v_mul_f32_e32 v96, v94, v95
	v_fma_f32 v97, -v90, v96, v94
	v_fmac_f32_e32 v96, v97, v95
	v_fma_f32 v90, -v90, v96, v94
	v_div_fmas_f32 v90, v90, v95, v96
	v_div_fixup_f32 v90, v90, v92, 1.0
	v_mul_f32_e32 v95, v89, v90
	v_xor_b32_e32 v94, 0x80000000, v90
	v_xor_b32_e32 v89, 0x80000000, v95
                                        ; implicit-def: $vgpr90
                                        ; implicit-def: $vgpr92
.LBB107_15:
	s_andn2_saveexec_b64 s[8:9], s[8:9]
	s_cbranch_execz .LBB107_17
; %bb.16:
	v_div_scale_f32 v89, s[16:17], v90, v90, v92
	v_div_scale_f32 v94, vcc, v92, v90, v92
	v_rcp_f32_e32 v95, v89
	v_fma_f32 v96, -v89, v95, 1.0
	v_fmac_f32_e32 v95, v96, v95
	v_mul_f32_e32 v96, v94, v95
	v_fma_f32 v97, -v89, v96, v94
	v_fmac_f32_e32 v96, v97, v95
	v_fma_f32 v89, -v89, v96, v94
	v_div_fmas_f32 v89, v89, v95, v96
	v_div_fixup_f32 v94, v89, v90, v92
	v_fmac_f32_e32 v90, v92, v94
	v_div_scale_f32 v89, s[16:17], v90, v90, 1.0
	v_div_scale_f32 v92, vcc, 1.0, v90, 1.0
	v_rcp_f32_e32 v95, v89
	v_fma_f32 v96, -v89, v95, 1.0
	v_fmac_f32_e32 v95, v96, v95
	v_mul_f32_e32 v96, v92, v95
	v_fma_f32 v97, -v89, v96, v92
	v_fmac_f32_e32 v96, v97, v95
	v_fma_f32 v89, -v89, v96, v92
	v_div_fmas_f32 v89, v89, v95, v96
	v_div_fixup_f32 v95, v89, v90, 1.0
	v_xor_b32_e32 v89, 0x80000000, v95
	v_mul_f32_e64 v94, v94, -v95
.LBB107_17:
	s_or_b64 exec, exec, s[8:9]
	buffer_store_dword v95, v93, s[0:3], 0 offen
	buffer_store_dword v94, v93, s[0:3], 0 offen offset:4
	buffer_load_dword v96, off, s[0:3], 0 offset:12
	s_nop 0
	buffer_load_dword v95, off, s[0:3], 0 offset:8
	v_xor_b32_e32 v90, 0x80000000, v94
	v_add_u32_e32 v92, 0x160, v91
	s_waitcnt vmcnt(0)
	ds_write2_b64 v91, v[89:90], v[95:96] offset1:44
	s_waitcnt lgkmcnt(0)
	; wave barrier
	s_and_saveexec_b64 s[8:9], s[4:5]
	s_cbranch_execz .LBB107_19
; %bb.18:
	buffer_load_dword v96, v93, s[0:3], 0 offen offset:4
	buffer_load_dword v97, v93, s[0:3], 0 offen
	ds_read_b64 v[89:90], v92
	v_mov_b32_e32 v94, 0
	ds_read_b64 v[94:95], v94 offset:8
	s_waitcnt vmcnt(1) lgkmcnt(1)
	v_mul_f32_e32 v98, v90, v96
	v_mul_f32_e32 v96, v89, v96
	s_waitcnt vmcnt(0)
	v_fmac_f32_e32 v96, v90, v97
	v_fma_f32 v89, v89, v97, -v98
	v_add_f32_e32 v90, 0, v96
	v_add_f32_e32 v89, 0, v89
	s_waitcnt lgkmcnt(0)
	v_mul_f32_e32 v96, v90, v95
	v_mul_f32_e32 v95, v89, v95
	v_fma_f32 v89, v89, v94, -v96
	v_fmac_f32_e32 v95, v90, v94
	buffer_store_dword v89, off, s[0:3], 0 offset:8
	buffer_store_dword v95, off, s[0:3], 0 offset:12
.LBB107_19:
	s_or_b64 exec, exec, s[8:9]
	; wave barrier
	buffer_load_dword v89, off, s[0:3], 0 offset:16
	buffer_load_dword v90, off, s[0:3], 0 offset:20
	v_cmp_gt_u32_e32 vcc, 2, v0
	s_waitcnt vmcnt(0)
	ds_write_b64 v92, v[89:90]
	s_waitcnt lgkmcnt(0)
	; wave barrier
	s_and_saveexec_b64 s[8:9], vcc
	s_cbranch_execz .LBB107_23
; %bb.20:
	buffer_load_dword v94, v93, s[0:3], 0 offen offset:4
	buffer_load_dword v95, v93, s[0:3], 0 offen
	ds_read_b64 v[89:90], v92
	s_waitcnt vmcnt(1) lgkmcnt(0)
	v_mul_f32_e32 v93, v90, v94
	v_mul_f32_e32 v94, v89, v94
	s_waitcnt vmcnt(0)
	v_fma_f32 v89, v89, v95, -v93
	v_fmac_f32_e32 v94, v90, v95
	v_add_f32_e32 v90, 0, v89
	v_add_f32_e32 v89, 0, v94
	s_and_saveexec_b64 s[16:17], s[4:5]
	s_cbranch_execz .LBB107_22
; %bb.21:
	buffer_load_dword v95, off, s[0:3], 0 offset:12
	buffer_load_dword v96, off, s[0:3], 0 offset:8
	v_mov_b32_e32 v93, 0
	ds_read_b64 v[93:94], v93 offset:360
	s_waitcnt vmcnt(1) lgkmcnt(0)
	v_mul_f32_e32 v97, v93, v95
	v_mul_f32_e32 v95, v94, v95
	s_waitcnt vmcnt(0)
	v_fmac_f32_e32 v97, v94, v96
	v_fma_f32 v93, v93, v96, -v95
	v_add_f32_e32 v89, v89, v97
	v_add_f32_e32 v90, v90, v93
.LBB107_22:
	s_or_b64 exec, exec, s[16:17]
	v_mov_b32_e32 v93, 0
	ds_read_b64 v[93:94], v93 offset:16
	s_waitcnt lgkmcnt(0)
	v_mul_f32_e32 v95, v89, v94
	v_mul_f32_e32 v94, v90, v94
	v_fma_f32 v90, v90, v93, -v95
	v_fmac_f32_e32 v94, v89, v93
	buffer_store_dword v90, off, s[0:3], 0 offset:16
	buffer_store_dword v94, off, s[0:3], 0 offset:20
.LBB107_23:
	s_or_b64 exec, exec, s[8:9]
	; wave barrier
	buffer_load_dword v89, off, s[0:3], 0 offset:24
	buffer_load_dword v90, off, s[0:3], 0 offset:28
	v_cmp_gt_u32_e32 vcc, 3, v0
	s_waitcnt vmcnt(0)
	ds_write_b64 v92, v[89:90]
	v_add_u32_e32 v89, -1, v0
	s_waitcnt lgkmcnt(0)
	; wave barrier
	s_and_saveexec_b64 s[4:5], vcc
	s_cbranch_execz .LBB107_27
; %bb.24:
	v_add_u32_e32 v93, -1, v0
	v_add_u32_e32 v94, 0x160, v91
	v_mov_b32_e32 v95, v91
	v_mov_b32_e32 v90, 0
	s_mov_b64 s[8:9], 0
	v_mov_b32_e32 v96, 0
.LBB107_25:                             ; =>This Inner Loop Header: Depth=1
	buffer_load_dword v99, v95, s[0:3], 0 offen offset:4
	buffer_load_dword v100, v95, s[0:3], 0 offen
	ds_read_b64 v[97:98], v94
	v_add_u32_e32 v93, 1, v93
	v_cmp_lt_u32_e32 vcc, 1, v93
	v_add_u32_e32 v94, 8, v94
	v_add_u32_e32 v95, 8, v95
	s_or_b64 s[8:9], vcc, s[8:9]
	s_waitcnt vmcnt(1) lgkmcnt(0)
	v_mul_f32_e32 v101, v98, v99
	v_mul_f32_e32 v99, v97, v99
	s_waitcnt vmcnt(0)
	v_fma_f32 v97, v97, v100, -v101
	v_fmac_f32_e32 v99, v98, v100
	v_add_f32_e32 v96, v96, v97
	v_add_f32_e32 v90, v90, v99
	s_andn2_b64 exec, exec, s[8:9]
	s_cbranch_execnz .LBB107_25
; %bb.26:
	s_or_b64 exec, exec, s[8:9]
	v_mov_b32_e32 v93, 0
	ds_read_b64 v[93:94], v93 offset:24
	s_waitcnt lgkmcnt(0)
	v_mul_f32_e32 v95, v90, v94
	v_mul_f32_e32 v94, v96, v94
	v_fma_f32 v95, v96, v93, -v95
	v_fmac_f32_e32 v94, v90, v93
	buffer_store_dword v95, off, s[0:3], 0 offset:24
	buffer_store_dword v94, off, s[0:3], 0 offset:28
.LBB107_27:
	s_or_b64 exec, exec, s[4:5]
	; wave barrier
	buffer_load_dword v93, off, s[0:3], 0 offset:32
	buffer_load_dword v94, off, s[0:3], 0 offset:36
	v_cmp_gt_u32_e32 vcc, 4, v0
	s_waitcnt vmcnt(0)
	ds_write_b64 v92, v[93:94]
	s_waitcnt lgkmcnt(0)
	; wave barrier
	s_and_saveexec_b64 s[4:5], vcc
	s_cbranch_execz .LBB107_31
; %bb.28:
	v_add_u32_e32 v93, -1, v0
	v_add_u32_e32 v94, 0x160, v91
	v_mov_b32_e32 v95, v91
	v_mov_b32_e32 v90, 0
	s_mov_b64 s[8:9], 0
	v_mov_b32_e32 v96, 0
.LBB107_29:                             ; =>This Inner Loop Header: Depth=1
	buffer_load_dword v99, v95, s[0:3], 0 offen offset:4
	buffer_load_dword v100, v95, s[0:3], 0 offen
	ds_read_b64 v[97:98], v94
	v_add_u32_e32 v93, 1, v93
	v_cmp_lt_u32_e32 vcc, 2, v93
	v_add_u32_e32 v94, 8, v94
	v_add_u32_e32 v95, 8, v95
	s_or_b64 s[8:9], vcc, s[8:9]
	s_waitcnt vmcnt(1) lgkmcnt(0)
	v_mul_f32_e32 v101, v98, v99
	v_mul_f32_e32 v99, v97, v99
	s_waitcnt vmcnt(0)
	v_fma_f32 v97, v97, v100, -v101
	v_fmac_f32_e32 v99, v98, v100
	v_add_f32_e32 v96, v96, v97
	v_add_f32_e32 v90, v90, v99
	s_andn2_b64 exec, exec, s[8:9]
	s_cbranch_execnz .LBB107_29
; %bb.30:
	s_or_b64 exec, exec, s[8:9]
	v_mov_b32_e32 v93, 0
	ds_read_b64 v[93:94], v93 offset:32
	s_waitcnt lgkmcnt(0)
	v_mul_f32_e32 v95, v90, v94
	v_mul_f32_e32 v94, v96, v94
	v_fma_f32 v95, v96, v93, -v95
	v_fmac_f32_e32 v94, v90, v93
	buffer_store_dword v95, off, s[0:3], 0 offset:32
	buffer_store_dword v94, off, s[0:3], 0 offset:36
.LBB107_31:
	s_or_b64 exec, exec, s[4:5]
	; wave barrier
	buffer_load_dword v93, off, s[0:3], 0 offset:40
	buffer_load_dword v94, off, s[0:3], 0 offset:44
	v_cmp_gt_u32_e32 vcc, 5, v0
	s_waitcnt vmcnt(0)
	ds_write_b64 v92, v[93:94]
	;; [unrolled: 49-line block ×19, first 2 shown]
	s_waitcnt lgkmcnt(0)
	; wave barrier
	s_and_saveexec_b64 s[4:5], vcc
	s_cbranch_execz .LBB107_103
; %bb.100:
	v_add_u32_e32 v93, -1, v0
	v_add_u32_e32 v94, 0x160, v91
	v_mov_b32_e32 v95, v91
	v_mov_b32_e32 v90, 0
	s_mov_b64 s[8:9], 0
	v_mov_b32_e32 v96, 0
.LBB107_101:                            ; =>This Inner Loop Header: Depth=1
	buffer_load_dword v99, v95, s[0:3], 0 offen offset:4
	buffer_load_dword v100, v95, s[0:3], 0 offen
	ds_read_b64 v[97:98], v94
	v_add_u32_e32 v93, 1, v93
	v_cmp_lt_u32_e32 vcc, 20, v93
	v_add_u32_e32 v94, 8, v94
	v_add_u32_e32 v95, 8, v95
	s_or_b64 s[8:9], vcc, s[8:9]
	s_waitcnt vmcnt(1) lgkmcnt(0)
	v_mul_f32_e32 v101, v98, v99
	v_mul_f32_e32 v99, v97, v99
	s_waitcnt vmcnt(0)
	v_fma_f32 v97, v97, v100, -v101
	v_fmac_f32_e32 v99, v98, v100
	v_add_f32_e32 v96, v96, v97
	v_add_f32_e32 v90, v90, v99
	s_andn2_b64 exec, exec, s[8:9]
	s_cbranch_execnz .LBB107_101
; %bb.102:
	s_or_b64 exec, exec, s[8:9]
	v_mov_b32_e32 v93, 0
	ds_read_b64 v[93:94], v93 offset:176
	s_waitcnt lgkmcnt(0)
	v_mul_f32_e32 v95, v90, v94
	v_mul_f32_e32 v94, v96, v94
	v_fma_f32 v95, v96, v93, -v95
	v_fmac_f32_e32 v94, v90, v93
	buffer_store_dword v95, off, s[0:3], 0 offset:176
	buffer_store_dword v94, off, s[0:3], 0 offset:180
.LBB107_103:
	s_or_b64 exec, exec, s[4:5]
	; wave barrier
	buffer_load_dword v93, off, s[0:3], 0 offset:184
	buffer_load_dword v94, off, s[0:3], 0 offset:188
	v_cmp_gt_u32_e32 vcc, 23, v0
	s_waitcnt vmcnt(0)
	ds_write_b64 v92, v[93:94]
	s_waitcnt lgkmcnt(0)
	; wave barrier
	s_and_saveexec_b64 s[4:5], vcc
	s_cbranch_execz .LBB107_107
; %bb.104:
	v_add_u32_e32 v93, -1, v0
	v_add_u32_e32 v94, 0x160, v91
	v_mov_b32_e32 v95, v91
	v_mov_b32_e32 v90, 0
	s_mov_b64 s[8:9], 0
	v_mov_b32_e32 v96, 0
.LBB107_105:                            ; =>This Inner Loop Header: Depth=1
	buffer_load_dword v99, v95, s[0:3], 0 offen offset:4
	buffer_load_dword v100, v95, s[0:3], 0 offen
	ds_read_b64 v[97:98], v94
	v_add_u32_e32 v93, 1, v93
	v_cmp_lt_u32_e32 vcc, 21, v93
	v_add_u32_e32 v94, 8, v94
	v_add_u32_e32 v95, 8, v95
	s_or_b64 s[8:9], vcc, s[8:9]
	s_waitcnt vmcnt(1) lgkmcnt(0)
	v_mul_f32_e32 v101, v98, v99
	v_mul_f32_e32 v99, v97, v99
	s_waitcnt vmcnt(0)
	v_fma_f32 v97, v97, v100, -v101
	v_fmac_f32_e32 v99, v98, v100
	v_add_f32_e32 v96, v96, v97
	v_add_f32_e32 v90, v90, v99
	s_andn2_b64 exec, exec, s[8:9]
	s_cbranch_execnz .LBB107_105
; %bb.106:
	s_or_b64 exec, exec, s[8:9]
	v_mov_b32_e32 v93, 0
	ds_read_b64 v[93:94], v93 offset:184
	s_waitcnt lgkmcnt(0)
	v_mul_f32_e32 v95, v90, v94
	v_mul_f32_e32 v94, v96, v94
	v_fma_f32 v95, v96, v93, -v95
	v_fmac_f32_e32 v94, v90, v93
	buffer_store_dword v95, off, s[0:3], 0 offset:184
	buffer_store_dword v94, off, s[0:3], 0 offset:188
.LBB107_107:
	s_or_b64 exec, exec, s[4:5]
	; wave barrier
	buffer_load_dword v93, off, s[0:3], 0 offset:192
	buffer_load_dword v94, off, s[0:3], 0 offset:196
	v_cmp_gt_u32_e32 vcc, 24, v0
	s_waitcnt vmcnt(0)
	ds_write_b64 v92, v[93:94]
	;; [unrolled: 49-line block ×20, first 2 shown]
	s_waitcnt lgkmcnt(0)
	; wave barrier
	s_and_saveexec_b64 s[4:5], vcc
	s_cbranch_execz .LBB107_183
; %bb.180:
	v_add_u32_e32 v93, -1, v0
	v_add_u32_e32 v94, 0x160, v91
	v_mov_b32_e32 v95, v91
	v_mov_b32_e32 v90, 0
	s_mov_b64 s[8:9], 0
	v_mov_b32_e32 v96, 0
.LBB107_181:                            ; =>This Inner Loop Header: Depth=1
	buffer_load_dword v99, v95, s[0:3], 0 offen offset:4
	buffer_load_dword v100, v95, s[0:3], 0 offen
	ds_read_b64 v[97:98], v94
	v_add_u32_e32 v93, 1, v93
	v_cmp_lt_u32_e32 vcc, 40, v93
	v_add_u32_e32 v94, 8, v94
	v_add_u32_e32 v95, 8, v95
	s_or_b64 s[8:9], vcc, s[8:9]
	s_waitcnt vmcnt(1) lgkmcnt(0)
	v_mul_f32_e32 v101, v98, v99
	v_mul_f32_e32 v99, v97, v99
	s_waitcnt vmcnt(0)
	v_fma_f32 v97, v97, v100, -v101
	v_fmac_f32_e32 v99, v98, v100
	v_add_f32_e32 v96, v96, v97
	v_add_f32_e32 v90, v90, v99
	s_andn2_b64 exec, exec, s[8:9]
	s_cbranch_execnz .LBB107_181
; %bb.182:
	s_or_b64 exec, exec, s[8:9]
	v_mov_b32_e32 v93, 0
	ds_read_b64 v[93:94], v93 offset:336
	s_waitcnt lgkmcnt(0)
	v_mul_f32_e32 v95, v90, v94
	v_mul_f32_e32 v94, v96, v94
	v_fma_f32 v95, v96, v93, -v95
	v_fmac_f32_e32 v94, v90, v93
	buffer_store_dword v95, off, s[0:3], 0 offset:336
	buffer_store_dword v94, off, s[0:3], 0 offset:340
.LBB107_183:
	s_or_b64 exec, exec, s[4:5]
	; wave barrier
	buffer_load_dword v93, off, s[0:3], 0 offset:344
	buffer_load_dword v94, off, s[0:3], 0 offset:348
	v_cmp_ne_u32_e32 vcc, 43, v0
	s_waitcnt vmcnt(0)
	ds_write_b64 v92, v[93:94]
	s_waitcnt lgkmcnt(0)
	; wave barrier
	s_and_saveexec_b64 s[4:5], vcc
	s_cbranch_execz .LBB107_187
; %bb.184:
	v_add_u32_e32 v92, 0x160, v91
	v_mov_b32_e32 v90, 0
	s_mov_b64 s[8:9], 0
	v_mov_b32_e32 v93, 0
.LBB107_185:                            ; =>This Inner Loop Header: Depth=1
	buffer_load_dword v96, v91, s[0:3], 0 offen offset:4
	buffer_load_dword v97, v91, s[0:3], 0 offen
	ds_read_b64 v[94:95], v92
	v_add_u32_e32 v89, 1, v89
	v_cmp_lt_u32_e32 vcc, 41, v89
	v_add_u32_e32 v92, 8, v92
	v_add_u32_e32 v91, 8, v91
	s_or_b64 s[8:9], vcc, s[8:9]
	s_waitcnt vmcnt(1) lgkmcnt(0)
	v_mul_f32_e32 v98, v95, v96
	v_mul_f32_e32 v96, v94, v96
	s_waitcnt vmcnt(0)
	v_fma_f32 v94, v94, v97, -v98
	v_fmac_f32_e32 v96, v95, v97
	v_add_f32_e32 v93, v93, v94
	v_add_f32_e32 v90, v90, v96
	s_andn2_b64 exec, exec, s[8:9]
	s_cbranch_execnz .LBB107_185
; %bb.186:
	s_or_b64 exec, exec, s[8:9]
	v_mov_b32_e32 v89, 0
	ds_read_b64 v[91:92], v89 offset:344
	s_waitcnt lgkmcnt(0)
	v_mul_f32_e32 v89, v90, v92
	v_mul_f32_e32 v92, v93, v92
	v_fma_f32 v89, v93, v91, -v89
	v_fmac_f32_e32 v92, v90, v91
	buffer_store_dword v89, off, s[0:3], 0 offset:344
	buffer_store_dword v92, off, s[0:3], 0 offset:348
.LBB107_187:
	s_or_b64 exec, exec, s[4:5]
	s_mov_b64 s[8:9], -1
	; wave barrier
.LBB107_188:
	s_and_b64 vcc, exec, s[8:9]
	s_cbranch_vccz .LBB107_190
; %bb.189:
	s_lshl_b64 s[4:5], s[6:7], 2
	s_add_u32 s4, s10, s4
	s_addc_u32 s5, s11, s5
	v_mov_b32_e32 v89, 0
	global_load_dword v89, v89, s[4:5]
	s_waitcnt vmcnt(0)
	v_cmp_ne_u32_e32 vcc, 0, v89
	s_cbranch_vccz .LBB107_191
.LBB107_190:
	s_endpgm
.LBB107_191:
	v_mov_b32_e32 v89, 0x160
	v_lshl_add_u32 v89, v0, 3, v89
	v_cmp_eq_u32_e32 vcc, 43, v0
	s_and_saveexec_b64 s[4:5], vcc
	s_cbranch_execz .LBB107_193
; %bb.192:
	buffer_load_dword v90, off, s[0:3], 0 offset:336
	buffer_load_dword v91, off, s[0:3], 0 offset:340
	v_mov_b32_e32 v92, 0
	buffer_store_dword v92, off, s[0:3], 0 offset:336
	buffer_store_dword v92, off, s[0:3], 0 offset:340
	s_waitcnt vmcnt(2)
	ds_write_b64 v89, v[90:91]
.LBB107_193:
	s_or_b64 exec, exec, s[4:5]
	s_waitcnt lgkmcnt(0)
	; wave barrier
	buffer_load_dword v93, off, s[0:3], 0 offset:348
	buffer_load_dword v94, off, s[0:3], 0 offset:344
	;; [unrolled: 1-line block ×4, first 2 shown]
	v_mov_b32_e32 v90, 0
	ds_read_b64 v[91:92], v90 offset:696
	v_cmp_lt_u32_e32 vcc, 41, v0
	s_waitcnt vmcnt(3) lgkmcnt(0)
	v_mul_f32_e32 v97, v91, v93
	v_mul_f32_e32 v93, v92, v93
	s_waitcnt vmcnt(2)
	v_fma_f32 v91, v91, v94, -v93
	v_fmac_f32_e32 v97, v92, v94
	v_add_f32_e32 v91, 0, v91
	v_add_f32_e32 v92, 0, v97
	s_waitcnt vmcnt(1)
	v_sub_f32_e32 v91, v95, v91
	s_waitcnt vmcnt(0)
	v_sub_f32_e32 v92, v96, v92
	buffer_store_dword v91, off, s[0:3], 0 offset:336
	buffer_store_dword v92, off, s[0:3], 0 offset:340
	s_and_saveexec_b64 s[4:5], vcc
	s_cbranch_execz .LBB107_195
; %bb.194:
	buffer_load_dword v91, off, s[0:3], 0 offset:328
	buffer_load_dword v92, off, s[0:3], 0 offset:332
	s_waitcnt vmcnt(0)
	ds_write_b64 v89, v[91:92]
	buffer_store_dword v90, off, s[0:3], 0 offset:328
	buffer_store_dword v90, off, s[0:3], 0 offset:332
.LBB107_195:
	s_or_b64 exec, exec, s[4:5]
	s_waitcnt lgkmcnt(0)
	; wave barrier
	buffer_load_dword v94, off, s[0:3], 0 offset:340
	buffer_load_dword v95, off, s[0:3], 0 offset:348
	;; [unrolled: 1-line block ×6, first 2 shown]
	ds_read_b128 v[90:93], v90 offset:688
	v_cmp_lt_u32_e32 vcc, 40, v0
	s_waitcnt vmcnt(5) lgkmcnt(0)
	v_mul_f32_e32 v100, v90, v94
	v_mul_f32_e32 v94, v91, v94
	s_waitcnt vmcnt(4)
	v_mul_f32_e32 v101, v92, v95
	v_mul_f32_e32 v95, v93, v95
	s_waitcnt vmcnt(3)
	v_fma_f32 v90, v90, v96, -v94
	v_fmac_f32_e32 v100, v91, v96
	s_waitcnt vmcnt(2)
	v_fma_f32 v91, v92, v97, -v95
	v_add_f32_e32 v90, 0, v90
	v_fmac_f32_e32 v101, v93, v97
	v_add_f32_e32 v92, 0, v100
	v_add_f32_e32 v90, v90, v91
	;; [unrolled: 1-line block ×3, first 2 shown]
	s_waitcnt vmcnt(1)
	v_sub_f32_e32 v90, v98, v90
	s_waitcnt vmcnt(0)
	v_sub_f32_e32 v91, v99, v92
	buffer_store_dword v90, off, s[0:3], 0 offset:328
	buffer_store_dword v91, off, s[0:3], 0 offset:332
	s_and_saveexec_b64 s[4:5], vcc
	s_cbranch_execz .LBB107_197
; %bb.196:
	buffer_load_dword v90, off, s[0:3], 0 offset:320
	buffer_load_dword v91, off, s[0:3], 0 offset:324
	v_mov_b32_e32 v92, 0
	buffer_store_dword v92, off, s[0:3], 0 offset:320
	buffer_store_dword v92, off, s[0:3], 0 offset:324
	s_waitcnt vmcnt(2)
	ds_write_b64 v89, v[90:91]
.LBB107_197:
	s_or_b64 exec, exec, s[4:5]
	s_waitcnt lgkmcnt(0)
	; wave barrier
	buffer_load_dword v97, off, s[0:3], 0 offset:332
	buffer_load_dword v98, off, s[0:3], 0 offset:340
	buffer_load_dword v99, off, s[0:3], 0 offset:348
	buffer_load_dword v100, off, s[0:3], 0 offset:328
	buffer_load_dword v101, off, s[0:3], 0 offset:336
	buffer_load_dword v102, off, s[0:3], 0 offset:344
	buffer_load_dword v103, off, s[0:3], 0 offset:320
	buffer_load_dword v104, off, s[0:3], 0 offset:324
	v_mov_b32_e32 v90, 0
	ds_read2_b64 v[91:94], v90 offset0:85 offset1:86
	ds_read_b64 v[95:96], v90 offset:696
	v_cmp_lt_u32_e32 vcc, 39, v0
	s_waitcnt vmcnt(7) lgkmcnt(1)
	v_mul_f32_e32 v105, v91, v97
	v_mul_f32_e32 v97, v92, v97
	s_waitcnt vmcnt(6)
	v_mul_f32_e32 v106, v93, v98
	v_mul_f32_e32 v98, v94, v98
	s_waitcnt vmcnt(4)
	v_fma_f32 v91, v91, v100, -v97
	s_waitcnt lgkmcnt(0)
	v_mul_f32_e32 v107, v95, v99
	v_mul_f32_e32 v99, v96, v99
	v_fmac_f32_e32 v105, v92, v100
	s_waitcnt vmcnt(3)
	v_fma_f32 v92, v93, v101, -v98
	v_add_f32_e32 v91, 0, v91
	v_fmac_f32_e32 v106, v94, v101
	s_waitcnt vmcnt(2)
	v_fma_f32 v93, v95, v102, -v99
	v_add_f32_e32 v94, 0, v105
	v_add_f32_e32 v91, v91, v92
	v_fmac_f32_e32 v107, v96, v102
	v_add_f32_e32 v94, v94, v106
	v_add_f32_e32 v91, v91, v93
	;; [unrolled: 1-line block ×3, first 2 shown]
	s_waitcnt vmcnt(1)
	v_sub_f32_e32 v91, v103, v91
	s_waitcnt vmcnt(0)
	v_sub_f32_e32 v92, v104, v92
	buffer_store_dword v91, off, s[0:3], 0 offset:320
	buffer_store_dword v92, off, s[0:3], 0 offset:324
	s_and_saveexec_b64 s[4:5], vcc
	s_cbranch_execz .LBB107_199
; %bb.198:
	buffer_load_dword v91, off, s[0:3], 0 offset:312
	buffer_load_dword v92, off, s[0:3], 0 offset:316
	s_waitcnt vmcnt(0)
	ds_write_b64 v89, v[91:92]
	buffer_store_dword v90, off, s[0:3], 0 offset:312
	buffer_store_dword v90, off, s[0:3], 0 offset:316
.LBB107_199:
	s_or_b64 exec, exec, s[4:5]
	s_waitcnt lgkmcnt(0)
	; wave barrier
	buffer_load_dword v99, off, s[0:3], 0 offset:324
	buffer_load_dword v100, off, s[0:3], 0 offset:332
	;; [unrolled: 1-line block ×10, first 2 shown]
	ds_read_b128 v[91:94], v90 offset:672
	ds_read_b128 v[95:98], v90 offset:688
	v_cmp_lt_u32_e32 vcc, 38, v0
	s_waitcnt vmcnt(9) lgkmcnt(1)
	v_mul_f32_e32 v90, v91, v99
	v_mul_f32_e32 v99, v92, v99
	s_waitcnt vmcnt(8)
	v_mul_f32_e32 v109, v93, v100
	v_mul_f32_e32 v100, v94, v100
	s_waitcnt vmcnt(5)
	v_fma_f32 v91, v91, v103, -v99
	s_waitcnt lgkmcnt(0)
	v_mul_f32_e32 v110, v95, v101
	v_mul_f32_e32 v101, v96, v101
	v_fmac_f32_e32 v90, v92, v103
	s_waitcnt vmcnt(4)
	v_fma_f32 v92, v93, v104, -v100
	v_add_f32_e32 v91, 0, v91
	v_mul_f32_e32 v111, v97, v102
	v_mul_f32_e32 v102, v98, v102
	v_fmac_f32_e32 v109, v94, v104
	s_waitcnt vmcnt(3)
	v_fma_f32 v93, v95, v105, -v101
	v_add_f32_e32 v90, 0, v90
	v_add_f32_e32 v91, v91, v92
	v_fmac_f32_e32 v110, v96, v105
	s_waitcnt vmcnt(2)
	v_fma_f32 v94, v97, v106, -v102
	v_add_f32_e32 v90, v90, v109
	v_add_f32_e32 v91, v91, v93
	v_fmac_f32_e32 v111, v98, v106
	v_add_f32_e32 v90, v90, v110
	v_add_f32_e32 v91, v91, v94
	;; [unrolled: 1-line block ×3, first 2 shown]
	s_waitcnt vmcnt(1)
	v_sub_f32_e32 v91, v107, v91
	s_waitcnt vmcnt(0)
	v_sub_f32_e32 v90, v108, v90
	buffer_store_dword v91, off, s[0:3], 0 offset:312
	buffer_store_dword v90, off, s[0:3], 0 offset:316
	s_and_saveexec_b64 s[4:5], vcc
	s_cbranch_execz .LBB107_201
; %bb.200:
	buffer_load_dword v90, off, s[0:3], 0 offset:304
	buffer_load_dword v91, off, s[0:3], 0 offset:308
	v_mov_b32_e32 v92, 0
	buffer_store_dword v92, off, s[0:3], 0 offset:304
	buffer_store_dword v92, off, s[0:3], 0 offset:308
	s_waitcnt vmcnt(2)
	ds_write_b64 v89, v[90:91]
.LBB107_201:
	s_or_b64 exec, exec, s[4:5]
	s_waitcnt lgkmcnt(0)
	; wave barrier
	buffer_load_dword v101, off, s[0:3], 0 offset:316
	buffer_load_dword v102, off, s[0:3], 0 offset:324
	;; [unrolled: 1-line block ×12, first 2 shown]
	v_mov_b32_e32 v90, 0
	ds_read2_b64 v[91:94], v90 offset0:83 offset1:84
	ds_read2_b64 v[95:98], v90 offset0:85 offset1:86
	ds_read_b64 v[99:100], v90 offset:696
	v_cmp_lt_u32_e32 vcc, 37, v0
	s_waitcnt vmcnt(11) lgkmcnt(2)
	v_mul_f32_e32 v113, v91, v101
	v_mul_f32_e32 v101, v92, v101
	s_waitcnt vmcnt(10)
	v_mul_f32_e32 v114, v93, v102
	v_mul_f32_e32 v102, v94, v102
	s_waitcnt vmcnt(9) lgkmcnt(1)
	v_mul_f32_e32 v115, v95, v103
	s_waitcnt vmcnt(6)
	v_fma_f32 v91, v91, v106, -v101
	v_mul_f32_e32 v103, v96, v103
	v_fmac_f32_e32 v113, v92, v106
	s_waitcnt vmcnt(5)
	v_fma_f32 v92, v93, v107, -v102
	v_add_f32_e32 v91, 0, v91
	v_mul_f32_e32 v116, v97, v104
	v_mul_f32_e32 v104, v98, v104
	v_fmac_f32_e32 v114, v94, v107
	s_waitcnt vmcnt(4)
	v_fmac_f32_e32 v115, v96, v108
	v_fma_f32 v93, v95, v108, -v103
	v_add_f32_e32 v96, 0, v113
	v_add_f32_e32 v91, v91, v92
	s_waitcnt lgkmcnt(0)
	v_mul_f32_e32 v117, v99, v105
	v_mul_f32_e32 v105, v100, v105
	s_waitcnt vmcnt(3)
	v_fma_f32 v94, v97, v109, -v104
	v_add_f32_e32 v96, v96, v114
	v_add_f32_e32 v91, v91, v93
	v_fmac_f32_e32 v116, v98, v109
	s_waitcnt vmcnt(2)
	v_fma_f32 v95, v99, v110, -v105
	v_add_f32_e32 v92, v96, v115
	v_add_f32_e32 v91, v91, v94
	v_fmac_f32_e32 v117, v100, v110
	v_add_f32_e32 v92, v92, v116
	v_add_f32_e32 v91, v91, v95
	;; [unrolled: 1-line block ×3, first 2 shown]
	s_waitcnt vmcnt(1)
	v_sub_f32_e32 v91, v111, v91
	s_waitcnt vmcnt(0)
	v_sub_f32_e32 v92, v112, v92
	buffer_store_dword v91, off, s[0:3], 0 offset:304
	buffer_store_dword v92, off, s[0:3], 0 offset:308
	s_and_saveexec_b64 s[4:5], vcc
	s_cbranch_execz .LBB107_203
; %bb.202:
	buffer_load_dword v91, off, s[0:3], 0 offset:296
	buffer_load_dword v92, off, s[0:3], 0 offset:300
	s_waitcnt vmcnt(0)
	ds_write_b64 v89, v[91:92]
	buffer_store_dword v90, off, s[0:3], 0 offset:296
	buffer_store_dword v90, off, s[0:3], 0 offset:300
.LBB107_203:
	s_or_b64 exec, exec, s[4:5]
	s_waitcnt lgkmcnt(0)
	; wave barrier
	buffer_load_dword v103, off, s[0:3], 0 offset:308
	buffer_load_dword v104, off, s[0:3], 0 offset:316
	;; [unrolled: 1-line block ×14, first 2 shown]
	ds_read_b128 v[91:94], v90 offset:656
	ds_read_b128 v[95:98], v90 offset:672
	;; [unrolled: 1-line block ×3, first 2 shown]
	v_cmp_lt_u32_e32 vcc, 36, v0
	s_waitcnt vmcnt(13) lgkmcnt(2)
	v_mul_f32_e32 v90, v91, v103
	v_mul_f32_e32 v103, v92, v103
	s_waitcnt vmcnt(12)
	v_mul_f32_e32 v117, v93, v104
	v_mul_f32_e32 v104, v94, v104
	s_waitcnt vmcnt(11) lgkmcnt(1)
	v_mul_f32_e32 v118, v95, v105
	v_mul_f32_e32 v105, v96, v105
	s_waitcnt vmcnt(7)
	v_fma_f32 v91, v91, v109, -v103
	v_fmac_f32_e32 v90, v92, v109
	s_waitcnt vmcnt(6)
	v_fma_f32 v92, v93, v110, -v104
	v_add_f32_e32 v91, 0, v91
	v_mul_f32_e32 v119, v97, v106
	v_mul_f32_e32 v106, v98, v106
	v_fmac_f32_e32 v117, v94, v110
	s_waitcnt vmcnt(5)
	v_fma_f32 v93, v95, v111, -v105
	v_add_f32_e32 v90, 0, v90
	v_add_f32_e32 v91, v91, v92
	s_waitcnt lgkmcnt(0)
	v_mul_f32_e32 v120, v99, v107
	v_mul_f32_e32 v107, v100, v107
	v_fmac_f32_e32 v118, v96, v111
	s_waitcnt vmcnt(4)
	v_fma_f32 v94, v97, v112, -v106
	v_add_f32_e32 v90, v90, v117
	v_add_f32_e32 v91, v91, v93
	v_mul_f32_e32 v121, v101, v108
	v_mul_f32_e32 v108, v102, v108
	v_fmac_f32_e32 v119, v98, v112
	s_waitcnt vmcnt(3)
	v_fma_f32 v95, v99, v113, -v107
	v_add_f32_e32 v90, v90, v118
	v_add_f32_e32 v91, v91, v94
	v_fmac_f32_e32 v120, v100, v113
	s_waitcnt vmcnt(2)
	v_fma_f32 v96, v101, v114, -v108
	v_add_f32_e32 v90, v90, v119
	v_add_f32_e32 v91, v91, v95
	v_fmac_f32_e32 v121, v102, v114
	v_add_f32_e32 v90, v90, v120
	v_add_f32_e32 v91, v91, v96
	;; [unrolled: 1-line block ×3, first 2 shown]
	s_waitcnt vmcnt(1)
	v_sub_f32_e32 v91, v115, v91
	s_waitcnt vmcnt(0)
	v_sub_f32_e32 v90, v116, v90
	buffer_store_dword v91, off, s[0:3], 0 offset:296
	buffer_store_dword v90, off, s[0:3], 0 offset:300
	s_and_saveexec_b64 s[4:5], vcc
	s_cbranch_execz .LBB107_205
; %bb.204:
	buffer_load_dword v90, off, s[0:3], 0 offset:288
	buffer_load_dword v91, off, s[0:3], 0 offset:292
	v_mov_b32_e32 v92, 0
	buffer_store_dword v92, off, s[0:3], 0 offset:288
	buffer_store_dword v92, off, s[0:3], 0 offset:292
	s_waitcnt vmcnt(2)
	ds_write_b64 v89, v[90:91]
.LBB107_205:
	s_or_b64 exec, exec, s[4:5]
	v_mov_b32_e32 v90, 0
	s_waitcnt lgkmcnt(0)
	; wave barrier
	ds_read2_b64 v[91:94], v90 offset0:81 offset1:82
	buffer_load_dword v105, off, s[0:3], 0 offset:288
	buffer_load_dword v106, off, s[0:3], 0 offset:292
	;; [unrolled: 1-line block ×16, first 2 shown]
	v_cmp_lt_u32_e32 vcc, 35, v0
	s_waitcnt vmcnt(12) lgkmcnt(0)
	v_mul_f32_e32 v95, v91, v108
	v_fmac_f32_e32 v95, v92, v107
	s_waitcnt vmcnt(10)
	v_mul_f32_e32 v96, v93, v110
	v_add_f32_e32 v95, 0, v95
	v_fmac_f32_e32 v96, v94, v109
	v_add_f32_e32 v99, v95, v96
	ds_read2_b64 v[95:98], v90 offset0:83 offset1:84
	v_mul_f32_e32 v92, v92, v108
	v_fma_f32 v91, v91, v107, -v92
	v_mul_f32_e32 v92, v94, v110
	v_add_f32_e32 v91, 0, v91
	s_waitcnt vmcnt(8) lgkmcnt(0)
	v_mul_f32_e32 v100, v95, v112
	v_fmac_f32_e32 v100, v96, v111
	v_add_f32_e32 v99, v99, v100
	s_waitcnt vmcnt(6)
	v_mul_f32_e32 v100, v97, v114
	v_fmac_f32_e32 v100, v98, v113
	v_add_f32_e32 v103, v99, v100
	ds_read2_b64 v[99:102], v90 offset0:85 offset1:86
	v_fma_f32 v92, v93, v109, -v92
	v_add_f32_e32 v91, v91, v92
	v_mul_f32_e32 v92, v96, v112
	v_fma_f32 v92, v95, v111, -v92
	s_waitcnt vmcnt(4) lgkmcnt(0)
	v_mul_f32_e32 v104, v99, v116
	v_fmac_f32_e32 v104, v100, v115
	v_add_f32_e32 v103, v103, v104
	s_waitcnt vmcnt(2)
	v_mul_f32_e32 v104, v101, v118
	v_fmac_f32_e32 v104, v102, v117
	v_add_f32_e32 v91, v91, v92
	v_mul_f32_e32 v92, v98, v114
	v_add_f32_e32 v121, v103, v104
	ds_read_b64 v[103:104], v90 offset:696
	v_fma_f32 v92, v97, v113, -v92
	v_add_f32_e32 v91, v91, v92
	v_mul_f32_e32 v92, v100, v116
	v_fma_f32 v92, v99, v115, -v92
	v_add_f32_e32 v91, v91, v92
	v_mul_f32_e32 v92, v102, v118
	v_fma_f32 v92, v101, v117, -v92
	v_add_f32_e32 v91, v91, v92
	s_waitcnt vmcnt(0) lgkmcnt(0)
	v_mul_f32_e32 v92, v104, v120
	v_mul_f32_e32 v122, v103, v120
	v_fma_f32 v92, v103, v119, -v92
	v_fmac_f32_e32 v122, v104, v119
	v_add_f32_e32 v91, v91, v92
	v_add_f32_e32 v121, v121, v122
	v_sub_f32_e32 v91, v105, v91
	v_sub_f32_e32 v92, v106, v121
	buffer_store_dword v91, off, s[0:3], 0 offset:288
	buffer_store_dword v92, off, s[0:3], 0 offset:292
	s_and_saveexec_b64 s[4:5], vcc
	s_cbranch_execz .LBB107_207
; %bb.206:
	buffer_load_dword v91, off, s[0:3], 0 offset:280
	buffer_load_dword v92, off, s[0:3], 0 offset:284
	s_waitcnt vmcnt(0)
	ds_write_b64 v89, v[91:92]
	buffer_store_dword v90, off, s[0:3], 0 offset:280
	buffer_store_dword v90, off, s[0:3], 0 offset:284
.LBB107_207:
	s_or_b64 exec, exec, s[4:5]
	s_waitcnt lgkmcnt(0)
	; wave barrier
	ds_read_b128 v[91:94], v90 offset:640
	ds_read_b128 v[95:98], v90 offset:656
	;; [unrolled: 1-line block ×4, first 2 shown]
	buffer_load_dword v90, off, s[0:3], 0 offset:280
	buffer_load_dword v107, off, s[0:3], 0 offset:284
	;; [unrolled: 1-line block ×16, first 2 shown]
	v_cmp_lt_u32_e32 vcc, 34, v0
	s_waitcnt vmcnt(12) lgkmcnt(3)
	v_mul_f32_e32 v122, v91, v109
	v_fmac_f32_e32 v122, v92, v108
	s_waitcnt vmcnt(10)
	v_mul_f32_e32 v123, v93, v111
	v_add_f32_e32 v122, 0, v122
	v_fmac_f32_e32 v123, v94, v110
	v_add_f32_e32 v122, v122, v123
	s_waitcnt vmcnt(8) lgkmcnt(2)
	v_mul_f32_e32 v123, v95, v113
	v_fmac_f32_e32 v123, v96, v112
	v_add_f32_e32 v122, v122, v123
	s_waitcnt vmcnt(6)
	v_mul_f32_e32 v123, v97, v115
	v_fmac_f32_e32 v123, v98, v114
	v_add_f32_e32 v122, v122, v123
	s_waitcnt vmcnt(4) lgkmcnt(1)
	v_mul_f32_e32 v123, v99, v117
	v_fmac_f32_e32 v123, v100, v116
	v_add_f32_e32 v122, v122, v123
	s_waitcnt vmcnt(2)
	v_mul_f32_e32 v123, v101, v119
	v_fmac_f32_e32 v123, v102, v118
	v_add_f32_e32 v122, v122, v123
	s_waitcnt vmcnt(0) lgkmcnt(0)
	v_mul_f32_e32 v123, v103, v121
	v_fmac_f32_e32 v123, v104, v120
	v_add_f32_e32 v122, v122, v123
	buffer_load_dword v123, off, s[0:3], 0 offset:344
	buffer_load_dword v124, off, s[0:3], 0 offset:348
	v_mul_f32_e32 v92, v92, v109
	v_fma_f32 v91, v91, v108, -v92
	v_mul_f32_e32 v92, v94, v111
	v_add_f32_e32 v91, 0, v91
	v_fma_f32 v92, v93, v110, -v92
	v_add_f32_e32 v91, v91, v92
	v_mul_f32_e32 v92, v96, v113
	v_fma_f32 v92, v95, v112, -v92
	v_add_f32_e32 v91, v91, v92
	v_mul_f32_e32 v92, v98, v115
	;; [unrolled: 3-line block ×5, first 2 shown]
	v_fma_f32 v92, v103, v120, -v92
	v_add_f32_e32 v91, v91, v92
	s_waitcnt vmcnt(0)
	v_mul_f32_e32 v92, v106, v124
	v_mul_f32_e32 v125, v105, v124
	v_fma_f32 v92, v105, v123, -v92
	v_fmac_f32_e32 v125, v106, v123
	v_add_f32_e32 v91, v91, v92
	v_add_f32_e32 v122, v122, v125
	v_sub_f32_e32 v90, v90, v91
	v_sub_f32_e32 v91, v107, v122
	buffer_store_dword v90, off, s[0:3], 0 offset:280
	buffer_store_dword v91, off, s[0:3], 0 offset:284
	s_and_saveexec_b64 s[4:5], vcc
	s_cbranch_execz .LBB107_209
; %bb.208:
	buffer_load_dword v90, off, s[0:3], 0 offset:272
	buffer_load_dword v91, off, s[0:3], 0 offset:276
	v_mov_b32_e32 v92, 0
	buffer_store_dword v92, off, s[0:3], 0 offset:272
	buffer_store_dword v92, off, s[0:3], 0 offset:276
	s_waitcnt vmcnt(2)
	ds_write_b64 v89, v[90:91]
.LBB107_209:
	s_or_b64 exec, exec, s[4:5]
	s_waitcnt lgkmcnt(0)
	; wave barrier
	buffer_load_dword v109, off, s[0:3], 0 offset:284
	buffer_load_dword v110, off, s[0:3], 0 offset:292
	;; [unrolled: 1-line block ×20, first 2 shown]
	v_mov_b32_e32 v90, 0
	ds_read2_b64 v[91:94], v90 offset0:79 offset1:80
	ds_read2_b64 v[95:98], v90 offset0:81 offset1:82
	ds_read2_b64 v[99:102], v90 offset0:83 offset1:84
	ds_read2_b64 v[103:106], v90 offset0:85 offset1:86
	ds_read_b64 v[107:108], v90 offset:696
	v_cmp_lt_u32_e32 vcc, 33, v0
	s_waitcnt vmcnt(19) lgkmcnt(4)
	v_mul_f32_e32 v129, v91, v109
	v_mul_f32_e32 v109, v92, v109
	s_waitcnt vmcnt(18)
	v_mul_f32_e32 v130, v93, v110
	v_mul_f32_e32 v110, v94, v110
	s_waitcnt vmcnt(17) lgkmcnt(3)
	v_mul_f32_e32 v131, v95, v111
	s_waitcnt vmcnt(15) lgkmcnt(2)
	v_mul_f32_e32 v133, v99, v113
	v_mul_f32_e32 v111, v96, v111
	;; [unrolled: 1-line block ×4, first 2 shown]
	s_waitcnt vmcnt(10)
	v_fma_f32 v91, v91, v118, -v109
	v_fmac_f32_e32 v129, v92, v118
	s_waitcnt vmcnt(9)
	v_fma_f32 v92, v93, v119, -v110
	v_add_f32_e32 v91, 0, v91
	v_mul_f32_e32 v113, v100, v113
	v_fmac_f32_e32 v130, v94, v119
	s_waitcnt vmcnt(6)
	v_fmac_f32_e32 v133, v100, v122
	v_fma_f32 v93, v95, v120, -v111
	v_add_f32_e32 v100, 0, v129
	v_add_f32_e32 v91, v91, v92
	v_fmac_f32_e32 v131, v96, v120
	v_fma_f32 v94, v97, v121, -v112
	v_add_f32_e32 v100, v100, v130
	v_add_f32_e32 v91, v91, v93
	v_mul_f32_e32 v134, v101, v114
	v_mul_f32_e32 v114, v102, v114
	v_fmac_f32_e32 v132, v98, v121
	v_fma_f32 v95, v99, v122, -v113
	v_add_f32_e32 v92, v100, v131
	v_add_f32_e32 v91, v91, v94
	s_waitcnt lgkmcnt(1)
	v_mul_f32_e32 v135, v103, v115
	v_mul_f32_e32 v115, v104, v115
	s_waitcnt vmcnt(5)
	v_fma_f32 v96, v101, v123, -v114
	v_add_f32_e32 v92, v92, v132
	v_add_f32_e32 v91, v91, v95
	v_mul_f32_e32 v136, v105, v116
	v_mul_f32_e32 v116, v106, v116
	v_fmac_f32_e32 v134, v102, v123
	s_waitcnt vmcnt(4)
	v_fma_f32 v97, v103, v124, -v115
	v_add_f32_e32 v92, v92, v133
	v_add_f32_e32 v91, v91, v96
	s_waitcnt lgkmcnt(0)
	v_mul_f32_e32 v137, v107, v117
	v_mul_f32_e32 v117, v108, v117
	v_fmac_f32_e32 v135, v104, v124
	s_waitcnt vmcnt(3)
	v_fma_f32 v98, v105, v125, -v116
	v_add_f32_e32 v92, v92, v134
	v_add_f32_e32 v91, v91, v97
	v_fmac_f32_e32 v136, v106, v125
	s_waitcnt vmcnt(2)
	v_fma_f32 v99, v107, v126, -v117
	v_add_f32_e32 v92, v92, v135
	v_add_f32_e32 v91, v91, v98
	v_fmac_f32_e32 v137, v108, v126
	v_add_f32_e32 v92, v92, v136
	v_add_f32_e32 v91, v91, v99
	;; [unrolled: 1-line block ×3, first 2 shown]
	s_waitcnt vmcnt(1)
	v_sub_f32_e32 v91, v127, v91
	s_waitcnt vmcnt(0)
	v_sub_f32_e32 v92, v128, v92
	buffer_store_dword v91, off, s[0:3], 0 offset:272
	buffer_store_dword v92, off, s[0:3], 0 offset:276
	s_and_saveexec_b64 s[4:5], vcc
	s_cbranch_execz .LBB107_211
; %bb.210:
	buffer_load_dword v91, off, s[0:3], 0 offset:264
	buffer_load_dword v92, off, s[0:3], 0 offset:268
	s_waitcnt vmcnt(0)
	ds_write_b64 v89, v[91:92]
	buffer_store_dword v90, off, s[0:3], 0 offset:264
	buffer_store_dword v90, off, s[0:3], 0 offset:268
.LBB107_211:
	s_or_b64 exec, exec, s[4:5]
	s_waitcnt lgkmcnt(0)
	; wave barrier
	buffer_load_dword v111, off, s[0:3], 0 offset:276
	buffer_load_dword v112, off, s[0:3], 0 offset:284
	;; [unrolled: 1-line block ×22, first 2 shown]
	ds_read_b128 v[91:94], v90 offset:624
	ds_read_b128 v[95:98], v90 offset:640
	;; [unrolled: 1-line block ×5, first 2 shown]
	v_cmp_lt_u32_e32 vcc, 32, v0
	s_waitcnt vmcnt(21) lgkmcnt(4)
	v_mul_f32_e32 v90, v91, v111
	v_mul_f32_e32 v111, v92, v111
	s_waitcnt vmcnt(20)
	v_mul_f32_e32 v133, v93, v112
	v_mul_f32_e32 v112, v94, v112
	s_waitcnt vmcnt(19) lgkmcnt(3)
	v_mul_f32_e32 v134, v95, v113
	v_mul_f32_e32 v113, v96, v113
	s_waitcnt vmcnt(18)
	v_mul_f32_e32 v135, v97, v114
	v_mul_f32_e32 v114, v98, v114
	s_waitcnt vmcnt(17) lgkmcnt(2)
	v_mul_f32_e32 v136, v99, v115
	v_mul_f32_e32 v115, v100, v115
	s_waitcnt vmcnt(11)
	v_fma_f32 v91, v91, v121, -v111
	v_fmac_f32_e32 v90, v92, v121
	s_waitcnt vmcnt(10)
	v_fma_f32 v92, v93, v122, -v112
	v_add_f32_e32 v91, 0, v91
	v_fmac_f32_e32 v133, v94, v122
	s_waitcnt vmcnt(9)
	v_fma_f32 v93, v95, v123, -v113
	v_add_f32_e32 v90, 0, v90
	v_add_f32_e32 v91, v91, v92
	v_fmac_f32_e32 v134, v96, v123
	s_waitcnt vmcnt(8)
	v_fma_f32 v94, v97, v124, -v114
	v_add_f32_e32 v90, v90, v133
	v_add_f32_e32 v91, v91, v93
	v_mul_f32_e32 v137, v101, v116
	v_mul_f32_e32 v116, v102, v116
	v_fmac_f32_e32 v135, v98, v124
	s_waitcnt vmcnt(7)
	v_fma_f32 v95, v99, v125, -v115
	v_add_f32_e32 v90, v90, v134
	v_add_f32_e32 v91, v91, v94
	s_waitcnt lgkmcnt(1)
	v_mul_f32_e32 v138, v103, v117
	v_mul_f32_e32 v117, v104, v117
	v_fmac_f32_e32 v136, v100, v125
	s_waitcnt vmcnt(6)
	v_fma_f32 v96, v101, v126, -v116
	v_add_f32_e32 v90, v90, v135
	v_add_f32_e32 v91, v91, v95
	v_mul_f32_e32 v139, v105, v118
	v_mul_f32_e32 v118, v106, v118
	v_fmac_f32_e32 v137, v102, v126
	s_waitcnt vmcnt(5)
	v_fma_f32 v97, v103, v127, -v117
	v_add_f32_e32 v90, v90, v136
	v_add_f32_e32 v91, v91, v96
	s_waitcnt lgkmcnt(0)
	v_mul_f32_e32 v140, v107, v119
	v_mul_f32_e32 v119, v108, v119
	v_fmac_f32_e32 v138, v104, v127
	s_waitcnt vmcnt(4)
	v_fma_f32 v98, v105, v128, -v118
	v_add_f32_e32 v90, v90, v137
	v_add_f32_e32 v91, v91, v97
	v_mul_f32_e32 v141, v109, v120
	v_mul_f32_e32 v120, v110, v120
	v_fmac_f32_e32 v139, v106, v128
	s_waitcnt vmcnt(3)
	v_fma_f32 v99, v107, v129, -v119
	v_add_f32_e32 v90, v90, v138
	v_add_f32_e32 v91, v91, v98
	v_fmac_f32_e32 v140, v108, v129
	s_waitcnt vmcnt(2)
	v_fma_f32 v100, v109, v130, -v120
	v_add_f32_e32 v90, v90, v139
	v_add_f32_e32 v91, v91, v99
	v_fmac_f32_e32 v141, v110, v130
	v_add_f32_e32 v90, v90, v140
	v_add_f32_e32 v91, v91, v100
	;; [unrolled: 1-line block ×3, first 2 shown]
	s_waitcnt vmcnt(1)
	v_sub_f32_e32 v91, v131, v91
	s_waitcnt vmcnt(0)
	v_sub_f32_e32 v90, v132, v90
	buffer_store_dword v91, off, s[0:3], 0 offset:264
	buffer_store_dword v90, off, s[0:3], 0 offset:268
	s_and_saveexec_b64 s[4:5], vcc
	s_cbranch_execz .LBB107_213
; %bb.212:
	buffer_load_dword v90, off, s[0:3], 0 offset:256
	buffer_load_dword v91, off, s[0:3], 0 offset:260
	v_mov_b32_e32 v92, 0
	buffer_store_dword v92, off, s[0:3], 0 offset:256
	buffer_store_dword v92, off, s[0:3], 0 offset:260
	s_waitcnt vmcnt(2)
	ds_write_b64 v89, v[90:91]
.LBB107_213:
	s_or_b64 exec, exec, s[4:5]
	s_waitcnt lgkmcnt(0)
	; wave barrier
	buffer_load_dword v113, off, s[0:3], 0 offset:268
	buffer_load_dword v114, off, s[0:3], 0 offset:276
	;; [unrolled: 1-line block ×24, first 2 shown]
	v_mov_b32_e32 v90, 0
	ds_read2_b64 v[91:94], v90 offset0:77 offset1:78
	ds_read2_b64 v[95:98], v90 offset0:79 offset1:80
	;; [unrolled: 1-line block ×5, first 2 shown]
	ds_read_b64 v[111:112], v90 offset:696
	v_cmp_lt_u32_e32 vcc, 31, v0
	s_waitcnt vmcnt(23) lgkmcnt(5)
	v_mul_f32_e32 v137, v91, v113
	v_mul_f32_e32 v113, v92, v113
	s_waitcnt vmcnt(22)
	v_mul_f32_e32 v138, v93, v114
	v_mul_f32_e32 v114, v94, v114
	s_waitcnt vmcnt(21) lgkmcnt(4)
	v_mul_f32_e32 v139, v95, v115
	v_mul_f32_e32 v115, v96, v115
	s_waitcnt vmcnt(20)
	v_mul_f32_e32 v140, v97, v116
	s_waitcnt vmcnt(19) lgkmcnt(3)
	v_mul_f32_e32 v141, v99, v117
	v_mul_f32_e32 v116, v98, v116
	;; [unrolled: 1-line block ×3, first 2 shown]
	s_waitcnt vmcnt(18)
	v_mul_f32_e32 v142, v101, v118
	s_waitcnt vmcnt(12)
	v_fma_f32 v91, v91, v124, -v113
	v_fmac_f32_e32 v137, v92, v124
	s_waitcnt vmcnt(11)
	v_fma_f32 v92, v93, v125, -v114
	v_add_f32_e32 v91, 0, v91
	s_waitcnt vmcnt(10)
	v_fma_f32 v93, v95, v126, -v115
	v_add_f32_e32 v91, v91, v92
	v_fmac_f32_e32 v138, v94, v125
	s_waitcnt vmcnt(8)
	v_fmac_f32_e32 v141, v100, v128
	v_fma_f32 v94, v97, v127, -v116
	v_add_f32_e32 v100, 0, v137
	v_add_f32_e32 v91, v91, v93
	v_mul_f32_e32 v118, v102, v118
	v_fmac_f32_e32 v139, v96, v126
	v_fma_f32 v95, v99, v128, -v117
	v_add_f32_e32 v100, v100, v138
	v_add_f32_e32 v91, v91, v94
	s_waitcnt lgkmcnt(2)
	v_mul_f32_e32 v143, v103, v119
	v_mul_f32_e32 v119, v104, v119
	v_fmac_f32_e32 v140, v98, v127
	s_waitcnt vmcnt(7)
	v_fma_f32 v96, v101, v129, -v118
	v_add_f32_e32 v92, v100, v139
	v_add_f32_e32 v91, v91, v95
	v_mul_f32_e32 v144, v105, v120
	v_mul_f32_e32 v120, v106, v120
	s_waitcnt vmcnt(6)
	v_fma_f32 v97, v103, v130, -v119
	v_add_f32_e32 v92, v92, v140
	v_add_f32_e32 v91, v91, v96
	s_waitcnt lgkmcnt(1)
	v_mul_f32_e32 v145, v107, v121
	v_mul_f32_e32 v121, v108, v121
	v_fmac_f32_e32 v142, v102, v129
	s_waitcnt vmcnt(5)
	v_fma_f32 v98, v105, v131, -v120
	v_add_f32_e32 v92, v92, v141
	v_add_f32_e32 v91, v91, v97
	v_fmac_f32_e32 v143, v104, v130
	s_waitcnt vmcnt(4)
	v_fma_f32 v99, v107, v132, -v121
	v_add_f32_e32 v92, v92, v142
	v_add_f32_e32 v91, v91, v98
	v_mul_f32_e32 v93, v110, v122
	v_fmac_f32_e32 v144, v106, v131
	v_add_f32_e32 v92, v92, v143
	v_add_f32_e32 v91, v91, v99
	s_waitcnt vmcnt(3)
	v_fma_f32 v93, v109, v133, -v93
	v_mul_f32_e32 v146, v109, v122
	v_fmac_f32_e32 v145, v108, v132
	v_add_f32_e32 v92, v92, v144
	v_add_f32_e32 v91, v91, v93
	s_waitcnt lgkmcnt(0)
	v_mul_f32_e32 v93, v112, v123
	v_mul_f32_e32 v147, v111, v123
	v_fmac_f32_e32 v146, v110, v133
	v_add_f32_e32 v92, v92, v145
	s_waitcnt vmcnt(2)
	v_fma_f32 v93, v111, v134, -v93
	v_fmac_f32_e32 v147, v112, v134
	v_add_f32_e32 v92, v92, v146
	v_add_f32_e32 v91, v91, v93
	v_add_f32_e32 v92, v92, v147
	s_waitcnt vmcnt(1)
	v_sub_f32_e32 v91, v135, v91
	s_waitcnt vmcnt(0)
	v_sub_f32_e32 v92, v136, v92
	buffer_store_dword v91, off, s[0:3], 0 offset:256
	buffer_store_dword v92, off, s[0:3], 0 offset:260
	s_and_saveexec_b64 s[4:5], vcc
	s_cbranch_execz .LBB107_215
; %bb.214:
	buffer_load_dword v91, off, s[0:3], 0 offset:248
	buffer_load_dword v92, off, s[0:3], 0 offset:252
	s_waitcnt vmcnt(0)
	ds_write_b64 v89, v[91:92]
	buffer_store_dword v90, off, s[0:3], 0 offset:248
	buffer_store_dword v90, off, s[0:3], 0 offset:252
.LBB107_215:
	s_or_b64 exec, exec, s[4:5]
	s_waitcnt lgkmcnt(0)
	; wave barrier
	buffer_load_dword v115, off, s[0:3], 0 offset:260
	buffer_load_dword v116, off, s[0:3], 0 offset:268
	;; [unrolled: 1-line block ×26, first 2 shown]
	ds_read_b128 v[91:94], v90 offset:608
	ds_read_b128 v[95:98], v90 offset:624
	;; [unrolled: 1-line block ×6, first 2 shown]
	v_cmp_lt_u32_e32 vcc, 30, v0
	s_waitcnt vmcnt(25) lgkmcnt(5)
	v_mul_f32_e32 v90, v91, v115
	v_mul_f32_e32 v115, v92, v115
	s_waitcnt vmcnt(24)
	v_mul_f32_e32 v141, v93, v116
	v_mul_f32_e32 v116, v94, v116
	s_waitcnt vmcnt(23) lgkmcnt(4)
	v_mul_f32_e32 v142, v95, v117
	v_mul_f32_e32 v117, v96, v117
	s_waitcnt vmcnt(22)
	v_mul_f32_e32 v143, v97, v118
	v_mul_f32_e32 v118, v98, v118
	;; [unrolled: 6-line block ×3, first 2 shown]
	s_waitcnt vmcnt(13)
	v_fma_f32 v91, v91, v127, -v115
	v_fmac_f32_e32 v90, v92, v127
	s_waitcnt vmcnt(12)
	v_fma_f32 v92, v93, v128, -v116
	v_add_f32_e32 v91, 0, v91
	s_waitcnt vmcnt(11)
	v_fma_f32 v93, v95, v129, -v117
	v_add_f32_e32 v91, v91, v92
	v_fmac_f32_e32 v141, v94, v128
	s_waitcnt vmcnt(10)
	v_fma_f32 v94, v97, v130, -v118
	v_add_f32_e32 v91, v91, v93
	s_waitcnt vmcnt(9)
	v_fma_f32 v95, v99, v131, -v119
	v_add_f32_e32 v91, v91, v94
	s_waitcnt lgkmcnt(2)
	v_mul_f32_e32 v146, v103, v121
	v_mul_f32_e32 v121, v104, v121
	v_fmac_f32_e32 v142, v96, v129
	s_waitcnt vmcnt(8)
	v_fma_f32 v96, v101, v132, -v120
	v_add_f32_e32 v90, 0, v90
	v_add_f32_e32 v91, v91, v95
	v_mul_f32_e32 v147, v105, v122
	v_mul_f32_e32 v122, v106, v122
	s_waitcnt vmcnt(7)
	v_fma_f32 v97, v103, v133, -v121
	v_add_f32_e32 v90, v90, v141
	v_add_f32_e32 v91, v91, v96
	v_fmac_f32_e32 v143, v98, v130
	s_waitcnt vmcnt(6)
	v_fma_f32 v98, v105, v134, -v122
	v_add_f32_e32 v90, v90, v142
	v_add_f32_e32 v91, v91, v97
	s_waitcnt lgkmcnt(1)
	v_mul_f32_e32 v92, v108, v123
	v_fmac_f32_e32 v144, v100, v131
	v_add_f32_e32 v90, v90, v143
	v_add_f32_e32 v91, v91, v98
	s_waitcnt vmcnt(5)
	v_fma_f32 v92, v107, v135, -v92
	v_fmac_f32_e32 v145, v102, v132
	v_add_f32_e32 v90, v90, v144
	v_add_f32_e32 v91, v91, v92
	v_mul_f32_e32 v92, v110, v124
	v_fmac_f32_e32 v146, v104, v133
	v_add_f32_e32 v90, v90, v145
	s_waitcnt vmcnt(4)
	v_fma_f32 v92, v109, v136, -v92
	v_mul_f32_e32 v148, v107, v123
	v_fmac_f32_e32 v147, v106, v134
	v_add_f32_e32 v90, v90, v146
	v_add_f32_e32 v91, v91, v92
	s_waitcnt lgkmcnt(0)
	v_mul_f32_e32 v92, v112, v125
	v_mul_f32_e32 v149, v109, v124
	v_fmac_f32_e32 v148, v108, v135
	v_add_f32_e32 v90, v90, v147
	s_waitcnt vmcnt(3)
	v_fma_f32 v92, v111, v137, -v92
	v_mul_f32_e32 v150, v111, v125
	v_fmac_f32_e32 v149, v110, v136
	v_add_f32_e32 v90, v90, v148
	v_add_f32_e32 v91, v91, v92
	v_mul_f32_e32 v92, v114, v126
	v_mul_f32_e32 v151, v113, v126
	v_fmac_f32_e32 v150, v112, v137
	v_add_f32_e32 v90, v90, v149
	s_waitcnt vmcnt(2)
	v_fma_f32 v92, v113, v138, -v92
	v_fmac_f32_e32 v151, v114, v138
	v_add_f32_e32 v90, v90, v150
	v_add_f32_e32 v91, v91, v92
	;; [unrolled: 1-line block ×3, first 2 shown]
	s_waitcnt vmcnt(1)
	v_sub_f32_e32 v91, v139, v91
	s_waitcnt vmcnt(0)
	v_sub_f32_e32 v90, v140, v90
	buffer_store_dword v91, off, s[0:3], 0 offset:248
	buffer_store_dword v90, off, s[0:3], 0 offset:252
	s_and_saveexec_b64 s[4:5], vcc
	s_cbranch_execz .LBB107_217
; %bb.216:
	buffer_load_dword v90, off, s[0:3], 0 offset:240
	buffer_load_dword v91, off, s[0:3], 0 offset:244
	v_mov_b32_e32 v92, 0
	buffer_store_dword v92, off, s[0:3], 0 offset:240
	buffer_store_dword v92, off, s[0:3], 0 offset:244
	s_waitcnt vmcnt(2)
	ds_write_b64 v89, v[90:91]
.LBB107_217:
	s_or_b64 exec, exec, s[4:5]
	s_waitcnt lgkmcnt(0)
	; wave barrier
	buffer_load_dword v117, off, s[0:3], 0 offset:252
	buffer_load_dword v118, off, s[0:3], 0 offset:260
	;; [unrolled: 1-line block ×28, first 2 shown]
	v_mov_b32_e32 v90, 0
	ds_read2_b64 v[91:94], v90 offset0:75 offset1:76
	ds_read2_b64 v[95:98], v90 offset0:77 offset1:78
	;; [unrolled: 1-line block ×6, first 2 shown]
	ds_read_b64 v[115:116], v90 offset:696
	v_cmp_lt_u32_e32 vcc, 29, v0
	s_waitcnt vmcnt(27) lgkmcnt(6)
	v_mul_f32_e32 v145, v91, v117
	v_mul_f32_e32 v117, v92, v117
	s_waitcnt vmcnt(26)
	v_mul_f32_e32 v146, v93, v118
	v_mul_f32_e32 v118, v94, v118
	s_waitcnt vmcnt(25) lgkmcnt(5)
	v_mul_f32_e32 v147, v95, v119
	v_mul_f32_e32 v119, v96, v119
	s_waitcnt vmcnt(24)
	v_mul_f32_e32 v148, v97, v120
	v_mul_f32_e32 v120, v98, v120
	;; [unrolled: 6-line block ×3, first 2 shown]
	s_waitcnt vmcnt(21) lgkmcnt(3)
	v_mul_f32_e32 v151, v103, v123
	s_waitcnt vmcnt(14)
	v_fma_f32 v91, v91, v130, -v117
	v_fmac_f32_e32 v145, v92, v130
	s_waitcnt vmcnt(13)
	v_fma_f32 v92, v93, v131, -v118
	v_add_f32_e32 v91, 0, v91
	s_waitcnt vmcnt(12)
	v_fma_f32 v93, v95, v132, -v119
	v_add_f32_e32 v91, v91, v92
	v_fmac_f32_e32 v146, v94, v131
	s_waitcnt vmcnt(11)
	v_fma_f32 v94, v97, v133, -v120
	v_add_f32_e32 v91, v91, v93
	s_waitcnt vmcnt(10)
	v_fma_f32 v95, v99, v134, -v121
	v_add_f32_e32 v91, v91, v94
	v_fmac_f32_e32 v147, v96, v132
	s_waitcnt vmcnt(9)
	v_fma_f32 v96, v101, v135, -v122
	v_add_f32_e32 v91, v91, v95
	v_mul_f32_e32 v93, v104, v123
	v_add_f32_e32 v91, v91, v96
	s_waitcnt vmcnt(8)
	v_fma_f32 v93, v103, v136, -v93
	v_add_f32_e32 v91, v91, v93
	v_mul_f32_e32 v93, v106, v124
	v_add_f32_e32 v97, 0, v145
	s_waitcnt vmcnt(7)
	v_fma_f32 v93, v105, v137, -v93
	v_add_f32_e32 v97, v97, v146
	v_add_f32_e32 v91, v91, v93
	s_waitcnt lgkmcnt(2)
	v_mul_f32_e32 v93, v108, v125
	v_fmac_f32_e32 v148, v98, v133
	v_add_f32_e32 v92, v97, v147
	s_waitcnt vmcnt(6)
	v_fma_f32 v93, v107, v138, -v93
	v_fmac_f32_e32 v149, v100, v134
	v_add_f32_e32 v92, v92, v148
	v_add_f32_e32 v91, v91, v93
	v_mul_f32_e32 v93, v110, v126
	v_fmac_f32_e32 v150, v102, v135
	v_add_f32_e32 v92, v92, v149
	s_waitcnt vmcnt(5)
	v_fma_f32 v93, v109, v139, -v93
	v_mul_f32_e32 v152, v105, v124
	v_fmac_f32_e32 v151, v104, v136
	v_add_f32_e32 v92, v92, v150
	v_add_f32_e32 v91, v91, v93
	s_waitcnt lgkmcnt(1)
	v_mul_f32_e32 v93, v112, v127
	v_mul_f32_e32 v153, v107, v125
	v_fmac_f32_e32 v152, v106, v137
	v_add_f32_e32 v92, v92, v151
	s_waitcnt vmcnt(4)
	v_fma_f32 v93, v111, v140, -v93
	v_mul_f32_e32 v154, v109, v126
	v_fmac_f32_e32 v153, v108, v138
	v_add_f32_e32 v92, v92, v152
	v_add_f32_e32 v91, v91, v93
	v_mul_f32_e32 v93, v114, v128
	v_mul_f32_e32 v155, v111, v127
	v_fmac_f32_e32 v154, v110, v139
	v_add_f32_e32 v92, v92, v153
	s_waitcnt vmcnt(3)
	v_fma_f32 v93, v113, v141, -v93
	v_mul_f32_e32 v156, v113, v128
	v_fmac_f32_e32 v155, v112, v140
	v_add_f32_e32 v92, v92, v154
	v_add_f32_e32 v91, v91, v93
	s_waitcnt lgkmcnt(0)
	v_mul_f32_e32 v93, v116, v129
	v_mul_f32_e32 v157, v115, v129
	v_fmac_f32_e32 v156, v114, v141
	v_add_f32_e32 v92, v92, v155
	s_waitcnt vmcnt(2)
	v_fma_f32 v93, v115, v142, -v93
	v_fmac_f32_e32 v157, v116, v142
	v_add_f32_e32 v92, v92, v156
	v_add_f32_e32 v91, v91, v93
	v_add_f32_e32 v92, v92, v157
	s_waitcnt vmcnt(1)
	v_sub_f32_e32 v91, v143, v91
	s_waitcnt vmcnt(0)
	v_sub_f32_e32 v92, v144, v92
	buffer_store_dword v91, off, s[0:3], 0 offset:240
	buffer_store_dword v92, off, s[0:3], 0 offset:244
	s_and_saveexec_b64 s[4:5], vcc
	s_cbranch_execz .LBB107_219
; %bb.218:
	buffer_load_dword v91, off, s[0:3], 0 offset:232
	buffer_load_dword v92, off, s[0:3], 0 offset:236
	s_waitcnt vmcnt(0)
	ds_write_b64 v89, v[91:92]
	buffer_store_dword v90, off, s[0:3], 0 offset:232
	buffer_store_dword v90, off, s[0:3], 0 offset:236
.LBB107_219:
	s_or_b64 exec, exec, s[4:5]
	s_waitcnt lgkmcnt(0)
	; wave barrier
	buffer_load_dword v119, off, s[0:3], 0 offset:244
	buffer_load_dword v120, off, s[0:3], 0 offset:252
	buffer_load_dword v121, off, s[0:3], 0 offset:260
	buffer_load_dword v122, off, s[0:3], 0 offset:268
	buffer_load_dword v123, off, s[0:3], 0 offset:276
	buffer_load_dword v124, off, s[0:3], 0 offset:284
	buffer_load_dword v125, off, s[0:3], 0 offset:292
	buffer_load_dword v126, off, s[0:3], 0 offset:300
	buffer_load_dword v127, off, s[0:3], 0 offset:308
	buffer_load_dword v128, off, s[0:3], 0 offset:316
	buffer_load_dword v129, off, s[0:3], 0 offset:324
	buffer_load_dword v130, off, s[0:3], 0 offset:332
	buffer_load_dword v131, off, s[0:3], 0 offset:340
	buffer_load_dword v132, off, s[0:3], 0 offset:348
	buffer_load_dword v133, off, s[0:3], 0 offset:240
	buffer_load_dword v134, off, s[0:3], 0 offset:248
	buffer_load_dword v135, off, s[0:3], 0 offset:256
	buffer_load_dword v136, off, s[0:3], 0 offset:264
	buffer_load_dword v137, off, s[0:3], 0 offset:272
	buffer_load_dword v138, off, s[0:3], 0 offset:280
	buffer_load_dword v139, off, s[0:3], 0 offset:288
	buffer_load_dword v140, off, s[0:3], 0 offset:296
	buffer_load_dword v141, off, s[0:3], 0 offset:304
	buffer_load_dword v142, off, s[0:3], 0 offset:312
	buffer_load_dword v143, off, s[0:3], 0 offset:320
	buffer_load_dword v144, off, s[0:3], 0 offset:328
	buffer_load_dword v145, off, s[0:3], 0 offset:336
	buffer_load_dword v146, off, s[0:3], 0 offset:344
	buffer_load_dword v147, off, s[0:3], 0 offset:232
	buffer_load_dword v148, off, s[0:3], 0 offset:236
	ds_read_b128 v[91:94], v90 offset:592
	ds_read_b128 v[95:98], v90 offset:608
	;; [unrolled: 1-line block ×7, first 2 shown]
	v_cmp_lt_u32_e32 vcc, 28, v0
	s_waitcnt vmcnt(29) lgkmcnt(6)
	v_mul_f32_e32 v90, v91, v119
	v_mul_f32_e32 v119, v92, v119
	s_waitcnt vmcnt(28)
	v_mul_f32_e32 v149, v93, v120
	v_mul_f32_e32 v120, v94, v120
	s_waitcnt vmcnt(27) lgkmcnt(5)
	v_mul_f32_e32 v150, v95, v121
	v_mul_f32_e32 v121, v96, v121
	s_waitcnt vmcnt(26)
	v_mul_f32_e32 v151, v97, v122
	v_mul_f32_e32 v122, v98, v122
	s_waitcnt vmcnt(25) lgkmcnt(4)
	v_mul_f32_e32 v152, v99, v123
	v_mul_f32_e32 v123, v100, v123
	s_waitcnt vmcnt(24)
	v_mul_f32_e32 v153, v101, v124
	s_waitcnt vmcnt(23) lgkmcnt(3)
	v_mul_f32_e32 v154, v103, v125
	s_waitcnt vmcnt(22)
	v_mul_f32_e32 v155, v105, v126
	s_waitcnt vmcnt(21) lgkmcnt(2)
	v_mul_f32_e32 v156, v107, v127
	s_waitcnt vmcnt(15)
	v_fma_f32 v91, v91, v133, -v119
	v_fmac_f32_e32 v90, v92, v133
	s_waitcnt vmcnt(14)
	v_fma_f32 v92, v93, v134, -v120
	v_add_f32_e32 v91, 0, v91
	s_waitcnt vmcnt(13)
	v_fma_f32 v93, v95, v135, -v121
	v_add_f32_e32 v91, v91, v92
	v_fmac_f32_e32 v149, v94, v134
	s_waitcnt vmcnt(12)
	v_fma_f32 v94, v97, v136, -v122
	v_add_f32_e32 v91, v91, v93
	s_waitcnt vmcnt(11)
	v_fma_f32 v95, v99, v137, -v123
	v_add_f32_e32 v91, v91, v94
	v_mul_f32_e32 v92, v102, v124
	v_add_f32_e32 v91, v91, v95
	s_waitcnt vmcnt(10)
	v_fma_f32 v92, v101, v138, -v92
	v_add_f32_e32 v91, v91, v92
	v_mul_f32_e32 v92, v104, v125
	s_waitcnt vmcnt(9)
	v_fma_f32 v92, v103, v139, -v92
	v_add_f32_e32 v91, v91, v92
	v_mul_f32_e32 v92, v106, v126
	s_waitcnt vmcnt(8)
	v_fma_f32 v92, v105, v140, -v92
	v_add_f32_e32 v90, 0, v90
	v_add_f32_e32 v91, v91, v92
	v_mul_f32_e32 v92, v108, v127
	v_fmac_f32_e32 v150, v96, v135
	v_add_f32_e32 v90, v90, v149
	s_waitcnt vmcnt(7)
	v_fma_f32 v92, v107, v141, -v92
	v_fmac_f32_e32 v151, v98, v136
	v_add_f32_e32 v90, v90, v150
	v_add_f32_e32 v91, v91, v92
	v_mul_f32_e32 v92, v110, v128
	v_fmac_f32_e32 v152, v100, v137
	v_add_f32_e32 v90, v90, v151
	s_waitcnt vmcnt(6)
	v_fma_f32 v92, v109, v142, -v92
	v_fmac_f32_e32 v153, v102, v138
	v_add_f32_e32 v90, v90, v152
	v_add_f32_e32 v91, v91, v92
	s_waitcnt lgkmcnt(1)
	v_mul_f32_e32 v92, v112, v129
	v_fmac_f32_e32 v154, v104, v139
	v_add_f32_e32 v90, v90, v153
	s_waitcnt vmcnt(5)
	v_fma_f32 v92, v111, v143, -v92
	v_fmac_f32_e32 v155, v106, v140
	v_add_f32_e32 v90, v90, v154
	v_add_f32_e32 v91, v91, v92
	v_mul_f32_e32 v92, v114, v130
	v_mul_f32_e32 v157, v109, v128
	v_fmac_f32_e32 v156, v108, v141
	v_add_f32_e32 v90, v90, v155
	s_waitcnt vmcnt(4)
	v_fma_f32 v92, v113, v144, -v92
	v_mul_f32_e32 v158, v111, v129
	v_fmac_f32_e32 v157, v110, v142
	v_add_f32_e32 v90, v90, v156
	v_add_f32_e32 v91, v91, v92
	s_waitcnt lgkmcnt(0)
	v_mul_f32_e32 v92, v116, v131
	v_mul_f32_e32 v159, v113, v130
	v_fmac_f32_e32 v158, v112, v143
	v_add_f32_e32 v90, v90, v157
	s_waitcnt vmcnt(3)
	v_fma_f32 v92, v115, v145, -v92
	v_mul_f32_e32 v160, v115, v131
	v_fmac_f32_e32 v159, v114, v144
	v_add_f32_e32 v90, v90, v158
	v_add_f32_e32 v91, v91, v92
	v_mul_f32_e32 v92, v118, v132
	v_mul_f32_e32 v161, v117, v132
	v_fmac_f32_e32 v160, v116, v145
	v_add_f32_e32 v90, v90, v159
	s_waitcnt vmcnt(2)
	v_fma_f32 v92, v117, v146, -v92
	v_fmac_f32_e32 v161, v118, v146
	v_add_f32_e32 v90, v90, v160
	v_add_f32_e32 v91, v91, v92
	;; [unrolled: 1-line block ×3, first 2 shown]
	s_waitcnt vmcnt(1)
	v_sub_f32_e32 v91, v147, v91
	s_waitcnt vmcnt(0)
	v_sub_f32_e32 v90, v148, v90
	buffer_store_dword v91, off, s[0:3], 0 offset:232
	buffer_store_dword v90, off, s[0:3], 0 offset:236
	s_and_saveexec_b64 s[4:5], vcc
	s_cbranch_execz .LBB107_221
; %bb.220:
	buffer_load_dword v90, off, s[0:3], 0 offset:224
	buffer_load_dword v91, off, s[0:3], 0 offset:228
	v_mov_b32_e32 v92, 0
	buffer_store_dword v92, off, s[0:3], 0 offset:224
	buffer_store_dword v92, off, s[0:3], 0 offset:228
	s_waitcnt vmcnt(2)
	ds_write_b64 v89, v[90:91]
.LBB107_221:
	s_or_b64 exec, exec, s[4:5]
	s_waitcnt lgkmcnt(0)
	; wave barrier
	buffer_load_dword v121, off, s[0:3], 0 offset:236
	buffer_load_dword v122, off, s[0:3], 0 offset:244
	;; [unrolled: 1-line block ×32, first 2 shown]
	v_mov_b32_e32 v90, 0
	ds_read2_b64 v[91:94], v90 offset0:73 offset1:74
	ds_read2_b64 v[95:98], v90 offset0:75 offset1:76
	;; [unrolled: 1-line block ×7, first 2 shown]
	ds_read_b64 v[119:120], v90 offset:696
	v_cmp_lt_u32_e32 vcc, 27, v0
	s_waitcnt vmcnt(31) lgkmcnt(7)
	v_mul_f32_e32 v153, v91, v121
	v_mul_f32_e32 v121, v92, v121
	s_waitcnt vmcnt(30)
	v_mul_f32_e32 v154, v93, v122
	v_mul_f32_e32 v122, v94, v122
	s_waitcnt vmcnt(29) lgkmcnt(6)
	v_mul_f32_e32 v155, v95, v123
	v_mul_f32_e32 v123, v96, v123
	s_waitcnt vmcnt(28)
	v_mul_f32_e32 v156, v97, v124
	s_waitcnt vmcnt(27) lgkmcnt(5)
	v_mul_f32_e32 v157, v99, v125
	s_waitcnt vmcnt(26)
	v_mul_f32_e32 v158, v101, v126
	s_waitcnt vmcnt(25) lgkmcnt(4)
	;; [unrolled: 4-line block ×4, first 2 shown]
	v_mul_f32_e32 v163, v111, v131
	s_waitcnt vmcnt(20)
	v_mul_f32_e32 v164, v113, v132
	s_waitcnt vmcnt(16)
	v_fma_f32 v91, v91, v136, -v121
	v_fmac_f32_e32 v153, v92, v136
	s_waitcnt vmcnt(15)
	v_fma_f32 v92, v93, v137, -v122
	v_add_f32_e32 v91, 0, v91
	s_waitcnt vmcnt(14)
	v_fma_f32 v93, v95, v138, -v123
	v_add_f32_e32 v91, v91, v92
	v_add_f32_e32 v91, v91, v93
	v_mul_f32_e32 v93, v98, v124
	s_waitcnt vmcnt(13)
	v_fma_f32 v93, v97, v139, -v93
	v_add_f32_e32 v91, v91, v93
	v_mul_f32_e32 v93, v100, v125
	s_waitcnt vmcnt(12)
	v_fma_f32 v93, v99, v140, -v93
	;; [unrolled: 4-line block ×5, first 2 shown]
	v_add_f32_e32 v91, v91, v93
	v_mul_f32_e32 v93, v108, v129
	v_fmac_f32_e32 v154, v94, v137
	v_add_f32_e32 v94, 0, v153
	s_waitcnt vmcnt(8)
	v_fma_f32 v93, v107, v144, -v93
	v_fmac_f32_e32 v155, v96, v138
	v_add_f32_e32 v94, v94, v154
	v_add_f32_e32 v91, v91, v93
	v_mul_f32_e32 v93, v110, v130
	v_fmac_f32_e32 v156, v98, v139
	v_add_f32_e32 v92, v94, v155
	s_waitcnt vmcnt(7)
	v_fma_f32 v93, v109, v145, -v93
	v_fmac_f32_e32 v157, v100, v140
	v_add_f32_e32 v92, v92, v156
	;; [unrolled: 8-line block ×4, first 2 shown]
	v_add_f32_e32 v91, v91, v93
	s_waitcnt lgkmcnt(1)
	v_mul_f32_e32 v93, v116, v133
	v_fmac_f32_e32 v162, v110, v145
	v_add_f32_e32 v92, v92, v161
	s_waitcnt vmcnt(4)
	v_fma_f32 v93, v115, v148, -v93
	v_fmac_f32_e32 v163, v112, v146
	v_add_f32_e32 v92, v92, v162
	v_add_f32_e32 v91, v91, v93
	v_mul_f32_e32 v93, v118, v134
	v_mul_f32_e32 v165, v115, v133
	v_fmac_f32_e32 v164, v114, v147
	v_add_f32_e32 v92, v92, v163
	s_waitcnt vmcnt(3)
	v_fma_f32 v93, v117, v149, -v93
	v_mul_f32_e32 v166, v117, v134
	v_fmac_f32_e32 v165, v116, v148
	v_add_f32_e32 v92, v92, v164
	v_add_f32_e32 v91, v91, v93
	s_waitcnt lgkmcnt(0)
	v_mul_f32_e32 v93, v120, v135
	v_mul_f32_e32 v167, v119, v135
	v_fmac_f32_e32 v166, v118, v149
	v_add_f32_e32 v92, v92, v165
	s_waitcnt vmcnt(2)
	v_fma_f32 v93, v119, v150, -v93
	v_fmac_f32_e32 v167, v120, v150
	v_add_f32_e32 v92, v92, v166
	v_add_f32_e32 v91, v91, v93
	;; [unrolled: 1-line block ×3, first 2 shown]
	s_waitcnt vmcnt(1)
	v_sub_f32_e32 v91, v151, v91
	s_waitcnt vmcnt(0)
	v_sub_f32_e32 v92, v152, v92
	buffer_store_dword v91, off, s[0:3], 0 offset:224
	buffer_store_dword v92, off, s[0:3], 0 offset:228
	s_and_saveexec_b64 s[4:5], vcc
	s_cbranch_execz .LBB107_223
; %bb.222:
	buffer_load_dword v91, off, s[0:3], 0 offset:216
	buffer_load_dword v92, off, s[0:3], 0 offset:220
	s_waitcnt vmcnt(0)
	ds_write_b64 v89, v[91:92]
	buffer_store_dword v90, off, s[0:3], 0 offset:216
	buffer_store_dword v90, off, s[0:3], 0 offset:220
.LBB107_223:
	s_or_b64 exec, exec, s[4:5]
	s_waitcnt lgkmcnt(0)
	; wave barrier
	buffer_load_dword v123, off, s[0:3], 0 offset:228
	buffer_load_dword v124, off, s[0:3], 0 offset:236
	;; [unrolled: 1-line block ×34, first 2 shown]
	ds_read_b128 v[91:94], v90 offset:576
	ds_read_b128 v[95:98], v90 offset:592
	;; [unrolled: 1-line block ×8, first 2 shown]
	v_cmp_lt_u32_e32 vcc, 26, v0
	s_waitcnt vmcnt(33) lgkmcnt(7)
	v_mul_f32_e32 v90, v91, v123
	v_mul_f32_e32 v123, v92, v123
	s_waitcnt vmcnt(32)
	v_mul_f32_e32 v157, v93, v124
	v_mul_f32_e32 v124, v94, v124
	s_waitcnt vmcnt(31) lgkmcnt(6)
	v_mul_f32_e32 v158, v95, v125
	s_waitcnt vmcnt(30)
	v_mul_f32_e32 v159, v97, v126
	s_waitcnt vmcnt(29) lgkmcnt(5)
	v_mul_f32_e32 v160, v99, v127
	s_waitcnt vmcnt(28)
	;; [unrolled: 4-line block ×6, first 2 shown]
	v_mul_f32_e32 v169, v117, v136
	s_waitcnt vmcnt(17)
	v_fma_f32 v91, v91, v139, -v123
	v_fmac_f32_e32 v90, v92, v139
	s_waitcnt vmcnt(16)
	v_fma_f32 v92, v93, v140, -v124
	v_add_f32_e32 v91, 0, v91
	v_add_f32_e32 v91, v91, v92
	v_mul_f32_e32 v92, v96, v125
	s_waitcnt vmcnt(15)
	v_fma_f32 v92, v95, v141, -v92
	v_add_f32_e32 v91, v91, v92
	v_mul_f32_e32 v92, v98, v126
	s_waitcnt vmcnt(14)
	v_fma_f32 v92, v97, v142, -v92
	;; [unrolled: 4-line block ×7, first 2 shown]
	v_fmac_f32_e32 v157, v94, v140
	v_add_f32_e32 v90, 0, v90
	v_add_f32_e32 v91, v91, v92
	v_mul_f32_e32 v92, v110, v132
	v_fmac_f32_e32 v158, v96, v141
	v_add_f32_e32 v90, v90, v157
	s_waitcnt vmcnt(8)
	v_fma_f32 v92, v109, v148, -v92
	v_fmac_f32_e32 v159, v98, v142
	v_add_f32_e32 v90, v90, v158
	v_add_f32_e32 v91, v91, v92
	v_mul_f32_e32 v92, v112, v133
	v_fmac_f32_e32 v160, v100, v143
	v_add_f32_e32 v90, v90, v159
	s_waitcnt vmcnt(7)
	v_fma_f32 v92, v111, v149, -v92
	;; [unrolled: 8-line block ×5, first 2 shown]
	v_fmac_f32_e32 v167, v114, v150
	v_add_f32_e32 v90, v90, v166
	v_add_f32_e32 v91, v91, v92
	s_waitcnt lgkmcnt(0)
	v_mul_f32_e32 v92, v120, v137
	v_fmac_f32_e32 v168, v116, v151
	v_add_f32_e32 v90, v90, v167
	s_waitcnt vmcnt(3)
	v_fma_f32 v92, v119, v153, -v92
	v_mul_f32_e32 v170, v119, v137
	v_fmac_f32_e32 v169, v118, v152
	v_add_f32_e32 v90, v90, v168
	v_add_f32_e32 v91, v91, v92
	v_mul_f32_e32 v92, v122, v138
	v_mul_f32_e32 v171, v121, v138
	v_fmac_f32_e32 v170, v120, v153
	v_add_f32_e32 v90, v90, v169
	s_waitcnt vmcnt(2)
	v_fma_f32 v92, v121, v154, -v92
	v_fmac_f32_e32 v171, v122, v154
	v_add_f32_e32 v90, v90, v170
	v_add_f32_e32 v91, v91, v92
	;; [unrolled: 1-line block ×3, first 2 shown]
	s_waitcnt vmcnt(1)
	v_sub_f32_e32 v91, v155, v91
	s_waitcnt vmcnt(0)
	v_sub_f32_e32 v90, v156, v90
	buffer_store_dword v91, off, s[0:3], 0 offset:216
	buffer_store_dword v90, off, s[0:3], 0 offset:220
	s_and_saveexec_b64 s[4:5], vcc
	s_cbranch_execz .LBB107_225
; %bb.224:
	buffer_load_dword v90, off, s[0:3], 0 offset:208
	buffer_load_dword v91, off, s[0:3], 0 offset:212
	v_mov_b32_e32 v92, 0
	buffer_store_dword v92, off, s[0:3], 0 offset:208
	buffer_store_dword v92, off, s[0:3], 0 offset:212
	s_waitcnt vmcnt(2)
	ds_write_b64 v89, v[90:91]
.LBB107_225:
	s_or_b64 exec, exec, s[4:5]
	s_waitcnt lgkmcnt(0)
	; wave barrier
	buffer_load_dword v125, off, s[0:3], 0 offset:220
	buffer_load_dword v126, off, s[0:3], 0 offset:228
	;; [unrolled: 1-line block ×36, first 2 shown]
	v_mov_b32_e32 v90, 0
	ds_read2_b64 v[91:94], v90 offset0:71 offset1:72
	ds_read2_b64 v[95:98], v90 offset0:73 offset1:74
	ds_read2_b64 v[99:102], v90 offset0:75 offset1:76
	ds_read2_b64 v[103:106], v90 offset0:77 offset1:78
	ds_read2_b64 v[107:110], v90 offset0:79 offset1:80
	ds_read2_b64 v[111:114], v90 offset0:81 offset1:82
	ds_read2_b64 v[115:118], v90 offset0:83 offset1:84
	ds_read2_b64 v[119:122], v90 offset0:85 offset1:86
	ds_read_b64 v[123:124], v90 offset:696
	v_cmp_lt_u32_e32 vcc, 25, v0
	s_waitcnt vmcnt(35) lgkmcnt(8)
	v_mul_f32_e32 v161, v91, v125
	s_waitcnt vmcnt(34)
	v_mul_f32_e32 v162, v93, v126
	s_waitcnt vmcnt(33) lgkmcnt(7)
	v_mul_f32_e32 v163, v95, v127
	s_waitcnt vmcnt(32)
	v_mul_f32_e32 v164, v97, v128
	;; [unrolled: 4-line block ×8, first 2 shown]
	s_waitcnt vmcnt(19) lgkmcnt(0)
	v_mul_f32_e32 v177, v123, v141
	s_waitcnt vmcnt(18)
	v_fmac_f32_e32 v161, v92, v142
	v_mul_f32_e32 v92, v92, v125
	v_fma_f32 v91, v91, v142, -v92
	v_mul_f32_e32 v92, v94, v126
	v_add_f32_e32 v91, 0, v91
	s_waitcnt vmcnt(17)
	v_fma_f32 v92, v93, v143, -v92
	v_add_f32_e32 v91, v91, v92
	v_mul_f32_e32 v92, v96, v127
	s_waitcnt vmcnt(16)
	v_fma_f32 v92, v95, v144, -v92
	v_add_f32_e32 v91, v91, v92
	v_mul_f32_e32 v92, v98, v128
	;; [unrolled: 4-line block ×8, first 2 shown]
	v_fmac_f32_e32 v162, v94, v143
	v_add_f32_e32 v161, 0, v161
	s_waitcnt vmcnt(9)
	v_fma_f32 v92, v109, v151, -v92
	v_fmac_f32_e32 v163, v96, v144
	v_add_f32_e32 v161, v161, v162
	v_add_f32_e32 v91, v91, v92
	v_mul_f32_e32 v92, v112, v135
	v_fmac_f32_e32 v164, v98, v145
	v_add_f32_e32 v161, v161, v163
	s_waitcnt vmcnt(8)
	v_fma_f32 v92, v111, v152, -v92
	v_fmac_f32_e32 v165, v100, v146
	v_add_f32_e32 v161, v161, v164
	v_add_f32_e32 v91, v91, v92
	v_mul_f32_e32 v92, v114, v136
	;; [unrolled: 8-line block ×7, first 2 shown]
	v_fmac_f32_e32 v176, v122, v157
	v_add_f32_e32 v161, v161, v175
	s_waitcnt vmcnt(2)
	v_fma_f32 v92, v123, v158, -v92
	v_fmac_f32_e32 v177, v124, v158
	v_add_f32_e32 v161, v161, v176
	v_add_f32_e32 v91, v91, v92
	;; [unrolled: 1-line block ×3, first 2 shown]
	s_waitcnt vmcnt(1)
	v_sub_f32_e32 v91, v159, v91
	s_waitcnt vmcnt(0)
	v_sub_f32_e32 v92, v160, v161
	buffer_store_dword v91, off, s[0:3], 0 offset:208
	buffer_store_dword v92, off, s[0:3], 0 offset:212
	s_and_saveexec_b64 s[4:5], vcc
	s_cbranch_execz .LBB107_227
; %bb.226:
	buffer_load_dword v91, off, s[0:3], 0 offset:200
	buffer_load_dword v92, off, s[0:3], 0 offset:204
	s_waitcnt vmcnt(0)
	ds_write_b64 v89, v[91:92]
	buffer_store_dword v90, off, s[0:3], 0 offset:200
	buffer_store_dword v90, off, s[0:3], 0 offset:204
.LBB107_227:
	s_or_b64 exec, exec, s[4:5]
	s_waitcnt lgkmcnt(0)
	; wave barrier
	buffer_load_dword v127, off, s[0:3], 0 offset:212
	buffer_load_dword v128, off, s[0:3], 0 offset:220
	;; [unrolled: 1-line block ×38, first 2 shown]
	ds_read_b128 v[91:94], v90 offset:560
	ds_read_b128 v[95:98], v90 offset:576
	;; [unrolled: 1-line block ×9, first 2 shown]
	v_cmp_lt_u32_e32 vcc, 24, v0
	s_waitcnt vmcnt(37) lgkmcnt(8)
	v_mul_f32_e32 v90, v91, v127
	s_waitcnt vmcnt(36)
	v_mul_f32_e32 v165, v93, v128
	s_waitcnt vmcnt(35) lgkmcnt(7)
	v_mul_f32_e32 v166, v95, v129
	s_waitcnt vmcnt(34)
	v_mul_f32_e32 v167, v97, v130
	;; [unrolled: 4-line block ×8, first 2 shown]
	s_waitcnt vmcnt(21) lgkmcnt(0)
	v_mul_f32_e32 v180, v123, v143
	s_waitcnt vmcnt(20)
	v_fmac_f32_e32 v90, v92, v144
	v_mul_f32_e32 v92, v92, v127
	v_fma_f32 v91, v91, v144, -v92
	v_mul_f32_e32 v92, v94, v128
	v_add_f32_e32 v91, 0, v91
	s_waitcnt vmcnt(19)
	v_fma_f32 v92, v93, v145, -v92
	v_add_f32_e32 v91, v91, v92
	v_mul_f32_e32 v92, v96, v129
	s_waitcnt vmcnt(18)
	v_fma_f32 v92, v95, v146, -v92
	v_add_f32_e32 v91, v91, v92
	v_mul_f32_e32 v92, v98, v130
	s_waitcnt vmcnt(17)
	v_fma_f32 v92, v97, v147, -v92
	v_add_f32_e32 v91, v91, v92
	v_mul_f32_e32 v92, v100, v131
	s_waitcnt vmcnt(16)
	v_fma_f32 v92, v99, v148, -v92
	v_add_f32_e32 v91, v91, v92
	v_mul_f32_e32 v92, v102, v132
	s_waitcnt vmcnt(15)
	v_fma_f32 v92, v101, v149, -v92
	v_add_f32_e32 v91, v91, v92
	v_mul_f32_e32 v92, v104, v133
	s_waitcnt vmcnt(14)
	v_fma_f32 v92, v103, v150, -v92
	v_add_f32_e32 v91, v91, v92
	v_mul_f32_e32 v92, v106, v134
	s_waitcnt vmcnt(13)
	v_fma_f32 v92, v105, v151, -v92
	v_add_f32_e32 v91, v91, v92
	v_mul_f32_e32 v92, v108, v135
	s_waitcnt vmcnt(12)
	v_fma_f32 v92, v107, v152, -v92
	v_add_f32_e32 v91, v91, v92
	v_mul_f32_e32 v92, v110, v136
	s_waitcnt vmcnt(11)
	v_fma_f32 v92, v109, v153, -v92
	v_fmac_f32_e32 v165, v94, v145
	v_add_f32_e32 v90, 0, v90
	v_add_f32_e32 v91, v91, v92
	v_mul_f32_e32 v92, v112, v137
	v_fmac_f32_e32 v166, v96, v146
	v_add_f32_e32 v90, v90, v165
	s_waitcnt vmcnt(10)
	v_fma_f32 v92, v111, v154, -v92
	v_fmac_f32_e32 v167, v98, v147
	v_add_f32_e32 v90, v90, v166
	v_add_f32_e32 v91, v91, v92
	v_mul_f32_e32 v92, v114, v138
	v_fmac_f32_e32 v168, v100, v148
	v_add_f32_e32 v90, v90, v167
	;; [unrolled: 8-line block ×7, first 2 shown]
	s_waitcnt vmcnt(4)
	v_fma_f32 v92, v123, v160, -v92
	v_fmac_f32_e32 v179, v122, v159
	v_add_f32_e32 v90, v90, v178
	v_add_f32_e32 v91, v91, v92
	s_waitcnt vmcnt(3)
	v_mul_f32_e32 v92, v126, v161
	v_add_f32_e32 v90, v90, v179
	v_fmac_f32_e32 v180, v124, v160
	v_mul_f32_e32 v165, v125, v161
	s_waitcnt vmcnt(2)
	v_fma_f32 v92, v125, v162, -v92
	v_add_f32_e32 v90, v90, v180
	v_fmac_f32_e32 v165, v126, v162
	v_add_f32_e32 v91, v91, v92
	v_add_f32_e32 v90, v90, v165
	s_waitcnt vmcnt(1)
	v_sub_f32_e32 v91, v163, v91
	s_waitcnt vmcnt(0)
	v_sub_f32_e32 v90, v164, v90
	buffer_store_dword v91, off, s[0:3], 0 offset:200
	buffer_store_dword v90, off, s[0:3], 0 offset:204
	s_and_saveexec_b64 s[4:5], vcc
	s_cbranch_execz .LBB107_229
; %bb.228:
	buffer_load_dword v90, off, s[0:3], 0 offset:192
	buffer_load_dword v91, off, s[0:3], 0 offset:196
	v_mov_b32_e32 v92, 0
	buffer_store_dword v92, off, s[0:3], 0 offset:192
	buffer_store_dword v92, off, s[0:3], 0 offset:196
	s_waitcnt vmcnt(2)
	ds_write_b64 v89, v[90:91]
.LBB107_229:
	s_or_b64 exec, exec, s[4:5]
	s_waitcnt lgkmcnt(0)
	; wave barrier
	buffer_load_dword v129, off, s[0:3], 0 offset:204
	buffer_load_dword v130, off, s[0:3], 0 offset:212
	;; [unrolled: 1-line block ×40, first 2 shown]
	v_mov_b32_e32 v90, 0
	ds_read2_b64 v[91:94], v90 offset0:69 offset1:70
	ds_read2_b64 v[95:98], v90 offset0:71 offset1:72
	;; [unrolled: 1-line block ×9, first 2 shown]
	v_cmp_lt_u32_e32 vcc, 23, v0
	s_waitcnt vmcnt(39) lgkmcnt(8)
	v_mul_f32_e32 v127, v91, v129
	s_waitcnt vmcnt(38)
	v_mul_f32_e32 v128, v93, v130
	s_waitcnt vmcnt(37) lgkmcnt(7)
	v_mul_f32_e32 v169, v95, v131
	s_waitcnt vmcnt(36)
	v_mul_f32_e32 v170, v97, v132
	;; [unrolled: 4-line block ×7, first 2 shown]
	s_waitcnt vmcnt(25) lgkmcnt(1)
	v_mul_f32_e32 v181, v119, v143
	s_waitcnt vmcnt(24)
	v_fmac_f32_e32 v127, v92, v144
	v_mul_f32_e32 v92, v92, v129
	v_fma_f32 v91, v91, v144, -v92
	v_mul_f32_e32 v92, v94, v130
	v_add_f32_e32 v91, 0, v91
	s_waitcnt vmcnt(23)
	v_fma_f32 v92, v93, v145, -v92
	v_add_f32_e32 v91, v91, v92
	v_mul_f32_e32 v92, v96, v131
	s_waitcnt vmcnt(22)
	v_fma_f32 v92, v95, v146, -v92
	v_add_f32_e32 v91, v91, v92
	v_mul_f32_e32 v92, v98, v132
	s_waitcnt vmcnt(21)
	v_fma_f32 v92, v97, v147, -v92
	v_add_f32_e32 v91, v91, v92
	v_mul_f32_e32 v92, v100, v133
	s_waitcnt vmcnt(20)
	v_fma_f32 v92, v99, v148, -v92
	v_add_f32_e32 v91, v91, v92
	v_mul_f32_e32 v92, v102, v134
	s_waitcnt vmcnt(19)
	v_fma_f32 v92, v101, v149, -v92
	v_add_f32_e32 v91, v91, v92
	v_mul_f32_e32 v92, v104, v135
	s_waitcnt vmcnt(18)
	v_fma_f32 v92, v103, v150, -v92
	v_add_f32_e32 v91, v91, v92
	v_mul_f32_e32 v92, v106, v136
	s_waitcnt vmcnt(17)
	v_fma_f32 v92, v105, v151, -v92
	v_fmac_f32_e32 v128, v94, v145
	v_add_f32_e32 v127, 0, v127
	v_add_f32_e32 v91, v91, v92
	v_mul_f32_e32 v92, v108, v137
	v_fmac_f32_e32 v169, v96, v146
	v_add_f32_e32 v127, v127, v128
	s_waitcnt vmcnt(16)
	v_fma_f32 v92, v107, v152, -v92
	v_fmac_f32_e32 v170, v98, v147
	v_add_f32_e32 v127, v127, v169
	v_add_f32_e32 v91, v91, v92
	v_mul_f32_e32 v92, v110, v138
	v_fmac_f32_e32 v171, v100, v148
	v_add_f32_e32 v127, v127, v170
	;; [unrolled: 8-line block ×6, first 2 shown]
	s_waitcnt vmcnt(11)
	v_fma_f32 v92, v117, v157, -v92
	v_fmac_f32_e32 v180, v118, v157
	v_add_f32_e32 v127, v127, v179
	v_add_f32_e32 v91, v91, v92
	v_mul_f32_e32 v92, v120, v143
	s_waitcnt vmcnt(10)
	v_fmac_f32_e32 v181, v120, v158
	v_add_f32_e32 v127, v127, v180
	s_waitcnt vmcnt(9)
	v_mul_f32_e32 v128, v121, v159
	v_fma_f32 v92, v119, v158, -v92
	v_add_f32_e32 v127, v127, v181
	s_waitcnt vmcnt(8)
	v_fmac_f32_e32 v128, v122, v160
	v_add_f32_e32 v91, v91, v92
	v_mul_f32_e32 v92, v122, v159
	v_add_f32_e32 v169, v127, v128
	ds_read_b64 v[127:128], v90 offset:696
	v_fma_f32 v92, v121, v160, -v92
	v_add_f32_e32 v91, v91, v92
	s_waitcnt vmcnt(7) lgkmcnt(1)
	v_mul_f32_e32 v92, v124, v161
	v_mul_f32_e32 v170, v123, v161
	s_waitcnt vmcnt(6)
	v_fma_f32 v92, v123, v162, -v92
	v_fmac_f32_e32 v170, v124, v162
	v_add_f32_e32 v91, v91, v92
	s_waitcnt vmcnt(5)
	v_mul_f32_e32 v92, v126, v163
	v_add_f32_e32 v169, v169, v170
	v_mul_f32_e32 v170, v125, v163
	s_waitcnt vmcnt(4)
	v_fma_f32 v92, v125, v164, -v92
	v_fmac_f32_e32 v170, v126, v164
	v_add_f32_e32 v91, v91, v92
	s_waitcnt vmcnt(3) lgkmcnt(0)
	v_mul_f32_e32 v92, v128, v165
	v_add_f32_e32 v169, v169, v170
	v_mul_f32_e32 v170, v127, v165
	s_waitcnt vmcnt(2)
	v_fma_f32 v92, v127, v166, -v92
	v_fmac_f32_e32 v170, v128, v166
	v_add_f32_e32 v91, v91, v92
	v_add_f32_e32 v169, v169, v170
	s_waitcnt vmcnt(1)
	v_sub_f32_e32 v91, v167, v91
	s_waitcnt vmcnt(0)
	v_sub_f32_e32 v92, v168, v169
	buffer_store_dword v91, off, s[0:3], 0 offset:192
	buffer_store_dword v92, off, s[0:3], 0 offset:196
	s_and_saveexec_b64 s[4:5], vcc
	s_cbranch_execz .LBB107_231
; %bb.230:
	buffer_load_dword v91, off, s[0:3], 0 offset:184
	buffer_load_dword v92, off, s[0:3], 0 offset:188
	s_waitcnt vmcnt(0)
	ds_write_b64 v89, v[91:92]
	buffer_store_dword v90, off, s[0:3], 0 offset:184
	buffer_store_dword v90, off, s[0:3], 0 offset:188
.LBB107_231:
	s_or_b64 exec, exec, s[4:5]
	s_waitcnt lgkmcnt(0)
	; wave barrier
	buffer_load_dword v131, off, s[0:3], 0 offset:196
	buffer_load_dword v132, off, s[0:3], 0 offset:204
	;; [unrolled: 1-line block ×42, first 2 shown]
	ds_read_b128 v[91:94], v90 offset:544
	ds_read_b128 v[95:98], v90 offset:560
	;; [unrolled: 1-line block ×8, first 2 shown]
	v_cmp_lt_u32_e32 vcc, 22, v0
	s_waitcnt vmcnt(41) lgkmcnt(7)
	v_mul_f32_e32 v123, v91, v131
	s_waitcnt vmcnt(40)
	v_mul_f32_e32 v124, v93, v132
	s_waitcnt vmcnt(39) lgkmcnt(6)
	v_mul_f32_e32 v125, v95, v133
	s_waitcnt vmcnt(38)
	v_mul_f32_e32 v126, v97, v134
	;; [unrolled: 4-line block ×7, first 2 shown]
	s_waitcnt vmcnt(27) lgkmcnt(0)
	v_mul_f32_e32 v179, v119, v145
	s_waitcnt vmcnt(26)
	v_fmac_f32_e32 v123, v92, v146
	v_mul_f32_e32 v92, v92, v131
	v_fma_f32 v91, v91, v146, -v92
	v_mul_f32_e32 v92, v94, v132
	v_add_f32_e32 v91, 0, v91
	s_waitcnt vmcnt(25)
	v_fma_f32 v92, v93, v147, -v92
	v_add_f32_e32 v91, v91, v92
	v_mul_f32_e32 v92, v96, v133
	s_waitcnt vmcnt(24)
	v_fma_f32 v92, v95, v148, -v92
	v_add_f32_e32 v91, v91, v92
	v_mul_f32_e32 v92, v98, v134
	;; [unrolled: 4-line block ×5, first 2 shown]
	v_fmac_f32_e32 v124, v94, v147
	v_add_f32_e32 v123, 0, v123
	s_waitcnt vmcnt(20)
	v_fma_f32 v92, v103, v152, -v92
	v_fmac_f32_e32 v125, v96, v148
	v_add_f32_e32 v123, v123, v124
	v_add_f32_e32 v91, v91, v92
	v_mul_f32_e32 v92, v106, v138
	v_fmac_f32_e32 v126, v98, v149
	v_add_f32_e32 v123, v123, v125
	s_waitcnt vmcnt(19)
	v_fma_f32 v92, v105, v153, -v92
	v_fmac_f32_e32 v127, v100, v150
	v_add_f32_e32 v123, v123, v126
	v_add_f32_e32 v91, v91, v92
	v_mul_f32_e32 v92, v108, v139
	v_fmac_f32_e32 v128, v102, v151
	v_add_f32_e32 v123, v123, v127
	s_waitcnt vmcnt(18)
	v_fma_f32 v92, v107, v154, -v92
	v_fmac_f32_e32 v129, v104, v152
	v_add_f32_e32 v123, v123, v128
	v_add_f32_e32 v91, v91, v92
	v_mul_f32_e32 v92, v110, v140
	v_fmac_f32_e32 v130, v106, v153
	v_add_f32_e32 v123, v123, v129
	s_waitcnt vmcnt(17)
	v_fma_f32 v92, v109, v155, -v92
	v_fmac_f32_e32 v173, v108, v154
	v_add_f32_e32 v123, v123, v130
	v_add_f32_e32 v91, v91, v92
	v_mul_f32_e32 v92, v112, v141
	v_fmac_f32_e32 v174, v110, v155
	v_add_f32_e32 v123, v123, v173
	s_waitcnt vmcnt(16)
	v_fma_f32 v92, v111, v156, -v92
	v_fmac_f32_e32 v175, v112, v156
	v_add_f32_e32 v123, v123, v174
	v_add_f32_e32 v91, v91, v92
	v_mul_f32_e32 v92, v114, v142
	s_waitcnt vmcnt(15)
	v_fmac_f32_e32 v176, v114, v157
	v_add_f32_e32 v123, v123, v175
	v_fma_f32 v92, v113, v157, -v92
	s_waitcnt vmcnt(14)
	v_fmac_f32_e32 v177, v116, v158
	v_add_f32_e32 v123, v123, v176
	v_add_f32_e32 v91, v91, v92
	v_mul_f32_e32 v92, v116, v143
	s_waitcnt vmcnt(13)
	v_fmac_f32_e32 v178, v118, v159
	v_add_f32_e32 v123, v123, v177
	v_fma_f32 v92, v115, v158, -v92
	s_waitcnt vmcnt(12)
	v_fmac_f32_e32 v179, v120, v160
	v_add_f32_e32 v123, v123, v178
	v_add_f32_e32 v91, v91, v92
	v_mul_f32_e32 v92, v118, v144
	v_add_f32_e32 v127, v123, v179
	ds_read_b128 v[123:126], v90 offset:672
	v_fma_f32 v92, v117, v159, -v92
	v_add_f32_e32 v91, v91, v92
	v_mul_f32_e32 v92, v120, v145
	s_waitcnt vmcnt(11)
	v_mul_f32_e32 v128, v121, v161
	v_fma_f32 v92, v119, v160, -v92
	s_waitcnt vmcnt(10)
	v_fmac_f32_e32 v128, v122, v162
	v_add_f32_e32 v91, v91, v92
	v_mul_f32_e32 v92, v122, v161
	v_add_f32_e32 v173, v127, v128
	ds_read_b128 v[127:130], v90 offset:688
	v_fma_f32 v92, v121, v162, -v92
	v_add_f32_e32 v91, v91, v92
	s_waitcnt vmcnt(9) lgkmcnt(1)
	v_mul_f32_e32 v92, v124, v163
	v_mul_f32_e32 v90, v123, v163
	s_waitcnt vmcnt(8)
	v_fma_f32 v92, v123, v164, -v92
	v_fmac_f32_e32 v90, v124, v164
	v_add_f32_e32 v91, v91, v92
	s_waitcnt vmcnt(7)
	v_mul_f32_e32 v92, v126, v165
	v_add_f32_e32 v90, v173, v90
	v_mul_f32_e32 v173, v125, v165
	s_waitcnt vmcnt(6)
	v_fma_f32 v92, v125, v166, -v92
	v_fmac_f32_e32 v173, v126, v166
	v_add_f32_e32 v91, v91, v92
	s_waitcnt vmcnt(5) lgkmcnt(0)
	v_mul_f32_e32 v92, v128, v167
	v_add_f32_e32 v90, v90, v173
	v_mul_f32_e32 v173, v127, v167
	s_waitcnt vmcnt(4)
	v_fma_f32 v92, v127, v168, -v92
	v_fmac_f32_e32 v173, v128, v168
	v_add_f32_e32 v91, v91, v92
	s_waitcnt vmcnt(3)
	v_mul_f32_e32 v92, v130, v169
	v_add_f32_e32 v90, v90, v173
	v_mul_f32_e32 v173, v129, v169
	s_waitcnt vmcnt(2)
	v_fma_f32 v92, v129, v170, -v92
	v_fmac_f32_e32 v173, v130, v170
	v_add_f32_e32 v91, v91, v92
	v_add_f32_e32 v90, v90, v173
	s_waitcnt vmcnt(1)
	v_sub_f32_e32 v91, v171, v91
	s_waitcnt vmcnt(0)
	v_sub_f32_e32 v90, v172, v90
	buffer_store_dword v91, off, s[0:3], 0 offset:184
	buffer_store_dword v90, off, s[0:3], 0 offset:188
	s_and_saveexec_b64 s[4:5], vcc
	s_cbranch_execz .LBB107_233
; %bb.232:
	buffer_load_dword v90, off, s[0:3], 0 offset:176
	buffer_load_dword v91, off, s[0:3], 0 offset:180
	v_mov_b32_e32 v92, 0
	buffer_store_dword v92, off, s[0:3], 0 offset:176
	buffer_store_dword v92, off, s[0:3], 0 offset:180
	s_waitcnt vmcnt(2)
	ds_write_b64 v89, v[90:91]
.LBB107_233:
	s_or_b64 exec, exec, s[4:5]
	s_waitcnt lgkmcnt(0)
	; wave barrier
	buffer_load_dword v133, off, s[0:3], 0 offset:188
	buffer_load_dword v134, off, s[0:3], 0 offset:196
	;; [unrolled: 1-line block ×44, first 2 shown]
	v_mov_b32_e32 v90, 0
	ds_read2_b64 v[91:94], v90 offset0:67 offset1:68
	ds_read2_b64 v[95:98], v90 offset0:69 offset1:70
	;; [unrolled: 1-line block ×8, first 2 shown]
	v_cmp_lt_u32_e32 vcc, 21, v0
	s_waitcnt vmcnt(43) lgkmcnt(7)
	v_mul_f32_e32 v123, v91, v133
	s_waitcnt vmcnt(42)
	v_mul_f32_e32 v124, v93, v134
	s_waitcnt vmcnt(41) lgkmcnt(6)
	v_mul_f32_e32 v125, v95, v135
	s_waitcnt vmcnt(40)
	v_mul_f32_e32 v126, v97, v136
	;; [unrolled: 4-line block ×7, first 2 shown]
	s_waitcnt vmcnt(29)
	v_fmac_f32_e32 v123, v92, v147
	v_mul_f32_e32 v92, v92, v133
	v_fma_f32 v91, v91, v147, -v92
	v_mul_f32_e32 v92, v94, v134
	v_add_f32_e32 v91, 0, v91
	s_waitcnt vmcnt(28)
	v_fma_f32 v92, v93, v148, -v92
	v_add_f32_e32 v91, v91, v92
	v_mul_f32_e32 v92, v96, v135
	s_waitcnt vmcnt(27)
	v_fma_f32 v92, v95, v149, -v92
	v_add_f32_e32 v91, v91, v92
	v_mul_f32_e32 v92, v98, v136
	;; [unrolled: 4-line block ×4, first 2 shown]
	s_waitcnt vmcnt(24)
	v_fma_f32 v92, v101, v152, -v92
	v_fmac_f32_e32 v124, v94, v148
	v_add_f32_e32 v123, 0, v123
	v_add_f32_e32 v91, v91, v92
	v_mul_f32_e32 v92, v104, v139
	v_fmac_f32_e32 v125, v96, v149
	v_add_f32_e32 v123, v123, v124
	s_waitcnt vmcnt(23)
	v_fma_f32 v92, v103, v153, -v92
	v_fmac_f32_e32 v126, v98, v150
	v_add_f32_e32 v123, v123, v125
	v_add_f32_e32 v91, v91, v92
	v_mul_f32_e32 v92, v106, v140
	v_fmac_f32_e32 v127, v100, v151
	v_add_f32_e32 v123, v123, v126
	;; [unrolled: 8-line block ×4, first 2 shown]
	s_waitcnt vmcnt(20)
	v_fma_f32 v92, v109, v156, -v92
	v_fmac_f32_e32 v132, v110, v156
	v_add_f32_e32 v123, v123, v131
	v_add_f32_e32 v91, v91, v92
	v_mul_f32_e32 v92, v112, v143
	s_waitcnt vmcnt(19)
	v_fmac_f32_e32 v177, v112, v157
	v_add_f32_e32 v123, v123, v132
	v_fma_f32 v92, v111, v157, -v92
	s_waitcnt vmcnt(18)
	v_fmac_f32_e32 v178, v114, v158
	v_add_f32_e32 v123, v123, v177
	v_add_f32_e32 v91, v91, v92
	v_mul_f32_e32 v92, v114, v144
	s_waitcnt vmcnt(17)
	v_fmac_f32_e32 v179, v116, v159
	v_add_f32_e32 v123, v123, v178
	v_fma_f32 v92, v113, v158, -v92
	v_add_f32_e32 v123, v123, v179
	s_waitcnt vmcnt(16)
	v_fmac_f32_e32 v180, v118, v160
	s_waitcnt vmcnt(15) lgkmcnt(0)
	v_mul_f32_e32 v124, v119, v161
	v_add_f32_e32 v91, v91, v92
	v_mul_f32_e32 v92, v116, v145
	v_add_f32_e32 v123, v123, v180
	s_waitcnt vmcnt(14)
	v_fmac_f32_e32 v124, v120, v162
	v_fma_f32 v92, v115, v159, -v92
	v_add_f32_e32 v127, v123, v124
	ds_read2_b64 v[123:126], v90 offset0:83 offset1:84
	v_add_f32_e32 v91, v91, v92
	v_mul_f32_e32 v92, v118, v146
	v_fma_f32 v92, v117, v160, -v92
	v_add_f32_e32 v91, v91, v92
	v_mul_f32_e32 v92, v120, v161
	s_waitcnt vmcnt(13)
	v_mul_f32_e32 v128, v121, v163
	v_fma_f32 v92, v119, v162, -v92
	s_waitcnt vmcnt(12)
	v_fmac_f32_e32 v128, v122, v164
	v_add_f32_e32 v91, v91, v92
	v_mul_f32_e32 v92, v122, v163
	v_add_f32_e32 v131, v127, v128
	ds_read2_b64 v[127:130], v90 offset0:85 offset1:86
	s_waitcnt vmcnt(11) lgkmcnt(1)
	v_mul_f32_e32 v132, v123, v165
	v_fma_f32 v92, v121, v164, -v92
	s_waitcnt vmcnt(10)
	v_fmac_f32_e32 v132, v124, v166
	v_add_f32_e32 v91, v91, v92
	v_mul_f32_e32 v92, v124, v165
	v_add_f32_e32 v131, v131, v132
	s_waitcnt vmcnt(9)
	v_mul_f32_e32 v132, v125, v167
	v_fma_f32 v92, v123, v166, -v92
	s_waitcnt vmcnt(8)
	v_fmac_f32_e32 v132, v126, v168
	v_add_f32_e32 v91, v91, v92
	v_mul_f32_e32 v92, v126, v167
	v_add_f32_e32 v177, v131, v132
	ds_read_b64 v[131:132], v90 offset:696
	v_fma_f32 v92, v125, v168, -v92
	v_add_f32_e32 v91, v91, v92
	s_waitcnt vmcnt(7) lgkmcnt(1)
	v_mul_f32_e32 v92, v128, v169
	v_mul_f32_e32 v178, v127, v169
	s_waitcnt vmcnt(6)
	v_fma_f32 v92, v127, v170, -v92
	v_fmac_f32_e32 v178, v128, v170
	v_add_f32_e32 v91, v91, v92
	s_waitcnt vmcnt(5)
	v_mul_f32_e32 v92, v130, v171
	v_add_f32_e32 v177, v177, v178
	v_mul_f32_e32 v178, v129, v171
	s_waitcnt vmcnt(4)
	v_fma_f32 v92, v129, v172, -v92
	v_fmac_f32_e32 v178, v130, v172
	v_add_f32_e32 v91, v91, v92
	s_waitcnt vmcnt(3) lgkmcnt(0)
	v_mul_f32_e32 v92, v132, v173
	v_add_f32_e32 v177, v177, v178
	v_mul_f32_e32 v178, v131, v173
	s_waitcnt vmcnt(2)
	v_fma_f32 v92, v131, v174, -v92
	v_fmac_f32_e32 v178, v132, v174
	v_add_f32_e32 v91, v91, v92
	v_add_f32_e32 v177, v177, v178
	s_waitcnt vmcnt(1)
	v_sub_f32_e32 v91, v175, v91
	s_waitcnt vmcnt(0)
	v_sub_f32_e32 v92, v176, v177
	buffer_store_dword v91, off, s[0:3], 0 offset:176
	buffer_store_dword v92, off, s[0:3], 0 offset:180
	s_and_saveexec_b64 s[4:5], vcc
	s_cbranch_execz .LBB107_235
; %bb.234:
	buffer_load_dword v91, off, s[0:3], 0 offset:168
	buffer_load_dword v92, off, s[0:3], 0 offset:172
	s_waitcnt vmcnt(0)
	ds_write_b64 v89, v[91:92]
	buffer_store_dword v90, off, s[0:3], 0 offset:168
	buffer_store_dword v90, off, s[0:3], 0 offset:172
.LBB107_235:
	s_or_b64 exec, exec, s[4:5]
	s_waitcnt lgkmcnt(0)
	; wave barrier
	buffer_load_dword v135, off, s[0:3], 0 offset:180
	buffer_load_dword v136, off, s[0:3], 0 offset:188
	;; [unrolled: 1-line block ×46, first 2 shown]
	ds_read_b128 v[91:94], v90 offset:528
	ds_read_b128 v[95:98], v90 offset:544
	;; [unrolled: 1-line block ×8, first 2 shown]
	v_cmp_lt_u32_e32 vcc, 20, v0
	s_waitcnt vmcnt(45) lgkmcnt(7)
	v_mul_f32_e32 v123, v91, v135
	s_waitcnt vmcnt(44)
	v_mul_f32_e32 v124, v93, v136
	s_waitcnt vmcnt(43) lgkmcnt(6)
	v_mul_f32_e32 v125, v95, v137
	s_waitcnt vmcnt(42)
	v_mul_f32_e32 v126, v97, v138
	;; [unrolled: 4-line block ×6, first 2 shown]
	s_waitcnt vmcnt(33) lgkmcnt(1)
	v_mul_f32_e32 v181, v115, v147
	s_waitcnt vmcnt(32)
	v_fmac_f32_e32 v123, v92, v148
	v_mul_f32_e32 v92, v92, v135
	v_fma_f32 v91, v91, v148, -v92
	v_mul_f32_e32 v92, v94, v136
	v_add_f32_e32 v91, 0, v91
	s_waitcnt vmcnt(31)
	v_fma_f32 v92, v93, v149, -v92
	v_add_f32_e32 v91, v91, v92
	v_mul_f32_e32 v92, v96, v137
	s_waitcnt vmcnt(30)
	v_fma_f32 v92, v95, v150, -v92
	v_add_f32_e32 v91, v91, v92
	v_mul_f32_e32 v92, v98, v138
	;; [unrolled: 4-line block ×4, first 2 shown]
	v_fmac_f32_e32 v124, v94, v149
	v_add_f32_e32 v123, 0, v123
	s_waitcnt vmcnt(27)
	v_fma_f32 v92, v101, v153, -v92
	v_fmac_f32_e32 v125, v96, v150
	v_add_f32_e32 v123, v123, v124
	v_add_f32_e32 v91, v91, v92
	v_mul_f32_e32 v92, v104, v141
	v_fmac_f32_e32 v126, v98, v151
	v_add_f32_e32 v123, v123, v125
	s_waitcnt vmcnt(26)
	v_fma_f32 v92, v103, v154, -v92
	v_fmac_f32_e32 v127, v100, v152
	v_add_f32_e32 v123, v123, v126
	v_add_f32_e32 v91, v91, v92
	v_mul_f32_e32 v92, v106, v142
	;; [unrolled: 8-line block ×4, first 2 shown]
	s_waitcnt vmcnt(23)
	v_fmac_f32_e32 v132, v110, v157
	v_add_f32_e32 v123, v123, v131
	v_fma_f32 v92, v109, v157, -v92
	s_waitcnt vmcnt(22)
	v_fmac_f32_e32 v133, v112, v158
	v_add_f32_e32 v123, v123, v132
	v_add_f32_e32 v91, v91, v92
	v_mul_f32_e32 v92, v112, v145
	s_waitcnt vmcnt(21)
	v_fmac_f32_e32 v134, v114, v159
	v_add_f32_e32 v123, v123, v133
	v_fma_f32 v92, v111, v158, -v92
	s_waitcnt vmcnt(20)
	v_fmac_f32_e32 v181, v116, v160
	v_add_f32_e32 v123, v123, v134
	s_waitcnt vmcnt(19)
	v_mul_f32_e32 v124, v117, v161
	v_add_f32_e32 v91, v91, v92
	v_mul_f32_e32 v92, v114, v146
	v_add_f32_e32 v123, v123, v181
	s_waitcnt vmcnt(18)
	v_fmac_f32_e32 v124, v118, v162
	v_fma_f32 v92, v113, v159, -v92
	v_add_f32_e32 v123, v123, v124
	s_waitcnt vmcnt(17) lgkmcnt(0)
	v_mul_f32_e32 v124, v119, v163
	v_add_f32_e32 v91, v91, v92
	v_mul_f32_e32 v92, v116, v147
	s_waitcnt vmcnt(16)
	v_fmac_f32_e32 v124, v120, v164
	v_fma_f32 v92, v115, v160, -v92
	v_add_f32_e32 v127, v123, v124
	ds_read_b128 v[123:126], v90 offset:656
	v_add_f32_e32 v91, v91, v92
	v_mul_f32_e32 v92, v118, v161
	v_fma_f32 v92, v117, v162, -v92
	v_add_f32_e32 v91, v91, v92
	v_mul_f32_e32 v92, v120, v163
	s_waitcnt vmcnt(15)
	v_mul_f32_e32 v128, v121, v165
	v_fma_f32 v92, v119, v164, -v92
	s_waitcnt vmcnt(14)
	v_fmac_f32_e32 v128, v122, v166
	v_add_f32_e32 v91, v91, v92
	v_mul_f32_e32 v92, v122, v165
	v_add_f32_e32 v131, v127, v128
	ds_read_b128 v[127:130], v90 offset:672
	s_waitcnt vmcnt(13) lgkmcnt(1)
	v_mul_f32_e32 v132, v123, v167
	v_fma_f32 v92, v121, v166, -v92
	s_waitcnt vmcnt(12)
	v_fmac_f32_e32 v132, v124, v168
	v_add_f32_e32 v91, v91, v92
	v_mul_f32_e32 v92, v124, v167
	v_add_f32_e32 v131, v131, v132
	s_waitcnt vmcnt(11)
	v_mul_f32_e32 v132, v125, v169
	v_fma_f32 v92, v123, v168, -v92
	s_waitcnt vmcnt(10)
	v_fmac_f32_e32 v132, v126, v170
	v_add_f32_e32 v91, v91, v92
	v_mul_f32_e32 v92, v126, v169
	v_add_f32_e32 v181, v131, v132
	ds_read_b128 v[131:134], v90 offset:688
	v_fma_f32 v92, v125, v170, -v92
	v_add_f32_e32 v91, v91, v92
	s_waitcnt vmcnt(9) lgkmcnt(1)
	v_mul_f32_e32 v92, v128, v171
	v_mul_f32_e32 v182, v127, v171
	s_waitcnt vmcnt(8)
	v_fma_f32 v92, v127, v172, -v92
	v_fmac_f32_e32 v182, v128, v172
	v_add_f32_e32 v91, v91, v92
	s_waitcnt vmcnt(7)
	v_mul_f32_e32 v92, v130, v173
	v_add_f32_e32 v90, v181, v182
	v_mul_f32_e32 v181, v129, v173
	s_waitcnt vmcnt(6)
	v_fma_f32 v92, v129, v174, -v92
	v_fmac_f32_e32 v181, v130, v174
	v_add_f32_e32 v91, v91, v92
	s_waitcnt vmcnt(5) lgkmcnt(0)
	v_mul_f32_e32 v92, v132, v175
	v_add_f32_e32 v90, v90, v181
	v_mul_f32_e32 v181, v131, v175
	s_waitcnt vmcnt(4)
	v_fma_f32 v92, v131, v176, -v92
	v_fmac_f32_e32 v181, v132, v176
	v_add_f32_e32 v91, v91, v92
	s_waitcnt vmcnt(3)
	v_mul_f32_e32 v92, v134, v177
	v_add_f32_e32 v90, v90, v181
	v_mul_f32_e32 v181, v133, v177
	s_waitcnt vmcnt(2)
	v_fma_f32 v92, v133, v178, -v92
	v_fmac_f32_e32 v181, v134, v178
	v_add_f32_e32 v91, v91, v92
	v_add_f32_e32 v90, v90, v181
	s_waitcnt vmcnt(1)
	v_sub_f32_e32 v91, v179, v91
	s_waitcnt vmcnt(0)
	v_sub_f32_e32 v90, v180, v90
	buffer_store_dword v91, off, s[0:3], 0 offset:168
	buffer_store_dword v90, off, s[0:3], 0 offset:172
	s_and_saveexec_b64 s[4:5], vcc
	s_cbranch_execz .LBB107_237
; %bb.236:
	buffer_load_dword v90, off, s[0:3], 0 offset:160
	buffer_load_dword v91, off, s[0:3], 0 offset:164
	v_mov_b32_e32 v92, 0
	buffer_store_dword v92, off, s[0:3], 0 offset:160
	buffer_store_dword v92, off, s[0:3], 0 offset:164
	s_waitcnt vmcnt(2)
	ds_write_b64 v89, v[90:91]
.LBB107_237:
	s_or_b64 exec, exec, s[4:5]
	s_waitcnt lgkmcnt(0)
	; wave barrier
	buffer_load_dword v137, off, s[0:3], 0 offset:172
	buffer_load_dword v138, off, s[0:3], 0 offset:180
	;; [unrolled: 1-line block ×48, first 2 shown]
	v_mov_b32_e32 v90, 0
	ds_read2_b64 v[91:94], v90 offset0:65 offset1:66
	ds_read2_b64 v[95:98], v90 offset0:67 offset1:68
	;; [unrolled: 1-line block ×7, first 2 shown]
	v_cmp_lt_u32_e32 vcc, 19, v0
	s_waitcnt vmcnt(47) lgkmcnt(6)
	v_mul_f32_e32 v119, v91, v137
	s_waitcnt vmcnt(46)
	v_mul_f32_e32 v120, v93, v138
	s_waitcnt vmcnt(45) lgkmcnt(5)
	v_mul_f32_e32 v121, v95, v139
	s_waitcnt vmcnt(44)
	v_mul_f32_e32 v122, v97, v140
	;; [unrolled: 4-line block ×6, first 2 shown]
	s_waitcnt vmcnt(35)
	v_fmac_f32_e32 v119, v92, v149
	v_mul_f32_e32 v92, v92, v137
	v_fma_f32 v91, v91, v149, -v92
	v_mul_f32_e32 v92, v94, v138
	v_add_f32_e32 v91, 0, v91
	s_waitcnt vmcnt(34)
	v_fma_f32 v92, v93, v150, -v92
	v_add_f32_e32 v91, v91, v92
	v_mul_f32_e32 v92, v96, v139
	s_waitcnt vmcnt(33)
	v_fma_f32 v92, v95, v151, -v92
	v_fmac_f32_e32 v120, v94, v150
	v_add_f32_e32 v119, 0, v119
	v_add_f32_e32 v91, v91, v92
	v_mul_f32_e32 v92, v98, v140
	v_fmac_f32_e32 v121, v96, v151
	v_add_f32_e32 v119, v119, v120
	s_waitcnt vmcnt(32)
	v_fma_f32 v92, v97, v152, -v92
	v_fmac_f32_e32 v122, v98, v152
	v_add_f32_e32 v119, v119, v121
	v_add_f32_e32 v91, v91, v92
	v_mul_f32_e32 v92, v100, v141
	s_waitcnt vmcnt(31)
	v_fmac_f32_e32 v123, v100, v153
	v_add_f32_e32 v119, v119, v122
	v_fma_f32 v92, v99, v153, -v92
	s_waitcnt vmcnt(30)
	v_fmac_f32_e32 v124, v102, v154
	v_add_f32_e32 v119, v119, v123
	v_add_f32_e32 v91, v91, v92
	v_mul_f32_e32 v92, v102, v142
	s_waitcnt vmcnt(29)
	v_fmac_f32_e32 v125, v104, v155
	v_add_f32_e32 v119, v119, v124
	v_fma_f32 v92, v101, v154, -v92
	s_waitcnt vmcnt(28)
	;; [unrolled: 9-line block ×4, first 2 shown]
	v_fmac_f32_e32 v130, v114, v160
	v_add_f32_e32 v119, v119, v129
	v_add_f32_e32 v91, v91, v92
	v_mul_f32_e32 v92, v108, v145
	v_add_f32_e32 v123, v119, v130
	ds_read2_b64 v[119:122], v90 offset0:79 offset1:80
	v_fma_f32 v92, v107, v157, -v92
	s_waitcnt vmcnt(23) lgkmcnt(1)
	v_mul_f32_e32 v124, v115, v161
	v_add_f32_e32 v91, v91, v92
	v_mul_f32_e32 v92, v110, v146
	s_waitcnt vmcnt(22)
	v_fmac_f32_e32 v124, v116, v162
	v_fma_f32 v92, v109, v158, -v92
	v_add_f32_e32 v123, v123, v124
	s_waitcnt vmcnt(21)
	v_mul_f32_e32 v124, v117, v163
	v_add_f32_e32 v91, v91, v92
	v_mul_f32_e32 v92, v112, v147
	s_waitcnt vmcnt(20)
	v_fmac_f32_e32 v124, v118, v164
	v_fma_f32 v92, v111, v159, -v92
	v_add_f32_e32 v123, v123, v124
	s_waitcnt vmcnt(19) lgkmcnt(0)
	v_mul_f32_e32 v124, v119, v165
	v_add_f32_e32 v91, v91, v92
	v_mul_f32_e32 v92, v114, v148
	s_waitcnt vmcnt(18)
	v_fmac_f32_e32 v124, v120, v166
	v_fma_f32 v92, v113, v160, -v92
	v_add_f32_e32 v127, v123, v124
	ds_read2_b64 v[123:126], v90 offset0:81 offset1:82
	v_add_f32_e32 v91, v91, v92
	v_mul_f32_e32 v92, v116, v161
	v_fma_f32 v92, v115, v162, -v92
	s_waitcnt vmcnt(17)
	v_mul_f32_e32 v128, v121, v167
	v_add_f32_e32 v91, v91, v92
	v_mul_f32_e32 v92, v118, v163
	s_waitcnt vmcnt(16)
	v_fmac_f32_e32 v128, v122, v168
	v_fma_f32 v92, v117, v164, -v92
	v_add_f32_e32 v131, v127, v128
	ds_read2_b64 v[127:130], v90 offset0:83 offset1:84
	v_add_f32_e32 v91, v91, v92
	v_mul_f32_e32 v92, v120, v165
	s_waitcnt vmcnt(15) lgkmcnt(1)
	v_mul_f32_e32 v132, v123, v169
	v_fma_f32 v92, v119, v166, -v92
	s_waitcnt vmcnt(14)
	v_fmac_f32_e32 v132, v124, v170
	v_add_f32_e32 v91, v91, v92
	v_mul_f32_e32 v92, v122, v167
	v_add_f32_e32 v131, v131, v132
	s_waitcnt vmcnt(13)
	v_mul_f32_e32 v132, v125, v171
	v_fma_f32 v92, v121, v168, -v92
	s_waitcnt vmcnt(12)
	v_fmac_f32_e32 v132, v126, v172
	v_add_f32_e32 v91, v91, v92
	v_mul_f32_e32 v92, v124, v169
	v_add_f32_e32 v131, v131, v132
	s_waitcnt vmcnt(11) lgkmcnt(0)
	v_mul_f32_e32 v132, v127, v173
	v_fma_f32 v92, v123, v170, -v92
	s_waitcnt vmcnt(10)
	v_fmac_f32_e32 v132, v128, v174
	v_add_f32_e32 v91, v91, v92
	v_mul_f32_e32 v92, v126, v171
	v_add_f32_e32 v135, v131, v132
	ds_read2_b64 v[131:134], v90 offset0:85 offset1:86
	v_fma_f32 v92, v125, v172, -v92
	v_add_f32_e32 v91, v91, v92
	v_mul_f32_e32 v92, v128, v173
	s_waitcnt vmcnt(9)
	v_mul_f32_e32 v136, v129, v175
	v_fma_f32 v92, v127, v174, -v92
	s_waitcnt vmcnt(8)
	v_fmac_f32_e32 v136, v130, v176
	v_add_f32_e32 v91, v91, v92
	v_mul_f32_e32 v92, v130, v175
	v_add_f32_e32 v185, v135, v136
	ds_read_b64 v[135:136], v90 offset:696
	v_fma_f32 v92, v129, v176, -v92
	v_add_f32_e32 v91, v91, v92
	s_waitcnt vmcnt(6) lgkmcnt(1)
	v_mul_f32_e32 v92, v132, v178
	v_mul_f32_e32 v186, v131, v178
	v_fma_f32 v92, v131, v177, -v92
	v_fmac_f32_e32 v186, v132, v177
	v_add_f32_e32 v91, v91, v92
	s_waitcnt vmcnt(3)
	v_mul_f32_e32 v92, v134, v181
	v_add_f32_e32 v185, v185, v186
	v_mul_f32_e32 v186, v133, v181
	s_waitcnt vmcnt(2)
	v_fma_f32 v92, v133, v182, -v92
	v_fmac_f32_e32 v186, v134, v182
	v_add_f32_e32 v91, v91, v92
	s_waitcnt vmcnt(0) lgkmcnt(0)
	v_mul_f32_e32 v92, v136, v184
	v_add_f32_e32 v185, v185, v186
	v_mul_f32_e32 v186, v135, v184
	v_fma_f32 v92, v135, v183, -v92
	v_fmac_f32_e32 v186, v136, v183
	v_add_f32_e32 v91, v91, v92
	v_add_f32_e32 v185, v185, v186
	v_sub_f32_e32 v91, v179, v91
	v_sub_f32_e32 v92, v180, v185
	buffer_store_dword v91, off, s[0:3], 0 offset:160
	buffer_store_dword v92, off, s[0:3], 0 offset:164
	s_and_saveexec_b64 s[4:5], vcc
	s_cbranch_execz .LBB107_239
; %bb.238:
	buffer_load_dword v91, off, s[0:3], 0 offset:152
	buffer_load_dword v92, off, s[0:3], 0 offset:156
	s_waitcnt vmcnt(0)
	ds_write_b64 v89, v[91:92]
	buffer_store_dword v90, off, s[0:3], 0 offset:152
	buffer_store_dword v90, off, s[0:3], 0 offset:156
.LBB107_239:
	s_or_b64 exec, exec, s[4:5]
	s_waitcnt lgkmcnt(0)
	; wave barrier
	buffer_load_dword v139, off, s[0:3], 0 offset:164
	buffer_load_dword v140, off, s[0:3], 0 offset:172
	;; [unrolled: 1-line block ×48, first 2 shown]
	ds_read_b128 v[91:94], v90 offset:512
	ds_read_b128 v[95:98], v90 offset:528
	buffer_load_dword v187, off, s[0:3], 0 offset:344
	buffer_load_dword v188, off, s[0:3], 0 offset:348
	ds_read_b128 v[99:102], v90 offset:544
	ds_read_b128 v[103:106], v90 offset:560
	;; [unrolled: 1-line block ×5, first 2 shown]
	v_cmp_lt_u32_e32 vcc, 18, v0
	s_waitcnt vmcnt(49) lgkmcnt(6)
	v_mul_f32_e32 v119, v91, v139
	s_waitcnt vmcnt(48)
	v_mul_f32_e32 v120, v93, v140
	s_waitcnt vmcnt(47) lgkmcnt(5)
	v_mul_f32_e32 v121, v95, v141
	s_waitcnt vmcnt(46)
	v_mul_f32_e32 v122, v97, v142
	;; [unrolled: 4-line block ×6, first 2 shown]
	s_waitcnt vmcnt(37)
	v_fmac_f32_e32 v119, v92, v151
	v_mul_f32_e32 v92, v92, v139
	v_fma_f32 v91, v91, v151, -v92
	v_mul_f32_e32 v92, v94, v140
	v_add_f32_e32 v91, 0, v91
	s_waitcnt vmcnt(36)
	v_fma_f32 v92, v93, v152, -v92
	v_add_f32_e32 v91, v91, v92
	v_mul_f32_e32 v92, v96, v141
	s_waitcnt vmcnt(35)
	v_fma_f32 v92, v95, v153, -v92
	v_fmac_f32_e32 v120, v94, v152
	v_add_f32_e32 v119, 0, v119
	v_add_f32_e32 v91, v91, v92
	v_mul_f32_e32 v92, v98, v142
	v_fmac_f32_e32 v121, v96, v153
	v_add_f32_e32 v119, v119, v120
	s_waitcnt vmcnt(34)
	v_fma_f32 v92, v97, v154, -v92
	v_fmac_f32_e32 v122, v98, v154
	v_add_f32_e32 v119, v119, v121
	v_add_f32_e32 v91, v91, v92
	v_mul_f32_e32 v92, v100, v143
	s_waitcnt vmcnt(33)
	v_fmac_f32_e32 v123, v100, v155
	v_add_f32_e32 v119, v119, v122
	v_fma_f32 v92, v99, v155, -v92
	s_waitcnt vmcnt(32)
	v_fmac_f32_e32 v124, v102, v156
	v_add_f32_e32 v119, v119, v123
	v_add_f32_e32 v91, v91, v92
	v_mul_f32_e32 v92, v102, v144
	s_waitcnt vmcnt(31)
	v_fmac_f32_e32 v125, v104, v157
	v_add_f32_e32 v119, v119, v124
	v_fma_f32 v92, v101, v156, -v92
	s_waitcnt vmcnt(30)
	;; [unrolled: 9-line block ×3, first 2 shown]
	v_fmac_f32_e32 v128, v110, v160
	v_add_f32_e32 v119, v119, v127
	v_add_f32_e32 v91, v91, v92
	v_mul_f32_e32 v92, v106, v146
	s_waitcnt vmcnt(27)
	v_fmac_f32_e32 v129, v112, v161
	v_add_f32_e32 v119, v119, v128
	v_fma_f32 v92, v105, v158, -v92
	v_add_f32_e32 v119, v119, v129
	s_waitcnt vmcnt(26)
	v_fmac_f32_e32 v130, v114, v162
	v_add_f32_e32 v91, v91, v92
	v_mul_f32_e32 v92, v108, v147
	v_add_f32_e32 v123, v119, v130
	ds_read_b128 v[119:122], v90 offset:624
	v_fma_f32 v92, v107, v159, -v92
	s_waitcnt vmcnt(25) lgkmcnt(1)
	v_mul_f32_e32 v124, v115, v163
	v_add_f32_e32 v91, v91, v92
	v_mul_f32_e32 v92, v110, v148
	s_waitcnt vmcnt(24)
	v_fmac_f32_e32 v124, v116, v164
	v_fma_f32 v92, v109, v160, -v92
	v_add_f32_e32 v123, v123, v124
	s_waitcnt vmcnt(23)
	v_mul_f32_e32 v124, v117, v165
	v_add_f32_e32 v91, v91, v92
	v_mul_f32_e32 v92, v112, v149
	s_waitcnt vmcnt(22)
	v_fmac_f32_e32 v124, v118, v166
	v_fma_f32 v92, v111, v161, -v92
	v_add_f32_e32 v123, v123, v124
	s_waitcnt vmcnt(21) lgkmcnt(0)
	v_mul_f32_e32 v124, v119, v167
	v_add_f32_e32 v91, v91, v92
	v_mul_f32_e32 v92, v114, v150
	s_waitcnt vmcnt(20)
	v_fmac_f32_e32 v124, v120, v168
	v_fma_f32 v92, v113, v162, -v92
	v_add_f32_e32 v127, v123, v124
	ds_read_b128 v[123:126], v90 offset:640
	v_add_f32_e32 v91, v91, v92
	v_mul_f32_e32 v92, v116, v163
	v_fma_f32 v92, v115, v164, -v92
	s_waitcnt vmcnt(19)
	v_mul_f32_e32 v128, v121, v169
	v_add_f32_e32 v91, v91, v92
	v_mul_f32_e32 v92, v118, v165
	s_waitcnt vmcnt(18)
	v_fmac_f32_e32 v128, v122, v170
	v_fma_f32 v92, v117, v166, -v92
	v_add_f32_e32 v131, v127, v128
	ds_read_b128 v[127:130], v90 offset:656
	v_add_f32_e32 v91, v91, v92
	v_mul_f32_e32 v92, v120, v167
	s_waitcnt vmcnt(17) lgkmcnt(1)
	v_mul_f32_e32 v132, v123, v171
	v_fma_f32 v92, v119, v168, -v92
	s_waitcnt vmcnt(16)
	v_fmac_f32_e32 v132, v124, v172
	v_add_f32_e32 v91, v91, v92
	v_mul_f32_e32 v92, v122, v169
	v_add_f32_e32 v131, v131, v132
	s_waitcnt vmcnt(15)
	v_mul_f32_e32 v132, v125, v173
	v_fma_f32 v92, v121, v170, -v92
	s_waitcnt vmcnt(14)
	v_fmac_f32_e32 v132, v126, v174
	v_add_f32_e32 v91, v91, v92
	v_mul_f32_e32 v92, v124, v171
	v_add_f32_e32 v131, v131, v132
	s_waitcnt vmcnt(13) lgkmcnt(0)
	v_mul_f32_e32 v132, v127, v175
	v_fma_f32 v92, v123, v172, -v92
	s_waitcnt vmcnt(12)
	v_fmac_f32_e32 v132, v128, v176
	v_add_f32_e32 v91, v91, v92
	v_mul_f32_e32 v92, v126, v173
	v_add_f32_e32 v135, v131, v132
	ds_read_b128 v[131:134], v90 offset:672
	v_fma_f32 v92, v125, v174, -v92
	v_add_f32_e32 v91, v91, v92
	v_mul_f32_e32 v92, v128, v175
	s_waitcnt vmcnt(11)
	v_mul_f32_e32 v136, v129, v177
	v_fma_f32 v92, v127, v176, -v92
	s_waitcnt vmcnt(10)
	v_fmac_f32_e32 v136, v130, v178
	v_add_f32_e32 v91, v91, v92
	v_mul_f32_e32 v92, v130, v177
	v_add_f32_e32 v189, v135, v136
	ds_read_b128 v[135:138], v90 offset:688
	v_fma_f32 v92, v129, v178, -v92
	v_add_f32_e32 v91, v91, v92
	s_waitcnt vmcnt(7) lgkmcnt(1)
	v_mul_f32_e32 v92, v132, v181
	v_mul_f32_e32 v90, v131, v181
	s_waitcnt vmcnt(6)
	v_fma_f32 v92, v131, v182, -v92
	v_fmac_f32_e32 v90, v132, v182
	v_add_f32_e32 v91, v91, v92
	s_waitcnt vmcnt(4)
	v_mul_f32_e32 v92, v134, v184
	v_add_f32_e32 v90, v189, v90
	v_mul_f32_e32 v189, v133, v184
	v_fma_f32 v92, v133, v183, -v92
	v_fmac_f32_e32 v189, v134, v183
	v_add_f32_e32 v91, v91, v92
	s_waitcnt vmcnt(2) lgkmcnt(0)
	v_mul_f32_e32 v92, v136, v186
	v_add_f32_e32 v90, v90, v189
	v_mul_f32_e32 v189, v135, v186
	v_fma_f32 v92, v135, v185, -v92
	v_fmac_f32_e32 v189, v136, v185
	v_add_f32_e32 v91, v91, v92
	s_waitcnt vmcnt(0)
	v_mul_f32_e32 v92, v138, v188
	v_add_f32_e32 v90, v90, v189
	v_mul_f32_e32 v189, v137, v188
	v_fma_f32 v92, v137, v187, -v92
	v_fmac_f32_e32 v189, v138, v187
	v_add_f32_e32 v91, v91, v92
	v_add_f32_e32 v90, v90, v189
	v_sub_f32_e32 v91, v179, v91
	v_sub_f32_e32 v90, v180, v90
	buffer_store_dword v91, off, s[0:3], 0 offset:152
	buffer_store_dword v90, off, s[0:3], 0 offset:156
	s_and_saveexec_b64 s[4:5], vcc
	s_cbranch_execz .LBB107_241
; %bb.240:
	buffer_load_dword v90, off, s[0:3], 0 offset:144
	buffer_load_dword v91, off, s[0:3], 0 offset:148
	v_mov_b32_e32 v92, 0
	buffer_store_dword v92, off, s[0:3], 0 offset:144
	buffer_store_dword v92, off, s[0:3], 0 offset:148
	s_waitcnt vmcnt(2)
	ds_write_b64 v89, v[90:91]
.LBB107_241:
	s_or_b64 exec, exec, s[4:5]
	s_waitcnt lgkmcnt(0)
	; wave barrier
	buffer_load_dword v141, off, s[0:3], 0 offset:156
	buffer_load_dword v142, off, s[0:3], 0 offset:164
	;; [unrolled: 1-line block ×52, first 2 shown]
	v_mov_b32_e32 v90, 0
	ds_read2_b64 v[91:94], v90 offset0:63 offset1:64
	ds_read2_b64 v[95:98], v90 offset0:65 offset1:66
	;; [unrolled: 1-line block ×6, first 2 shown]
	v_cmp_lt_u32_e32 vcc, 17, v0
	s_waitcnt vmcnt(51) lgkmcnt(5)
	v_mul_f32_e32 v115, v91, v141
	s_waitcnt vmcnt(50)
	v_mul_f32_e32 v116, v93, v142
	s_waitcnt vmcnt(49) lgkmcnt(4)
	v_mul_f32_e32 v117, v95, v143
	s_waitcnt vmcnt(48)
	v_mul_f32_e32 v118, v97, v144
	;; [unrolled: 4-line block ×5, first 2 shown]
	s_waitcnt vmcnt(41) lgkmcnt(0)
	v_mul_f32_e32 v125, v111, v151
	s_waitcnt vmcnt(40)
	v_fmac_f32_e32 v115, v92, v152
	v_mul_f32_e32 v92, v92, v141
	s_waitcnt vmcnt(39)
	v_fmac_f32_e32 v116, v94, v153
	v_add_f32_e32 v115, 0, v115
	v_fma_f32 v91, v91, v152, -v92
	v_mul_f32_e32 v92, v94, v142
	s_waitcnt vmcnt(38)
	v_fmac_f32_e32 v117, v96, v154
	v_add_f32_e32 v115, v115, v116
	v_add_f32_e32 v91, 0, v91
	v_fma_f32 v92, v93, v153, -v92
	s_waitcnt vmcnt(37)
	v_fmac_f32_e32 v118, v98, v155
	v_add_f32_e32 v115, v115, v117
	v_add_f32_e32 v91, v91, v92
	v_mul_f32_e32 v92, v96, v143
	s_waitcnt vmcnt(36)
	v_fmac_f32_e32 v119, v100, v156
	v_add_f32_e32 v115, v115, v118
	v_fma_f32 v92, v95, v154, -v92
	s_waitcnt vmcnt(35)
	v_fmac_f32_e32 v120, v102, v157
	v_add_f32_e32 v115, v115, v119
	v_add_f32_e32 v91, v91, v92
	v_mul_f32_e32 v92, v98, v144
	s_waitcnt vmcnt(34)
	v_fmac_f32_e32 v121, v104, v158
	;; [unrolled: 9-line block ×3, first 2 shown]
	v_add_f32_e32 v115, v115, v122
	v_fma_f32 v92, v99, v156, -v92
	s_waitcnt vmcnt(31)
	v_fmac_f32_e32 v124, v110, v161
	v_add_f32_e32 v115, v115, v123
	v_add_f32_e32 v91, v91, v92
	v_mul_f32_e32 v92, v102, v146
	v_add_f32_e32 v115, v115, v124
	s_waitcnt vmcnt(30)
	v_fmac_f32_e32 v125, v112, v162
	v_fma_f32 v92, v101, v157, -v92
	v_add_f32_e32 v119, v115, v125
	ds_read2_b64 v[115:118], v90 offset0:75 offset1:76
	v_add_f32_e32 v91, v91, v92
	v_mul_f32_e32 v92, v104, v147
	v_fma_f32 v92, v103, v158, -v92
	s_waitcnt vmcnt(29)
	v_mul_f32_e32 v120, v113, v163
	v_add_f32_e32 v91, v91, v92
	v_mul_f32_e32 v92, v106, v148
	s_waitcnt vmcnt(28)
	v_fmac_f32_e32 v120, v114, v164
	v_fma_f32 v92, v105, v159, -v92
	v_add_f32_e32 v123, v119, v120
	ds_read2_b64 v[119:122], v90 offset0:77 offset1:78
	v_add_f32_e32 v91, v91, v92
	v_mul_f32_e32 v92, v108, v149
	s_waitcnt vmcnt(27) lgkmcnt(1)
	v_mul_f32_e32 v124, v115, v165
	v_fma_f32 v92, v107, v160, -v92
	s_waitcnt vmcnt(26)
	v_fmac_f32_e32 v124, v116, v166
	v_add_f32_e32 v91, v91, v92
	v_mul_f32_e32 v92, v110, v150
	v_add_f32_e32 v123, v123, v124
	s_waitcnt vmcnt(25)
	v_mul_f32_e32 v124, v117, v167
	v_fma_f32 v92, v109, v161, -v92
	s_waitcnt vmcnt(24)
	v_fmac_f32_e32 v124, v118, v168
	v_add_f32_e32 v91, v91, v92
	v_mul_f32_e32 v92, v112, v151
	v_add_f32_e32 v123, v123, v124
	s_waitcnt vmcnt(23) lgkmcnt(0)
	v_mul_f32_e32 v124, v119, v169
	v_fma_f32 v92, v111, v162, -v92
	s_waitcnt vmcnt(22)
	v_fmac_f32_e32 v124, v120, v170
	v_add_f32_e32 v91, v91, v92
	v_mul_f32_e32 v92, v114, v163
	v_add_f32_e32 v127, v123, v124
	ds_read2_b64 v[123:126], v90 offset0:79 offset1:80
	v_fma_f32 v92, v113, v164, -v92
	v_add_f32_e32 v91, v91, v92
	v_mul_f32_e32 v92, v116, v165
	s_waitcnt vmcnt(21)
	v_mul_f32_e32 v128, v121, v171
	v_fma_f32 v92, v115, v166, -v92
	s_waitcnt vmcnt(20)
	v_fmac_f32_e32 v128, v122, v172
	v_add_f32_e32 v91, v91, v92
	v_mul_f32_e32 v92, v118, v167
	v_add_f32_e32 v131, v127, v128
	ds_read2_b64 v[127:130], v90 offset0:81 offset1:82
	v_fma_f32 v92, v117, v168, -v92
	s_waitcnt vmcnt(19) lgkmcnt(1)
	v_mul_f32_e32 v132, v123, v173
	v_add_f32_e32 v91, v91, v92
	v_mul_f32_e32 v92, v120, v169
	s_waitcnt vmcnt(18)
	v_fmac_f32_e32 v132, v124, v174
	v_fma_f32 v92, v119, v170, -v92
	v_add_f32_e32 v131, v131, v132
	s_waitcnt vmcnt(17)
	v_mul_f32_e32 v132, v125, v175
	v_add_f32_e32 v91, v91, v92
	v_mul_f32_e32 v92, v122, v171
	s_waitcnt vmcnt(16)
	v_fmac_f32_e32 v132, v126, v176
	v_fma_f32 v92, v121, v172, -v92
	v_add_f32_e32 v131, v131, v132
	s_waitcnt vmcnt(14) lgkmcnt(0)
	v_mul_f32_e32 v132, v127, v178
	v_add_f32_e32 v91, v91, v92
	v_mul_f32_e32 v92, v124, v173
	v_fmac_f32_e32 v132, v128, v177
	v_fma_f32 v92, v123, v174, -v92
	v_add_f32_e32 v135, v131, v132
	ds_read2_b64 v[131:134], v90 offset0:83 offset1:84
	v_add_f32_e32 v91, v91, v92
	v_mul_f32_e32 v92, v126, v175
	v_fma_f32 v92, v125, v176, -v92
	v_add_f32_e32 v91, v91, v92
	v_mul_f32_e32 v92, v128, v178
	s_waitcnt vmcnt(11)
	v_mul_f32_e32 v136, v129, v181
	v_fma_f32 v92, v127, v177, -v92
	s_waitcnt vmcnt(10)
	v_fmac_f32_e32 v136, v130, v182
	v_add_f32_e32 v91, v91, v92
	v_mul_f32_e32 v92, v130, v181
	v_add_f32_e32 v139, v135, v136
	ds_read2_b64 v[135:138], v90 offset0:85 offset1:86
	s_waitcnt vmcnt(8) lgkmcnt(1)
	v_mul_f32_e32 v140, v131, v184
	v_fma_f32 v92, v129, v182, -v92
	v_fmac_f32_e32 v140, v132, v183
	v_add_f32_e32 v91, v91, v92
	v_mul_f32_e32 v92, v132, v184
	v_add_f32_e32 v139, v139, v140
	s_waitcnt vmcnt(6)
	v_mul_f32_e32 v140, v133, v186
	v_fma_f32 v92, v131, v183, -v92
	v_fmac_f32_e32 v140, v134, v185
	v_add_f32_e32 v91, v91, v92
	v_mul_f32_e32 v92, v134, v186
	v_add_f32_e32 v193, v139, v140
	ds_read_b64 v[139:140], v90 offset:696
	v_fma_f32 v92, v133, v185, -v92
	v_add_f32_e32 v91, v91, v92
	s_waitcnt vmcnt(4) lgkmcnt(1)
	v_mul_f32_e32 v92, v136, v188
	v_mul_f32_e32 v194, v135, v188
	v_fma_f32 v92, v135, v187, -v92
	v_fmac_f32_e32 v194, v136, v187
	v_add_f32_e32 v91, v91, v92
	s_waitcnt vmcnt(2)
	v_mul_f32_e32 v92, v138, v190
	v_add_f32_e32 v193, v193, v194
	v_mul_f32_e32 v194, v137, v190
	v_fma_f32 v92, v137, v189, -v92
	v_fmac_f32_e32 v194, v138, v189
	v_add_f32_e32 v91, v91, v92
	s_waitcnt vmcnt(0) lgkmcnt(0)
	v_mul_f32_e32 v92, v140, v192
	v_add_f32_e32 v193, v193, v194
	v_mul_f32_e32 v194, v139, v192
	v_fma_f32 v92, v139, v191, -v92
	v_fmac_f32_e32 v194, v140, v191
	v_add_f32_e32 v91, v91, v92
	v_add_f32_e32 v193, v193, v194
	v_sub_f32_e32 v91, v179, v91
	v_sub_f32_e32 v92, v180, v193
	buffer_store_dword v91, off, s[0:3], 0 offset:144
	buffer_store_dword v92, off, s[0:3], 0 offset:148
	s_and_saveexec_b64 s[4:5], vcc
	s_cbranch_execz .LBB107_243
; %bb.242:
	buffer_load_dword v91, off, s[0:3], 0 offset:136
	buffer_load_dword v92, off, s[0:3], 0 offset:140
	s_waitcnt vmcnt(0)
	ds_write_b64 v89, v[91:92]
	buffer_store_dword v90, off, s[0:3], 0 offset:136
	buffer_store_dword v90, off, s[0:3], 0 offset:140
.LBB107_243:
	s_or_b64 exec, exec, s[4:5]
	s_waitcnt lgkmcnt(0)
	; wave barrier
	buffer_load_dword v143, off, s[0:3], 0 offset:148
	buffer_load_dword v144, off, s[0:3], 0 offset:156
	;; [unrolled: 1-line block ×42, first 2 shown]
	ds_read_b128 v[91:94], v90 offset:496
	ds_read_b128 v[95:98], v90 offset:512
	;; [unrolled: 1-line block ×4, first 2 shown]
	buffer_load_dword v185, off, s[0:3], 0 offset:308
	buffer_load_dword v186, off, s[0:3], 0 offset:304
	;; [unrolled: 1-line block ×6, first 2 shown]
	ds_read_b128 v[107:110], v90 offset:560
	ds_read_b128 v[111:114], v90 offset:576
	buffer_load_dword v191, off, s[0:3], 0 offset:328
	buffer_load_dword v192, off, s[0:3], 0 offset:332
	;; [unrolled: 1-line block ×6, first 2 shown]
	v_cmp_lt_u32_e32 vcc, 16, v0
	s_waitcnt vmcnt(53) lgkmcnt(5)
	v_mul_f32_e32 v115, v91, v143
	s_waitcnt vmcnt(52)
	v_mul_f32_e32 v116, v93, v144
	s_waitcnt vmcnt(51) lgkmcnt(4)
	v_mul_f32_e32 v117, v95, v145
	s_waitcnt vmcnt(50)
	v_mul_f32_e32 v118, v97, v146
	;; [unrolled: 4-line block ×5, first 2 shown]
	s_waitcnt vmcnt(43)
	v_fmac_f32_e32 v115, v92, v153
	v_mul_f32_e32 v92, v92, v143
	s_waitcnt vmcnt(42)
	v_fmac_f32_e32 v116, v94, v154
	v_add_f32_e32 v115, 0, v115
	v_fma_f32 v91, v91, v153, -v92
	v_mul_f32_e32 v92, v94, v144
	s_waitcnt vmcnt(41)
	v_fmac_f32_e32 v117, v96, v155
	v_add_f32_e32 v115, v115, v116
	v_add_f32_e32 v91, 0, v91
	v_fma_f32 v92, v93, v154, -v92
	s_waitcnt vmcnt(40)
	v_fmac_f32_e32 v118, v98, v156
	v_add_f32_e32 v115, v115, v117
	v_add_f32_e32 v91, v91, v92
	v_mul_f32_e32 v92, v96, v145
	s_waitcnt vmcnt(39)
	v_fmac_f32_e32 v119, v100, v157
	v_add_f32_e32 v115, v115, v118
	v_fma_f32 v92, v95, v155, -v92
	s_waitcnt vmcnt(38)
	v_fmac_f32_e32 v120, v102, v158
	v_add_f32_e32 v115, v115, v119
	v_add_f32_e32 v91, v91, v92
	v_mul_f32_e32 v92, v98, v146
	s_waitcnt vmcnt(37)
	v_fmac_f32_e32 v121, v104, v159
	;; [unrolled: 9-line block ×3, first 2 shown]
	v_add_f32_e32 v115, v115, v122
	v_fma_f32 v92, v99, v157, -v92
	s_waitcnt vmcnt(34)
	v_fmac_f32_e32 v124, v110, v162
	v_add_f32_e32 v115, v115, v123
	s_waitcnt vmcnt(33) lgkmcnt(0)
	v_mul_f32_e32 v116, v111, v163
	v_add_f32_e32 v91, v91, v92
	v_mul_f32_e32 v92, v102, v148
	v_add_f32_e32 v115, v115, v124
	s_waitcnt vmcnt(32)
	v_fmac_f32_e32 v116, v112, v164
	v_fma_f32 v92, v101, v158, -v92
	v_add_f32_e32 v119, v115, v116
	ds_read_b128 v[115:118], v90 offset:592
	v_add_f32_e32 v91, v91, v92
	v_mul_f32_e32 v92, v104, v149
	v_fma_f32 v92, v103, v159, -v92
	s_waitcnt vmcnt(31)
	v_mul_f32_e32 v120, v113, v165
	v_add_f32_e32 v91, v91, v92
	v_mul_f32_e32 v92, v106, v150
	s_waitcnt vmcnt(30)
	v_fmac_f32_e32 v120, v114, v166
	v_fma_f32 v92, v105, v160, -v92
	v_add_f32_e32 v123, v119, v120
	ds_read_b128 v[119:122], v90 offset:608
	v_add_f32_e32 v91, v91, v92
	v_mul_f32_e32 v92, v108, v151
	s_waitcnt vmcnt(29) lgkmcnt(1)
	v_mul_f32_e32 v124, v115, v167
	v_fma_f32 v92, v107, v161, -v92
	s_waitcnt vmcnt(28)
	v_fmac_f32_e32 v124, v116, v168
	v_add_f32_e32 v91, v91, v92
	v_mul_f32_e32 v92, v110, v152
	v_add_f32_e32 v123, v123, v124
	s_waitcnt vmcnt(27)
	v_mul_f32_e32 v124, v117, v169
	v_fma_f32 v92, v109, v162, -v92
	s_waitcnt vmcnt(26)
	v_fmac_f32_e32 v124, v118, v170
	v_add_f32_e32 v91, v91, v92
	v_mul_f32_e32 v92, v112, v163
	v_add_f32_e32 v123, v123, v124
	s_waitcnt vmcnt(25) lgkmcnt(0)
	v_mul_f32_e32 v124, v119, v171
	v_fma_f32 v92, v111, v164, -v92
	s_waitcnt vmcnt(24)
	v_fmac_f32_e32 v124, v120, v172
	v_add_f32_e32 v91, v91, v92
	v_mul_f32_e32 v92, v114, v165
	v_add_f32_e32 v127, v123, v124
	ds_read_b128 v[123:126], v90 offset:624
	v_fma_f32 v92, v113, v166, -v92
	v_add_f32_e32 v91, v91, v92
	v_mul_f32_e32 v92, v116, v167
	s_waitcnt vmcnt(23)
	v_mul_f32_e32 v128, v121, v173
	v_fma_f32 v92, v115, v168, -v92
	s_waitcnt vmcnt(22)
	v_fmac_f32_e32 v128, v122, v174
	v_add_f32_e32 v91, v91, v92
	v_mul_f32_e32 v92, v118, v169
	v_add_f32_e32 v131, v127, v128
	ds_read_b128 v[127:130], v90 offset:640
	v_fma_f32 v92, v117, v170, -v92
	s_waitcnt vmcnt(21) lgkmcnt(1)
	v_mul_f32_e32 v132, v123, v175
	v_add_f32_e32 v91, v91, v92
	v_mul_f32_e32 v92, v120, v171
	s_waitcnt vmcnt(20)
	v_fmac_f32_e32 v132, v124, v176
	v_fma_f32 v92, v119, v172, -v92
	v_add_f32_e32 v131, v131, v132
	s_waitcnt vmcnt(18)
	v_mul_f32_e32 v132, v125, v178
	v_add_f32_e32 v91, v91, v92
	v_mul_f32_e32 v92, v122, v173
	v_fmac_f32_e32 v132, v126, v177
	v_fma_f32 v92, v121, v174, -v92
	v_add_f32_e32 v131, v131, v132
	s_waitcnt vmcnt(15) lgkmcnt(0)
	v_mul_f32_e32 v132, v127, v181
	v_add_f32_e32 v91, v91, v92
	v_mul_f32_e32 v92, v124, v175
	s_waitcnt vmcnt(14)
	v_fmac_f32_e32 v132, v128, v182
	v_fma_f32 v92, v123, v176, -v92
	v_add_f32_e32 v135, v131, v132
	ds_read_b128 v[131:134], v90 offset:656
	v_add_f32_e32 v91, v91, v92
	v_mul_f32_e32 v92, v126, v178
	v_fma_f32 v92, v125, v177, -v92
	v_add_f32_e32 v91, v91, v92
	v_mul_f32_e32 v92, v128, v181
	s_waitcnt vmcnt(12)
	v_mul_f32_e32 v136, v129, v184
	v_fma_f32 v92, v127, v182, -v92
	v_fmac_f32_e32 v136, v130, v183
	v_add_f32_e32 v91, v91, v92
	v_mul_f32_e32 v92, v130, v184
	v_add_f32_e32 v139, v135, v136
	ds_read_b128 v[135:138], v90 offset:672
	s_waitcnt vmcnt(11) lgkmcnt(1)
	v_mul_f32_e32 v140, v131, v185
	v_fma_f32 v92, v129, v183, -v92
	s_waitcnt vmcnt(10)
	v_fmac_f32_e32 v140, v132, v186
	v_add_f32_e32 v91, v91, v92
	v_mul_f32_e32 v92, v132, v185
	v_add_f32_e32 v139, v139, v140
	s_waitcnt vmcnt(8)
	v_mul_f32_e32 v140, v133, v188
	v_fma_f32 v92, v131, v186, -v92
	v_fmac_f32_e32 v140, v134, v187
	v_add_f32_e32 v91, v91, v92
	v_mul_f32_e32 v92, v134, v188
	v_add_f32_e32 v197, v139, v140
	ds_read_b128 v[139:142], v90 offset:688
	v_fma_f32 v92, v133, v187, -v92
	v_add_f32_e32 v91, v91, v92
	s_waitcnt vmcnt(6) lgkmcnt(1)
	v_mul_f32_e32 v92, v136, v190
	v_mul_f32_e32 v198, v135, v190
	v_fma_f32 v92, v135, v189, -v92
	v_fmac_f32_e32 v198, v136, v189
	v_add_f32_e32 v91, v91, v92
	s_waitcnt vmcnt(4)
	v_mul_f32_e32 v92, v138, v192
	v_add_f32_e32 v90, v197, v198
	v_mul_f32_e32 v197, v137, v192
	v_fma_f32 v92, v137, v191, -v92
	v_fmac_f32_e32 v197, v138, v191
	v_add_f32_e32 v91, v91, v92
	s_waitcnt vmcnt(2) lgkmcnt(0)
	v_mul_f32_e32 v92, v140, v194
	v_add_f32_e32 v90, v90, v197
	v_mul_f32_e32 v197, v139, v194
	v_fma_f32 v92, v139, v193, -v92
	v_fmac_f32_e32 v197, v140, v193
	v_add_f32_e32 v91, v91, v92
	s_waitcnt vmcnt(0)
	v_mul_f32_e32 v92, v142, v196
	v_add_f32_e32 v90, v90, v197
	v_mul_f32_e32 v197, v141, v196
	v_fma_f32 v92, v141, v195, -v92
	v_fmac_f32_e32 v197, v142, v195
	v_add_f32_e32 v91, v91, v92
	v_add_f32_e32 v90, v90, v197
	v_sub_f32_e32 v91, v179, v91
	v_sub_f32_e32 v90, v180, v90
	buffer_store_dword v91, off, s[0:3], 0 offset:136
	buffer_store_dword v90, off, s[0:3], 0 offset:140
	s_and_saveexec_b64 s[4:5], vcc
	s_cbranch_execz .LBB107_245
; %bb.244:
	buffer_load_dword v90, off, s[0:3], 0 offset:128
	buffer_load_dword v91, off, s[0:3], 0 offset:132
	v_mov_b32_e32 v92, 0
	buffer_store_dword v92, off, s[0:3], 0 offset:128
	buffer_store_dword v92, off, s[0:3], 0 offset:132
	s_waitcnt vmcnt(2)
	ds_write_b64 v89, v[90:91]
.LBB107_245:
	s_or_b64 exec, exec, s[4:5]
	s_waitcnt lgkmcnt(0)
	; wave barrier
	buffer_load_dword v145, off, s[0:3], 0 offset:140
	buffer_load_dword v146, off, s[0:3], 0 offset:148
	;; [unrolled: 1-line block ×56, first 2 shown]
	v_mov_b32_e32 v90, 0
	ds_read2_b64 v[91:94], v90 offset0:61 offset1:62
	ds_read2_b64 v[95:98], v90 offset0:63 offset1:64
	ds_read2_b64 v[99:102], v90 offset0:65 offset1:66
	ds_read2_b64 v[103:106], v90 offset0:67 offset1:68
	ds_read2_b64 v[107:110], v90 offset0:69 offset1:70
	ds_read2_b64 v[111:114], v90 offset0:71 offset1:72
	v_cmp_lt_u32_e32 vcc, 15, v0
	s_waitcnt vmcnt(55) lgkmcnt(5)
	v_mul_f32_e32 v115, v91, v145
	s_waitcnt vmcnt(54)
	v_mul_f32_e32 v116, v93, v146
	s_waitcnt vmcnt(53) lgkmcnt(4)
	v_mul_f32_e32 v117, v95, v147
	s_waitcnt vmcnt(52)
	v_mul_f32_e32 v118, v97, v148
	;; [unrolled: 4-line block ×4, first 2 shown]
	s_waitcnt vmcnt(47) lgkmcnt(1)
	v_mul_f32_e32 v123, v107, v153
	s_waitcnt vmcnt(46)
	v_fmac_f32_e32 v115, v92, v154
	s_waitcnt vmcnt(45)
	v_fmac_f32_e32 v116, v94, v155
	v_add_f32_e32 v115, 0, v115
	s_waitcnt vmcnt(44)
	v_fmac_f32_e32 v117, v96, v156
	v_add_f32_e32 v115, v115, v116
	s_waitcnt vmcnt(43)
	v_fmac_f32_e32 v118, v98, v157
	v_add_f32_e32 v115, v115, v117
	v_mul_f32_e32 v92, v92, v145
	s_waitcnt vmcnt(42)
	v_fmac_f32_e32 v119, v100, v158
	v_add_f32_e32 v115, v115, v118
	v_fma_f32 v91, v91, v154, -v92
	v_mul_f32_e32 v92, v94, v146
	s_waitcnt vmcnt(41)
	v_fmac_f32_e32 v120, v102, v159
	v_add_f32_e32 v115, v115, v119
	v_add_f32_e32 v91, 0, v91
	v_fma_f32 v92, v93, v155, -v92
	s_waitcnt vmcnt(40)
	v_fmac_f32_e32 v121, v104, v160
	v_add_f32_e32 v115, v115, v120
	v_add_f32_e32 v91, v91, v92
	v_mul_f32_e32 v92, v96, v147
	s_waitcnt vmcnt(39)
	v_fmac_f32_e32 v122, v106, v161
	v_add_f32_e32 v115, v115, v121
	v_fma_f32 v92, v95, v156, -v92
	v_add_f32_e32 v115, v115, v122
	s_waitcnt vmcnt(38)
	v_fmac_f32_e32 v123, v108, v162
	s_waitcnt vmcnt(37)
	v_mul_f32_e32 v116, v109, v163
	v_add_f32_e32 v91, v91, v92
	v_mul_f32_e32 v92, v98, v148
	v_add_f32_e32 v115, v115, v123
	s_waitcnt vmcnt(36)
	v_fmac_f32_e32 v116, v110, v164
	v_fma_f32 v92, v97, v157, -v92
	v_add_f32_e32 v115, v115, v116
	s_waitcnt vmcnt(35) lgkmcnt(0)
	v_mul_f32_e32 v116, v111, v165
	v_add_f32_e32 v91, v91, v92
	v_mul_f32_e32 v92, v100, v149
	s_waitcnt vmcnt(34)
	v_fmac_f32_e32 v116, v112, v166
	v_fma_f32 v92, v99, v158, -v92
	v_add_f32_e32 v119, v115, v116
	ds_read2_b64 v[115:118], v90 offset0:73 offset1:74
	v_add_f32_e32 v91, v91, v92
	v_mul_f32_e32 v92, v102, v150
	v_fma_f32 v92, v101, v159, -v92
	s_waitcnt vmcnt(33)
	v_mul_f32_e32 v120, v113, v167
	v_add_f32_e32 v91, v91, v92
	v_mul_f32_e32 v92, v104, v151
	s_waitcnt vmcnt(32)
	v_fmac_f32_e32 v120, v114, v168
	v_fma_f32 v92, v103, v160, -v92
	v_add_f32_e32 v123, v119, v120
	ds_read2_b64 v[119:122], v90 offset0:75 offset1:76
	v_add_f32_e32 v91, v91, v92
	v_mul_f32_e32 v92, v106, v152
	s_waitcnt vmcnt(31) lgkmcnt(1)
	v_mul_f32_e32 v124, v115, v169
	v_fma_f32 v92, v105, v161, -v92
	s_waitcnt vmcnt(30)
	v_fmac_f32_e32 v124, v116, v170
	v_add_f32_e32 v91, v91, v92
	v_mul_f32_e32 v92, v108, v153
	v_add_f32_e32 v123, v123, v124
	s_waitcnt vmcnt(29)
	v_mul_f32_e32 v124, v117, v171
	v_fma_f32 v92, v107, v162, -v92
	s_waitcnt vmcnt(28)
	v_fmac_f32_e32 v124, v118, v172
	v_add_f32_e32 v91, v91, v92
	v_mul_f32_e32 v92, v110, v163
	v_add_f32_e32 v123, v123, v124
	s_waitcnt vmcnt(27) lgkmcnt(0)
	v_mul_f32_e32 v124, v119, v173
	v_fma_f32 v92, v109, v164, -v92
	s_waitcnt vmcnt(26)
	v_fmac_f32_e32 v124, v120, v174
	v_add_f32_e32 v91, v91, v92
	v_mul_f32_e32 v92, v112, v165
	v_add_f32_e32 v127, v123, v124
	ds_read2_b64 v[123:126], v90 offset0:77 offset1:78
	v_fma_f32 v92, v111, v166, -v92
	v_add_f32_e32 v91, v91, v92
	v_mul_f32_e32 v92, v114, v167
	s_waitcnt vmcnt(24)
	v_mul_f32_e32 v128, v121, v176
	v_fma_f32 v92, v113, v168, -v92
	v_fmac_f32_e32 v128, v122, v175
	v_add_f32_e32 v91, v91, v92
	v_mul_f32_e32 v92, v116, v169
	v_add_f32_e32 v131, v127, v128
	ds_read2_b64 v[127:130], v90 offset0:79 offset1:80
	v_fma_f32 v92, v115, v170, -v92
	s_waitcnt vmcnt(21) lgkmcnt(1)
	v_mul_f32_e32 v132, v123, v179
	v_add_f32_e32 v91, v91, v92
	v_mul_f32_e32 v92, v118, v171
	s_waitcnt vmcnt(20)
	v_fmac_f32_e32 v132, v124, v180
	v_fma_f32 v92, v117, v172, -v92
	v_add_f32_e32 v131, v131, v132
	s_waitcnt vmcnt(18)
	v_mul_f32_e32 v132, v125, v182
	v_add_f32_e32 v91, v91, v92
	v_mul_f32_e32 v92, v120, v173
	v_fmac_f32_e32 v132, v126, v181
	v_fma_f32 v92, v119, v174, -v92
	v_add_f32_e32 v131, v131, v132
	s_waitcnt vmcnt(16) lgkmcnt(0)
	v_mul_f32_e32 v132, v127, v184
	v_add_f32_e32 v91, v91, v92
	v_mul_f32_e32 v92, v122, v176
	v_fmac_f32_e32 v132, v128, v183
	v_fma_f32 v92, v121, v175, -v92
	v_add_f32_e32 v135, v131, v132
	ds_read2_b64 v[131:134], v90 offset0:81 offset1:82
	v_add_f32_e32 v91, v91, v92
	v_mul_f32_e32 v92, v124, v179
	v_fma_f32 v92, v123, v180, -v92
	s_waitcnt vmcnt(14)
	v_mul_f32_e32 v136, v129, v186
	v_add_f32_e32 v91, v91, v92
	v_mul_f32_e32 v92, v126, v182
	v_fmac_f32_e32 v136, v130, v185
	v_fma_f32 v92, v125, v181, -v92
	v_add_f32_e32 v139, v135, v136
	ds_read2_b64 v[135:138], v90 offset0:83 offset1:84
	v_add_f32_e32 v91, v91, v92
	v_mul_f32_e32 v92, v128, v184
	s_waitcnt vmcnt(12) lgkmcnt(1)
	v_mul_f32_e32 v140, v131, v188
	v_fma_f32 v92, v127, v183, -v92
	v_fmac_f32_e32 v140, v132, v187
	v_add_f32_e32 v91, v91, v92
	v_mul_f32_e32 v92, v130, v186
	v_add_f32_e32 v139, v139, v140
	s_waitcnt vmcnt(10)
	v_mul_f32_e32 v140, v133, v190
	v_fma_f32 v92, v129, v185, -v92
	v_fmac_f32_e32 v140, v134, v189
	v_add_f32_e32 v91, v91, v92
	v_mul_f32_e32 v92, v132, v188
	v_add_f32_e32 v139, v139, v140
	s_waitcnt vmcnt(8) lgkmcnt(0)
	v_mul_f32_e32 v140, v135, v192
	v_fma_f32 v92, v131, v187, -v92
	v_fmac_f32_e32 v140, v136, v191
	v_add_f32_e32 v91, v91, v92
	v_mul_f32_e32 v92, v134, v190
	v_add_f32_e32 v143, v139, v140
	ds_read2_b64 v[139:142], v90 offset0:85 offset1:86
	v_fma_f32 v92, v133, v189, -v92
	v_add_f32_e32 v91, v91, v92
	v_mul_f32_e32 v92, v136, v192
	s_waitcnt vmcnt(6)
	v_mul_f32_e32 v144, v137, v194
	v_fma_f32 v92, v135, v191, -v92
	v_fmac_f32_e32 v144, v138, v193
	v_add_f32_e32 v91, v91, v92
	v_mul_f32_e32 v92, v138, v194
	v_add_f32_e32 v201, v143, v144
	ds_read_b64 v[143:144], v90 offset:696
	v_fma_f32 v92, v137, v193, -v92
	v_add_f32_e32 v91, v91, v92
	s_waitcnt vmcnt(4) lgkmcnt(1)
	v_mul_f32_e32 v92, v140, v196
	v_mul_f32_e32 v202, v139, v196
	v_fma_f32 v92, v139, v195, -v92
	v_fmac_f32_e32 v202, v140, v195
	v_add_f32_e32 v91, v91, v92
	s_waitcnt vmcnt(2)
	v_mul_f32_e32 v92, v142, v198
	v_add_f32_e32 v201, v201, v202
	v_mul_f32_e32 v202, v141, v198
	v_fma_f32 v92, v141, v197, -v92
	v_fmac_f32_e32 v202, v142, v197
	v_add_f32_e32 v91, v91, v92
	s_waitcnt vmcnt(0) lgkmcnt(0)
	v_mul_f32_e32 v92, v144, v200
	v_add_f32_e32 v201, v201, v202
	v_mul_f32_e32 v202, v143, v200
	v_fma_f32 v92, v143, v199, -v92
	v_fmac_f32_e32 v202, v144, v199
	v_add_f32_e32 v91, v91, v92
	v_add_f32_e32 v201, v201, v202
	v_sub_f32_e32 v91, v177, v91
	v_sub_f32_e32 v92, v178, v201
	buffer_store_dword v91, off, s[0:3], 0 offset:128
	buffer_store_dword v92, off, s[0:3], 0 offset:132
	s_and_saveexec_b64 s[4:5], vcc
	s_cbranch_execz .LBB107_247
; %bb.246:
	buffer_load_dword v91, off, s[0:3], 0 offset:120
	buffer_load_dword v92, off, s[0:3], 0 offset:124
	s_waitcnt vmcnt(0)
	ds_write_b64 v89, v[91:92]
	buffer_store_dword v90, off, s[0:3], 0 offset:120
	buffer_store_dword v90, off, s[0:3], 0 offset:124
.LBB107_247:
	s_or_b64 exec, exec, s[4:5]
	s_waitcnt lgkmcnt(0)
	; wave barrier
	buffer_load_dword v147, off, s[0:3], 0 offset:132
	buffer_load_dword v148, off, s[0:3], 0 offset:140
	;; [unrolled: 1-line block ×34, first 2 shown]
	ds_read_b128 v[91:94], v90 offset:480
	ds_read_b128 v[95:98], v90 offset:496
	buffer_load_dword v181, off, s[0:3], 0 offset:260
	buffer_load_dword v182, off, s[0:3], 0 offset:256
	;; [unrolled: 1-line block ×6, first 2 shown]
	ds_read_b128 v[99:102], v90 offset:512
	ds_read_b128 v[103:106], v90 offset:528
	;; [unrolled: 1-line block ×4, first 2 shown]
	buffer_load_dword v187, off, s[0:3], 0 offset:284
	buffer_load_dword v188, off, s[0:3], 0 offset:280
	;; [unrolled: 1-line block ×18, first 2 shown]
	v_cmp_lt_u32_e32 vcc, 14, v0
	s_waitcnt vmcnt(57) lgkmcnt(5)
	v_mul_f32_e32 v115, v91, v147
	s_waitcnt vmcnt(56)
	v_mul_f32_e32 v116, v93, v148
	s_waitcnt vmcnt(55) lgkmcnt(4)
	v_mul_f32_e32 v117, v95, v149
	s_waitcnt vmcnt(54)
	v_mul_f32_e32 v118, v97, v150
	;; [unrolled: 4-line block ×4, first 2 shown]
	s_waitcnt vmcnt(49)
	v_fmac_f32_e32 v115, v92, v155
	s_waitcnt vmcnt(48)
	v_fmac_f32_e32 v116, v94, v156
	v_add_f32_e32 v115, 0, v115
	s_waitcnt vmcnt(47)
	v_fmac_f32_e32 v117, v96, v157
	v_add_f32_e32 v115, v115, v116
	;; [unrolled: 3-line block ×4, first 2 shown]
	v_mul_f32_e32 v92, v92, v147
	s_waitcnt vmcnt(44)
	v_fmac_f32_e32 v120, v102, v160
	v_add_f32_e32 v115, v115, v119
	v_fma_f32 v91, v91, v155, -v92
	v_mul_f32_e32 v92, v94, v148
	s_waitcnt vmcnt(43)
	v_fmac_f32_e32 v121, v104, v161
	v_add_f32_e32 v115, v115, v120
	v_add_f32_e32 v91, 0, v91
	v_fma_f32 v92, v93, v156, -v92
	s_waitcnt vmcnt(42)
	v_fmac_f32_e32 v122, v106, v162
	v_add_f32_e32 v115, v115, v121
	s_waitcnt vmcnt(41) lgkmcnt(1)
	v_mul_f32_e32 v116, v107, v163
	v_add_f32_e32 v91, v91, v92
	v_mul_f32_e32 v92, v96, v149
	v_add_f32_e32 v115, v115, v122
	s_waitcnt vmcnt(40)
	v_fmac_f32_e32 v116, v108, v164
	v_fma_f32 v92, v95, v157, -v92
	v_add_f32_e32 v115, v115, v116
	s_waitcnt vmcnt(39)
	v_mul_f32_e32 v116, v109, v165
	v_add_f32_e32 v91, v91, v92
	v_mul_f32_e32 v92, v98, v150
	s_waitcnt vmcnt(38)
	v_fmac_f32_e32 v116, v110, v166
	v_fma_f32 v92, v97, v158, -v92
	v_add_f32_e32 v115, v115, v116
	s_waitcnt vmcnt(37) lgkmcnt(0)
	v_mul_f32_e32 v116, v111, v167
	v_add_f32_e32 v91, v91, v92
	v_mul_f32_e32 v92, v100, v151
	s_waitcnt vmcnt(36)
	v_fmac_f32_e32 v116, v112, v168
	v_fma_f32 v92, v99, v159, -v92
	v_add_f32_e32 v119, v115, v116
	ds_read_b128 v[115:118], v90 offset:576
	v_add_f32_e32 v91, v91, v92
	v_mul_f32_e32 v92, v102, v152
	v_fma_f32 v92, v101, v160, -v92
	s_waitcnt vmcnt(35)
	v_mul_f32_e32 v120, v113, v169
	v_add_f32_e32 v91, v91, v92
	v_mul_f32_e32 v92, v104, v153
	s_waitcnt vmcnt(34)
	v_fmac_f32_e32 v120, v114, v170
	v_fma_f32 v92, v103, v161, -v92
	v_add_f32_e32 v123, v119, v120
	ds_read_b128 v[119:122], v90 offset:592
	v_add_f32_e32 v91, v91, v92
	v_mul_f32_e32 v92, v106, v154
	s_waitcnt vmcnt(33) lgkmcnt(1)
	v_mul_f32_e32 v124, v115, v171
	v_fma_f32 v92, v105, v162, -v92
	s_waitcnt vmcnt(32)
	v_fmac_f32_e32 v124, v116, v172
	v_add_f32_e32 v91, v91, v92
	v_mul_f32_e32 v92, v108, v163
	v_add_f32_e32 v123, v123, v124
	s_waitcnt vmcnt(31)
	v_mul_f32_e32 v124, v117, v173
	v_fma_f32 v92, v107, v164, -v92
	s_waitcnt vmcnt(30)
	v_fmac_f32_e32 v124, v118, v174
	v_add_f32_e32 v91, v91, v92
	v_mul_f32_e32 v92, v110, v165
	v_add_f32_e32 v123, v123, v124
	s_waitcnt vmcnt(29) lgkmcnt(0)
	v_mul_f32_e32 v124, v119, v175
	v_fma_f32 v92, v109, v166, -v92
	s_waitcnt vmcnt(28)
	v_fmac_f32_e32 v124, v120, v176
	v_add_f32_e32 v91, v91, v92
	v_mul_f32_e32 v92, v112, v167
	v_add_f32_e32 v127, v123, v124
	ds_read_b128 v[123:126], v90 offset:608
	v_fma_f32 v92, v111, v168, -v92
	v_add_f32_e32 v91, v91, v92
	v_mul_f32_e32 v92, v114, v169
	s_waitcnt vmcnt(25)
	v_mul_f32_e32 v128, v121, v179
	v_fma_f32 v92, v113, v170, -v92
	s_waitcnt vmcnt(24)
	v_fmac_f32_e32 v128, v122, v180
	v_add_f32_e32 v91, v91, v92
	v_mul_f32_e32 v92, v116, v171
	v_add_f32_e32 v131, v127, v128
	ds_read_b128 v[127:130], v90 offset:624
	v_fma_f32 v92, v115, v172, -v92
	s_waitcnt vmcnt(23) lgkmcnt(1)
	v_mul_f32_e32 v132, v123, v181
	v_add_f32_e32 v91, v91, v92
	v_mul_f32_e32 v92, v118, v173
	s_waitcnt vmcnt(22)
	v_fmac_f32_e32 v132, v124, v182
	v_fma_f32 v92, v117, v174, -v92
	v_add_f32_e32 v131, v131, v132
	s_waitcnt vmcnt(20)
	v_mul_f32_e32 v132, v125, v184
	v_add_f32_e32 v91, v91, v92
	v_mul_f32_e32 v92, v120, v175
	v_fmac_f32_e32 v132, v126, v183
	v_fma_f32 v92, v119, v176, -v92
	v_add_f32_e32 v131, v131, v132
	s_waitcnt vmcnt(18) lgkmcnt(0)
	v_mul_f32_e32 v132, v127, v186
	v_add_f32_e32 v91, v91, v92
	v_mul_f32_e32 v92, v122, v179
	v_fmac_f32_e32 v132, v128, v185
	v_fma_f32 v92, v121, v180, -v92
	v_add_f32_e32 v135, v131, v132
	ds_read_b128 v[131:134], v90 offset:640
	v_add_f32_e32 v91, v91, v92
	v_mul_f32_e32 v92, v124, v181
	v_fma_f32 v92, v123, v182, -v92
	s_waitcnt vmcnt(17)
	v_mul_f32_e32 v136, v129, v187
	v_add_f32_e32 v91, v91, v92
	v_mul_f32_e32 v92, v126, v184
	s_waitcnt vmcnt(16)
	v_fmac_f32_e32 v136, v130, v188
	v_fma_f32 v92, v125, v183, -v92
	v_add_f32_e32 v139, v135, v136
	ds_read_b128 v[135:138], v90 offset:656
	v_add_f32_e32 v91, v91, v92
	v_mul_f32_e32 v92, v128, v186
	s_waitcnt vmcnt(14) lgkmcnt(1)
	v_mul_f32_e32 v140, v131, v190
	v_fma_f32 v92, v127, v185, -v92
	v_fmac_f32_e32 v140, v132, v189
	v_add_f32_e32 v91, v91, v92
	v_mul_f32_e32 v92, v130, v187
	v_add_f32_e32 v139, v139, v140
	s_waitcnt vmcnt(12)
	v_mul_f32_e32 v140, v133, v192
	v_fma_f32 v92, v129, v188, -v92
	v_fmac_f32_e32 v140, v134, v191
	v_add_f32_e32 v91, v91, v92
	v_mul_f32_e32 v92, v132, v190
	v_add_f32_e32 v139, v139, v140
	s_waitcnt vmcnt(10) lgkmcnt(0)
	v_mul_f32_e32 v140, v135, v194
	v_fma_f32 v92, v131, v189, -v92
	v_fmac_f32_e32 v140, v136, v193
	v_add_f32_e32 v91, v91, v92
	v_mul_f32_e32 v92, v134, v192
	v_add_f32_e32 v143, v139, v140
	ds_read_b128 v[139:142], v90 offset:672
	v_fma_f32 v92, v133, v191, -v92
	v_add_f32_e32 v91, v91, v92
	v_mul_f32_e32 v92, v136, v194
	s_waitcnt vmcnt(8)
	v_mul_f32_e32 v144, v137, v196
	v_fma_f32 v92, v135, v193, -v92
	v_fmac_f32_e32 v144, v138, v195
	v_add_f32_e32 v91, v91, v92
	v_mul_f32_e32 v92, v138, v196
	v_add_f32_e32 v205, v143, v144
	ds_read_b128 v[143:146], v90 offset:688
	v_fma_f32 v92, v137, v195, -v92
	v_add_f32_e32 v91, v91, v92
	s_waitcnt vmcnt(6) lgkmcnt(1)
	v_mul_f32_e32 v92, v140, v198
	v_mul_f32_e32 v90, v139, v198
	v_fma_f32 v92, v139, v197, -v92
	v_fmac_f32_e32 v90, v140, v197
	v_add_f32_e32 v91, v91, v92
	s_waitcnt vmcnt(4)
	v_mul_f32_e32 v92, v142, v200
	v_add_f32_e32 v90, v205, v90
	v_mul_f32_e32 v205, v141, v200
	v_fma_f32 v92, v141, v199, -v92
	v_fmac_f32_e32 v205, v142, v199
	v_add_f32_e32 v91, v91, v92
	s_waitcnt vmcnt(2) lgkmcnt(0)
	v_mul_f32_e32 v92, v144, v202
	v_add_f32_e32 v90, v90, v205
	v_mul_f32_e32 v205, v143, v202
	v_fma_f32 v92, v143, v201, -v92
	v_fmac_f32_e32 v205, v144, v201
	v_add_f32_e32 v91, v91, v92
	s_waitcnt vmcnt(0)
	v_mul_f32_e32 v92, v146, v204
	v_add_f32_e32 v90, v90, v205
	v_mul_f32_e32 v205, v145, v204
	v_fma_f32 v92, v145, v203, -v92
	v_fmac_f32_e32 v205, v146, v203
	v_add_f32_e32 v91, v91, v92
	v_add_f32_e32 v90, v90, v205
	v_sub_f32_e32 v91, v177, v91
	v_sub_f32_e32 v90, v178, v90
	buffer_store_dword v91, off, s[0:3], 0 offset:120
	buffer_store_dword v90, off, s[0:3], 0 offset:124
	s_and_saveexec_b64 s[4:5], vcc
	s_cbranch_execz .LBB107_249
; %bb.248:
	buffer_load_dword v90, off, s[0:3], 0 offset:112
	buffer_load_dword v91, off, s[0:3], 0 offset:116
	v_mov_b32_e32 v92, 0
	buffer_store_dword v92, off, s[0:3], 0 offset:112
	buffer_store_dword v92, off, s[0:3], 0 offset:116
	s_waitcnt vmcnt(2)
	ds_write_b64 v89, v[90:91]
.LBB107_249:
	s_or_b64 exec, exec, s[4:5]
	s_waitcnt lgkmcnt(0)
	; wave barrier
	buffer_load_dword v149, off, s[0:3], 0 offset:124
	buffer_load_dword v150, off, s[0:3], 0 offset:132
	;; [unrolled: 1-line block ×60, first 2 shown]
	v_mov_b32_e32 v90, 0
	ds_read2_b64 v[91:94], v90 offset0:59 offset1:60
	ds_read2_b64 v[95:98], v90 offset0:61 offset1:62
	ds_read2_b64 v[99:102], v90 offset0:63 offset1:64
	ds_read2_b64 v[103:106], v90 offset0:65 offset1:66
	ds_read2_b64 v[107:110], v90 offset0:67 offset1:68
	v_cmp_lt_u32_e32 vcc, 13, v0
	s_waitcnt vmcnt(59) lgkmcnt(4)
	v_mul_f32_e32 v111, v91, v149
	s_waitcnt vmcnt(58)
	v_mul_f32_e32 v112, v93, v150
	s_waitcnt vmcnt(57) lgkmcnt(3)
	v_mul_f32_e32 v113, v95, v151
	s_waitcnt vmcnt(56)
	v_mul_f32_e32 v114, v97, v152
	;; [unrolled: 4-line block ×3, first 2 shown]
	s_waitcnt vmcnt(53) lgkmcnt(1)
	v_mul_f32_e32 v117, v103, v155
	s_waitcnt vmcnt(52)
	v_fmac_f32_e32 v111, v92, v156
	s_waitcnt vmcnt(51)
	v_fmac_f32_e32 v112, v94, v157
	v_add_f32_e32 v111, 0, v111
	s_waitcnt vmcnt(50)
	v_fmac_f32_e32 v113, v96, v158
	v_add_f32_e32 v111, v111, v112
	;; [unrolled: 3-line block ×6, first 2 shown]
	s_waitcnt vmcnt(45)
	v_mul_f32_e32 v112, v105, v163
	v_add_f32_e32 v111, v111, v117
	s_waitcnt vmcnt(44)
	v_fmac_f32_e32 v112, v106, v164
	v_mul_f32_e32 v92, v92, v149
	v_add_f32_e32 v115, v111, v112
	ds_read2_b64 v[111:114], v90 offset0:69 offset1:70
	v_fma_f32 v91, v91, v156, -v92
	v_mul_f32_e32 v92, v94, v150
	s_waitcnt vmcnt(43) lgkmcnt(1)
	v_mul_f32_e32 v116, v107, v165
	v_add_f32_e32 v91, 0, v91
	v_fma_f32 v92, v93, v157, -v92
	s_waitcnt vmcnt(42)
	v_fmac_f32_e32 v116, v108, v166
	v_add_f32_e32 v91, v91, v92
	v_mul_f32_e32 v92, v96, v151
	v_add_f32_e32 v115, v115, v116
	s_waitcnt vmcnt(41)
	v_mul_f32_e32 v116, v109, v167
	v_fma_f32 v92, v95, v158, -v92
	s_waitcnt vmcnt(40)
	v_fmac_f32_e32 v116, v110, v168
	v_add_f32_e32 v91, v91, v92
	v_mul_f32_e32 v92, v98, v152
	v_add_f32_e32 v115, v115, v116
	s_waitcnt vmcnt(39) lgkmcnt(0)
	v_mul_f32_e32 v116, v111, v169
	v_fma_f32 v92, v97, v159, -v92
	s_waitcnt vmcnt(38)
	v_fmac_f32_e32 v116, v112, v170
	v_add_f32_e32 v91, v91, v92
	v_mul_f32_e32 v92, v100, v153
	v_add_f32_e32 v119, v115, v116
	ds_read2_b64 v[115:118], v90 offset0:71 offset1:72
	v_fma_f32 v92, v99, v160, -v92
	v_add_f32_e32 v91, v91, v92
	v_mul_f32_e32 v92, v102, v154
	s_waitcnt vmcnt(37)
	v_mul_f32_e32 v120, v113, v171
	v_fma_f32 v92, v101, v161, -v92
	s_waitcnt vmcnt(36)
	v_fmac_f32_e32 v120, v114, v172
	v_add_f32_e32 v91, v91, v92
	v_mul_f32_e32 v92, v104, v155
	v_add_f32_e32 v123, v119, v120
	ds_read2_b64 v[119:122], v90 offset0:73 offset1:74
	v_fma_f32 v92, v103, v162, -v92
	s_waitcnt vmcnt(34) lgkmcnt(1)
	v_mul_f32_e32 v124, v115, v174
	v_add_f32_e32 v91, v91, v92
	v_mul_f32_e32 v92, v106, v163
	v_fmac_f32_e32 v124, v116, v173
	v_fma_f32 v92, v105, v164, -v92
	v_add_f32_e32 v123, v123, v124
	s_waitcnt vmcnt(31)
	v_mul_f32_e32 v124, v117, v177
	v_add_f32_e32 v91, v91, v92
	v_mul_f32_e32 v92, v108, v165
	s_waitcnt vmcnt(30)
	v_fmac_f32_e32 v124, v118, v178
	v_fma_f32 v92, v107, v166, -v92
	v_add_f32_e32 v123, v123, v124
	s_waitcnt vmcnt(28) lgkmcnt(0)
	v_mul_f32_e32 v124, v119, v180
	v_add_f32_e32 v91, v91, v92
	v_mul_f32_e32 v92, v110, v167
	v_fmac_f32_e32 v124, v120, v179
	v_fma_f32 v92, v109, v168, -v92
	v_add_f32_e32 v127, v123, v124
	ds_read2_b64 v[123:126], v90 offset0:75 offset1:76
	v_add_f32_e32 v91, v91, v92
	v_mul_f32_e32 v92, v112, v169
	v_fma_f32 v92, v111, v170, -v92
	s_waitcnt vmcnt(26)
	v_mul_f32_e32 v128, v121, v182
	v_add_f32_e32 v91, v91, v92
	v_mul_f32_e32 v92, v114, v171
	v_fmac_f32_e32 v128, v122, v181
	v_fma_f32 v92, v113, v172, -v92
	v_add_f32_e32 v131, v127, v128
	ds_read2_b64 v[127:130], v90 offset0:77 offset1:78
	v_add_f32_e32 v91, v91, v92
	v_mul_f32_e32 v92, v116, v174
	s_waitcnt vmcnt(24) lgkmcnt(1)
	v_mul_f32_e32 v132, v123, v184
	v_fma_f32 v92, v115, v173, -v92
	v_fmac_f32_e32 v132, v124, v183
	v_add_f32_e32 v91, v91, v92
	v_mul_f32_e32 v92, v118, v177
	v_add_f32_e32 v131, v131, v132
	s_waitcnt vmcnt(22)
	v_mul_f32_e32 v132, v125, v186
	v_fma_f32 v92, v117, v178, -v92
	v_fmac_f32_e32 v132, v126, v185
	v_add_f32_e32 v91, v91, v92
	v_mul_f32_e32 v92, v120, v180
	v_add_f32_e32 v131, v131, v132
	s_waitcnt vmcnt(20) lgkmcnt(0)
	v_mul_f32_e32 v132, v127, v188
	v_fma_f32 v92, v119, v179, -v92
	v_fmac_f32_e32 v132, v128, v187
	v_add_f32_e32 v91, v91, v92
	v_mul_f32_e32 v92, v122, v182
	v_add_f32_e32 v135, v131, v132
	ds_read2_b64 v[131:134], v90 offset0:79 offset1:80
	v_fma_f32 v92, v121, v181, -v92
	v_add_f32_e32 v91, v91, v92
	v_mul_f32_e32 v92, v124, v184
	s_waitcnt vmcnt(18)
	v_mul_f32_e32 v136, v129, v190
	v_fma_f32 v92, v123, v183, -v92
	v_fmac_f32_e32 v136, v130, v189
	v_add_f32_e32 v91, v91, v92
	v_mul_f32_e32 v92, v126, v186
	v_add_f32_e32 v139, v135, v136
	ds_read2_b64 v[135:138], v90 offset0:81 offset1:82
	v_fma_f32 v92, v125, v185, -v92
	s_waitcnt vmcnt(16) lgkmcnt(1)
	v_mul_f32_e32 v140, v131, v192
	v_add_f32_e32 v91, v91, v92
	v_mul_f32_e32 v92, v128, v188
	v_fmac_f32_e32 v140, v132, v191
	v_fma_f32 v92, v127, v187, -v92
	v_add_f32_e32 v139, v139, v140
	s_waitcnt vmcnt(14)
	v_mul_f32_e32 v140, v133, v194
	v_add_f32_e32 v91, v91, v92
	v_mul_f32_e32 v92, v130, v190
	v_fmac_f32_e32 v140, v134, v193
	v_fma_f32 v92, v129, v189, -v92
	v_add_f32_e32 v139, v139, v140
	s_waitcnt vmcnt(12) lgkmcnt(0)
	v_mul_f32_e32 v140, v135, v196
	v_add_f32_e32 v91, v91, v92
	v_mul_f32_e32 v92, v132, v192
	v_fmac_f32_e32 v140, v136, v195
	v_fma_f32 v92, v131, v191, -v92
	v_add_f32_e32 v143, v139, v140
	ds_read2_b64 v[139:142], v90 offset0:83 offset1:84
	v_add_f32_e32 v91, v91, v92
	v_mul_f32_e32 v92, v134, v194
	v_fma_f32 v92, v133, v193, -v92
	v_add_f32_e32 v91, v91, v92
	v_mul_f32_e32 v92, v136, v196
	s_waitcnt vmcnt(10)
	v_mul_f32_e32 v144, v137, v198
	v_fma_f32 v92, v135, v195, -v92
	v_fmac_f32_e32 v144, v138, v197
	v_add_f32_e32 v91, v91, v92
	v_mul_f32_e32 v92, v138, v198
	v_add_f32_e32 v147, v143, v144
	ds_read2_b64 v[143:146], v90 offset0:85 offset1:86
	s_waitcnt vmcnt(8) lgkmcnt(1)
	v_mul_f32_e32 v148, v139, v200
	v_fma_f32 v92, v137, v197, -v92
	v_fmac_f32_e32 v148, v140, v199
	v_add_f32_e32 v91, v91, v92
	v_mul_f32_e32 v92, v140, v200
	v_add_f32_e32 v147, v147, v148
	s_waitcnt vmcnt(6)
	v_mul_f32_e32 v148, v141, v202
	v_fma_f32 v92, v139, v199, -v92
	v_fmac_f32_e32 v148, v142, v201
	v_add_f32_e32 v91, v91, v92
	v_mul_f32_e32 v92, v142, v202
	v_add_f32_e32 v209, v147, v148
	ds_read_b64 v[147:148], v90 offset:696
	v_fma_f32 v92, v141, v201, -v92
	v_add_f32_e32 v91, v91, v92
	s_waitcnt vmcnt(4) lgkmcnt(1)
	v_mul_f32_e32 v92, v144, v204
	v_mul_f32_e32 v210, v143, v204
	v_fma_f32 v92, v143, v203, -v92
	v_fmac_f32_e32 v210, v144, v203
	v_add_f32_e32 v91, v91, v92
	s_waitcnt vmcnt(2)
	v_mul_f32_e32 v92, v146, v206
	v_add_f32_e32 v209, v209, v210
	v_mul_f32_e32 v210, v145, v206
	v_fma_f32 v92, v145, v205, -v92
	v_fmac_f32_e32 v210, v146, v205
	v_add_f32_e32 v91, v91, v92
	s_waitcnt vmcnt(0) lgkmcnt(0)
	v_mul_f32_e32 v92, v148, v208
	v_add_f32_e32 v209, v209, v210
	v_mul_f32_e32 v210, v147, v208
	v_fma_f32 v92, v147, v207, -v92
	v_fmac_f32_e32 v210, v148, v207
	v_add_f32_e32 v91, v91, v92
	v_add_f32_e32 v209, v209, v210
	v_sub_f32_e32 v91, v175, v91
	v_sub_f32_e32 v92, v176, v209
	buffer_store_dword v91, off, s[0:3], 0 offset:112
	buffer_store_dword v92, off, s[0:3], 0 offset:116
	s_and_saveexec_b64 s[4:5], vcc
	s_cbranch_execz .LBB107_251
; %bb.250:
	buffer_load_dword v91, off, s[0:3], 0 offset:104
	buffer_load_dword v92, off, s[0:3], 0 offset:108
	s_waitcnt vmcnt(0)
	ds_write_b64 v89, v[91:92]
	buffer_store_dword v90, off, s[0:3], 0 offset:104
	buffer_store_dword v90, off, s[0:3], 0 offset:108
.LBB107_251:
	s_or_b64 exec, exec, s[4:5]
	s_waitcnt lgkmcnt(0)
	; wave barrier
	buffer_load_dword v151, off, s[0:3], 0 offset:116
	buffer_load_dword v152, off, s[0:3], 0 offset:124
	;; [unrolled: 1-line block ×32, first 2 shown]
	ds_read_b128 v[91:94], v90 offset:464
	ds_read_b128 v[95:98], v90 offset:480
	;; [unrolled: 1-line block ×4, first 2 shown]
	buffer_load_dword v183, off, s[0:3], 0 offset:236
	buffer_load_dword v184, off, s[0:3], 0 offset:232
	;; [unrolled: 1-line block ×30, first 2 shown]
	v_cmp_lt_u32_e32 vcc, 12, v0
	s_waitcnt vmcnt(61) lgkmcnt(3)
	v_mul_f32_e32 v107, v91, v151
	s_waitcnt vmcnt(60)
	v_mul_f32_e32 v108, v93, v152
	s_waitcnt vmcnt(59) lgkmcnt(2)
	v_mul_f32_e32 v109, v95, v153
	s_waitcnt vmcnt(58)
	v_mul_f32_e32 v110, v97, v154
	;; [unrolled: 4-line block ×3, first 2 shown]
	s_waitcnt vmcnt(55) lgkmcnt(0)
	v_mul_f32_e32 v113, v103, v157
	s_waitcnt vmcnt(54)
	v_fmac_f32_e32 v107, v92, v158
	s_waitcnt vmcnt(53)
	v_fmac_f32_e32 v108, v94, v159
	v_add_f32_e32 v107, 0, v107
	s_waitcnt vmcnt(52)
	v_fmac_f32_e32 v109, v96, v160
	v_add_f32_e32 v107, v107, v108
	;; [unrolled: 3-line block ×6, first 2 shown]
	v_add_f32_e32 v111, v107, v113
	ds_read_b128 v[107:110], v90 offset:528
	s_waitcnt vmcnt(47)
	v_mul_f32_e32 v112, v105, v165
	s_waitcnt vmcnt(46)
	v_fmac_f32_e32 v112, v106, v166
	v_mul_f32_e32 v92, v92, v151
	v_add_f32_e32 v115, v111, v112
	ds_read_b128 v[111:114], v90 offset:544
	v_fma_f32 v91, v91, v158, -v92
	v_mul_f32_e32 v92, v94, v152
	s_waitcnt vmcnt(45) lgkmcnt(1)
	v_mul_f32_e32 v116, v107, v167
	v_add_f32_e32 v91, 0, v91
	v_fma_f32 v92, v93, v159, -v92
	s_waitcnt vmcnt(44)
	v_fmac_f32_e32 v116, v108, v168
	v_add_f32_e32 v91, v91, v92
	v_mul_f32_e32 v92, v96, v153
	v_add_f32_e32 v115, v115, v116
	s_waitcnt vmcnt(43)
	v_mul_f32_e32 v116, v109, v169
	v_fma_f32 v92, v95, v160, -v92
	s_waitcnt vmcnt(42)
	v_fmac_f32_e32 v116, v110, v170
	v_add_f32_e32 v91, v91, v92
	v_mul_f32_e32 v92, v98, v154
	v_add_f32_e32 v115, v115, v116
	s_waitcnt vmcnt(41) lgkmcnt(0)
	v_mul_f32_e32 v116, v111, v171
	v_fma_f32 v92, v97, v161, -v92
	s_waitcnt vmcnt(40)
	v_fmac_f32_e32 v116, v112, v172
	v_add_f32_e32 v91, v91, v92
	v_mul_f32_e32 v92, v100, v155
	v_add_f32_e32 v119, v115, v116
	ds_read_b128 v[115:118], v90 offset:560
	v_fma_f32 v92, v99, v162, -v92
	v_add_f32_e32 v91, v91, v92
	v_mul_f32_e32 v92, v102, v156
	s_waitcnt vmcnt(39)
	v_mul_f32_e32 v120, v113, v173
	v_fma_f32 v92, v101, v163, -v92
	s_waitcnt vmcnt(38)
	v_fmac_f32_e32 v120, v114, v174
	v_add_f32_e32 v91, v91, v92
	v_mul_f32_e32 v92, v104, v157
	v_add_f32_e32 v123, v119, v120
	ds_read_b128 v[119:122], v90 offset:576
	v_fma_f32 v92, v103, v164, -v92
	s_waitcnt vmcnt(35) lgkmcnt(1)
	v_mul_f32_e32 v124, v115, v177
	v_add_f32_e32 v91, v91, v92
	v_mul_f32_e32 v92, v106, v165
	s_waitcnt vmcnt(34)
	v_fmac_f32_e32 v124, v116, v178
	v_fma_f32 v92, v105, v166, -v92
	v_add_f32_e32 v123, v123, v124
	s_waitcnt vmcnt(32)
	v_mul_f32_e32 v124, v117, v180
	v_add_f32_e32 v91, v91, v92
	v_mul_f32_e32 v92, v108, v167
	v_fmac_f32_e32 v124, v118, v179
	v_fma_f32 v92, v107, v168, -v92
	v_add_f32_e32 v123, v123, v124
	s_waitcnt vmcnt(30) lgkmcnt(0)
	v_mul_f32_e32 v124, v119, v182
	v_add_f32_e32 v91, v91, v92
	v_mul_f32_e32 v92, v110, v169
	v_fmac_f32_e32 v124, v120, v181
	v_fma_f32 v92, v109, v170, -v92
	v_add_f32_e32 v127, v123, v124
	ds_read_b128 v[123:126], v90 offset:592
	v_add_f32_e32 v91, v91, v92
	v_mul_f32_e32 v92, v112, v171
	v_fma_f32 v92, v111, v172, -v92
	s_waitcnt vmcnt(29)
	v_mul_f32_e32 v128, v121, v183
	v_add_f32_e32 v91, v91, v92
	v_mul_f32_e32 v92, v114, v173
	s_waitcnt vmcnt(28)
	v_fmac_f32_e32 v128, v122, v184
	v_fma_f32 v92, v113, v174, -v92
	v_add_f32_e32 v131, v127, v128
	ds_read_b128 v[127:130], v90 offset:608
	v_add_f32_e32 v91, v91, v92
	v_mul_f32_e32 v92, v116, v177
	s_waitcnt vmcnt(26) lgkmcnt(1)
	v_mul_f32_e32 v132, v123, v186
	v_fma_f32 v92, v115, v178, -v92
	v_fmac_f32_e32 v132, v124, v185
	v_add_f32_e32 v91, v91, v92
	v_mul_f32_e32 v92, v118, v180
	v_add_f32_e32 v131, v131, v132
	s_waitcnt vmcnt(24)
	v_mul_f32_e32 v132, v125, v188
	v_fma_f32 v92, v117, v179, -v92
	v_fmac_f32_e32 v132, v126, v187
	v_add_f32_e32 v91, v91, v92
	v_mul_f32_e32 v92, v120, v182
	v_add_f32_e32 v131, v131, v132
	s_waitcnt vmcnt(22) lgkmcnt(0)
	v_mul_f32_e32 v132, v127, v190
	v_fma_f32 v92, v119, v181, -v92
	v_fmac_f32_e32 v132, v128, v189
	v_add_f32_e32 v91, v91, v92
	v_mul_f32_e32 v92, v122, v183
	v_add_f32_e32 v135, v131, v132
	ds_read_b128 v[131:134], v90 offset:624
	v_fma_f32 v92, v121, v184, -v92
	v_add_f32_e32 v91, v91, v92
	v_mul_f32_e32 v92, v124, v186
	s_waitcnt vmcnt(20)
	v_mul_f32_e32 v136, v129, v192
	v_fma_f32 v92, v123, v185, -v92
	v_fmac_f32_e32 v136, v130, v191
	v_add_f32_e32 v91, v91, v92
	v_mul_f32_e32 v92, v126, v188
	v_add_f32_e32 v139, v135, v136
	ds_read_b128 v[135:138], v90 offset:640
	v_fma_f32 v92, v125, v187, -v92
	s_waitcnt vmcnt(18) lgkmcnt(1)
	v_mul_f32_e32 v140, v131, v194
	v_add_f32_e32 v91, v91, v92
	v_mul_f32_e32 v92, v128, v190
	v_fmac_f32_e32 v140, v132, v193
	v_fma_f32 v92, v127, v189, -v92
	v_add_f32_e32 v139, v139, v140
	s_waitcnt vmcnt(16)
	v_mul_f32_e32 v140, v133, v196
	v_add_f32_e32 v91, v91, v92
	v_mul_f32_e32 v92, v130, v192
	v_fmac_f32_e32 v140, v134, v195
	v_fma_f32 v92, v129, v191, -v92
	v_add_f32_e32 v139, v139, v140
	s_waitcnt vmcnt(14) lgkmcnt(0)
	v_mul_f32_e32 v140, v135, v198
	v_add_f32_e32 v91, v91, v92
	v_mul_f32_e32 v92, v132, v194
	v_fmac_f32_e32 v140, v136, v197
	v_fma_f32 v92, v131, v193, -v92
	v_add_f32_e32 v143, v139, v140
	ds_read_b128 v[139:142], v90 offset:656
	v_add_f32_e32 v91, v91, v92
	v_mul_f32_e32 v92, v134, v196
	v_fma_f32 v92, v133, v195, -v92
	v_add_f32_e32 v91, v91, v92
	v_mul_f32_e32 v92, v136, v198
	s_waitcnt vmcnt(12)
	v_mul_f32_e32 v144, v137, v200
	v_fma_f32 v92, v135, v197, -v92
	v_fmac_f32_e32 v144, v138, v199
	v_add_f32_e32 v91, v91, v92
	v_mul_f32_e32 v92, v138, v200
	v_add_f32_e32 v147, v143, v144
	ds_read_b128 v[143:146], v90 offset:672
	s_waitcnt vmcnt(10) lgkmcnt(1)
	v_mul_f32_e32 v148, v139, v202
	v_fma_f32 v92, v137, v199, -v92
	v_fmac_f32_e32 v148, v140, v201
	v_add_f32_e32 v91, v91, v92
	v_mul_f32_e32 v92, v140, v202
	v_add_f32_e32 v147, v147, v148
	s_waitcnt vmcnt(8)
	v_mul_f32_e32 v148, v141, v204
	v_fma_f32 v92, v139, v201, -v92
	v_fmac_f32_e32 v148, v142, v203
	v_add_f32_e32 v91, v91, v92
	v_mul_f32_e32 v92, v142, v204
	v_add_f32_e32 v213, v147, v148
	ds_read_b128 v[147:150], v90 offset:688
	v_fma_f32 v92, v141, v203, -v92
	v_add_f32_e32 v91, v91, v92
	s_waitcnt vmcnt(6) lgkmcnt(1)
	v_mul_f32_e32 v92, v144, v206
	v_mul_f32_e32 v214, v143, v206
	v_fma_f32 v92, v143, v205, -v92
	v_fmac_f32_e32 v214, v144, v205
	v_add_f32_e32 v91, v91, v92
	s_waitcnt vmcnt(4)
	v_mul_f32_e32 v92, v146, v208
	v_add_f32_e32 v90, v213, v214
	v_mul_f32_e32 v213, v145, v208
	v_fma_f32 v92, v145, v207, -v92
	v_fmac_f32_e32 v213, v146, v207
	v_add_f32_e32 v91, v91, v92
	s_waitcnt vmcnt(2) lgkmcnt(0)
	v_mul_f32_e32 v92, v148, v210
	v_add_f32_e32 v90, v90, v213
	v_mul_f32_e32 v213, v147, v210
	v_fma_f32 v92, v147, v209, -v92
	v_fmac_f32_e32 v213, v148, v209
	v_add_f32_e32 v91, v91, v92
	s_waitcnt vmcnt(0)
	v_mul_f32_e32 v92, v150, v212
	v_add_f32_e32 v90, v90, v213
	v_mul_f32_e32 v213, v149, v212
	v_fma_f32 v92, v149, v211, -v92
	v_fmac_f32_e32 v213, v150, v211
	v_add_f32_e32 v91, v91, v92
	v_add_f32_e32 v90, v90, v213
	v_sub_f32_e32 v91, v175, v91
	v_sub_f32_e32 v90, v176, v90
	buffer_store_dword v91, off, s[0:3], 0 offset:104
	buffer_store_dword v90, off, s[0:3], 0 offset:108
	s_and_saveexec_b64 s[4:5], vcc
	s_cbranch_execz .LBB107_253
; %bb.252:
	buffer_load_dword v90, off, s[0:3], 0 offset:96
	buffer_load_dword v91, off, s[0:3], 0 offset:100
	v_mov_b32_e32 v92, 0
	buffer_store_dword v92, off, s[0:3], 0 offset:96
	buffer_store_dword v92, off, s[0:3], 0 offset:100
	s_waitcnt vmcnt(2)
	ds_write_b64 v89, v[90:91]
.LBB107_253:
	s_or_b64 exec, exec, s[4:5]
	s_waitcnt lgkmcnt(0)
	; wave barrier
	buffer_load_dword v153, off, s[0:3], 0 offset:108
	buffer_load_dword v154, off, s[0:3], 0 offset:116
	;; [unrolled: 1-line block ×56, first 2 shown]
	v_mov_b32_e32 v90, 0
	ds_read2_b64 v[91:94], v90 offset0:57 offset1:58
	buffer_load_dword v209, off, s[0:3], 0 offset:320
	buffer_load_dword v210, off, s[0:3], 0 offset:324
	;; [unrolled: 1-line block ×4, first 2 shown]
	ds_read2_b64 v[95:98], v90 offset0:59 offset1:60
	ds_read2_b64 v[99:102], v90 offset0:61 offset1:62
	;; [unrolled: 1-line block ×3, first 2 shown]
	v_cmp_lt_u32_e32 vcc, 11, v0
	s_waitcnt vmcnt(59) lgkmcnt(3)
	v_mul_f32_e32 v107, v91, v153
	s_waitcnt vmcnt(58)
	v_mul_f32_e32 v108, v93, v154
	s_waitcnt vmcnt(57) lgkmcnt(2)
	v_mul_f32_e32 v109, v95, v155
	s_waitcnt vmcnt(56)
	v_mul_f32_e32 v110, v97, v156
	;; [unrolled: 4-line block ×4, first 2 shown]
	s_waitcnt vmcnt(51)
	v_fmac_f32_e32 v107, v92, v161
	s_waitcnt vmcnt(50)
	v_fmac_f32_e32 v108, v94, v162
	v_add_f32_e32 v107, 0, v107
	s_waitcnt vmcnt(49)
	v_fmac_f32_e32 v109, v96, v163
	v_add_f32_e32 v107, v107, v108
	;; [unrolled: 3-line block ×6, first 2 shown]
	v_add_f32_e32 v111, v107, v113
	ds_read2_b64 v[107:110], v90 offset0:65 offset1:66
	buffer_load_dword v213, off, s[0:3], 0 offset:340
	buffer_load_dword v214, off, s[0:3], 0 offset:336
	;; [unrolled: 1-line block ×4, first 2 shown]
	s_waitcnt vmcnt(48)
	v_fmac_f32_e32 v114, v106, v168
	v_add_f32_e32 v115, v111, v114
	ds_read2_b64 v[111:114], v90 offset0:67 offset1:68
	s_waitcnt vmcnt(47) lgkmcnt(1)
	v_mul_f32_e32 v116, v107, v169
	v_mul_f32_e32 v92, v92, v153
	s_waitcnt vmcnt(46)
	v_fmac_f32_e32 v116, v108, v170
	v_fma_f32 v91, v91, v161, -v92
	v_mul_f32_e32 v92, v94, v154
	v_add_f32_e32 v115, v115, v116
	s_waitcnt vmcnt(45)
	v_mul_f32_e32 v116, v109, v171
	v_add_f32_e32 v91, 0, v91
	v_fma_f32 v92, v93, v162, -v92
	s_waitcnt vmcnt(44)
	v_fmac_f32_e32 v116, v110, v172
	v_add_f32_e32 v91, v91, v92
	v_mul_f32_e32 v92, v96, v155
	v_add_f32_e32 v115, v115, v116
	s_waitcnt vmcnt(42) lgkmcnt(0)
	v_mul_f32_e32 v116, v111, v174
	v_fma_f32 v92, v95, v163, -v92
	v_fmac_f32_e32 v116, v112, v173
	v_add_f32_e32 v91, v91, v92
	v_mul_f32_e32 v92, v98, v156
	v_add_f32_e32 v119, v115, v116
	ds_read2_b64 v[115:118], v90 offset0:69 offset1:70
	v_fma_f32 v92, v97, v164, -v92
	v_add_f32_e32 v91, v91, v92
	v_mul_f32_e32 v92, v100, v157
	s_waitcnt vmcnt(39)
	v_mul_f32_e32 v120, v113, v177
	v_fma_f32 v92, v99, v165, -v92
	s_waitcnt vmcnt(38)
	v_fmac_f32_e32 v120, v114, v178
	v_add_f32_e32 v91, v91, v92
	v_mul_f32_e32 v92, v102, v158
	v_add_f32_e32 v123, v119, v120
	ds_read2_b64 v[119:122], v90 offset0:71 offset1:72
	v_fma_f32 v92, v101, v166, -v92
	s_waitcnt vmcnt(36) lgkmcnt(1)
	v_mul_f32_e32 v124, v115, v180
	v_add_f32_e32 v91, v91, v92
	v_mul_f32_e32 v92, v104, v159
	v_fmac_f32_e32 v124, v116, v179
	v_fma_f32 v92, v103, v167, -v92
	v_add_f32_e32 v123, v123, v124
	s_waitcnt vmcnt(34)
	v_mul_f32_e32 v124, v117, v182
	v_add_f32_e32 v91, v91, v92
	v_mul_f32_e32 v92, v106, v160
	v_fmac_f32_e32 v124, v118, v181
	v_fma_f32 v92, v105, v168, -v92
	v_add_f32_e32 v123, v123, v124
	s_waitcnt vmcnt(32) lgkmcnt(0)
	v_mul_f32_e32 v124, v119, v184
	v_add_f32_e32 v91, v91, v92
	v_mul_f32_e32 v92, v108, v169
	v_fmac_f32_e32 v124, v120, v183
	v_fma_f32 v92, v107, v170, -v92
	v_add_f32_e32 v127, v123, v124
	ds_read2_b64 v[123:126], v90 offset0:73 offset1:74
	v_add_f32_e32 v91, v91, v92
	v_mul_f32_e32 v92, v110, v171
	v_fma_f32 v92, v109, v172, -v92
	s_waitcnt vmcnt(30)
	v_mul_f32_e32 v128, v121, v186
	v_add_f32_e32 v91, v91, v92
	v_mul_f32_e32 v92, v112, v174
	v_fmac_f32_e32 v128, v122, v185
	v_fma_f32 v92, v111, v173, -v92
	v_add_f32_e32 v131, v127, v128
	ds_read2_b64 v[127:130], v90 offset0:75 offset1:76
	v_add_f32_e32 v91, v91, v92
	v_mul_f32_e32 v92, v114, v177
	s_waitcnt vmcnt(28) lgkmcnt(1)
	v_mul_f32_e32 v132, v123, v188
	v_fma_f32 v92, v113, v178, -v92
	v_fmac_f32_e32 v132, v124, v187
	v_add_f32_e32 v91, v91, v92
	v_mul_f32_e32 v92, v116, v180
	v_add_f32_e32 v131, v131, v132
	s_waitcnt vmcnt(26)
	v_mul_f32_e32 v132, v125, v190
	v_fma_f32 v92, v115, v179, -v92
	v_fmac_f32_e32 v132, v126, v189
	v_add_f32_e32 v91, v91, v92
	v_mul_f32_e32 v92, v118, v182
	v_add_f32_e32 v131, v131, v132
	s_waitcnt vmcnt(24) lgkmcnt(0)
	v_mul_f32_e32 v132, v127, v192
	v_fma_f32 v92, v117, v181, -v92
	v_fmac_f32_e32 v132, v128, v191
	v_add_f32_e32 v91, v91, v92
	v_mul_f32_e32 v92, v120, v184
	v_add_f32_e32 v135, v131, v132
	ds_read2_b64 v[131:134], v90 offset0:77 offset1:78
	v_fma_f32 v92, v119, v183, -v92
	v_add_f32_e32 v91, v91, v92
	v_mul_f32_e32 v92, v122, v186
	s_waitcnt vmcnt(22)
	v_mul_f32_e32 v136, v129, v194
	v_fma_f32 v92, v121, v185, -v92
	v_fmac_f32_e32 v136, v130, v193
	v_add_f32_e32 v91, v91, v92
	v_mul_f32_e32 v92, v124, v188
	v_add_f32_e32 v139, v135, v136
	ds_read2_b64 v[135:138], v90 offset0:79 offset1:80
	v_fma_f32 v92, v123, v187, -v92
	s_waitcnt vmcnt(20) lgkmcnt(1)
	v_mul_f32_e32 v140, v131, v196
	v_add_f32_e32 v91, v91, v92
	v_mul_f32_e32 v92, v126, v190
	v_fmac_f32_e32 v140, v132, v195
	v_fma_f32 v92, v125, v189, -v92
	v_add_f32_e32 v139, v139, v140
	s_waitcnt vmcnt(18)
	v_mul_f32_e32 v140, v133, v198
	v_add_f32_e32 v91, v91, v92
	v_mul_f32_e32 v92, v128, v192
	v_fmac_f32_e32 v140, v134, v197
	v_fma_f32 v92, v127, v191, -v92
	v_add_f32_e32 v139, v139, v140
	s_waitcnt vmcnt(16) lgkmcnt(0)
	v_mul_f32_e32 v140, v135, v200
	v_add_f32_e32 v91, v91, v92
	v_mul_f32_e32 v92, v130, v194
	v_fmac_f32_e32 v140, v136, v199
	v_fma_f32 v92, v129, v193, -v92
	v_add_f32_e32 v143, v139, v140
	ds_read2_b64 v[139:142], v90 offset0:81 offset1:82
	v_add_f32_e32 v91, v91, v92
	v_mul_f32_e32 v92, v132, v196
	v_fma_f32 v92, v131, v195, -v92
	s_waitcnt vmcnt(14)
	v_mul_f32_e32 v144, v137, v202
	v_add_f32_e32 v91, v91, v92
	v_mul_f32_e32 v92, v134, v198
	v_fmac_f32_e32 v144, v138, v201
	v_fma_f32 v92, v133, v197, -v92
	v_add_f32_e32 v147, v143, v144
	ds_read2_b64 v[143:146], v90 offset0:83 offset1:84
	v_add_f32_e32 v91, v91, v92
	v_mul_f32_e32 v92, v136, v200
	s_waitcnt vmcnt(12) lgkmcnt(1)
	v_mul_f32_e32 v148, v139, v204
	v_fma_f32 v92, v135, v199, -v92
	v_fmac_f32_e32 v148, v140, v203
	v_add_f32_e32 v91, v91, v92
	v_mul_f32_e32 v92, v138, v202
	v_add_f32_e32 v147, v147, v148
	s_waitcnt vmcnt(10)
	v_mul_f32_e32 v148, v141, v206
	v_fma_f32 v92, v137, v201, -v92
	v_fmac_f32_e32 v148, v142, v205
	v_add_f32_e32 v91, v91, v92
	v_mul_f32_e32 v92, v140, v204
	v_add_f32_e32 v147, v147, v148
	s_waitcnt vmcnt(8) lgkmcnt(0)
	v_mul_f32_e32 v148, v143, v208
	v_fma_f32 v92, v139, v203, -v92
	v_fmac_f32_e32 v148, v144, v207
	v_add_f32_e32 v91, v91, v92
	v_mul_f32_e32 v92, v142, v206
	v_add_f32_e32 v151, v147, v148
	ds_read2_b64 v[147:150], v90 offset0:85 offset1:86
	v_fma_f32 v92, v141, v205, -v92
	v_add_f32_e32 v91, v91, v92
	v_mul_f32_e32 v92, v144, v208
	s_waitcnt vmcnt(6)
	v_mul_f32_e32 v152, v145, v210
	v_fma_f32 v92, v143, v207, -v92
	v_fmac_f32_e32 v152, v146, v209
	v_add_f32_e32 v91, v91, v92
	v_mul_f32_e32 v92, v146, v210
	v_add_f32_e32 v217, v151, v152
	ds_read_b64 v[151:152], v90 offset:696
	v_fma_f32 v92, v145, v209, -v92
	v_add_f32_e32 v91, v91, v92
	s_waitcnt vmcnt(4) lgkmcnt(1)
	v_mul_f32_e32 v92, v148, v212
	v_mul_f32_e32 v218, v147, v212
	v_fma_f32 v92, v147, v211, -v92
	v_fmac_f32_e32 v218, v148, v211
	v_add_f32_e32 v91, v91, v92
	s_waitcnt vmcnt(3)
	v_mul_f32_e32 v92, v150, v213
	v_add_f32_e32 v217, v217, v218
	v_mul_f32_e32 v218, v149, v213
	s_waitcnt vmcnt(2)
	v_fma_f32 v92, v149, v214, -v92
	v_fmac_f32_e32 v218, v150, v214
	v_add_f32_e32 v91, v91, v92
	s_waitcnt vmcnt(0) lgkmcnt(0)
	v_mul_f32_e32 v92, v152, v216
	v_add_f32_e32 v217, v217, v218
	v_mul_f32_e32 v218, v151, v216
	v_fma_f32 v92, v151, v215, -v92
	v_fmac_f32_e32 v218, v152, v215
	v_add_f32_e32 v91, v91, v92
	v_add_f32_e32 v217, v217, v218
	v_sub_f32_e32 v91, v175, v91
	v_sub_f32_e32 v92, v176, v217
	buffer_store_dword v91, off, s[0:3], 0 offset:96
	buffer_store_dword v92, off, s[0:3], 0 offset:100
	s_and_saveexec_b64 s[4:5], vcc
	s_cbranch_execz .LBB107_255
; %bb.254:
	buffer_load_dword v91, off, s[0:3], 0 offset:88
	buffer_load_dword v92, off, s[0:3], 0 offset:92
	s_waitcnt vmcnt(0)
	ds_write_b64 v89, v[91:92]
	buffer_store_dword v90, off, s[0:3], 0 offset:88
	buffer_store_dword v90, off, s[0:3], 0 offset:92
.LBB107_255:
	s_or_b64 exec, exec, s[4:5]
	s_waitcnt lgkmcnt(0)
	; wave barrier
	buffer_load_dword v155, off, s[0:3], 0 offset:100
	buffer_load_dword v156, off, s[0:3], 0 offset:108
	;; [unrolled: 1-line block ×26, first 2 shown]
	ds_read_b128 v[91:94], v90 offset:448
	ds_read_b128 v[95:98], v90 offset:464
	;; [unrolled: 1-line block ×4, first 2 shown]
	buffer_load_dword v181, off, s[0:3], 0 offset:196
	buffer_load_dword v182, off, s[0:3], 0 offset:192
	;; [unrolled: 1-line block ×34, first 2 shown]
	v_cmp_lt_u32_e32 vcc, 10, v0
	s_waitcnt vmcnt(59) lgkmcnt(3)
	v_mul_f32_e32 v107, v91, v155
	s_waitcnt vmcnt(58)
	v_mul_f32_e32 v108, v93, v156
	s_waitcnt vmcnt(57) lgkmcnt(2)
	v_mul_f32_e32 v109, v95, v157
	s_waitcnt vmcnt(56)
	v_mul_f32_e32 v110, v97, v158
	;; [unrolled: 4-line block ×4, first 2 shown]
	s_waitcnt vmcnt(51)
	v_fmac_f32_e32 v107, v92, v163
	s_waitcnt vmcnt(50)
	v_fmac_f32_e32 v108, v94, v164
	v_add_f32_e32 v107, 0, v107
	s_waitcnt vmcnt(49)
	v_fmac_f32_e32 v109, v96, v165
	v_add_f32_e32 v107, v107, v108
	;; [unrolled: 3-line block ×7, first 2 shown]
	v_add_f32_e32 v115, v107, v114
	ds_read_b128 v[107:110], v90 offset:512
	buffer_load_dword v215, off, s[0:3], 0 offset:332
	buffer_load_dword v216, off, s[0:3], 0 offset:328
	;; [unrolled: 1-line block ×4, first 2 shown]
	ds_read_b128 v[111:114], v90 offset:528
	buffer_load_dword v219, off, s[0:3], 0 offset:344
	buffer_load_dword v220, off, s[0:3], 0 offset:348
	v_mul_f32_e32 v92, v92, v155
	s_waitcnt vmcnt(49) lgkmcnt(1)
	v_mul_f32_e32 v116, v107, v171
	s_waitcnt vmcnt(48)
	v_fmac_f32_e32 v116, v108, v172
	v_fma_f32 v91, v91, v163, -v92
	v_mul_f32_e32 v92, v94, v156
	v_add_f32_e32 v115, v115, v116
	s_waitcnt vmcnt(46)
	v_mul_f32_e32 v116, v109, v174
	v_add_f32_e32 v91, 0, v91
	v_fma_f32 v92, v93, v164, -v92
	v_fmac_f32_e32 v116, v110, v173
	v_add_f32_e32 v91, v91, v92
	v_mul_f32_e32 v92, v96, v157
	v_add_f32_e32 v115, v115, v116
	s_waitcnt vmcnt(43) lgkmcnt(0)
	v_mul_f32_e32 v116, v111, v177
	v_fma_f32 v92, v95, v165, -v92
	s_waitcnt vmcnt(42)
	v_fmac_f32_e32 v116, v112, v178
	v_add_f32_e32 v91, v91, v92
	v_mul_f32_e32 v92, v98, v158
	v_add_f32_e32 v119, v115, v116
	ds_read_b128 v[115:118], v90 offset:544
	v_fma_f32 v92, v97, v166, -v92
	v_add_f32_e32 v91, v91, v92
	v_mul_f32_e32 v92, v100, v159
	s_waitcnt vmcnt(40)
	v_mul_f32_e32 v120, v113, v180
	v_fma_f32 v92, v99, v167, -v92
	v_fmac_f32_e32 v120, v114, v179
	v_add_f32_e32 v91, v91, v92
	v_mul_f32_e32 v92, v102, v160
	v_add_f32_e32 v123, v119, v120
	ds_read_b128 v[119:122], v90 offset:560
	v_fma_f32 v92, v101, v168, -v92
	s_waitcnt vmcnt(39) lgkmcnt(1)
	v_mul_f32_e32 v124, v115, v181
	v_add_f32_e32 v91, v91, v92
	v_mul_f32_e32 v92, v104, v161
	s_waitcnt vmcnt(38)
	v_fmac_f32_e32 v124, v116, v182
	v_fma_f32 v92, v103, v169, -v92
	v_add_f32_e32 v123, v123, v124
	s_waitcnt vmcnt(36)
	v_mul_f32_e32 v124, v117, v184
	v_add_f32_e32 v91, v91, v92
	v_mul_f32_e32 v92, v106, v162
	v_fmac_f32_e32 v124, v118, v183
	v_fma_f32 v92, v105, v170, -v92
	v_add_f32_e32 v123, v123, v124
	s_waitcnt vmcnt(34) lgkmcnt(0)
	v_mul_f32_e32 v124, v119, v186
	v_add_f32_e32 v91, v91, v92
	v_mul_f32_e32 v92, v108, v171
	v_fmac_f32_e32 v124, v120, v185
	v_fma_f32 v92, v107, v172, -v92
	v_add_f32_e32 v127, v123, v124
	ds_read_b128 v[123:126], v90 offset:576
	v_add_f32_e32 v91, v91, v92
	v_mul_f32_e32 v92, v110, v174
	v_fma_f32 v92, v109, v173, -v92
	s_waitcnt vmcnt(32)
	v_mul_f32_e32 v128, v121, v188
	v_add_f32_e32 v91, v91, v92
	v_mul_f32_e32 v92, v112, v177
	v_fmac_f32_e32 v128, v122, v187
	v_fma_f32 v92, v111, v178, -v92
	v_add_f32_e32 v131, v127, v128
	ds_read_b128 v[127:130], v90 offset:592
	v_add_f32_e32 v91, v91, v92
	v_mul_f32_e32 v92, v114, v180
	s_waitcnt vmcnt(30) lgkmcnt(1)
	v_mul_f32_e32 v132, v123, v190
	v_fma_f32 v92, v113, v179, -v92
	v_fmac_f32_e32 v132, v124, v189
	v_add_f32_e32 v91, v91, v92
	v_mul_f32_e32 v92, v116, v181
	v_add_f32_e32 v131, v131, v132
	s_waitcnt vmcnt(28)
	v_mul_f32_e32 v132, v125, v192
	v_fma_f32 v92, v115, v182, -v92
	v_fmac_f32_e32 v132, v126, v191
	v_add_f32_e32 v91, v91, v92
	v_mul_f32_e32 v92, v118, v184
	v_add_f32_e32 v131, v131, v132
	s_waitcnt vmcnt(26) lgkmcnt(0)
	v_mul_f32_e32 v132, v127, v194
	v_fma_f32 v92, v117, v183, -v92
	v_fmac_f32_e32 v132, v128, v193
	v_add_f32_e32 v91, v91, v92
	v_mul_f32_e32 v92, v120, v186
	v_add_f32_e32 v135, v131, v132
	ds_read_b128 v[131:134], v90 offset:608
	v_fma_f32 v92, v119, v185, -v92
	v_add_f32_e32 v91, v91, v92
	v_mul_f32_e32 v92, v122, v188
	s_waitcnt vmcnt(24)
	v_mul_f32_e32 v136, v129, v196
	v_fma_f32 v92, v121, v187, -v92
	v_fmac_f32_e32 v136, v130, v195
	v_add_f32_e32 v91, v91, v92
	v_mul_f32_e32 v92, v124, v190
	v_add_f32_e32 v139, v135, v136
	ds_read_b128 v[135:138], v90 offset:624
	v_fma_f32 v92, v123, v189, -v92
	s_waitcnt vmcnt(22) lgkmcnt(1)
	v_mul_f32_e32 v140, v131, v198
	v_add_f32_e32 v91, v91, v92
	v_mul_f32_e32 v92, v126, v192
	v_fmac_f32_e32 v140, v132, v197
	v_fma_f32 v92, v125, v191, -v92
	v_add_f32_e32 v139, v139, v140
	s_waitcnt vmcnt(20)
	v_mul_f32_e32 v140, v133, v200
	v_add_f32_e32 v91, v91, v92
	v_mul_f32_e32 v92, v128, v194
	v_fmac_f32_e32 v140, v134, v199
	v_fma_f32 v92, v127, v193, -v92
	v_add_f32_e32 v139, v139, v140
	s_waitcnt vmcnt(18) lgkmcnt(0)
	v_mul_f32_e32 v140, v135, v202
	v_add_f32_e32 v91, v91, v92
	v_mul_f32_e32 v92, v130, v196
	v_fmac_f32_e32 v140, v136, v201
	v_fma_f32 v92, v129, v195, -v92
	v_add_f32_e32 v143, v139, v140
	ds_read_b128 v[139:142], v90 offset:640
	v_add_f32_e32 v91, v91, v92
	v_mul_f32_e32 v92, v132, v198
	v_fma_f32 v92, v131, v197, -v92
	s_waitcnt vmcnt(16)
	v_mul_f32_e32 v144, v137, v204
	v_add_f32_e32 v91, v91, v92
	v_mul_f32_e32 v92, v134, v200
	v_fmac_f32_e32 v144, v138, v203
	v_fma_f32 v92, v133, v199, -v92
	v_add_f32_e32 v147, v143, v144
	ds_read_b128 v[143:146], v90 offset:656
	v_add_f32_e32 v91, v91, v92
	v_mul_f32_e32 v92, v136, v202
	s_waitcnt vmcnt(14) lgkmcnt(1)
	v_mul_f32_e32 v148, v139, v206
	v_fma_f32 v92, v135, v201, -v92
	v_fmac_f32_e32 v148, v140, v205
	v_add_f32_e32 v91, v91, v92
	v_mul_f32_e32 v92, v138, v204
	v_add_f32_e32 v147, v147, v148
	s_waitcnt vmcnt(12)
	v_mul_f32_e32 v148, v141, v208
	v_fma_f32 v92, v137, v203, -v92
	v_fmac_f32_e32 v148, v142, v207
	v_add_f32_e32 v91, v91, v92
	v_mul_f32_e32 v92, v140, v206
	v_add_f32_e32 v147, v147, v148
	s_waitcnt vmcnt(10) lgkmcnt(0)
	v_mul_f32_e32 v148, v143, v210
	v_fma_f32 v92, v139, v205, -v92
	v_fmac_f32_e32 v148, v144, v209
	v_add_f32_e32 v91, v91, v92
	v_mul_f32_e32 v92, v142, v208
	v_add_f32_e32 v151, v147, v148
	ds_read_b128 v[147:150], v90 offset:672
	v_fma_f32 v92, v141, v207, -v92
	v_add_f32_e32 v91, v91, v92
	v_mul_f32_e32 v92, v144, v210
	s_waitcnt vmcnt(8)
	v_mul_f32_e32 v152, v145, v212
	v_fma_f32 v92, v143, v209, -v92
	v_fmac_f32_e32 v152, v146, v211
	v_add_f32_e32 v91, v91, v92
	v_mul_f32_e32 v92, v146, v212
	v_add_f32_e32 v221, v151, v152
	ds_read_b128 v[151:154], v90 offset:688
	v_fma_f32 v92, v145, v211, -v92
	v_add_f32_e32 v91, v91, v92
	s_waitcnt vmcnt(6) lgkmcnt(1)
	v_mul_f32_e32 v92, v148, v214
	v_mul_f32_e32 v90, v147, v214
	v_fma_f32 v92, v147, v213, -v92
	v_fmac_f32_e32 v90, v148, v213
	v_add_f32_e32 v91, v91, v92
	s_waitcnt vmcnt(5)
	v_mul_f32_e32 v92, v150, v215
	v_add_f32_e32 v90, v221, v90
	v_mul_f32_e32 v221, v149, v215
	s_waitcnt vmcnt(4)
	v_fma_f32 v92, v149, v216, -v92
	v_fmac_f32_e32 v221, v150, v216
	v_add_f32_e32 v91, v91, v92
	s_waitcnt vmcnt(2) lgkmcnt(0)
	v_mul_f32_e32 v92, v152, v218
	v_add_f32_e32 v90, v90, v221
	v_mul_f32_e32 v221, v151, v218
	v_fma_f32 v92, v151, v217, -v92
	v_fmac_f32_e32 v221, v152, v217
	v_add_f32_e32 v91, v91, v92
	s_waitcnt vmcnt(0)
	v_mul_f32_e32 v92, v154, v220
	v_add_f32_e32 v90, v90, v221
	v_mul_f32_e32 v221, v153, v220
	v_fma_f32 v92, v153, v219, -v92
	v_fmac_f32_e32 v221, v154, v219
	v_add_f32_e32 v91, v91, v92
	v_add_f32_e32 v90, v90, v221
	v_sub_f32_e32 v91, v175, v91
	v_sub_f32_e32 v90, v176, v90
	buffer_store_dword v91, off, s[0:3], 0 offset:88
	buffer_store_dword v90, off, s[0:3], 0 offset:92
	s_and_saveexec_b64 s[4:5], vcc
	s_cbranch_execz .LBB107_257
; %bb.256:
	buffer_load_dword v90, off, s[0:3], 0 offset:80
	buffer_load_dword v91, off, s[0:3], 0 offset:84
	v_mov_b32_e32 v92, 0
	buffer_store_dword v92, off, s[0:3], 0 offset:80
	buffer_store_dword v92, off, s[0:3], 0 offset:84
	s_waitcnt vmcnt(2)
	ds_write_b64 v89, v[90:91]
.LBB107_257:
	s_or_b64 exec, exec, s[4:5]
	s_waitcnt lgkmcnt(0)
	; wave barrier
	buffer_load_dword v157, off, s[0:3], 0 offset:92
	buffer_load_dword v158, off, s[0:3], 0 offset:100
	;; [unrolled: 1-line block ×58, first 2 shown]
	v_mov_b32_e32 v90, 0
	ds_read2_b64 v[91:94], v90 offset0:55 offset1:56
	ds_read2_b64 v[95:98], v90 offset0:57 offset1:58
	;; [unrolled: 1-line block ×5, first 2 shown]
	buffer_load_dword v215, off, s[0:3], 0 offset:312
	buffer_load_dword v216, off, s[0:3], 0 offset:316
	v_cmp_lt_u32_e32 vcc, 9, v0
	s_waitcnt vmcnt(59) lgkmcnt(4)
	v_mul_f32_e32 v111, v91, v157
	s_waitcnt vmcnt(58)
	v_mul_f32_e32 v112, v93, v158
	s_waitcnt vmcnt(57) lgkmcnt(3)
	v_mul_f32_e32 v113, v95, v159
	s_waitcnt vmcnt(56)
	v_mul_f32_e32 v114, v97, v160
	;; [unrolled: 4-line block ×4, first 2 shown]
	s_waitcnt vmcnt(51)
	v_fmac_f32_e32 v111, v92, v165
	s_waitcnt vmcnt(50)
	v_fmac_f32_e32 v112, v94, v166
	v_add_f32_e32 v111, 0, v111
	s_waitcnt vmcnt(49)
	v_fmac_f32_e32 v113, v96, v167
	v_add_f32_e32 v111, v111, v112
	;; [unrolled: 3-line block ×7, first 2 shown]
	v_add_f32_e32 v115, v111, v118
	ds_read2_b64 v[111:114], v90 offset0:65 offset1:66
	buffer_load_dword v217, off, s[0:3], 0 offset:324
	buffer_load_dword v218, off, s[0:3], 0 offset:320
	;; [unrolled: 1-line block ×8, first 2 shown]
	s_waitcnt vmcnt(51) lgkmcnt(1)
	v_mul_f32_e32 v116, v107, v173
	s_waitcnt vmcnt(50)
	v_fmac_f32_e32 v116, v108, v174
	v_mul_f32_e32 v92, v92, v157
	v_add_f32_e32 v115, v115, v116
	s_waitcnt vmcnt(49)
	v_mul_f32_e32 v116, v109, v175
	v_fma_f32 v91, v91, v165, -v92
	v_mul_f32_e32 v92, v94, v158
	s_waitcnt vmcnt(46)
	v_fmac_f32_e32 v116, v110, v178
	v_add_f32_e32 v91, 0, v91
	v_fma_f32 v92, v93, v166, -v92
	v_add_f32_e32 v115, v115, v116
	s_waitcnt vmcnt(44) lgkmcnt(0)
	v_mul_f32_e32 v116, v111, v180
	v_add_f32_e32 v91, v91, v92
	v_mul_f32_e32 v92, v96, v159
	v_fmac_f32_e32 v116, v112, v179
	v_fma_f32 v92, v95, v167, -v92
	v_add_f32_e32 v119, v115, v116
	ds_read2_b64 v[115:118], v90 offset0:67 offset1:68
	v_add_f32_e32 v91, v91, v92
	v_mul_f32_e32 v92, v98, v160
	v_fma_f32 v92, v97, v168, -v92
	s_waitcnt vmcnt(42)
	v_mul_f32_e32 v120, v113, v182
	v_add_f32_e32 v91, v91, v92
	v_mul_f32_e32 v92, v100, v161
	v_fmac_f32_e32 v120, v114, v181
	v_fma_f32 v92, v99, v169, -v92
	v_add_f32_e32 v123, v119, v120
	ds_read2_b64 v[119:122], v90 offset0:69 offset1:70
	v_add_f32_e32 v91, v91, v92
	v_mul_f32_e32 v92, v102, v162
	s_waitcnt vmcnt(40) lgkmcnt(1)
	v_mul_f32_e32 v124, v115, v184
	v_fma_f32 v92, v101, v170, -v92
	v_fmac_f32_e32 v124, v116, v183
	v_add_f32_e32 v91, v91, v92
	v_mul_f32_e32 v92, v104, v163
	v_add_f32_e32 v123, v123, v124
	s_waitcnt vmcnt(38)
	v_mul_f32_e32 v124, v117, v186
	v_fma_f32 v92, v103, v171, -v92
	v_fmac_f32_e32 v124, v118, v185
	v_add_f32_e32 v91, v91, v92
	v_mul_f32_e32 v92, v106, v164
	v_add_f32_e32 v123, v123, v124
	s_waitcnt vmcnt(36) lgkmcnt(0)
	v_mul_f32_e32 v124, v119, v188
	v_fma_f32 v92, v105, v172, -v92
	v_fmac_f32_e32 v124, v120, v187
	v_add_f32_e32 v91, v91, v92
	v_mul_f32_e32 v92, v108, v173
	v_add_f32_e32 v127, v123, v124
	ds_read2_b64 v[123:126], v90 offset0:71 offset1:72
	v_fma_f32 v92, v107, v174, -v92
	v_add_f32_e32 v91, v91, v92
	v_mul_f32_e32 v92, v110, v175
	s_waitcnt vmcnt(34)
	v_mul_f32_e32 v128, v121, v190
	v_fma_f32 v92, v109, v178, -v92
	v_fmac_f32_e32 v128, v122, v189
	v_add_f32_e32 v91, v91, v92
	v_mul_f32_e32 v92, v112, v180
	v_add_f32_e32 v131, v127, v128
	ds_read2_b64 v[127:130], v90 offset0:73 offset1:74
	v_fma_f32 v92, v111, v179, -v92
	s_waitcnt vmcnt(32) lgkmcnt(1)
	v_mul_f32_e32 v132, v123, v192
	v_add_f32_e32 v91, v91, v92
	v_mul_f32_e32 v92, v114, v182
	v_fmac_f32_e32 v132, v124, v191
	v_fma_f32 v92, v113, v181, -v92
	v_add_f32_e32 v131, v131, v132
	s_waitcnt vmcnt(30)
	v_mul_f32_e32 v132, v125, v194
	v_add_f32_e32 v91, v91, v92
	v_mul_f32_e32 v92, v116, v184
	v_fmac_f32_e32 v132, v126, v193
	v_fma_f32 v92, v115, v183, -v92
	v_add_f32_e32 v131, v131, v132
	s_waitcnt vmcnt(28) lgkmcnt(0)
	v_mul_f32_e32 v132, v127, v196
	v_add_f32_e32 v91, v91, v92
	v_mul_f32_e32 v92, v118, v186
	v_fmac_f32_e32 v132, v128, v195
	v_fma_f32 v92, v117, v185, -v92
	v_add_f32_e32 v135, v131, v132
	ds_read2_b64 v[131:134], v90 offset0:75 offset1:76
	v_add_f32_e32 v91, v91, v92
	v_mul_f32_e32 v92, v120, v188
	v_fma_f32 v92, v119, v187, -v92
	s_waitcnt vmcnt(26)
	v_mul_f32_e32 v136, v129, v198
	v_add_f32_e32 v91, v91, v92
	v_mul_f32_e32 v92, v122, v190
	v_fmac_f32_e32 v136, v130, v197
	v_fma_f32 v92, v121, v189, -v92
	v_add_f32_e32 v139, v135, v136
	ds_read2_b64 v[135:138], v90 offset0:77 offset1:78
	v_add_f32_e32 v91, v91, v92
	v_mul_f32_e32 v92, v124, v192
	s_waitcnt vmcnt(24) lgkmcnt(1)
	v_mul_f32_e32 v140, v131, v200
	v_fma_f32 v92, v123, v191, -v92
	v_fmac_f32_e32 v140, v132, v199
	v_add_f32_e32 v91, v91, v92
	v_mul_f32_e32 v92, v126, v194
	v_add_f32_e32 v139, v139, v140
	s_waitcnt vmcnt(22)
	v_mul_f32_e32 v140, v133, v202
	v_fma_f32 v92, v125, v193, -v92
	v_fmac_f32_e32 v140, v134, v201
	v_add_f32_e32 v91, v91, v92
	v_mul_f32_e32 v92, v128, v196
	v_add_f32_e32 v139, v139, v140
	s_waitcnt vmcnt(20) lgkmcnt(0)
	v_mul_f32_e32 v140, v135, v204
	v_fma_f32 v92, v127, v195, -v92
	v_fmac_f32_e32 v140, v136, v203
	v_add_f32_e32 v91, v91, v92
	v_mul_f32_e32 v92, v130, v198
	v_add_f32_e32 v143, v139, v140
	ds_read2_b64 v[139:142], v90 offset0:79 offset1:80
	v_fma_f32 v92, v129, v197, -v92
	v_add_f32_e32 v91, v91, v92
	v_mul_f32_e32 v92, v132, v200
	s_waitcnt vmcnt(18)
	v_mul_f32_e32 v144, v137, v206
	v_fma_f32 v92, v131, v199, -v92
	v_fmac_f32_e32 v144, v138, v205
	v_add_f32_e32 v91, v91, v92
	v_mul_f32_e32 v92, v134, v202
	v_add_f32_e32 v147, v143, v144
	ds_read2_b64 v[143:146], v90 offset0:81 offset1:82
	v_fma_f32 v92, v133, v201, -v92
	s_waitcnt vmcnt(16) lgkmcnt(1)
	v_mul_f32_e32 v148, v139, v208
	v_add_f32_e32 v91, v91, v92
	v_mul_f32_e32 v92, v136, v204
	v_fmac_f32_e32 v148, v140, v207
	v_fma_f32 v92, v135, v203, -v92
	v_add_f32_e32 v147, v147, v148
	s_waitcnt vmcnt(14)
	v_mul_f32_e32 v148, v141, v210
	v_add_f32_e32 v91, v91, v92
	v_mul_f32_e32 v92, v138, v206
	v_fmac_f32_e32 v148, v142, v209
	v_fma_f32 v92, v137, v205, -v92
	v_add_f32_e32 v147, v147, v148
	s_waitcnt vmcnt(12) lgkmcnt(0)
	v_mul_f32_e32 v148, v143, v212
	v_add_f32_e32 v91, v91, v92
	v_mul_f32_e32 v92, v140, v208
	v_fmac_f32_e32 v148, v144, v211
	v_fma_f32 v92, v139, v207, -v92
	v_add_f32_e32 v151, v147, v148
	ds_read2_b64 v[147:150], v90 offset0:83 offset1:84
	v_add_f32_e32 v91, v91, v92
	v_mul_f32_e32 v92, v142, v210
	v_fma_f32 v92, v141, v209, -v92
	v_add_f32_e32 v91, v91, v92
	v_mul_f32_e32 v92, v144, v212
	s_waitcnt vmcnt(10)
	v_mul_f32_e32 v152, v145, v214
	v_fma_f32 v92, v143, v211, -v92
	v_fmac_f32_e32 v152, v146, v213
	v_add_f32_e32 v91, v91, v92
	v_mul_f32_e32 v92, v146, v214
	v_add_f32_e32 v155, v151, v152
	ds_read2_b64 v[151:154], v90 offset0:85 offset1:86
	s_waitcnt vmcnt(8) lgkmcnt(1)
	v_mul_f32_e32 v156, v147, v216
	v_fma_f32 v92, v145, v213, -v92
	v_fmac_f32_e32 v156, v148, v215
	v_add_f32_e32 v91, v91, v92
	v_mul_f32_e32 v92, v148, v216
	v_add_f32_e32 v155, v155, v156
	s_waitcnt vmcnt(7)
	v_mul_f32_e32 v156, v149, v217
	v_fma_f32 v92, v147, v215, -v92
	s_waitcnt vmcnt(6)
	v_fmac_f32_e32 v156, v150, v218
	v_add_f32_e32 v91, v91, v92
	v_mul_f32_e32 v92, v150, v217
	v_add_f32_e32 v225, v155, v156
	ds_read_b64 v[155:156], v90 offset:696
	v_fma_f32 v92, v149, v218, -v92
	v_add_f32_e32 v91, v91, v92
	s_waitcnt vmcnt(4) lgkmcnt(1)
	v_mul_f32_e32 v92, v152, v220
	v_mul_f32_e32 v226, v151, v220
	v_fma_f32 v92, v151, v219, -v92
	v_fmac_f32_e32 v226, v152, v219
	v_add_f32_e32 v91, v91, v92
	s_waitcnt vmcnt(3)
	v_mul_f32_e32 v92, v154, v221
	v_add_f32_e32 v225, v225, v226
	v_mul_f32_e32 v226, v153, v221
	s_waitcnt vmcnt(2)
	v_fma_f32 v92, v153, v222, -v92
	v_fmac_f32_e32 v226, v154, v222
	v_add_f32_e32 v91, v91, v92
	s_waitcnt vmcnt(0) lgkmcnt(0)
	v_mul_f32_e32 v92, v156, v224
	v_add_f32_e32 v225, v225, v226
	v_mul_f32_e32 v226, v155, v224
	v_fma_f32 v92, v155, v223, -v92
	v_fmac_f32_e32 v226, v156, v223
	v_add_f32_e32 v91, v91, v92
	v_add_f32_e32 v225, v225, v226
	v_sub_f32_e32 v91, v176, v91
	v_sub_f32_e32 v92, v177, v225
	buffer_store_dword v91, off, s[0:3], 0 offset:80
	buffer_store_dword v92, off, s[0:3], 0 offset:84
	s_and_saveexec_b64 s[4:5], vcc
	s_cbranch_execz .LBB107_259
; %bb.258:
	buffer_load_dword v91, off, s[0:3], 0 offset:72
	buffer_load_dword v92, off, s[0:3], 0 offset:76
	s_waitcnt vmcnt(0)
	ds_write_b64 v89, v[91:92]
	buffer_store_dword v90, off, s[0:3], 0 offset:72
	buffer_store_dword v90, off, s[0:3], 0 offset:76
.LBB107_259:
	s_or_b64 exec, exec, s[4:5]
	s_waitcnt lgkmcnt(0)
	; wave barrier
	buffer_load_dword v159, off, s[0:3], 0 offset:84
	buffer_load_dword v160, off, s[0:3], 0 offset:92
	;; [unrolled: 1-line block ×24, first 2 shown]
	ds_read_b128 v[91:94], v90 offset:432
	ds_read_b128 v[95:98], v90 offset:448
	;; [unrolled: 1-line block ×6, first 2 shown]
	buffer_load_dword v183, off, s[0:3], 0 offset:172
	buffer_load_dword v184, off, s[0:3], 0 offset:168
	;; [unrolled: 1-line block ×46, first 2 shown]
	v_cmp_lt_u32_e32 vcc, 8, v0
	s_waitcnt vmcnt(62) lgkmcnt(5)
	v_mul_f32_e32 v115, v91, v159
	v_mul_f32_e32 v116, v93, v160
	s_waitcnt lgkmcnt(4)
	v_mul_f32_e32 v117, v95, v161
	v_mul_f32_e32 v118, v97, v162
	s_waitcnt lgkmcnt(3)
	;; [unrolled: 3-line block ×3, first 2 shown]
	v_mul_f32_e32 v121, v103, v165
	v_mul_f32_e32 v122, v105, v166
	s_waitcnt vmcnt(61)
	v_fmac_f32_e32 v115, v92, v167
	s_waitcnt vmcnt(60)
	v_fmac_f32_e32 v116, v94, v168
	v_add_f32_e32 v115, 0, v115
	s_waitcnt vmcnt(59)
	v_fmac_f32_e32 v117, v96, v169
	v_add_f32_e32 v115, v115, v116
	;; [unrolled: 3-line block ×7, first 2 shown]
	s_waitcnt vmcnt(53) lgkmcnt(1)
	v_mul_f32_e32 v116, v107, v175
	v_add_f32_e32 v115, v115, v122
	s_waitcnt vmcnt(52)
	v_fmac_f32_e32 v116, v108, v176
	v_mul_f32_e32 v92, v92, v159
	v_add_f32_e32 v115, v115, v116
	s_waitcnt vmcnt(51)
	v_mul_f32_e32 v116, v109, v177
	v_fma_f32 v91, v91, v167, -v92
	v_mul_f32_e32 v92, v94, v160
	s_waitcnt vmcnt(50)
	v_fmac_f32_e32 v116, v110, v178
	v_add_f32_e32 v91, 0, v91
	v_fma_f32 v92, v93, v168, -v92
	v_add_f32_e32 v115, v115, v116
	s_waitcnt vmcnt(47) lgkmcnt(0)
	v_mul_f32_e32 v116, v111, v181
	v_add_f32_e32 v91, v91, v92
	v_mul_f32_e32 v92, v96, v161
	s_waitcnt vmcnt(46)
	v_fmac_f32_e32 v116, v112, v182
	v_fma_f32 v92, v95, v169, -v92
	v_add_f32_e32 v119, v115, v116
	ds_read_b128 v[115:118], v90 offset:528
	v_add_f32_e32 v91, v91, v92
	v_mul_f32_e32 v92, v98, v162
	v_fma_f32 v92, v97, v170, -v92
	s_waitcnt vmcnt(45)
	v_mul_f32_e32 v120, v113, v183
	v_add_f32_e32 v91, v91, v92
	v_mul_f32_e32 v92, v100, v163
	s_waitcnt vmcnt(44)
	v_fmac_f32_e32 v120, v114, v184
	v_fma_f32 v92, v99, v171, -v92
	v_add_f32_e32 v123, v119, v120
	ds_read_b128 v[119:122], v90 offset:544
	v_add_f32_e32 v91, v91, v92
	v_mul_f32_e32 v92, v102, v164
	s_waitcnt vmcnt(42) lgkmcnt(1)
	v_mul_f32_e32 v124, v115, v186
	v_fma_f32 v92, v101, v172, -v92
	v_fmac_f32_e32 v124, v116, v185
	v_add_f32_e32 v91, v91, v92
	v_mul_f32_e32 v92, v104, v165
	v_add_f32_e32 v123, v123, v124
	s_waitcnt vmcnt(40)
	v_mul_f32_e32 v124, v117, v188
	v_fma_f32 v92, v103, v173, -v92
	v_fmac_f32_e32 v124, v118, v187
	v_add_f32_e32 v91, v91, v92
	v_mul_f32_e32 v92, v106, v166
	v_add_f32_e32 v123, v123, v124
	s_waitcnt vmcnt(38) lgkmcnt(0)
	v_mul_f32_e32 v124, v119, v190
	v_fma_f32 v92, v105, v174, -v92
	v_fmac_f32_e32 v124, v120, v189
	v_add_f32_e32 v91, v91, v92
	v_mul_f32_e32 v92, v108, v175
	v_add_f32_e32 v127, v123, v124
	ds_read_b128 v[123:126], v90 offset:560
	v_fma_f32 v92, v107, v176, -v92
	v_add_f32_e32 v91, v91, v92
	v_mul_f32_e32 v92, v110, v177
	s_waitcnt vmcnt(36)
	v_mul_f32_e32 v128, v121, v192
	v_fma_f32 v92, v109, v178, -v92
	v_fmac_f32_e32 v128, v122, v191
	v_add_f32_e32 v91, v91, v92
	v_mul_f32_e32 v92, v112, v181
	v_add_f32_e32 v131, v127, v128
	ds_read_b128 v[127:130], v90 offset:576
	v_fma_f32 v92, v111, v182, -v92
	s_waitcnt vmcnt(34) lgkmcnt(1)
	v_mul_f32_e32 v132, v123, v194
	v_add_f32_e32 v91, v91, v92
	v_mul_f32_e32 v92, v114, v183
	v_fmac_f32_e32 v132, v124, v193
	v_fma_f32 v92, v113, v184, -v92
	v_add_f32_e32 v131, v131, v132
	s_waitcnt vmcnt(32)
	v_mul_f32_e32 v132, v125, v196
	v_add_f32_e32 v91, v91, v92
	v_mul_f32_e32 v92, v116, v186
	v_fmac_f32_e32 v132, v126, v195
	v_fma_f32 v92, v115, v185, -v92
	v_add_f32_e32 v131, v131, v132
	s_waitcnt vmcnt(30) lgkmcnt(0)
	v_mul_f32_e32 v132, v127, v198
	v_add_f32_e32 v91, v91, v92
	v_mul_f32_e32 v92, v118, v188
	v_fmac_f32_e32 v132, v128, v197
	v_fma_f32 v92, v117, v187, -v92
	v_add_f32_e32 v135, v131, v132
	ds_read_b128 v[131:134], v90 offset:592
	v_add_f32_e32 v91, v91, v92
	v_mul_f32_e32 v92, v120, v190
	v_fma_f32 v92, v119, v189, -v92
	s_waitcnt vmcnt(28)
	v_mul_f32_e32 v136, v129, v200
	v_add_f32_e32 v91, v91, v92
	v_mul_f32_e32 v92, v122, v192
	v_fmac_f32_e32 v136, v130, v199
	v_fma_f32 v92, v121, v191, -v92
	v_add_f32_e32 v139, v135, v136
	ds_read_b128 v[135:138], v90 offset:608
	v_add_f32_e32 v91, v91, v92
	v_mul_f32_e32 v92, v124, v194
	s_waitcnt vmcnt(26) lgkmcnt(1)
	v_mul_f32_e32 v140, v131, v202
	v_fma_f32 v92, v123, v193, -v92
	v_fmac_f32_e32 v140, v132, v201
	v_add_f32_e32 v91, v91, v92
	v_mul_f32_e32 v92, v126, v196
	v_add_f32_e32 v139, v139, v140
	s_waitcnt vmcnt(24)
	v_mul_f32_e32 v140, v133, v204
	v_fma_f32 v92, v125, v195, -v92
	v_fmac_f32_e32 v140, v134, v203
	v_add_f32_e32 v91, v91, v92
	v_mul_f32_e32 v92, v128, v198
	v_add_f32_e32 v139, v139, v140
	s_waitcnt vmcnt(22) lgkmcnt(0)
	v_mul_f32_e32 v140, v135, v206
	v_fma_f32 v92, v127, v197, -v92
	v_fmac_f32_e32 v140, v136, v205
	v_add_f32_e32 v91, v91, v92
	v_mul_f32_e32 v92, v130, v200
	v_add_f32_e32 v143, v139, v140
	ds_read_b128 v[139:142], v90 offset:624
	v_fma_f32 v92, v129, v199, -v92
	v_add_f32_e32 v91, v91, v92
	v_mul_f32_e32 v92, v132, v202
	s_waitcnt vmcnt(20)
	v_mul_f32_e32 v144, v137, v208
	v_fma_f32 v92, v131, v201, -v92
	v_fmac_f32_e32 v144, v138, v207
	v_add_f32_e32 v91, v91, v92
	v_mul_f32_e32 v92, v134, v204
	v_add_f32_e32 v147, v143, v144
	ds_read_b128 v[143:146], v90 offset:640
	v_fma_f32 v92, v133, v203, -v92
	s_waitcnt vmcnt(18) lgkmcnt(1)
	v_mul_f32_e32 v148, v139, v210
	v_add_f32_e32 v91, v91, v92
	v_mul_f32_e32 v92, v136, v206
	v_fmac_f32_e32 v148, v140, v209
	v_fma_f32 v92, v135, v205, -v92
	v_add_f32_e32 v147, v147, v148
	s_waitcnt vmcnt(16)
	v_mul_f32_e32 v148, v141, v212
	v_add_f32_e32 v91, v91, v92
	v_mul_f32_e32 v92, v138, v208
	v_fmac_f32_e32 v148, v142, v211
	v_fma_f32 v92, v137, v207, -v92
	v_add_f32_e32 v147, v147, v148
	s_waitcnt vmcnt(14) lgkmcnt(0)
	v_mul_f32_e32 v148, v143, v214
	v_add_f32_e32 v91, v91, v92
	v_mul_f32_e32 v92, v140, v210
	v_fmac_f32_e32 v148, v144, v213
	v_fma_f32 v92, v139, v209, -v92
	v_add_f32_e32 v151, v147, v148
	ds_read_b128 v[147:150], v90 offset:656
	v_add_f32_e32 v91, v91, v92
	v_mul_f32_e32 v92, v142, v212
	v_fma_f32 v92, v141, v211, -v92
	v_add_f32_e32 v91, v91, v92
	v_mul_f32_e32 v92, v144, v214
	s_waitcnt vmcnt(12)
	v_mul_f32_e32 v152, v145, v216
	v_fma_f32 v92, v143, v213, -v92
	v_fmac_f32_e32 v152, v146, v215
	v_add_f32_e32 v91, v91, v92
	v_mul_f32_e32 v92, v146, v216
	v_add_f32_e32 v155, v151, v152
	ds_read_b128 v[151:154], v90 offset:672
	s_waitcnt vmcnt(10) lgkmcnt(1)
	v_mul_f32_e32 v156, v147, v218
	v_fma_f32 v92, v145, v215, -v92
	v_fmac_f32_e32 v156, v148, v217
	v_add_f32_e32 v91, v91, v92
	v_mul_f32_e32 v92, v148, v218
	v_add_f32_e32 v155, v155, v156
	s_waitcnt vmcnt(9)
	v_mul_f32_e32 v156, v149, v219
	v_fma_f32 v92, v147, v217, -v92
	s_waitcnt vmcnt(8)
	v_fmac_f32_e32 v156, v150, v220
	v_add_f32_e32 v91, v91, v92
	v_mul_f32_e32 v92, v150, v219
	v_add_f32_e32 v229, v155, v156
	ds_read_b128 v[155:158], v90 offset:688
	v_fma_f32 v92, v149, v220, -v92
	v_add_f32_e32 v91, v91, v92
	s_waitcnt vmcnt(6) lgkmcnt(1)
	v_mul_f32_e32 v92, v152, v222
	v_mul_f32_e32 v230, v151, v222
	v_fma_f32 v92, v151, v221, -v92
	v_fmac_f32_e32 v230, v152, v221
	v_add_f32_e32 v91, v91, v92
	s_waitcnt vmcnt(4)
	v_mul_f32_e32 v92, v154, v224
	v_add_f32_e32 v90, v229, v230
	v_mul_f32_e32 v229, v153, v224
	v_fma_f32 v92, v153, v223, -v92
	v_fmac_f32_e32 v229, v154, v223
	v_add_f32_e32 v91, v91, v92
	s_waitcnt vmcnt(3) lgkmcnt(0)
	v_mul_f32_e32 v92, v156, v225
	v_add_f32_e32 v90, v90, v229
	v_mul_f32_e32 v229, v155, v225
	s_waitcnt vmcnt(2)
	v_fma_f32 v92, v155, v226, -v92
	v_fmac_f32_e32 v229, v156, v226
	v_add_f32_e32 v91, v91, v92
	s_waitcnt vmcnt(0)
	v_mul_f32_e32 v92, v158, v228
	v_add_f32_e32 v90, v90, v229
	v_mul_f32_e32 v229, v157, v228
	v_fma_f32 v92, v157, v227, -v92
	v_fmac_f32_e32 v229, v158, v227
	v_add_f32_e32 v91, v91, v92
	v_add_f32_e32 v90, v90, v229
	v_sub_f32_e32 v91, v179, v91
	v_sub_f32_e32 v90, v180, v90
	buffer_store_dword v91, off, s[0:3], 0 offset:72
	buffer_store_dword v90, off, s[0:3], 0 offset:76
	s_and_saveexec_b64 s[4:5], vcc
	s_cbranch_execz .LBB107_261
; %bb.260:
	buffer_load_dword v90, off, s[0:3], 0 offset:64
	buffer_load_dword v91, off, s[0:3], 0 offset:68
	v_mov_b32_e32 v92, 0
	buffer_store_dword v92, off, s[0:3], 0 offset:64
	buffer_store_dword v92, off, s[0:3], 0 offset:68
	s_waitcnt vmcnt(2)
	ds_write_b64 v89, v[90:91]
.LBB107_261:
	s_or_b64 exec, exec, s[4:5]
	s_waitcnt lgkmcnt(0)
	; wave barrier
	buffer_load_dword v161, off, s[0:3], 0 offset:76
	buffer_load_dword v162, off, s[0:3], 0 offset:84
	;; [unrolled: 1-line block ×56, first 2 shown]
	v_mov_b32_e32 v90, 0
	ds_read2_b64 v[91:94], v90 offset0:53 offset1:54
	ds_read2_b64 v[95:98], v90 offset0:55 offset1:56
	;; [unrolled: 1-line block ×6, first 2 shown]
	buffer_load_dword v217, off, s[0:3], 0 offset:288
	buffer_load_dword v218, off, s[0:3], 0 offset:292
	;; [unrolled: 1-line block ×12, first 2 shown]
	v_cmp_lt_u32_e32 vcc, 7, v0
	s_waitcnt vmcnt(62) lgkmcnt(5)
	v_mul_f32_e32 v115, v91, v161
	v_mul_f32_e32 v116, v93, v162
	s_waitcnt lgkmcnt(4)
	v_mul_f32_e32 v117, v95, v163
	v_mul_f32_e32 v118, v97, v164
	s_waitcnt lgkmcnt(3)
	v_mul_f32_e32 v119, v99, v165
	v_mul_f32_e32 v120, v101, v166
	s_waitcnt vmcnt(61) lgkmcnt(2)
	v_mul_f32_e32 v121, v103, v167
	s_waitcnt vmcnt(60)
	v_mul_f32_e32 v122, v105, v168
	s_waitcnt vmcnt(59) lgkmcnt(1)
	v_mul_f32_e32 v123, v107, v169
	s_waitcnt vmcnt(58)
	v_fmac_f32_e32 v115, v92, v170
	s_waitcnt vmcnt(57)
	v_fmac_f32_e32 v116, v94, v171
	v_add_f32_e32 v115, 0, v115
	s_waitcnt vmcnt(56)
	v_fmac_f32_e32 v117, v96, v172
	v_add_f32_e32 v115, v115, v116
	;; [unrolled: 3-line block ×7, first 2 shown]
	v_add_f32_e32 v115, v115, v122
	s_waitcnt vmcnt(50)
	v_fmac_f32_e32 v123, v108, v178
	s_waitcnt vmcnt(49)
	v_mul_f32_e32 v116, v109, v179
	v_add_f32_e32 v115, v115, v123
	s_waitcnt vmcnt(48)
	v_fmac_f32_e32 v116, v110, v180
	v_add_f32_e32 v115, v115, v116
	s_waitcnt vmcnt(47) lgkmcnt(0)
	v_mul_f32_e32 v116, v111, v181
	s_waitcnt vmcnt(44)
	v_fmac_f32_e32 v116, v112, v184
	v_add_f32_e32 v119, v115, v116
	ds_read2_b64 v[115:118], v90 offset0:65 offset1:66
	buffer_load_dword v229, off, s[0:3], 0 offset:340
	buffer_load_dword v230, off, s[0:3], 0 offset:336
	;; [unrolled: 1-line block ×4, first 2 shown]
	v_mul_f32_e32 v92, v92, v161
	v_fma_f32 v91, v91, v170, -v92
	v_mul_f32_e32 v92, v94, v162
	v_add_f32_e32 v91, 0, v91
	v_fma_f32 v92, v93, v171, -v92
	v_add_f32_e32 v91, v91, v92
	v_mul_f32_e32 v92, v96, v163
	v_fma_f32 v92, v95, v172, -v92
	s_waitcnt vmcnt(46)
	v_mul_f32_e32 v120, v113, v186
	v_add_f32_e32 v91, v91, v92
	v_mul_f32_e32 v92, v98, v164
	v_fmac_f32_e32 v120, v114, v185
	v_fma_f32 v92, v97, v173, -v92
	v_add_f32_e32 v123, v119, v120
	ds_read2_b64 v[119:122], v90 offset0:67 offset1:68
	v_add_f32_e32 v91, v91, v92
	v_mul_f32_e32 v92, v100, v165
	s_waitcnt vmcnt(44) lgkmcnt(1)
	v_mul_f32_e32 v124, v115, v188
	v_fma_f32 v92, v99, v174, -v92
	v_fmac_f32_e32 v124, v116, v187
	v_add_f32_e32 v91, v91, v92
	v_mul_f32_e32 v92, v102, v166
	v_add_f32_e32 v123, v123, v124
	s_waitcnt vmcnt(42)
	v_mul_f32_e32 v124, v117, v190
	v_fma_f32 v92, v101, v175, -v92
	v_fmac_f32_e32 v124, v118, v189
	v_add_f32_e32 v91, v91, v92
	v_mul_f32_e32 v92, v104, v167
	v_add_f32_e32 v123, v123, v124
	s_waitcnt vmcnt(40) lgkmcnt(0)
	v_mul_f32_e32 v124, v119, v192
	v_fma_f32 v92, v103, v176, -v92
	v_fmac_f32_e32 v124, v120, v191
	v_add_f32_e32 v91, v91, v92
	v_mul_f32_e32 v92, v106, v168
	v_add_f32_e32 v127, v123, v124
	ds_read2_b64 v[123:126], v90 offset0:69 offset1:70
	v_fma_f32 v92, v105, v177, -v92
	v_add_f32_e32 v91, v91, v92
	v_mul_f32_e32 v92, v108, v169
	s_waitcnt vmcnt(38)
	v_mul_f32_e32 v128, v121, v194
	v_fma_f32 v92, v107, v178, -v92
	v_fmac_f32_e32 v128, v122, v193
	v_add_f32_e32 v91, v91, v92
	v_mul_f32_e32 v92, v110, v179
	v_add_f32_e32 v131, v127, v128
	ds_read2_b64 v[127:130], v90 offset0:71 offset1:72
	v_fma_f32 v92, v109, v180, -v92
	s_waitcnt vmcnt(36) lgkmcnt(1)
	v_mul_f32_e32 v132, v123, v196
	v_add_f32_e32 v91, v91, v92
	v_mul_f32_e32 v92, v112, v181
	v_fmac_f32_e32 v132, v124, v195
	v_fma_f32 v92, v111, v184, -v92
	v_add_f32_e32 v131, v131, v132
	s_waitcnt vmcnt(34)
	v_mul_f32_e32 v132, v125, v198
	v_add_f32_e32 v91, v91, v92
	v_mul_f32_e32 v92, v114, v186
	v_fmac_f32_e32 v132, v126, v197
	v_fma_f32 v92, v113, v185, -v92
	v_add_f32_e32 v131, v131, v132
	s_waitcnt vmcnt(32) lgkmcnt(0)
	v_mul_f32_e32 v132, v127, v200
	v_add_f32_e32 v91, v91, v92
	v_mul_f32_e32 v92, v116, v188
	v_fmac_f32_e32 v132, v128, v199
	v_fma_f32 v92, v115, v187, -v92
	v_add_f32_e32 v135, v131, v132
	ds_read2_b64 v[131:134], v90 offset0:73 offset1:74
	v_add_f32_e32 v91, v91, v92
	v_mul_f32_e32 v92, v118, v190
	v_fma_f32 v92, v117, v189, -v92
	s_waitcnt vmcnt(30)
	v_mul_f32_e32 v136, v129, v202
	v_add_f32_e32 v91, v91, v92
	v_mul_f32_e32 v92, v120, v192
	v_fmac_f32_e32 v136, v130, v201
	v_fma_f32 v92, v119, v191, -v92
	v_add_f32_e32 v139, v135, v136
	ds_read2_b64 v[135:138], v90 offset0:75 offset1:76
	v_add_f32_e32 v91, v91, v92
	v_mul_f32_e32 v92, v122, v194
	s_waitcnt vmcnt(28) lgkmcnt(1)
	v_mul_f32_e32 v140, v131, v204
	v_fma_f32 v92, v121, v193, -v92
	v_fmac_f32_e32 v140, v132, v203
	v_add_f32_e32 v91, v91, v92
	v_mul_f32_e32 v92, v124, v196
	v_add_f32_e32 v139, v139, v140
	s_waitcnt vmcnt(26)
	v_mul_f32_e32 v140, v133, v206
	v_fma_f32 v92, v123, v195, -v92
	v_fmac_f32_e32 v140, v134, v205
	v_add_f32_e32 v91, v91, v92
	v_mul_f32_e32 v92, v126, v198
	v_add_f32_e32 v139, v139, v140
	s_waitcnt vmcnt(24) lgkmcnt(0)
	v_mul_f32_e32 v140, v135, v208
	v_fma_f32 v92, v125, v197, -v92
	v_fmac_f32_e32 v140, v136, v207
	v_add_f32_e32 v91, v91, v92
	v_mul_f32_e32 v92, v128, v200
	v_add_f32_e32 v143, v139, v140
	ds_read2_b64 v[139:142], v90 offset0:77 offset1:78
	v_fma_f32 v92, v127, v199, -v92
	v_add_f32_e32 v91, v91, v92
	v_mul_f32_e32 v92, v130, v202
	s_waitcnt vmcnt(22)
	v_mul_f32_e32 v144, v137, v210
	v_fma_f32 v92, v129, v201, -v92
	v_fmac_f32_e32 v144, v138, v209
	v_add_f32_e32 v91, v91, v92
	v_mul_f32_e32 v92, v132, v204
	v_add_f32_e32 v147, v143, v144
	ds_read2_b64 v[143:146], v90 offset0:79 offset1:80
	v_fma_f32 v92, v131, v203, -v92
	s_waitcnt vmcnt(20) lgkmcnt(1)
	v_mul_f32_e32 v148, v139, v212
	v_add_f32_e32 v91, v91, v92
	v_mul_f32_e32 v92, v134, v206
	v_fmac_f32_e32 v148, v140, v211
	v_fma_f32 v92, v133, v205, -v92
	v_add_f32_e32 v147, v147, v148
	s_waitcnt vmcnt(18)
	v_mul_f32_e32 v148, v141, v214
	v_add_f32_e32 v91, v91, v92
	v_mul_f32_e32 v92, v136, v208
	v_fmac_f32_e32 v148, v142, v213
	v_fma_f32 v92, v135, v207, -v92
	v_add_f32_e32 v147, v147, v148
	s_waitcnt vmcnt(16) lgkmcnt(0)
	v_mul_f32_e32 v148, v143, v216
	v_add_f32_e32 v91, v91, v92
	v_mul_f32_e32 v92, v138, v210
	v_fmac_f32_e32 v148, v144, v215
	v_fma_f32 v92, v137, v209, -v92
	v_add_f32_e32 v151, v147, v148
	ds_read2_b64 v[147:150], v90 offset0:81 offset1:82
	v_add_f32_e32 v91, v91, v92
	v_mul_f32_e32 v92, v140, v212
	v_fma_f32 v92, v139, v211, -v92
	s_waitcnt vmcnt(14)
	v_mul_f32_e32 v152, v145, v218
	v_add_f32_e32 v91, v91, v92
	v_mul_f32_e32 v92, v142, v214
	v_fmac_f32_e32 v152, v146, v217
	v_fma_f32 v92, v141, v213, -v92
	v_add_f32_e32 v155, v151, v152
	ds_read2_b64 v[151:154], v90 offset0:83 offset1:84
	v_add_f32_e32 v91, v91, v92
	v_mul_f32_e32 v92, v144, v216
	s_waitcnt vmcnt(12) lgkmcnt(1)
	v_mul_f32_e32 v156, v147, v220
	v_fma_f32 v92, v143, v215, -v92
	v_fmac_f32_e32 v156, v148, v219
	v_add_f32_e32 v91, v91, v92
	v_mul_f32_e32 v92, v146, v218
	v_add_f32_e32 v155, v155, v156
	s_waitcnt vmcnt(11)
	v_mul_f32_e32 v156, v149, v221
	v_fma_f32 v92, v145, v217, -v92
	s_waitcnt vmcnt(10)
	v_fmac_f32_e32 v156, v150, v222
	v_add_f32_e32 v91, v91, v92
	v_mul_f32_e32 v92, v148, v220
	v_add_f32_e32 v155, v155, v156
	s_waitcnt vmcnt(8) lgkmcnt(0)
	v_mul_f32_e32 v156, v151, v224
	v_fma_f32 v92, v147, v219, -v92
	v_fmac_f32_e32 v156, v152, v223
	v_add_f32_e32 v91, v91, v92
	v_mul_f32_e32 v92, v150, v221
	v_add_f32_e32 v159, v155, v156
	ds_read2_b64 v[155:158], v90 offset0:85 offset1:86
	v_fma_f32 v92, v149, v222, -v92
	v_add_f32_e32 v91, v91, v92
	v_mul_f32_e32 v92, v152, v224
	s_waitcnt vmcnt(6)
	v_mul_f32_e32 v160, v153, v226
	v_fma_f32 v92, v151, v223, -v92
	v_fmac_f32_e32 v160, v154, v225
	v_add_f32_e32 v91, v91, v92
	v_mul_f32_e32 v92, v154, v226
	v_add_f32_e32 v233, v159, v160
	ds_read_b64 v[159:160], v90 offset:696
	v_fma_f32 v92, v153, v225, -v92
	v_add_f32_e32 v91, v91, v92
	s_waitcnt vmcnt(4) lgkmcnt(1)
	v_mul_f32_e32 v92, v156, v228
	v_mul_f32_e32 v234, v155, v228
	v_fma_f32 v92, v155, v227, -v92
	v_fmac_f32_e32 v234, v156, v227
	v_add_f32_e32 v91, v91, v92
	s_waitcnt vmcnt(3)
	v_mul_f32_e32 v92, v158, v229
	v_add_f32_e32 v233, v233, v234
	v_mul_f32_e32 v234, v157, v229
	s_waitcnt vmcnt(2)
	v_fma_f32 v92, v157, v230, -v92
	v_fmac_f32_e32 v234, v158, v230
	v_add_f32_e32 v91, v91, v92
	s_waitcnt vmcnt(0) lgkmcnt(0)
	v_mul_f32_e32 v92, v160, v232
	v_add_f32_e32 v233, v233, v234
	v_mul_f32_e32 v234, v159, v232
	v_fma_f32 v92, v159, v231, -v92
	v_fmac_f32_e32 v234, v160, v231
	v_add_f32_e32 v91, v91, v92
	v_add_f32_e32 v233, v233, v234
	v_sub_f32_e32 v91, v182, v91
	v_sub_f32_e32 v92, v183, v233
	buffer_store_dword v91, off, s[0:3], 0 offset:64
	buffer_store_dword v92, off, s[0:3], 0 offset:68
	s_and_saveexec_b64 s[4:5], vcc
	s_cbranch_execz .LBB107_263
; %bb.262:
	buffer_load_dword v91, off, s[0:3], 0 offset:56
	buffer_load_dword v92, off, s[0:3], 0 offset:60
	s_waitcnt vmcnt(0)
	ds_write_b64 v89, v[91:92]
	buffer_store_dword v90, off, s[0:3], 0 offset:56
	buffer_store_dword v90, off, s[0:3], 0 offset:60
.LBB107_263:
	s_or_b64 exec, exec, s[4:5]
	s_waitcnt lgkmcnt(0)
	; wave barrier
	buffer_load_dword v163, off, s[0:3], 0 offset:68
	buffer_load_dword v164, off, s[0:3], 0 offset:76
	buffer_load_dword v165, off, s[0:3], 0 offset:84
	buffer_load_dword v166, off, s[0:3], 0 offset:92
	buffer_load_dword v167, off, s[0:3], 0 offset:100
	buffer_load_dword v168, off, s[0:3], 0 offset:108
	buffer_load_dword v169, off, s[0:3], 0 offset:116
	buffer_load_dword v170, off, s[0:3], 0 offset:124
	buffer_load_dword v171, off, s[0:3], 0 offset:132
	buffer_load_dword v172, off, s[0:3], 0 offset:64
	buffer_load_dword v173, off, s[0:3], 0 offset:72
	buffer_load_dword v174, off, s[0:3], 0 offset:80
	buffer_load_dword v175, off, s[0:3], 0 offset:88
	buffer_load_dword v176, off, s[0:3], 0 offset:96
	buffer_load_dword v177, off, s[0:3], 0 offset:104
	buffer_load_dword v178, off, s[0:3], 0 offset:112
	buffer_load_dword v179, off, s[0:3], 0 offset:120
	buffer_load_dword v180, off, s[0:3], 0 offset:128
	buffer_load_dword v181, off, s[0:3], 0 offset:140
	buffer_load_dword v182, off, s[0:3], 0 offset:136
	buffer_load_dword v183, off, s[0:3], 0 offset:148
	buffer_load_dword v184, off, s[0:3], 0 offset:144
	buffer_load_dword v185, off, s[0:3], 0 offset:56
	buffer_load_dword v186, off, s[0:3], 0 offset:60
	buffer_load_dword v187, off, s[0:3], 0 offset:152
	buffer_load_dword v188, off, s[0:3], 0 offset:156
	ds_read_b128 v[91:94], v90 offset:416
	ds_read_b128 v[95:98], v90 offset:432
	;; [unrolled: 1-line block ×6, first 2 shown]
	buffer_load_dword v189, off, s[0:3], 0 offset:160
	buffer_load_dword v190, off, s[0:3], 0 offset:164
	;; [unrolled: 1-line block ×42, first 2 shown]
	v_cmp_lt_u32_e32 vcc, 6, v0
	s_waitcnt vmcnt(62) lgkmcnt(5)
	v_mul_f32_e32 v115, v91, v163
	v_mul_f32_e32 v116, v93, v164
	s_waitcnt lgkmcnt(4)
	v_mul_f32_e32 v117, v95, v165
	v_mul_f32_e32 v118, v97, v166
	s_waitcnt lgkmcnt(3)
	v_mul_f32_e32 v119, v99, v167
	v_mul_f32_e32 v120, v101, v168
	s_waitcnt vmcnt(61) lgkmcnt(2)
	v_mul_f32_e32 v121, v103, v169
	s_waitcnt vmcnt(60)
	v_mul_f32_e32 v122, v105, v170
	s_waitcnt vmcnt(59) lgkmcnt(1)
	v_mul_f32_e32 v123, v107, v171
	s_waitcnt vmcnt(58)
	v_fmac_f32_e32 v115, v92, v172
	s_waitcnt vmcnt(57)
	v_fmac_f32_e32 v116, v94, v173
	v_add_f32_e32 v115, 0, v115
	s_waitcnt vmcnt(56)
	v_fmac_f32_e32 v117, v96, v174
	v_add_f32_e32 v115, v115, v116
	;; [unrolled: 3-line block ×8, first 2 shown]
	s_waitcnt vmcnt(49)
	v_mul_f32_e32 v116, v109, v181
	v_add_f32_e32 v115, v115, v123
	s_waitcnt vmcnt(48)
	v_fmac_f32_e32 v116, v110, v182
	v_add_f32_e32 v115, v115, v116
	s_waitcnt vmcnt(47) lgkmcnt(0)
	v_mul_f32_e32 v116, v111, v183
	s_waitcnt vmcnt(46)
	v_fmac_f32_e32 v116, v112, v184
	v_add_f32_e32 v115, v115, v116
	s_waitcnt vmcnt(42)
	v_mul_f32_e32 v116, v113, v188
	v_fmac_f32_e32 v116, v114, v187
	v_add_f32_e32 v123, v115, v116
	ds_read_b128 v[115:118], v90 offset:512
	buffer_load_dword v231, off, s[0:3], 0 offset:332
	buffer_load_dword v232, off, s[0:3], 0 offset:328
	;; [unrolled: 1-line block ×4, first 2 shown]
	ds_read_b128 v[119:122], v90 offset:528
	buffer_load_dword v235, off, s[0:3], 0 offset:344
	buffer_load_dword v236, off, s[0:3], 0 offset:348
	v_mul_f32_e32 v92, v92, v163
	v_fma_f32 v91, v91, v172, -v92
	v_mul_f32_e32 v92, v94, v164
	v_add_f32_e32 v91, 0, v91
	v_fma_f32 v92, v93, v173, -v92
	v_add_f32_e32 v91, v91, v92
	v_mul_f32_e32 v92, v96, v165
	v_fma_f32 v92, v95, v174, -v92
	v_add_f32_e32 v91, v91, v92
	v_mul_f32_e32 v92, v98, v166
	;; [unrolled: 3-line block ×3, first 2 shown]
	s_waitcnt vmcnt(46) lgkmcnt(1)
	v_mul_f32_e32 v124, v115, v190
	v_fma_f32 v92, v99, v176, -v92
	v_fmac_f32_e32 v124, v116, v189
	v_add_f32_e32 v91, v91, v92
	v_mul_f32_e32 v92, v102, v168
	v_add_f32_e32 v123, v123, v124
	s_waitcnt vmcnt(44)
	v_mul_f32_e32 v124, v117, v192
	v_fma_f32 v92, v101, v177, -v92
	v_fmac_f32_e32 v124, v118, v191
	v_add_f32_e32 v91, v91, v92
	v_mul_f32_e32 v92, v104, v169
	v_add_f32_e32 v123, v123, v124
	s_waitcnt vmcnt(42) lgkmcnt(0)
	v_mul_f32_e32 v124, v119, v194
	v_fma_f32 v92, v103, v178, -v92
	v_fmac_f32_e32 v124, v120, v193
	v_add_f32_e32 v91, v91, v92
	v_mul_f32_e32 v92, v106, v170
	v_add_f32_e32 v127, v123, v124
	ds_read_b128 v[123:126], v90 offset:544
	v_fma_f32 v92, v105, v179, -v92
	v_add_f32_e32 v91, v91, v92
	v_mul_f32_e32 v92, v108, v171
	s_waitcnt vmcnt(40)
	v_mul_f32_e32 v128, v121, v196
	v_fma_f32 v92, v107, v180, -v92
	v_fmac_f32_e32 v128, v122, v195
	v_add_f32_e32 v91, v91, v92
	v_mul_f32_e32 v92, v110, v181
	v_add_f32_e32 v131, v127, v128
	ds_read_b128 v[127:130], v90 offset:560
	v_fma_f32 v92, v109, v182, -v92
	s_waitcnt vmcnt(38) lgkmcnt(1)
	v_mul_f32_e32 v132, v123, v198
	v_add_f32_e32 v91, v91, v92
	v_mul_f32_e32 v92, v112, v183
	v_fmac_f32_e32 v132, v124, v197
	v_fma_f32 v92, v111, v184, -v92
	v_add_f32_e32 v131, v131, v132
	s_waitcnt vmcnt(36)
	v_mul_f32_e32 v132, v125, v200
	v_add_f32_e32 v91, v91, v92
	v_mul_f32_e32 v92, v114, v188
	v_fmac_f32_e32 v132, v126, v199
	v_fma_f32 v92, v113, v187, -v92
	v_add_f32_e32 v131, v131, v132
	s_waitcnt vmcnt(34) lgkmcnt(0)
	v_mul_f32_e32 v132, v127, v202
	v_add_f32_e32 v91, v91, v92
	v_mul_f32_e32 v92, v116, v190
	v_fmac_f32_e32 v132, v128, v201
	v_fma_f32 v92, v115, v189, -v92
	v_add_f32_e32 v135, v131, v132
	ds_read_b128 v[131:134], v90 offset:576
	v_add_f32_e32 v91, v91, v92
	v_mul_f32_e32 v92, v118, v192
	v_fma_f32 v92, v117, v191, -v92
	s_waitcnt vmcnt(32)
	v_mul_f32_e32 v136, v129, v204
	v_add_f32_e32 v91, v91, v92
	v_mul_f32_e32 v92, v120, v194
	v_fmac_f32_e32 v136, v130, v203
	v_fma_f32 v92, v119, v193, -v92
	v_add_f32_e32 v139, v135, v136
	ds_read_b128 v[135:138], v90 offset:592
	v_add_f32_e32 v91, v91, v92
	v_mul_f32_e32 v92, v122, v196
	s_waitcnt vmcnt(30) lgkmcnt(1)
	v_mul_f32_e32 v140, v131, v206
	v_fma_f32 v92, v121, v195, -v92
	v_fmac_f32_e32 v140, v132, v205
	v_add_f32_e32 v91, v91, v92
	v_mul_f32_e32 v92, v124, v198
	v_add_f32_e32 v139, v139, v140
	s_waitcnt vmcnt(28)
	v_mul_f32_e32 v140, v133, v208
	v_fma_f32 v92, v123, v197, -v92
	v_fmac_f32_e32 v140, v134, v207
	v_add_f32_e32 v91, v91, v92
	v_mul_f32_e32 v92, v126, v200
	v_add_f32_e32 v139, v139, v140
	s_waitcnt vmcnt(26) lgkmcnt(0)
	v_mul_f32_e32 v140, v135, v210
	v_fma_f32 v92, v125, v199, -v92
	v_fmac_f32_e32 v140, v136, v209
	v_add_f32_e32 v91, v91, v92
	v_mul_f32_e32 v92, v128, v202
	v_add_f32_e32 v143, v139, v140
	ds_read_b128 v[139:142], v90 offset:608
	v_fma_f32 v92, v127, v201, -v92
	v_add_f32_e32 v91, v91, v92
	v_mul_f32_e32 v92, v130, v204
	s_waitcnt vmcnt(24)
	v_mul_f32_e32 v144, v137, v212
	v_fma_f32 v92, v129, v203, -v92
	v_fmac_f32_e32 v144, v138, v211
	v_add_f32_e32 v91, v91, v92
	v_mul_f32_e32 v92, v132, v206
	v_add_f32_e32 v147, v143, v144
	ds_read_b128 v[143:146], v90 offset:624
	v_fma_f32 v92, v131, v205, -v92
	s_waitcnt vmcnt(22) lgkmcnt(1)
	v_mul_f32_e32 v148, v139, v214
	v_add_f32_e32 v91, v91, v92
	v_mul_f32_e32 v92, v134, v208
	v_fmac_f32_e32 v148, v140, v213
	v_fma_f32 v92, v133, v207, -v92
	v_add_f32_e32 v147, v147, v148
	s_waitcnt vmcnt(20)
	v_mul_f32_e32 v148, v141, v216
	v_add_f32_e32 v91, v91, v92
	v_mul_f32_e32 v92, v136, v210
	v_fmac_f32_e32 v148, v142, v215
	v_fma_f32 v92, v135, v209, -v92
	v_add_f32_e32 v147, v147, v148
	s_waitcnt vmcnt(18) lgkmcnt(0)
	v_mul_f32_e32 v148, v143, v218
	v_add_f32_e32 v91, v91, v92
	v_mul_f32_e32 v92, v138, v212
	v_fmac_f32_e32 v148, v144, v217
	v_fma_f32 v92, v137, v211, -v92
	v_add_f32_e32 v151, v147, v148
	ds_read_b128 v[147:150], v90 offset:640
	v_add_f32_e32 v91, v91, v92
	v_mul_f32_e32 v92, v140, v214
	v_fma_f32 v92, v139, v213, -v92
	s_waitcnt vmcnt(16)
	v_mul_f32_e32 v152, v145, v220
	v_add_f32_e32 v91, v91, v92
	v_mul_f32_e32 v92, v142, v216
	v_fmac_f32_e32 v152, v146, v219
	v_fma_f32 v92, v141, v215, -v92
	v_add_f32_e32 v155, v151, v152
	ds_read_b128 v[151:154], v90 offset:656
	v_add_f32_e32 v91, v91, v92
	v_mul_f32_e32 v92, v144, v218
	s_waitcnt vmcnt(14) lgkmcnt(1)
	v_mul_f32_e32 v156, v147, v222
	v_fma_f32 v92, v143, v217, -v92
	v_fmac_f32_e32 v156, v148, v221
	v_add_f32_e32 v91, v91, v92
	v_mul_f32_e32 v92, v146, v220
	v_add_f32_e32 v155, v155, v156
	s_waitcnt vmcnt(13)
	v_mul_f32_e32 v156, v149, v223
	v_fma_f32 v92, v145, v219, -v92
	s_waitcnt vmcnt(12)
	v_fmac_f32_e32 v156, v150, v224
	v_add_f32_e32 v91, v91, v92
	v_mul_f32_e32 v92, v148, v222
	v_add_f32_e32 v155, v155, v156
	s_waitcnt vmcnt(10) lgkmcnt(0)
	v_mul_f32_e32 v156, v151, v226
	v_fma_f32 v92, v147, v221, -v92
	v_fmac_f32_e32 v156, v152, v225
	v_add_f32_e32 v91, v91, v92
	v_mul_f32_e32 v92, v150, v223
	v_add_f32_e32 v159, v155, v156
	ds_read_b128 v[155:158], v90 offset:672
	v_fma_f32 v92, v149, v224, -v92
	v_add_f32_e32 v91, v91, v92
	v_mul_f32_e32 v92, v152, v226
	s_waitcnt vmcnt(8)
	v_mul_f32_e32 v160, v153, v228
	v_fma_f32 v92, v151, v225, -v92
	v_fmac_f32_e32 v160, v154, v227
	v_add_f32_e32 v91, v91, v92
	v_mul_f32_e32 v92, v154, v228
	v_add_f32_e32 v237, v159, v160
	ds_read_b128 v[159:162], v90 offset:688
	v_fma_f32 v92, v153, v227, -v92
	v_add_f32_e32 v91, v91, v92
	s_waitcnt vmcnt(6) lgkmcnt(1)
	v_mul_f32_e32 v92, v156, v230
	v_mul_f32_e32 v90, v155, v230
	v_fma_f32 v92, v155, v229, -v92
	v_fmac_f32_e32 v90, v156, v229
	v_add_f32_e32 v91, v91, v92
	s_waitcnt vmcnt(5)
	v_mul_f32_e32 v92, v158, v231
	v_add_f32_e32 v90, v237, v90
	v_mul_f32_e32 v237, v157, v231
	s_waitcnt vmcnt(4)
	v_fma_f32 v92, v157, v232, -v92
	v_fmac_f32_e32 v237, v158, v232
	v_add_f32_e32 v91, v91, v92
	s_waitcnt vmcnt(2) lgkmcnt(0)
	v_mul_f32_e32 v92, v160, v234
	v_add_f32_e32 v90, v90, v237
	v_mul_f32_e32 v237, v159, v234
	v_fma_f32 v92, v159, v233, -v92
	v_fmac_f32_e32 v237, v160, v233
	v_add_f32_e32 v91, v91, v92
	s_waitcnt vmcnt(0)
	v_mul_f32_e32 v92, v162, v236
	v_add_f32_e32 v90, v90, v237
	v_mul_f32_e32 v237, v161, v236
	v_fma_f32 v92, v161, v235, -v92
	v_fmac_f32_e32 v237, v162, v235
	v_add_f32_e32 v91, v91, v92
	v_add_f32_e32 v90, v90, v237
	v_sub_f32_e32 v91, v185, v91
	v_sub_f32_e32 v90, v186, v90
	buffer_store_dword v91, off, s[0:3], 0 offset:56
	buffer_store_dword v90, off, s[0:3], 0 offset:60
	s_and_saveexec_b64 s[4:5], vcc
	s_cbranch_execz .LBB107_265
; %bb.264:
	buffer_load_dword v90, off, s[0:3], 0 offset:48
	buffer_load_dword v91, off, s[0:3], 0 offset:52
	v_mov_b32_e32 v92, 0
	buffer_store_dword v92, off, s[0:3], 0 offset:48
	buffer_store_dword v92, off, s[0:3], 0 offset:52
	s_waitcnt vmcnt(2)
	ds_write_b64 v89, v[90:91]
.LBB107_265:
	s_or_b64 exec, exec, s[4:5]
	s_waitcnt lgkmcnt(0)
	; wave barrier
	buffer_load_dword v165, off, s[0:3], 0 offset:60
	buffer_load_dword v166, off, s[0:3], 0 offset:68
	buffer_load_dword v167, off, s[0:3], 0 offset:76
	buffer_load_dword v168, off, s[0:3], 0 offset:84
	buffer_load_dword v169, off, s[0:3], 0 offset:92
	buffer_load_dword v170, off, s[0:3], 0 offset:100
	buffer_load_dword v171, off, s[0:3], 0 offset:108
	buffer_load_dword v172, off, s[0:3], 0 offset:116
	buffer_load_dword v173, off, s[0:3], 0 offset:124
	buffer_load_dword v174, off, s[0:3], 0 offset:56
	buffer_load_dword v175, off, s[0:3], 0 offset:64
	buffer_load_dword v176, off, s[0:3], 0 offset:72
	buffer_load_dword v177, off, s[0:3], 0 offset:80
	buffer_load_dword v178, off, s[0:3], 0 offset:88
	buffer_load_dword v179, off, s[0:3], 0 offset:96
	buffer_load_dword v180, off, s[0:3], 0 offset:104
	buffer_load_dword v181, off, s[0:3], 0 offset:112
	buffer_load_dword v182, off, s[0:3], 0 offset:120
	buffer_load_dword v183, off, s[0:3], 0 offset:132
	buffer_load_dword v184, off, s[0:3], 0 offset:128
	buffer_load_dword v185, off, s[0:3], 0 offset:140
	buffer_load_dword v186, off, s[0:3], 0 offset:136
	buffer_load_dword v187, off, s[0:3], 0 offset:48
	buffer_load_dword v188, off, s[0:3], 0 offset:52
	buffer_load_dword v189, off, s[0:3], 0 offset:148
	buffer_load_dword v190, off, s[0:3], 0 offset:144
	buffer_load_dword v191, off, s[0:3], 0 offset:152
	buffer_load_dword v192, off, s[0:3], 0 offset:156
	buffer_load_dword v193, off, s[0:3], 0 offset:160
	buffer_load_dword v194, off, s[0:3], 0 offset:164
	buffer_load_dword v195, off, s[0:3], 0 offset:168
	buffer_load_dword v196, off, s[0:3], 0 offset:172
	buffer_load_dword v197, off, s[0:3], 0 offset:176
	buffer_load_dword v198, off, s[0:3], 0 offset:180
	buffer_load_dword v199, off, s[0:3], 0 offset:184
	buffer_load_dword v200, off, s[0:3], 0 offset:188
	buffer_load_dword v201, off, s[0:3], 0 offset:192
	buffer_load_dword v202, off, s[0:3], 0 offset:196
	buffer_load_dword v203, off, s[0:3], 0 offset:200
	buffer_load_dword v204, off, s[0:3], 0 offset:204
	buffer_load_dword v205, off, s[0:3], 0 offset:208
	buffer_load_dword v206, off, s[0:3], 0 offset:212
	buffer_load_dword v207, off, s[0:3], 0 offset:216
	buffer_load_dword v208, off, s[0:3], 0 offset:220
	buffer_load_dword v209, off, s[0:3], 0 offset:224
	buffer_load_dword v210, off, s[0:3], 0 offset:228
	buffer_load_dword v211, off, s[0:3], 0 offset:232
	buffer_load_dword v212, off, s[0:3], 0 offset:236
	buffer_load_dword v213, off, s[0:3], 0 offset:240
	buffer_load_dword v214, off, s[0:3], 0 offset:244
	buffer_load_dword v215, off, s[0:3], 0 offset:248
	buffer_load_dword v216, off, s[0:3], 0 offset:252
	v_mov_b32_e32 v90, 0
	ds_read2_b64 v[91:94], v90 offset0:51 offset1:52
	ds_read2_b64 v[95:98], v90 offset0:53 offset1:54
	ds_read2_b64 v[99:102], v90 offset0:55 offset1:56
	ds_read2_b64 v[103:106], v90 offset0:57 offset1:58
	ds_read2_b64 v[107:110], v90 offset0:59 offset1:60
	ds_read2_b64 v[111:114], v90 offset0:61 offset1:62
	buffer_load_dword v217, off, s[0:3], 0 offset:260
	buffer_load_dword v218, off, s[0:3], 0 offset:256
	buffer_load_dword v219, off, s[0:3], 0 offset:264
	buffer_load_dword v220, off, s[0:3], 0 offset:268
	buffer_load_dword v221, off, s[0:3], 0 offset:272
	buffer_load_dword v222, off, s[0:3], 0 offset:276
	buffer_load_dword v223, off, s[0:3], 0 offset:280
	buffer_load_dword v224, off, s[0:3], 0 offset:284
	buffer_load_dword v225, off, s[0:3], 0 offset:292
	buffer_load_dword v226, off, s[0:3], 0 offset:288
	buffer_load_dword v227, off, s[0:3], 0 offset:296
	buffer_load_dword v228, off, s[0:3], 0 offset:300
	buffer_load_dword v229, off, s[0:3], 0 offset:304
	buffer_load_dword v230, off, s[0:3], 0 offset:308
	v_cmp_lt_u32_e32 vcc, 5, v0
	s_waitcnt vmcnt(62) lgkmcnt(5)
	v_mul_f32_e32 v115, v91, v165
	v_mul_f32_e32 v116, v93, v166
	s_waitcnt lgkmcnt(4)
	v_mul_f32_e32 v117, v95, v167
	v_mul_f32_e32 v118, v97, v168
	s_waitcnt vmcnt(61) lgkmcnt(3)
	v_mul_f32_e32 v119, v99, v169
	s_waitcnt vmcnt(60)
	v_mul_f32_e32 v120, v101, v170
	s_waitcnt vmcnt(59) lgkmcnt(2)
	v_mul_f32_e32 v121, v103, v171
	s_waitcnt vmcnt(58)
	;; [unrolled: 4-line block ×3, first 2 shown]
	v_fmac_f32_e32 v115, v92, v174
	s_waitcnt vmcnt(55)
	v_fmac_f32_e32 v116, v94, v175
	v_add_f32_e32 v115, 0, v115
	s_waitcnt vmcnt(54)
	v_fmac_f32_e32 v117, v96, v176
	v_add_f32_e32 v115, v115, v116
	;; [unrolled: 3-line block ×8, first 2 shown]
	s_waitcnt vmcnt(47)
	v_mul_f32_e32 v116, v109, v183
	v_add_f32_e32 v115, v115, v123
	s_waitcnt vmcnt(46)
	v_fmac_f32_e32 v116, v110, v184
	v_add_f32_e32 v115, v115, v116
	s_waitcnt vmcnt(45) lgkmcnt(0)
	v_mul_f32_e32 v116, v111, v185
	s_waitcnt vmcnt(44)
	v_fmac_f32_e32 v116, v112, v186
	v_add_f32_e32 v119, v115, v116
	ds_read2_b64 v[115:118], v90 offset0:63 offset1:64
	buffer_load_dword v231, off, s[0:3], 0 offset:312
	buffer_load_dword v232, off, s[0:3], 0 offset:316
	s_waitcnt vmcnt(43)
	v_mul_f32_e32 v120, v113, v189
	s_waitcnt vmcnt(42)
	v_fmac_f32_e32 v120, v114, v190
	v_add_f32_e32 v123, v119, v120
	ds_read2_b64 v[119:122], v90 offset0:65 offset1:66
	buffer_load_dword v233, off, s[0:3], 0 offset:324
	buffer_load_dword v234, off, s[0:3], 0 offset:320
	buffer_load_dword v235, off, s[0:3], 0 offset:328
	buffer_load_dword v236, off, s[0:3], 0 offset:332
	buffer_load_dword v237, off, s[0:3], 0 offset:340
	buffer_load_dword v238, off, s[0:3], 0 offset:336
	buffer_load_dword v239, off, s[0:3], 0 offset:344
	buffer_load_dword v240, off, s[0:3], 0 offset:348
	v_mul_f32_e32 v92, v92, v165
	v_fma_f32 v91, v91, v174, -v92
	v_mul_f32_e32 v92, v94, v166
	v_add_f32_e32 v91, 0, v91
	v_fma_f32 v92, v93, v175, -v92
	v_add_f32_e32 v91, v91, v92
	v_mul_f32_e32 v92, v96, v167
	v_fma_f32 v92, v95, v176, -v92
	v_add_f32_e32 v91, v91, v92
	v_mul_f32_e32 v92, v98, v168
	v_fma_f32 v92, v97, v177, -v92
	s_waitcnt vmcnt(48) lgkmcnt(1)
	v_mul_f32_e32 v124, v115, v192
	v_add_f32_e32 v91, v91, v92
	v_mul_f32_e32 v92, v100, v169
	v_fmac_f32_e32 v124, v116, v191
	v_fma_f32 v92, v99, v178, -v92
	v_add_f32_e32 v123, v123, v124
	s_waitcnt vmcnt(46)
	v_mul_f32_e32 v124, v117, v194
	v_add_f32_e32 v91, v91, v92
	v_mul_f32_e32 v92, v102, v170
	v_fmac_f32_e32 v124, v118, v193
	v_fma_f32 v92, v101, v179, -v92
	v_add_f32_e32 v123, v123, v124
	s_waitcnt vmcnt(44) lgkmcnt(0)
	v_mul_f32_e32 v124, v119, v196
	v_add_f32_e32 v91, v91, v92
	v_mul_f32_e32 v92, v104, v171
	v_fmac_f32_e32 v124, v120, v195
	v_fma_f32 v92, v103, v180, -v92
	v_add_f32_e32 v127, v123, v124
	ds_read2_b64 v[123:126], v90 offset0:67 offset1:68
	v_add_f32_e32 v91, v91, v92
	v_mul_f32_e32 v92, v106, v172
	v_fma_f32 v92, v105, v181, -v92
	s_waitcnt vmcnt(42)
	v_mul_f32_e32 v128, v121, v198
	v_add_f32_e32 v91, v91, v92
	v_mul_f32_e32 v92, v108, v173
	v_fmac_f32_e32 v128, v122, v197
	v_fma_f32 v92, v107, v182, -v92
	v_add_f32_e32 v131, v127, v128
	ds_read2_b64 v[127:130], v90 offset0:69 offset1:70
	v_add_f32_e32 v91, v91, v92
	v_mul_f32_e32 v92, v110, v183
	s_waitcnt vmcnt(40) lgkmcnt(1)
	v_mul_f32_e32 v132, v123, v200
	v_fma_f32 v92, v109, v184, -v92
	v_fmac_f32_e32 v132, v124, v199
	v_add_f32_e32 v91, v91, v92
	v_mul_f32_e32 v92, v112, v185
	v_add_f32_e32 v131, v131, v132
	s_waitcnt vmcnt(38)
	v_mul_f32_e32 v132, v125, v202
	v_fma_f32 v92, v111, v186, -v92
	v_fmac_f32_e32 v132, v126, v201
	v_add_f32_e32 v91, v91, v92
	v_mul_f32_e32 v92, v114, v189
	v_add_f32_e32 v131, v131, v132
	s_waitcnt vmcnt(36) lgkmcnt(0)
	v_mul_f32_e32 v132, v127, v204
	v_fma_f32 v92, v113, v190, -v92
	v_fmac_f32_e32 v132, v128, v203
	v_add_f32_e32 v91, v91, v92
	v_mul_f32_e32 v92, v116, v192
	v_add_f32_e32 v135, v131, v132
	ds_read2_b64 v[131:134], v90 offset0:71 offset1:72
	v_fma_f32 v92, v115, v191, -v92
	v_add_f32_e32 v91, v91, v92
	v_mul_f32_e32 v92, v118, v194
	s_waitcnt vmcnt(34)
	v_mul_f32_e32 v136, v129, v206
	v_fma_f32 v92, v117, v193, -v92
	v_fmac_f32_e32 v136, v130, v205
	v_add_f32_e32 v91, v91, v92
	v_mul_f32_e32 v92, v120, v196
	v_add_f32_e32 v139, v135, v136
	ds_read2_b64 v[135:138], v90 offset0:73 offset1:74
	v_fma_f32 v92, v119, v195, -v92
	s_waitcnt vmcnt(32) lgkmcnt(1)
	v_mul_f32_e32 v140, v131, v208
	v_add_f32_e32 v91, v91, v92
	v_mul_f32_e32 v92, v122, v198
	v_fmac_f32_e32 v140, v132, v207
	v_fma_f32 v92, v121, v197, -v92
	v_add_f32_e32 v139, v139, v140
	s_waitcnt vmcnt(30)
	v_mul_f32_e32 v140, v133, v210
	v_add_f32_e32 v91, v91, v92
	v_mul_f32_e32 v92, v124, v200
	v_fmac_f32_e32 v140, v134, v209
	v_fma_f32 v92, v123, v199, -v92
	v_add_f32_e32 v139, v139, v140
	s_waitcnt vmcnt(28) lgkmcnt(0)
	v_mul_f32_e32 v140, v135, v212
	v_add_f32_e32 v91, v91, v92
	v_mul_f32_e32 v92, v126, v202
	v_fmac_f32_e32 v140, v136, v211
	v_fma_f32 v92, v125, v201, -v92
	v_add_f32_e32 v143, v139, v140
	ds_read2_b64 v[139:142], v90 offset0:75 offset1:76
	v_add_f32_e32 v91, v91, v92
	v_mul_f32_e32 v92, v128, v204
	v_fma_f32 v92, v127, v203, -v92
	s_waitcnt vmcnt(26)
	v_mul_f32_e32 v144, v137, v214
	v_add_f32_e32 v91, v91, v92
	v_mul_f32_e32 v92, v130, v206
	v_fmac_f32_e32 v144, v138, v213
	v_fma_f32 v92, v129, v205, -v92
	v_add_f32_e32 v147, v143, v144
	ds_read2_b64 v[143:146], v90 offset0:77 offset1:78
	v_add_f32_e32 v91, v91, v92
	v_mul_f32_e32 v92, v132, v208
	s_waitcnt vmcnt(24) lgkmcnt(1)
	v_mul_f32_e32 v148, v139, v216
	v_fma_f32 v92, v131, v207, -v92
	v_fmac_f32_e32 v148, v140, v215
	v_add_f32_e32 v91, v91, v92
	v_mul_f32_e32 v92, v134, v210
	v_add_f32_e32 v147, v147, v148
	s_waitcnt vmcnt(23)
	v_mul_f32_e32 v148, v141, v217
	v_fma_f32 v92, v133, v209, -v92
	s_waitcnt vmcnt(22)
	v_fmac_f32_e32 v148, v142, v218
	v_add_f32_e32 v91, v91, v92
	v_mul_f32_e32 v92, v136, v212
	v_add_f32_e32 v147, v147, v148
	s_waitcnt vmcnt(20) lgkmcnt(0)
	v_mul_f32_e32 v148, v143, v220
	v_fma_f32 v92, v135, v211, -v92
	v_fmac_f32_e32 v148, v144, v219
	v_add_f32_e32 v91, v91, v92
	v_mul_f32_e32 v92, v138, v214
	v_add_f32_e32 v151, v147, v148
	ds_read2_b64 v[147:150], v90 offset0:79 offset1:80
	v_fma_f32 v92, v137, v213, -v92
	v_add_f32_e32 v91, v91, v92
	v_mul_f32_e32 v92, v140, v216
	s_waitcnt vmcnt(18)
	v_mul_f32_e32 v152, v145, v222
	v_fma_f32 v92, v139, v215, -v92
	v_fmac_f32_e32 v152, v146, v221
	v_add_f32_e32 v91, v91, v92
	v_mul_f32_e32 v92, v142, v217
	v_add_f32_e32 v155, v151, v152
	ds_read2_b64 v[151:154], v90 offset0:81 offset1:82
	v_fma_f32 v92, v141, v218, -v92
	s_waitcnt vmcnt(16) lgkmcnt(1)
	v_mul_f32_e32 v156, v147, v224
	v_add_f32_e32 v91, v91, v92
	v_mul_f32_e32 v92, v144, v220
	v_fmac_f32_e32 v156, v148, v223
	v_fma_f32 v92, v143, v219, -v92
	v_add_f32_e32 v155, v155, v156
	s_waitcnt vmcnt(15)
	v_mul_f32_e32 v156, v149, v225
	v_add_f32_e32 v91, v91, v92
	v_mul_f32_e32 v92, v146, v222
	s_waitcnt vmcnt(14)
	v_fmac_f32_e32 v156, v150, v226
	v_fma_f32 v92, v145, v221, -v92
	v_add_f32_e32 v155, v155, v156
	s_waitcnt vmcnt(12) lgkmcnt(0)
	v_mul_f32_e32 v156, v151, v228
	v_add_f32_e32 v91, v91, v92
	v_mul_f32_e32 v92, v148, v224
	v_fmac_f32_e32 v156, v152, v227
	v_fma_f32 v92, v147, v223, -v92
	v_add_f32_e32 v159, v155, v156
	ds_read2_b64 v[155:158], v90 offset0:83 offset1:84
	v_add_f32_e32 v91, v91, v92
	v_mul_f32_e32 v92, v150, v225
	v_fma_f32 v92, v149, v226, -v92
	v_add_f32_e32 v91, v91, v92
	v_mul_f32_e32 v92, v152, v228
	s_waitcnt vmcnt(10)
	v_mul_f32_e32 v160, v153, v230
	v_fma_f32 v92, v151, v227, -v92
	v_fmac_f32_e32 v160, v154, v229
	v_add_f32_e32 v91, v91, v92
	v_mul_f32_e32 v92, v154, v230
	v_add_f32_e32 v163, v159, v160
	ds_read2_b64 v[159:162], v90 offset0:85 offset1:86
	s_waitcnt vmcnt(8) lgkmcnt(1)
	v_mul_f32_e32 v164, v155, v232
	v_fma_f32 v92, v153, v229, -v92
	v_fmac_f32_e32 v164, v156, v231
	v_add_f32_e32 v91, v91, v92
	v_mul_f32_e32 v92, v156, v232
	v_add_f32_e32 v163, v163, v164
	s_waitcnt vmcnt(7)
	v_mul_f32_e32 v164, v157, v233
	v_fma_f32 v92, v155, v231, -v92
	s_waitcnt vmcnt(6)
	v_fmac_f32_e32 v164, v158, v234
	v_add_f32_e32 v91, v91, v92
	v_mul_f32_e32 v92, v158, v233
	v_add_f32_e32 v241, v163, v164
	ds_read_b64 v[163:164], v90 offset:696
	v_fma_f32 v92, v157, v234, -v92
	v_add_f32_e32 v91, v91, v92
	s_waitcnt vmcnt(4) lgkmcnt(1)
	v_mul_f32_e32 v92, v160, v236
	v_mul_f32_e32 v242, v159, v236
	v_fma_f32 v92, v159, v235, -v92
	v_fmac_f32_e32 v242, v160, v235
	v_add_f32_e32 v91, v91, v92
	s_waitcnt vmcnt(3)
	v_mul_f32_e32 v92, v162, v237
	v_add_f32_e32 v241, v241, v242
	v_mul_f32_e32 v242, v161, v237
	s_waitcnt vmcnt(2)
	v_fma_f32 v92, v161, v238, -v92
	v_fmac_f32_e32 v242, v162, v238
	v_add_f32_e32 v91, v91, v92
	s_waitcnt vmcnt(0) lgkmcnt(0)
	v_mul_f32_e32 v92, v164, v240
	v_add_f32_e32 v241, v241, v242
	v_mul_f32_e32 v242, v163, v240
	v_fma_f32 v92, v163, v239, -v92
	v_fmac_f32_e32 v242, v164, v239
	v_add_f32_e32 v91, v91, v92
	v_add_f32_e32 v241, v241, v242
	v_sub_f32_e32 v91, v187, v91
	v_sub_f32_e32 v92, v188, v241
	buffer_store_dword v91, off, s[0:3], 0 offset:48
	buffer_store_dword v92, off, s[0:3], 0 offset:52
	s_and_saveexec_b64 s[4:5], vcc
	s_cbranch_execz .LBB107_267
; %bb.266:
	buffer_load_dword v91, off, s[0:3], 0 offset:40
	buffer_load_dword v92, off, s[0:3], 0 offset:44
	s_waitcnt vmcnt(0)
	ds_write_b64 v89, v[91:92]
	buffer_store_dword v90, off, s[0:3], 0 offset:40
	buffer_store_dword v90, off, s[0:3], 0 offset:44
.LBB107_267:
	s_or_b64 exec, exec, s[4:5]
	s_waitcnt lgkmcnt(0)
	; wave barrier
	buffer_load_dword v167, off, s[0:3], 0 offset:52
	buffer_load_dword v168, off, s[0:3], 0 offset:60
	;; [unrolled: 1-line block ×26, first 2 shown]
	ds_read_b128 v[91:94], v90 offset:400
	ds_read_b128 v[95:98], v90 offset:416
	;; [unrolled: 1-line block ×4, first 2 shown]
	buffer_load_dword v193, off, s[0:3], 0 offset:148
	ds_read_b128 v[107:110], v90 offset:464
	ds_read_b128 v[111:114], v90 offset:480
	buffer_load_dword v194, off, s[0:3], 0 offset:144
	buffer_load_dword v195, off, s[0:3], 0 offset:152
	buffer_load_dword v196, off, s[0:3], 0 offset:156
	buffer_load_dword v197, off, s[0:3], 0 offset:160
	buffer_load_dword v198, off, s[0:3], 0 offset:164
	buffer_load_dword v199, off, s[0:3], 0 offset:168
	buffer_load_dword v200, off, s[0:3], 0 offset:172
	buffer_load_dword v201, off, s[0:3], 0 offset:176
	buffer_load_dword v202, off, s[0:3], 0 offset:180
	buffer_load_dword v203, off, s[0:3], 0 offset:184
	buffer_load_dword v204, off, s[0:3], 0 offset:188
	buffer_load_dword v205, off, s[0:3], 0 offset:192
	buffer_load_dword v206, off, s[0:3], 0 offset:196
	buffer_load_dword v207, off, s[0:3], 0 offset:200
	buffer_load_dword v208, off, s[0:3], 0 offset:204
	buffer_load_dword v209, off, s[0:3], 0 offset:208
	buffer_load_dword v210, off, s[0:3], 0 offset:212
	buffer_load_dword v211, off, s[0:3], 0 offset:216
	buffer_load_dword v212, off, s[0:3], 0 offset:220
	buffer_load_dword v213, off, s[0:3], 0 offset:224
	buffer_load_dword v214, off, s[0:3], 0 offset:228
	buffer_load_dword v215, off, s[0:3], 0 offset:232
	buffer_load_dword v216, off, s[0:3], 0 offset:236
	buffer_load_dword v217, off, s[0:3], 0 offset:240
	buffer_load_dword v218, off, s[0:3], 0 offset:244
	buffer_load_dword v219, off, s[0:3], 0 offset:252
	buffer_load_dword v220, off, s[0:3], 0 offset:248
	buffer_load_dword v221, off, s[0:3], 0 offset:256
	buffer_load_dword v222, off, s[0:3], 0 offset:260
	buffer_load_dword v223, off, s[0:3], 0 offset:264
	buffer_load_dword v224, off, s[0:3], 0 offset:268
	buffer_load_dword v225, off, s[0:3], 0 offset:272
	buffer_load_dword v226, off, s[0:3], 0 offset:276
	buffer_load_dword v227, off, s[0:3], 0 offset:284
	buffer_load_dword v228, off, s[0:3], 0 offset:280
	buffer_load_dword v229, off, s[0:3], 0 offset:288
	buffer_load_dword v230, off, s[0:3], 0 offset:292
	v_cmp_lt_u32_e32 vcc, 4, v0
	s_waitcnt vmcnt(62) lgkmcnt(5)
	v_mul_f32_e32 v115, v91, v167
	v_mul_f32_e32 v116, v93, v168
	s_waitcnt vmcnt(61) lgkmcnt(4)
	v_mul_f32_e32 v117, v95, v169
	s_waitcnt vmcnt(60)
	v_mul_f32_e32 v118, v97, v170
	s_waitcnt vmcnt(59) lgkmcnt(3)
	v_mul_f32_e32 v119, v99, v171
	s_waitcnt vmcnt(58)
	v_mul_f32_e32 v120, v101, v172
	s_waitcnt vmcnt(57) lgkmcnt(2)
	v_mul_f32_e32 v121, v103, v173
	s_waitcnt vmcnt(56)
	v_mul_f32_e32 v122, v105, v174
	s_waitcnt vmcnt(55) lgkmcnt(1)
	v_mul_f32_e32 v123, v107, v175
	s_waitcnt vmcnt(54)
	v_mul_f32_e32 v124, v109, v176
	s_waitcnt vmcnt(53)
	v_fmac_f32_e32 v115, v92, v177
	s_waitcnt vmcnt(52)
	v_fmac_f32_e32 v116, v94, v178
	v_add_f32_e32 v115, 0, v115
	s_waitcnt vmcnt(51)
	v_fmac_f32_e32 v117, v96, v179
	v_add_f32_e32 v115, v115, v116
	;; [unrolled: 3-line block ×9, first 2 shown]
	s_waitcnt vmcnt(43) lgkmcnt(0)
	v_mul_f32_e32 v116, v111, v187
	v_add_f32_e32 v115, v115, v124
	s_waitcnt vmcnt(42)
	v_fmac_f32_e32 v116, v112, v188
	v_add_f32_e32 v119, v115, v116
	s_waitcnt vmcnt(41)
	v_mul_f32_e32 v120, v113, v189
	ds_read_b128 v[115:118], v90 offset:496
	buffer_load_dword v231, off, s[0:3], 0 offset:296
	buffer_load_dword v232, off, s[0:3], 0 offset:300
	s_waitcnt vmcnt(42)
	v_fmac_f32_e32 v120, v114, v190
	v_add_f32_e32 v123, v119, v120
	ds_read_b128 v[119:122], v90 offset:512
	buffer_load_dword v233, off, s[0:3], 0 offset:304
	buffer_load_dword v234, off, s[0:3], 0 offset:308
	;; [unrolled: 1-line block ×12, first 2 shown]
	v_mul_f32_e32 v92, v92, v167
	v_fma_f32 v91, v91, v177, -v92
	v_mul_f32_e32 v92, v94, v168
	v_add_f32_e32 v91, 0, v91
	v_fma_f32 v92, v93, v178, -v92
	v_add_f32_e32 v91, v91, v92
	v_mul_f32_e32 v92, v96, v169
	v_fma_f32 v92, v95, v179, -v92
	v_add_f32_e32 v91, v91, v92
	v_mul_f32_e32 v92, v98, v170
	v_fma_f32 v92, v97, v180, -v92
	s_waitcnt vmcnt(51) lgkmcnt(1)
	v_mul_f32_e32 v124, v115, v193
	v_add_f32_e32 v91, v91, v92
	v_mul_f32_e32 v92, v100, v171
	s_waitcnt vmcnt(50)
	v_fmac_f32_e32 v124, v116, v194
	v_fma_f32 v92, v99, v181, -v92
	v_add_f32_e32 v123, v123, v124
	s_waitcnt vmcnt(48)
	v_mul_f32_e32 v124, v117, v196
	v_add_f32_e32 v91, v91, v92
	v_mul_f32_e32 v92, v102, v172
	v_fmac_f32_e32 v124, v118, v195
	v_fma_f32 v92, v101, v182, -v92
	v_add_f32_e32 v123, v123, v124
	s_waitcnt vmcnt(46) lgkmcnt(0)
	v_mul_f32_e32 v124, v119, v198
	v_add_f32_e32 v91, v91, v92
	v_mul_f32_e32 v92, v104, v173
	v_fmac_f32_e32 v124, v120, v197
	v_fma_f32 v92, v103, v183, -v92
	v_add_f32_e32 v127, v123, v124
	ds_read_b128 v[123:126], v90 offset:528
	v_add_f32_e32 v91, v91, v92
	v_mul_f32_e32 v92, v106, v174
	v_fma_f32 v92, v105, v184, -v92
	s_waitcnt vmcnt(44)
	v_mul_f32_e32 v128, v121, v200
	v_add_f32_e32 v91, v91, v92
	v_mul_f32_e32 v92, v108, v175
	v_fmac_f32_e32 v128, v122, v199
	v_fma_f32 v92, v107, v185, -v92
	v_add_f32_e32 v131, v127, v128
	ds_read_b128 v[127:130], v90 offset:544
	v_add_f32_e32 v91, v91, v92
	v_mul_f32_e32 v92, v110, v176
	s_waitcnt vmcnt(42) lgkmcnt(1)
	v_mul_f32_e32 v132, v123, v202
	v_fma_f32 v92, v109, v186, -v92
	v_fmac_f32_e32 v132, v124, v201
	v_add_f32_e32 v91, v91, v92
	v_mul_f32_e32 v92, v112, v187
	v_add_f32_e32 v131, v131, v132
	s_waitcnt vmcnt(40)
	v_mul_f32_e32 v132, v125, v204
	v_fma_f32 v92, v111, v188, -v92
	v_fmac_f32_e32 v132, v126, v203
	v_add_f32_e32 v91, v91, v92
	v_mul_f32_e32 v92, v114, v189
	v_add_f32_e32 v131, v131, v132
	s_waitcnt vmcnt(38) lgkmcnt(0)
	v_mul_f32_e32 v132, v127, v206
	v_fma_f32 v92, v113, v190, -v92
	v_fmac_f32_e32 v132, v128, v205
	v_add_f32_e32 v91, v91, v92
	v_mul_f32_e32 v92, v116, v193
	v_add_f32_e32 v135, v131, v132
	ds_read_b128 v[131:134], v90 offset:560
	v_fma_f32 v92, v115, v194, -v92
	v_add_f32_e32 v91, v91, v92
	v_mul_f32_e32 v92, v118, v196
	s_waitcnt vmcnt(36)
	v_mul_f32_e32 v136, v129, v208
	v_fma_f32 v92, v117, v195, -v92
	v_fmac_f32_e32 v136, v130, v207
	v_add_f32_e32 v91, v91, v92
	v_mul_f32_e32 v92, v120, v198
	v_add_f32_e32 v139, v135, v136
	ds_read_b128 v[135:138], v90 offset:576
	v_fma_f32 v92, v119, v197, -v92
	s_waitcnt vmcnt(34) lgkmcnt(1)
	v_mul_f32_e32 v140, v131, v210
	v_add_f32_e32 v91, v91, v92
	v_mul_f32_e32 v92, v122, v200
	v_fmac_f32_e32 v140, v132, v209
	v_fma_f32 v92, v121, v199, -v92
	v_add_f32_e32 v139, v139, v140
	s_waitcnt vmcnt(32)
	v_mul_f32_e32 v140, v133, v212
	v_add_f32_e32 v91, v91, v92
	v_mul_f32_e32 v92, v124, v202
	v_fmac_f32_e32 v140, v134, v211
	v_fma_f32 v92, v123, v201, -v92
	v_add_f32_e32 v139, v139, v140
	s_waitcnt vmcnt(30) lgkmcnt(0)
	v_mul_f32_e32 v140, v135, v214
	v_add_f32_e32 v91, v91, v92
	v_mul_f32_e32 v92, v126, v204
	v_fmac_f32_e32 v140, v136, v213
	v_fma_f32 v92, v125, v203, -v92
	v_add_f32_e32 v143, v139, v140
	ds_read_b128 v[139:142], v90 offset:592
	v_add_f32_e32 v91, v91, v92
	v_mul_f32_e32 v92, v128, v206
	v_fma_f32 v92, v127, v205, -v92
	s_waitcnt vmcnt(28)
	v_mul_f32_e32 v144, v137, v216
	v_add_f32_e32 v91, v91, v92
	v_mul_f32_e32 v92, v130, v208
	v_fmac_f32_e32 v144, v138, v215
	v_fma_f32 v92, v129, v207, -v92
	v_add_f32_e32 v147, v143, v144
	ds_read_b128 v[143:146], v90 offset:608
	v_add_f32_e32 v91, v91, v92
	v_mul_f32_e32 v92, v132, v210
	s_waitcnt vmcnt(26) lgkmcnt(1)
	v_mul_f32_e32 v148, v139, v218
	v_fma_f32 v92, v131, v209, -v92
	v_fmac_f32_e32 v148, v140, v217
	v_add_f32_e32 v91, v91, v92
	v_mul_f32_e32 v92, v134, v212
	v_add_f32_e32 v147, v147, v148
	s_waitcnt vmcnt(25)
	v_mul_f32_e32 v148, v141, v219
	v_fma_f32 v92, v133, v211, -v92
	s_waitcnt vmcnt(24)
	v_fmac_f32_e32 v148, v142, v220
	v_add_f32_e32 v91, v91, v92
	v_mul_f32_e32 v92, v136, v214
	v_add_f32_e32 v147, v147, v148
	s_waitcnt vmcnt(22) lgkmcnt(0)
	v_mul_f32_e32 v148, v143, v222
	v_fma_f32 v92, v135, v213, -v92
	v_fmac_f32_e32 v148, v144, v221
	v_add_f32_e32 v91, v91, v92
	v_mul_f32_e32 v92, v138, v216
	v_add_f32_e32 v151, v147, v148
	ds_read_b128 v[147:150], v90 offset:624
	v_fma_f32 v92, v137, v215, -v92
	v_add_f32_e32 v91, v91, v92
	v_mul_f32_e32 v92, v140, v218
	s_waitcnt vmcnt(20)
	v_mul_f32_e32 v152, v145, v224
	v_fma_f32 v92, v139, v217, -v92
	v_fmac_f32_e32 v152, v146, v223
	v_add_f32_e32 v91, v91, v92
	v_mul_f32_e32 v92, v142, v219
	v_add_f32_e32 v155, v151, v152
	ds_read_b128 v[151:154], v90 offset:640
	v_fma_f32 v92, v141, v220, -v92
	s_waitcnt vmcnt(18) lgkmcnt(1)
	v_mul_f32_e32 v156, v147, v226
	v_add_f32_e32 v91, v91, v92
	v_mul_f32_e32 v92, v144, v222
	v_fmac_f32_e32 v156, v148, v225
	v_fma_f32 v92, v143, v221, -v92
	v_add_f32_e32 v155, v155, v156
	s_waitcnt vmcnt(17)
	v_mul_f32_e32 v156, v149, v227
	v_add_f32_e32 v91, v91, v92
	v_mul_f32_e32 v92, v146, v224
	s_waitcnt vmcnt(16)
	v_fmac_f32_e32 v156, v150, v228
	v_fma_f32 v92, v145, v223, -v92
	v_add_f32_e32 v155, v155, v156
	s_waitcnt vmcnt(14) lgkmcnt(0)
	v_mul_f32_e32 v156, v151, v230
	v_add_f32_e32 v91, v91, v92
	v_mul_f32_e32 v92, v148, v226
	v_fmac_f32_e32 v156, v152, v229
	v_fma_f32 v92, v147, v225, -v92
	v_add_f32_e32 v159, v155, v156
	ds_read_b128 v[155:158], v90 offset:656
	v_add_f32_e32 v91, v91, v92
	v_mul_f32_e32 v92, v150, v227
	v_fma_f32 v92, v149, v228, -v92
	v_add_f32_e32 v91, v91, v92
	v_mul_f32_e32 v92, v152, v230
	s_waitcnt vmcnt(12)
	v_mul_f32_e32 v160, v153, v232
	v_fma_f32 v92, v151, v229, -v92
	v_fmac_f32_e32 v160, v154, v231
	v_add_f32_e32 v91, v91, v92
	v_mul_f32_e32 v92, v154, v232
	v_add_f32_e32 v163, v159, v160
	ds_read_b128 v[159:162], v90 offset:672
	s_waitcnt vmcnt(10) lgkmcnt(1)
	v_mul_f32_e32 v164, v155, v234
	v_fma_f32 v92, v153, v231, -v92
	v_fmac_f32_e32 v164, v156, v233
	v_add_f32_e32 v91, v91, v92
	v_mul_f32_e32 v92, v156, v234
	v_add_f32_e32 v163, v163, v164
	s_waitcnt vmcnt(9)
	v_mul_f32_e32 v164, v157, v235
	v_fma_f32 v92, v155, v233, -v92
	s_waitcnt vmcnt(8)
	v_fmac_f32_e32 v164, v158, v236
	v_add_f32_e32 v91, v91, v92
	v_mul_f32_e32 v92, v158, v235
	v_add_f32_e32 v245, v163, v164
	ds_read_b128 v[163:166], v90 offset:688
	v_fma_f32 v92, v157, v236, -v92
	v_add_f32_e32 v91, v91, v92
	s_waitcnt vmcnt(6) lgkmcnt(1)
	v_mul_f32_e32 v92, v160, v238
	v_mul_f32_e32 v246, v159, v238
	v_fma_f32 v92, v159, v237, -v92
	v_fmac_f32_e32 v246, v160, v237
	v_add_f32_e32 v91, v91, v92
	s_waitcnt vmcnt(4)
	v_mul_f32_e32 v92, v162, v240
	v_add_f32_e32 v90, v245, v246
	v_mul_f32_e32 v245, v161, v240
	v_fma_f32 v92, v161, v239, -v92
	v_fmac_f32_e32 v245, v162, v239
	v_add_f32_e32 v91, v91, v92
	s_waitcnt vmcnt(3) lgkmcnt(0)
	v_mul_f32_e32 v92, v164, v241
	v_add_f32_e32 v90, v90, v245
	v_mul_f32_e32 v245, v163, v241
	s_waitcnt vmcnt(2)
	v_fma_f32 v92, v163, v242, -v92
	v_fmac_f32_e32 v245, v164, v242
	v_add_f32_e32 v91, v91, v92
	s_waitcnt vmcnt(0)
	v_mul_f32_e32 v92, v166, v244
	v_add_f32_e32 v90, v90, v245
	v_mul_f32_e32 v245, v165, v244
	v_fma_f32 v92, v165, v243, -v92
	v_fmac_f32_e32 v245, v166, v243
	v_add_f32_e32 v91, v91, v92
	v_add_f32_e32 v90, v90, v245
	v_sub_f32_e32 v91, v191, v91
	v_sub_f32_e32 v90, v192, v90
	buffer_store_dword v91, off, s[0:3], 0 offset:40
	buffer_store_dword v90, off, s[0:3], 0 offset:44
	s_and_saveexec_b64 s[4:5], vcc
	s_cbranch_execz .LBB107_269
; %bb.268:
	buffer_load_dword v90, off, s[0:3], 0 offset:32
	buffer_load_dword v91, off, s[0:3], 0 offset:36
	v_mov_b32_e32 v92, 0
	buffer_store_dword v92, off, s[0:3], 0 offset:32
	buffer_store_dword v92, off, s[0:3], 0 offset:36
	s_waitcnt vmcnt(2)
	ds_write_b64 v89, v[90:91]
.LBB107_269:
	s_or_b64 exec, exec, s[4:5]
	s_waitcnt lgkmcnt(0)
	; wave barrier
	buffer_load_dword v169, off, s[0:3], 0 offset:44
	buffer_load_dword v170, off, s[0:3], 0 offset:52
	;; [unrolled: 1-line block ×52, first 2 shown]
	v_mov_b32_e32 v90, 0
	ds_read2_b64 v[91:94], v90 offset0:49 offset1:50
	ds_read2_b64 v[95:98], v90 offset0:51 offset1:52
	;; [unrolled: 1-line block ×6, first 2 shown]
	buffer_load_dword v221, off, s[0:3], 0 offset:244
	buffer_load_dword v222, off, s[0:3], 0 offset:240
	;; [unrolled: 1-line block ×8, first 2 shown]
	v_cmp_lt_u32_e32 vcc, 3, v0
	s_waitcnt vmcnt(59) lgkmcnt(5)
	v_mul_f32_e32 v115, v91, v169
	s_waitcnt vmcnt(58)
	v_mul_f32_e32 v116, v93, v170
	s_waitcnt vmcnt(57) lgkmcnt(4)
	v_mul_f32_e32 v117, v95, v171
	s_waitcnt vmcnt(56)
	v_mul_f32_e32 v118, v97, v172
	s_waitcnt vmcnt(55) lgkmcnt(3)
	v_mul_f32_e32 v119, v99, v173
	s_waitcnt vmcnt(54)
	v_mul_f32_e32 v120, v101, v174
	s_waitcnt vmcnt(53) lgkmcnt(2)
	v_mul_f32_e32 v121, v103, v175
	s_waitcnt vmcnt(52)
	v_mul_f32_e32 v122, v105, v176
	s_waitcnt vmcnt(51) lgkmcnt(1)
	v_mul_f32_e32 v123, v107, v177
	s_waitcnt vmcnt(50)
	v_mul_f32_e32 v124, v109, v178
	s_waitcnt vmcnt(49) lgkmcnt(0)
	v_mul_f32_e32 v125, v111, v179
	s_waitcnt vmcnt(48)
	v_fmac_f32_e32 v115, v92, v180
	s_waitcnt vmcnt(47)
	v_fmac_f32_e32 v116, v94, v181
	v_add_f32_e32 v115, 0, v115
	s_waitcnt vmcnt(46)
	v_fmac_f32_e32 v117, v96, v182
	v_add_f32_e32 v115, v115, v116
	;; [unrolled: 3-line block ×9, first 2 shown]
	v_add_f32_e32 v115, v115, v124
	s_waitcnt vmcnt(38)
	v_fmac_f32_e32 v125, v112, v190
	s_waitcnt vmcnt(37)
	v_mul_f32_e32 v116, v113, v191
	v_add_f32_e32 v115, v115, v125
	s_waitcnt vmcnt(36)
	v_fmac_f32_e32 v116, v114, v192
	v_add_f32_e32 v123, v115, v116
	ds_read2_b64 v[115:118], v90 offset0:61 offset1:62
	buffer_load_dword v229, off, s[0:3], 0 offset:276
	buffer_load_dword v230, off, s[0:3], 0 offset:272
	;; [unrolled: 1-line block ×4, first 2 shown]
	ds_read2_b64 v[119:122], v90 offset0:63 offset1:64
	buffer_load_dword v233, off, s[0:3], 0 offset:288
	buffer_load_dword v234, off, s[0:3], 0 offset:292
	;; [unrolled: 1-line block ×10, first 2 shown]
	s_waitcnt vmcnt(46) lgkmcnt(1)
	v_mul_f32_e32 v124, v115, v196
	v_fmac_f32_e32 v124, v116, v195
	v_add_f32_e32 v123, v123, v124
	s_waitcnt vmcnt(44)
	v_mul_f32_e32 v124, v117, v198
	buffer_load_dword v243, off, s[0:3], 0 offset:328
	buffer_load_dword v244, off, s[0:3], 0 offset:332
	v_fmac_f32_e32 v124, v118, v197
	v_add_f32_e32 v123, v123, v124
	s_waitcnt vmcnt(44) lgkmcnt(0)
	v_mul_f32_e32 v124, v119, v200
	v_fmac_f32_e32 v124, v120, v199
	v_add_f32_e32 v127, v123, v124
	ds_read2_b64 v[123:126], v90 offset0:65 offset1:66
	buffer_load_dword v245, off, s[0:3], 0 offset:340
	buffer_load_dword v246, off, s[0:3], 0 offset:336
	;; [unrolled: 1-line block ×4, first 2 shown]
	v_mul_f32_e32 v92, v92, v169
	v_fma_f32 v91, v91, v180, -v92
	v_mul_f32_e32 v92, v94, v170
	v_add_f32_e32 v91, 0, v91
	v_fma_f32 v92, v93, v181, -v92
	v_add_f32_e32 v91, v91, v92
	v_mul_f32_e32 v92, v96, v171
	v_fma_f32 v92, v95, v182, -v92
	v_add_f32_e32 v91, v91, v92
	v_mul_f32_e32 v92, v98, v172
	;; [unrolled: 3-line block ×5, first 2 shown]
	v_fma_f32 v92, v103, v186, -v92
	s_waitcnt vmcnt(46)
	v_mul_f32_e32 v128, v121, v202
	v_add_f32_e32 v91, v91, v92
	v_mul_f32_e32 v92, v106, v176
	v_fmac_f32_e32 v128, v122, v201
	v_fma_f32 v92, v105, v187, -v92
	v_add_f32_e32 v131, v127, v128
	ds_read2_b64 v[127:130], v90 offset0:67 offset1:68
	v_add_f32_e32 v91, v91, v92
	v_mul_f32_e32 v92, v108, v177
	s_waitcnt vmcnt(44) lgkmcnt(1)
	v_mul_f32_e32 v132, v123, v204
	v_fma_f32 v92, v107, v188, -v92
	v_fmac_f32_e32 v132, v124, v203
	v_add_f32_e32 v91, v91, v92
	v_mul_f32_e32 v92, v110, v178
	v_add_f32_e32 v131, v131, v132
	s_waitcnt vmcnt(42)
	v_mul_f32_e32 v132, v125, v206
	v_fma_f32 v92, v109, v189, -v92
	v_fmac_f32_e32 v132, v126, v205
	v_add_f32_e32 v91, v91, v92
	v_mul_f32_e32 v92, v112, v179
	v_add_f32_e32 v131, v131, v132
	s_waitcnt vmcnt(40) lgkmcnt(0)
	v_mul_f32_e32 v132, v127, v208
	v_fma_f32 v92, v111, v190, -v92
	v_fmac_f32_e32 v132, v128, v207
	v_add_f32_e32 v91, v91, v92
	v_mul_f32_e32 v92, v114, v191
	v_add_f32_e32 v135, v131, v132
	ds_read2_b64 v[131:134], v90 offset0:69 offset1:70
	v_fma_f32 v92, v113, v192, -v92
	v_add_f32_e32 v91, v91, v92
	v_mul_f32_e32 v92, v116, v196
	s_waitcnt vmcnt(38)
	v_mul_f32_e32 v136, v129, v210
	v_fma_f32 v92, v115, v195, -v92
	v_fmac_f32_e32 v136, v130, v209
	v_add_f32_e32 v91, v91, v92
	v_mul_f32_e32 v92, v118, v198
	v_add_f32_e32 v139, v135, v136
	ds_read2_b64 v[135:138], v90 offset0:71 offset1:72
	v_fma_f32 v92, v117, v197, -v92
	s_waitcnt vmcnt(36) lgkmcnt(1)
	v_mul_f32_e32 v140, v131, v212
	v_add_f32_e32 v91, v91, v92
	v_mul_f32_e32 v92, v120, v200
	v_fmac_f32_e32 v140, v132, v211
	v_fma_f32 v92, v119, v199, -v92
	v_add_f32_e32 v139, v139, v140
	s_waitcnt vmcnt(34)
	v_mul_f32_e32 v140, v133, v214
	v_add_f32_e32 v91, v91, v92
	v_mul_f32_e32 v92, v122, v202
	v_fmac_f32_e32 v140, v134, v213
	v_fma_f32 v92, v121, v201, -v92
	v_add_f32_e32 v139, v139, v140
	s_waitcnt vmcnt(32) lgkmcnt(0)
	v_mul_f32_e32 v140, v135, v216
	v_add_f32_e32 v91, v91, v92
	v_mul_f32_e32 v92, v124, v204
	v_fmac_f32_e32 v140, v136, v215
	v_fma_f32 v92, v123, v203, -v92
	v_add_f32_e32 v143, v139, v140
	ds_read2_b64 v[139:142], v90 offset0:73 offset1:74
	v_add_f32_e32 v91, v91, v92
	v_mul_f32_e32 v92, v126, v206
	v_fma_f32 v92, v125, v205, -v92
	s_waitcnt vmcnt(30)
	v_mul_f32_e32 v144, v137, v218
	v_add_f32_e32 v91, v91, v92
	v_mul_f32_e32 v92, v128, v208
	v_fmac_f32_e32 v144, v138, v217
	v_fma_f32 v92, v127, v207, -v92
	v_add_f32_e32 v147, v143, v144
	ds_read2_b64 v[143:146], v90 offset0:75 offset1:76
	v_add_f32_e32 v91, v91, v92
	v_mul_f32_e32 v92, v130, v210
	s_waitcnt vmcnt(28) lgkmcnt(1)
	v_mul_f32_e32 v148, v139, v220
	v_fma_f32 v92, v129, v209, -v92
	v_fmac_f32_e32 v148, v140, v219
	v_add_f32_e32 v91, v91, v92
	v_mul_f32_e32 v92, v132, v212
	v_add_f32_e32 v147, v147, v148
	s_waitcnt vmcnt(27)
	v_mul_f32_e32 v148, v141, v221
	v_fma_f32 v92, v131, v211, -v92
	s_waitcnt vmcnt(26)
	v_fmac_f32_e32 v148, v142, v222
	v_add_f32_e32 v91, v91, v92
	v_mul_f32_e32 v92, v134, v214
	v_add_f32_e32 v147, v147, v148
	s_waitcnt vmcnt(24) lgkmcnt(0)
	v_mul_f32_e32 v148, v143, v224
	v_fma_f32 v92, v133, v213, -v92
	v_fmac_f32_e32 v148, v144, v223
	v_add_f32_e32 v91, v91, v92
	v_mul_f32_e32 v92, v136, v216
	v_add_f32_e32 v151, v147, v148
	ds_read2_b64 v[147:150], v90 offset0:77 offset1:78
	v_fma_f32 v92, v135, v215, -v92
	v_add_f32_e32 v91, v91, v92
	v_mul_f32_e32 v92, v138, v218
	s_waitcnt vmcnt(22)
	v_mul_f32_e32 v152, v145, v226
	v_fma_f32 v92, v137, v217, -v92
	v_fmac_f32_e32 v152, v146, v225
	v_add_f32_e32 v91, v91, v92
	v_mul_f32_e32 v92, v140, v220
	v_add_f32_e32 v155, v151, v152
	ds_read2_b64 v[151:154], v90 offset0:79 offset1:80
	v_fma_f32 v92, v139, v219, -v92
	s_waitcnt vmcnt(20) lgkmcnt(1)
	v_mul_f32_e32 v156, v147, v228
	v_add_f32_e32 v91, v91, v92
	v_mul_f32_e32 v92, v142, v221
	v_fmac_f32_e32 v156, v148, v227
	v_fma_f32 v92, v141, v222, -v92
	v_add_f32_e32 v155, v155, v156
	s_waitcnt vmcnt(19)
	v_mul_f32_e32 v156, v149, v229
	v_add_f32_e32 v91, v91, v92
	v_mul_f32_e32 v92, v144, v224
	s_waitcnt vmcnt(18)
	v_fmac_f32_e32 v156, v150, v230
	v_fma_f32 v92, v143, v223, -v92
	v_add_f32_e32 v155, v155, v156
	s_waitcnt vmcnt(16) lgkmcnt(0)
	v_mul_f32_e32 v156, v151, v232
	v_add_f32_e32 v91, v91, v92
	v_mul_f32_e32 v92, v146, v226
	v_fmac_f32_e32 v156, v152, v231
	v_fma_f32 v92, v145, v225, -v92
	v_add_f32_e32 v159, v155, v156
	ds_read2_b64 v[155:158], v90 offset0:81 offset1:82
	v_add_f32_e32 v91, v91, v92
	v_mul_f32_e32 v92, v148, v228
	v_fma_f32 v92, v147, v227, -v92
	s_waitcnt vmcnt(14)
	v_mul_f32_e32 v160, v153, v234
	v_add_f32_e32 v91, v91, v92
	v_mul_f32_e32 v92, v150, v229
	v_fmac_f32_e32 v160, v154, v233
	v_fma_f32 v92, v149, v230, -v92
	v_add_f32_e32 v163, v159, v160
	ds_read2_b64 v[159:162], v90 offset0:83 offset1:84
	v_add_f32_e32 v91, v91, v92
	v_mul_f32_e32 v92, v152, v232
	s_waitcnt vmcnt(12) lgkmcnt(1)
	v_mul_f32_e32 v164, v155, v236
	v_fma_f32 v92, v151, v231, -v92
	v_fmac_f32_e32 v164, v156, v235
	v_add_f32_e32 v91, v91, v92
	v_mul_f32_e32 v92, v154, v234
	v_add_f32_e32 v163, v163, v164
	s_waitcnt vmcnt(11)
	v_mul_f32_e32 v164, v157, v237
	v_fma_f32 v92, v153, v233, -v92
	s_waitcnt vmcnt(10)
	v_fmac_f32_e32 v164, v158, v238
	v_add_f32_e32 v91, v91, v92
	v_mul_f32_e32 v92, v156, v236
	v_add_f32_e32 v163, v163, v164
	s_waitcnt vmcnt(8) lgkmcnt(0)
	v_mul_f32_e32 v164, v159, v240
	v_fma_f32 v92, v155, v235, -v92
	v_fmac_f32_e32 v164, v160, v239
	v_add_f32_e32 v91, v91, v92
	v_mul_f32_e32 v92, v158, v237
	v_add_f32_e32 v167, v163, v164
	ds_read2_b64 v[163:166], v90 offset0:85 offset1:86
	v_fma_f32 v92, v157, v238, -v92
	v_add_f32_e32 v91, v91, v92
	v_mul_f32_e32 v92, v160, v240
	s_waitcnt vmcnt(6)
	v_mul_f32_e32 v168, v161, v242
	v_fma_f32 v92, v159, v239, -v92
	v_fmac_f32_e32 v168, v162, v241
	v_add_f32_e32 v91, v91, v92
	v_mul_f32_e32 v92, v162, v242
	v_add_f32_e32 v249, v167, v168
	ds_read_b64 v[167:168], v90 offset:696
	v_fma_f32 v92, v161, v241, -v92
	v_add_f32_e32 v91, v91, v92
	s_waitcnt vmcnt(4) lgkmcnt(1)
	v_mul_f32_e32 v92, v164, v244
	v_mul_f32_e32 v250, v163, v244
	v_fma_f32 v92, v163, v243, -v92
	v_fmac_f32_e32 v250, v164, v243
	v_add_f32_e32 v91, v91, v92
	s_waitcnt vmcnt(3)
	v_mul_f32_e32 v92, v166, v245
	v_add_f32_e32 v249, v249, v250
	v_mul_f32_e32 v250, v165, v245
	s_waitcnt vmcnt(2)
	v_fma_f32 v92, v165, v246, -v92
	v_fmac_f32_e32 v250, v166, v246
	v_add_f32_e32 v91, v91, v92
	s_waitcnt vmcnt(0) lgkmcnt(0)
	v_mul_f32_e32 v92, v168, v248
	v_add_f32_e32 v249, v249, v250
	v_mul_f32_e32 v250, v167, v248
	v_fma_f32 v92, v167, v247, -v92
	v_fmac_f32_e32 v250, v168, v247
	v_add_f32_e32 v91, v91, v92
	v_add_f32_e32 v249, v249, v250
	v_sub_f32_e32 v91, v193, v91
	v_sub_f32_e32 v92, v194, v249
	buffer_store_dword v91, off, s[0:3], 0 offset:32
	buffer_store_dword v92, off, s[0:3], 0 offset:36
	s_and_saveexec_b64 s[4:5], vcc
	s_cbranch_execz .LBB107_271
; %bb.270:
	buffer_load_dword v91, off, s[0:3], 0 offset:24
	buffer_load_dword v92, off, s[0:3], 0 offset:28
	s_waitcnt vmcnt(0)
	ds_write_b64 v89, v[91:92]
	buffer_store_dword v90, off, s[0:3], 0 offset:24
	buffer_store_dword v90, off, s[0:3], 0 offset:28
.LBB107_271:
	s_or_b64 exec, exec, s[4:5]
	s_waitcnt lgkmcnt(0)
	; wave barrier
	buffer_load_dword v171, off, s[0:3], 0 offset:36
	buffer_load_dword v172, off, s[0:3], 0 offset:44
	;; [unrolled: 1-line block ×28, first 2 shown]
	ds_read_b128 v[91:94], v90 offset:384
	ds_read_b128 v[95:98], v90 offset:400
	;; [unrolled: 1-line block ×4, first 2 shown]
	buffer_load_dword v199, off, s[0:3], 0 offset:136
	buffer_load_dword v200, off, s[0:3], 0 offset:140
	ds_read_b128 v[107:110], v90 offset:448
	ds_read_b128 v[111:114], v90 offset:464
	buffer_load_dword v201, off, s[0:3], 0 offset:144
	buffer_load_dword v202, off, s[0:3], 0 offset:148
	;; [unrolled: 1-line block ×28, first 2 shown]
	v_cmp_lt_u32_e32 vcc, 2, v0
	s_waitcnt vmcnt(57) lgkmcnt(5)
	v_mul_f32_e32 v115, v91, v171
	s_waitcnt vmcnt(56)
	v_mul_f32_e32 v116, v93, v172
	s_waitcnt vmcnt(55) lgkmcnt(4)
	v_mul_f32_e32 v117, v95, v173
	s_waitcnt vmcnt(54)
	v_mul_f32_e32 v118, v97, v174
	;; [unrolled: 4-line block ×5, first 2 shown]
	s_waitcnt vmcnt(47) lgkmcnt(0)
	v_mul_f32_e32 v125, v111, v181
	s_waitcnt vmcnt(46)
	v_fmac_f32_e32 v115, v92, v182
	s_waitcnt vmcnt(45)
	v_fmac_f32_e32 v116, v94, v183
	v_add_f32_e32 v115, 0, v115
	s_waitcnt vmcnt(44)
	v_fmac_f32_e32 v117, v96, v184
	v_add_f32_e32 v115, v115, v116
	;; [unrolled: 3-line block ×10, first 2 shown]
	v_add_f32_e32 v119, v115, v125
	ds_read_b128 v[115:118], v90 offset:480
	buffer_load_dword v229, off, s[0:3], 0 offset:256
	buffer_load_dword v230, off, s[0:3], 0 offset:260
	s_waitcnt vmcnt(37)
	v_mul_f32_e32 v120, v113, v193
	s_waitcnt vmcnt(36)
	v_fmac_f32_e32 v120, v114, v194
	v_add_f32_e32 v123, v119, v120
	ds_read_b128 v[119:122], v90 offset:496
	buffer_load_dword v231, off, s[0:3], 0 offset:268
	buffer_load_dword v232, off, s[0:3], 0 offset:264
	;; [unrolled: 1-line block ×12, first 2 shown]
	s_waitcnt vmcnt(47) lgkmcnt(1)
	v_mul_f32_e32 v124, v115, v195
	s_waitcnt vmcnt(44)
	v_fmac_f32_e32 v124, v116, v198
	buffer_load_dword v243, off, s[0:3], 0 offset:312
	buffer_load_dword v244, off, s[0:3], 0 offset:316
	v_add_f32_e32 v123, v123, v124
	s_waitcnt vmcnt(44)
	v_mul_f32_e32 v124, v117, v200
	v_fmac_f32_e32 v124, v118, v199
	v_add_f32_e32 v123, v123, v124
	s_waitcnt vmcnt(42) lgkmcnt(0)
	v_mul_f32_e32 v124, v119, v202
	buffer_load_dword v245, off, s[0:3], 0 offset:320
	buffer_load_dword v246, off, s[0:3], 0 offset:324
	v_fmac_f32_e32 v124, v120, v201
	v_add_f32_e32 v123, v123, v124
	s_waitcnt vmcnt(42)
	v_mul_f32_e32 v124, v121, v204
	v_fmac_f32_e32 v124, v122, v203
	v_add_f32_e32 v131, v123, v124
	ds_read_b128 v[123:126], v90 offset:512
	buffer_load_dword v247, off, s[0:3], 0 offset:332
	buffer_load_dword v248, off, s[0:3], 0 offset:328
	;; [unrolled: 1-line block ×4, first 2 shown]
	ds_read_b128 v[127:130], v90 offset:528
	buffer_load_dword v251, off, s[0:3], 0 offset:344
	buffer_load_dword v252, off, s[0:3], 0 offset:348
	v_mul_f32_e32 v92, v92, v171
	v_fma_f32 v91, v91, v182, -v92
	v_mul_f32_e32 v92, v94, v172
	v_add_f32_e32 v91, 0, v91
	v_fma_f32 v92, v93, v183, -v92
	v_add_f32_e32 v91, v91, v92
	v_mul_f32_e32 v92, v96, v173
	v_fma_f32 v92, v95, v184, -v92
	v_add_f32_e32 v91, v91, v92
	v_mul_f32_e32 v92, v98, v174
	;; [unrolled: 3-line block ×7, first 2 shown]
	s_waitcnt vmcnt(46) lgkmcnt(1)
	v_mul_f32_e32 v132, v123, v206
	v_fma_f32 v92, v107, v190, -v92
	v_fmac_f32_e32 v132, v124, v205
	v_add_f32_e32 v91, v91, v92
	v_mul_f32_e32 v92, v110, v180
	v_add_f32_e32 v131, v131, v132
	s_waitcnt vmcnt(44)
	v_mul_f32_e32 v132, v125, v208
	v_fma_f32 v92, v109, v191, -v92
	v_fmac_f32_e32 v132, v126, v207
	v_add_f32_e32 v91, v91, v92
	v_mul_f32_e32 v92, v112, v181
	v_add_f32_e32 v131, v131, v132
	s_waitcnt vmcnt(42) lgkmcnt(0)
	v_mul_f32_e32 v132, v127, v210
	v_fma_f32 v92, v111, v192, -v92
	v_fmac_f32_e32 v132, v128, v209
	v_add_f32_e32 v91, v91, v92
	v_mul_f32_e32 v92, v114, v193
	v_add_f32_e32 v135, v131, v132
	ds_read_b128 v[131:134], v90 offset:544
	v_fma_f32 v92, v113, v194, -v92
	v_add_f32_e32 v91, v91, v92
	v_mul_f32_e32 v92, v116, v195
	s_waitcnt vmcnt(40)
	v_mul_f32_e32 v136, v129, v212
	v_fma_f32 v92, v115, v198, -v92
	v_fmac_f32_e32 v136, v130, v211
	v_add_f32_e32 v91, v91, v92
	v_mul_f32_e32 v92, v118, v200
	v_add_f32_e32 v139, v135, v136
	ds_read_b128 v[135:138], v90 offset:560
	v_fma_f32 v92, v117, v199, -v92
	s_waitcnt vmcnt(38) lgkmcnt(1)
	v_mul_f32_e32 v140, v131, v214
	v_add_f32_e32 v91, v91, v92
	v_mul_f32_e32 v92, v120, v202
	v_fmac_f32_e32 v140, v132, v213
	v_fma_f32 v92, v119, v201, -v92
	v_add_f32_e32 v139, v139, v140
	s_waitcnt vmcnt(36)
	v_mul_f32_e32 v140, v133, v216
	v_add_f32_e32 v91, v91, v92
	v_mul_f32_e32 v92, v122, v204
	v_fmac_f32_e32 v140, v134, v215
	v_fma_f32 v92, v121, v203, -v92
	v_add_f32_e32 v139, v139, v140
	s_waitcnt vmcnt(34) lgkmcnt(0)
	v_mul_f32_e32 v140, v135, v218
	v_add_f32_e32 v91, v91, v92
	v_mul_f32_e32 v92, v124, v206
	v_fmac_f32_e32 v140, v136, v217
	v_fma_f32 v92, v123, v205, -v92
	v_add_f32_e32 v143, v139, v140
	ds_read_b128 v[139:142], v90 offset:576
	v_add_f32_e32 v91, v91, v92
	v_mul_f32_e32 v92, v126, v208
	v_fma_f32 v92, v125, v207, -v92
	s_waitcnt vmcnt(32)
	v_mul_f32_e32 v144, v137, v220
	v_add_f32_e32 v91, v91, v92
	v_mul_f32_e32 v92, v128, v210
	v_fmac_f32_e32 v144, v138, v219
	v_fma_f32 v92, v127, v209, -v92
	v_add_f32_e32 v147, v143, v144
	ds_read_b128 v[143:146], v90 offset:592
	v_add_f32_e32 v91, v91, v92
	v_mul_f32_e32 v92, v130, v212
	s_waitcnt vmcnt(30) lgkmcnt(1)
	v_mul_f32_e32 v148, v139, v222
	v_fma_f32 v92, v129, v211, -v92
	v_fmac_f32_e32 v148, v140, v221
	v_add_f32_e32 v91, v91, v92
	v_mul_f32_e32 v92, v132, v214
	v_add_f32_e32 v147, v147, v148
	s_waitcnt vmcnt(29)
	v_mul_f32_e32 v148, v141, v223
	v_fma_f32 v92, v131, v213, -v92
	s_waitcnt vmcnt(28)
	v_fmac_f32_e32 v148, v142, v224
	v_add_f32_e32 v91, v91, v92
	v_mul_f32_e32 v92, v134, v216
	v_add_f32_e32 v147, v147, v148
	s_waitcnt vmcnt(26) lgkmcnt(0)
	v_mul_f32_e32 v148, v143, v226
	v_fma_f32 v92, v133, v215, -v92
	v_fmac_f32_e32 v148, v144, v225
	v_add_f32_e32 v91, v91, v92
	v_mul_f32_e32 v92, v136, v218
	v_add_f32_e32 v151, v147, v148
	ds_read_b128 v[147:150], v90 offset:608
	v_fma_f32 v92, v135, v217, -v92
	v_add_f32_e32 v91, v91, v92
	v_mul_f32_e32 v92, v138, v220
	s_waitcnt vmcnt(24)
	v_mul_f32_e32 v152, v145, v228
	v_fma_f32 v92, v137, v219, -v92
	v_fmac_f32_e32 v152, v146, v227
	v_add_f32_e32 v91, v91, v92
	v_mul_f32_e32 v92, v140, v222
	v_add_f32_e32 v155, v151, v152
	ds_read_b128 v[151:154], v90 offset:624
	v_fma_f32 v92, v139, v221, -v92
	s_waitcnt vmcnt(22) lgkmcnt(1)
	v_mul_f32_e32 v156, v147, v230
	v_add_f32_e32 v91, v91, v92
	v_mul_f32_e32 v92, v142, v223
	v_fmac_f32_e32 v156, v148, v229
	v_fma_f32 v92, v141, v224, -v92
	v_add_f32_e32 v155, v155, v156
	s_waitcnt vmcnt(21)
	v_mul_f32_e32 v156, v149, v231
	v_add_f32_e32 v91, v91, v92
	v_mul_f32_e32 v92, v144, v226
	s_waitcnt vmcnt(20)
	v_fmac_f32_e32 v156, v150, v232
	v_fma_f32 v92, v143, v225, -v92
	v_add_f32_e32 v155, v155, v156
	s_waitcnt vmcnt(18) lgkmcnt(0)
	v_mul_f32_e32 v156, v151, v234
	v_add_f32_e32 v91, v91, v92
	v_mul_f32_e32 v92, v146, v228
	v_fmac_f32_e32 v156, v152, v233
	v_fma_f32 v92, v145, v227, -v92
	v_add_f32_e32 v159, v155, v156
	ds_read_b128 v[155:158], v90 offset:640
	v_add_f32_e32 v91, v91, v92
	v_mul_f32_e32 v92, v148, v230
	v_fma_f32 v92, v147, v229, -v92
	s_waitcnt vmcnt(16)
	v_mul_f32_e32 v160, v153, v236
	v_add_f32_e32 v91, v91, v92
	v_mul_f32_e32 v92, v150, v231
	v_fmac_f32_e32 v160, v154, v235
	v_fma_f32 v92, v149, v232, -v92
	v_add_f32_e32 v163, v159, v160
	ds_read_b128 v[159:162], v90 offset:656
	v_add_f32_e32 v91, v91, v92
	v_mul_f32_e32 v92, v152, v234
	s_waitcnt vmcnt(14) lgkmcnt(1)
	v_mul_f32_e32 v164, v155, v238
	v_fma_f32 v92, v151, v233, -v92
	v_fmac_f32_e32 v164, v156, v237
	v_add_f32_e32 v91, v91, v92
	v_mul_f32_e32 v92, v154, v236
	v_add_f32_e32 v163, v163, v164
	s_waitcnt vmcnt(13)
	v_mul_f32_e32 v164, v157, v239
	v_fma_f32 v92, v153, v235, -v92
	s_waitcnt vmcnt(12)
	v_fmac_f32_e32 v164, v158, v240
	v_add_f32_e32 v91, v91, v92
	v_mul_f32_e32 v92, v156, v238
	v_add_f32_e32 v163, v163, v164
	s_waitcnt vmcnt(10) lgkmcnt(0)
	v_mul_f32_e32 v164, v159, v242
	v_fma_f32 v92, v155, v237, -v92
	v_fmac_f32_e32 v164, v160, v241
	v_add_f32_e32 v91, v91, v92
	v_mul_f32_e32 v92, v158, v239
	v_add_f32_e32 v167, v163, v164
	ds_read_b128 v[163:166], v90 offset:672
	v_fma_f32 v92, v157, v240, -v92
	v_add_f32_e32 v91, v91, v92
	v_mul_f32_e32 v92, v160, v242
	s_waitcnt vmcnt(8)
	v_mul_f32_e32 v168, v161, v244
	v_fma_f32 v92, v159, v241, -v92
	v_fmac_f32_e32 v168, v162, v243
	v_add_f32_e32 v91, v91, v92
	v_mul_f32_e32 v92, v162, v244
	v_add_f32_e32 v253, v167, v168
	ds_read_b128 v[167:170], v90 offset:688
	v_fma_f32 v92, v161, v243, -v92
	v_add_f32_e32 v91, v91, v92
	s_waitcnt vmcnt(6) lgkmcnt(1)
	v_mul_f32_e32 v92, v164, v246
	v_mul_f32_e32 v90, v163, v246
	v_fma_f32 v92, v163, v245, -v92
	v_fmac_f32_e32 v90, v164, v245
	v_add_f32_e32 v91, v91, v92
	s_waitcnt vmcnt(5)
	v_mul_f32_e32 v92, v166, v247
	v_add_f32_e32 v90, v253, v90
	v_mul_f32_e32 v253, v165, v247
	s_waitcnt vmcnt(4)
	v_fma_f32 v92, v165, v248, -v92
	v_fmac_f32_e32 v253, v166, v248
	v_add_f32_e32 v91, v91, v92
	s_waitcnt vmcnt(2) lgkmcnt(0)
	v_mul_f32_e32 v92, v168, v250
	v_add_f32_e32 v90, v90, v253
	v_mul_f32_e32 v253, v167, v250
	v_fma_f32 v92, v167, v249, -v92
	v_fmac_f32_e32 v253, v168, v249
	v_add_f32_e32 v91, v91, v92
	s_waitcnt vmcnt(0)
	v_mul_f32_e32 v92, v170, v252
	v_add_f32_e32 v90, v90, v253
	v_mul_f32_e32 v253, v169, v252
	v_fma_f32 v92, v169, v251, -v92
	v_fmac_f32_e32 v253, v170, v251
	v_add_f32_e32 v91, v91, v92
	v_add_f32_e32 v90, v90, v253
	v_sub_f32_e32 v91, v196, v91
	v_sub_f32_e32 v90, v197, v90
	buffer_store_dword v91, off, s[0:3], 0 offset:24
	buffer_store_dword v90, off, s[0:3], 0 offset:28
	s_and_saveexec_b64 s[4:5], vcc
	s_cbranch_execz .LBB107_273
; %bb.272:
	buffer_load_dword v90, off, s[0:3], 0 offset:16
	buffer_load_dword v91, off, s[0:3], 0 offset:20
	v_mov_b32_e32 v92, 0
	buffer_store_dword v92, off, s[0:3], 0 offset:16
	buffer_store_dword v92, off, s[0:3], 0 offset:20
	s_waitcnt vmcnt(2)
	ds_write_b64 v89, v[90:91]
.LBB107_273:
	s_or_b64 exec, exec, s[4:5]
	s_waitcnt lgkmcnt(0)
	; wave barrier
	buffer_load_dword v99, off, s[0:3], 0 offset:28
	buffer_load_dword v98, off, s[0:3], 0 offset:36
	;; [unrolled: 1-line block ×50, first 2 shown]
	v_mov_b32_e32 v90, 0
	ds_read2_b64 v[100:103], v90 offset0:47 offset1:48
	ds_read2_b64 v[104:107], v90 offset0:49 offset1:50
	;; [unrolled: 1-line block ×6, first 2 shown]
	buffer_load_dword v223, off, s[0:3], 0 offset:216
	buffer_load_dword v224, off, s[0:3], 0 offset:220
	;; [unrolled: 1-line block ×6, first 2 shown]
	v_cmp_lt_u32_e32 vcc, 1, v0
	s_waitcnt vmcnt(55) lgkmcnt(5)
	v_mul_f32_e32 v124, v100, v99
	s_waitcnt vmcnt(54)
	v_mul_f32_e32 v125, v102, v98
	s_waitcnt vmcnt(53) lgkmcnt(4)
	v_mul_f32_e32 v126, v104, v97
	s_waitcnt vmcnt(52)
	v_mul_f32_e32 v127, v106, v96
	;; [unrolled: 4-line block ×5, first 2 shown]
	s_waitcnt vmcnt(45) lgkmcnt(0)
	v_mul_f32_e32 v134, v120, v185
	s_waitcnt vmcnt(44)
	v_fmac_f32_e32 v126, v105, v186
	s_waitcnt vmcnt(43)
	v_fmac_f32_e32 v125, v103, v187
	;; [unrolled: 2-line block ×3, first 2 shown]
	v_add_f32_e32 v124, 0, v124
	v_add_f32_e32 v124, v124, v125
	;; [unrolled: 1-line block ×3, first 2 shown]
	s_waitcnt vmcnt(38)
	v_fmac_f32_e32 v127, v107, v192
	v_fmac_f32_e32 v128, v109, v191
	v_add_f32_e32 v124, v124, v127
	v_fmac_f32_e32 v129, v111, v190
	v_add_f32_e32 v124, v124, v128
	;; [unrolled: 2-line block ×3, first 2 shown]
	s_waitcnt vmcnt(34)
	v_fmac_f32_e32 v131, v115, v196
	v_add_f32_e32 v124, v124, v130
	v_fmac_f32_e32 v132, v117, v195
	v_add_f32_e32 v124, v124, v131
	;; [unrolled: 2-line block ×4, first 2 shown]
	v_add_f32_e32 v128, v124, v134
	ds_read2_b64 v[124:127], v90 offset0:59 offset1:60
	buffer_load_dword v229, off, s[0:3], 0 offset:240
	buffer_load_dword v230, off, s[0:3], 0 offset:244
	s_waitcnt vmcnt(35)
	v_mul_f32_e32 v129, v122, v197
	s_waitcnt vmcnt(29)
	v_fmac_f32_e32 v129, v123, v203
	v_add_f32_e32 v132, v128, v129
	ds_read2_b64 v[128:131], v90 offset0:61 offset1:62
	buffer_load_dword v231, off, s[0:3], 0 offset:248
	buffer_load_dword v232, off, s[0:3], 0 offset:252
	;; [unrolled: 1-line block ×14, first 2 shown]
	s_waitcnt vmcnt(42) lgkmcnt(1)
	v_mul_f32_e32 v133, v124, v204
	v_fmac_f32_e32 v133, v125, v202
	buffer_load_dword v245, off, s[0:3], 0 offset:304
	buffer_load_dword v246, off, s[0:3], 0 offset:308
	v_add_f32_e32 v132, v132, v133
	v_mul_f32_e32 v133, v126, v199
	v_fmac_f32_e32 v133, v127, v198
	v_add_f32_e32 v132, v132, v133
	s_waitcnt lgkmcnt(0)
	v_mul_f32_e32 v133, v128, v201
	v_fmac_f32_e32 v133, v129, v200
	v_add_f32_e32 v136, v132, v133
	ds_read2_b64 v[132:135], v90 offset0:63 offset1:64
	buffer_load_dword v247, off, s[0:3], 0 offset:312
	buffer_load_dword v248, off, s[0:3], 0 offset:316
	;; [unrolled: 1-line block ×6, first 2 shown]
	s_waitcnt vmcnt(46)
	v_mul_f32_e32 v137, v130, v206
	v_fmac_f32_e32 v137, v131, v205
	v_add_f32_e32 v140, v136, v137
	ds_read2_b64 v[136:139], v90 offset0:65 offset1:66
	buffer_load_dword v253, off, s[0:3], 0 offset:340
	buffer_load_dword v254, off, s[0:3], 0 offset:344
	;; [unrolled: 1-line block ×4, first 2 shown]
	s_waitcnt vmcnt(48) lgkmcnt(1)
	v_mul_f32_e32 v141, v132, v208
	v_fmac_f32_e32 v141, v133, v207
	v_add_f32_e32 v4, v140, v141
	s_waitcnt vmcnt(46)
	v_mul_f32_e32 v140, v134, v210
	v_fmac_f32_e32 v140, v135, v209
	v_add_f32_e32 v4, v4, v140
	s_waitcnt vmcnt(44) lgkmcnt(0)
	v_mul_f32_e32 v140, v136, v212
	v_fmac_f32_e32 v140, v137, v211
	v_add_f32_e32 v4, v4, v140
	ds_read2_b64 v[140:143], v90 offset0:67 offset1:68
	s_waitcnt vmcnt(42)
	v_mul_f32_e32 v144, v138, v214
	v_fmac_f32_e32 v144, v139, v213
	v_add_f32_e32 v4, v4, v144
	ds_read2_b64 v[144:147], v90 offset0:69 offset1:70
	s_waitcnt vmcnt(40) lgkmcnt(1)
	v_mul_f32_e32 v148, v140, v216
	v_fmac_f32_e32 v148, v141, v215
	v_add_f32_e32 v4, v4, v148
	s_waitcnt vmcnt(38)
	v_mul_f32_e32 v148, v142, v218
	v_fmac_f32_e32 v148, v143, v217
	v_add_f32_e32 v4, v4, v148
	s_waitcnt vmcnt(36) lgkmcnt(0)
	v_mul_f32_e32 v148, v144, v220
	v_fmac_f32_e32 v148, v145, v219
	v_add_f32_e32 v4, v4, v148
	ds_read2_b64 v[148:151], v90 offset0:71 offset1:72
	s_waitcnt vmcnt(34)
	v_mul_f32_e32 v152, v146, v222
	v_fmac_f32_e32 v152, v147, v221
	v_add_f32_e32 v4, v4, v152
	ds_read2_b64 v[152:155], v90 offset0:73 offset1:74
	s_waitcnt vmcnt(32) lgkmcnt(1)
	v_mul_f32_e32 v156, v148, v224
	v_fmac_f32_e32 v156, v149, v223
	v_add_f32_e32 v4, v4, v156
	s_waitcnt vmcnt(31)
	v_mul_f32_e32 v156, v150, v225
	s_waitcnt vmcnt(28)
	v_fmac_f32_e32 v156, v151, v228
	v_add_f32_e32 v4, v4, v156
	s_waitcnt lgkmcnt(0)
	v_mul_f32_e32 v156, v152, v227
	v_fmac_f32_e32 v156, v153, v226
	v_add_f32_e32 v4, v4, v156
	ds_read2_b64 v[156:159], v90 offset0:75 offset1:76
	v_mul_f32_e32 v6, v103, v98
	v_fma_f32 v6, v102, v187, -v6
	s_waitcnt vmcnt(26)
	v_mul_f32_e32 v160, v154, v230
	v_fmac_f32_e32 v160, v155, v229
	v_add_f32_e32 v4, v4, v160
	ds_read2_b64 v[160:163], v90 offset0:77 offset1:78
	s_waitcnt vmcnt(24) lgkmcnt(1)
	v_mul_f32_e32 v164, v156, v232
	v_fmac_f32_e32 v164, v157, v231
	v_add_f32_e32 v4, v4, v164
	s_waitcnt vmcnt(23)
	v_mul_f32_e32 v164, v158, v233
	s_waitcnt vmcnt(20)
	v_fmac_f32_e32 v164, v159, v236
	v_add_f32_e32 v4, v4, v164
	s_waitcnt lgkmcnt(0)
	v_mul_f32_e32 v164, v160, v235
	v_fmac_f32_e32 v164, v161, v234
	v_add_f32_e32 v4, v4, v164
	ds_read2_b64 v[164:167], v90 offset0:79 offset1:80
	s_waitcnt vmcnt(18)
	v_mul_f32_e32 v168, v162, v238
	v_fmac_f32_e32 v168, v163, v237
	v_add_f32_e32 v4, v4, v168
	ds_read2_b64 v[168:171], v90 offset0:81 offset1:82
	s_waitcnt vmcnt(16) lgkmcnt(1)
	v_mul_f32_e32 v172, v164, v240
	v_fmac_f32_e32 v172, v165, v239
	v_add_f32_e32 v4, v4, v172
	s_waitcnt vmcnt(15)
	v_mul_f32_e32 v172, v166, v241
	s_waitcnt vmcnt(12)
	v_fmac_f32_e32 v172, v167, v244
	v_add_f32_e32 v4, v4, v172
	s_waitcnt lgkmcnt(0)
	v_mul_f32_e32 v172, v168, v243
	v_fmac_f32_e32 v172, v169, v242
	v_add_f32_e32 v4, v4, v172
	ds_read2_b64 v[172:175], v90 offset0:83 offset1:84
	s_waitcnt vmcnt(10)
	v_mul_f32_e32 v176, v170, v246
	v_fmac_f32_e32 v176, v171, v245
	v_add_f32_e32 v4, v4, v176
	ds_read2_b64 v[176:179], v90 offset0:85 offset1:86
	s_waitcnt vmcnt(8) lgkmcnt(1)
	v_mul_f32_e32 v180, v172, v248
	v_fmac_f32_e32 v180, v173, v247
	v_add_f32_e32 v4, v4, v180
	s_waitcnt vmcnt(7)
	v_mul_f32_e32 v180, v174, v249
	s_waitcnt vmcnt(4)
	v_fmac_f32_e32 v180, v175, v252
	v_add_f32_e32 v4, v4, v180
	ds_read_b64 v[180:181], v90 offset:696
	s_waitcnt lgkmcnt(1)
	v_mul_f32_e32 v5, v176, v251
	v_fmac_f32_e32 v5, v177, v250
	v_add_f32_e32 v4, v4, v5
	s_waitcnt vmcnt(3)
	v_mul_f32_e32 v5, v178, v253
	s_waitcnt vmcnt(0)
	v_fmac_f32_e32 v5, v179, v3
	v_add_f32_e32 v4, v4, v5
	s_waitcnt lgkmcnt(0)
	v_mul_f32_e32 v5, v180, v255
	v_fmac_f32_e32 v5, v181, v254
	v_add_f32_e32 v4, v4, v5
	v_mul_f32_e32 v5, v101, v99
	v_fma_f32 v5, v100, v188, -v5
	v_add_f32_e32 v5, 0, v5
	v_add_f32_e32 v5, v5, v6
	v_mul_f32_e32 v6, v105, v97
	v_fma_f32 v6, v104, v186, -v6
	v_add_f32_e32 v5, v5, v6
	v_mul_f32_e32 v6, v107, v96
	v_fma_f32 v6, v106, v192, -v6
	;; [unrolled: 3-line block ×39, first 2 shown]
	v_add_f32_e32 v3, v3, v5
	v_sub_f32_e32 v3, v93, v3
	v_sub_f32_e32 v4, v94, v4
	buffer_store_dword v3, off, s[0:3], 0 offset:16
	buffer_store_dword v4, off, s[0:3], 0 offset:20
	s_and_saveexec_b64 s[4:5], vcc
	s_cbranch_execz .LBB107_275
; %bb.274:
	buffer_load_dword v91, off, s[0:3], 0 offset:8
	buffer_load_dword v92, off, s[0:3], 0 offset:12
	s_waitcnt vmcnt(0)
	ds_write_b64 v89, v[91:92]
	buffer_store_dword v90, off, s[0:3], 0 offset:8
	buffer_store_dword v90, off, s[0:3], 0 offset:12
.LBB107_275:
	s_or_b64 exec, exec, s[4:5]
	s_waitcnt lgkmcnt(0)
	; wave barrier
	buffer_load_dword v3, off, s[0:3], 0 offset:20
	buffer_load_dword v4, off, s[0:3], 0 offset:28
	;; [unrolled: 1-line block ×32, first 2 shown]
	ds_read_b128 v[91:94], v90 offset:368
	ds_read_b128 v[95:98], v90 offset:384
	;; [unrolled: 1-line block ×6, first 2 shown]
	buffer_load_dword v203, off, s[0:3], 0 offset:136
	buffer_load_dword v204, off, s[0:3], 0 offset:140
	;; [unrolled: 1-line block ×18, first 2 shown]
	v_cmp_ne_u32_e32 vcc, 0, v0
	s_waitcnt vmcnt(49) lgkmcnt(5)
	v_mul_f32_e32 v115, v91, v3
	s_waitcnt vmcnt(48)
	v_mul_f32_e32 v116, v93, v4
	s_waitcnt vmcnt(47) lgkmcnt(4)
	v_mul_f32_e32 v117, v95, v5
	s_waitcnt vmcnt(46)
	v_mul_f32_e32 v118, v97, v6
	;; [unrolled: 4-line block ×6, first 2 shown]
	s_waitcnt vmcnt(37)
	v_fmac_f32_e32 v117, v96, v183
	s_waitcnt vmcnt(36)
	v_fmac_f32_e32 v116, v94, v184
	;; [unrolled: 2-line block ×3, first 2 shown]
	v_add_f32_e32 v115, 0, v115
	v_add_f32_e32 v115, v115, v116
	;; [unrolled: 1-line block ×3, first 2 shown]
	s_waitcnt vmcnt(31)
	v_fmac_f32_e32 v118, v98, v189
	v_fmac_f32_e32 v119, v100, v188
	v_add_f32_e32 v115, v115, v118
	v_fmac_f32_e32 v120, v102, v187
	v_add_f32_e32 v115, v115, v119
	;; [unrolled: 2-line block ×3, first 2 shown]
	s_waitcnt vmcnt(27)
	v_fmac_f32_e32 v122, v106, v193
	v_add_f32_e32 v115, v115, v121
	v_fmac_f32_e32 v123, v108, v192
	v_add_f32_e32 v115, v115, v122
	;; [unrolled: 2-line block ×3, first 2 shown]
	v_add_f32_e32 v119, v115, v124
	ds_read_b128 v[115:118], v90 offset:464
	buffer_load_dword v221, off, s[0:3], 0 offset:208
	buffer_load_dword v222, off, s[0:3], 0 offset:212
	;; [unrolled: 1-line block ×6, first 2 shown]
	v_fmac_f32_e32 v125, v112, v190
	s_waitcnt vmcnt(27)
	v_fmac_f32_e32 v126, v114, v199
	v_add_f32_e32 v119, v119, v125
	v_add_f32_e32 v123, v119, v126
	ds_read_b128 v[119:122], v90 offset:480
	buffer_load_dword v227, off, s[0:3], 0 offset:232
	buffer_load_dword v228, off, s[0:3], 0 offset:236
	buffer_load_dword v229, off, s[0:3], 0 offset:240
	buffer_load_dword v230, off, s[0:3], 0 offset:244
	buffer_load_dword v231, off, s[0:3], 0 offset:252
	buffer_load_dword v232, off, s[0:3], 0 offset:256
	buffer_load_dword v233, off, s[0:3], 0 offset:260
	buffer_load_dword v234, off, s[0:3], 0 offset:248
	buffer_load_dword v235, off, s[0:3], 0 offset:264
	buffer_load_dword v236, off, s[0:3], 0 offset:268
	s_waitcnt vmcnt(36) lgkmcnt(1)
	v_mul_f32_e32 v124, v115, v200
	buffer_load_dword v237, off, s[0:3], 0 offset:272
	buffer_load_dword v238, off, s[0:3], 0 offset:276
	;; [unrolled: 1-line block ×6, first 2 shown]
	v_fmac_f32_e32 v124, v116, v198
	v_add_f32_e32 v123, v123, v124
	v_mul_f32_e32 v124, v117, v195
	v_fmac_f32_e32 v124, v118, v194
	v_add_f32_e32 v123, v123, v124
	s_waitcnt lgkmcnt(0)
	v_mul_f32_e32 v124, v119, v197
	v_fmac_f32_e32 v124, v120, v196
	v_add_f32_e32 v127, v123, v124
	ds_read_b128 v[123:126], v90 offset:496
	buffer_load_dword v243, off, s[0:3], 0 offset:296
	buffer_load_dword v244, off, s[0:3], 0 offset:300
	s_waitcnt vmcnt(40)
	v_mul_f32_e32 v128, v121, v204
	v_fmac_f32_e32 v128, v122, v203
	v_add_f32_e32 v131, v127, v128
	ds_read_b128 v[127:130], v90 offset:512
	buffer_load_dword v245, off, s[0:3], 0 offset:304
	buffer_load_dword v246, off, s[0:3], 0 offset:308
	;; [unrolled: 1-line block ×12, first 2 shown]
	v_mul_f32_e32 v3, v92, v3
	v_fma_f32 v3, v91, v185, -v3
	v_mul_f32_e32 v4, v94, v4
	v_add_f32_e32 v3, 0, v3
	v_fma_f32 v4, v93, v184, -v4
	v_add_f32_e32 v3, v3, v4
	v_mul_f32_e32 v4, v96, v5
	v_fma_f32 v4, v95, v183, -v4
	v_add_f32_e32 v3, v3, v4
	v_mul_f32_e32 v4, v98, v6
	;; [unrolled: 3-line block ×6, first 2 shown]
	v_fma_f32 v4, v105, v193, -v4
	s_waitcnt vmcnt(50) lgkmcnt(1)
	v_mul_f32_e32 v132, v123, v206
	v_add_f32_e32 v3, v3, v4
	v_mul_f32_e32 v4, v108, v179
	v_fmac_f32_e32 v132, v124, v205
	v_fma_f32 v4, v107, v192, -v4
	v_add_f32_e32 v131, v131, v132
	s_waitcnt vmcnt(48)
	v_mul_f32_e32 v132, v125, v208
	v_add_f32_e32 v3, v3, v4
	v_mul_f32_e32 v4, v110, v180
	v_fmac_f32_e32 v132, v126, v207
	v_fma_f32 v4, v109, v191, -v4
	v_add_f32_e32 v8, v131, v132
	s_waitcnt vmcnt(46) lgkmcnt(0)
	v_mul_f32_e32 v131, v127, v210
	v_add_f32_e32 v3, v3, v4
	v_mul_f32_e32 v4, v112, v181
	v_fmac_f32_e32 v131, v128, v209
	v_fma_f32 v4, v111, v190, -v4
	v_add_f32_e32 v8, v8, v131
	ds_read_b128 v[131:134], v90 offset:528
	v_add_f32_e32 v3, v3, v4
	v_mul_f32_e32 v4, v114, v182
	v_fma_f32 v4, v113, v199, -v4
	s_waitcnt vmcnt(44)
	v_mul_f32_e32 v135, v129, v212
	v_add_f32_e32 v3, v3, v4
	v_mul_f32_e32 v4, v116, v200
	v_fmac_f32_e32 v135, v130, v211
	v_fma_f32 v4, v115, v198, -v4
	v_add_f32_e32 v8, v8, v135
	ds_read_b128 v[135:138], v90 offset:544
	v_add_f32_e32 v3, v3, v4
	v_mul_f32_e32 v4, v118, v195
	s_waitcnt vmcnt(42) lgkmcnt(1)
	v_mul_f32_e32 v139, v131, v214
	v_fma_f32 v4, v117, v194, -v4
	v_fmac_f32_e32 v139, v132, v213
	v_add_f32_e32 v3, v3, v4
	v_mul_f32_e32 v4, v120, v197
	v_add_f32_e32 v8, v8, v139
	s_waitcnt vmcnt(40)
	v_mul_f32_e32 v139, v133, v216
	v_fma_f32 v4, v119, v196, -v4
	v_fmac_f32_e32 v139, v134, v215
	v_add_f32_e32 v3, v3, v4
	v_mul_f32_e32 v4, v122, v204
	v_add_f32_e32 v8, v8, v139
	s_waitcnt vmcnt(38) lgkmcnt(0)
	v_mul_f32_e32 v139, v135, v218
	v_fma_f32 v4, v121, v203, -v4
	v_fmac_f32_e32 v139, v136, v217
	v_add_f32_e32 v3, v3, v4
	v_mul_f32_e32 v4, v124, v206
	v_add_f32_e32 v8, v8, v139
	ds_read_b128 v[139:142], v90 offset:560
	v_fma_f32 v4, v123, v205, -v4
	v_add_f32_e32 v3, v3, v4
	v_mul_f32_e32 v4, v126, v208
	s_waitcnt vmcnt(36)
	v_mul_f32_e32 v143, v137, v220
	v_fma_f32 v4, v125, v207, -v4
	v_fmac_f32_e32 v143, v138, v219
	v_add_f32_e32 v3, v3, v4
	v_mul_f32_e32 v4, v128, v210
	v_add_f32_e32 v8, v8, v143
	ds_read_b128 v[143:146], v90 offset:576
	v_fma_f32 v4, v127, v209, -v4
	s_waitcnt vmcnt(34) lgkmcnt(1)
	v_mul_f32_e32 v147, v139, v222
	v_add_f32_e32 v3, v3, v4
	v_mul_f32_e32 v4, v130, v212
	v_fmac_f32_e32 v147, v140, v221
	v_fma_f32 v4, v129, v211, -v4
	v_add_f32_e32 v8, v8, v147
	s_waitcnt vmcnt(33)
	v_mul_f32_e32 v147, v141, v223
	v_add_f32_e32 v3, v3, v4
	v_mul_f32_e32 v4, v132, v214
	s_waitcnt vmcnt(30)
	v_fmac_f32_e32 v147, v142, v226
	v_fma_f32 v4, v131, v213, -v4
	v_add_f32_e32 v8, v8, v147
	s_waitcnt lgkmcnt(0)
	v_mul_f32_e32 v147, v143, v225
	v_add_f32_e32 v3, v3, v4
	v_mul_f32_e32 v4, v134, v216
	v_fmac_f32_e32 v147, v144, v224
	v_fma_f32 v4, v133, v215, -v4
	v_add_f32_e32 v8, v8, v147
	ds_read_b128 v[147:150], v90 offset:592
	v_add_f32_e32 v3, v3, v4
	v_mul_f32_e32 v4, v136, v218
	v_fma_f32 v4, v135, v217, -v4
	s_waitcnt vmcnt(28)
	v_mul_f32_e32 v151, v145, v228
	v_add_f32_e32 v3, v3, v4
	v_mul_f32_e32 v4, v138, v220
	v_fmac_f32_e32 v151, v146, v227
	v_fma_f32 v4, v137, v219, -v4
	v_add_f32_e32 v8, v8, v151
	ds_read_b128 v[151:154], v90 offset:608
	v_add_f32_e32 v3, v3, v4
	v_mul_f32_e32 v4, v140, v222
	s_waitcnt vmcnt(26) lgkmcnt(1)
	v_mul_f32_e32 v155, v147, v230
	v_fma_f32 v4, v139, v221, -v4
	v_fmac_f32_e32 v155, v148, v229
	v_add_f32_e32 v3, v3, v4
	v_mul_f32_e32 v4, v142, v223
	v_add_f32_e32 v8, v8, v155
	s_waitcnt vmcnt(25)
	v_mul_f32_e32 v155, v149, v231
	v_fma_f32 v4, v141, v226, -v4
	s_waitcnt vmcnt(22)
	v_fmac_f32_e32 v155, v150, v234
	v_add_f32_e32 v3, v3, v4
	v_mul_f32_e32 v4, v144, v225
	v_add_f32_e32 v8, v8, v155
	s_waitcnt lgkmcnt(0)
	v_mul_f32_e32 v155, v151, v233
	v_fma_f32 v4, v143, v224, -v4
	v_fmac_f32_e32 v155, v152, v232
	v_add_f32_e32 v3, v3, v4
	v_mul_f32_e32 v4, v146, v228
	v_add_f32_e32 v8, v8, v155
	ds_read_b128 v[155:158], v90 offset:624
	v_fma_f32 v4, v145, v227, -v4
	v_add_f32_e32 v3, v3, v4
	v_mul_f32_e32 v4, v148, v230
	s_waitcnt vmcnt(20)
	v_mul_f32_e32 v159, v153, v236
	v_fma_f32 v4, v147, v229, -v4
	v_fmac_f32_e32 v159, v154, v235
	v_add_f32_e32 v3, v3, v4
	v_mul_f32_e32 v4, v150, v231
	v_add_f32_e32 v8, v8, v159
	ds_read_b128 v[159:162], v90 offset:640
	v_fma_f32 v4, v149, v234, -v4
	s_waitcnt vmcnt(18) lgkmcnt(1)
	v_mul_f32_e32 v163, v155, v238
	v_add_f32_e32 v3, v3, v4
	v_mul_f32_e32 v4, v152, v233
	v_fmac_f32_e32 v163, v156, v237
	v_fma_f32 v4, v151, v232, -v4
	v_add_f32_e32 v8, v8, v163
	s_waitcnt vmcnt(17)
	v_mul_f32_e32 v163, v157, v239
	v_add_f32_e32 v3, v3, v4
	v_mul_f32_e32 v4, v154, v236
	s_waitcnt vmcnt(14)
	v_fmac_f32_e32 v163, v158, v242
	v_fma_f32 v4, v153, v235, -v4
	v_add_f32_e32 v8, v8, v163
	s_waitcnt lgkmcnt(0)
	v_mul_f32_e32 v163, v159, v241
	v_add_f32_e32 v3, v3, v4
	v_mul_f32_e32 v4, v156, v238
	v_fmac_f32_e32 v163, v160, v240
	v_fma_f32 v4, v155, v237, -v4
	v_add_f32_e32 v8, v8, v163
	ds_read_b128 v[163:166], v90 offset:656
	v_add_f32_e32 v3, v3, v4
	v_mul_f32_e32 v4, v158, v239
	v_fma_f32 v4, v157, v242, -v4
	v_add_f32_e32 v3, v3, v4
	v_mul_f32_e32 v4, v160, v241
	s_waitcnt vmcnt(12)
	v_mul_f32_e32 v167, v161, v244
	v_fma_f32 v4, v159, v240, -v4
	v_fmac_f32_e32 v167, v162, v243
	v_add_f32_e32 v3, v3, v4
	v_mul_f32_e32 v4, v162, v244
	v_add_f32_e32 v8, v8, v167
	ds_read_b128 v[167:170], v90 offset:672
	s_waitcnt vmcnt(10) lgkmcnt(1)
	v_mul_f32_e32 v171, v163, v246
	v_fma_f32 v4, v161, v243, -v4
	v_fmac_f32_e32 v171, v164, v245
	v_add_f32_e32 v3, v3, v4
	v_mul_f32_e32 v4, v164, v246
	v_add_f32_e32 v8, v8, v171
	s_waitcnt vmcnt(9)
	v_mul_f32_e32 v171, v165, v247
	v_fma_f32 v4, v163, v245, -v4
	s_waitcnt vmcnt(6)
	v_fmac_f32_e32 v171, v166, v250
	v_add_f32_e32 v3, v3, v4
	v_mul_f32_e32 v4, v166, v247
	v_add_f32_e32 v8, v8, v171
	ds_read_b128 v[171:174], v90 offset:688
	v_fma_f32 v4, v165, v250, -v4
	v_add_f32_e32 v3, v3, v4
	s_waitcnt lgkmcnt(1)
	v_mul_f32_e32 v4, v168, v249
	v_mul_f32_e32 v9, v167, v249
	v_fma_f32 v4, v167, v248, -v4
	v_fmac_f32_e32 v9, v168, v248
	v_add_f32_e32 v3, v3, v4
	s_waitcnt vmcnt(4)
	v_mul_f32_e32 v4, v170, v252
	v_add_f32_e32 v8, v8, v9
	v_mul_f32_e32 v9, v169, v252
	v_fma_f32 v4, v169, v251, -v4
	v_fmac_f32_e32 v9, v170, v251
	v_add_f32_e32 v3, v3, v4
	s_waitcnt vmcnt(3) lgkmcnt(0)
	v_mul_f32_e32 v4, v172, v253
	v_add_f32_e32 v8, v8, v9
	v_mul_f32_e32 v9, v171, v253
	s_waitcnt vmcnt(0)
	v_fma_f32 v4, v171, v7, -v4
	v_fmac_f32_e32 v9, v172, v7
	v_add_f32_e32 v3, v3, v4
	v_mul_f32_e32 v4, v174, v255
	v_add_f32_e32 v8, v8, v9
	v_mul_f32_e32 v9, v173, v255
	v_fma_f32 v4, v173, v254, -v4
	v_fmac_f32_e32 v9, v174, v254
	v_add_f32_e32 v3, v3, v4
	v_add_f32_e32 v8, v8, v9
	v_sub_f32_e32 v3, v201, v3
	v_sub_f32_e32 v4, v202, v8
	buffer_store_dword v3, off, s[0:3], 0 offset:8
	buffer_store_dword v4, off, s[0:3], 0 offset:12
	s_and_saveexec_b64 s[4:5], vcc
	s_cbranch_execz .LBB107_277
; %bb.276:
	buffer_load_dword v90, off, s[0:3], 0
	buffer_load_dword v91, off, s[0:3], 0 offset:4
	v_mov_b32_e32 v0, 0
	buffer_store_dword v0, off, s[0:3], 0
	buffer_store_dword v0, off, s[0:3], 0 offset:4
	s_waitcnt vmcnt(2)
	ds_write_b64 v89, v[90:91]
.LBB107_277:
	s_or_b64 exec, exec, s[4:5]
	s_waitcnt lgkmcnt(0)
	; wave barrier
	buffer_load_dword v97, off, s[0:3], 0 offset:12
	buffer_load_dword v96, off, s[0:3], 0 offset:20
	;; [unrolled: 1-line block ×30, first 2 shown]
	buffer_load_dword v89, off, s[0:3], 0
	buffer_load_dword v90, off, s[0:3], 0 offset:4
	buffer_load_dword v199, off, s[0:3], 0 offset:128
	;; [unrolled: 1-line block ×17, first 2 shown]
	v_mov_b32_e32 v0, 0
	ds_read2_b64 v[103:106], v0 offset0:45 offset1:46
	ds_read2_b64 v[107:110], v0 offset0:47 offset1:48
	;; [unrolled: 1-line block ×6, first 2 shown]
	buffer_load_dword v215, off, s[0:3], 0 offset:192
	buffer_load_dword v216, off, s[0:3], 0 offset:196
	s_and_b64 vcc, exec, s[14:15]
	s_waitcnt vmcnt(49) lgkmcnt(5)
	v_mul_f32_e32 v127, v103, v97
	s_waitcnt vmcnt(48)
	v_mul_f32_e32 v128, v105, v96
	s_waitcnt vmcnt(47) lgkmcnt(4)
	v_mul_f32_e32 v129, v107, v95
	s_waitcnt vmcnt(46)
	v_mul_f32_e32 v130, v109, v94
	;; [unrolled: 4-line block ×6, first 2 shown]
	s_waitcnt vmcnt(37)
	v_fmac_f32_e32 v129, v108, v3
	s_waitcnt vmcnt(36)
	v_fmac_f32_e32 v128, v106, v4
	;; [unrolled: 2-line block ×3, first 2 shown]
	v_add_f32_e32 v127, 0, v127
	v_add_f32_e32 v127, v127, v128
	;; [unrolled: 1-line block ×3, first 2 shown]
	s_waitcnt vmcnt(31)
	v_fmac_f32_e32 v130, v110, v9
	v_fmac_f32_e32 v131, v112, v8
	v_add_f32_e32 v127, v127, v130
	v_fmac_f32_e32 v132, v114, v7
	v_add_f32_e32 v127, v127, v131
	;; [unrolled: 2-line block ×3, first 2 shown]
	s_waitcnt vmcnt(27)
	v_fmac_f32_e32 v134, v118, v191
	v_add_f32_e32 v127, v127, v133
	v_fmac_f32_e32 v135, v120, v190
	v_add_f32_e32 v127, v127, v134
	;; [unrolled: 2-line block ×4, first 2 shown]
	v_add_f32_e32 v131, v127, v137
	ds_read2_b64 v[127:130], v0 offset0:57 offset1:58
	buffer_load_dword v217, off, s[0:3], 0 offset:200
	buffer_load_dword v218, off, s[0:3], 0 offset:204
	;; [unrolled: 1-line block ×6, first 2 shown]
	s_waitcnt vmcnt(28)
	v_fmac_f32_e32 v138, v126, v196
	v_add_f32_e32 v135, v131, v138
	ds_read2_b64 v[131:134], v0 offset0:59 offset1:60
	buffer_load_dword v223, off, s[0:3], 0 offset:224
	buffer_load_dword v224, off, s[0:3], 0 offset:228
	;; [unrolled: 1-line block ×8, first 2 shown]
	s_waitcnt vmcnt(35) lgkmcnt(1)
	v_mul_f32_e32 v136, v127, v197
	buffer_load_dword v231, off, s[0:3], 0 offset:256
	buffer_load_dword v232, off, s[0:3], 0 offset:260
	v_fmac_f32_e32 v136, v128, v195
	v_add_f32_e32 v135, v135, v136
	s_waitcnt vmcnt(36)
	v_mul_f32_e32 v136, v129, v198
	v_fmac_f32_e32 v136, v130, v194
	v_add_f32_e32 v135, v135, v136
	s_waitcnt lgkmcnt(0)
	v_mul_f32_e32 v136, v131, v193
	v_fmac_f32_e32 v136, v132, v192
	v_add_f32_e32 v139, v135, v136
	ds_read2_b64 v[135:138], v0 offset0:61 offset1:62
	buffer_load_dword v233, off, s[0:3], 0 offset:264
	buffer_load_dword v234, off, s[0:3], 0 offset:268
	;; [unrolled: 1-line block ×6, first 2 shown]
	s_waitcnt vmcnt(38)
	v_mul_f32_e32 v140, v133, v200
	v_fmac_f32_e32 v140, v134, v199
	v_add_f32_e32 v143, v139, v140
	ds_read2_b64 v[139:142], v0 offset0:63 offset1:64
	buffer_load_dword v239, off, s[0:3], 0 offset:288
	buffer_load_dword v240, off, s[0:3], 0 offset:292
	;; [unrolled: 1-line block ×16, first 2 shown]
	s_waitcnt vmcnt(52) lgkmcnt(1)
	v_mul_f32_e32 v144, v135, v202
	v_fmac_f32_e32 v144, v136, v201
	v_add_f32_e32 v143, v143, v144
	s_waitcnt vmcnt(50)
	v_mul_f32_e32 v144, v137, v204
	v_fmac_f32_e32 v144, v138, v203
	v_add_f32_e32 v143, v143, v144
	s_waitcnt vmcnt(48) lgkmcnt(0)
	v_mul_f32_e32 v144, v139, v206
	v_fmac_f32_e32 v144, v140, v205
	v_add_f32_e32 v147, v143, v144
	ds_read2_b64 v[143:146], v0 offset0:65 offset1:66
	s_waitcnt vmcnt(46)
	v_mul_f32_e32 v148, v141, v208
	v_fmac_f32_e32 v148, v142, v207
	v_add_f32_e32 v151, v147, v148
	ds_read2_b64 v[147:150], v0 offset0:67 offset1:68
	s_waitcnt vmcnt(44) lgkmcnt(1)
	v_mul_f32_e32 v152, v143, v210
	v_fmac_f32_e32 v152, v144, v209
	v_add_f32_e32 v151, v151, v152
	s_waitcnt vmcnt(42)
	v_mul_f32_e32 v152, v145, v212
	v_fmac_f32_e32 v152, v146, v211
	v_add_f32_e32 v151, v151, v152
	s_waitcnt vmcnt(40) lgkmcnt(0)
	v_mul_f32_e32 v152, v147, v214
	v_fmac_f32_e32 v152, v148, v213
	v_add_f32_e32 v155, v151, v152
	ds_read2_b64 v[151:154], v0 offset0:69 offset1:70
	s_waitcnt vmcnt(38)
	v_mul_f32_e32 v156, v149, v216
	v_fmac_f32_e32 v156, v150, v215
	v_add_f32_e32 v159, v155, v156
	ds_read2_b64 v[155:158], v0 offset0:71 offset1:72
	s_waitcnt vmcnt(36) lgkmcnt(1)
	v_mul_f32_e32 v160, v151, v218
	v_fmac_f32_e32 v160, v152, v217
	v_add_f32_e32 v159, v159, v160
	s_waitcnt vmcnt(35)
	v_mul_f32_e32 v160, v153, v219
	s_waitcnt vmcnt(32)
	v_fmac_f32_e32 v160, v154, v222
	v_add_f32_e32 v159, v159, v160
	s_waitcnt lgkmcnt(0)
	v_mul_f32_e32 v160, v155, v221
	v_fmac_f32_e32 v160, v156, v220
	v_add_f32_e32 v163, v159, v160
	ds_read2_b64 v[159:162], v0 offset0:73 offset1:74
	s_waitcnt vmcnt(30)
	v_mul_f32_e32 v164, v157, v224
	v_fmac_f32_e32 v164, v158, v223
	v_add_f32_e32 v167, v163, v164
	ds_read2_b64 v[163:166], v0 offset0:75 offset1:76
	s_waitcnt vmcnt(28) lgkmcnt(1)
	v_mul_f32_e32 v168, v159, v226
	v_fmac_f32_e32 v168, v160, v225
	v_add_f32_e32 v167, v167, v168
	s_waitcnt vmcnt(27)
	v_mul_f32_e32 v168, v161, v227
	s_waitcnt vmcnt(24)
	v_fmac_f32_e32 v168, v162, v230
	v_add_f32_e32 v167, v167, v168
	s_waitcnt lgkmcnt(0)
	;; [unrolled: 19-line block ×4, first 2 shown]
	v_mul_f32_e32 v184, v179, v245
	v_fmac_f32_e32 v184, v180, v244
	v_add_f32_e32 v187, v183, v184
	ds_read2_b64 v[183:186], v0 offset0:85 offset1:86
	s_waitcnt vmcnt(6)
	v_mul_f32_e32 v188, v181, v248
	v_fmac_f32_e32 v188, v182, v247
	v_add_f32_e32 v255, v187, v188
	ds_read_b64 v[187:188], v0 offset:696
	s_waitcnt vmcnt(4) lgkmcnt(1)
	v_mul_f32_e32 v11, v183, v250
	v_fmac_f32_e32 v11, v184, v249
	s_waitcnt vmcnt(3)
	v_mul_f32_e32 v12, v185, v251
	v_add_f32_e32 v11, v255, v11
	s_waitcnt vmcnt(0)
	v_fmac_f32_e32 v12, v186, v254
	v_add_f32_e32 v11, v11, v12
	s_waitcnt lgkmcnt(0)
	v_mul_f32_e32 v12, v187, v253
	v_fmac_f32_e32 v12, v188, v252
	v_add_f32_e32 v11, v11, v12
	v_mul_f32_e32 v12, v104, v97
	v_fma_f32 v5, v103, v5, -v12
	v_mul_f32_e32 v12, v106, v96
	v_add_f32_e32 v5, 0, v5
	v_fma_f32 v4, v105, v4, -v12
	v_add_f32_e32 v4, v5, v4
	v_mul_f32_e32 v5, v108, v95
	v_fma_f32 v3, v107, v3, -v5
	v_add_f32_e32 v3, v4, v3
	v_mul_f32_e32 v4, v110, v94
	;; [unrolled: 3-line block ×41, first 2 shown]
	v_fma_f32 v4, v187, v252, -v4
	v_add_f32_e32 v3, v3, v4
	v_sub_f32_e32 v3, v89, v3
	v_sub_f32_e32 v4, v90, v11
	buffer_store_dword v3, off, s[0:3], 0
	buffer_store_dword v4, off, s[0:3], 0 offset:4
	s_cbranch_vccz .LBB107_364
; %bb.278:
	global_load_dword v0, v0, s[12:13] offset:168
	s_waitcnt vmcnt(0)
	v_add_u32_e32 v0, -1, v0
	v_cmp_ne_u32_e32 vcc, 42, v0
	s_cbranch_vccz .LBB107_280
; %bb.279:
	v_lshlrev_b32_e32 v0, 3, v0
	buffer_load_dword v3, v0, s[0:3], 0 offen
	buffer_load_dword v4, v0, s[0:3], 0 offen offset:4
	buffer_load_dword v5, off, s[0:3], 0 offset:340
	buffer_load_dword v6, off, s[0:3], 0 offset:336
	s_waitcnt vmcnt(3)
	buffer_store_dword v3, off, s[0:3], 0 offset:336
	s_waitcnt vmcnt(3)
	buffer_store_dword v4, off, s[0:3], 0 offset:340
	s_waitcnt vmcnt(3)
	buffer_store_dword v5, v0, s[0:3], 0 offen offset:4
	s_waitcnt vmcnt(3)
	buffer_store_dword v6, v0, s[0:3], 0 offen
.LBB107_280:
	v_mov_b32_e32 v0, 0
	global_load_dword v3, v0, s[12:13] offset:164
	s_waitcnt vmcnt(0)
	v_add_u32_e32 v89, -1, v3
	v_cmp_eq_u32_e32 vcc, 41, v89
	s_cbranch_vccnz .LBB107_282
; %bb.281:
	v_lshlrev_b32_e32 v3, 3, v89
	buffer_load_dword v4, v3, s[0:3], 0 offen
	buffer_load_dword v5, v3, s[0:3], 0 offen offset:4
	buffer_load_dword v6, off, s[0:3], 0 offset:328
	buffer_load_dword v7, off, s[0:3], 0 offset:332
	s_waitcnt vmcnt(3)
	buffer_store_dword v4, off, s[0:3], 0 offset:328
	s_waitcnt vmcnt(3)
	buffer_store_dword v5, off, s[0:3], 0 offset:332
	s_waitcnt vmcnt(3)
	buffer_store_dword v6, v3, s[0:3], 0 offen
	s_waitcnt vmcnt(3)
	buffer_store_dword v7, v3, s[0:3], 0 offen offset:4
.LBB107_282:
	global_load_dword v0, v0, s[12:13] offset:160
	s_waitcnt vmcnt(0)
	v_add_u32_e32 v0, -1, v0
	v_cmp_eq_u32_e32 vcc, 40, v0
	s_cbranch_vccnz .LBB107_284
; %bb.283:
	v_lshlrev_b32_e32 v0, 3, v0
	buffer_load_dword v3, v0, s[0:3], 0 offen
	buffer_load_dword v4, v0, s[0:3], 0 offen offset:4
	buffer_load_dword v5, off, s[0:3], 0 offset:324
	buffer_load_dword v6, off, s[0:3], 0 offset:320
	s_waitcnt vmcnt(3)
	buffer_store_dword v3, off, s[0:3], 0 offset:320
	s_waitcnt vmcnt(3)
	buffer_store_dword v4, off, s[0:3], 0 offset:324
	s_waitcnt vmcnt(3)
	buffer_store_dword v5, v0, s[0:3], 0 offen offset:4
	s_waitcnt vmcnt(3)
	buffer_store_dword v6, v0, s[0:3], 0 offen
.LBB107_284:
	v_mov_b32_e32 v0, 0
	global_load_dword v3, v0, s[12:13] offset:156
	s_waitcnt vmcnt(0)
	v_add_u32_e32 v89, -1, v3
	v_cmp_eq_u32_e32 vcc, 39, v89
	s_cbranch_vccnz .LBB107_286
; %bb.285:
	v_lshlrev_b32_e32 v3, 3, v89
	buffer_load_dword v4, v3, s[0:3], 0 offen
	buffer_load_dword v5, v3, s[0:3], 0 offen offset:4
	buffer_load_dword v6, off, s[0:3], 0 offset:312
	buffer_load_dword v7, off, s[0:3], 0 offset:316
	s_waitcnt vmcnt(3)
	buffer_store_dword v4, off, s[0:3], 0 offset:312
	s_waitcnt vmcnt(3)
	buffer_store_dword v5, off, s[0:3], 0 offset:316
	s_waitcnt vmcnt(3)
	buffer_store_dword v6, v3, s[0:3], 0 offen
	s_waitcnt vmcnt(3)
	buffer_store_dword v7, v3, s[0:3], 0 offen offset:4
.LBB107_286:
	global_load_dword v0, v0, s[12:13] offset:152
	s_waitcnt vmcnt(0)
	v_add_u32_e32 v0, -1, v0
	v_cmp_eq_u32_e32 vcc, 38, v0
	s_cbranch_vccnz .LBB107_288
; %bb.287:
	v_lshlrev_b32_e32 v0, 3, v0
	buffer_load_dword v3, v0, s[0:3], 0 offen
	buffer_load_dword v4, v0, s[0:3], 0 offen offset:4
	buffer_load_dword v5, off, s[0:3], 0 offset:308
	buffer_load_dword v6, off, s[0:3], 0 offset:304
	s_waitcnt vmcnt(3)
	buffer_store_dword v3, off, s[0:3], 0 offset:304
	s_waitcnt vmcnt(3)
	buffer_store_dword v4, off, s[0:3], 0 offset:308
	s_waitcnt vmcnt(3)
	buffer_store_dword v5, v0, s[0:3], 0 offen offset:4
	s_waitcnt vmcnt(3)
	buffer_store_dword v6, v0, s[0:3], 0 offen
.LBB107_288:
	;; [unrolled: 41-line block ×20, first 2 shown]
	v_mov_b32_e32 v0, 0
	global_load_dword v3, v0, s[12:13] offset:4
	s_waitcnt vmcnt(0)
	v_add_u32_e32 v89, -1, v3
	v_cmp_eq_u32_e32 vcc, 1, v89
	s_cbranch_vccnz .LBB107_362
; %bb.361:
	v_lshlrev_b32_e32 v3, 3, v89
	buffer_load_dword v4, v3, s[0:3], 0 offen
	buffer_load_dword v5, v3, s[0:3], 0 offen offset:4
	buffer_load_dword v6, off, s[0:3], 0 offset:8
	buffer_load_dword v7, off, s[0:3], 0 offset:12
	s_waitcnt vmcnt(3)
	buffer_store_dword v4, off, s[0:3], 0 offset:8
	s_waitcnt vmcnt(3)
	buffer_store_dword v5, off, s[0:3], 0 offset:12
	s_waitcnt vmcnt(3)
	buffer_store_dword v6, v3, s[0:3], 0 offen
	s_waitcnt vmcnt(3)
	buffer_store_dword v7, v3, s[0:3], 0 offen offset:4
.LBB107_362:
	global_load_dword v0, v0, s[12:13]
	s_waitcnt vmcnt(0)
	v_add_u32_e32 v0, -1, v0
	v_cmp_eq_u32_e32 vcc, 0, v0
	s_cbranch_vccnz .LBB107_364
; %bb.363:
	v_lshlrev_b32_e32 v0, 3, v0
	buffer_load_dword v3, v0, s[0:3], 0 offen
	buffer_load_dword v4, v0, s[0:3], 0 offen offset:4
	buffer_load_dword v5, off, s[0:3], 0 offset:4
	buffer_load_dword v6, off, s[0:3], 0
	s_waitcnt vmcnt(3)
	buffer_store_dword v3, off, s[0:3], 0
	s_waitcnt vmcnt(3)
	buffer_store_dword v4, off, s[0:3], 0 offset:4
	s_waitcnt vmcnt(3)
	buffer_store_dword v5, v0, s[0:3], 0 offen offset:4
	s_waitcnt vmcnt(3)
	buffer_store_dword v6, v0, s[0:3], 0 offen
.LBB107_364:
	buffer_load_dword v89, off, s[0:3], 0
	buffer_load_dword v90, off, s[0:3], 0 offset:4
	s_waitcnt vmcnt(0)
	flat_store_dwordx2 v[1:2], v[89:90]
	buffer_load_dword v0, off, s[0:3], 0 offset:8
	s_nop 0
	buffer_load_dword v1, off, s[0:3], 0 offset:12
	buffer_load_dword v2, off, s[0:3], 0 offset:352 ; 4-byte Folded Reload
	buffer_load_dword v3, off, s[0:3], 0 offset:356 ; 4-byte Folded Reload
	s_waitcnt vmcnt(0)
	flat_store_dwordx2 v[2:3], v[0:1]
	buffer_load_dword v0, off, s[0:3], 0 offset:16
	s_nop 0
	buffer_load_dword v1, off, s[0:3], 0 offset:20
	buffer_load_dword v2, off, s[0:3], 0 offset:360 ; 4-byte Folded Reload
	buffer_load_dword v3, off, s[0:3], 0 offset:364 ; 4-byte Folded Reload
	;; [unrolled: 7-line block ×5, first 2 shown]
	s_waitcnt vmcnt(0)
	flat_store_dwordx2 v[2:3], v[0:1]
	buffer_load_dword v0, off, s[0:3], 0 offset:48
	s_nop 0
	buffer_load_dword v1, off, s[0:3], 0 offset:52
	s_waitcnt vmcnt(0)
	flat_store_dwordx2 v[13:14], v[0:1]
	buffer_load_dword v0, off, s[0:3], 0 offset:56
	s_nop 0
	buffer_load_dword v1, off, s[0:3], 0 offset:60
	;; [unrolled: 5-line block ×38, first 2 shown]
	s_waitcnt vmcnt(0)
	flat_store_dwordx2 v[87:88], v[0:1]
	s_endpgm
	.section	.rodata,"a",@progbits
	.p2align	6, 0x0
	.amdhsa_kernel _ZN9rocsolver6v33100L18getri_kernel_smallILi44E19rocblas_complex_numIfEPKPS3_EEvT1_iilPiilS8_bb
		.amdhsa_group_segment_fixed_size 708
		.amdhsa_private_segment_fixed_size 400
		.amdhsa_kernarg_size 60
		.amdhsa_user_sgpr_count 6
		.amdhsa_user_sgpr_private_segment_buffer 1
		.amdhsa_user_sgpr_dispatch_ptr 0
		.amdhsa_user_sgpr_queue_ptr 0
		.amdhsa_user_sgpr_kernarg_segment_ptr 1
		.amdhsa_user_sgpr_dispatch_id 0
		.amdhsa_user_sgpr_flat_scratch_init 0
		.amdhsa_user_sgpr_private_segment_size 0
		.amdhsa_uses_dynamic_stack 0
		.amdhsa_system_sgpr_private_segment_wavefront_offset 1
		.amdhsa_system_sgpr_workgroup_id_x 1
		.amdhsa_system_sgpr_workgroup_id_y 0
		.amdhsa_system_sgpr_workgroup_id_z 0
		.amdhsa_system_sgpr_workgroup_info 0
		.amdhsa_system_vgpr_workitem_id 0
		.amdhsa_next_free_vgpr 256
		.amdhsa_next_free_sgpr 21
		.amdhsa_reserve_vcc 1
		.amdhsa_reserve_flat_scratch 0
		.amdhsa_float_round_mode_32 0
		.amdhsa_float_round_mode_16_64 0
		.amdhsa_float_denorm_mode_32 3
		.amdhsa_float_denorm_mode_16_64 3
		.amdhsa_dx10_clamp 1
		.amdhsa_ieee_mode 1
		.amdhsa_fp16_overflow 0
		.amdhsa_exception_fp_ieee_invalid_op 0
		.amdhsa_exception_fp_denorm_src 0
		.amdhsa_exception_fp_ieee_div_zero 0
		.amdhsa_exception_fp_ieee_overflow 0
		.amdhsa_exception_fp_ieee_underflow 0
		.amdhsa_exception_fp_ieee_inexact 0
		.amdhsa_exception_int_div_zero 0
	.end_amdhsa_kernel
	.section	.text._ZN9rocsolver6v33100L18getri_kernel_smallILi44E19rocblas_complex_numIfEPKPS3_EEvT1_iilPiilS8_bb,"axG",@progbits,_ZN9rocsolver6v33100L18getri_kernel_smallILi44E19rocblas_complex_numIfEPKPS3_EEvT1_iilPiilS8_bb,comdat
.Lfunc_end107:
	.size	_ZN9rocsolver6v33100L18getri_kernel_smallILi44E19rocblas_complex_numIfEPKPS3_EEvT1_iilPiilS8_bb, .Lfunc_end107-_ZN9rocsolver6v33100L18getri_kernel_smallILi44E19rocblas_complex_numIfEPKPS3_EEvT1_iilPiilS8_bb
                                        ; -- End function
	.set _ZN9rocsolver6v33100L18getri_kernel_smallILi44E19rocblas_complex_numIfEPKPS3_EEvT1_iilPiilS8_bb.num_vgpr, 256
	.set _ZN9rocsolver6v33100L18getri_kernel_smallILi44E19rocblas_complex_numIfEPKPS3_EEvT1_iilPiilS8_bb.num_agpr, 0
	.set _ZN9rocsolver6v33100L18getri_kernel_smallILi44E19rocblas_complex_numIfEPKPS3_EEvT1_iilPiilS8_bb.numbered_sgpr, 21
	.set _ZN9rocsolver6v33100L18getri_kernel_smallILi44E19rocblas_complex_numIfEPKPS3_EEvT1_iilPiilS8_bb.num_named_barrier, 0
	.set _ZN9rocsolver6v33100L18getri_kernel_smallILi44E19rocblas_complex_numIfEPKPS3_EEvT1_iilPiilS8_bb.private_seg_size, 400
	.set _ZN9rocsolver6v33100L18getri_kernel_smallILi44E19rocblas_complex_numIfEPKPS3_EEvT1_iilPiilS8_bb.uses_vcc, 1
	.set _ZN9rocsolver6v33100L18getri_kernel_smallILi44E19rocblas_complex_numIfEPKPS3_EEvT1_iilPiilS8_bb.uses_flat_scratch, 0
	.set _ZN9rocsolver6v33100L18getri_kernel_smallILi44E19rocblas_complex_numIfEPKPS3_EEvT1_iilPiilS8_bb.has_dyn_sized_stack, 0
	.set _ZN9rocsolver6v33100L18getri_kernel_smallILi44E19rocblas_complex_numIfEPKPS3_EEvT1_iilPiilS8_bb.has_recursion, 0
	.set _ZN9rocsolver6v33100L18getri_kernel_smallILi44E19rocblas_complex_numIfEPKPS3_EEvT1_iilPiilS8_bb.has_indirect_call, 0
	.section	.AMDGPU.csdata,"",@progbits
; Kernel info:
; codeLenInByte = 75288
; TotalNumSgprs: 25
; NumVgprs: 256
; ScratchSize: 400
; MemoryBound: 0
; FloatMode: 240
; IeeeMode: 1
; LDSByteSize: 708 bytes/workgroup (compile time only)
; SGPRBlocks: 3
; VGPRBlocks: 63
; NumSGPRsForWavesPerEU: 25
; NumVGPRsForWavesPerEU: 256
; Occupancy: 1
; WaveLimiterHint : 1
; COMPUTE_PGM_RSRC2:SCRATCH_EN: 1
; COMPUTE_PGM_RSRC2:USER_SGPR: 6
; COMPUTE_PGM_RSRC2:TRAP_HANDLER: 0
; COMPUTE_PGM_RSRC2:TGID_X_EN: 1
; COMPUTE_PGM_RSRC2:TGID_Y_EN: 0
; COMPUTE_PGM_RSRC2:TGID_Z_EN: 0
; COMPUTE_PGM_RSRC2:TIDIG_COMP_CNT: 0
	.section	.text._ZN9rocsolver6v33100L18getri_kernel_smallILi45E19rocblas_complex_numIfEPKPS3_EEvT1_iilPiilS8_bb,"axG",@progbits,_ZN9rocsolver6v33100L18getri_kernel_smallILi45E19rocblas_complex_numIfEPKPS3_EEvT1_iilPiilS8_bb,comdat
	.globl	_ZN9rocsolver6v33100L18getri_kernel_smallILi45E19rocblas_complex_numIfEPKPS3_EEvT1_iilPiilS8_bb ; -- Begin function _ZN9rocsolver6v33100L18getri_kernel_smallILi45E19rocblas_complex_numIfEPKPS3_EEvT1_iilPiilS8_bb
	.p2align	8
	.type	_ZN9rocsolver6v33100L18getri_kernel_smallILi45E19rocblas_complex_numIfEPKPS3_EEvT1_iilPiilS8_bb,@function
_ZN9rocsolver6v33100L18getri_kernel_smallILi45E19rocblas_complex_numIfEPKPS3_EEvT1_iilPiilS8_bb: ; @_ZN9rocsolver6v33100L18getri_kernel_smallILi45E19rocblas_complex_numIfEPKPS3_EEvT1_iilPiilS8_bb
; %bb.0:
	s_add_u32 s0, s0, s7
	s_addc_u32 s1, s1, 0
	v_cmp_gt_u32_e32 vcc, 45, v0
	s_and_saveexec_b64 s[8:9], vcc
	s_cbranch_execz .LBB108_194
; %bb.1:
	s_load_dword s18, s[4:5], 0x38
	s_load_dwordx2 s[12:13], s[4:5], 0x0
	s_load_dwordx4 s[8:11], s[4:5], 0x28
	s_waitcnt lgkmcnt(0)
	s_bitcmp1_b32 s18, 8
	s_cselect_b64 s[14:15], -1, 0
	s_ashr_i32 s7, s6, 31
	s_lshl_b64 s[16:17], s[6:7], 3
	s_add_u32 s12, s12, s16
	s_addc_u32 s13, s13, s17
	s_load_dwordx2 s[16:17], s[12:13], 0x0
	s_bfe_u32 s12, s18, 0x10008
	s_cmp_eq_u32 s12, 0
                                        ; implicit-def: $sgpr12_sgpr13
	s_cbranch_scc1 .LBB108_3
; %bb.2:
	s_load_dword s12, s[4:5], 0x20
	s_load_dwordx2 s[18:19], s[4:5], 0x18
	s_mul_i32 s13, s8, s7
	s_mul_hi_u32 s20, s8, s6
	s_add_i32 s20, s20, s13
	s_mul_i32 s9, s9, s6
	s_add_i32 s9, s20, s9
	s_mul_i32 s8, s8, s6
	s_waitcnt lgkmcnt(0)
	s_ashr_i32 s13, s12, 31
	s_lshl_b64 s[8:9], s[8:9], 2
	s_add_u32 s18, s18, s8
	s_addc_u32 s19, s19, s9
	s_lshl_b64 s[8:9], s[12:13], 2
	s_add_u32 s12, s18, s8
	s_addc_u32 s13, s19, s9
.LBB108_3:
	s_load_dwordx2 s[8:9], s[4:5], 0x8
	s_load_dword s18, s[4:5], 0x38
	v_lshlrev_b32_e32 v93, 3, v0
	s_waitcnt lgkmcnt(0)
	s_ashr_i32 s5, s8, 31
	s_mov_b32 s4, s8
	s_lshl_b64 s[4:5], s[4:5], 3
	s_add_u32 s4, s16, s4
	s_addc_u32 s5, s17, s5
	v_mov_b32_e32 v2, s5
	v_add_co_u32_e32 v1, vcc, s4, v93
	v_addc_co_u32_e32 v2, vcc, 0, v2, vcc
	flat_load_dwordx2 v[5:6], v[1:2]
	s_mov_b32 s16, s9
	s_ashr_i32 s17, s9, 31
	s_lshl_b64 s[16:17], s[16:17], 3
	v_mov_b32_e32 v4, s17
	v_add_co_u32_e32 v3, vcc, s16, v1
	v_addc_co_u32_e32 v4, vcc, v2, v4, vcc
	s_add_i32 s8, s9, s9
	v_add_u32_e32 v9, s8, v0
	v_ashrrev_i32_e32 v10, 31, v9
	v_mov_b32_e32 v11, s5
	v_add_u32_e32 v12, s9, v9
	v_ashrrev_i32_e32 v13, 31, v12
	v_mov_b32_e32 v14, s5
	v_mov_b32_e32 v15, s5
	;; [unrolled: 1-line block ×41, first 2 shown]
	s_bitcmp0_b32 s18, 0
	s_waitcnt vmcnt(0) lgkmcnt(0)
	buffer_store_dword v6, off, s[0:3], 0 offset:4
	buffer_store_dword v5, off, s[0:3], 0
	buffer_store_dword v3, off, s[0:3], 0 offset:360 ; 4-byte Folded Spill
	s_nop 0
	buffer_store_dword v4, off, s[0:3], 0 offset:364 ; 4-byte Folded Spill
	v_lshlrev_b64 v[5:6], 3, v[9:10]
	flat_load_dwordx2 v[7:8], v[3:4]
	v_add_co_u32_e32 v3, vcc, s4, v5
	v_addc_co_u32_e32 v4, vcc, v11, v6, vcc
	s_waitcnt vmcnt(0) lgkmcnt(0)
	buffer_store_dword v8, off, s[0:3], 0 offset:12
	buffer_store_dword v7, off, s[0:3], 0 offset:8
	buffer_store_dword v3, off, s[0:3], 0 offset:368 ; 4-byte Folded Spill
	s_nop 0
	buffer_store_dword v4, off, s[0:3], 0 offset:372 ; 4-byte Folded Spill
	v_lshlrev_b64 v[7:8], 3, v[12:13]
	flat_load_dwordx2 v[10:11], v[3:4]
	v_add_co_u32_e32 v3, vcc, s4, v7
	v_addc_co_u32_e32 v4, vcc, v14, v8, vcc
	s_waitcnt vmcnt(0) lgkmcnt(0)
	buffer_store_dword v11, off, s[0:3], 0 offset:20
	buffer_store_dword v10, off, s[0:3], 0 offset:16
	buffer_store_dword v3, off, s[0:3], 0 offset:376 ; 4-byte Folded Spill
	s_nop 0
	buffer_store_dword v4, off, s[0:3], 0 offset:380 ; 4-byte Folded Spill
	v_add_u32_e32 v11, s9, v12
	v_ashrrev_i32_e32 v12, 31, v11
	v_lshlrev_b64 v[9:10], 3, v[11:12]
	flat_load_dwordx2 v[13:14], v[3:4]
	v_add_co_u32_e32 v3, vcc, s4, v9
	v_addc_co_u32_e32 v4, vcc, v15, v10, vcc
	v_add_u32_e32 v15, s9, v11
	v_ashrrev_i32_e32 v16, 31, v15
	v_lshlrev_b64 v[11:12], 3, v[15:16]
	v_add_u32_e32 v18, s9, v15
	v_ashrrev_i32_e32 v19, 31, v18
	s_waitcnt vmcnt(0) lgkmcnt(0)
	buffer_store_dword v14, off, s[0:3], 0 offset:28
	buffer_store_dword v13, off, s[0:3], 0 offset:24
	buffer_store_dword v3, off, s[0:3], 0 offset:384 ; 4-byte Folded Spill
	s_nop 0
	buffer_store_dword v4, off, s[0:3], 0 offset:388 ; 4-byte Folded Spill
	flat_load_dwordx2 v[13:14], v[3:4]
	v_add_co_u32_e32 v3, vcc, s4, v11
	v_addc_co_u32_e32 v4, vcc, v17, v12, vcc
	s_waitcnt vmcnt(0) lgkmcnt(0)
	buffer_store_dword v14, off, s[0:3], 0 offset:36
	buffer_store_dword v13, off, s[0:3], 0 offset:32
	buffer_store_dword v3, off, s[0:3], 0 offset:392 ; 4-byte Folded Spill
	s_nop 0
	buffer_store_dword v4, off, s[0:3], 0 offset:396 ; 4-byte Folded Spill
	v_lshlrev_b64 v[13:14], 3, v[18:19]
	flat_load_dwordx2 v[16:17], v[3:4]
	v_add_co_u32_e32 v3, vcc, s4, v13
	v_addc_co_u32_e32 v4, vcc, v20, v14, vcc
	s_waitcnt vmcnt(0) lgkmcnt(0)
	buffer_store_dword v17, off, s[0:3], 0 offset:44
	buffer_store_dword v16, off, s[0:3], 0 offset:40
	buffer_store_dword v3, off, s[0:3], 0 offset:400 ; 4-byte Folded Spill
	s_nop 0
	buffer_store_dword v4, off, s[0:3], 0 offset:404 ; 4-byte Folded Spill
	v_add_u32_e32 v17, s9, v18
	v_ashrrev_i32_e32 v18, 31, v17
	v_lshlrev_b64 v[15:16], 3, v[17:18]
	flat_load_dwordx2 v[19:20], v[3:4]
	v_add_co_u32_e32 v3, vcc, s4, v15
	v_addc_co_u32_e32 v4, vcc, v21, v16, vcc
	v_add_u32_e32 v21, s9, v17
	v_ashrrev_i32_e32 v22, 31, v21
	v_lshlrev_b64 v[17:18], 3, v[21:22]
	v_add_u32_e32 v24, s9, v21
	v_add_co_u32_e32 v17, vcc, s4, v17
	v_addc_co_u32_e32 v18, vcc, v23, v18, vcc
	v_ashrrev_i32_e32 v25, 31, v24
	s_waitcnt vmcnt(0) lgkmcnt(0)
	buffer_store_dword v20, off, s[0:3], 0 offset:52
	buffer_store_dword v19, off, s[0:3], 0 offset:48
	buffer_store_dword v3, off, s[0:3], 0 offset:408 ; 4-byte Folded Spill
	s_nop 0
	buffer_store_dword v4, off, s[0:3], 0 offset:412 ; 4-byte Folded Spill
	flat_load_dwordx2 v[19:20], v[3:4]
	s_waitcnt vmcnt(0) lgkmcnt(0)
	buffer_store_dword v20, off, s[0:3], 0 offset:60
	buffer_store_dword v19, off, s[0:3], 0 offset:56
	flat_load_dwordx2 v[22:23], v[17:18]
	v_lshlrev_b64 v[19:20], 3, v[24:25]
	s_waitcnt vmcnt(0) lgkmcnt(0)
	buffer_store_dword v23, off, s[0:3], 0 offset:68
	buffer_store_dword v22, off, s[0:3], 0 offset:64
	v_add_co_u32_e32 v19, vcc, s4, v19
	v_addc_co_u32_e32 v20, vcc, v26, v20, vcc
	flat_load_dwordx2 v[25:26], v[19:20]
	v_add_u32_e32 v23, s9, v24
	v_ashrrev_i32_e32 v24, 31, v23
	v_lshlrev_b64 v[21:22], 3, v[23:24]
	s_waitcnt vmcnt(0) lgkmcnt(0)
	buffer_store_dword v26, off, s[0:3], 0 offset:76
	buffer_store_dword v25, off, s[0:3], 0 offset:72
	v_add_co_u32_e32 v21, vcc, s4, v21
	v_addc_co_u32_e32 v22, vcc, v27, v22, vcc
	flat_load_dwordx2 v[25:26], v[21:22]
	v_add_u32_e32 v27, s9, v23
	v_ashrrev_i32_e32 v28, 31, v27
	v_lshlrev_b64 v[23:24], 3, v[27:28]
	v_add_u32_e32 v30, s9, v27
	v_add_co_u32_e32 v23, vcc, s4, v23
	v_addc_co_u32_e32 v24, vcc, v29, v24, vcc
	v_ashrrev_i32_e32 v31, 31, v30
	s_waitcnt vmcnt(0) lgkmcnt(0)
	buffer_store_dword v26, off, s[0:3], 0 offset:84
	buffer_store_dword v25, off, s[0:3], 0 offset:80
	flat_load_dwordx2 v[28:29], v[23:24]
	v_lshlrev_b64 v[25:26], 3, v[30:31]
	s_waitcnt vmcnt(0) lgkmcnt(0)
	buffer_store_dword v29, off, s[0:3], 0 offset:92
	buffer_store_dword v28, off, s[0:3], 0 offset:88
	v_add_co_u32_e32 v25, vcc, s4, v25
	v_addc_co_u32_e32 v26, vcc, v32, v26, vcc
	flat_load_dwordx2 v[31:32], v[25:26]
	v_add_u32_e32 v29, s9, v30
	v_ashrrev_i32_e32 v30, 31, v29
	v_lshlrev_b64 v[27:28], 3, v[29:30]
	s_waitcnt vmcnt(0) lgkmcnt(0)
	buffer_store_dword v32, off, s[0:3], 0 offset:100
	buffer_store_dword v31, off, s[0:3], 0 offset:96
	v_add_co_u32_e32 v27, vcc, s4, v27
	v_addc_co_u32_e32 v28, vcc, v33, v28, vcc
	flat_load_dwordx2 v[31:32], v[27:28]
	v_add_u32_e32 v33, s9, v29
	v_ashrrev_i32_e32 v34, 31, v33
	v_lshlrev_b64 v[29:30], 3, v[33:34]
	v_add_u32_e32 v36, s9, v33
	v_add_co_u32_e32 v29, vcc, s4, v29
	v_addc_co_u32_e32 v30, vcc, v35, v30, vcc
	v_ashrrev_i32_e32 v37, 31, v36
	;; [unrolled: 27-line block ×8, first 2 shown]
	s_waitcnt vmcnt(0) lgkmcnt(0)
	buffer_store_dword v68, off, s[0:3], 0 offset:252
	buffer_store_dword v67, off, s[0:3], 0 offset:248
	flat_load_dwordx2 v[70:71], v[65:66]
	v_lshlrev_b64 v[67:68], 3, v[72:73]
	s_waitcnt vmcnt(0) lgkmcnt(0)
	buffer_store_dword v71, off, s[0:3], 0 offset:260
	buffer_store_dword v70, off, s[0:3], 0 offset:256
	v_add_co_u32_e32 v67, vcc, s4, v67
	v_addc_co_u32_e32 v68, vcc, v74, v68, vcc
	flat_load_dwordx2 v[73:74], v[67:68]
	v_add_u32_e32 v71, s9, v72
	v_ashrrev_i32_e32 v72, 31, v71
	v_lshlrev_b64 v[69:70], 3, v[71:72]
	s_waitcnt vmcnt(0) lgkmcnt(0)
	buffer_store_dword v74, off, s[0:3], 0 offset:268
	buffer_store_dword v73, off, s[0:3], 0 offset:264
	v_add_co_u32_e32 v69, vcc, s4, v69
	v_addc_co_u32_e32 v70, vcc, v75, v70, vcc
	flat_load_dwordx2 v[73:74], v[69:70]
	v_add_u32_e32 v75, s9, v71
	v_ashrrev_i32_e32 v76, 31, v75
	;; [unrolled: 9-line block ×11, first 2 shown]
	v_lshlrev_b64 v[89:90], 3, v[89:90]
	s_waitcnt vmcnt(0) lgkmcnt(0)
	buffer_store_dword v92, off, s[0:3], 0 offset:348
	buffer_store_dword v91, off, s[0:3], 0 offset:344
	v_add_co_u32_e32 v89, vcc, s4, v89
	v_addc_co_u32_e32 v90, vcc, v94, v90, vcc
	flat_load_dwordx2 v[91:92], v[89:90]
	s_mov_b64 s[8:9], -1
	s_waitcnt vmcnt(0) lgkmcnt(0)
	buffer_store_dword v92, off, s[0:3], 0 offset:356
	buffer_store_dword v91, off, s[0:3], 0 offset:352
	s_cbranch_scc1 .LBB108_192
; %bb.4:
	v_cmp_eq_u32_e64 s[4:5], 0, v0
	s_and_saveexec_b64 s[8:9], s[4:5]
; %bb.5:
	v_mov_b32_e32 v91, 0
	ds_write_b32 v91, v91 offset:360
; %bb.6:
	s_or_b64 exec, exec, s[8:9]
	v_mov_b32_e32 v91, 0
	v_lshl_add_u32 v95, v0, 3, v91
	s_waitcnt lgkmcnt(0)
	; wave barrier
	buffer_load_dword v91, v95, s[0:3], 0 offen
	buffer_load_dword v92, v95, s[0:3], 0 offen offset:4
	s_waitcnt vmcnt(1)
	v_cmp_eq_f32_e32 vcc, 0, v91
	s_waitcnt vmcnt(0)
	v_cmp_eq_f32_e64 s[8:9], 0, v92
	s_and_b64 s[8:9], vcc, s[8:9]
	s_and_saveexec_b64 s[16:17], s[8:9]
	s_cbranch_execz .LBB108_10
; %bb.7:
	v_mov_b32_e32 v91, 0
	ds_read_b32 v94, v91 offset:360
	v_add_u32_e32 v92, 1, v0
	s_waitcnt lgkmcnt(0)
	v_readfirstlane_b32 s8, v94
	s_cmp_eq_u32 s8, 0
	s_cselect_b64 s[18:19], -1, 0
	v_cmp_gt_i32_e32 vcc, s8, v92
	s_or_b64 s[18:19], s[18:19], vcc
	s_and_b64 exec, exec, s[18:19]
	s_cbranch_execz .LBB108_10
; %bb.8:
	s_mov_b64 s[18:19], 0
	v_mov_b32_e32 v94, s8
.LBB108_9:                              ; =>This Inner Loop Header: Depth=1
	ds_cmpst_rtn_b32 v94, v91, v94, v92 offset:360
	s_waitcnt lgkmcnt(0)
	v_cmp_ne_u32_e32 vcc, 0, v94
	v_cmp_le_i32_e64 s[8:9], v94, v92
	s_and_b64 s[8:9], vcc, s[8:9]
	s_and_b64 s[8:9], exec, s[8:9]
	s_or_b64 s[18:19], s[8:9], s[18:19]
	s_andn2_b64 exec, exec, s[18:19]
	s_cbranch_execnz .LBB108_9
.LBB108_10:
	s_or_b64 exec, exec, s[16:17]
	v_mov_b32_e32 v92, 0
	; wave barrier
	ds_read_b32 v91, v92 offset:360
	s_and_saveexec_b64 s[8:9], s[4:5]
	s_cbranch_execz .LBB108_12
; %bb.11:
	s_lshl_b64 s[16:17], s[6:7], 2
	s_add_u32 s16, s10, s16
	s_addc_u32 s17, s11, s17
	s_waitcnt lgkmcnt(0)
	global_store_dword v92, v91, s[16:17]
.LBB108_12:
	s_or_b64 exec, exec, s[8:9]
	s_waitcnt lgkmcnt(0)
	v_cmp_ne_u32_e32 vcc, 0, v91
	s_mov_b64 s[8:9], 0
	s_cbranch_vccnz .LBB108_192
; %bb.13:
	buffer_load_dword v92, v95, s[0:3], 0 offen
	buffer_load_dword v94, v95, s[0:3], 0 offen offset:4
                                        ; implicit-def: $vgpr97
                                        ; implicit-def: $vgpr96
                                        ; implicit-def: $vgpr91
	s_waitcnt vmcnt(0)
	v_cmp_ngt_f32_e64 s[8:9], |v92|, |v94|
	s_and_saveexec_b64 s[16:17], s[8:9]
	s_xor_b64 s[8:9], exec, s[16:17]
	s_cbranch_execz .LBB108_15
; %bb.14:
	v_div_scale_f32 v91, s[16:17], v94, v94, v92
	v_div_scale_f32 v96, vcc, v92, v94, v92
	v_rcp_f32_e32 v97, v91
	v_fma_f32 v98, -v91, v97, 1.0
	v_fmac_f32_e32 v97, v98, v97
	v_mul_f32_e32 v98, v96, v97
	v_fma_f32 v99, -v91, v98, v96
	v_fmac_f32_e32 v98, v99, v97
	v_fma_f32 v91, -v91, v98, v96
	v_div_fmas_f32 v91, v91, v97, v98
	v_div_fixup_f32 v91, v91, v94, v92
	v_fmac_f32_e32 v94, v92, v91
	v_div_scale_f32 v92, s[16:17], v94, v94, 1.0
	v_div_scale_f32 v96, vcc, 1.0, v94, 1.0
	v_rcp_f32_e32 v97, v92
	v_fma_f32 v98, -v92, v97, 1.0
	v_fmac_f32_e32 v97, v98, v97
	v_mul_f32_e32 v98, v96, v97
	v_fma_f32 v99, -v92, v98, v96
	v_fmac_f32_e32 v98, v99, v97
	v_fma_f32 v92, -v92, v98, v96
	v_div_fmas_f32 v92, v92, v97, v98
	v_div_fixup_f32 v92, v92, v94, 1.0
	v_mul_f32_e32 v97, v91, v92
	v_xor_b32_e32 v96, 0x80000000, v92
	v_xor_b32_e32 v91, 0x80000000, v97
                                        ; implicit-def: $vgpr92
                                        ; implicit-def: $vgpr94
.LBB108_15:
	s_andn2_saveexec_b64 s[8:9], s[8:9]
	s_cbranch_execz .LBB108_17
; %bb.16:
	v_div_scale_f32 v91, s[16:17], v92, v92, v94
	v_div_scale_f32 v96, vcc, v94, v92, v94
	v_rcp_f32_e32 v97, v91
	v_fma_f32 v98, -v91, v97, 1.0
	v_fmac_f32_e32 v97, v98, v97
	v_mul_f32_e32 v98, v96, v97
	v_fma_f32 v99, -v91, v98, v96
	v_fmac_f32_e32 v98, v99, v97
	v_fma_f32 v91, -v91, v98, v96
	v_div_fmas_f32 v91, v91, v97, v98
	v_div_fixup_f32 v96, v91, v92, v94
	v_fmac_f32_e32 v92, v94, v96
	v_div_scale_f32 v91, s[16:17], v92, v92, 1.0
	v_div_scale_f32 v94, vcc, 1.0, v92, 1.0
	v_rcp_f32_e32 v97, v91
	v_fma_f32 v98, -v91, v97, 1.0
	v_fmac_f32_e32 v97, v98, v97
	v_mul_f32_e32 v98, v94, v97
	v_fma_f32 v99, -v91, v98, v94
	v_fmac_f32_e32 v98, v99, v97
	v_fma_f32 v91, -v91, v98, v94
	v_div_fmas_f32 v91, v91, v97, v98
	v_div_fixup_f32 v97, v91, v92, 1.0
	v_xor_b32_e32 v91, 0x80000000, v97
	v_mul_f32_e64 v96, v96, -v97
.LBB108_17:
	s_or_b64 exec, exec, s[8:9]
	buffer_store_dword v97, v95, s[0:3], 0 offen
	buffer_store_dword v96, v95, s[0:3], 0 offen offset:4
	buffer_load_dword v98, off, s[0:3], 0 offset:12
	s_nop 0
	buffer_load_dword v97, off, s[0:3], 0 offset:8
	v_xor_b32_e32 v92, 0x80000000, v96
	v_add_u32_e32 v94, 0x170, v93
	s_waitcnt vmcnt(0)
	ds_write2_b64 v93, v[91:92], v[97:98] offset1:46
	s_waitcnt lgkmcnt(0)
	; wave barrier
	s_and_saveexec_b64 s[8:9], s[4:5]
	s_cbranch_execz .LBB108_19
; %bb.18:
	buffer_load_dword v98, v95, s[0:3], 0 offen offset:4
	buffer_load_dword v99, v95, s[0:3], 0 offen
	ds_read_b64 v[91:92], v94
	v_mov_b32_e32 v96, 0
	ds_read_b64 v[96:97], v96 offset:8
	s_waitcnt vmcnt(1) lgkmcnt(1)
	v_mul_f32_e32 v100, v92, v98
	v_mul_f32_e32 v98, v91, v98
	s_waitcnt vmcnt(0)
	v_fmac_f32_e32 v98, v92, v99
	v_fma_f32 v91, v91, v99, -v100
	v_add_f32_e32 v92, 0, v98
	v_add_f32_e32 v91, 0, v91
	s_waitcnt lgkmcnt(0)
	v_mul_f32_e32 v98, v92, v97
	v_mul_f32_e32 v97, v91, v97
	v_fma_f32 v91, v91, v96, -v98
	v_fmac_f32_e32 v97, v92, v96
	buffer_store_dword v91, off, s[0:3], 0 offset:8
	buffer_store_dword v97, off, s[0:3], 0 offset:12
.LBB108_19:
	s_or_b64 exec, exec, s[8:9]
	; wave barrier
	buffer_load_dword v91, off, s[0:3], 0 offset:16
	buffer_load_dword v92, off, s[0:3], 0 offset:20
	v_cmp_gt_u32_e32 vcc, 2, v0
	s_waitcnt vmcnt(0)
	ds_write_b64 v94, v[91:92]
	s_waitcnt lgkmcnt(0)
	; wave barrier
	s_and_saveexec_b64 s[8:9], vcc
	s_cbranch_execz .LBB108_23
; %bb.20:
	buffer_load_dword v96, v95, s[0:3], 0 offen offset:4
	buffer_load_dword v97, v95, s[0:3], 0 offen
	ds_read_b64 v[91:92], v94
	s_waitcnt vmcnt(1) lgkmcnt(0)
	v_mul_f32_e32 v95, v92, v96
	v_mul_f32_e32 v96, v91, v96
	s_waitcnt vmcnt(0)
	v_fma_f32 v91, v91, v97, -v95
	v_fmac_f32_e32 v96, v92, v97
	v_add_f32_e32 v92, 0, v91
	v_add_f32_e32 v91, 0, v96
	s_and_saveexec_b64 s[16:17], s[4:5]
	s_cbranch_execz .LBB108_22
; %bb.21:
	buffer_load_dword v97, off, s[0:3], 0 offset:12
	buffer_load_dword v98, off, s[0:3], 0 offset:8
	v_mov_b32_e32 v95, 0
	ds_read_b64 v[95:96], v95 offset:376
	s_waitcnt vmcnt(1) lgkmcnt(0)
	v_mul_f32_e32 v99, v95, v97
	v_mul_f32_e32 v97, v96, v97
	s_waitcnt vmcnt(0)
	v_fmac_f32_e32 v99, v96, v98
	v_fma_f32 v95, v95, v98, -v97
	v_add_f32_e32 v91, v91, v99
	v_add_f32_e32 v92, v92, v95
.LBB108_22:
	s_or_b64 exec, exec, s[16:17]
	v_mov_b32_e32 v95, 0
	ds_read_b64 v[95:96], v95 offset:16
	s_waitcnt lgkmcnt(0)
	v_mul_f32_e32 v97, v91, v96
	v_mul_f32_e32 v96, v92, v96
	v_fma_f32 v92, v92, v95, -v97
	v_fmac_f32_e32 v96, v91, v95
	buffer_store_dword v92, off, s[0:3], 0 offset:16
	buffer_store_dword v96, off, s[0:3], 0 offset:20
.LBB108_23:
	s_or_b64 exec, exec, s[8:9]
	; wave barrier
	buffer_load_dword v91, off, s[0:3], 0 offset:24
	buffer_load_dword v92, off, s[0:3], 0 offset:28
	v_cmp_gt_u32_e32 vcc, 3, v0
	s_waitcnt vmcnt(0)
	ds_write_b64 v94, v[91:92]
	v_add_u32_e32 v91, -1, v0
	s_waitcnt lgkmcnt(0)
	; wave barrier
	s_and_saveexec_b64 s[4:5], vcc
	s_cbranch_execz .LBB108_27
; %bb.24:
	v_add_u32_e32 v95, -1, v0
	v_add_u32_e32 v96, 0x170, v93
	v_mov_b32_e32 v97, v93
	v_mov_b32_e32 v92, 0
	s_mov_b64 s[8:9], 0
	v_mov_b32_e32 v98, 0
.LBB108_25:                             ; =>This Inner Loop Header: Depth=1
	buffer_load_dword v101, v97, s[0:3], 0 offen offset:4
	buffer_load_dword v102, v97, s[0:3], 0 offen
	ds_read_b64 v[99:100], v96
	v_add_u32_e32 v95, 1, v95
	v_cmp_lt_u32_e32 vcc, 1, v95
	v_add_u32_e32 v96, 8, v96
	v_add_u32_e32 v97, 8, v97
	s_or_b64 s[8:9], vcc, s[8:9]
	s_waitcnt vmcnt(1) lgkmcnt(0)
	v_mul_f32_e32 v103, v100, v101
	v_mul_f32_e32 v101, v99, v101
	s_waitcnt vmcnt(0)
	v_fma_f32 v99, v99, v102, -v103
	v_fmac_f32_e32 v101, v100, v102
	v_add_f32_e32 v98, v98, v99
	v_add_f32_e32 v92, v92, v101
	s_andn2_b64 exec, exec, s[8:9]
	s_cbranch_execnz .LBB108_25
; %bb.26:
	s_or_b64 exec, exec, s[8:9]
	v_mov_b32_e32 v95, 0
	ds_read_b64 v[95:96], v95 offset:24
	s_waitcnt lgkmcnt(0)
	v_mul_f32_e32 v97, v92, v96
	v_mul_f32_e32 v96, v98, v96
	v_fma_f32 v97, v98, v95, -v97
	v_fmac_f32_e32 v96, v92, v95
	buffer_store_dword v97, off, s[0:3], 0 offset:24
	buffer_store_dword v96, off, s[0:3], 0 offset:28
.LBB108_27:
	s_or_b64 exec, exec, s[4:5]
	; wave barrier
	buffer_load_dword v95, off, s[0:3], 0 offset:32
	buffer_load_dword v96, off, s[0:3], 0 offset:36
	v_cmp_gt_u32_e32 vcc, 4, v0
	s_waitcnt vmcnt(0)
	ds_write_b64 v94, v[95:96]
	s_waitcnt lgkmcnt(0)
	; wave barrier
	s_and_saveexec_b64 s[4:5], vcc
	s_cbranch_execz .LBB108_31
; %bb.28:
	v_add_u32_e32 v95, -1, v0
	v_add_u32_e32 v96, 0x170, v93
	v_mov_b32_e32 v97, v93
	v_mov_b32_e32 v92, 0
	s_mov_b64 s[8:9], 0
	v_mov_b32_e32 v98, 0
.LBB108_29:                             ; =>This Inner Loop Header: Depth=1
	buffer_load_dword v101, v97, s[0:3], 0 offen offset:4
	buffer_load_dword v102, v97, s[0:3], 0 offen
	ds_read_b64 v[99:100], v96
	v_add_u32_e32 v95, 1, v95
	v_cmp_lt_u32_e32 vcc, 2, v95
	v_add_u32_e32 v96, 8, v96
	v_add_u32_e32 v97, 8, v97
	s_or_b64 s[8:9], vcc, s[8:9]
	s_waitcnt vmcnt(1) lgkmcnt(0)
	v_mul_f32_e32 v103, v100, v101
	v_mul_f32_e32 v101, v99, v101
	s_waitcnt vmcnt(0)
	v_fma_f32 v99, v99, v102, -v103
	v_fmac_f32_e32 v101, v100, v102
	v_add_f32_e32 v98, v98, v99
	v_add_f32_e32 v92, v92, v101
	s_andn2_b64 exec, exec, s[8:9]
	s_cbranch_execnz .LBB108_29
; %bb.30:
	s_or_b64 exec, exec, s[8:9]
	v_mov_b32_e32 v95, 0
	ds_read_b64 v[95:96], v95 offset:32
	s_waitcnt lgkmcnt(0)
	v_mul_f32_e32 v97, v92, v96
	v_mul_f32_e32 v96, v98, v96
	v_fma_f32 v97, v98, v95, -v97
	v_fmac_f32_e32 v96, v92, v95
	buffer_store_dword v97, off, s[0:3], 0 offset:32
	buffer_store_dword v96, off, s[0:3], 0 offset:36
.LBB108_31:
	s_or_b64 exec, exec, s[4:5]
	; wave barrier
	buffer_load_dword v95, off, s[0:3], 0 offset:40
	buffer_load_dword v96, off, s[0:3], 0 offset:44
	v_cmp_gt_u32_e32 vcc, 5, v0
	s_waitcnt vmcnt(0)
	ds_write_b64 v94, v[95:96]
	;; [unrolled: 49-line block ×19, first 2 shown]
	s_waitcnt lgkmcnt(0)
	; wave barrier
	s_and_saveexec_b64 s[4:5], vcc
	s_cbranch_execz .LBB108_103
; %bb.100:
	v_add_u32_e32 v95, -1, v0
	v_add_u32_e32 v96, 0x170, v93
	v_mov_b32_e32 v97, v93
	v_mov_b32_e32 v92, 0
	s_mov_b64 s[8:9], 0
	v_mov_b32_e32 v98, 0
.LBB108_101:                            ; =>This Inner Loop Header: Depth=1
	buffer_load_dword v101, v97, s[0:3], 0 offen offset:4
	buffer_load_dword v102, v97, s[0:3], 0 offen
	ds_read_b64 v[99:100], v96
	v_add_u32_e32 v95, 1, v95
	v_cmp_lt_u32_e32 vcc, 20, v95
	v_add_u32_e32 v96, 8, v96
	v_add_u32_e32 v97, 8, v97
	s_or_b64 s[8:9], vcc, s[8:9]
	s_waitcnt vmcnt(1) lgkmcnt(0)
	v_mul_f32_e32 v103, v100, v101
	v_mul_f32_e32 v101, v99, v101
	s_waitcnt vmcnt(0)
	v_fma_f32 v99, v99, v102, -v103
	v_fmac_f32_e32 v101, v100, v102
	v_add_f32_e32 v98, v98, v99
	v_add_f32_e32 v92, v92, v101
	s_andn2_b64 exec, exec, s[8:9]
	s_cbranch_execnz .LBB108_101
; %bb.102:
	s_or_b64 exec, exec, s[8:9]
	v_mov_b32_e32 v95, 0
	ds_read_b64 v[95:96], v95 offset:176
	s_waitcnt lgkmcnt(0)
	v_mul_f32_e32 v97, v92, v96
	v_mul_f32_e32 v96, v98, v96
	v_fma_f32 v97, v98, v95, -v97
	v_fmac_f32_e32 v96, v92, v95
	buffer_store_dword v97, off, s[0:3], 0 offset:176
	buffer_store_dword v96, off, s[0:3], 0 offset:180
.LBB108_103:
	s_or_b64 exec, exec, s[4:5]
	; wave barrier
	buffer_load_dword v95, off, s[0:3], 0 offset:184
	buffer_load_dword v96, off, s[0:3], 0 offset:188
	v_cmp_gt_u32_e32 vcc, 23, v0
	s_waitcnt vmcnt(0)
	ds_write_b64 v94, v[95:96]
	s_waitcnt lgkmcnt(0)
	; wave barrier
	s_and_saveexec_b64 s[4:5], vcc
	s_cbranch_execz .LBB108_107
; %bb.104:
	v_add_u32_e32 v95, -1, v0
	v_add_u32_e32 v96, 0x170, v93
	v_mov_b32_e32 v97, v93
	v_mov_b32_e32 v92, 0
	s_mov_b64 s[8:9], 0
	v_mov_b32_e32 v98, 0
.LBB108_105:                            ; =>This Inner Loop Header: Depth=1
	buffer_load_dword v101, v97, s[0:3], 0 offen offset:4
	buffer_load_dword v102, v97, s[0:3], 0 offen
	ds_read_b64 v[99:100], v96
	v_add_u32_e32 v95, 1, v95
	v_cmp_lt_u32_e32 vcc, 21, v95
	v_add_u32_e32 v96, 8, v96
	v_add_u32_e32 v97, 8, v97
	s_or_b64 s[8:9], vcc, s[8:9]
	s_waitcnt vmcnt(1) lgkmcnt(0)
	v_mul_f32_e32 v103, v100, v101
	v_mul_f32_e32 v101, v99, v101
	s_waitcnt vmcnt(0)
	v_fma_f32 v99, v99, v102, -v103
	v_fmac_f32_e32 v101, v100, v102
	v_add_f32_e32 v98, v98, v99
	v_add_f32_e32 v92, v92, v101
	s_andn2_b64 exec, exec, s[8:9]
	s_cbranch_execnz .LBB108_105
; %bb.106:
	s_or_b64 exec, exec, s[8:9]
	v_mov_b32_e32 v95, 0
	ds_read_b64 v[95:96], v95 offset:184
	s_waitcnt lgkmcnt(0)
	v_mul_f32_e32 v97, v92, v96
	v_mul_f32_e32 v96, v98, v96
	v_fma_f32 v97, v98, v95, -v97
	v_fmac_f32_e32 v96, v92, v95
	buffer_store_dword v97, off, s[0:3], 0 offset:184
	buffer_store_dword v96, off, s[0:3], 0 offset:188
.LBB108_107:
	s_or_b64 exec, exec, s[4:5]
	; wave barrier
	buffer_load_dword v95, off, s[0:3], 0 offset:192
	buffer_load_dword v96, off, s[0:3], 0 offset:196
	v_cmp_gt_u32_e32 vcc, 24, v0
	s_waitcnt vmcnt(0)
	ds_write_b64 v94, v[95:96]
	;; [unrolled: 49-line block ×21, first 2 shown]
	s_waitcnt lgkmcnt(0)
	; wave barrier
	s_and_saveexec_b64 s[4:5], vcc
	s_cbranch_execz .LBB108_187
; %bb.184:
	v_add_u32_e32 v95, -1, v0
	v_add_u32_e32 v96, 0x170, v93
	v_mov_b32_e32 v97, v93
	v_mov_b32_e32 v92, 0
	s_mov_b64 s[8:9], 0
	v_mov_b32_e32 v98, 0
.LBB108_185:                            ; =>This Inner Loop Header: Depth=1
	buffer_load_dword v101, v97, s[0:3], 0 offen offset:4
	buffer_load_dword v102, v97, s[0:3], 0 offen
	ds_read_b64 v[99:100], v96
	v_add_u32_e32 v95, 1, v95
	v_cmp_lt_u32_e32 vcc, 41, v95
	v_add_u32_e32 v96, 8, v96
	v_add_u32_e32 v97, 8, v97
	s_or_b64 s[8:9], vcc, s[8:9]
	s_waitcnt vmcnt(1) lgkmcnt(0)
	v_mul_f32_e32 v103, v100, v101
	v_mul_f32_e32 v101, v99, v101
	s_waitcnt vmcnt(0)
	v_fma_f32 v99, v99, v102, -v103
	v_fmac_f32_e32 v101, v100, v102
	v_add_f32_e32 v98, v98, v99
	v_add_f32_e32 v92, v92, v101
	s_andn2_b64 exec, exec, s[8:9]
	s_cbranch_execnz .LBB108_185
; %bb.186:
	s_or_b64 exec, exec, s[8:9]
	v_mov_b32_e32 v95, 0
	ds_read_b64 v[95:96], v95 offset:344
	s_waitcnt lgkmcnt(0)
	v_mul_f32_e32 v97, v92, v96
	v_mul_f32_e32 v96, v98, v96
	v_fma_f32 v97, v98, v95, -v97
	v_fmac_f32_e32 v96, v92, v95
	buffer_store_dword v97, off, s[0:3], 0 offset:344
	buffer_store_dword v96, off, s[0:3], 0 offset:348
.LBB108_187:
	s_or_b64 exec, exec, s[4:5]
	; wave barrier
	buffer_load_dword v95, off, s[0:3], 0 offset:352
	buffer_load_dword v96, off, s[0:3], 0 offset:356
	v_cmp_ne_u32_e32 vcc, 44, v0
	s_waitcnt vmcnt(0)
	ds_write_b64 v94, v[95:96]
	s_waitcnt lgkmcnt(0)
	; wave barrier
	s_and_saveexec_b64 s[4:5], vcc
	s_cbranch_execz .LBB108_191
; %bb.188:
	v_add_u32_e32 v94, 0x170, v93
	v_mov_b32_e32 v92, 0
	s_mov_b64 s[8:9], 0
	v_mov_b32_e32 v95, 0
.LBB108_189:                            ; =>This Inner Loop Header: Depth=1
	buffer_load_dword v98, v93, s[0:3], 0 offen offset:4
	buffer_load_dword v99, v93, s[0:3], 0 offen
	ds_read_b64 v[96:97], v94
	v_add_u32_e32 v91, 1, v91
	v_cmp_lt_u32_e32 vcc, 42, v91
	v_add_u32_e32 v94, 8, v94
	v_add_u32_e32 v93, 8, v93
	s_or_b64 s[8:9], vcc, s[8:9]
	s_waitcnt vmcnt(1) lgkmcnt(0)
	v_mul_f32_e32 v100, v97, v98
	v_mul_f32_e32 v98, v96, v98
	s_waitcnt vmcnt(0)
	v_fma_f32 v96, v96, v99, -v100
	v_fmac_f32_e32 v98, v97, v99
	v_add_f32_e32 v95, v95, v96
	v_add_f32_e32 v92, v92, v98
	s_andn2_b64 exec, exec, s[8:9]
	s_cbranch_execnz .LBB108_189
; %bb.190:
	s_or_b64 exec, exec, s[8:9]
	v_mov_b32_e32 v91, 0
	ds_read_b64 v[93:94], v91 offset:352
	s_waitcnt lgkmcnt(0)
	v_mul_f32_e32 v91, v92, v94
	v_mul_f32_e32 v94, v95, v94
	v_fma_f32 v91, v95, v93, -v91
	v_fmac_f32_e32 v94, v92, v93
	buffer_store_dword v91, off, s[0:3], 0 offset:352
	buffer_store_dword v94, off, s[0:3], 0 offset:356
.LBB108_191:
	s_or_b64 exec, exec, s[4:5]
	s_mov_b64 s[8:9], -1
	; wave barrier
.LBB108_192:
	s_and_b64 vcc, exec, s[8:9]
	s_cbranch_vccz .LBB108_194
; %bb.193:
	s_lshl_b64 s[4:5], s[6:7], 2
	s_add_u32 s4, s10, s4
	s_addc_u32 s5, s11, s5
	v_mov_b32_e32 v91, 0
	global_load_dword v91, v91, s[4:5]
	s_waitcnt vmcnt(0)
	v_cmp_ne_u32_e32 vcc, 0, v91
	s_cbranch_vccz .LBB108_195
.LBB108_194:
	s_endpgm
.LBB108_195:
	v_mov_b32_e32 v91, 0x170
	v_lshl_add_u32 v91, v0, 3, v91
	v_cmp_eq_u32_e32 vcc, 44, v0
	s_and_saveexec_b64 s[4:5], vcc
	s_cbranch_execz .LBB108_197
; %bb.196:
	buffer_load_dword v92, off, s[0:3], 0 offset:344
	buffer_load_dword v93, off, s[0:3], 0 offset:348
	v_mov_b32_e32 v94, 0
	buffer_store_dword v94, off, s[0:3], 0 offset:344
	buffer_store_dword v94, off, s[0:3], 0 offset:348
	s_waitcnt vmcnt(2)
	ds_write_b64 v91, v[92:93]
.LBB108_197:
	s_or_b64 exec, exec, s[4:5]
	s_waitcnt lgkmcnt(0)
	; wave barrier
	buffer_load_dword v95, off, s[0:3], 0 offset:356
	buffer_load_dword v96, off, s[0:3], 0 offset:352
	;; [unrolled: 1-line block ×4, first 2 shown]
	v_mov_b32_e32 v92, 0
	ds_read_b64 v[93:94], v92 offset:720
	v_cmp_lt_u32_e32 vcc, 42, v0
	s_waitcnt vmcnt(3) lgkmcnt(0)
	v_mul_f32_e32 v99, v93, v95
	v_mul_f32_e32 v95, v94, v95
	s_waitcnt vmcnt(2)
	v_fma_f32 v93, v93, v96, -v95
	v_fmac_f32_e32 v99, v94, v96
	v_add_f32_e32 v93, 0, v93
	v_add_f32_e32 v94, 0, v99
	s_waitcnt vmcnt(1)
	v_sub_f32_e32 v93, v97, v93
	s_waitcnt vmcnt(0)
	v_sub_f32_e32 v94, v98, v94
	buffer_store_dword v93, off, s[0:3], 0 offset:344
	buffer_store_dword v94, off, s[0:3], 0 offset:348
	s_and_saveexec_b64 s[4:5], vcc
	s_cbranch_execz .LBB108_199
; %bb.198:
	buffer_load_dword v93, off, s[0:3], 0 offset:336
	buffer_load_dword v94, off, s[0:3], 0 offset:340
	s_waitcnt vmcnt(0)
	ds_write_b64 v91, v[93:94]
	buffer_store_dword v92, off, s[0:3], 0 offset:336
	buffer_store_dword v92, off, s[0:3], 0 offset:340
.LBB108_199:
	s_or_b64 exec, exec, s[4:5]
	s_waitcnt lgkmcnt(0)
	; wave barrier
	buffer_load_dword v96, off, s[0:3], 0 offset:348
	buffer_load_dword v97, off, s[0:3], 0 offset:356
	;; [unrolled: 1-line block ×6, first 2 shown]
	ds_read2_b64 v[92:95], v92 offset0:89 offset1:90
	v_cmp_lt_u32_e32 vcc, 41, v0
	s_waitcnt vmcnt(5) lgkmcnt(0)
	v_mul_f32_e32 v102, v92, v96
	v_mul_f32_e32 v96, v93, v96
	s_waitcnt vmcnt(4)
	v_mul_f32_e32 v103, v94, v97
	v_mul_f32_e32 v97, v95, v97
	s_waitcnt vmcnt(3)
	v_fma_f32 v92, v92, v98, -v96
	v_fmac_f32_e32 v102, v93, v98
	s_waitcnt vmcnt(2)
	v_fma_f32 v93, v94, v99, -v97
	v_add_f32_e32 v92, 0, v92
	v_fmac_f32_e32 v103, v95, v99
	v_add_f32_e32 v94, 0, v102
	v_add_f32_e32 v92, v92, v93
	v_add_f32_e32 v94, v94, v103
	s_waitcnt vmcnt(1)
	v_sub_f32_e32 v92, v100, v92
	s_waitcnt vmcnt(0)
	v_sub_f32_e32 v93, v101, v94
	buffer_store_dword v92, off, s[0:3], 0 offset:336
	buffer_store_dword v93, off, s[0:3], 0 offset:340
	s_and_saveexec_b64 s[4:5], vcc
	s_cbranch_execz .LBB108_201
; %bb.200:
	buffer_load_dword v92, off, s[0:3], 0 offset:328
	buffer_load_dword v93, off, s[0:3], 0 offset:332
	v_mov_b32_e32 v94, 0
	buffer_store_dword v94, off, s[0:3], 0 offset:328
	buffer_store_dword v94, off, s[0:3], 0 offset:332
	s_waitcnt vmcnt(2)
	ds_write_b64 v91, v[92:93]
.LBB108_201:
	s_or_b64 exec, exec, s[4:5]
	s_waitcnt lgkmcnt(0)
	; wave barrier
	buffer_load_dword v99, off, s[0:3], 0 offset:340
	buffer_load_dword v100, off, s[0:3], 0 offset:348
	;; [unrolled: 1-line block ×8, first 2 shown]
	v_mov_b32_e32 v92, 0
	ds_read_b128 v[93:96], v92 offset:704
	ds_read_b64 v[97:98], v92 offset:720
	v_cmp_lt_u32_e32 vcc, 40, v0
	s_waitcnt vmcnt(7) lgkmcnt(1)
	v_mul_f32_e32 v107, v93, v99
	v_mul_f32_e32 v99, v94, v99
	s_waitcnt vmcnt(6)
	v_mul_f32_e32 v108, v95, v100
	v_mul_f32_e32 v100, v96, v100
	s_waitcnt vmcnt(4)
	v_fma_f32 v93, v93, v102, -v99
	s_waitcnt lgkmcnt(0)
	v_mul_f32_e32 v109, v97, v101
	v_mul_f32_e32 v101, v98, v101
	v_fmac_f32_e32 v107, v94, v102
	s_waitcnt vmcnt(3)
	v_fma_f32 v94, v95, v103, -v100
	v_add_f32_e32 v93, 0, v93
	v_fmac_f32_e32 v108, v96, v103
	s_waitcnt vmcnt(2)
	v_fma_f32 v95, v97, v104, -v101
	v_add_f32_e32 v96, 0, v107
	v_add_f32_e32 v93, v93, v94
	v_fmac_f32_e32 v109, v98, v104
	v_add_f32_e32 v96, v96, v108
	v_add_f32_e32 v93, v93, v95
	;; [unrolled: 1-line block ×3, first 2 shown]
	s_waitcnt vmcnt(1)
	v_sub_f32_e32 v93, v105, v93
	s_waitcnt vmcnt(0)
	v_sub_f32_e32 v94, v106, v94
	buffer_store_dword v93, off, s[0:3], 0 offset:328
	buffer_store_dword v94, off, s[0:3], 0 offset:332
	s_and_saveexec_b64 s[4:5], vcc
	s_cbranch_execz .LBB108_203
; %bb.202:
	buffer_load_dword v93, off, s[0:3], 0 offset:320
	buffer_load_dword v94, off, s[0:3], 0 offset:324
	s_waitcnt vmcnt(0)
	ds_write_b64 v91, v[93:94]
	buffer_store_dword v92, off, s[0:3], 0 offset:320
	buffer_store_dword v92, off, s[0:3], 0 offset:324
.LBB108_203:
	s_or_b64 exec, exec, s[4:5]
	s_waitcnt lgkmcnt(0)
	; wave barrier
	buffer_load_dword v101, off, s[0:3], 0 offset:332
	buffer_load_dword v102, off, s[0:3], 0 offset:340
	;; [unrolled: 1-line block ×10, first 2 shown]
	ds_read2_b64 v[93:96], v92 offset0:87 offset1:88
	ds_read2_b64 v[97:100], v92 offset0:89 offset1:90
	v_cmp_lt_u32_e32 vcc, 39, v0
	s_waitcnt vmcnt(9) lgkmcnt(1)
	v_mul_f32_e32 v92, v93, v101
	v_mul_f32_e32 v101, v94, v101
	s_waitcnt vmcnt(8)
	v_mul_f32_e32 v111, v95, v102
	v_mul_f32_e32 v102, v96, v102
	s_waitcnt vmcnt(5)
	v_fma_f32 v93, v93, v105, -v101
	s_waitcnt lgkmcnt(0)
	v_mul_f32_e32 v112, v97, v103
	v_mul_f32_e32 v103, v98, v103
	v_fmac_f32_e32 v92, v94, v105
	s_waitcnt vmcnt(4)
	v_fma_f32 v94, v95, v106, -v102
	v_add_f32_e32 v93, 0, v93
	v_mul_f32_e32 v113, v99, v104
	v_mul_f32_e32 v104, v100, v104
	v_fmac_f32_e32 v111, v96, v106
	s_waitcnt vmcnt(3)
	v_fma_f32 v95, v97, v107, -v103
	v_add_f32_e32 v92, 0, v92
	v_add_f32_e32 v93, v93, v94
	v_fmac_f32_e32 v112, v98, v107
	s_waitcnt vmcnt(2)
	v_fma_f32 v96, v99, v108, -v104
	v_add_f32_e32 v92, v92, v111
	v_add_f32_e32 v93, v93, v95
	v_fmac_f32_e32 v113, v100, v108
	v_add_f32_e32 v92, v92, v112
	v_add_f32_e32 v93, v93, v96
	;; [unrolled: 1-line block ×3, first 2 shown]
	s_waitcnt vmcnt(1)
	v_sub_f32_e32 v93, v109, v93
	s_waitcnt vmcnt(0)
	v_sub_f32_e32 v92, v110, v92
	buffer_store_dword v93, off, s[0:3], 0 offset:320
	buffer_store_dword v92, off, s[0:3], 0 offset:324
	s_and_saveexec_b64 s[4:5], vcc
	s_cbranch_execz .LBB108_205
; %bb.204:
	buffer_load_dword v92, off, s[0:3], 0 offset:312
	buffer_load_dword v93, off, s[0:3], 0 offset:316
	v_mov_b32_e32 v94, 0
	buffer_store_dword v94, off, s[0:3], 0 offset:312
	buffer_store_dword v94, off, s[0:3], 0 offset:316
	s_waitcnt vmcnt(2)
	ds_write_b64 v91, v[92:93]
.LBB108_205:
	s_or_b64 exec, exec, s[4:5]
	s_waitcnt lgkmcnt(0)
	; wave barrier
	buffer_load_dword v103, off, s[0:3], 0 offset:324
	buffer_load_dword v104, off, s[0:3], 0 offset:332
	;; [unrolled: 1-line block ×12, first 2 shown]
	v_mov_b32_e32 v92, 0
	ds_read_b128 v[93:96], v92 offset:688
	ds_read_b128 v[97:100], v92 offset:704
	ds_read_b64 v[101:102], v92 offset:720
	v_cmp_lt_u32_e32 vcc, 38, v0
	s_waitcnt vmcnt(11) lgkmcnt(2)
	v_mul_f32_e32 v115, v93, v103
	v_mul_f32_e32 v103, v94, v103
	s_waitcnt vmcnt(10)
	v_mul_f32_e32 v116, v95, v104
	v_mul_f32_e32 v104, v96, v104
	s_waitcnt vmcnt(9) lgkmcnt(1)
	v_mul_f32_e32 v117, v97, v105
	s_waitcnt vmcnt(6)
	v_fma_f32 v93, v93, v108, -v103
	v_mul_f32_e32 v105, v98, v105
	v_fmac_f32_e32 v115, v94, v108
	s_waitcnt vmcnt(5)
	v_fma_f32 v94, v95, v109, -v104
	v_add_f32_e32 v93, 0, v93
	v_mul_f32_e32 v118, v99, v106
	v_mul_f32_e32 v106, v100, v106
	v_fmac_f32_e32 v116, v96, v109
	s_waitcnt vmcnt(4)
	v_fmac_f32_e32 v117, v98, v110
	v_fma_f32 v95, v97, v110, -v105
	v_add_f32_e32 v98, 0, v115
	v_add_f32_e32 v93, v93, v94
	s_waitcnt lgkmcnt(0)
	v_mul_f32_e32 v119, v101, v107
	v_mul_f32_e32 v107, v102, v107
	s_waitcnt vmcnt(3)
	v_fma_f32 v96, v99, v111, -v106
	v_add_f32_e32 v98, v98, v116
	v_add_f32_e32 v93, v93, v95
	v_fmac_f32_e32 v118, v100, v111
	s_waitcnt vmcnt(2)
	v_fma_f32 v97, v101, v112, -v107
	v_add_f32_e32 v94, v98, v117
	v_add_f32_e32 v93, v93, v96
	v_fmac_f32_e32 v119, v102, v112
	v_add_f32_e32 v94, v94, v118
	v_add_f32_e32 v93, v93, v97
	;; [unrolled: 1-line block ×3, first 2 shown]
	s_waitcnt vmcnt(1)
	v_sub_f32_e32 v93, v113, v93
	s_waitcnt vmcnt(0)
	v_sub_f32_e32 v94, v114, v94
	buffer_store_dword v93, off, s[0:3], 0 offset:312
	buffer_store_dword v94, off, s[0:3], 0 offset:316
	s_and_saveexec_b64 s[4:5], vcc
	s_cbranch_execz .LBB108_207
; %bb.206:
	buffer_load_dword v93, off, s[0:3], 0 offset:304
	buffer_load_dword v94, off, s[0:3], 0 offset:308
	s_waitcnt vmcnt(0)
	ds_write_b64 v91, v[93:94]
	buffer_store_dword v92, off, s[0:3], 0 offset:304
	buffer_store_dword v92, off, s[0:3], 0 offset:308
.LBB108_207:
	s_or_b64 exec, exec, s[4:5]
	s_waitcnt lgkmcnt(0)
	; wave barrier
	buffer_load_dword v105, off, s[0:3], 0 offset:316
	buffer_load_dword v106, off, s[0:3], 0 offset:324
	;; [unrolled: 1-line block ×14, first 2 shown]
	ds_read2_b64 v[93:96], v92 offset0:85 offset1:86
	ds_read2_b64 v[97:100], v92 offset0:87 offset1:88
	;; [unrolled: 1-line block ×3, first 2 shown]
	v_cmp_lt_u32_e32 vcc, 37, v0
	s_waitcnt vmcnt(13) lgkmcnt(2)
	v_mul_f32_e32 v92, v93, v105
	v_mul_f32_e32 v105, v94, v105
	s_waitcnt vmcnt(12)
	v_mul_f32_e32 v119, v95, v106
	v_mul_f32_e32 v106, v96, v106
	s_waitcnt vmcnt(11) lgkmcnt(1)
	v_mul_f32_e32 v120, v97, v107
	v_mul_f32_e32 v107, v98, v107
	s_waitcnt vmcnt(7)
	v_fma_f32 v93, v93, v111, -v105
	v_fmac_f32_e32 v92, v94, v111
	s_waitcnt vmcnt(6)
	v_fma_f32 v94, v95, v112, -v106
	v_add_f32_e32 v93, 0, v93
	v_mul_f32_e32 v121, v99, v108
	v_mul_f32_e32 v108, v100, v108
	v_fmac_f32_e32 v119, v96, v112
	s_waitcnt vmcnt(5)
	v_fma_f32 v95, v97, v113, -v107
	v_add_f32_e32 v92, 0, v92
	v_add_f32_e32 v93, v93, v94
	s_waitcnt lgkmcnt(0)
	v_mul_f32_e32 v122, v101, v109
	v_mul_f32_e32 v109, v102, v109
	v_fmac_f32_e32 v120, v98, v113
	s_waitcnt vmcnt(4)
	v_fma_f32 v96, v99, v114, -v108
	v_add_f32_e32 v92, v92, v119
	v_add_f32_e32 v93, v93, v95
	v_mul_f32_e32 v123, v103, v110
	v_mul_f32_e32 v110, v104, v110
	v_fmac_f32_e32 v121, v100, v114
	s_waitcnt vmcnt(3)
	v_fma_f32 v97, v101, v115, -v109
	v_add_f32_e32 v92, v92, v120
	v_add_f32_e32 v93, v93, v96
	v_fmac_f32_e32 v122, v102, v115
	s_waitcnt vmcnt(2)
	v_fma_f32 v98, v103, v116, -v110
	v_add_f32_e32 v92, v92, v121
	v_add_f32_e32 v93, v93, v97
	v_fmac_f32_e32 v123, v104, v116
	v_add_f32_e32 v92, v92, v122
	v_add_f32_e32 v93, v93, v98
	;; [unrolled: 1-line block ×3, first 2 shown]
	s_waitcnt vmcnt(1)
	v_sub_f32_e32 v93, v117, v93
	s_waitcnt vmcnt(0)
	v_sub_f32_e32 v92, v118, v92
	buffer_store_dword v93, off, s[0:3], 0 offset:304
	buffer_store_dword v92, off, s[0:3], 0 offset:308
	s_and_saveexec_b64 s[4:5], vcc
	s_cbranch_execz .LBB108_209
; %bb.208:
	buffer_load_dword v92, off, s[0:3], 0 offset:296
	buffer_load_dword v93, off, s[0:3], 0 offset:300
	v_mov_b32_e32 v94, 0
	buffer_store_dword v94, off, s[0:3], 0 offset:296
	buffer_store_dword v94, off, s[0:3], 0 offset:300
	s_waitcnt vmcnt(2)
	ds_write_b64 v91, v[92:93]
.LBB108_209:
	s_or_b64 exec, exec, s[4:5]
	v_mov_b32_e32 v92, 0
	s_waitcnt lgkmcnt(0)
	; wave barrier
	ds_read_b128 v[93:96], v92 offset:672
	ds_read_b128 v[97:100], v92 offset:688
	ds_read_b128 v[101:104], v92 offset:704
	ds_read_b64 v[105:106], v92 offset:720
	buffer_load_dword v107, off, s[0:3], 0 offset:296
	buffer_load_dword v108, off, s[0:3], 0 offset:300
	buffer_load_dword v109, off, s[0:3], 0 offset:304
	buffer_load_dword v110, off, s[0:3], 0 offset:308
	buffer_load_dword v111, off, s[0:3], 0 offset:312
	buffer_load_dword v112, off, s[0:3], 0 offset:316
	buffer_load_dword v113, off, s[0:3], 0 offset:320
	buffer_load_dword v114, off, s[0:3], 0 offset:324
	buffer_load_dword v115, off, s[0:3], 0 offset:328
	buffer_load_dword v116, off, s[0:3], 0 offset:332
	buffer_load_dword v117, off, s[0:3], 0 offset:336
	buffer_load_dword v118, off, s[0:3], 0 offset:340
	buffer_load_dword v119, off, s[0:3], 0 offset:344
	buffer_load_dword v120, off, s[0:3], 0 offset:348
	buffer_load_dword v121, off, s[0:3], 0 offset:352
	buffer_load_dword v122, off, s[0:3], 0 offset:356
	v_cmp_lt_u32_e32 vcc, 36, v0
	s_waitcnt vmcnt(12) lgkmcnt(3)
	v_mul_f32_e32 v123, v93, v110
	v_fmac_f32_e32 v123, v94, v109
	v_mul_f32_e32 v94, v94, v110
	v_fma_f32 v93, v93, v109, -v94
	s_waitcnt vmcnt(10)
	v_mul_f32_e32 v94, v96, v112
	v_mul_f32_e32 v124, v95, v112
	v_add_f32_e32 v93, 0, v93
	v_fma_f32 v94, v95, v111, -v94
	v_add_f32_e32 v123, 0, v123
	v_fmac_f32_e32 v124, v96, v111
	v_add_f32_e32 v93, v93, v94
	s_waitcnt vmcnt(8) lgkmcnt(2)
	v_mul_f32_e32 v94, v98, v114
	v_add_f32_e32 v123, v123, v124
	v_mul_f32_e32 v124, v97, v114
	v_fma_f32 v94, v97, v113, -v94
	v_fmac_f32_e32 v124, v98, v113
	v_add_f32_e32 v93, v93, v94
	s_waitcnt vmcnt(6)
	v_mul_f32_e32 v94, v100, v116
	v_add_f32_e32 v123, v123, v124
	v_mul_f32_e32 v124, v99, v116
	v_fma_f32 v94, v99, v115, -v94
	v_fmac_f32_e32 v124, v100, v115
	v_add_f32_e32 v93, v93, v94
	s_waitcnt vmcnt(4) lgkmcnt(1)
	v_mul_f32_e32 v94, v102, v118
	v_add_f32_e32 v123, v123, v124
	v_mul_f32_e32 v124, v101, v118
	v_fma_f32 v94, v101, v117, -v94
	v_fmac_f32_e32 v124, v102, v117
	v_add_f32_e32 v93, v93, v94
	s_waitcnt vmcnt(2)
	v_mul_f32_e32 v94, v104, v120
	v_add_f32_e32 v123, v123, v124
	v_mul_f32_e32 v124, v103, v120
	v_fma_f32 v94, v103, v119, -v94
	v_fmac_f32_e32 v124, v104, v119
	v_add_f32_e32 v93, v93, v94
	s_waitcnt vmcnt(0) lgkmcnt(0)
	v_mul_f32_e32 v94, v106, v122
	v_add_f32_e32 v123, v123, v124
	v_mul_f32_e32 v124, v105, v122
	v_fma_f32 v94, v105, v121, -v94
	v_fmac_f32_e32 v124, v106, v121
	v_add_f32_e32 v93, v93, v94
	v_add_f32_e32 v123, v123, v124
	v_sub_f32_e32 v93, v107, v93
	v_sub_f32_e32 v94, v108, v123
	buffer_store_dword v93, off, s[0:3], 0 offset:296
	buffer_store_dword v94, off, s[0:3], 0 offset:300
	s_and_saveexec_b64 s[4:5], vcc
	s_cbranch_execz .LBB108_211
; %bb.210:
	buffer_load_dword v93, off, s[0:3], 0 offset:288
	buffer_load_dword v94, off, s[0:3], 0 offset:292
	s_waitcnt vmcnt(0)
	ds_write_b64 v91, v[93:94]
	buffer_store_dword v92, off, s[0:3], 0 offset:288
	buffer_store_dword v92, off, s[0:3], 0 offset:292
.LBB108_211:
	s_or_b64 exec, exec, s[4:5]
	s_waitcnt lgkmcnt(0)
	; wave barrier
	buffer_load_dword v109, off, s[0:3], 0 offset:300
	buffer_load_dword v110, off, s[0:3], 0 offset:308
	;; [unrolled: 1-line block ×18, first 2 shown]
	ds_read2_b64 v[93:96], v92 offset0:83 offset1:84
	ds_read2_b64 v[97:100], v92 offset0:85 offset1:86
	;; [unrolled: 1-line block ×4, first 2 shown]
	v_cmp_lt_u32_e32 vcc, 35, v0
	s_waitcnt vmcnt(17) lgkmcnt(3)
	v_mul_f32_e32 v92, v93, v109
	v_mul_f32_e32 v109, v94, v109
	s_waitcnt vmcnt(16)
	v_mul_f32_e32 v127, v95, v110
	v_mul_f32_e32 v110, v96, v110
	s_waitcnt vmcnt(15) lgkmcnt(2)
	v_mul_f32_e32 v128, v97, v111
	v_mul_f32_e32 v111, v98, v111
	s_waitcnt vmcnt(14)
	v_mul_f32_e32 v129, v99, v112
	v_mul_f32_e32 v112, v100, v112
	s_waitcnt vmcnt(9)
	v_fma_f32 v93, v93, v117, -v109
	v_fmac_f32_e32 v92, v94, v117
	s_waitcnt vmcnt(8)
	v_fma_f32 v94, v95, v118, -v110
	v_add_f32_e32 v93, 0, v93
	v_fmac_f32_e32 v127, v96, v118
	s_waitcnt vmcnt(7)
	v_fma_f32 v95, v97, v119, -v111
	v_add_f32_e32 v92, 0, v92
	v_add_f32_e32 v93, v93, v94
	s_waitcnt lgkmcnt(1)
	v_mul_f32_e32 v130, v101, v113
	v_mul_f32_e32 v113, v102, v113
	v_fmac_f32_e32 v128, v98, v119
	s_waitcnt vmcnt(6)
	v_fma_f32 v96, v99, v120, -v112
	v_add_f32_e32 v92, v92, v127
	v_add_f32_e32 v93, v93, v95
	v_mul_f32_e32 v131, v103, v114
	v_mul_f32_e32 v114, v104, v114
	v_fmac_f32_e32 v129, v100, v120
	s_waitcnt vmcnt(5)
	v_fma_f32 v97, v101, v121, -v113
	v_add_f32_e32 v92, v92, v128
	v_add_f32_e32 v93, v93, v96
	s_waitcnt lgkmcnt(0)
	v_mul_f32_e32 v132, v105, v115
	v_mul_f32_e32 v115, v106, v115
	v_fmac_f32_e32 v130, v102, v121
	s_waitcnt vmcnt(4)
	v_fma_f32 v98, v103, v122, -v114
	v_add_f32_e32 v92, v92, v129
	v_add_f32_e32 v93, v93, v97
	v_mul_f32_e32 v133, v107, v116
	v_mul_f32_e32 v116, v108, v116
	v_fmac_f32_e32 v131, v104, v122
	s_waitcnt vmcnt(3)
	v_fma_f32 v99, v105, v123, -v115
	v_add_f32_e32 v92, v92, v130
	v_add_f32_e32 v93, v93, v98
	v_fmac_f32_e32 v132, v106, v123
	s_waitcnt vmcnt(2)
	v_fma_f32 v100, v107, v124, -v116
	v_add_f32_e32 v92, v92, v131
	v_add_f32_e32 v93, v93, v99
	v_fmac_f32_e32 v133, v108, v124
	v_add_f32_e32 v92, v92, v132
	v_add_f32_e32 v93, v93, v100
	v_add_f32_e32 v92, v92, v133
	s_waitcnt vmcnt(1)
	v_sub_f32_e32 v93, v125, v93
	s_waitcnt vmcnt(0)
	v_sub_f32_e32 v92, v126, v92
	buffer_store_dword v93, off, s[0:3], 0 offset:288
	buffer_store_dword v92, off, s[0:3], 0 offset:292
	s_and_saveexec_b64 s[4:5], vcc
	s_cbranch_execz .LBB108_213
; %bb.212:
	buffer_load_dword v92, off, s[0:3], 0 offset:280
	buffer_load_dword v93, off, s[0:3], 0 offset:284
	v_mov_b32_e32 v94, 0
	buffer_store_dword v94, off, s[0:3], 0 offset:280
	buffer_store_dword v94, off, s[0:3], 0 offset:284
	s_waitcnt vmcnt(2)
	ds_write_b64 v91, v[92:93]
.LBB108_213:
	s_or_b64 exec, exec, s[4:5]
	s_waitcnt lgkmcnt(0)
	; wave barrier
	buffer_load_dword v111, off, s[0:3], 0 offset:292
	buffer_load_dword v112, off, s[0:3], 0 offset:300
	;; [unrolled: 1-line block ×20, first 2 shown]
	v_mov_b32_e32 v92, 0
	ds_read_b128 v[93:96], v92 offset:656
	ds_read_b128 v[97:100], v92 offset:672
	;; [unrolled: 1-line block ×4, first 2 shown]
	ds_read_b64 v[109:110], v92 offset:720
	v_cmp_lt_u32_e32 vcc, 34, v0
	s_waitcnt vmcnt(19) lgkmcnt(4)
	v_mul_f32_e32 v131, v93, v111
	v_mul_f32_e32 v111, v94, v111
	s_waitcnt vmcnt(18)
	v_mul_f32_e32 v132, v95, v112
	v_mul_f32_e32 v112, v96, v112
	s_waitcnt vmcnt(17) lgkmcnt(3)
	v_mul_f32_e32 v133, v97, v113
	s_waitcnt vmcnt(15) lgkmcnt(2)
	v_mul_f32_e32 v135, v101, v115
	v_mul_f32_e32 v113, v98, v113
	;; [unrolled: 1-line block ×4, first 2 shown]
	s_waitcnt vmcnt(10)
	v_fma_f32 v93, v93, v120, -v111
	v_fmac_f32_e32 v131, v94, v120
	s_waitcnt vmcnt(9)
	v_fma_f32 v94, v95, v121, -v112
	v_add_f32_e32 v93, 0, v93
	v_mul_f32_e32 v115, v102, v115
	v_fmac_f32_e32 v132, v96, v121
	s_waitcnt vmcnt(6)
	v_fmac_f32_e32 v135, v102, v124
	v_fma_f32 v95, v97, v122, -v113
	v_add_f32_e32 v102, 0, v131
	v_add_f32_e32 v93, v93, v94
	v_fmac_f32_e32 v133, v98, v122
	v_fma_f32 v96, v99, v123, -v114
	v_add_f32_e32 v102, v102, v132
	v_add_f32_e32 v93, v93, v95
	v_mul_f32_e32 v136, v103, v116
	v_mul_f32_e32 v116, v104, v116
	v_fmac_f32_e32 v134, v100, v123
	v_fma_f32 v97, v101, v124, -v115
	v_add_f32_e32 v94, v102, v133
	v_add_f32_e32 v93, v93, v96
	s_waitcnt lgkmcnt(1)
	v_mul_f32_e32 v137, v105, v117
	v_mul_f32_e32 v117, v106, v117
	s_waitcnt vmcnt(5)
	v_fma_f32 v98, v103, v125, -v116
	v_add_f32_e32 v94, v94, v134
	v_add_f32_e32 v93, v93, v97
	v_mul_f32_e32 v138, v107, v118
	v_mul_f32_e32 v118, v108, v118
	v_fmac_f32_e32 v136, v104, v125
	s_waitcnt vmcnt(4)
	v_fma_f32 v99, v105, v126, -v117
	v_add_f32_e32 v94, v94, v135
	v_add_f32_e32 v93, v93, v98
	s_waitcnt lgkmcnt(0)
	v_mul_f32_e32 v139, v109, v119
	v_mul_f32_e32 v119, v110, v119
	v_fmac_f32_e32 v137, v106, v126
	s_waitcnt vmcnt(3)
	v_fma_f32 v100, v107, v127, -v118
	v_add_f32_e32 v94, v94, v136
	v_add_f32_e32 v93, v93, v99
	v_fmac_f32_e32 v138, v108, v127
	s_waitcnt vmcnt(2)
	v_fma_f32 v101, v109, v128, -v119
	v_add_f32_e32 v94, v94, v137
	v_add_f32_e32 v93, v93, v100
	v_fmac_f32_e32 v139, v110, v128
	v_add_f32_e32 v94, v94, v138
	v_add_f32_e32 v93, v93, v101
	;; [unrolled: 1-line block ×3, first 2 shown]
	s_waitcnt vmcnt(1)
	v_sub_f32_e32 v93, v129, v93
	s_waitcnt vmcnt(0)
	v_sub_f32_e32 v94, v130, v94
	buffer_store_dword v93, off, s[0:3], 0 offset:280
	buffer_store_dword v94, off, s[0:3], 0 offset:284
	s_and_saveexec_b64 s[4:5], vcc
	s_cbranch_execz .LBB108_215
; %bb.214:
	buffer_load_dword v93, off, s[0:3], 0 offset:272
	buffer_load_dword v94, off, s[0:3], 0 offset:276
	s_waitcnt vmcnt(0)
	ds_write_b64 v91, v[93:94]
	buffer_store_dword v92, off, s[0:3], 0 offset:272
	buffer_store_dword v92, off, s[0:3], 0 offset:276
.LBB108_215:
	s_or_b64 exec, exec, s[4:5]
	s_waitcnt lgkmcnt(0)
	; wave barrier
	buffer_load_dword v113, off, s[0:3], 0 offset:284
	buffer_load_dword v114, off, s[0:3], 0 offset:292
	;; [unrolled: 1-line block ×22, first 2 shown]
	ds_read2_b64 v[93:96], v92 offset0:81 offset1:82
	ds_read2_b64 v[97:100], v92 offset0:83 offset1:84
	;; [unrolled: 1-line block ×5, first 2 shown]
	v_cmp_lt_u32_e32 vcc, 33, v0
	s_waitcnt vmcnt(21) lgkmcnt(4)
	v_mul_f32_e32 v92, v93, v113
	v_mul_f32_e32 v113, v94, v113
	s_waitcnt vmcnt(20)
	v_mul_f32_e32 v135, v95, v114
	v_mul_f32_e32 v114, v96, v114
	s_waitcnt vmcnt(19) lgkmcnt(3)
	v_mul_f32_e32 v136, v97, v115
	v_mul_f32_e32 v115, v98, v115
	s_waitcnt vmcnt(18)
	v_mul_f32_e32 v137, v99, v116
	v_mul_f32_e32 v116, v100, v116
	s_waitcnt vmcnt(17) lgkmcnt(2)
	v_mul_f32_e32 v138, v101, v117
	v_mul_f32_e32 v117, v102, v117
	s_waitcnt vmcnt(11)
	v_fma_f32 v93, v93, v123, -v113
	v_fmac_f32_e32 v92, v94, v123
	s_waitcnt vmcnt(10)
	v_fma_f32 v94, v95, v124, -v114
	v_add_f32_e32 v93, 0, v93
	v_fmac_f32_e32 v135, v96, v124
	s_waitcnt vmcnt(9)
	v_fma_f32 v95, v97, v125, -v115
	v_add_f32_e32 v92, 0, v92
	v_add_f32_e32 v93, v93, v94
	v_fmac_f32_e32 v136, v98, v125
	s_waitcnt vmcnt(8)
	v_fma_f32 v96, v99, v126, -v116
	v_add_f32_e32 v92, v92, v135
	v_add_f32_e32 v93, v93, v95
	v_mul_f32_e32 v139, v103, v118
	v_mul_f32_e32 v118, v104, v118
	v_fmac_f32_e32 v137, v100, v126
	s_waitcnt vmcnt(7)
	v_fma_f32 v97, v101, v127, -v117
	v_add_f32_e32 v92, v92, v136
	v_add_f32_e32 v93, v93, v96
	s_waitcnt lgkmcnt(1)
	v_mul_f32_e32 v140, v105, v119
	v_mul_f32_e32 v119, v106, v119
	v_fmac_f32_e32 v138, v102, v127
	s_waitcnt vmcnt(6)
	v_fma_f32 v98, v103, v128, -v118
	v_add_f32_e32 v92, v92, v137
	v_add_f32_e32 v93, v93, v97
	v_mul_f32_e32 v141, v107, v120
	v_mul_f32_e32 v120, v108, v120
	v_fmac_f32_e32 v139, v104, v128
	s_waitcnt vmcnt(5)
	v_fma_f32 v99, v105, v129, -v119
	v_add_f32_e32 v92, v92, v138
	v_add_f32_e32 v93, v93, v98
	s_waitcnt lgkmcnt(0)
	v_mul_f32_e32 v142, v109, v121
	v_mul_f32_e32 v121, v110, v121
	v_fmac_f32_e32 v140, v106, v129
	s_waitcnt vmcnt(4)
	v_fma_f32 v100, v107, v130, -v120
	v_add_f32_e32 v92, v92, v139
	v_add_f32_e32 v93, v93, v99
	v_mul_f32_e32 v143, v111, v122
	v_mul_f32_e32 v122, v112, v122
	v_fmac_f32_e32 v141, v108, v130
	s_waitcnt vmcnt(3)
	v_fma_f32 v101, v109, v131, -v121
	v_add_f32_e32 v92, v92, v140
	v_add_f32_e32 v93, v93, v100
	v_fmac_f32_e32 v142, v110, v131
	s_waitcnt vmcnt(2)
	v_fma_f32 v102, v111, v132, -v122
	v_add_f32_e32 v92, v92, v141
	v_add_f32_e32 v93, v93, v101
	v_fmac_f32_e32 v143, v112, v132
	v_add_f32_e32 v92, v92, v142
	v_add_f32_e32 v93, v93, v102
	;; [unrolled: 1-line block ×3, first 2 shown]
	s_waitcnt vmcnt(1)
	v_sub_f32_e32 v93, v133, v93
	s_waitcnt vmcnt(0)
	v_sub_f32_e32 v92, v134, v92
	buffer_store_dword v93, off, s[0:3], 0 offset:272
	buffer_store_dword v92, off, s[0:3], 0 offset:276
	s_and_saveexec_b64 s[4:5], vcc
	s_cbranch_execz .LBB108_217
; %bb.216:
	buffer_load_dword v92, off, s[0:3], 0 offset:264
	buffer_load_dword v93, off, s[0:3], 0 offset:268
	v_mov_b32_e32 v94, 0
	buffer_store_dword v94, off, s[0:3], 0 offset:264
	buffer_store_dword v94, off, s[0:3], 0 offset:268
	s_waitcnt vmcnt(2)
	ds_write_b64 v91, v[92:93]
.LBB108_217:
	s_or_b64 exec, exec, s[4:5]
	s_waitcnt lgkmcnt(0)
	; wave barrier
	buffer_load_dword v115, off, s[0:3], 0 offset:276
	buffer_load_dword v116, off, s[0:3], 0 offset:284
	;; [unrolled: 1-line block ×24, first 2 shown]
	v_mov_b32_e32 v92, 0
	ds_read_b128 v[93:96], v92 offset:640
	ds_read_b128 v[97:100], v92 offset:656
	;; [unrolled: 1-line block ×5, first 2 shown]
	ds_read_b64 v[113:114], v92 offset:720
	v_cmp_lt_u32_e32 vcc, 32, v0
	s_waitcnt vmcnt(23) lgkmcnt(5)
	v_mul_f32_e32 v139, v93, v115
	v_mul_f32_e32 v115, v94, v115
	s_waitcnt vmcnt(22)
	v_mul_f32_e32 v140, v95, v116
	v_mul_f32_e32 v116, v96, v116
	s_waitcnt vmcnt(21) lgkmcnt(4)
	v_mul_f32_e32 v141, v97, v117
	v_mul_f32_e32 v117, v98, v117
	s_waitcnt vmcnt(20)
	v_mul_f32_e32 v142, v99, v118
	s_waitcnt vmcnt(19) lgkmcnt(3)
	v_mul_f32_e32 v143, v101, v119
	v_mul_f32_e32 v118, v100, v118
	;; [unrolled: 1-line block ×3, first 2 shown]
	s_waitcnt vmcnt(18)
	v_mul_f32_e32 v144, v103, v120
	s_waitcnt vmcnt(12)
	v_fma_f32 v93, v93, v126, -v115
	v_fmac_f32_e32 v139, v94, v126
	s_waitcnt vmcnt(11)
	v_fma_f32 v94, v95, v127, -v116
	v_add_f32_e32 v93, 0, v93
	s_waitcnt vmcnt(10)
	v_fma_f32 v95, v97, v128, -v117
	v_add_f32_e32 v93, v93, v94
	v_fmac_f32_e32 v140, v96, v127
	s_waitcnt vmcnt(8)
	v_fmac_f32_e32 v143, v102, v130
	v_fma_f32 v96, v99, v129, -v118
	v_add_f32_e32 v102, 0, v139
	v_add_f32_e32 v93, v93, v95
	v_mul_f32_e32 v120, v104, v120
	v_fmac_f32_e32 v141, v98, v128
	v_fma_f32 v97, v101, v130, -v119
	v_add_f32_e32 v102, v102, v140
	v_add_f32_e32 v93, v93, v96
	s_waitcnt lgkmcnt(2)
	v_mul_f32_e32 v145, v105, v121
	v_mul_f32_e32 v121, v106, v121
	v_fmac_f32_e32 v142, v100, v129
	s_waitcnt vmcnt(7)
	v_fma_f32 v98, v103, v131, -v120
	v_add_f32_e32 v94, v102, v141
	v_add_f32_e32 v93, v93, v97
	v_mul_f32_e32 v146, v107, v122
	v_mul_f32_e32 v122, v108, v122
	s_waitcnt vmcnt(6)
	v_fma_f32 v99, v105, v132, -v121
	v_add_f32_e32 v94, v94, v142
	v_add_f32_e32 v93, v93, v98
	s_waitcnt lgkmcnt(1)
	v_mul_f32_e32 v147, v109, v123
	v_mul_f32_e32 v123, v110, v123
	v_fmac_f32_e32 v144, v104, v131
	s_waitcnt vmcnt(5)
	v_fma_f32 v100, v107, v133, -v122
	v_add_f32_e32 v94, v94, v143
	v_add_f32_e32 v93, v93, v99
	v_fmac_f32_e32 v145, v106, v132
	s_waitcnt vmcnt(4)
	v_fma_f32 v101, v109, v134, -v123
	v_add_f32_e32 v94, v94, v144
	v_add_f32_e32 v93, v93, v100
	v_mul_f32_e32 v95, v112, v124
	v_fmac_f32_e32 v146, v108, v133
	v_add_f32_e32 v94, v94, v145
	v_add_f32_e32 v93, v93, v101
	s_waitcnt vmcnt(3)
	v_fma_f32 v95, v111, v135, -v95
	v_mul_f32_e32 v148, v111, v124
	v_fmac_f32_e32 v147, v110, v134
	v_add_f32_e32 v94, v94, v146
	v_add_f32_e32 v93, v93, v95
	s_waitcnt lgkmcnt(0)
	v_mul_f32_e32 v95, v114, v125
	v_mul_f32_e32 v149, v113, v125
	v_fmac_f32_e32 v148, v112, v135
	v_add_f32_e32 v94, v94, v147
	s_waitcnt vmcnt(2)
	v_fma_f32 v95, v113, v136, -v95
	v_fmac_f32_e32 v149, v114, v136
	v_add_f32_e32 v94, v94, v148
	v_add_f32_e32 v93, v93, v95
	;; [unrolled: 1-line block ×3, first 2 shown]
	s_waitcnt vmcnt(1)
	v_sub_f32_e32 v93, v137, v93
	s_waitcnt vmcnt(0)
	v_sub_f32_e32 v94, v138, v94
	buffer_store_dword v93, off, s[0:3], 0 offset:264
	buffer_store_dword v94, off, s[0:3], 0 offset:268
	s_and_saveexec_b64 s[4:5], vcc
	s_cbranch_execz .LBB108_219
; %bb.218:
	buffer_load_dword v93, off, s[0:3], 0 offset:256
	buffer_load_dword v94, off, s[0:3], 0 offset:260
	s_waitcnt vmcnt(0)
	ds_write_b64 v91, v[93:94]
	buffer_store_dword v92, off, s[0:3], 0 offset:256
	buffer_store_dword v92, off, s[0:3], 0 offset:260
.LBB108_219:
	s_or_b64 exec, exec, s[4:5]
	s_waitcnt lgkmcnt(0)
	; wave barrier
	buffer_load_dword v117, off, s[0:3], 0 offset:268
	buffer_load_dword v118, off, s[0:3], 0 offset:276
	;; [unrolled: 1-line block ×26, first 2 shown]
	ds_read2_b64 v[93:96], v92 offset0:79 offset1:80
	ds_read2_b64 v[97:100], v92 offset0:81 offset1:82
	ds_read2_b64 v[101:104], v92 offset0:83 offset1:84
	ds_read2_b64 v[105:108], v92 offset0:85 offset1:86
	ds_read2_b64 v[109:112], v92 offset0:87 offset1:88
	ds_read2_b64 v[113:116], v92 offset0:89 offset1:90
	v_cmp_lt_u32_e32 vcc, 31, v0
	s_waitcnt vmcnt(25) lgkmcnt(5)
	v_mul_f32_e32 v92, v93, v117
	v_mul_f32_e32 v117, v94, v117
	s_waitcnt vmcnt(24)
	v_mul_f32_e32 v143, v95, v118
	v_mul_f32_e32 v118, v96, v118
	s_waitcnt vmcnt(23) lgkmcnt(4)
	v_mul_f32_e32 v144, v97, v119
	v_mul_f32_e32 v119, v98, v119
	s_waitcnt vmcnt(22)
	v_mul_f32_e32 v145, v99, v120
	v_mul_f32_e32 v120, v100, v120
	;; [unrolled: 6-line block ×3, first 2 shown]
	s_waitcnt vmcnt(13)
	v_fma_f32 v93, v93, v129, -v117
	v_fmac_f32_e32 v92, v94, v129
	s_waitcnt vmcnt(12)
	v_fma_f32 v94, v95, v130, -v118
	v_add_f32_e32 v93, 0, v93
	s_waitcnt vmcnt(11)
	v_fma_f32 v95, v97, v131, -v119
	v_add_f32_e32 v93, v93, v94
	v_fmac_f32_e32 v143, v96, v130
	s_waitcnt vmcnt(10)
	v_fma_f32 v96, v99, v132, -v120
	v_add_f32_e32 v93, v93, v95
	s_waitcnt vmcnt(9)
	v_fma_f32 v97, v101, v133, -v121
	v_add_f32_e32 v93, v93, v96
	s_waitcnt lgkmcnt(2)
	v_mul_f32_e32 v148, v105, v123
	v_mul_f32_e32 v123, v106, v123
	v_fmac_f32_e32 v144, v98, v131
	s_waitcnt vmcnt(8)
	v_fma_f32 v98, v103, v134, -v122
	v_add_f32_e32 v92, 0, v92
	v_add_f32_e32 v93, v93, v97
	v_mul_f32_e32 v149, v107, v124
	v_mul_f32_e32 v124, v108, v124
	s_waitcnt vmcnt(7)
	v_fma_f32 v99, v105, v135, -v123
	v_add_f32_e32 v92, v92, v143
	v_add_f32_e32 v93, v93, v98
	v_fmac_f32_e32 v145, v100, v132
	s_waitcnt vmcnt(6)
	v_fma_f32 v100, v107, v136, -v124
	v_add_f32_e32 v92, v92, v144
	v_add_f32_e32 v93, v93, v99
	s_waitcnt lgkmcnt(1)
	v_mul_f32_e32 v94, v110, v125
	v_fmac_f32_e32 v146, v102, v133
	v_add_f32_e32 v92, v92, v145
	v_add_f32_e32 v93, v93, v100
	s_waitcnt vmcnt(5)
	v_fma_f32 v94, v109, v137, -v94
	v_fmac_f32_e32 v147, v104, v134
	v_add_f32_e32 v92, v92, v146
	v_add_f32_e32 v93, v93, v94
	v_mul_f32_e32 v94, v112, v126
	v_fmac_f32_e32 v148, v106, v135
	v_add_f32_e32 v92, v92, v147
	s_waitcnt vmcnt(4)
	v_fma_f32 v94, v111, v138, -v94
	v_mul_f32_e32 v150, v109, v125
	v_fmac_f32_e32 v149, v108, v136
	v_add_f32_e32 v92, v92, v148
	v_add_f32_e32 v93, v93, v94
	s_waitcnt lgkmcnt(0)
	v_mul_f32_e32 v94, v114, v127
	v_mul_f32_e32 v151, v111, v126
	v_fmac_f32_e32 v150, v110, v137
	v_add_f32_e32 v92, v92, v149
	s_waitcnt vmcnt(3)
	v_fma_f32 v94, v113, v139, -v94
	v_mul_f32_e32 v152, v113, v127
	v_fmac_f32_e32 v151, v112, v138
	v_add_f32_e32 v92, v92, v150
	v_add_f32_e32 v93, v93, v94
	v_mul_f32_e32 v94, v116, v128
	v_mul_f32_e32 v153, v115, v128
	v_fmac_f32_e32 v152, v114, v139
	v_add_f32_e32 v92, v92, v151
	s_waitcnt vmcnt(2)
	v_fma_f32 v94, v115, v140, -v94
	v_fmac_f32_e32 v153, v116, v140
	v_add_f32_e32 v92, v92, v152
	v_add_f32_e32 v93, v93, v94
	;; [unrolled: 1-line block ×3, first 2 shown]
	s_waitcnt vmcnt(1)
	v_sub_f32_e32 v93, v141, v93
	s_waitcnt vmcnt(0)
	v_sub_f32_e32 v92, v142, v92
	buffer_store_dword v93, off, s[0:3], 0 offset:256
	buffer_store_dword v92, off, s[0:3], 0 offset:260
	s_and_saveexec_b64 s[4:5], vcc
	s_cbranch_execz .LBB108_221
; %bb.220:
	buffer_load_dword v92, off, s[0:3], 0 offset:248
	buffer_load_dword v93, off, s[0:3], 0 offset:252
	v_mov_b32_e32 v94, 0
	buffer_store_dword v94, off, s[0:3], 0 offset:248
	buffer_store_dword v94, off, s[0:3], 0 offset:252
	s_waitcnt vmcnt(2)
	ds_write_b64 v91, v[92:93]
.LBB108_221:
	s_or_b64 exec, exec, s[4:5]
	s_waitcnt lgkmcnt(0)
	; wave barrier
	buffer_load_dword v119, off, s[0:3], 0 offset:260
	buffer_load_dword v120, off, s[0:3], 0 offset:268
	buffer_load_dword v121, off, s[0:3], 0 offset:276
	buffer_load_dword v122, off, s[0:3], 0 offset:284
	buffer_load_dword v123, off, s[0:3], 0 offset:292
	buffer_load_dword v124, off, s[0:3], 0 offset:300
	buffer_load_dword v125, off, s[0:3], 0 offset:308
	buffer_load_dword v126, off, s[0:3], 0 offset:316
	buffer_load_dword v127, off, s[0:3], 0 offset:324
	buffer_load_dword v128, off, s[0:3], 0 offset:332
	buffer_load_dword v129, off, s[0:3], 0 offset:340
	buffer_load_dword v130, off, s[0:3], 0 offset:348
	buffer_load_dword v131, off, s[0:3], 0 offset:356
	buffer_load_dword v132, off, s[0:3], 0 offset:256
	buffer_load_dword v133, off, s[0:3], 0 offset:264
	buffer_load_dword v134, off, s[0:3], 0 offset:272
	buffer_load_dword v135, off, s[0:3], 0 offset:280
	buffer_load_dword v136, off, s[0:3], 0 offset:288
	buffer_load_dword v137, off, s[0:3], 0 offset:296
	buffer_load_dword v138, off, s[0:3], 0 offset:304
	buffer_load_dword v139, off, s[0:3], 0 offset:312
	buffer_load_dword v140, off, s[0:3], 0 offset:320
	buffer_load_dword v141, off, s[0:3], 0 offset:328
	buffer_load_dword v142, off, s[0:3], 0 offset:336
	buffer_load_dword v143, off, s[0:3], 0 offset:344
	buffer_load_dword v144, off, s[0:3], 0 offset:352
	buffer_load_dword v145, off, s[0:3], 0 offset:248
	buffer_load_dword v146, off, s[0:3], 0 offset:252
	v_mov_b32_e32 v92, 0
	ds_read_b128 v[93:96], v92 offset:624
	ds_read_b128 v[97:100], v92 offset:640
	;; [unrolled: 1-line block ×6, first 2 shown]
	ds_read_b64 v[117:118], v92 offset:720
	v_cmp_lt_u32_e32 vcc, 30, v0
	s_waitcnt vmcnt(27) lgkmcnt(6)
	v_mul_f32_e32 v147, v93, v119
	v_mul_f32_e32 v119, v94, v119
	s_waitcnt vmcnt(26)
	v_mul_f32_e32 v148, v95, v120
	v_mul_f32_e32 v120, v96, v120
	s_waitcnt vmcnt(25) lgkmcnt(5)
	v_mul_f32_e32 v149, v97, v121
	v_mul_f32_e32 v121, v98, v121
	s_waitcnt vmcnt(24)
	v_mul_f32_e32 v150, v99, v122
	v_mul_f32_e32 v122, v100, v122
	;; [unrolled: 6-line block ×3, first 2 shown]
	s_waitcnt vmcnt(21) lgkmcnt(3)
	v_mul_f32_e32 v153, v105, v125
	s_waitcnt vmcnt(14)
	v_fma_f32 v93, v93, v132, -v119
	v_fmac_f32_e32 v147, v94, v132
	s_waitcnt vmcnt(13)
	v_fma_f32 v94, v95, v133, -v120
	v_add_f32_e32 v93, 0, v93
	s_waitcnt vmcnt(12)
	v_fma_f32 v95, v97, v134, -v121
	v_add_f32_e32 v93, v93, v94
	v_fmac_f32_e32 v148, v96, v133
	s_waitcnt vmcnt(11)
	v_fma_f32 v96, v99, v135, -v122
	v_add_f32_e32 v93, v93, v95
	s_waitcnt vmcnt(10)
	v_fma_f32 v97, v101, v136, -v123
	v_add_f32_e32 v93, v93, v96
	v_fmac_f32_e32 v149, v98, v134
	s_waitcnt vmcnt(9)
	v_fma_f32 v98, v103, v137, -v124
	v_add_f32_e32 v93, v93, v97
	v_mul_f32_e32 v95, v106, v125
	v_add_f32_e32 v93, v93, v98
	s_waitcnt vmcnt(8)
	v_fma_f32 v95, v105, v138, -v95
	v_add_f32_e32 v93, v93, v95
	v_mul_f32_e32 v95, v108, v126
	v_add_f32_e32 v99, 0, v147
	s_waitcnt vmcnt(7)
	v_fma_f32 v95, v107, v139, -v95
	v_add_f32_e32 v99, v99, v148
	v_add_f32_e32 v93, v93, v95
	s_waitcnt lgkmcnt(2)
	v_mul_f32_e32 v95, v110, v127
	v_fmac_f32_e32 v150, v100, v135
	v_add_f32_e32 v94, v99, v149
	s_waitcnt vmcnt(6)
	v_fma_f32 v95, v109, v140, -v95
	v_fmac_f32_e32 v151, v102, v136
	v_add_f32_e32 v94, v94, v150
	v_add_f32_e32 v93, v93, v95
	v_mul_f32_e32 v95, v112, v128
	v_fmac_f32_e32 v152, v104, v137
	v_add_f32_e32 v94, v94, v151
	s_waitcnt vmcnt(5)
	v_fma_f32 v95, v111, v141, -v95
	v_mul_f32_e32 v154, v107, v126
	v_fmac_f32_e32 v153, v106, v138
	v_add_f32_e32 v94, v94, v152
	v_add_f32_e32 v93, v93, v95
	s_waitcnt lgkmcnt(1)
	v_mul_f32_e32 v95, v114, v129
	v_mul_f32_e32 v155, v109, v127
	v_fmac_f32_e32 v154, v108, v139
	v_add_f32_e32 v94, v94, v153
	s_waitcnt vmcnt(4)
	v_fma_f32 v95, v113, v142, -v95
	v_mul_f32_e32 v156, v111, v128
	v_fmac_f32_e32 v155, v110, v140
	v_add_f32_e32 v94, v94, v154
	v_add_f32_e32 v93, v93, v95
	v_mul_f32_e32 v95, v116, v130
	v_mul_f32_e32 v157, v113, v129
	v_fmac_f32_e32 v156, v112, v141
	v_add_f32_e32 v94, v94, v155
	s_waitcnt vmcnt(3)
	v_fma_f32 v95, v115, v143, -v95
	v_mul_f32_e32 v158, v115, v130
	v_fmac_f32_e32 v157, v114, v142
	v_add_f32_e32 v94, v94, v156
	v_add_f32_e32 v93, v93, v95
	s_waitcnt lgkmcnt(0)
	v_mul_f32_e32 v95, v118, v131
	v_mul_f32_e32 v159, v117, v131
	v_fmac_f32_e32 v158, v116, v143
	v_add_f32_e32 v94, v94, v157
	s_waitcnt vmcnt(2)
	v_fma_f32 v95, v117, v144, -v95
	v_fmac_f32_e32 v159, v118, v144
	v_add_f32_e32 v94, v94, v158
	v_add_f32_e32 v93, v93, v95
	;; [unrolled: 1-line block ×3, first 2 shown]
	s_waitcnt vmcnt(1)
	v_sub_f32_e32 v93, v145, v93
	s_waitcnt vmcnt(0)
	v_sub_f32_e32 v94, v146, v94
	buffer_store_dword v93, off, s[0:3], 0 offset:248
	buffer_store_dword v94, off, s[0:3], 0 offset:252
	s_and_saveexec_b64 s[4:5], vcc
	s_cbranch_execz .LBB108_223
; %bb.222:
	buffer_load_dword v93, off, s[0:3], 0 offset:240
	buffer_load_dword v94, off, s[0:3], 0 offset:244
	s_waitcnt vmcnt(0)
	ds_write_b64 v91, v[93:94]
	buffer_store_dword v92, off, s[0:3], 0 offset:240
	buffer_store_dword v92, off, s[0:3], 0 offset:244
.LBB108_223:
	s_or_b64 exec, exec, s[4:5]
	s_waitcnt lgkmcnt(0)
	; wave barrier
	buffer_load_dword v121, off, s[0:3], 0 offset:252
	buffer_load_dword v122, off, s[0:3], 0 offset:260
	;; [unrolled: 1-line block ×30, first 2 shown]
	ds_read2_b64 v[93:96], v92 offset0:77 offset1:78
	ds_read2_b64 v[97:100], v92 offset0:79 offset1:80
	;; [unrolled: 1-line block ×7, first 2 shown]
	v_cmp_lt_u32_e32 vcc, 29, v0
	s_waitcnt vmcnt(29) lgkmcnt(6)
	v_mul_f32_e32 v92, v93, v121
	v_mul_f32_e32 v121, v94, v121
	s_waitcnt vmcnt(28)
	v_mul_f32_e32 v151, v95, v122
	v_mul_f32_e32 v122, v96, v122
	s_waitcnt vmcnt(27) lgkmcnt(5)
	v_mul_f32_e32 v152, v97, v123
	v_mul_f32_e32 v123, v98, v123
	s_waitcnt vmcnt(26)
	v_mul_f32_e32 v153, v99, v124
	v_mul_f32_e32 v124, v100, v124
	s_waitcnt vmcnt(25) lgkmcnt(4)
	v_mul_f32_e32 v154, v101, v125
	v_mul_f32_e32 v125, v102, v125
	s_waitcnt vmcnt(24)
	v_mul_f32_e32 v155, v103, v126
	s_waitcnt vmcnt(23) lgkmcnt(3)
	v_mul_f32_e32 v156, v105, v127
	s_waitcnt vmcnt(22)
	v_mul_f32_e32 v157, v107, v128
	s_waitcnt vmcnt(21) lgkmcnt(2)
	v_mul_f32_e32 v158, v109, v129
	s_waitcnt vmcnt(15)
	v_fma_f32 v93, v93, v135, -v121
	v_fmac_f32_e32 v92, v94, v135
	s_waitcnt vmcnt(14)
	v_fma_f32 v94, v95, v136, -v122
	v_add_f32_e32 v93, 0, v93
	s_waitcnt vmcnt(13)
	v_fma_f32 v95, v97, v137, -v123
	v_add_f32_e32 v93, v93, v94
	v_fmac_f32_e32 v151, v96, v136
	s_waitcnt vmcnt(12)
	v_fma_f32 v96, v99, v138, -v124
	v_add_f32_e32 v93, v93, v95
	s_waitcnt vmcnt(11)
	v_fma_f32 v97, v101, v139, -v125
	v_add_f32_e32 v93, v93, v96
	v_mul_f32_e32 v94, v104, v126
	v_add_f32_e32 v93, v93, v97
	s_waitcnt vmcnt(10)
	v_fma_f32 v94, v103, v140, -v94
	v_add_f32_e32 v93, v93, v94
	v_mul_f32_e32 v94, v106, v127
	s_waitcnt vmcnt(9)
	v_fma_f32 v94, v105, v141, -v94
	v_add_f32_e32 v93, v93, v94
	v_mul_f32_e32 v94, v108, v128
	s_waitcnt vmcnt(8)
	v_fma_f32 v94, v107, v142, -v94
	v_add_f32_e32 v92, 0, v92
	v_add_f32_e32 v93, v93, v94
	v_mul_f32_e32 v94, v110, v129
	v_fmac_f32_e32 v152, v98, v137
	v_add_f32_e32 v92, v92, v151
	s_waitcnt vmcnt(7)
	v_fma_f32 v94, v109, v143, -v94
	v_fmac_f32_e32 v153, v100, v138
	v_add_f32_e32 v92, v92, v152
	v_add_f32_e32 v93, v93, v94
	v_mul_f32_e32 v94, v112, v130
	v_fmac_f32_e32 v154, v102, v139
	v_add_f32_e32 v92, v92, v153
	s_waitcnt vmcnt(6)
	v_fma_f32 v94, v111, v144, -v94
	v_fmac_f32_e32 v155, v104, v140
	v_add_f32_e32 v92, v92, v154
	v_add_f32_e32 v93, v93, v94
	s_waitcnt lgkmcnt(1)
	v_mul_f32_e32 v94, v114, v131
	v_fmac_f32_e32 v156, v106, v141
	v_add_f32_e32 v92, v92, v155
	s_waitcnt vmcnt(5)
	v_fma_f32 v94, v113, v145, -v94
	v_fmac_f32_e32 v157, v108, v142
	v_add_f32_e32 v92, v92, v156
	v_add_f32_e32 v93, v93, v94
	v_mul_f32_e32 v94, v116, v132
	v_mul_f32_e32 v159, v111, v130
	v_fmac_f32_e32 v158, v110, v143
	v_add_f32_e32 v92, v92, v157
	s_waitcnt vmcnt(4)
	v_fma_f32 v94, v115, v146, -v94
	v_mul_f32_e32 v160, v113, v131
	v_fmac_f32_e32 v159, v112, v144
	v_add_f32_e32 v92, v92, v158
	v_add_f32_e32 v93, v93, v94
	s_waitcnt lgkmcnt(0)
	v_mul_f32_e32 v94, v118, v133
	v_mul_f32_e32 v161, v115, v132
	v_fmac_f32_e32 v160, v114, v145
	v_add_f32_e32 v92, v92, v159
	s_waitcnt vmcnt(3)
	v_fma_f32 v94, v117, v147, -v94
	v_mul_f32_e32 v162, v117, v133
	v_fmac_f32_e32 v161, v116, v146
	v_add_f32_e32 v92, v92, v160
	v_add_f32_e32 v93, v93, v94
	v_mul_f32_e32 v94, v120, v134
	v_mul_f32_e32 v163, v119, v134
	v_fmac_f32_e32 v162, v118, v147
	v_add_f32_e32 v92, v92, v161
	s_waitcnt vmcnt(2)
	v_fma_f32 v94, v119, v148, -v94
	v_fmac_f32_e32 v163, v120, v148
	v_add_f32_e32 v92, v92, v162
	v_add_f32_e32 v93, v93, v94
	;; [unrolled: 1-line block ×3, first 2 shown]
	s_waitcnt vmcnt(1)
	v_sub_f32_e32 v93, v149, v93
	s_waitcnt vmcnt(0)
	v_sub_f32_e32 v92, v150, v92
	buffer_store_dword v93, off, s[0:3], 0 offset:240
	buffer_store_dword v92, off, s[0:3], 0 offset:244
	s_and_saveexec_b64 s[4:5], vcc
	s_cbranch_execz .LBB108_225
; %bb.224:
	buffer_load_dword v92, off, s[0:3], 0 offset:232
	buffer_load_dword v93, off, s[0:3], 0 offset:236
	v_mov_b32_e32 v94, 0
	buffer_store_dword v94, off, s[0:3], 0 offset:232
	buffer_store_dword v94, off, s[0:3], 0 offset:236
	s_waitcnt vmcnt(2)
	ds_write_b64 v91, v[92:93]
.LBB108_225:
	s_or_b64 exec, exec, s[4:5]
	s_waitcnt lgkmcnt(0)
	; wave barrier
	buffer_load_dword v123, off, s[0:3], 0 offset:244
	buffer_load_dword v124, off, s[0:3], 0 offset:252
	;; [unrolled: 1-line block ×32, first 2 shown]
	v_mov_b32_e32 v92, 0
	ds_read_b128 v[93:96], v92 offset:608
	ds_read_b128 v[97:100], v92 offset:624
	;; [unrolled: 1-line block ×7, first 2 shown]
	ds_read_b64 v[121:122], v92 offset:720
	v_cmp_lt_u32_e32 vcc, 28, v0
	s_waitcnt vmcnt(31) lgkmcnt(7)
	v_mul_f32_e32 v155, v93, v123
	v_mul_f32_e32 v123, v94, v123
	s_waitcnt vmcnt(30)
	v_mul_f32_e32 v156, v95, v124
	v_mul_f32_e32 v124, v96, v124
	s_waitcnt vmcnt(29) lgkmcnt(6)
	v_mul_f32_e32 v157, v97, v125
	v_mul_f32_e32 v125, v98, v125
	s_waitcnt vmcnt(28)
	v_mul_f32_e32 v158, v99, v126
	s_waitcnt vmcnt(27) lgkmcnt(5)
	v_mul_f32_e32 v159, v101, v127
	s_waitcnt vmcnt(26)
	v_mul_f32_e32 v160, v103, v128
	s_waitcnt vmcnt(25) lgkmcnt(4)
	;; [unrolled: 4-line block ×4, first 2 shown]
	v_mul_f32_e32 v165, v113, v133
	s_waitcnt vmcnt(20)
	v_mul_f32_e32 v166, v115, v134
	s_waitcnt vmcnt(16)
	v_fma_f32 v93, v93, v138, -v123
	v_fmac_f32_e32 v155, v94, v138
	s_waitcnt vmcnt(15)
	v_fma_f32 v94, v95, v139, -v124
	v_add_f32_e32 v93, 0, v93
	s_waitcnt vmcnt(14)
	v_fma_f32 v95, v97, v140, -v125
	v_add_f32_e32 v93, v93, v94
	v_add_f32_e32 v93, v93, v95
	v_mul_f32_e32 v95, v100, v126
	s_waitcnt vmcnt(13)
	v_fma_f32 v95, v99, v141, -v95
	v_add_f32_e32 v93, v93, v95
	v_mul_f32_e32 v95, v102, v127
	s_waitcnt vmcnt(12)
	v_fma_f32 v95, v101, v142, -v95
	v_add_f32_e32 v93, v93, v95
	v_mul_f32_e32 v95, v104, v128
	s_waitcnt vmcnt(11)
	v_fma_f32 v95, v103, v143, -v95
	v_add_f32_e32 v93, v93, v95
	v_mul_f32_e32 v95, v106, v129
	s_waitcnt vmcnt(10)
	v_fma_f32 v95, v105, v144, -v95
	v_add_f32_e32 v93, v93, v95
	v_mul_f32_e32 v95, v108, v130
	s_waitcnt vmcnt(9)
	v_fma_f32 v95, v107, v145, -v95
	v_add_f32_e32 v93, v93, v95
	v_mul_f32_e32 v95, v110, v131
	v_fmac_f32_e32 v156, v96, v139
	v_add_f32_e32 v96, 0, v155
	s_waitcnt vmcnt(8)
	v_fma_f32 v95, v109, v146, -v95
	v_fmac_f32_e32 v157, v98, v140
	v_add_f32_e32 v96, v96, v156
	v_add_f32_e32 v93, v93, v95
	v_mul_f32_e32 v95, v112, v132
	v_fmac_f32_e32 v158, v100, v141
	v_add_f32_e32 v94, v96, v157
	s_waitcnt vmcnt(7)
	v_fma_f32 v95, v111, v147, -v95
	v_fmac_f32_e32 v159, v102, v142
	v_add_f32_e32 v94, v94, v158
	;; [unrolled: 8-line block ×4, first 2 shown]
	v_add_f32_e32 v93, v93, v95
	s_waitcnt lgkmcnt(1)
	v_mul_f32_e32 v95, v118, v135
	v_fmac_f32_e32 v164, v112, v147
	v_add_f32_e32 v94, v94, v163
	s_waitcnt vmcnt(4)
	v_fma_f32 v95, v117, v150, -v95
	v_fmac_f32_e32 v165, v114, v148
	v_add_f32_e32 v94, v94, v164
	v_add_f32_e32 v93, v93, v95
	v_mul_f32_e32 v95, v120, v136
	v_mul_f32_e32 v167, v117, v135
	v_fmac_f32_e32 v166, v116, v149
	v_add_f32_e32 v94, v94, v165
	s_waitcnt vmcnt(3)
	v_fma_f32 v95, v119, v151, -v95
	v_mul_f32_e32 v168, v119, v136
	v_fmac_f32_e32 v167, v118, v150
	v_add_f32_e32 v94, v94, v166
	v_add_f32_e32 v93, v93, v95
	s_waitcnt lgkmcnt(0)
	v_mul_f32_e32 v95, v122, v137
	v_mul_f32_e32 v169, v121, v137
	v_fmac_f32_e32 v168, v120, v151
	v_add_f32_e32 v94, v94, v167
	s_waitcnt vmcnt(2)
	v_fma_f32 v95, v121, v152, -v95
	v_fmac_f32_e32 v169, v122, v152
	v_add_f32_e32 v94, v94, v168
	v_add_f32_e32 v93, v93, v95
	;; [unrolled: 1-line block ×3, first 2 shown]
	s_waitcnt vmcnt(1)
	v_sub_f32_e32 v93, v153, v93
	s_waitcnt vmcnt(0)
	v_sub_f32_e32 v94, v154, v94
	buffer_store_dword v93, off, s[0:3], 0 offset:232
	buffer_store_dword v94, off, s[0:3], 0 offset:236
	s_and_saveexec_b64 s[4:5], vcc
	s_cbranch_execz .LBB108_227
; %bb.226:
	buffer_load_dword v93, off, s[0:3], 0 offset:224
	buffer_load_dword v94, off, s[0:3], 0 offset:228
	s_waitcnt vmcnt(0)
	ds_write_b64 v91, v[93:94]
	buffer_store_dword v92, off, s[0:3], 0 offset:224
	buffer_store_dword v92, off, s[0:3], 0 offset:228
.LBB108_227:
	s_or_b64 exec, exec, s[4:5]
	s_waitcnt lgkmcnt(0)
	; wave barrier
	buffer_load_dword v125, off, s[0:3], 0 offset:236
	buffer_load_dword v126, off, s[0:3], 0 offset:244
	;; [unrolled: 1-line block ×34, first 2 shown]
	ds_read2_b64 v[93:96], v92 offset0:75 offset1:76
	ds_read2_b64 v[97:100], v92 offset0:77 offset1:78
	ds_read2_b64 v[101:104], v92 offset0:79 offset1:80
	ds_read2_b64 v[105:108], v92 offset0:81 offset1:82
	ds_read2_b64 v[109:112], v92 offset0:83 offset1:84
	ds_read2_b64 v[113:116], v92 offset0:85 offset1:86
	ds_read2_b64 v[117:120], v92 offset0:87 offset1:88
	ds_read2_b64 v[121:124], v92 offset0:89 offset1:90
	v_cmp_lt_u32_e32 vcc, 27, v0
	s_waitcnt vmcnt(33) lgkmcnt(7)
	v_mul_f32_e32 v92, v93, v125
	v_mul_f32_e32 v125, v94, v125
	s_waitcnt vmcnt(32)
	v_mul_f32_e32 v159, v95, v126
	v_mul_f32_e32 v126, v96, v126
	s_waitcnt vmcnt(31) lgkmcnt(6)
	v_mul_f32_e32 v160, v97, v127
	s_waitcnt vmcnt(30)
	v_mul_f32_e32 v161, v99, v128
	s_waitcnt vmcnt(29) lgkmcnt(5)
	v_mul_f32_e32 v162, v101, v129
	s_waitcnt vmcnt(28)
	;; [unrolled: 4-line block ×6, first 2 shown]
	v_mul_f32_e32 v171, v119, v138
	s_waitcnt vmcnt(17)
	v_fma_f32 v93, v93, v141, -v125
	v_fmac_f32_e32 v92, v94, v141
	s_waitcnt vmcnt(16)
	v_fma_f32 v94, v95, v142, -v126
	v_add_f32_e32 v93, 0, v93
	v_add_f32_e32 v93, v93, v94
	v_mul_f32_e32 v94, v98, v127
	s_waitcnt vmcnt(15)
	v_fma_f32 v94, v97, v143, -v94
	v_add_f32_e32 v93, v93, v94
	v_mul_f32_e32 v94, v100, v128
	s_waitcnt vmcnt(14)
	v_fma_f32 v94, v99, v144, -v94
	;; [unrolled: 4-line block ×7, first 2 shown]
	v_fmac_f32_e32 v159, v96, v142
	v_add_f32_e32 v92, 0, v92
	v_add_f32_e32 v93, v93, v94
	v_mul_f32_e32 v94, v112, v134
	v_fmac_f32_e32 v160, v98, v143
	v_add_f32_e32 v92, v92, v159
	s_waitcnt vmcnt(8)
	v_fma_f32 v94, v111, v150, -v94
	v_fmac_f32_e32 v161, v100, v144
	v_add_f32_e32 v92, v92, v160
	v_add_f32_e32 v93, v93, v94
	v_mul_f32_e32 v94, v114, v135
	v_fmac_f32_e32 v162, v102, v145
	v_add_f32_e32 v92, v92, v161
	s_waitcnt vmcnt(7)
	v_fma_f32 v94, v113, v151, -v94
	v_fmac_f32_e32 v163, v104, v146
	v_add_f32_e32 v92, v92, v162
	v_add_f32_e32 v93, v93, v94
	v_mul_f32_e32 v94, v116, v136
	v_fmac_f32_e32 v164, v106, v147
	v_add_f32_e32 v92, v92, v163
	s_waitcnt vmcnt(6)
	v_fma_f32 v94, v115, v152, -v94
	v_fmac_f32_e32 v165, v108, v148
	v_add_f32_e32 v92, v92, v164
	v_add_f32_e32 v93, v93, v94
	v_mul_f32_e32 v94, v118, v137
	v_fmac_f32_e32 v166, v110, v149
	v_add_f32_e32 v92, v92, v165
	s_waitcnt vmcnt(5)
	v_fma_f32 v94, v117, v153, -v94
	v_fmac_f32_e32 v167, v112, v150
	v_add_f32_e32 v92, v92, v166
	v_add_f32_e32 v93, v93, v94
	v_mul_f32_e32 v94, v120, v138
	v_fmac_f32_e32 v168, v114, v151
	v_add_f32_e32 v92, v92, v167
	s_waitcnt vmcnt(4)
	v_fma_f32 v94, v119, v154, -v94
	v_fmac_f32_e32 v169, v116, v152
	v_add_f32_e32 v92, v92, v168
	v_add_f32_e32 v93, v93, v94
	s_waitcnt lgkmcnt(0)
	v_mul_f32_e32 v94, v122, v139
	v_fmac_f32_e32 v170, v118, v153
	v_add_f32_e32 v92, v92, v169
	s_waitcnt vmcnt(3)
	v_fma_f32 v94, v121, v155, -v94
	v_mul_f32_e32 v172, v121, v139
	v_fmac_f32_e32 v171, v120, v154
	v_add_f32_e32 v92, v92, v170
	v_add_f32_e32 v93, v93, v94
	v_mul_f32_e32 v94, v124, v140
	v_mul_f32_e32 v173, v123, v140
	v_fmac_f32_e32 v172, v122, v155
	v_add_f32_e32 v92, v92, v171
	s_waitcnt vmcnt(2)
	v_fma_f32 v94, v123, v156, -v94
	v_fmac_f32_e32 v173, v124, v156
	v_add_f32_e32 v92, v92, v172
	v_add_f32_e32 v93, v93, v94
	;; [unrolled: 1-line block ×3, first 2 shown]
	s_waitcnt vmcnt(1)
	v_sub_f32_e32 v93, v157, v93
	s_waitcnt vmcnt(0)
	v_sub_f32_e32 v92, v158, v92
	buffer_store_dword v93, off, s[0:3], 0 offset:224
	buffer_store_dword v92, off, s[0:3], 0 offset:228
	s_and_saveexec_b64 s[4:5], vcc
	s_cbranch_execz .LBB108_229
; %bb.228:
	buffer_load_dword v92, off, s[0:3], 0 offset:216
	buffer_load_dword v93, off, s[0:3], 0 offset:220
	v_mov_b32_e32 v94, 0
	buffer_store_dword v94, off, s[0:3], 0 offset:216
	buffer_store_dword v94, off, s[0:3], 0 offset:220
	s_waitcnt vmcnt(2)
	ds_write_b64 v91, v[92:93]
.LBB108_229:
	s_or_b64 exec, exec, s[4:5]
	s_waitcnt lgkmcnt(0)
	; wave barrier
	buffer_load_dword v127, off, s[0:3], 0 offset:228
	buffer_load_dword v128, off, s[0:3], 0 offset:236
	buffer_load_dword v129, off, s[0:3], 0 offset:244
	buffer_load_dword v130, off, s[0:3], 0 offset:252
	buffer_load_dword v131, off, s[0:3], 0 offset:260
	buffer_load_dword v132, off, s[0:3], 0 offset:268
	buffer_load_dword v133, off, s[0:3], 0 offset:276
	buffer_load_dword v134, off, s[0:3], 0 offset:284
	buffer_load_dword v135, off, s[0:3], 0 offset:292
	buffer_load_dword v136, off, s[0:3], 0 offset:300
	buffer_load_dword v137, off, s[0:3], 0 offset:308
	buffer_load_dword v138, off, s[0:3], 0 offset:316
	buffer_load_dword v139, off, s[0:3], 0 offset:324
	buffer_load_dword v140, off, s[0:3], 0 offset:332
	buffer_load_dword v141, off, s[0:3], 0 offset:340
	buffer_load_dword v142, off, s[0:3], 0 offset:348
	buffer_load_dword v143, off, s[0:3], 0 offset:356
	buffer_load_dword v144, off, s[0:3], 0 offset:224
	buffer_load_dword v145, off, s[0:3], 0 offset:232
	buffer_load_dword v146, off, s[0:3], 0 offset:240
	buffer_load_dword v147, off, s[0:3], 0 offset:248
	buffer_load_dword v148, off, s[0:3], 0 offset:256
	buffer_load_dword v149, off, s[0:3], 0 offset:264
	buffer_load_dword v150, off, s[0:3], 0 offset:272
	buffer_load_dword v151, off, s[0:3], 0 offset:280
	buffer_load_dword v152, off, s[0:3], 0 offset:288
	buffer_load_dword v153, off, s[0:3], 0 offset:296
	buffer_load_dword v154, off, s[0:3], 0 offset:304
	buffer_load_dword v155, off, s[0:3], 0 offset:312
	buffer_load_dword v156, off, s[0:3], 0 offset:320
	buffer_load_dword v157, off, s[0:3], 0 offset:328
	buffer_load_dword v158, off, s[0:3], 0 offset:336
	buffer_load_dword v159, off, s[0:3], 0 offset:344
	buffer_load_dword v160, off, s[0:3], 0 offset:352
	buffer_load_dword v161, off, s[0:3], 0 offset:216
	buffer_load_dword v162, off, s[0:3], 0 offset:220
	v_mov_b32_e32 v92, 0
	ds_read_b128 v[93:96], v92 offset:592
	ds_read_b128 v[97:100], v92 offset:608
	;; [unrolled: 1-line block ×8, first 2 shown]
	ds_read_b64 v[125:126], v92 offset:720
	v_cmp_lt_u32_e32 vcc, 26, v0
	s_waitcnt vmcnt(35) lgkmcnt(8)
	v_mul_f32_e32 v163, v93, v127
	s_waitcnt vmcnt(34)
	v_mul_f32_e32 v164, v95, v128
	s_waitcnt vmcnt(33) lgkmcnt(7)
	v_mul_f32_e32 v165, v97, v129
	s_waitcnt vmcnt(32)
	v_mul_f32_e32 v166, v99, v130
	s_waitcnt vmcnt(31) lgkmcnt(6)
	v_mul_f32_e32 v167, v101, v131
	s_waitcnt vmcnt(30)
	v_mul_f32_e32 v168, v103, v132
	s_waitcnt vmcnt(29) lgkmcnt(5)
	v_mul_f32_e32 v169, v105, v133
	s_waitcnt vmcnt(28)
	v_mul_f32_e32 v170, v107, v134
	s_waitcnt vmcnt(27) lgkmcnt(4)
	v_mul_f32_e32 v171, v109, v135
	s_waitcnt vmcnt(26)
	v_mul_f32_e32 v172, v111, v136
	s_waitcnt vmcnt(25) lgkmcnt(3)
	v_mul_f32_e32 v173, v113, v137
	s_waitcnt vmcnt(24)
	v_mul_f32_e32 v174, v115, v138
	s_waitcnt vmcnt(23) lgkmcnt(2)
	v_mul_f32_e32 v175, v117, v139
	s_waitcnt vmcnt(22)
	v_mul_f32_e32 v176, v119, v140
	s_waitcnt vmcnt(21) lgkmcnt(1)
	v_mul_f32_e32 v177, v121, v141
	s_waitcnt vmcnt(20)
	v_mul_f32_e32 v178, v123, v142
	s_waitcnt vmcnt(19) lgkmcnt(0)
	v_mul_f32_e32 v179, v125, v143
	s_waitcnt vmcnt(18)
	v_fmac_f32_e32 v163, v94, v144
	v_mul_f32_e32 v94, v94, v127
	v_fma_f32 v93, v93, v144, -v94
	v_mul_f32_e32 v94, v96, v128
	v_add_f32_e32 v93, 0, v93
	s_waitcnt vmcnt(17)
	v_fma_f32 v94, v95, v145, -v94
	v_add_f32_e32 v93, v93, v94
	v_mul_f32_e32 v94, v98, v129
	s_waitcnt vmcnt(16)
	v_fma_f32 v94, v97, v146, -v94
	v_add_f32_e32 v93, v93, v94
	v_mul_f32_e32 v94, v100, v130
	;; [unrolled: 4-line block ×8, first 2 shown]
	v_fmac_f32_e32 v164, v96, v145
	v_add_f32_e32 v163, 0, v163
	s_waitcnt vmcnt(9)
	v_fma_f32 v94, v111, v153, -v94
	v_fmac_f32_e32 v165, v98, v146
	v_add_f32_e32 v163, v163, v164
	v_add_f32_e32 v93, v93, v94
	v_mul_f32_e32 v94, v114, v137
	v_fmac_f32_e32 v166, v100, v147
	v_add_f32_e32 v163, v163, v165
	s_waitcnt vmcnt(8)
	v_fma_f32 v94, v113, v154, -v94
	v_fmac_f32_e32 v167, v102, v148
	v_add_f32_e32 v163, v163, v166
	v_add_f32_e32 v93, v93, v94
	v_mul_f32_e32 v94, v116, v138
	v_fmac_f32_e32 v168, v104, v149
	v_add_f32_e32 v163, v163, v167
	s_waitcnt vmcnt(7)
	v_fma_f32 v94, v115, v155, -v94
	v_fmac_f32_e32 v169, v106, v150
	v_add_f32_e32 v163, v163, v168
	v_add_f32_e32 v93, v93, v94
	v_mul_f32_e32 v94, v118, v139
	v_fmac_f32_e32 v170, v108, v151
	v_add_f32_e32 v163, v163, v169
	s_waitcnt vmcnt(6)
	v_fma_f32 v94, v117, v156, -v94
	v_fmac_f32_e32 v171, v110, v152
	v_add_f32_e32 v163, v163, v170
	v_add_f32_e32 v93, v93, v94
	v_mul_f32_e32 v94, v120, v140
	v_fmac_f32_e32 v172, v112, v153
	v_add_f32_e32 v163, v163, v171
	s_waitcnt vmcnt(5)
	v_fma_f32 v94, v119, v157, -v94
	v_fmac_f32_e32 v173, v114, v154
	v_add_f32_e32 v163, v163, v172
	v_add_f32_e32 v93, v93, v94
	v_mul_f32_e32 v94, v122, v141
	v_fmac_f32_e32 v174, v116, v155
	v_add_f32_e32 v163, v163, v173
	s_waitcnt vmcnt(4)
	v_fma_f32 v94, v121, v158, -v94
	v_fmac_f32_e32 v175, v118, v156
	v_add_f32_e32 v163, v163, v174
	v_add_f32_e32 v93, v93, v94
	v_mul_f32_e32 v94, v124, v142
	v_fmac_f32_e32 v176, v120, v157
	v_add_f32_e32 v163, v163, v175
	s_waitcnt vmcnt(3)
	v_fma_f32 v94, v123, v159, -v94
	v_fmac_f32_e32 v177, v122, v158
	v_add_f32_e32 v163, v163, v176
	v_add_f32_e32 v93, v93, v94
	v_mul_f32_e32 v94, v126, v143
	v_fmac_f32_e32 v178, v124, v159
	v_add_f32_e32 v163, v163, v177
	s_waitcnt vmcnt(2)
	v_fma_f32 v94, v125, v160, -v94
	v_fmac_f32_e32 v179, v126, v160
	v_add_f32_e32 v163, v163, v178
	v_add_f32_e32 v93, v93, v94
	;; [unrolled: 1-line block ×3, first 2 shown]
	s_waitcnt vmcnt(1)
	v_sub_f32_e32 v93, v161, v93
	s_waitcnt vmcnt(0)
	v_sub_f32_e32 v94, v162, v163
	buffer_store_dword v93, off, s[0:3], 0 offset:216
	buffer_store_dword v94, off, s[0:3], 0 offset:220
	s_and_saveexec_b64 s[4:5], vcc
	s_cbranch_execz .LBB108_231
; %bb.230:
	buffer_load_dword v93, off, s[0:3], 0 offset:208
	buffer_load_dword v94, off, s[0:3], 0 offset:212
	s_waitcnt vmcnt(0)
	ds_write_b64 v91, v[93:94]
	buffer_store_dword v92, off, s[0:3], 0 offset:208
	buffer_store_dword v92, off, s[0:3], 0 offset:212
.LBB108_231:
	s_or_b64 exec, exec, s[4:5]
	s_waitcnt lgkmcnt(0)
	; wave barrier
	buffer_load_dword v129, off, s[0:3], 0 offset:220
	buffer_load_dword v130, off, s[0:3], 0 offset:228
	;; [unrolled: 1-line block ×38, first 2 shown]
	ds_read2_b64 v[93:96], v92 offset0:73 offset1:74
	ds_read2_b64 v[97:100], v92 offset0:75 offset1:76
	;; [unrolled: 1-line block ×9, first 2 shown]
	v_cmp_lt_u32_e32 vcc, 25, v0
	s_waitcnt vmcnt(37) lgkmcnt(8)
	v_mul_f32_e32 v92, v93, v129
	s_waitcnt vmcnt(36)
	v_mul_f32_e32 v167, v95, v130
	s_waitcnt vmcnt(35) lgkmcnt(7)
	v_mul_f32_e32 v168, v97, v131
	s_waitcnt vmcnt(34)
	v_mul_f32_e32 v169, v99, v132
	;; [unrolled: 4-line block ×8, first 2 shown]
	s_waitcnt vmcnt(21) lgkmcnt(0)
	v_mul_f32_e32 v182, v125, v145
	s_waitcnt vmcnt(20)
	v_fmac_f32_e32 v92, v94, v146
	v_mul_f32_e32 v94, v94, v129
	v_fma_f32 v93, v93, v146, -v94
	v_mul_f32_e32 v94, v96, v130
	v_add_f32_e32 v93, 0, v93
	s_waitcnt vmcnt(19)
	v_fma_f32 v94, v95, v147, -v94
	v_add_f32_e32 v93, v93, v94
	v_mul_f32_e32 v94, v98, v131
	s_waitcnt vmcnt(18)
	v_fma_f32 v94, v97, v148, -v94
	v_add_f32_e32 v93, v93, v94
	v_mul_f32_e32 v94, v100, v132
	;; [unrolled: 4-line block ×8, first 2 shown]
	s_waitcnt vmcnt(11)
	v_fma_f32 v94, v111, v155, -v94
	v_fmac_f32_e32 v167, v96, v147
	v_add_f32_e32 v92, 0, v92
	v_add_f32_e32 v93, v93, v94
	v_mul_f32_e32 v94, v114, v139
	v_fmac_f32_e32 v168, v98, v148
	v_add_f32_e32 v92, v92, v167
	s_waitcnt vmcnt(10)
	v_fma_f32 v94, v113, v156, -v94
	v_fmac_f32_e32 v169, v100, v149
	v_add_f32_e32 v92, v92, v168
	v_add_f32_e32 v93, v93, v94
	v_mul_f32_e32 v94, v116, v140
	v_fmac_f32_e32 v170, v102, v150
	v_add_f32_e32 v92, v92, v169
	;; [unrolled: 8-line block ×7, first 2 shown]
	s_waitcnt vmcnt(4)
	v_fma_f32 v94, v125, v162, -v94
	v_fmac_f32_e32 v181, v124, v161
	v_add_f32_e32 v92, v92, v180
	v_add_f32_e32 v93, v93, v94
	s_waitcnt vmcnt(3)
	v_mul_f32_e32 v94, v128, v163
	v_add_f32_e32 v92, v92, v181
	v_fmac_f32_e32 v182, v126, v162
	v_mul_f32_e32 v167, v127, v163
	s_waitcnt vmcnt(2)
	v_fma_f32 v94, v127, v164, -v94
	v_add_f32_e32 v92, v92, v182
	v_fmac_f32_e32 v167, v128, v164
	v_add_f32_e32 v93, v93, v94
	v_add_f32_e32 v92, v92, v167
	s_waitcnt vmcnt(1)
	v_sub_f32_e32 v93, v165, v93
	s_waitcnt vmcnt(0)
	v_sub_f32_e32 v92, v166, v92
	buffer_store_dword v93, off, s[0:3], 0 offset:208
	buffer_store_dword v92, off, s[0:3], 0 offset:212
	s_and_saveexec_b64 s[4:5], vcc
	s_cbranch_execz .LBB108_233
; %bb.232:
	buffer_load_dword v92, off, s[0:3], 0 offset:200
	buffer_load_dword v93, off, s[0:3], 0 offset:204
	v_mov_b32_e32 v94, 0
	buffer_store_dword v94, off, s[0:3], 0 offset:200
	buffer_store_dword v94, off, s[0:3], 0 offset:204
	s_waitcnt vmcnt(2)
	ds_write_b64 v91, v[92:93]
.LBB108_233:
	s_or_b64 exec, exec, s[4:5]
	s_waitcnt lgkmcnt(0)
	; wave barrier
	buffer_load_dword v131, off, s[0:3], 0 offset:212
	buffer_load_dword v132, off, s[0:3], 0 offset:220
	;; [unrolled: 1-line block ×40, first 2 shown]
	v_mov_b32_e32 v92, 0
	ds_read_b128 v[93:96], v92 offset:576
	ds_read_b128 v[97:100], v92 offset:592
	;; [unrolled: 1-line block ×9, first 2 shown]
	v_cmp_lt_u32_e32 vcc, 24, v0
	s_waitcnt vmcnt(39) lgkmcnt(8)
	v_mul_f32_e32 v129, v93, v131
	s_waitcnt vmcnt(38)
	v_mul_f32_e32 v130, v95, v132
	s_waitcnt vmcnt(37) lgkmcnt(7)
	v_mul_f32_e32 v171, v97, v133
	s_waitcnt vmcnt(36)
	v_mul_f32_e32 v172, v99, v134
	;; [unrolled: 4-line block ×7, first 2 shown]
	s_waitcnt vmcnt(25) lgkmcnt(1)
	v_mul_f32_e32 v183, v121, v145
	s_waitcnt vmcnt(24)
	v_fmac_f32_e32 v129, v94, v146
	v_mul_f32_e32 v94, v94, v131
	v_fma_f32 v93, v93, v146, -v94
	v_mul_f32_e32 v94, v96, v132
	v_add_f32_e32 v93, 0, v93
	s_waitcnt vmcnt(23)
	v_fma_f32 v94, v95, v147, -v94
	v_add_f32_e32 v93, v93, v94
	v_mul_f32_e32 v94, v98, v133
	s_waitcnt vmcnt(22)
	v_fma_f32 v94, v97, v148, -v94
	v_add_f32_e32 v93, v93, v94
	v_mul_f32_e32 v94, v100, v134
	s_waitcnt vmcnt(21)
	v_fma_f32 v94, v99, v149, -v94
	v_add_f32_e32 v93, v93, v94
	v_mul_f32_e32 v94, v102, v135
	s_waitcnt vmcnt(20)
	v_fma_f32 v94, v101, v150, -v94
	v_add_f32_e32 v93, v93, v94
	v_mul_f32_e32 v94, v104, v136
	s_waitcnt vmcnt(19)
	v_fma_f32 v94, v103, v151, -v94
	v_add_f32_e32 v93, v93, v94
	v_mul_f32_e32 v94, v106, v137
	s_waitcnt vmcnt(18)
	v_fma_f32 v94, v105, v152, -v94
	v_add_f32_e32 v93, v93, v94
	v_mul_f32_e32 v94, v108, v138
	s_waitcnt vmcnt(17)
	v_fma_f32 v94, v107, v153, -v94
	v_fmac_f32_e32 v130, v96, v147
	v_add_f32_e32 v129, 0, v129
	v_add_f32_e32 v93, v93, v94
	v_mul_f32_e32 v94, v110, v139
	v_fmac_f32_e32 v171, v98, v148
	v_add_f32_e32 v129, v129, v130
	s_waitcnt vmcnt(16)
	v_fma_f32 v94, v109, v154, -v94
	v_fmac_f32_e32 v172, v100, v149
	v_add_f32_e32 v129, v129, v171
	v_add_f32_e32 v93, v93, v94
	v_mul_f32_e32 v94, v112, v140
	v_fmac_f32_e32 v173, v102, v150
	v_add_f32_e32 v129, v129, v172
	;; [unrolled: 8-line block ×6, first 2 shown]
	s_waitcnt vmcnt(11)
	v_fma_f32 v94, v119, v159, -v94
	v_fmac_f32_e32 v182, v120, v159
	v_add_f32_e32 v129, v129, v181
	v_add_f32_e32 v93, v93, v94
	v_mul_f32_e32 v94, v122, v145
	s_waitcnt vmcnt(10)
	v_fmac_f32_e32 v183, v122, v160
	v_add_f32_e32 v129, v129, v182
	s_waitcnt vmcnt(9)
	v_mul_f32_e32 v130, v123, v161
	v_fma_f32 v94, v121, v160, -v94
	v_add_f32_e32 v129, v129, v183
	s_waitcnt vmcnt(8)
	v_fmac_f32_e32 v130, v124, v162
	v_add_f32_e32 v93, v93, v94
	v_mul_f32_e32 v94, v124, v161
	v_add_f32_e32 v171, v129, v130
	ds_read_b64 v[129:130], v92 offset:720
	v_fma_f32 v94, v123, v162, -v94
	v_add_f32_e32 v93, v93, v94
	s_waitcnt vmcnt(7) lgkmcnt(1)
	v_mul_f32_e32 v94, v126, v163
	v_mul_f32_e32 v172, v125, v163
	s_waitcnt vmcnt(6)
	v_fma_f32 v94, v125, v164, -v94
	v_fmac_f32_e32 v172, v126, v164
	v_add_f32_e32 v93, v93, v94
	s_waitcnt vmcnt(5)
	v_mul_f32_e32 v94, v128, v165
	v_add_f32_e32 v171, v171, v172
	v_mul_f32_e32 v172, v127, v165
	s_waitcnt vmcnt(4)
	v_fma_f32 v94, v127, v166, -v94
	v_fmac_f32_e32 v172, v128, v166
	v_add_f32_e32 v93, v93, v94
	s_waitcnt vmcnt(3) lgkmcnt(0)
	v_mul_f32_e32 v94, v130, v167
	v_add_f32_e32 v171, v171, v172
	v_mul_f32_e32 v172, v129, v167
	s_waitcnt vmcnt(2)
	v_fma_f32 v94, v129, v168, -v94
	v_fmac_f32_e32 v172, v130, v168
	v_add_f32_e32 v93, v93, v94
	v_add_f32_e32 v171, v171, v172
	s_waitcnt vmcnt(1)
	v_sub_f32_e32 v93, v169, v93
	s_waitcnt vmcnt(0)
	v_sub_f32_e32 v94, v170, v171
	buffer_store_dword v93, off, s[0:3], 0 offset:200
	buffer_store_dword v94, off, s[0:3], 0 offset:204
	s_and_saveexec_b64 s[4:5], vcc
	s_cbranch_execz .LBB108_235
; %bb.234:
	buffer_load_dword v93, off, s[0:3], 0 offset:192
	buffer_load_dword v94, off, s[0:3], 0 offset:196
	s_waitcnt vmcnt(0)
	ds_write_b64 v91, v[93:94]
	buffer_store_dword v92, off, s[0:3], 0 offset:192
	buffer_store_dword v92, off, s[0:3], 0 offset:196
.LBB108_235:
	s_or_b64 exec, exec, s[4:5]
	s_waitcnt lgkmcnt(0)
	; wave barrier
	buffer_load_dword v133, off, s[0:3], 0 offset:204
	buffer_load_dword v134, off, s[0:3], 0 offset:212
	;; [unrolled: 1-line block ×42, first 2 shown]
	ds_read2_b64 v[93:96], v92 offset0:71 offset1:72
	ds_read2_b64 v[97:100], v92 offset0:73 offset1:74
	;; [unrolled: 1-line block ×8, first 2 shown]
	v_cmp_lt_u32_e32 vcc, 23, v0
	s_waitcnt vmcnt(41) lgkmcnt(7)
	v_mul_f32_e32 v125, v93, v133
	s_waitcnt vmcnt(40)
	v_mul_f32_e32 v126, v95, v134
	s_waitcnt vmcnt(39) lgkmcnt(6)
	v_mul_f32_e32 v127, v97, v135
	s_waitcnt vmcnt(38)
	v_mul_f32_e32 v128, v99, v136
	;; [unrolled: 4-line block ×7, first 2 shown]
	s_waitcnt vmcnt(27) lgkmcnt(0)
	v_mul_f32_e32 v181, v121, v147
	s_waitcnt vmcnt(26)
	v_fmac_f32_e32 v125, v94, v148
	v_mul_f32_e32 v94, v94, v133
	v_fma_f32 v93, v93, v148, -v94
	v_mul_f32_e32 v94, v96, v134
	v_add_f32_e32 v93, 0, v93
	s_waitcnt vmcnt(25)
	v_fma_f32 v94, v95, v149, -v94
	v_add_f32_e32 v93, v93, v94
	v_mul_f32_e32 v94, v98, v135
	s_waitcnt vmcnt(24)
	v_fma_f32 v94, v97, v150, -v94
	v_add_f32_e32 v93, v93, v94
	v_mul_f32_e32 v94, v100, v136
	;; [unrolled: 4-line block ×5, first 2 shown]
	v_fmac_f32_e32 v126, v96, v149
	v_add_f32_e32 v125, 0, v125
	s_waitcnt vmcnt(20)
	v_fma_f32 v94, v105, v154, -v94
	v_fmac_f32_e32 v127, v98, v150
	v_add_f32_e32 v125, v125, v126
	v_add_f32_e32 v93, v93, v94
	v_mul_f32_e32 v94, v108, v140
	v_fmac_f32_e32 v128, v100, v151
	v_add_f32_e32 v125, v125, v127
	s_waitcnt vmcnt(19)
	v_fma_f32 v94, v107, v155, -v94
	v_fmac_f32_e32 v129, v102, v152
	v_add_f32_e32 v125, v125, v128
	v_add_f32_e32 v93, v93, v94
	v_mul_f32_e32 v94, v110, v141
	;; [unrolled: 8-line block ×5, first 2 shown]
	s_waitcnt vmcnt(15)
	v_fmac_f32_e32 v178, v116, v159
	v_add_f32_e32 v125, v125, v177
	v_fma_f32 v94, v115, v159, -v94
	s_waitcnt vmcnt(14)
	v_fmac_f32_e32 v179, v118, v160
	v_add_f32_e32 v125, v125, v178
	v_add_f32_e32 v93, v93, v94
	v_mul_f32_e32 v94, v118, v145
	s_waitcnt vmcnt(13)
	v_fmac_f32_e32 v180, v120, v161
	v_add_f32_e32 v125, v125, v179
	v_fma_f32 v94, v117, v160, -v94
	s_waitcnt vmcnt(12)
	v_fmac_f32_e32 v181, v122, v162
	v_add_f32_e32 v125, v125, v180
	v_add_f32_e32 v93, v93, v94
	v_mul_f32_e32 v94, v120, v146
	v_add_f32_e32 v129, v125, v181
	ds_read2_b64 v[125:128], v92 offset0:87 offset1:88
	v_fma_f32 v94, v119, v161, -v94
	v_add_f32_e32 v93, v93, v94
	v_mul_f32_e32 v94, v122, v147
	s_waitcnt vmcnt(11)
	v_mul_f32_e32 v130, v123, v163
	v_fma_f32 v94, v121, v162, -v94
	s_waitcnt vmcnt(10)
	v_fmac_f32_e32 v130, v124, v164
	v_add_f32_e32 v93, v93, v94
	v_mul_f32_e32 v94, v124, v163
	v_add_f32_e32 v175, v129, v130
	ds_read2_b64 v[129:132], v92 offset0:89 offset1:90
	v_fma_f32 v94, v123, v164, -v94
	v_add_f32_e32 v93, v93, v94
	s_waitcnt vmcnt(9) lgkmcnt(1)
	v_mul_f32_e32 v94, v126, v165
	v_mul_f32_e32 v92, v125, v165
	s_waitcnt vmcnt(8)
	v_fma_f32 v94, v125, v166, -v94
	v_fmac_f32_e32 v92, v126, v166
	v_add_f32_e32 v93, v93, v94
	s_waitcnt vmcnt(7)
	v_mul_f32_e32 v94, v128, v167
	v_add_f32_e32 v92, v175, v92
	v_mul_f32_e32 v175, v127, v167
	s_waitcnt vmcnt(6)
	v_fma_f32 v94, v127, v168, -v94
	v_fmac_f32_e32 v175, v128, v168
	v_add_f32_e32 v93, v93, v94
	s_waitcnt vmcnt(5) lgkmcnt(0)
	v_mul_f32_e32 v94, v130, v169
	v_add_f32_e32 v92, v92, v175
	v_mul_f32_e32 v175, v129, v169
	s_waitcnt vmcnt(4)
	v_fma_f32 v94, v129, v170, -v94
	v_fmac_f32_e32 v175, v130, v170
	v_add_f32_e32 v93, v93, v94
	s_waitcnt vmcnt(3)
	v_mul_f32_e32 v94, v132, v171
	v_add_f32_e32 v92, v92, v175
	v_mul_f32_e32 v175, v131, v171
	s_waitcnt vmcnt(2)
	v_fma_f32 v94, v131, v172, -v94
	v_fmac_f32_e32 v175, v132, v172
	v_add_f32_e32 v93, v93, v94
	v_add_f32_e32 v92, v92, v175
	s_waitcnt vmcnt(1)
	v_sub_f32_e32 v93, v173, v93
	s_waitcnt vmcnt(0)
	v_sub_f32_e32 v92, v174, v92
	buffer_store_dword v93, off, s[0:3], 0 offset:192
	buffer_store_dword v92, off, s[0:3], 0 offset:196
	s_and_saveexec_b64 s[4:5], vcc
	s_cbranch_execz .LBB108_237
; %bb.236:
	buffer_load_dword v92, off, s[0:3], 0 offset:184
	buffer_load_dword v93, off, s[0:3], 0 offset:188
	v_mov_b32_e32 v94, 0
	buffer_store_dword v94, off, s[0:3], 0 offset:184
	buffer_store_dword v94, off, s[0:3], 0 offset:188
	s_waitcnt vmcnt(2)
	ds_write_b64 v91, v[92:93]
.LBB108_237:
	s_or_b64 exec, exec, s[4:5]
	s_waitcnt lgkmcnt(0)
	; wave barrier
	buffer_load_dword v135, off, s[0:3], 0 offset:196
	buffer_load_dword v136, off, s[0:3], 0 offset:204
	;; [unrolled: 1-line block ×44, first 2 shown]
	v_mov_b32_e32 v92, 0
	ds_read_b128 v[93:96], v92 offset:560
	ds_read_b128 v[97:100], v92 offset:576
	;; [unrolled: 1-line block ×8, first 2 shown]
	v_cmp_lt_u32_e32 vcc, 22, v0
	s_waitcnt vmcnt(43) lgkmcnt(7)
	v_mul_f32_e32 v125, v93, v135
	s_waitcnt vmcnt(42)
	v_mul_f32_e32 v126, v95, v136
	s_waitcnt vmcnt(41) lgkmcnt(6)
	v_mul_f32_e32 v127, v97, v137
	s_waitcnt vmcnt(40)
	v_mul_f32_e32 v128, v99, v138
	;; [unrolled: 4-line block ×7, first 2 shown]
	s_waitcnt vmcnt(29)
	v_fmac_f32_e32 v125, v94, v149
	v_mul_f32_e32 v94, v94, v135
	v_fma_f32 v93, v93, v149, -v94
	v_mul_f32_e32 v94, v96, v136
	v_add_f32_e32 v93, 0, v93
	s_waitcnt vmcnt(28)
	v_fma_f32 v94, v95, v150, -v94
	v_add_f32_e32 v93, v93, v94
	v_mul_f32_e32 v94, v98, v137
	s_waitcnt vmcnt(27)
	v_fma_f32 v94, v97, v151, -v94
	v_add_f32_e32 v93, v93, v94
	v_mul_f32_e32 v94, v100, v138
	;; [unrolled: 4-line block ×4, first 2 shown]
	s_waitcnt vmcnt(24)
	v_fma_f32 v94, v103, v154, -v94
	v_fmac_f32_e32 v126, v96, v150
	v_add_f32_e32 v125, 0, v125
	v_add_f32_e32 v93, v93, v94
	v_mul_f32_e32 v94, v106, v141
	v_fmac_f32_e32 v127, v98, v151
	v_add_f32_e32 v125, v125, v126
	s_waitcnt vmcnt(23)
	v_fma_f32 v94, v105, v155, -v94
	v_fmac_f32_e32 v128, v100, v152
	v_add_f32_e32 v125, v125, v127
	v_add_f32_e32 v93, v93, v94
	v_mul_f32_e32 v94, v108, v142
	v_fmac_f32_e32 v129, v102, v153
	v_add_f32_e32 v125, v125, v128
	;; [unrolled: 8-line block ×4, first 2 shown]
	s_waitcnt vmcnt(20)
	v_fma_f32 v94, v111, v158, -v94
	v_fmac_f32_e32 v134, v112, v158
	v_add_f32_e32 v125, v125, v133
	v_add_f32_e32 v93, v93, v94
	v_mul_f32_e32 v94, v114, v145
	s_waitcnt vmcnt(19)
	v_fmac_f32_e32 v179, v114, v159
	v_add_f32_e32 v125, v125, v134
	v_fma_f32 v94, v113, v159, -v94
	s_waitcnt vmcnt(18)
	v_fmac_f32_e32 v180, v116, v160
	v_add_f32_e32 v125, v125, v179
	v_add_f32_e32 v93, v93, v94
	v_mul_f32_e32 v94, v116, v146
	s_waitcnt vmcnt(17)
	v_fmac_f32_e32 v181, v118, v161
	v_add_f32_e32 v125, v125, v180
	v_fma_f32 v94, v115, v160, -v94
	v_add_f32_e32 v125, v125, v181
	s_waitcnt vmcnt(16)
	v_fmac_f32_e32 v182, v120, v162
	s_waitcnt vmcnt(15) lgkmcnt(0)
	v_mul_f32_e32 v126, v121, v163
	v_add_f32_e32 v93, v93, v94
	v_mul_f32_e32 v94, v118, v147
	v_add_f32_e32 v125, v125, v182
	s_waitcnt vmcnt(14)
	v_fmac_f32_e32 v126, v122, v164
	v_fma_f32 v94, v117, v161, -v94
	v_add_f32_e32 v129, v125, v126
	ds_read_b128 v[125:128], v92 offset:688
	v_add_f32_e32 v93, v93, v94
	v_mul_f32_e32 v94, v120, v148
	v_fma_f32 v94, v119, v162, -v94
	v_add_f32_e32 v93, v93, v94
	v_mul_f32_e32 v94, v122, v163
	s_waitcnt vmcnt(13)
	v_mul_f32_e32 v130, v123, v165
	v_fma_f32 v94, v121, v164, -v94
	s_waitcnt vmcnt(12)
	v_fmac_f32_e32 v130, v124, v166
	v_add_f32_e32 v93, v93, v94
	v_mul_f32_e32 v94, v124, v165
	v_add_f32_e32 v133, v129, v130
	ds_read_b128 v[129:132], v92 offset:704
	s_waitcnt vmcnt(11) lgkmcnt(1)
	v_mul_f32_e32 v134, v125, v167
	v_fma_f32 v94, v123, v166, -v94
	s_waitcnt vmcnt(10)
	v_fmac_f32_e32 v134, v126, v168
	v_add_f32_e32 v93, v93, v94
	v_mul_f32_e32 v94, v126, v167
	v_add_f32_e32 v133, v133, v134
	s_waitcnt vmcnt(9)
	v_mul_f32_e32 v134, v127, v169
	v_fma_f32 v94, v125, v168, -v94
	s_waitcnt vmcnt(8)
	v_fmac_f32_e32 v134, v128, v170
	v_add_f32_e32 v93, v93, v94
	v_mul_f32_e32 v94, v128, v169
	v_add_f32_e32 v179, v133, v134
	ds_read_b64 v[133:134], v92 offset:720
	v_fma_f32 v94, v127, v170, -v94
	v_add_f32_e32 v93, v93, v94
	s_waitcnt vmcnt(7) lgkmcnt(1)
	v_mul_f32_e32 v94, v130, v171
	v_mul_f32_e32 v180, v129, v171
	s_waitcnt vmcnt(6)
	v_fma_f32 v94, v129, v172, -v94
	v_fmac_f32_e32 v180, v130, v172
	v_add_f32_e32 v93, v93, v94
	s_waitcnt vmcnt(5)
	v_mul_f32_e32 v94, v132, v173
	v_add_f32_e32 v179, v179, v180
	v_mul_f32_e32 v180, v131, v173
	s_waitcnt vmcnt(4)
	v_fma_f32 v94, v131, v174, -v94
	v_fmac_f32_e32 v180, v132, v174
	v_add_f32_e32 v93, v93, v94
	s_waitcnt vmcnt(3) lgkmcnt(0)
	v_mul_f32_e32 v94, v134, v175
	v_add_f32_e32 v179, v179, v180
	v_mul_f32_e32 v180, v133, v175
	s_waitcnt vmcnt(2)
	v_fma_f32 v94, v133, v176, -v94
	v_fmac_f32_e32 v180, v134, v176
	v_add_f32_e32 v93, v93, v94
	v_add_f32_e32 v179, v179, v180
	s_waitcnt vmcnt(1)
	v_sub_f32_e32 v93, v177, v93
	s_waitcnt vmcnt(0)
	v_sub_f32_e32 v94, v178, v179
	buffer_store_dword v93, off, s[0:3], 0 offset:184
	buffer_store_dword v94, off, s[0:3], 0 offset:188
	s_and_saveexec_b64 s[4:5], vcc
	s_cbranch_execz .LBB108_239
; %bb.238:
	buffer_load_dword v93, off, s[0:3], 0 offset:176
	buffer_load_dword v94, off, s[0:3], 0 offset:180
	s_waitcnt vmcnt(0)
	ds_write_b64 v91, v[93:94]
	buffer_store_dword v92, off, s[0:3], 0 offset:176
	buffer_store_dword v92, off, s[0:3], 0 offset:180
.LBB108_239:
	s_or_b64 exec, exec, s[4:5]
	s_waitcnt lgkmcnt(0)
	; wave barrier
	buffer_load_dword v137, off, s[0:3], 0 offset:188
	buffer_load_dword v138, off, s[0:3], 0 offset:196
	;; [unrolled: 1-line block ×46, first 2 shown]
	ds_read2_b64 v[93:96], v92 offset0:69 offset1:70
	ds_read2_b64 v[97:100], v92 offset0:71 offset1:72
	;; [unrolled: 1-line block ×8, first 2 shown]
	v_cmp_lt_u32_e32 vcc, 21, v0
	s_waitcnt vmcnt(45) lgkmcnt(7)
	v_mul_f32_e32 v125, v93, v137
	s_waitcnt vmcnt(44)
	v_mul_f32_e32 v126, v95, v138
	s_waitcnt vmcnt(43) lgkmcnt(6)
	v_mul_f32_e32 v127, v97, v139
	s_waitcnt vmcnt(42)
	v_mul_f32_e32 v128, v99, v140
	;; [unrolled: 4-line block ×6, first 2 shown]
	s_waitcnt vmcnt(33) lgkmcnt(1)
	v_mul_f32_e32 v183, v117, v149
	s_waitcnt vmcnt(32)
	v_fmac_f32_e32 v125, v94, v150
	v_mul_f32_e32 v94, v94, v137
	v_fma_f32 v93, v93, v150, -v94
	v_mul_f32_e32 v94, v96, v138
	v_add_f32_e32 v93, 0, v93
	s_waitcnt vmcnt(31)
	v_fma_f32 v94, v95, v151, -v94
	v_add_f32_e32 v93, v93, v94
	v_mul_f32_e32 v94, v98, v139
	s_waitcnt vmcnt(30)
	v_fma_f32 v94, v97, v152, -v94
	v_add_f32_e32 v93, v93, v94
	v_mul_f32_e32 v94, v100, v140
	;; [unrolled: 4-line block ×4, first 2 shown]
	v_fmac_f32_e32 v126, v96, v151
	v_add_f32_e32 v125, 0, v125
	s_waitcnt vmcnt(27)
	v_fma_f32 v94, v103, v155, -v94
	v_fmac_f32_e32 v127, v98, v152
	v_add_f32_e32 v125, v125, v126
	v_add_f32_e32 v93, v93, v94
	v_mul_f32_e32 v94, v106, v143
	v_fmac_f32_e32 v128, v100, v153
	v_add_f32_e32 v125, v125, v127
	s_waitcnt vmcnt(26)
	v_fma_f32 v94, v105, v156, -v94
	v_fmac_f32_e32 v129, v102, v154
	v_add_f32_e32 v125, v125, v128
	v_add_f32_e32 v93, v93, v94
	v_mul_f32_e32 v94, v108, v144
	;; [unrolled: 8-line block ×4, first 2 shown]
	s_waitcnt vmcnt(23)
	v_fmac_f32_e32 v134, v112, v159
	v_add_f32_e32 v125, v125, v133
	v_fma_f32 v94, v111, v159, -v94
	s_waitcnt vmcnt(22)
	v_fmac_f32_e32 v135, v114, v160
	v_add_f32_e32 v125, v125, v134
	v_add_f32_e32 v93, v93, v94
	v_mul_f32_e32 v94, v114, v147
	s_waitcnt vmcnt(21)
	v_fmac_f32_e32 v136, v116, v161
	v_add_f32_e32 v125, v125, v135
	v_fma_f32 v94, v113, v160, -v94
	s_waitcnt vmcnt(20)
	v_fmac_f32_e32 v183, v118, v162
	v_add_f32_e32 v125, v125, v136
	s_waitcnt vmcnt(19)
	v_mul_f32_e32 v126, v119, v163
	v_add_f32_e32 v93, v93, v94
	v_mul_f32_e32 v94, v116, v148
	v_add_f32_e32 v125, v125, v183
	s_waitcnt vmcnt(18)
	v_fmac_f32_e32 v126, v120, v164
	v_fma_f32 v94, v115, v161, -v94
	v_add_f32_e32 v125, v125, v126
	s_waitcnt vmcnt(17) lgkmcnt(0)
	v_mul_f32_e32 v126, v121, v165
	v_add_f32_e32 v93, v93, v94
	v_mul_f32_e32 v94, v118, v149
	s_waitcnt vmcnt(16)
	v_fmac_f32_e32 v126, v122, v166
	v_fma_f32 v94, v117, v162, -v94
	v_add_f32_e32 v129, v125, v126
	ds_read2_b64 v[125:128], v92 offset0:85 offset1:86
	v_add_f32_e32 v93, v93, v94
	v_mul_f32_e32 v94, v120, v163
	v_fma_f32 v94, v119, v164, -v94
	v_add_f32_e32 v93, v93, v94
	v_mul_f32_e32 v94, v122, v165
	s_waitcnt vmcnt(15)
	v_mul_f32_e32 v130, v123, v167
	v_fma_f32 v94, v121, v166, -v94
	s_waitcnt vmcnt(14)
	v_fmac_f32_e32 v130, v124, v168
	v_add_f32_e32 v93, v93, v94
	v_mul_f32_e32 v94, v124, v167
	v_add_f32_e32 v133, v129, v130
	ds_read2_b64 v[129:132], v92 offset0:87 offset1:88
	s_waitcnt vmcnt(13) lgkmcnt(1)
	v_mul_f32_e32 v134, v125, v169
	v_fma_f32 v94, v123, v168, -v94
	s_waitcnt vmcnt(12)
	v_fmac_f32_e32 v134, v126, v170
	v_add_f32_e32 v93, v93, v94
	v_mul_f32_e32 v94, v126, v169
	v_add_f32_e32 v133, v133, v134
	s_waitcnt vmcnt(11)
	v_mul_f32_e32 v134, v127, v171
	v_fma_f32 v94, v125, v170, -v94
	s_waitcnt vmcnt(10)
	v_fmac_f32_e32 v134, v128, v172
	v_add_f32_e32 v93, v93, v94
	v_mul_f32_e32 v94, v128, v171
	v_add_f32_e32 v183, v133, v134
	ds_read2_b64 v[133:136], v92 offset0:89 offset1:90
	v_fma_f32 v94, v127, v172, -v94
	v_add_f32_e32 v93, v93, v94
	s_waitcnt vmcnt(9) lgkmcnt(1)
	v_mul_f32_e32 v94, v130, v173
	v_mul_f32_e32 v184, v129, v173
	s_waitcnt vmcnt(8)
	v_fma_f32 v94, v129, v174, -v94
	v_fmac_f32_e32 v184, v130, v174
	v_add_f32_e32 v93, v93, v94
	s_waitcnt vmcnt(7)
	v_mul_f32_e32 v94, v132, v175
	v_add_f32_e32 v92, v183, v184
	v_mul_f32_e32 v183, v131, v175
	s_waitcnt vmcnt(6)
	v_fma_f32 v94, v131, v176, -v94
	v_fmac_f32_e32 v183, v132, v176
	v_add_f32_e32 v93, v93, v94
	s_waitcnt vmcnt(5) lgkmcnt(0)
	v_mul_f32_e32 v94, v134, v177
	v_add_f32_e32 v92, v92, v183
	v_mul_f32_e32 v183, v133, v177
	s_waitcnt vmcnt(4)
	v_fma_f32 v94, v133, v178, -v94
	v_fmac_f32_e32 v183, v134, v178
	v_add_f32_e32 v93, v93, v94
	s_waitcnt vmcnt(3)
	v_mul_f32_e32 v94, v136, v179
	v_add_f32_e32 v92, v92, v183
	v_mul_f32_e32 v183, v135, v179
	s_waitcnt vmcnt(2)
	v_fma_f32 v94, v135, v180, -v94
	v_fmac_f32_e32 v183, v136, v180
	v_add_f32_e32 v93, v93, v94
	v_add_f32_e32 v92, v92, v183
	s_waitcnt vmcnt(1)
	v_sub_f32_e32 v93, v181, v93
	s_waitcnt vmcnt(0)
	v_sub_f32_e32 v92, v182, v92
	buffer_store_dword v93, off, s[0:3], 0 offset:176
	buffer_store_dword v92, off, s[0:3], 0 offset:180
	s_and_saveexec_b64 s[4:5], vcc
	s_cbranch_execz .LBB108_241
; %bb.240:
	buffer_load_dword v92, off, s[0:3], 0 offset:168
	buffer_load_dword v93, off, s[0:3], 0 offset:172
	v_mov_b32_e32 v94, 0
	buffer_store_dword v94, off, s[0:3], 0 offset:168
	buffer_store_dword v94, off, s[0:3], 0 offset:172
	s_waitcnt vmcnt(2)
	ds_write_b64 v91, v[92:93]
.LBB108_241:
	s_or_b64 exec, exec, s[4:5]
	s_waitcnt lgkmcnt(0)
	; wave barrier
	buffer_load_dword v139, off, s[0:3], 0 offset:180
	buffer_load_dword v140, off, s[0:3], 0 offset:188
	;; [unrolled: 1-line block ×48, first 2 shown]
	v_mov_b32_e32 v92, 0
	ds_read_b128 v[93:96], v92 offset:544
	ds_read_b128 v[97:100], v92 offset:560
	;; [unrolled: 1-line block ×7, first 2 shown]
	v_cmp_lt_u32_e32 vcc, 20, v0
	s_waitcnt vmcnt(47) lgkmcnt(6)
	v_mul_f32_e32 v121, v93, v139
	s_waitcnt vmcnt(46)
	v_mul_f32_e32 v122, v95, v140
	s_waitcnt vmcnt(45) lgkmcnt(5)
	v_mul_f32_e32 v123, v97, v141
	s_waitcnt vmcnt(44)
	v_mul_f32_e32 v124, v99, v142
	;; [unrolled: 4-line block ×6, first 2 shown]
	s_waitcnt vmcnt(35)
	v_fmac_f32_e32 v121, v94, v151
	v_mul_f32_e32 v94, v94, v139
	v_fma_f32 v93, v93, v151, -v94
	v_mul_f32_e32 v94, v96, v140
	v_add_f32_e32 v93, 0, v93
	s_waitcnt vmcnt(34)
	v_fma_f32 v94, v95, v152, -v94
	v_add_f32_e32 v93, v93, v94
	v_mul_f32_e32 v94, v98, v141
	s_waitcnt vmcnt(33)
	v_fma_f32 v94, v97, v153, -v94
	v_fmac_f32_e32 v122, v96, v152
	v_add_f32_e32 v121, 0, v121
	v_add_f32_e32 v93, v93, v94
	v_mul_f32_e32 v94, v100, v142
	v_fmac_f32_e32 v123, v98, v153
	v_add_f32_e32 v121, v121, v122
	s_waitcnt vmcnt(32)
	v_fma_f32 v94, v99, v154, -v94
	v_fmac_f32_e32 v124, v100, v154
	v_add_f32_e32 v121, v121, v123
	v_add_f32_e32 v93, v93, v94
	v_mul_f32_e32 v94, v102, v143
	s_waitcnt vmcnt(31)
	v_fmac_f32_e32 v125, v102, v155
	v_add_f32_e32 v121, v121, v124
	v_fma_f32 v94, v101, v155, -v94
	s_waitcnt vmcnt(30)
	v_fmac_f32_e32 v126, v104, v156
	v_add_f32_e32 v121, v121, v125
	v_add_f32_e32 v93, v93, v94
	v_mul_f32_e32 v94, v104, v144
	s_waitcnt vmcnt(29)
	v_fmac_f32_e32 v127, v106, v157
	v_add_f32_e32 v121, v121, v126
	v_fma_f32 v94, v103, v156, -v94
	s_waitcnt vmcnt(28)
	;; [unrolled: 9-line block ×4, first 2 shown]
	v_fmac_f32_e32 v132, v116, v162
	v_add_f32_e32 v121, v121, v131
	v_add_f32_e32 v93, v93, v94
	v_mul_f32_e32 v94, v110, v147
	v_add_f32_e32 v125, v121, v132
	ds_read_b128 v[121:124], v92 offset:656
	v_fma_f32 v94, v109, v159, -v94
	s_waitcnt vmcnt(23) lgkmcnt(1)
	v_mul_f32_e32 v126, v117, v163
	v_add_f32_e32 v93, v93, v94
	v_mul_f32_e32 v94, v112, v148
	s_waitcnt vmcnt(22)
	v_fmac_f32_e32 v126, v118, v164
	v_fma_f32 v94, v111, v160, -v94
	v_add_f32_e32 v125, v125, v126
	s_waitcnt vmcnt(21)
	v_mul_f32_e32 v126, v119, v165
	v_add_f32_e32 v93, v93, v94
	v_mul_f32_e32 v94, v114, v149
	s_waitcnt vmcnt(20)
	v_fmac_f32_e32 v126, v120, v166
	v_fma_f32 v94, v113, v161, -v94
	v_add_f32_e32 v125, v125, v126
	s_waitcnt vmcnt(19) lgkmcnt(0)
	v_mul_f32_e32 v126, v121, v167
	v_add_f32_e32 v93, v93, v94
	v_mul_f32_e32 v94, v116, v150
	s_waitcnt vmcnt(18)
	v_fmac_f32_e32 v126, v122, v168
	v_fma_f32 v94, v115, v162, -v94
	v_add_f32_e32 v129, v125, v126
	ds_read_b128 v[125:128], v92 offset:672
	v_add_f32_e32 v93, v93, v94
	v_mul_f32_e32 v94, v118, v163
	v_fma_f32 v94, v117, v164, -v94
	s_waitcnt vmcnt(17)
	v_mul_f32_e32 v130, v123, v169
	v_add_f32_e32 v93, v93, v94
	v_mul_f32_e32 v94, v120, v165
	s_waitcnt vmcnt(16)
	v_fmac_f32_e32 v130, v124, v170
	v_fma_f32 v94, v119, v166, -v94
	v_add_f32_e32 v133, v129, v130
	ds_read_b128 v[129:132], v92 offset:688
	v_add_f32_e32 v93, v93, v94
	v_mul_f32_e32 v94, v122, v167
	s_waitcnt vmcnt(15) lgkmcnt(1)
	v_mul_f32_e32 v134, v125, v171
	v_fma_f32 v94, v121, v168, -v94
	s_waitcnt vmcnt(14)
	v_fmac_f32_e32 v134, v126, v172
	v_add_f32_e32 v93, v93, v94
	v_mul_f32_e32 v94, v124, v169
	v_add_f32_e32 v133, v133, v134
	s_waitcnt vmcnt(13)
	v_mul_f32_e32 v134, v127, v173
	v_fma_f32 v94, v123, v170, -v94
	s_waitcnt vmcnt(12)
	v_fmac_f32_e32 v134, v128, v174
	v_add_f32_e32 v93, v93, v94
	v_mul_f32_e32 v94, v126, v171
	v_add_f32_e32 v133, v133, v134
	s_waitcnt vmcnt(11) lgkmcnt(0)
	v_mul_f32_e32 v134, v129, v175
	v_fma_f32 v94, v125, v172, -v94
	s_waitcnt vmcnt(10)
	v_fmac_f32_e32 v134, v130, v176
	v_add_f32_e32 v93, v93, v94
	v_mul_f32_e32 v94, v128, v173
	v_add_f32_e32 v137, v133, v134
	ds_read_b128 v[133:136], v92 offset:704
	v_fma_f32 v94, v127, v174, -v94
	v_add_f32_e32 v93, v93, v94
	v_mul_f32_e32 v94, v130, v175
	s_waitcnt vmcnt(9)
	v_mul_f32_e32 v138, v131, v177
	v_fma_f32 v94, v129, v176, -v94
	s_waitcnt vmcnt(8)
	v_fmac_f32_e32 v138, v132, v178
	v_add_f32_e32 v93, v93, v94
	v_mul_f32_e32 v94, v132, v177
	v_add_f32_e32 v187, v137, v138
	ds_read_b64 v[137:138], v92 offset:720
	v_fma_f32 v94, v131, v178, -v94
	v_add_f32_e32 v93, v93, v94
	s_waitcnt vmcnt(6) lgkmcnt(1)
	v_mul_f32_e32 v94, v134, v180
	v_mul_f32_e32 v188, v133, v180
	v_fma_f32 v94, v133, v179, -v94
	v_fmac_f32_e32 v188, v134, v179
	v_add_f32_e32 v93, v93, v94
	s_waitcnt vmcnt(3)
	v_mul_f32_e32 v94, v136, v183
	v_add_f32_e32 v187, v187, v188
	v_mul_f32_e32 v188, v135, v183
	s_waitcnt vmcnt(2)
	v_fma_f32 v94, v135, v184, -v94
	v_fmac_f32_e32 v188, v136, v184
	v_add_f32_e32 v93, v93, v94
	s_waitcnt vmcnt(0) lgkmcnt(0)
	v_mul_f32_e32 v94, v138, v186
	v_add_f32_e32 v187, v187, v188
	v_mul_f32_e32 v188, v137, v186
	v_fma_f32 v94, v137, v185, -v94
	v_fmac_f32_e32 v188, v138, v185
	v_add_f32_e32 v93, v93, v94
	v_add_f32_e32 v187, v187, v188
	v_sub_f32_e32 v93, v181, v93
	v_sub_f32_e32 v94, v182, v187
	buffer_store_dword v93, off, s[0:3], 0 offset:168
	buffer_store_dword v94, off, s[0:3], 0 offset:172
	s_and_saveexec_b64 s[4:5], vcc
	s_cbranch_execz .LBB108_243
; %bb.242:
	buffer_load_dword v93, off, s[0:3], 0 offset:160
	buffer_load_dword v94, off, s[0:3], 0 offset:164
	s_waitcnt vmcnt(0)
	ds_write_b64 v91, v[93:94]
	buffer_store_dword v92, off, s[0:3], 0 offset:160
	buffer_store_dword v92, off, s[0:3], 0 offset:164
.LBB108_243:
	s_or_b64 exec, exec, s[4:5]
	s_waitcnt lgkmcnt(0)
	; wave barrier
	buffer_load_dword v141, off, s[0:3], 0 offset:172
	buffer_load_dword v142, off, s[0:3], 0 offset:180
	;; [unrolled: 1-line block ×48, first 2 shown]
	ds_read2_b64 v[93:96], v92 offset0:67 offset1:68
	ds_read2_b64 v[97:100], v92 offset0:69 offset1:70
	buffer_load_dword v189, off, s[0:3], 0 offset:352
	buffer_load_dword v190, off, s[0:3], 0 offset:356
	ds_read2_b64 v[101:104], v92 offset0:71 offset1:72
	ds_read2_b64 v[105:108], v92 offset0:73 offset1:74
	ds_read2_b64 v[109:112], v92 offset0:75 offset1:76
	ds_read2_b64 v[113:116], v92 offset0:77 offset1:78
	ds_read2_b64 v[117:120], v92 offset0:79 offset1:80
	v_cmp_lt_u32_e32 vcc, 19, v0
	s_waitcnt vmcnt(49) lgkmcnt(6)
	v_mul_f32_e32 v121, v93, v141
	s_waitcnt vmcnt(48)
	v_mul_f32_e32 v122, v95, v142
	s_waitcnt vmcnt(47) lgkmcnt(5)
	v_mul_f32_e32 v123, v97, v143
	s_waitcnt vmcnt(46)
	v_mul_f32_e32 v124, v99, v144
	;; [unrolled: 4-line block ×6, first 2 shown]
	s_waitcnt vmcnt(37)
	v_fmac_f32_e32 v121, v94, v153
	v_mul_f32_e32 v94, v94, v141
	v_fma_f32 v93, v93, v153, -v94
	v_mul_f32_e32 v94, v96, v142
	v_add_f32_e32 v93, 0, v93
	s_waitcnt vmcnt(36)
	v_fma_f32 v94, v95, v154, -v94
	v_add_f32_e32 v93, v93, v94
	v_mul_f32_e32 v94, v98, v143
	s_waitcnt vmcnt(35)
	v_fma_f32 v94, v97, v155, -v94
	v_fmac_f32_e32 v122, v96, v154
	v_add_f32_e32 v121, 0, v121
	v_add_f32_e32 v93, v93, v94
	v_mul_f32_e32 v94, v100, v144
	v_fmac_f32_e32 v123, v98, v155
	v_add_f32_e32 v121, v121, v122
	s_waitcnt vmcnt(34)
	v_fma_f32 v94, v99, v156, -v94
	v_fmac_f32_e32 v124, v100, v156
	v_add_f32_e32 v121, v121, v123
	v_add_f32_e32 v93, v93, v94
	v_mul_f32_e32 v94, v102, v145
	s_waitcnt vmcnt(33)
	v_fmac_f32_e32 v125, v102, v157
	v_add_f32_e32 v121, v121, v124
	v_fma_f32 v94, v101, v157, -v94
	s_waitcnt vmcnt(32)
	v_fmac_f32_e32 v126, v104, v158
	v_add_f32_e32 v121, v121, v125
	v_add_f32_e32 v93, v93, v94
	v_mul_f32_e32 v94, v104, v146
	s_waitcnt vmcnt(31)
	v_fmac_f32_e32 v127, v106, v159
	v_add_f32_e32 v121, v121, v126
	v_fma_f32 v94, v103, v158, -v94
	s_waitcnt vmcnt(30)
	;; [unrolled: 9-line block ×3, first 2 shown]
	v_fmac_f32_e32 v130, v112, v162
	v_add_f32_e32 v121, v121, v129
	v_add_f32_e32 v93, v93, v94
	v_mul_f32_e32 v94, v108, v148
	s_waitcnt vmcnt(27)
	v_fmac_f32_e32 v131, v114, v163
	v_add_f32_e32 v121, v121, v130
	v_fma_f32 v94, v107, v160, -v94
	v_add_f32_e32 v121, v121, v131
	s_waitcnt vmcnt(26)
	v_fmac_f32_e32 v132, v116, v164
	v_add_f32_e32 v93, v93, v94
	v_mul_f32_e32 v94, v110, v149
	v_add_f32_e32 v125, v121, v132
	ds_read2_b64 v[121:124], v92 offset0:81 offset1:82
	v_fma_f32 v94, v109, v161, -v94
	s_waitcnt vmcnt(25) lgkmcnt(1)
	v_mul_f32_e32 v126, v117, v165
	v_add_f32_e32 v93, v93, v94
	v_mul_f32_e32 v94, v112, v150
	s_waitcnt vmcnt(24)
	v_fmac_f32_e32 v126, v118, v166
	v_fma_f32 v94, v111, v162, -v94
	v_add_f32_e32 v125, v125, v126
	s_waitcnt vmcnt(23)
	v_mul_f32_e32 v126, v119, v167
	v_add_f32_e32 v93, v93, v94
	v_mul_f32_e32 v94, v114, v151
	s_waitcnt vmcnt(22)
	v_fmac_f32_e32 v126, v120, v168
	v_fma_f32 v94, v113, v163, -v94
	v_add_f32_e32 v125, v125, v126
	s_waitcnt vmcnt(21) lgkmcnt(0)
	v_mul_f32_e32 v126, v121, v169
	v_add_f32_e32 v93, v93, v94
	v_mul_f32_e32 v94, v116, v152
	s_waitcnt vmcnt(20)
	v_fmac_f32_e32 v126, v122, v170
	v_fma_f32 v94, v115, v164, -v94
	v_add_f32_e32 v129, v125, v126
	ds_read2_b64 v[125:128], v92 offset0:83 offset1:84
	v_add_f32_e32 v93, v93, v94
	v_mul_f32_e32 v94, v118, v165
	v_fma_f32 v94, v117, v166, -v94
	s_waitcnt vmcnt(19)
	v_mul_f32_e32 v130, v123, v171
	v_add_f32_e32 v93, v93, v94
	v_mul_f32_e32 v94, v120, v167
	s_waitcnt vmcnt(18)
	v_fmac_f32_e32 v130, v124, v172
	v_fma_f32 v94, v119, v168, -v94
	v_add_f32_e32 v133, v129, v130
	ds_read2_b64 v[129:132], v92 offset0:85 offset1:86
	v_add_f32_e32 v93, v93, v94
	v_mul_f32_e32 v94, v122, v169
	s_waitcnt vmcnt(17) lgkmcnt(1)
	v_mul_f32_e32 v134, v125, v173
	v_fma_f32 v94, v121, v170, -v94
	s_waitcnt vmcnt(16)
	v_fmac_f32_e32 v134, v126, v174
	v_add_f32_e32 v93, v93, v94
	v_mul_f32_e32 v94, v124, v171
	v_add_f32_e32 v133, v133, v134
	s_waitcnt vmcnt(15)
	v_mul_f32_e32 v134, v127, v175
	v_fma_f32 v94, v123, v172, -v94
	s_waitcnt vmcnt(14)
	v_fmac_f32_e32 v134, v128, v176
	v_add_f32_e32 v93, v93, v94
	v_mul_f32_e32 v94, v126, v173
	v_add_f32_e32 v133, v133, v134
	s_waitcnt vmcnt(13) lgkmcnt(0)
	v_mul_f32_e32 v134, v129, v177
	v_fma_f32 v94, v125, v174, -v94
	s_waitcnt vmcnt(12)
	v_fmac_f32_e32 v134, v130, v178
	v_add_f32_e32 v93, v93, v94
	v_mul_f32_e32 v94, v128, v175
	v_add_f32_e32 v137, v133, v134
	ds_read2_b64 v[133:136], v92 offset0:87 offset1:88
	v_fma_f32 v94, v127, v176, -v94
	v_add_f32_e32 v93, v93, v94
	v_mul_f32_e32 v94, v130, v177
	s_waitcnt vmcnt(11)
	v_mul_f32_e32 v138, v131, v179
	v_fma_f32 v94, v129, v178, -v94
	s_waitcnt vmcnt(10)
	v_fmac_f32_e32 v138, v132, v180
	v_add_f32_e32 v93, v93, v94
	v_mul_f32_e32 v94, v132, v179
	v_add_f32_e32 v191, v137, v138
	ds_read2_b64 v[137:140], v92 offset0:89 offset1:90
	v_fma_f32 v94, v131, v180, -v94
	v_add_f32_e32 v93, v93, v94
	s_waitcnt vmcnt(7) lgkmcnt(1)
	v_mul_f32_e32 v94, v134, v183
	v_mul_f32_e32 v92, v133, v183
	s_waitcnt vmcnt(6)
	v_fma_f32 v94, v133, v184, -v94
	v_fmac_f32_e32 v92, v134, v184
	v_add_f32_e32 v93, v93, v94
	s_waitcnt vmcnt(4)
	v_mul_f32_e32 v94, v136, v186
	v_add_f32_e32 v92, v191, v92
	v_mul_f32_e32 v191, v135, v186
	v_fma_f32 v94, v135, v185, -v94
	v_fmac_f32_e32 v191, v136, v185
	v_add_f32_e32 v93, v93, v94
	s_waitcnt vmcnt(2) lgkmcnt(0)
	v_mul_f32_e32 v94, v138, v188
	v_add_f32_e32 v92, v92, v191
	v_mul_f32_e32 v191, v137, v188
	v_fma_f32 v94, v137, v187, -v94
	v_fmac_f32_e32 v191, v138, v187
	v_add_f32_e32 v93, v93, v94
	s_waitcnt vmcnt(0)
	v_mul_f32_e32 v94, v140, v190
	v_add_f32_e32 v92, v92, v191
	v_mul_f32_e32 v191, v139, v190
	v_fma_f32 v94, v139, v189, -v94
	v_fmac_f32_e32 v191, v140, v189
	v_add_f32_e32 v93, v93, v94
	v_add_f32_e32 v92, v92, v191
	v_sub_f32_e32 v93, v181, v93
	v_sub_f32_e32 v92, v182, v92
	buffer_store_dword v93, off, s[0:3], 0 offset:160
	buffer_store_dword v92, off, s[0:3], 0 offset:164
	s_and_saveexec_b64 s[4:5], vcc
	s_cbranch_execz .LBB108_245
; %bb.244:
	buffer_load_dword v92, off, s[0:3], 0 offset:152
	buffer_load_dword v93, off, s[0:3], 0 offset:156
	v_mov_b32_e32 v94, 0
	buffer_store_dword v94, off, s[0:3], 0 offset:152
	buffer_store_dword v94, off, s[0:3], 0 offset:156
	s_waitcnt vmcnt(2)
	ds_write_b64 v91, v[92:93]
.LBB108_245:
	s_or_b64 exec, exec, s[4:5]
	s_waitcnt lgkmcnt(0)
	; wave barrier
	buffer_load_dword v143, off, s[0:3], 0 offset:164
	buffer_load_dword v144, off, s[0:3], 0 offset:172
	;; [unrolled: 1-line block ×52, first 2 shown]
	v_mov_b32_e32 v92, 0
	ds_read_b128 v[93:96], v92 offset:528
	ds_read_b128 v[97:100], v92 offset:544
	;; [unrolled: 1-line block ×6, first 2 shown]
	v_cmp_lt_u32_e32 vcc, 18, v0
	s_waitcnt vmcnt(51) lgkmcnt(5)
	v_mul_f32_e32 v117, v93, v143
	s_waitcnt vmcnt(50)
	v_mul_f32_e32 v118, v95, v144
	s_waitcnt vmcnt(49) lgkmcnt(4)
	v_mul_f32_e32 v119, v97, v145
	s_waitcnt vmcnt(48)
	v_mul_f32_e32 v120, v99, v146
	;; [unrolled: 4-line block ×5, first 2 shown]
	s_waitcnt vmcnt(41) lgkmcnt(0)
	v_mul_f32_e32 v127, v113, v153
	s_waitcnt vmcnt(40)
	v_fmac_f32_e32 v117, v94, v154
	v_mul_f32_e32 v94, v94, v143
	s_waitcnt vmcnt(39)
	v_fmac_f32_e32 v118, v96, v155
	v_add_f32_e32 v117, 0, v117
	v_fma_f32 v93, v93, v154, -v94
	v_mul_f32_e32 v94, v96, v144
	s_waitcnt vmcnt(38)
	v_fmac_f32_e32 v119, v98, v156
	v_add_f32_e32 v117, v117, v118
	v_add_f32_e32 v93, 0, v93
	v_fma_f32 v94, v95, v155, -v94
	s_waitcnt vmcnt(37)
	v_fmac_f32_e32 v120, v100, v157
	v_add_f32_e32 v117, v117, v119
	v_add_f32_e32 v93, v93, v94
	v_mul_f32_e32 v94, v98, v145
	s_waitcnt vmcnt(36)
	v_fmac_f32_e32 v121, v102, v158
	v_add_f32_e32 v117, v117, v120
	v_fma_f32 v94, v97, v156, -v94
	s_waitcnt vmcnt(35)
	v_fmac_f32_e32 v122, v104, v159
	v_add_f32_e32 v117, v117, v121
	v_add_f32_e32 v93, v93, v94
	v_mul_f32_e32 v94, v100, v146
	s_waitcnt vmcnt(34)
	v_fmac_f32_e32 v123, v106, v160
	;; [unrolled: 9-line block ×3, first 2 shown]
	v_add_f32_e32 v117, v117, v124
	v_fma_f32 v94, v101, v158, -v94
	s_waitcnt vmcnt(31)
	v_fmac_f32_e32 v126, v112, v163
	v_add_f32_e32 v117, v117, v125
	v_add_f32_e32 v93, v93, v94
	v_mul_f32_e32 v94, v104, v148
	v_add_f32_e32 v117, v117, v126
	s_waitcnt vmcnt(30)
	v_fmac_f32_e32 v127, v114, v164
	v_fma_f32 v94, v103, v159, -v94
	v_add_f32_e32 v121, v117, v127
	ds_read_b128 v[117:120], v92 offset:624
	v_add_f32_e32 v93, v93, v94
	v_mul_f32_e32 v94, v106, v149
	v_fma_f32 v94, v105, v160, -v94
	s_waitcnt vmcnt(29)
	v_mul_f32_e32 v122, v115, v165
	v_add_f32_e32 v93, v93, v94
	v_mul_f32_e32 v94, v108, v150
	s_waitcnt vmcnt(28)
	v_fmac_f32_e32 v122, v116, v166
	v_fma_f32 v94, v107, v161, -v94
	v_add_f32_e32 v125, v121, v122
	ds_read_b128 v[121:124], v92 offset:640
	v_add_f32_e32 v93, v93, v94
	v_mul_f32_e32 v94, v110, v151
	s_waitcnt vmcnt(27) lgkmcnt(1)
	v_mul_f32_e32 v126, v117, v167
	v_fma_f32 v94, v109, v162, -v94
	s_waitcnt vmcnt(26)
	v_fmac_f32_e32 v126, v118, v168
	v_add_f32_e32 v93, v93, v94
	v_mul_f32_e32 v94, v112, v152
	v_add_f32_e32 v125, v125, v126
	s_waitcnt vmcnt(25)
	v_mul_f32_e32 v126, v119, v169
	v_fma_f32 v94, v111, v163, -v94
	s_waitcnt vmcnt(24)
	v_fmac_f32_e32 v126, v120, v170
	v_add_f32_e32 v93, v93, v94
	v_mul_f32_e32 v94, v114, v153
	v_add_f32_e32 v125, v125, v126
	s_waitcnt vmcnt(23) lgkmcnt(0)
	v_mul_f32_e32 v126, v121, v171
	v_fma_f32 v94, v113, v164, -v94
	s_waitcnt vmcnt(22)
	v_fmac_f32_e32 v126, v122, v172
	v_add_f32_e32 v93, v93, v94
	v_mul_f32_e32 v94, v116, v165
	v_add_f32_e32 v129, v125, v126
	ds_read_b128 v[125:128], v92 offset:656
	v_fma_f32 v94, v115, v166, -v94
	v_add_f32_e32 v93, v93, v94
	v_mul_f32_e32 v94, v118, v167
	s_waitcnt vmcnt(21)
	v_mul_f32_e32 v130, v123, v173
	v_fma_f32 v94, v117, v168, -v94
	s_waitcnt vmcnt(20)
	v_fmac_f32_e32 v130, v124, v174
	v_add_f32_e32 v93, v93, v94
	v_mul_f32_e32 v94, v120, v169
	v_add_f32_e32 v133, v129, v130
	ds_read_b128 v[129:132], v92 offset:672
	v_fma_f32 v94, v119, v170, -v94
	s_waitcnt vmcnt(19) lgkmcnt(1)
	v_mul_f32_e32 v134, v125, v175
	v_add_f32_e32 v93, v93, v94
	v_mul_f32_e32 v94, v122, v171
	s_waitcnt vmcnt(18)
	v_fmac_f32_e32 v134, v126, v176
	v_fma_f32 v94, v121, v172, -v94
	v_add_f32_e32 v133, v133, v134
	s_waitcnt vmcnt(17)
	v_mul_f32_e32 v134, v127, v177
	v_add_f32_e32 v93, v93, v94
	v_mul_f32_e32 v94, v124, v173
	s_waitcnt vmcnt(16)
	v_fmac_f32_e32 v134, v128, v178
	v_fma_f32 v94, v123, v174, -v94
	v_add_f32_e32 v133, v133, v134
	s_waitcnt vmcnt(14) lgkmcnt(0)
	v_mul_f32_e32 v134, v129, v180
	v_add_f32_e32 v93, v93, v94
	v_mul_f32_e32 v94, v126, v175
	v_fmac_f32_e32 v134, v130, v179
	v_fma_f32 v94, v125, v176, -v94
	v_add_f32_e32 v137, v133, v134
	ds_read_b128 v[133:136], v92 offset:688
	v_add_f32_e32 v93, v93, v94
	v_mul_f32_e32 v94, v128, v177
	v_fma_f32 v94, v127, v178, -v94
	v_add_f32_e32 v93, v93, v94
	v_mul_f32_e32 v94, v130, v180
	s_waitcnt vmcnt(11)
	v_mul_f32_e32 v138, v131, v183
	v_fma_f32 v94, v129, v179, -v94
	s_waitcnt vmcnt(10)
	v_fmac_f32_e32 v138, v132, v184
	v_add_f32_e32 v93, v93, v94
	v_mul_f32_e32 v94, v132, v183
	v_add_f32_e32 v141, v137, v138
	ds_read_b128 v[137:140], v92 offset:704
	s_waitcnt vmcnt(8) lgkmcnt(1)
	v_mul_f32_e32 v142, v133, v186
	v_fma_f32 v94, v131, v184, -v94
	v_fmac_f32_e32 v142, v134, v185
	v_add_f32_e32 v93, v93, v94
	v_mul_f32_e32 v94, v134, v186
	v_add_f32_e32 v141, v141, v142
	s_waitcnt vmcnt(6)
	v_mul_f32_e32 v142, v135, v188
	v_fma_f32 v94, v133, v185, -v94
	v_fmac_f32_e32 v142, v136, v187
	v_add_f32_e32 v93, v93, v94
	v_mul_f32_e32 v94, v136, v188
	v_add_f32_e32 v195, v141, v142
	ds_read_b64 v[141:142], v92 offset:720
	v_fma_f32 v94, v135, v187, -v94
	v_add_f32_e32 v93, v93, v94
	s_waitcnt vmcnt(4) lgkmcnt(1)
	v_mul_f32_e32 v94, v138, v190
	v_mul_f32_e32 v196, v137, v190
	v_fma_f32 v94, v137, v189, -v94
	v_fmac_f32_e32 v196, v138, v189
	v_add_f32_e32 v93, v93, v94
	s_waitcnt vmcnt(2)
	v_mul_f32_e32 v94, v140, v192
	v_add_f32_e32 v195, v195, v196
	v_mul_f32_e32 v196, v139, v192
	v_fma_f32 v94, v139, v191, -v94
	v_fmac_f32_e32 v196, v140, v191
	v_add_f32_e32 v93, v93, v94
	s_waitcnt vmcnt(0) lgkmcnt(0)
	v_mul_f32_e32 v94, v142, v194
	v_add_f32_e32 v195, v195, v196
	v_mul_f32_e32 v196, v141, v194
	v_fma_f32 v94, v141, v193, -v94
	v_fmac_f32_e32 v196, v142, v193
	v_add_f32_e32 v93, v93, v94
	v_add_f32_e32 v195, v195, v196
	v_sub_f32_e32 v93, v181, v93
	v_sub_f32_e32 v94, v182, v195
	buffer_store_dword v93, off, s[0:3], 0 offset:152
	buffer_store_dword v94, off, s[0:3], 0 offset:156
	s_and_saveexec_b64 s[4:5], vcc
	s_cbranch_execz .LBB108_247
; %bb.246:
	buffer_load_dword v93, off, s[0:3], 0 offset:144
	buffer_load_dword v94, off, s[0:3], 0 offset:148
	s_waitcnt vmcnt(0)
	ds_write_b64 v91, v[93:94]
	buffer_store_dword v92, off, s[0:3], 0 offset:144
	buffer_store_dword v92, off, s[0:3], 0 offset:148
.LBB108_247:
	s_or_b64 exec, exec, s[4:5]
	s_waitcnt lgkmcnt(0)
	; wave barrier
	buffer_load_dword v145, off, s[0:3], 0 offset:156
	buffer_load_dword v146, off, s[0:3], 0 offset:164
	;; [unrolled: 1-line block ×42, first 2 shown]
	ds_read2_b64 v[93:96], v92 offset0:65 offset1:66
	ds_read2_b64 v[97:100], v92 offset0:67 offset1:68
	;; [unrolled: 1-line block ×4, first 2 shown]
	buffer_load_dword v187, off, s[0:3], 0 offset:316
	buffer_load_dword v188, off, s[0:3], 0 offset:312
	;; [unrolled: 1-line block ×6, first 2 shown]
	ds_read2_b64 v[109:112], v92 offset0:73 offset1:74
	ds_read2_b64 v[113:116], v92 offset0:75 offset1:76
	buffer_load_dword v193, off, s[0:3], 0 offset:336
	buffer_load_dword v194, off, s[0:3], 0 offset:340
	;; [unrolled: 1-line block ×6, first 2 shown]
	v_cmp_lt_u32_e32 vcc, 17, v0
	s_waitcnt vmcnt(53) lgkmcnt(5)
	v_mul_f32_e32 v117, v93, v145
	s_waitcnt vmcnt(52)
	v_mul_f32_e32 v118, v95, v146
	s_waitcnt vmcnt(51) lgkmcnt(4)
	v_mul_f32_e32 v119, v97, v147
	s_waitcnt vmcnt(50)
	v_mul_f32_e32 v120, v99, v148
	;; [unrolled: 4-line block ×5, first 2 shown]
	s_waitcnt vmcnt(43)
	v_fmac_f32_e32 v117, v94, v155
	v_mul_f32_e32 v94, v94, v145
	s_waitcnt vmcnt(42)
	v_fmac_f32_e32 v118, v96, v156
	v_add_f32_e32 v117, 0, v117
	v_fma_f32 v93, v93, v155, -v94
	v_mul_f32_e32 v94, v96, v146
	s_waitcnt vmcnt(41)
	v_fmac_f32_e32 v119, v98, v157
	v_add_f32_e32 v117, v117, v118
	v_add_f32_e32 v93, 0, v93
	v_fma_f32 v94, v95, v156, -v94
	s_waitcnt vmcnt(40)
	v_fmac_f32_e32 v120, v100, v158
	v_add_f32_e32 v117, v117, v119
	v_add_f32_e32 v93, v93, v94
	v_mul_f32_e32 v94, v98, v147
	s_waitcnt vmcnt(39)
	v_fmac_f32_e32 v121, v102, v159
	v_add_f32_e32 v117, v117, v120
	v_fma_f32 v94, v97, v157, -v94
	s_waitcnt vmcnt(38)
	v_fmac_f32_e32 v122, v104, v160
	v_add_f32_e32 v117, v117, v121
	v_add_f32_e32 v93, v93, v94
	v_mul_f32_e32 v94, v100, v148
	s_waitcnt vmcnt(37)
	v_fmac_f32_e32 v123, v106, v161
	v_add_f32_e32 v117, v117, v122
	v_fma_f32 v94, v99, v158, -v94
	s_waitcnt vmcnt(36)
	v_fmac_f32_e32 v124, v108, v162
	v_add_f32_e32 v117, v117, v123
	v_add_f32_e32 v93, v93, v94
	v_mul_f32_e32 v94, v102, v149
	s_waitcnt vmcnt(35)
	v_fmac_f32_e32 v125, v110, v163
	v_add_f32_e32 v117, v117, v124
	v_fma_f32 v94, v101, v159, -v94
	s_waitcnt vmcnt(34)
	v_fmac_f32_e32 v126, v112, v164
	v_add_f32_e32 v117, v117, v125
	s_waitcnt vmcnt(33) lgkmcnt(0)
	v_mul_f32_e32 v118, v113, v165
	v_add_f32_e32 v93, v93, v94
	v_mul_f32_e32 v94, v104, v150
	v_add_f32_e32 v117, v117, v126
	s_waitcnt vmcnt(32)
	v_fmac_f32_e32 v118, v114, v166
	v_fma_f32 v94, v103, v160, -v94
	v_add_f32_e32 v121, v117, v118
	ds_read2_b64 v[117:120], v92 offset0:77 offset1:78
	v_add_f32_e32 v93, v93, v94
	v_mul_f32_e32 v94, v106, v151
	v_fma_f32 v94, v105, v161, -v94
	s_waitcnt vmcnt(31)
	v_mul_f32_e32 v122, v115, v167
	v_add_f32_e32 v93, v93, v94
	v_mul_f32_e32 v94, v108, v152
	s_waitcnt vmcnt(30)
	v_fmac_f32_e32 v122, v116, v168
	v_fma_f32 v94, v107, v162, -v94
	v_add_f32_e32 v125, v121, v122
	ds_read2_b64 v[121:124], v92 offset0:79 offset1:80
	v_add_f32_e32 v93, v93, v94
	v_mul_f32_e32 v94, v110, v153
	s_waitcnt vmcnt(29) lgkmcnt(1)
	v_mul_f32_e32 v126, v117, v169
	v_fma_f32 v94, v109, v163, -v94
	s_waitcnt vmcnt(28)
	v_fmac_f32_e32 v126, v118, v170
	v_add_f32_e32 v93, v93, v94
	v_mul_f32_e32 v94, v112, v154
	v_add_f32_e32 v125, v125, v126
	s_waitcnt vmcnt(27)
	v_mul_f32_e32 v126, v119, v171
	v_fma_f32 v94, v111, v164, -v94
	s_waitcnt vmcnt(26)
	v_fmac_f32_e32 v126, v120, v172
	v_add_f32_e32 v93, v93, v94
	v_mul_f32_e32 v94, v114, v165
	v_add_f32_e32 v125, v125, v126
	s_waitcnt vmcnt(25) lgkmcnt(0)
	v_mul_f32_e32 v126, v121, v173
	v_fma_f32 v94, v113, v166, -v94
	s_waitcnt vmcnt(24)
	v_fmac_f32_e32 v126, v122, v174
	v_add_f32_e32 v93, v93, v94
	v_mul_f32_e32 v94, v116, v167
	v_add_f32_e32 v129, v125, v126
	ds_read2_b64 v[125:128], v92 offset0:81 offset1:82
	v_fma_f32 v94, v115, v168, -v94
	v_add_f32_e32 v93, v93, v94
	v_mul_f32_e32 v94, v118, v169
	s_waitcnt vmcnt(23)
	v_mul_f32_e32 v130, v123, v175
	v_fma_f32 v94, v117, v170, -v94
	s_waitcnt vmcnt(22)
	v_fmac_f32_e32 v130, v124, v176
	v_add_f32_e32 v93, v93, v94
	v_mul_f32_e32 v94, v120, v171
	v_add_f32_e32 v133, v129, v130
	ds_read2_b64 v[129:132], v92 offset0:83 offset1:84
	v_fma_f32 v94, v119, v172, -v94
	s_waitcnt vmcnt(21) lgkmcnt(1)
	v_mul_f32_e32 v134, v125, v177
	v_add_f32_e32 v93, v93, v94
	v_mul_f32_e32 v94, v122, v173
	s_waitcnt vmcnt(20)
	v_fmac_f32_e32 v134, v126, v178
	v_fma_f32 v94, v121, v174, -v94
	v_add_f32_e32 v133, v133, v134
	s_waitcnt vmcnt(18)
	v_mul_f32_e32 v134, v127, v180
	v_add_f32_e32 v93, v93, v94
	v_mul_f32_e32 v94, v124, v175
	v_fmac_f32_e32 v134, v128, v179
	v_fma_f32 v94, v123, v176, -v94
	v_add_f32_e32 v133, v133, v134
	s_waitcnt vmcnt(15) lgkmcnt(0)
	v_mul_f32_e32 v134, v129, v183
	v_add_f32_e32 v93, v93, v94
	v_mul_f32_e32 v94, v126, v177
	s_waitcnt vmcnt(14)
	v_fmac_f32_e32 v134, v130, v184
	v_fma_f32 v94, v125, v178, -v94
	v_add_f32_e32 v137, v133, v134
	ds_read2_b64 v[133:136], v92 offset0:85 offset1:86
	v_add_f32_e32 v93, v93, v94
	v_mul_f32_e32 v94, v128, v180
	v_fma_f32 v94, v127, v179, -v94
	v_add_f32_e32 v93, v93, v94
	v_mul_f32_e32 v94, v130, v183
	s_waitcnt vmcnt(12)
	v_mul_f32_e32 v138, v131, v186
	v_fma_f32 v94, v129, v184, -v94
	v_fmac_f32_e32 v138, v132, v185
	v_add_f32_e32 v93, v93, v94
	v_mul_f32_e32 v94, v132, v186
	v_add_f32_e32 v141, v137, v138
	ds_read2_b64 v[137:140], v92 offset0:87 offset1:88
	s_waitcnt vmcnt(11) lgkmcnt(1)
	v_mul_f32_e32 v142, v133, v187
	v_fma_f32 v94, v131, v185, -v94
	s_waitcnt vmcnt(10)
	v_fmac_f32_e32 v142, v134, v188
	v_add_f32_e32 v93, v93, v94
	v_mul_f32_e32 v94, v134, v187
	v_add_f32_e32 v141, v141, v142
	s_waitcnt vmcnt(8)
	v_mul_f32_e32 v142, v135, v190
	v_fma_f32 v94, v133, v188, -v94
	v_fmac_f32_e32 v142, v136, v189
	v_add_f32_e32 v93, v93, v94
	v_mul_f32_e32 v94, v136, v190
	v_add_f32_e32 v199, v141, v142
	ds_read2_b64 v[141:144], v92 offset0:89 offset1:90
	v_fma_f32 v94, v135, v189, -v94
	v_add_f32_e32 v93, v93, v94
	s_waitcnt vmcnt(6) lgkmcnt(1)
	v_mul_f32_e32 v94, v138, v192
	v_mul_f32_e32 v200, v137, v192
	v_fma_f32 v94, v137, v191, -v94
	v_fmac_f32_e32 v200, v138, v191
	v_add_f32_e32 v93, v93, v94
	s_waitcnt vmcnt(4)
	v_mul_f32_e32 v94, v140, v194
	v_add_f32_e32 v92, v199, v200
	v_mul_f32_e32 v199, v139, v194
	v_fma_f32 v94, v139, v193, -v94
	v_fmac_f32_e32 v199, v140, v193
	v_add_f32_e32 v93, v93, v94
	s_waitcnt vmcnt(2) lgkmcnt(0)
	v_mul_f32_e32 v94, v142, v196
	v_add_f32_e32 v92, v92, v199
	v_mul_f32_e32 v199, v141, v196
	v_fma_f32 v94, v141, v195, -v94
	v_fmac_f32_e32 v199, v142, v195
	v_add_f32_e32 v93, v93, v94
	s_waitcnt vmcnt(0)
	v_mul_f32_e32 v94, v144, v198
	v_add_f32_e32 v92, v92, v199
	v_mul_f32_e32 v199, v143, v198
	v_fma_f32 v94, v143, v197, -v94
	v_fmac_f32_e32 v199, v144, v197
	v_add_f32_e32 v93, v93, v94
	v_add_f32_e32 v92, v92, v199
	v_sub_f32_e32 v93, v181, v93
	v_sub_f32_e32 v92, v182, v92
	buffer_store_dword v93, off, s[0:3], 0 offset:144
	buffer_store_dword v92, off, s[0:3], 0 offset:148
	s_and_saveexec_b64 s[4:5], vcc
	s_cbranch_execz .LBB108_249
; %bb.248:
	buffer_load_dword v92, off, s[0:3], 0 offset:136
	buffer_load_dword v93, off, s[0:3], 0 offset:140
	v_mov_b32_e32 v94, 0
	buffer_store_dword v94, off, s[0:3], 0 offset:136
	buffer_store_dword v94, off, s[0:3], 0 offset:140
	s_waitcnt vmcnt(2)
	ds_write_b64 v91, v[92:93]
.LBB108_249:
	s_or_b64 exec, exec, s[4:5]
	s_waitcnt lgkmcnt(0)
	; wave barrier
	buffer_load_dword v147, off, s[0:3], 0 offset:148
	buffer_load_dword v148, off, s[0:3], 0 offset:156
	;; [unrolled: 1-line block ×56, first 2 shown]
	v_mov_b32_e32 v92, 0
	ds_read_b128 v[93:96], v92 offset:512
	ds_read_b128 v[97:100], v92 offset:528
	;; [unrolled: 1-line block ×6, first 2 shown]
	v_cmp_lt_u32_e32 vcc, 16, v0
	s_waitcnt vmcnt(55) lgkmcnt(5)
	v_mul_f32_e32 v117, v93, v147
	s_waitcnt vmcnt(54)
	v_mul_f32_e32 v118, v95, v148
	s_waitcnt vmcnt(53) lgkmcnt(4)
	v_mul_f32_e32 v119, v97, v149
	s_waitcnt vmcnt(52)
	v_mul_f32_e32 v120, v99, v150
	;; [unrolled: 4-line block ×4, first 2 shown]
	s_waitcnt vmcnt(47) lgkmcnt(1)
	v_mul_f32_e32 v125, v109, v155
	s_waitcnt vmcnt(46)
	v_fmac_f32_e32 v117, v94, v156
	s_waitcnt vmcnt(45)
	v_fmac_f32_e32 v118, v96, v157
	v_add_f32_e32 v117, 0, v117
	s_waitcnt vmcnt(44)
	v_fmac_f32_e32 v119, v98, v158
	v_add_f32_e32 v117, v117, v118
	;; [unrolled: 3-line block ×3, first 2 shown]
	v_mul_f32_e32 v94, v94, v147
	s_waitcnt vmcnt(42)
	v_fmac_f32_e32 v121, v102, v160
	v_add_f32_e32 v117, v117, v120
	v_fma_f32 v93, v93, v156, -v94
	v_mul_f32_e32 v94, v96, v148
	s_waitcnt vmcnt(41)
	v_fmac_f32_e32 v122, v104, v161
	v_add_f32_e32 v117, v117, v121
	v_add_f32_e32 v93, 0, v93
	v_fma_f32 v94, v95, v157, -v94
	s_waitcnt vmcnt(40)
	v_fmac_f32_e32 v123, v106, v162
	v_add_f32_e32 v117, v117, v122
	v_add_f32_e32 v93, v93, v94
	v_mul_f32_e32 v94, v98, v149
	s_waitcnt vmcnt(39)
	v_fmac_f32_e32 v124, v108, v163
	v_add_f32_e32 v117, v117, v123
	v_fma_f32 v94, v97, v158, -v94
	v_add_f32_e32 v117, v117, v124
	s_waitcnt vmcnt(38)
	v_fmac_f32_e32 v125, v110, v164
	s_waitcnt vmcnt(37)
	v_mul_f32_e32 v118, v111, v165
	v_add_f32_e32 v93, v93, v94
	v_mul_f32_e32 v94, v100, v150
	v_add_f32_e32 v117, v117, v125
	s_waitcnt vmcnt(36)
	v_fmac_f32_e32 v118, v112, v166
	v_fma_f32 v94, v99, v159, -v94
	v_add_f32_e32 v117, v117, v118
	s_waitcnt vmcnt(35) lgkmcnt(0)
	v_mul_f32_e32 v118, v113, v167
	v_add_f32_e32 v93, v93, v94
	v_mul_f32_e32 v94, v102, v151
	s_waitcnt vmcnt(34)
	v_fmac_f32_e32 v118, v114, v168
	v_fma_f32 v94, v101, v160, -v94
	v_add_f32_e32 v121, v117, v118
	ds_read_b128 v[117:120], v92 offset:608
	v_add_f32_e32 v93, v93, v94
	v_mul_f32_e32 v94, v104, v152
	v_fma_f32 v94, v103, v161, -v94
	s_waitcnt vmcnt(33)
	v_mul_f32_e32 v122, v115, v169
	v_add_f32_e32 v93, v93, v94
	v_mul_f32_e32 v94, v106, v153
	s_waitcnt vmcnt(32)
	v_fmac_f32_e32 v122, v116, v170
	v_fma_f32 v94, v105, v162, -v94
	v_add_f32_e32 v125, v121, v122
	ds_read_b128 v[121:124], v92 offset:624
	v_add_f32_e32 v93, v93, v94
	v_mul_f32_e32 v94, v108, v154
	s_waitcnt vmcnt(31) lgkmcnt(1)
	v_mul_f32_e32 v126, v117, v171
	v_fma_f32 v94, v107, v163, -v94
	s_waitcnt vmcnt(30)
	v_fmac_f32_e32 v126, v118, v172
	v_add_f32_e32 v93, v93, v94
	v_mul_f32_e32 v94, v110, v155
	v_add_f32_e32 v125, v125, v126
	s_waitcnt vmcnt(29)
	v_mul_f32_e32 v126, v119, v173
	v_fma_f32 v94, v109, v164, -v94
	s_waitcnt vmcnt(28)
	v_fmac_f32_e32 v126, v120, v174
	v_add_f32_e32 v93, v93, v94
	v_mul_f32_e32 v94, v112, v165
	v_add_f32_e32 v125, v125, v126
	s_waitcnt vmcnt(27) lgkmcnt(0)
	v_mul_f32_e32 v126, v121, v175
	v_fma_f32 v94, v111, v166, -v94
	s_waitcnt vmcnt(26)
	v_fmac_f32_e32 v126, v122, v176
	v_add_f32_e32 v93, v93, v94
	v_mul_f32_e32 v94, v114, v167
	v_add_f32_e32 v129, v125, v126
	ds_read_b128 v[125:128], v92 offset:640
	v_fma_f32 v94, v113, v168, -v94
	v_add_f32_e32 v93, v93, v94
	v_mul_f32_e32 v94, v116, v169
	s_waitcnt vmcnt(24)
	v_mul_f32_e32 v130, v123, v178
	v_fma_f32 v94, v115, v170, -v94
	v_fmac_f32_e32 v130, v124, v177
	v_add_f32_e32 v93, v93, v94
	v_mul_f32_e32 v94, v118, v171
	v_add_f32_e32 v133, v129, v130
	ds_read_b128 v[129:132], v92 offset:656
	v_fma_f32 v94, v117, v172, -v94
	s_waitcnt vmcnt(21) lgkmcnt(1)
	v_mul_f32_e32 v134, v125, v181
	v_add_f32_e32 v93, v93, v94
	v_mul_f32_e32 v94, v120, v173
	s_waitcnt vmcnt(20)
	v_fmac_f32_e32 v134, v126, v182
	v_fma_f32 v94, v119, v174, -v94
	v_add_f32_e32 v133, v133, v134
	s_waitcnt vmcnt(18)
	v_mul_f32_e32 v134, v127, v184
	v_add_f32_e32 v93, v93, v94
	v_mul_f32_e32 v94, v122, v175
	v_fmac_f32_e32 v134, v128, v183
	v_fma_f32 v94, v121, v176, -v94
	v_add_f32_e32 v133, v133, v134
	s_waitcnt vmcnt(16) lgkmcnt(0)
	v_mul_f32_e32 v134, v129, v186
	v_add_f32_e32 v93, v93, v94
	v_mul_f32_e32 v94, v124, v178
	v_fmac_f32_e32 v134, v130, v185
	v_fma_f32 v94, v123, v177, -v94
	v_add_f32_e32 v137, v133, v134
	ds_read_b128 v[133:136], v92 offset:672
	v_add_f32_e32 v93, v93, v94
	v_mul_f32_e32 v94, v126, v181
	v_fma_f32 v94, v125, v182, -v94
	s_waitcnt vmcnt(14)
	v_mul_f32_e32 v138, v131, v188
	v_add_f32_e32 v93, v93, v94
	v_mul_f32_e32 v94, v128, v184
	v_fmac_f32_e32 v138, v132, v187
	v_fma_f32 v94, v127, v183, -v94
	v_add_f32_e32 v141, v137, v138
	ds_read_b128 v[137:140], v92 offset:688
	v_add_f32_e32 v93, v93, v94
	v_mul_f32_e32 v94, v130, v186
	s_waitcnt vmcnt(12) lgkmcnt(1)
	v_mul_f32_e32 v142, v133, v190
	v_fma_f32 v94, v129, v185, -v94
	v_fmac_f32_e32 v142, v134, v189
	v_add_f32_e32 v93, v93, v94
	v_mul_f32_e32 v94, v132, v188
	v_add_f32_e32 v141, v141, v142
	s_waitcnt vmcnt(10)
	v_mul_f32_e32 v142, v135, v192
	v_fma_f32 v94, v131, v187, -v94
	v_fmac_f32_e32 v142, v136, v191
	v_add_f32_e32 v93, v93, v94
	v_mul_f32_e32 v94, v134, v190
	v_add_f32_e32 v141, v141, v142
	s_waitcnt vmcnt(8) lgkmcnt(0)
	v_mul_f32_e32 v142, v137, v194
	v_fma_f32 v94, v133, v189, -v94
	v_fmac_f32_e32 v142, v138, v193
	v_add_f32_e32 v93, v93, v94
	v_mul_f32_e32 v94, v136, v192
	v_add_f32_e32 v145, v141, v142
	ds_read_b128 v[141:144], v92 offset:704
	v_fma_f32 v94, v135, v191, -v94
	v_add_f32_e32 v93, v93, v94
	v_mul_f32_e32 v94, v138, v194
	s_waitcnt vmcnt(6)
	v_mul_f32_e32 v146, v139, v196
	v_fma_f32 v94, v137, v193, -v94
	v_fmac_f32_e32 v146, v140, v195
	v_add_f32_e32 v93, v93, v94
	v_mul_f32_e32 v94, v140, v196
	v_add_f32_e32 v203, v145, v146
	ds_read_b64 v[145:146], v92 offset:720
	v_fma_f32 v94, v139, v195, -v94
	v_add_f32_e32 v93, v93, v94
	s_waitcnt vmcnt(4) lgkmcnt(1)
	v_mul_f32_e32 v94, v142, v198
	v_mul_f32_e32 v204, v141, v198
	v_fma_f32 v94, v141, v197, -v94
	v_fmac_f32_e32 v204, v142, v197
	v_add_f32_e32 v93, v93, v94
	s_waitcnt vmcnt(2)
	v_mul_f32_e32 v94, v144, v200
	v_add_f32_e32 v203, v203, v204
	v_mul_f32_e32 v204, v143, v200
	v_fma_f32 v94, v143, v199, -v94
	v_fmac_f32_e32 v204, v144, v199
	v_add_f32_e32 v93, v93, v94
	s_waitcnt vmcnt(0) lgkmcnt(0)
	v_mul_f32_e32 v94, v146, v202
	v_add_f32_e32 v203, v203, v204
	v_mul_f32_e32 v204, v145, v202
	v_fma_f32 v94, v145, v201, -v94
	v_fmac_f32_e32 v204, v146, v201
	v_add_f32_e32 v93, v93, v94
	v_add_f32_e32 v203, v203, v204
	v_sub_f32_e32 v93, v179, v93
	v_sub_f32_e32 v94, v180, v203
	buffer_store_dword v93, off, s[0:3], 0 offset:136
	buffer_store_dword v94, off, s[0:3], 0 offset:140
	s_and_saveexec_b64 s[4:5], vcc
	s_cbranch_execz .LBB108_251
; %bb.250:
	buffer_load_dword v93, off, s[0:3], 0 offset:128
	buffer_load_dword v94, off, s[0:3], 0 offset:132
	s_waitcnt vmcnt(0)
	ds_write_b64 v91, v[93:94]
	buffer_store_dword v92, off, s[0:3], 0 offset:128
	buffer_store_dword v92, off, s[0:3], 0 offset:132
.LBB108_251:
	s_or_b64 exec, exec, s[4:5]
	s_waitcnt lgkmcnt(0)
	; wave barrier
	buffer_load_dword v149, off, s[0:3], 0 offset:140
	buffer_load_dword v150, off, s[0:3], 0 offset:148
	;; [unrolled: 1-line block ×34, first 2 shown]
	ds_read2_b64 v[93:96], v92 offset0:63 offset1:64
	ds_read2_b64 v[97:100], v92 offset0:65 offset1:66
	buffer_load_dword v183, off, s[0:3], 0 offset:268
	buffer_load_dword v184, off, s[0:3], 0 offset:264
	;; [unrolled: 1-line block ×6, first 2 shown]
	ds_read2_b64 v[101:104], v92 offset0:67 offset1:68
	ds_read2_b64 v[105:108], v92 offset0:69 offset1:70
	;; [unrolled: 1-line block ×4, first 2 shown]
	buffer_load_dword v189, off, s[0:3], 0 offset:292
	buffer_load_dword v190, off, s[0:3], 0 offset:288
	;; [unrolled: 1-line block ×18, first 2 shown]
	v_cmp_lt_u32_e32 vcc, 15, v0
	s_waitcnt vmcnt(57) lgkmcnt(5)
	v_mul_f32_e32 v117, v93, v149
	s_waitcnt vmcnt(56)
	v_mul_f32_e32 v118, v95, v150
	s_waitcnt vmcnt(55) lgkmcnt(4)
	v_mul_f32_e32 v119, v97, v151
	s_waitcnt vmcnt(54)
	v_mul_f32_e32 v120, v99, v152
	;; [unrolled: 4-line block ×4, first 2 shown]
	s_waitcnt vmcnt(49)
	v_fmac_f32_e32 v117, v94, v157
	s_waitcnt vmcnt(48)
	v_fmac_f32_e32 v118, v96, v158
	v_add_f32_e32 v117, 0, v117
	s_waitcnt vmcnt(47)
	v_fmac_f32_e32 v119, v98, v159
	v_add_f32_e32 v117, v117, v118
	;; [unrolled: 3-line block ×4, first 2 shown]
	v_mul_f32_e32 v94, v94, v149
	s_waitcnt vmcnt(44)
	v_fmac_f32_e32 v122, v104, v162
	v_add_f32_e32 v117, v117, v121
	v_fma_f32 v93, v93, v157, -v94
	v_mul_f32_e32 v94, v96, v150
	s_waitcnt vmcnt(43)
	v_fmac_f32_e32 v123, v106, v163
	v_add_f32_e32 v117, v117, v122
	v_add_f32_e32 v93, 0, v93
	v_fma_f32 v94, v95, v158, -v94
	s_waitcnt vmcnt(42)
	v_fmac_f32_e32 v124, v108, v164
	v_add_f32_e32 v117, v117, v123
	s_waitcnt vmcnt(41) lgkmcnt(1)
	v_mul_f32_e32 v118, v109, v165
	v_add_f32_e32 v93, v93, v94
	v_mul_f32_e32 v94, v98, v151
	v_add_f32_e32 v117, v117, v124
	s_waitcnt vmcnt(40)
	v_fmac_f32_e32 v118, v110, v166
	v_fma_f32 v94, v97, v159, -v94
	v_add_f32_e32 v117, v117, v118
	s_waitcnt vmcnt(39)
	v_mul_f32_e32 v118, v111, v167
	v_add_f32_e32 v93, v93, v94
	v_mul_f32_e32 v94, v100, v152
	s_waitcnt vmcnt(38)
	v_fmac_f32_e32 v118, v112, v168
	v_fma_f32 v94, v99, v160, -v94
	v_add_f32_e32 v117, v117, v118
	s_waitcnt vmcnt(37) lgkmcnt(0)
	v_mul_f32_e32 v118, v113, v169
	v_add_f32_e32 v93, v93, v94
	v_mul_f32_e32 v94, v102, v153
	s_waitcnt vmcnt(36)
	v_fmac_f32_e32 v118, v114, v170
	v_fma_f32 v94, v101, v161, -v94
	v_add_f32_e32 v121, v117, v118
	ds_read2_b64 v[117:120], v92 offset0:75 offset1:76
	v_add_f32_e32 v93, v93, v94
	v_mul_f32_e32 v94, v104, v154
	v_fma_f32 v94, v103, v162, -v94
	s_waitcnt vmcnt(35)
	v_mul_f32_e32 v122, v115, v171
	v_add_f32_e32 v93, v93, v94
	v_mul_f32_e32 v94, v106, v155
	s_waitcnt vmcnt(34)
	v_fmac_f32_e32 v122, v116, v172
	v_fma_f32 v94, v105, v163, -v94
	v_add_f32_e32 v125, v121, v122
	ds_read2_b64 v[121:124], v92 offset0:77 offset1:78
	v_add_f32_e32 v93, v93, v94
	v_mul_f32_e32 v94, v108, v156
	s_waitcnt vmcnt(33) lgkmcnt(1)
	v_mul_f32_e32 v126, v117, v173
	v_fma_f32 v94, v107, v164, -v94
	s_waitcnt vmcnt(32)
	v_fmac_f32_e32 v126, v118, v174
	v_add_f32_e32 v93, v93, v94
	v_mul_f32_e32 v94, v110, v165
	v_add_f32_e32 v125, v125, v126
	s_waitcnt vmcnt(31)
	v_mul_f32_e32 v126, v119, v175
	v_fma_f32 v94, v109, v166, -v94
	s_waitcnt vmcnt(30)
	v_fmac_f32_e32 v126, v120, v176
	v_add_f32_e32 v93, v93, v94
	v_mul_f32_e32 v94, v112, v167
	v_add_f32_e32 v125, v125, v126
	s_waitcnt vmcnt(29) lgkmcnt(0)
	v_mul_f32_e32 v126, v121, v177
	v_fma_f32 v94, v111, v168, -v94
	s_waitcnt vmcnt(28)
	v_fmac_f32_e32 v126, v122, v178
	v_add_f32_e32 v93, v93, v94
	v_mul_f32_e32 v94, v114, v169
	v_add_f32_e32 v129, v125, v126
	ds_read2_b64 v[125:128], v92 offset0:79 offset1:80
	v_fma_f32 v94, v113, v170, -v94
	v_add_f32_e32 v93, v93, v94
	v_mul_f32_e32 v94, v116, v171
	s_waitcnt vmcnt(25)
	v_mul_f32_e32 v130, v123, v181
	v_fma_f32 v94, v115, v172, -v94
	s_waitcnt vmcnt(24)
	v_fmac_f32_e32 v130, v124, v182
	v_add_f32_e32 v93, v93, v94
	v_mul_f32_e32 v94, v118, v173
	v_add_f32_e32 v133, v129, v130
	ds_read2_b64 v[129:132], v92 offset0:81 offset1:82
	v_fma_f32 v94, v117, v174, -v94
	s_waitcnt vmcnt(23) lgkmcnt(1)
	v_mul_f32_e32 v134, v125, v183
	v_add_f32_e32 v93, v93, v94
	v_mul_f32_e32 v94, v120, v175
	s_waitcnt vmcnt(22)
	v_fmac_f32_e32 v134, v126, v184
	v_fma_f32 v94, v119, v176, -v94
	v_add_f32_e32 v133, v133, v134
	s_waitcnt vmcnt(20)
	v_mul_f32_e32 v134, v127, v186
	v_add_f32_e32 v93, v93, v94
	v_mul_f32_e32 v94, v122, v177
	v_fmac_f32_e32 v134, v128, v185
	v_fma_f32 v94, v121, v178, -v94
	v_add_f32_e32 v133, v133, v134
	s_waitcnt vmcnt(18) lgkmcnt(0)
	v_mul_f32_e32 v134, v129, v188
	v_add_f32_e32 v93, v93, v94
	v_mul_f32_e32 v94, v124, v181
	v_fmac_f32_e32 v134, v130, v187
	v_fma_f32 v94, v123, v182, -v94
	v_add_f32_e32 v137, v133, v134
	ds_read2_b64 v[133:136], v92 offset0:83 offset1:84
	v_add_f32_e32 v93, v93, v94
	v_mul_f32_e32 v94, v126, v183
	v_fma_f32 v94, v125, v184, -v94
	s_waitcnt vmcnt(17)
	v_mul_f32_e32 v138, v131, v189
	v_add_f32_e32 v93, v93, v94
	v_mul_f32_e32 v94, v128, v186
	s_waitcnt vmcnt(16)
	v_fmac_f32_e32 v138, v132, v190
	v_fma_f32 v94, v127, v185, -v94
	v_add_f32_e32 v141, v137, v138
	ds_read2_b64 v[137:140], v92 offset0:85 offset1:86
	v_add_f32_e32 v93, v93, v94
	v_mul_f32_e32 v94, v130, v188
	s_waitcnt vmcnt(14) lgkmcnt(1)
	v_mul_f32_e32 v142, v133, v192
	v_fma_f32 v94, v129, v187, -v94
	v_fmac_f32_e32 v142, v134, v191
	v_add_f32_e32 v93, v93, v94
	v_mul_f32_e32 v94, v132, v189
	v_add_f32_e32 v141, v141, v142
	s_waitcnt vmcnt(12)
	v_mul_f32_e32 v142, v135, v194
	v_fma_f32 v94, v131, v190, -v94
	v_fmac_f32_e32 v142, v136, v193
	v_add_f32_e32 v93, v93, v94
	v_mul_f32_e32 v94, v134, v192
	v_add_f32_e32 v141, v141, v142
	s_waitcnt vmcnt(10) lgkmcnt(0)
	v_mul_f32_e32 v142, v137, v196
	v_fma_f32 v94, v133, v191, -v94
	v_fmac_f32_e32 v142, v138, v195
	v_add_f32_e32 v93, v93, v94
	v_mul_f32_e32 v94, v136, v194
	v_add_f32_e32 v145, v141, v142
	ds_read2_b64 v[141:144], v92 offset0:87 offset1:88
	v_fma_f32 v94, v135, v193, -v94
	v_add_f32_e32 v93, v93, v94
	v_mul_f32_e32 v94, v138, v196
	s_waitcnt vmcnt(8)
	v_mul_f32_e32 v146, v139, v198
	v_fma_f32 v94, v137, v195, -v94
	v_fmac_f32_e32 v146, v140, v197
	v_add_f32_e32 v93, v93, v94
	v_mul_f32_e32 v94, v140, v198
	v_add_f32_e32 v207, v145, v146
	ds_read2_b64 v[145:148], v92 offset0:89 offset1:90
	v_fma_f32 v94, v139, v197, -v94
	v_add_f32_e32 v93, v93, v94
	s_waitcnt vmcnt(6) lgkmcnt(1)
	v_mul_f32_e32 v94, v142, v200
	v_mul_f32_e32 v92, v141, v200
	v_fma_f32 v94, v141, v199, -v94
	v_fmac_f32_e32 v92, v142, v199
	v_add_f32_e32 v93, v93, v94
	s_waitcnt vmcnt(4)
	v_mul_f32_e32 v94, v144, v202
	v_add_f32_e32 v92, v207, v92
	v_mul_f32_e32 v207, v143, v202
	v_fma_f32 v94, v143, v201, -v94
	v_fmac_f32_e32 v207, v144, v201
	v_add_f32_e32 v93, v93, v94
	s_waitcnt vmcnt(2) lgkmcnt(0)
	v_mul_f32_e32 v94, v146, v204
	v_add_f32_e32 v92, v92, v207
	v_mul_f32_e32 v207, v145, v204
	v_fma_f32 v94, v145, v203, -v94
	v_fmac_f32_e32 v207, v146, v203
	v_add_f32_e32 v93, v93, v94
	s_waitcnt vmcnt(0)
	v_mul_f32_e32 v94, v148, v206
	v_add_f32_e32 v92, v92, v207
	v_mul_f32_e32 v207, v147, v206
	v_fma_f32 v94, v147, v205, -v94
	v_fmac_f32_e32 v207, v148, v205
	v_add_f32_e32 v93, v93, v94
	v_add_f32_e32 v92, v92, v207
	v_sub_f32_e32 v93, v179, v93
	v_sub_f32_e32 v92, v180, v92
	buffer_store_dword v93, off, s[0:3], 0 offset:128
	buffer_store_dword v92, off, s[0:3], 0 offset:132
	s_and_saveexec_b64 s[4:5], vcc
	s_cbranch_execz .LBB108_253
; %bb.252:
	buffer_load_dword v92, off, s[0:3], 0 offset:120
	buffer_load_dword v93, off, s[0:3], 0 offset:124
	v_mov_b32_e32 v94, 0
	buffer_store_dword v94, off, s[0:3], 0 offset:120
	buffer_store_dword v94, off, s[0:3], 0 offset:124
	s_waitcnt vmcnt(2)
	ds_write_b64 v91, v[92:93]
.LBB108_253:
	s_or_b64 exec, exec, s[4:5]
	s_waitcnt lgkmcnt(0)
	; wave barrier
	buffer_load_dword v151, off, s[0:3], 0 offset:132
	buffer_load_dword v152, off, s[0:3], 0 offset:140
	;; [unrolled: 1-line block ×60, first 2 shown]
	v_mov_b32_e32 v92, 0
	ds_read_b128 v[93:96], v92 offset:496
	ds_read_b128 v[97:100], v92 offset:512
	;; [unrolled: 1-line block ×5, first 2 shown]
	v_cmp_lt_u32_e32 vcc, 14, v0
	s_waitcnt vmcnt(59) lgkmcnt(4)
	v_mul_f32_e32 v113, v93, v151
	s_waitcnt vmcnt(58)
	v_mul_f32_e32 v114, v95, v152
	s_waitcnt vmcnt(57) lgkmcnt(3)
	v_mul_f32_e32 v115, v97, v153
	s_waitcnt vmcnt(56)
	v_mul_f32_e32 v116, v99, v154
	;; [unrolled: 4-line block ×3, first 2 shown]
	s_waitcnt vmcnt(53) lgkmcnt(1)
	v_mul_f32_e32 v119, v105, v157
	s_waitcnt vmcnt(52)
	v_fmac_f32_e32 v113, v94, v158
	s_waitcnt vmcnt(51)
	v_fmac_f32_e32 v114, v96, v159
	v_add_f32_e32 v113, 0, v113
	s_waitcnt vmcnt(50)
	v_fmac_f32_e32 v115, v98, v160
	v_add_f32_e32 v113, v113, v114
	;; [unrolled: 3-line block ×6, first 2 shown]
	s_waitcnt vmcnt(45)
	v_mul_f32_e32 v114, v107, v165
	v_add_f32_e32 v113, v113, v119
	s_waitcnt vmcnt(44)
	v_fmac_f32_e32 v114, v108, v166
	v_mul_f32_e32 v94, v94, v151
	v_add_f32_e32 v117, v113, v114
	ds_read_b128 v[113:116], v92 offset:576
	v_fma_f32 v93, v93, v158, -v94
	v_mul_f32_e32 v94, v96, v152
	s_waitcnt vmcnt(43) lgkmcnt(1)
	v_mul_f32_e32 v118, v109, v167
	v_add_f32_e32 v93, 0, v93
	v_fma_f32 v94, v95, v159, -v94
	s_waitcnt vmcnt(42)
	v_fmac_f32_e32 v118, v110, v168
	v_add_f32_e32 v93, v93, v94
	v_mul_f32_e32 v94, v98, v153
	v_add_f32_e32 v117, v117, v118
	s_waitcnt vmcnt(41)
	v_mul_f32_e32 v118, v111, v169
	v_fma_f32 v94, v97, v160, -v94
	s_waitcnt vmcnt(40)
	v_fmac_f32_e32 v118, v112, v170
	v_add_f32_e32 v93, v93, v94
	v_mul_f32_e32 v94, v100, v154
	v_add_f32_e32 v117, v117, v118
	s_waitcnt vmcnt(39) lgkmcnt(0)
	v_mul_f32_e32 v118, v113, v171
	v_fma_f32 v94, v99, v161, -v94
	s_waitcnt vmcnt(38)
	v_fmac_f32_e32 v118, v114, v172
	v_add_f32_e32 v93, v93, v94
	v_mul_f32_e32 v94, v102, v155
	v_add_f32_e32 v121, v117, v118
	ds_read_b128 v[117:120], v92 offset:592
	v_fma_f32 v94, v101, v162, -v94
	v_add_f32_e32 v93, v93, v94
	v_mul_f32_e32 v94, v104, v156
	s_waitcnt vmcnt(37)
	v_mul_f32_e32 v122, v115, v173
	v_fma_f32 v94, v103, v163, -v94
	s_waitcnt vmcnt(36)
	v_fmac_f32_e32 v122, v116, v174
	v_add_f32_e32 v93, v93, v94
	v_mul_f32_e32 v94, v106, v157
	v_add_f32_e32 v125, v121, v122
	ds_read_b128 v[121:124], v92 offset:608
	v_fma_f32 v94, v105, v164, -v94
	s_waitcnt vmcnt(34) lgkmcnt(1)
	v_mul_f32_e32 v126, v117, v176
	v_add_f32_e32 v93, v93, v94
	v_mul_f32_e32 v94, v108, v165
	v_fmac_f32_e32 v126, v118, v175
	v_fma_f32 v94, v107, v166, -v94
	v_add_f32_e32 v125, v125, v126
	s_waitcnt vmcnt(31)
	v_mul_f32_e32 v126, v119, v179
	v_add_f32_e32 v93, v93, v94
	v_mul_f32_e32 v94, v110, v167
	s_waitcnt vmcnt(30)
	v_fmac_f32_e32 v126, v120, v180
	v_fma_f32 v94, v109, v168, -v94
	v_add_f32_e32 v125, v125, v126
	s_waitcnt vmcnt(28) lgkmcnt(0)
	v_mul_f32_e32 v126, v121, v182
	v_add_f32_e32 v93, v93, v94
	v_mul_f32_e32 v94, v112, v169
	v_fmac_f32_e32 v126, v122, v181
	v_fma_f32 v94, v111, v170, -v94
	v_add_f32_e32 v129, v125, v126
	ds_read_b128 v[125:128], v92 offset:624
	v_add_f32_e32 v93, v93, v94
	v_mul_f32_e32 v94, v114, v171
	v_fma_f32 v94, v113, v172, -v94
	s_waitcnt vmcnt(26)
	v_mul_f32_e32 v130, v123, v184
	v_add_f32_e32 v93, v93, v94
	v_mul_f32_e32 v94, v116, v173
	v_fmac_f32_e32 v130, v124, v183
	v_fma_f32 v94, v115, v174, -v94
	v_add_f32_e32 v133, v129, v130
	ds_read_b128 v[129:132], v92 offset:640
	v_add_f32_e32 v93, v93, v94
	v_mul_f32_e32 v94, v118, v176
	s_waitcnt vmcnt(24) lgkmcnt(1)
	v_mul_f32_e32 v134, v125, v186
	v_fma_f32 v94, v117, v175, -v94
	v_fmac_f32_e32 v134, v126, v185
	v_add_f32_e32 v93, v93, v94
	v_mul_f32_e32 v94, v120, v179
	v_add_f32_e32 v133, v133, v134
	s_waitcnt vmcnt(22)
	v_mul_f32_e32 v134, v127, v188
	v_fma_f32 v94, v119, v180, -v94
	v_fmac_f32_e32 v134, v128, v187
	v_add_f32_e32 v93, v93, v94
	v_mul_f32_e32 v94, v122, v182
	v_add_f32_e32 v133, v133, v134
	s_waitcnt vmcnt(20) lgkmcnt(0)
	v_mul_f32_e32 v134, v129, v190
	v_fma_f32 v94, v121, v181, -v94
	v_fmac_f32_e32 v134, v130, v189
	v_add_f32_e32 v93, v93, v94
	v_mul_f32_e32 v94, v124, v184
	v_add_f32_e32 v137, v133, v134
	ds_read_b128 v[133:136], v92 offset:656
	v_fma_f32 v94, v123, v183, -v94
	v_add_f32_e32 v93, v93, v94
	v_mul_f32_e32 v94, v126, v186
	s_waitcnt vmcnt(18)
	v_mul_f32_e32 v138, v131, v192
	v_fma_f32 v94, v125, v185, -v94
	v_fmac_f32_e32 v138, v132, v191
	v_add_f32_e32 v93, v93, v94
	v_mul_f32_e32 v94, v128, v188
	v_add_f32_e32 v141, v137, v138
	ds_read_b128 v[137:140], v92 offset:672
	v_fma_f32 v94, v127, v187, -v94
	s_waitcnt vmcnt(16) lgkmcnt(1)
	v_mul_f32_e32 v142, v133, v194
	v_add_f32_e32 v93, v93, v94
	v_mul_f32_e32 v94, v130, v190
	v_fmac_f32_e32 v142, v134, v193
	v_fma_f32 v94, v129, v189, -v94
	v_add_f32_e32 v141, v141, v142
	s_waitcnt vmcnt(14)
	v_mul_f32_e32 v142, v135, v196
	v_add_f32_e32 v93, v93, v94
	v_mul_f32_e32 v94, v132, v192
	v_fmac_f32_e32 v142, v136, v195
	v_fma_f32 v94, v131, v191, -v94
	v_add_f32_e32 v141, v141, v142
	s_waitcnt vmcnt(12) lgkmcnt(0)
	v_mul_f32_e32 v142, v137, v198
	v_add_f32_e32 v93, v93, v94
	v_mul_f32_e32 v94, v134, v194
	v_fmac_f32_e32 v142, v138, v197
	v_fma_f32 v94, v133, v193, -v94
	v_add_f32_e32 v145, v141, v142
	ds_read_b128 v[141:144], v92 offset:688
	v_add_f32_e32 v93, v93, v94
	v_mul_f32_e32 v94, v136, v196
	v_fma_f32 v94, v135, v195, -v94
	v_add_f32_e32 v93, v93, v94
	v_mul_f32_e32 v94, v138, v198
	s_waitcnt vmcnt(10)
	v_mul_f32_e32 v146, v139, v200
	v_fma_f32 v94, v137, v197, -v94
	v_fmac_f32_e32 v146, v140, v199
	v_add_f32_e32 v93, v93, v94
	v_mul_f32_e32 v94, v140, v200
	v_add_f32_e32 v149, v145, v146
	ds_read_b128 v[145:148], v92 offset:704
	s_waitcnt vmcnt(8) lgkmcnt(1)
	v_mul_f32_e32 v150, v141, v202
	v_fma_f32 v94, v139, v199, -v94
	v_fmac_f32_e32 v150, v142, v201
	v_add_f32_e32 v93, v93, v94
	v_mul_f32_e32 v94, v142, v202
	v_add_f32_e32 v149, v149, v150
	s_waitcnt vmcnt(6)
	v_mul_f32_e32 v150, v143, v204
	v_fma_f32 v94, v141, v201, -v94
	v_fmac_f32_e32 v150, v144, v203
	v_add_f32_e32 v93, v93, v94
	v_mul_f32_e32 v94, v144, v204
	v_add_f32_e32 v211, v149, v150
	ds_read_b64 v[149:150], v92 offset:720
	v_fma_f32 v94, v143, v203, -v94
	v_add_f32_e32 v93, v93, v94
	s_waitcnt vmcnt(4) lgkmcnt(1)
	v_mul_f32_e32 v94, v146, v206
	v_mul_f32_e32 v212, v145, v206
	v_fma_f32 v94, v145, v205, -v94
	v_fmac_f32_e32 v212, v146, v205
	v_add_f32_e32 v93, v93, v94
	s_waitcnt vmcnt(2)
	v_mul_f32_e32 v94, v148, v208
	v_add_f32_e32 v211, v211, v212
	v_mul_f32_e32 v212, v147, v208
	v_fma_f32 v94, v147, v207, -v94
	v_fmac_f32_e32 v212, v148, v207
	v_add_f32_e32 v93, v93, v94
	s_waitcnt vmcnt(0) lgkmcnt(0)
	v_mul_f32_e32 v94, v150, v210
	v_add_f32_e32 v211, v211, v212
	v_mul_f32_e32 v212, v149, v210
	v_fma_f32 v94, v149, v209, -v94
	v_fmac_f32_e32 v212, v150, v209
	v_add_f32_e32 v93, v93, v94
	v_add_f32_e32 v211, v211, v212
	v_sub_f32_e32 v93, v177, v93
	v_sub_f32_e32 v94, v178, v211
	buffer_store_dword v93, off, s[0:3], 0 offset:120
	buffer_store_dword v94, off, s[0:3], 0 offset:124
	s_and_saveexec_b64 s[4:5], vcc
	s_cbranch_execz .LBB108_255
; %bb.254:
	buffer_load_dword v93, off, s[0:3], 0 offset:112
	buffer_load_dword v94, off, s[0:3], 0 offset:116
	s_waitcnt vmcnt(0)
	ds_write_b64 v91, v[93:94]
	buffer_store_dword v92, off, s[0:3], 0 offset:112
	buffer_store_dword v92, off, s[0:3], 0 offset:116
.LBB108_255:
	s_or_b64 exec, exec, s[4:5]
	s_waitcnt lgkmcnt(0)
	; wave barrier
	buffer_load_dword v153, off, s[0:3], 0 offset:124
	buffer_load_dword v154, off, s[0:3], 0 offset:132
	;; [unrolled: 1-line block ×32, first 2 shown]
	ds_read2_b64 v[93:96], v92 offset0:61 offset1:62
	ds_read2_b64 v[97:100], v92 offset0:63 offset1:64
	;; [unrolled: 1-line block ×4, first 2 shown]
	buffer_load_dword v185, off, s[0:3], 0 offset:244
	buffer_load_dword v186, off, s[0:3], 0 offset:240
	;; [unrolled: 1-line block ×30, first 2 shown]
	v_cmp_lt_u32_e32 vcc, 13, v0
	s_waitcnt vmcnt(61) lgkmcnt(3)
	v_mul_f32_e32 v109, v93, v153
	s_waitcnt vmcnt(60)
	v_mul_f32_e32 v110, v95, v154
	s_waitcnt vmcnt(59) lgkmcnt(2)
	v_mul_f32_e32 v111, v97, v155
	s_waitcnt vmcnt(58)
	v_mul_f32_e32 v112, v99, v156
	;; [unrolled: 4-line block ×3, first 2 shown]
	s_waitcnt vmcnt(55) lgkmcnt(0)
	v_mul_f32_e32 v115, v105, v159
	s_waitcnt vmcnt(54)
	v_fmac_f32_e32 v109, v94, v160
	s_waitcnt vmcnt(53)
	v_fmac_f32_e32 v110, v96, v161
	v_add_f32_e32 v109, 0, v109
	s_waitcnt vmcnt(52)
	v_fmac_f32_e32 v111, v98, v162
	v_add_f32_e32 v109, v109, v110
	;; [unrolled: 3-line block ×6, first 2 shown]
	v_add_f32_e32 v113, v109, v115
	ds_read2_b64 v[109:112], v92 offset0:69 offset1:70
	s_waitcnt vmcnt(47)
	v_mul_f32_e32 v114, v107, v167
	s_waitcnt vmcnt(46)
	v_fmac_f32_e32 v114, v108, v168
	v_mul_f32_e32 v94, v94, v153
	v_add_f32_e32 v117, v113, v114
	ds_read2_b64 v[113:116], v92 offset0:71 offset1:72
	v_fma_f32 v93, v93, v160, -v94
	v_mul_f32_e32 v94, v96, v154
	s_waitcnt vmcnt(45) lgkmcnt(1)
	v_mul_f32_e32 v118, v109, v169
	v_add_f32_e32 v93, 0, v93
	v_fma_f32 v94, v95, v161, -v94
	s_waitcnt vmcnt(44)
	v_fmac_f32_e32 v118, v110, v170
	v_add_f32_e32 v93, v93, v94
	v_mul_f32_e32 v94, v98, v155
	v_add_f32_e32 v117, v117, v118
	s_waitcnt vmcnt(43)
	v_mul_f32_e32 v118, v111, v171
	v_fma_f32 v94, v97, v162, -v94
	s_waitcnt vmcnt(42)
	v_fmac_f32_e32 v118, v112, v172
	v_add_f32_e32 v93, v93, v94
	v_mul_f32_e32 v94, v100, v156
	v_add_f32_e32 v117, v117, v118
	s_waitcnt vmcnt(41) lgkmcnt(0)
	v_mul_f32_e32 v118, v113, v173
	v_fma_f32 v94, v99, v163, -v94
	s_waitcnt vmcnt(40)
	v_fmac_f32_e32 v118, v114, v174
	v_add_f32_e32 v93, v93, v94
	v_mul_f32_e32 v94, v102, v157
	v_add_f32_e32 v121, v117, v118
	ds_read2_b64 v[117:120], v92 offset0:73 offset1:74
	v_fma_f32 v94, v101, v164, -v94
	v_add_f32_e32 v93, v93, v94
	v_mul_f32_e32 v94, v104, v158
	s_waitcnt vmcnt(39)
	v_mul_f32_e32 v122, v115, v175
	v_fma_f32 v94, v103, v165, -v94
	s_waitcnt vmcnt(38)
	v_fmac_f32_e32 v122, v116, v176
	v_add_f32_e32 v93, v93, v94
	v_mul_f32_e32 v94, v106, v159
	v_add_f32_e32 v125, v121, v122
	ds_read2_b64 v[121:124], v92 offset0:75 offset1:76
	v_fma_f32 v94, v105, v166, -v94
	s_waitcnt vmcnt(35) lgkmcnt(1)
	v_mul_f32_e32 v126, v117, v179
	v_add_f32_e32 v93, v93, v94
	v_mul_f32_e32 v94, v108, v167
	s_waitcnt vmcnt(34)
	v_fmac_f32_e32 v126, v118, v180
	v_fma_f32 v94, v107, v168, -v94
	v_add_f32_e32 v125, v125, v126
	s_waitcnt vmcnt(32)
	v_mul_f32_e32 v126, v119, v182
	v_add_f32_e32 v93, v93, v94
	v_mul_f32_e32 v94, v110, v169
	v_fmac_f32_e32 v126, v120, v181
	v_fma_f32 v94, v109, v170, -v94
	v_add_f32_e32 v125, v125, v126
	s_waitcnt vmcnt(30) lgkmcnt(0)
	v_mul_f32_e32 v126, v121, v184
	v_add_f32_e32 v93, v93, v94
	v_mul_f32_e32 v94, v112, v171
	v_fmac_f32_e32 v126, v122, v183
	v_fma_f32 v94, v111, v172, -v94
	v_add_f32_e32 v129, v125, v126
	ds_read2_b64 v[125:128], v92 offset0:77 offset1:78
	v_add_f32_e32 v93, v93, v94
	v_mul_f32_e32 v94, v114, v173
	v_fma_f32 v94, v113, v174, -v94
	s_waitcnt vmcnt(29)
	v_mul_f32_e32 v130, v123, v185
	v_add_f32_e32 v93, v93, v94
	v_mul_f32_e32 v94, v116, v175
	s_waitcnt vmcnt(28)
	v_fmac_f32_e32 v130, v124, v186
	v_fma_f32 v94, v115, v176, -v94
	v_add_f32_e32 v133, v129, v130
	ds_read2_b64 v[129:132], v92 offset0:79 offset1:80
	v_add_f32_e32 v93, v93, v94
	v_mul_f32_e32 v94, v118, v179
	s_waitcnt vmcnt(26) lgkmcnt(1)
	v_mul_f32_e32 v134, v125, v188
	v_fma_f32 v94, v117, v180, -v94
	v_fmac_f32_e32 v134, v126, v187
	v_add_f32_e32 v93, v93, v94
	v_mul_f32_e32 v94, v120, v182
	v_add_f32_e32 v133, v133, v134
	s_waitcnt vmcnt(24)
	v_mul_f32_e32 v134, v127, v190
	v_fma_f32 v94, v119, v181, -v94
	v_fmac_f32_e32 v134, v128, v189
	v_add_f32_e32 v93, v93, v94
	v_mul_f32_e32 v94, v122, v184
	v_add_f32_e32 v133, v133, v134
	s_waitcnt vmcnt(22) lgkmcnt(0)
	v_mul_f32_e32 v134, v129, v192
	v_fma_f32 v94, v121, v183, -v94
	v_fmac_f32_e32 v134, v130, v191
	v_add_f32_e32 v93, v93, v94
	v_mul_f32_e32 v94, v124, v185
	v_add_f32_e32 v137, v133, v134
	ds_read2_b64 v[133:136], v92 offset0:81 offset1:82
	v_fma_f32 v94, v123, v186, -v94
	v_add_f32_e32 v93, v93, v94
	v_mul_f32_e32 v94, v126, v188
	s_waitcnt vmcnt(20)
	v_mul_f32_e32 v138, v131, v194
	v_fma_f32 v94, v125, v187, -v94
	v_fmac_f32_e32 v138, v132, v193
	v_add_f32_e32 v93, v93, v94
	v_mul_f32_e32 v94, v128, v190
	v_add_f32_e32 v141, v137, v138
	ds_read2_b64 v[137:140], v92 offset0:83 offset1:84
	v_fma_f32 v94, v127, v189, -v94
	s_waitcnt vmcnt(18) lgkmcnt(1)
	v_mul_f32_e32 v142, v133, v196
	v_add_f32_e32 v93, v93, v94
	v_mul_f32_e32 v94, v130, v192
	v_fmac_f32_e32 v142, v134, v195
	v_fma_f32 v94, v129, v191, -v94
	v_add_f32_e32 v141, v141, v142
	s_waitcnt vmcnt(16)
	v_mul_f32_e32 v142, v135, v198
	v_add_f32_e32 v93, v93, v94
	v_mul_f32_e32 v94, v132, v194
	v_fmac_f32_e32 v142, v136, v197
	v_fma_f32 v94, v131, v193, -v94
	v_add_f32_e32 v141, v141, v142
	s_waitcnt vmcnt(14) lgkmcnt(0)
	v_mul_f32_e32 v142, v137, v200
	v_add_f32_e32 v93, v93, v94
	v_mul_f32_e32 v94, v134, v196
	v_fmac_f32_e32 v142, v138, v199
	v_fma_f32 v94, v133, v195, -v94
	v_add_f32_e32 v145, v141, v142
	ds_read2_b64 v[141:144], v92 offset0:85 offset1:86
	v_add_f32_e32 v93, v93, v94
	v_mul_f32_e32 v94, v136, v198
	v_fma_f32 v94, v135, v197, -v94
	v_add_f32_e32 v93, v93, v94
	v_mul_f32_e32 v94, v138, v200
	s_waitcnt vmcnt(12)
	v_mul_f32_e32 v146, v139, v202
	v_fma_f32 v94, v137, v199, -v94
	v_fmac_f32_e32 v146, v140, v201
	v_add_f32_e32 v93, v93, v94
	v_mul_f32_e32 v94, v140, v202
	v_add_f32_e32 v149, v145, v146
	ds_read2_b64 v[145:148], v92 offset0:87 offset1:88
	s_waitcnt vmcnt(10) lgkmcnt(1)
	v_mul_f32_e32 v150, v141, v204
	v_fma_f32 v94, v139, v201, -v94
	v_fmac_f32_e32 v150, v142, v203
	v_add_f32_e32 v93, v93, v94
	v_mul_f32_e32 v94, v142, v204
	v_add_f32_e32 v149, v149, v150
	s_waitcnt vmcnt(8)
	v_mul_f32_e32 v150, v143, v206
	v_fma_f32 v94, v141, v203, -v94
	v_fmac_f32_e32 v150, v144, v205
	v_add_f32_e32 v93, v93, v94
	v_mul_f32_e32 v94, v144, v206
	v_add_f32_e32 v215, v149, v150
	ds_read2_b64 v[149:152], v92 offset0:89 offset1:90
	v_fma_f32 v94, v143, v205, -v94
	v_add_f32_e32 v93, v93, v94
	s_waitcnt vmcnt(6) lgkmcnt(1)
	v_mul_f32_e32 v94, v146, v208
	v_mul_f32_e32 v216, v145, v208
	v_fma_f32 v94, v145, v207, -v94
	v_fmac_f32_e32 v216, v146, v207
	v_add_f32_e32 v93, v93, v94
	s_waitcnt vmcnt(4)
	v_mul_f32_e32 v94, v148, v210
	v_add_f32_e32 v92, v215, v216
	v_mul_f32_e32 v215, v147, v210
	v_fma_f32 v94, v147, v209, -v94
	v_fmac_f32_e32 v215, v148, v209
	v_add_f32_e32 v93, v93, v94
	s_waitcnt vmcnt(2) lgkmcnt(0)
	v_mul_f32_e32 v94, v150, v212
	v_add_f32_e32 v92, v92, v215
	v_mul_f32_e32 v215, v149, v212
	v_fma_f32 v94, v149, v211, -v94
	v_fmac_f32_e32 v215, v150, v211
	v_add_f32_e32 v93, v93, v94
	s_waitcnt vmcnt(0)
	v_mul_f32_e32 v94, v152, v214
	v_add_f32_e32 v92, v92, v215
	v_mul_f32_e32 v215, v151, v214
	v_fma_f32 v94, v151, v213, -v94
	v_fmac_f32_e32 v215, v152, v213
	v_add_f32_e32 v93, v93, v94
	v_add_f32_e32 v92, v92, v215
	v_sub_f32_e32 v93, v177, v93
	v_sub_f32_e32 v92, v178, v92
	buffer_store_dword v93, off, s[0:3], 0 offset:112
	buffer_store_dword v92, off, s[0:3], 0 offset:116
	s_and_saveexec_b64 s[4:5], vcc
	s_cbranch_execz .LBB108_257
; %bb.256:
	buffer_load_dword v92, off, s[0:3], 0 offset:104
	buffer_load_dword v93, off, s[0:3], 0 offset:108
	v_mov_b32_e32 v94, 0
	buffer_store_dword v94, off, s[0:3], 0 offset:104
	buffer_store_dword v94, off, s[0:3], 0 offset:108
	s_waitcnt vmcnt(2)
	ds_write_b64 v91, v[92:93]
.LBB108_257:
	s_or_b64 exec, exec, s[4:5]
	s_waitcnt lgkmcnt(0)
	; wave barrier
	buffer_load_dword v155, off, s[0:3], 0 offset:116
	buffer_load_dword v156, off, s[0:3], 0 offset:124
	;; [unrolled: 1-line block ×56, first 2 shown]
	v_mov_b32_e32 v92, 0
	ds_read_b128 v[93:96], v92 offset:480
	buffer_load_dword v211, off, s[0:3], 0 offset:328
	buffer_load_dword v212, off, s[0:3], 0 offset:332
	;; [unrolled: 1-line block ×4, first 2 shown]
	ds_read_b128 v[97:100], v92 offset:496
	ds_read_b128 v[101:104], v92 offset:512
	;; [unrolled: 1-line block ×3, first 2 shown]
	v_cmp_lt_u32_e32 vcc, 12, v0
	s_waitcnt vmcnt(59) lgkmcnt(3)
	v_mul_f32_e32 v109, v93, v155
	s_waitcnt vmcnt(58)
	v_mul_f32_e32 v110, v95, v156
	s_waitcnt vmcnt(57) lgkmcnt(2)
	v_mul_f32_e32 v111, v97, v157
	s_waitcnt vmcnt(56)
	v_mul_f32_e32 v112, v99, v158
	;; [unrolled: 4-line block ×4, first 2 shown]
	s_waitcnt vmcnt(51)
	v_fmac_f32_e32 v109, v94, v163
	s_waitcnt vmcnt(50)
	v_fmac_f32_e32 v110, v96, v164
	v_add_f32_e32 v109, 0, v109
	s_waitcnt vmcnt(49)
	v_fmac_f32_e32 v111, v98, v165
	v_add_f32_e32 v109, v109, v110
	;; [unrolled: 3-line block ×6, first 2 shown]
	v_add_f32_e32 v113, v109, v115
	ds_read_b128 v[109:112], v92 offset:544
	buffer_load_dword v215, off, s[0:3], 0 offset:348
	buffer_load_dword v216, off, s[0:3], 0 offset:344
	buffer_load_dword v217, off, s[0:3], 0 offset:352
	buffer_load_dword v218, off, s[0:3], 0 offset:356
	s_waitcnt vmcnt(48)
	v_fmac_f32_e32 v116, v108, v170
	v_add_f32_e32 v117, v113, v116
	ds_read_b128 v[113:116], v92 offset:560
	s_waitcnt vmcnt(47) lgkmcnt(1)
	v_mul_f32_e32 v118, v109, v171
	v_mul_f32_e32 v94, v94, v155
	s_waitcnt vmcnt(46)
	v_fmac_f32_e32 v118, v110, v172
	v_fma_f32 v93, v93, v163, -v94
	v_mul_f32_e32 v94, v96, v156
	v_add_f32_e32 v117, v117, v118
	s_waitcnt vmcnt(45)
	v_mul_f32_e32 v118, v111, v173
	v_add_f32_e32 v93, 0, v93
	v_fma_f32 v94, v95, v164, -v94
	s_waitcnt vmcnt(44)
	v_fmac_f32_e32 v118, v112, v174
	v_add_f32_e32 v93, v93, v94
	v_mul_f32_e32 v94, v98, v157
	v_add_f32_e32 v117, v117, v118
	s_waitcnt vmcnt(42) lgkmcnt(0)
	v_mul_f32_e32 v118, v113, v176
	v_fma_f32 v94, v97, v165, -v94
	v_fmac_f32_e32 v118, v114, v175
	v_add_f32_e32 v93, v93, v94
	v_mul_f32_e32 v94, v100, v158
	v_add_f32_e32 v121, v117, v118
	ds_read_b128 v[117:120], v92 offset:576
	v_fma_f32 v94, v99, v166, -v94
	v_add_f32_e32 v93, v93, v94
	v_mul_f32_e32 v94, v102, v159
	s_waitcnt vmcnt(39)
	v_mul_f32_e32 v122, v115, v179
	v_fma_f32 v94, v101, v167, -v94
	s_waitcnt vmcnt(38)
	v_fmac_f32_e32 v122, v116, v180
	v_add_f32_e32 v93, v93, v94
	v_mul_f32_e32 v94, v104, v160
	v_add_f32_e32 v125, v121, v122
	ds_read_b128 v[121:124], v92 offset:592
	v_fma_f32 v94, v103, v168, -v94
	s_waitcnt vmcnt(36) lgkmcnt(1)
	v_mul_f32_e32 v126, v117, v182
	v_add_f32_e32 v93, v93, v94
	v_mul_f32_e32 v94, v106, v161
	v_fmac_f32_e32 v126, v118, v181
	v_fma_f32 v94, v105, v169, -v94
	v_add_f32_e32 v125, v125, v126
	s_waitcnt vmcnt(34)
	v_mul_f32_e32 v126, v119, v184
	v_add_f32_e32 v93, v93, v94
	v_mul_f32_e32 v94, v108, v162
	v_fmac_f32_e32 v126, v120, v183
	v_fma_f32 v94, v107, v170, -v94
	v_add_f32_e32 v125, v125, v126
	s_waitcnt vmcnt(32) lgkmcnt(0)
	v_mul_f32_e32 v126, v121, v186
	v_add_f32_e32 v93, v93, v94
	v_mul_f32_e32 v94, v110, v171
	v_fmac_f32_e32 v126, v122, v185
	v_fma_f32 v94, v109, v172, -v94
	v_add_f32_e32 v129, v125, v126
	ds_read_b128 v[125:128], v92 offset:608
	v_add_f32_e32 v93, v93, v94
	v_mul_f32_e32 v94, v112, v173
	v_fma_f32 v94, v111, v174, -v94
	s_waitcnt vmcnt(30)
	v_mul_f32_e32 v130, v123, v188
	v_add_f32_e32 v93, v93, v94
	v_mul_f32_e32 v94, v114, v176
	v_fmac_f32_e32 v130, v124, v187
	v_fma_f32 v94, v113, v175, -v94
	v_add_f32_e32 v133, v129, v130
	ds_read_b128 v[129:132], v92 offset:624
	v_add_f32_e32 v93, v93, v94
	v_mul_f32_e32 v94, v116, v179
	s_waitcnt vmcnt(28) lgkmcnt(1)
	v_mul_f32_e32 v134, v125, v190
	v_fma_f32 v94, v115, v180, -v94
	v_fmac_f32_e32 v134, v126, v189
	v_add_f32_e32 v93, v93, v94
	v_mul_f32_e32 v94, v118, v182
	v_add_f32_e32 v133, v133, v134
	s_waitcnt vmcnt(26)
	v_mul_f32_e32 v134, v127, v192
	v_fma_f32 v94, v117, v181, -v94
	v_fmac_f32_e32 v134, v128, v191
	v_add_f32_e32 v93, v93, v94
	v_mul_f32_e32 v94, v120, v184
	v_add_f32_e32 v133, v133, v134
	s_waitcnt vmcnt(24) lgkmcnt(0)
	v_mul_f32_e32 v134, v129, v194
	v_fma_f32 v94, v119, v183, -v94
	v_fmac_f32_e32 v134, v130, v193
	v_add_f32_e32 v93, v93, v94
	v_mul_f32_e32 v94, v122, v186
	v_add_f32_e32 v137, v133, v134
	ds_read_b128 v[133:136], v92 offset:640
	v_fma_f32 v94, v121, v185, -v94
	v_add_f32_e32 v93, v93, v94
	v_mul_f32_e32 v94, v124, v188
	s_waitcnt vmcnt(22)
	v_mul_f32_e32 v138, v131, v196
	v_fma_f32 v94, v123, v187, -v94
	v_fmac_f32_e32 v138, v132, v195
	v_add_f32_e32 v93, v93, v94
	v_mul_f32_e32 v94, v126, v190
	v_add_f32_e32 v141, v137, v138
	ds_read_b128 v[137:140], v92 offset:656
	v_fma_f32 v94, v125, v189, -v94
	s_waitcnt vmcnt(20) lgkmcnt(1)
	v_mul_f32_e32 v142, v133, v198
	v_add_f32_e32 v93, v93, v94
	v_mul_f32_e32 v94, v128, v192
	v_fmac_f32_e32 v142, v134, v197
	v_fma_f32 v94, v127, v191, -v94
	v_add_f32_e32 v141, v141, v142
	s_waitcnt vmcnt(18)
	v_mul_f32_e32 v142, v135, v200
	v_add_f32_e32 v93, v93, v94
	v_mul_f32_e32 v94, v130, v194
	v_fmac_f32_e32 v142, v136, v199
	v_fma_f32 v94, v129, v193, -v94
	v_add_f32_e32 v141, v141, v142
	s_waitcnt vmcnt(16) lgkmcnt(0)
	v_mul_f32_e32 v142, v137, v202
	v_add_f32_e32 v93, v93, v94
	v_mul_f32_e32 v94, v132, v196
	v_fmac_f32_e32 v142, v138, v201
	v_fma_f32 v94, v131, v195, -v94
	v_add_f32_e32 v145, v141, v142
	ds_read_b128 v[141:144], v92 offset:672
	v_add_f32_e32 v93, v93, v94
	v_mul_f32_e32 v94, v134, v198
	v_fma_f32 v94, v133, v197, -v94
	s_waitcnt vmcnt(14)
	v_mul_f32_e32 v146, v139, v204
	v_add_f32_e32 v93, v93, v94
	v_mul_f32_e32 v94, v136, v200
	v_fmac_f32_e32 v146, v140, v203
	v_fma_f32 v94, v135, v199, -v94
	v_add_f32_e32 v149, v145, v146
	ds_read_b128 v[145:148], v92 offset:688
	v_add_f32_e32 v93, v93, v94
	v_mul_f32_e32 v94, v138, v202
	s_waitcnt vmcnt(12) lgkmcnt(1)
	v_mul_f32_e32 v150, v141, v206
	v_fma_f32 v94, v137, v201, -v94
	v_fmac_f32_e32 v150, v142, v205
	v_add_f32_e32 v93, v93, v94
	v_mul_f32_e32 v94, v140, v204
	v_add_f32_e32 v149, v149, v150
	s_waitcnt vmcnt(10)
	v_mul_f32_e32 v150, v143, v208
	v_fma_f32 v94, v139, v203, -v94
	v_fmac_f32_e32 v150, v144, v207
	v_add_f32_e32 v93, v93, v94
	v_mul_f32_e32 v94, v142, v206
	v_add_f32_e32 v149, v149, v150
	s_waitcnt vmcnt(8) lgkmcnt(0)
	v_mul_f32_e32 v150, v145, v210
	v_fma_f32 v94, v141, v205, -v94
	v_fmac_f32_e32 v150, v146, v209
	v_add_f32_e32 v93, v93, v94
	v_mul_f32_e32 v94, v144, v208
	v_add_f32_e32 v153, v149, v150
	ds_read_b128 v[149:152], v92 offset:704
	v_fma_f32 v94, v143, v207, -v94
	v_add_f32_e32 v93, v93, v94
	v_mul_f32_e32 v94, v146, v210
	s_waitcnt vmcnt(6)
	v_mul_f32_e32 v154, v147, v212
	v_fma_f32 v94, v145, v209, -v94
	v_fmac_f32_e32 v154, v148, v211
	v_add_f32_e32 v93, v93, v94
	v_mul_f32_e32 v94, v148, v212
	v_add_f32_e32 v219, v153, v154
	ds_read_b64 v[153:154], v92 offset:720
	v_fma_f32 v94, v147, v211, -v94
	v_add_f32_e32 v93, v93, v94
	s_waitcnt vmcnt(4) lgkmcnt(1)
	v_mul_f32_e32 v94, v150, v214
	v_mul_f32_e32 v220, v149, v214
	v_fma_f32 v94, v149, v213, -v94
	v_fmac_f32_e32 v220, v150, v213
	v_add_f32_e32 v93, v93, v94
	s_waitcnt vmcnt(3)
	v_mul_f32_e32 v94, v152, v215
	v_add_f32_e32 v219, v219, v220
	v_mul_f32_e32 v220, v151, v215
	s_waitcnt vmcnt(2)
	v_fma_f32 v94, v151, v216, -v94
	v_fmac_f32_e32 v220, v152, v216
	v_add_f32_e32 v93, v93, v94
	s_waitcnt vmcnt(0) lgkmcnt(0)
	v_mul_f32_e32 v94, v154, v218
	v_add_f32_e32 v219, v219, v220
	v_mul_f32_e32 v220, v153, v218
	v_fma_f32 v94, v153, v217, -v94
	v_fmac_f32_e32 v220, v154, v217
	v_add_f32_e32 v93, v93, v94
	v_add_f32_e32 v219, v219, v220
	v_sub_f32_e32 v93, v177, v93
	v_sub_f32_e32 v94, v178, v219
	buffer_store_dword v93, off, s[0:3], 0 offset:104
	buffer_store_dword v94, off, s[0:3], 0 offset:108
	s_and_saveexec_b64 s[4:5], vcc
	s_cbranch_execz .LBB108_259
; %bb.258:
	buffer_load_dword v93, off, s[0:3], 0 offset:96
	buffer_load_dword v94, off, s[0:3], 0 offset:100
	s_waitcnt vmcnt(0)
	ds_write_b64 v91, v[93:94]
	buffer_store_dword v92, off, s[0:3], 0 offset:96
	buffer_store_dword v92, off, s[0:3], 0 offset:100
.LBB108_259:
	s_or_b64 exec, exec, s[4:5]
	s_waitcnt lgkmcnt(0)
	; wave barrier
	buffer_load_dword v157, off, s[0:3], 0 offset:108
	buffer_load_dword v158, off, s[0:3], 0 offset:116
	;; [unrolled: 1-line block ×26, first 2 shown]
	ds_read2_b64 v[93:96], v92 offset0:59 offset1:60
	ds_read2_b64 v[97:100], v92 offset0:61 offset1:62
	;; [unrolled: 1-line block ×4, first 2 shown]
	buffer_load_dword v183, off, s[0:3], 0 offset:204
	buffer_load_dword v184, off, s[0:3], 0 offset:200
	;; [unrolled: 1-line block ×34, first 2 shown]
	v_cmp_lt_u32_e32 vcc, 11, v0
	s_waitcnt vmcnt(59) lgkmcnt(3)
	v_mul_f32_e32 v109, v93, v157
	s_waitcnt vmcnt(58)
	v_mul_f32_e32 v110, v95, v158
	s_waitcnt vmcnt(57) lgkmcnt(2)
	v_mul_f32_e32 v111, v97, v159
	s_waitcnt vmcnt(56)
	v_mul_f32_e32 v112, v99, v160
	;; [unrolled: 4-line block ×4, first 2 shown]
	s_waitcnt vmcnt(51)
	v_fmac_f32_e32 v109, v94, v165
	s_waitcnt vmcnt(50)
	v_fmac_f32_e32 v110, v96, v166
	v_add_f32_e32 v109, 0, v109
	s_waitcnt vmcnt(49)
	v_fmac_f32_e32 v111, v98, v167
	v_add_f32_e32 v109, v109, v110
	;; [unrolled: 3-line block ×7, first 2 shown]
	v_add_f32_e32 v117, v109, v116
	ds_read2_b64 v[109:112], v92 offset0:67 offset1:68
	buffer_load_dword v217, off, s[0:3], 0 offset:340
	buffer_load_dword v218, off, s[0:3], 0 offset:336
	;; [unrolled: 1-line block ×4, first 2 shown]
	ds_read2_b64 v[113:116], v92 offset0:69 offset1:70
	buffer_load_dword v221, off, s[0:3], 0 offset:352
	buffer_load_dword v222, off, s[0:3], 0 offset:356
	v_mul_f32_e32 v94, v94, v157
	s_waitcnt vmcnt(49) lgkmcnt(1)
	v_mul_f32_e32 v118, v109, v173
	s_waitcnt vmcnt(48)
	v_fmac_f32_e32 v118, v110, v174
	v_fma_f32 v93, v93, v165, -v94
	v_mul_f32_e32 v94, v96, v158
	v_add_f32_e32 v117, v117, v118
	s_waitcnt vmcnt(46)
	v_mul_f32_e32 v118, v111, v176
	v_add_f32_e32 v93, 0, v93
	v_fma_f32 v94, v95, v166, -v94
	v_fmac_f32_e32 v118, v112, v175
	v_add_f32_e32 v93, v93, v94
	v_mul_f32_e32 v94, v98, v159
	v_add_f32_e32 v117, v117, v118
	s_waitcnt vmcnt(43) lgkmcnt(0)
	v_mul_f32_e32 v118, v113, v179
	v_fma_f32 v94, v97, v167, -v94
	s_waitcnt vmcnt(42)
	v_fmac_f32_e32 v118, v114, v180
	v_add_f32_e32 v93, v93, v94
	v_mul_f32_e32 v94, v100, v160
	v_add_f32_e32 v121, v117, v118
	ds_read2_b64 v[117:120], v92 offset0:71 offset1:72
	v_fma_f32 v94, v99, v168, -v94
	v_add_f32_e32 v93, v93, v94
	v_mul_f32_e32 v94, v102, v161
	s_waitcnt vmcnt(40)
	v_mul_f32_e32 v122, v115, v182
	v_fma_f32 v94, v101, v169, -v94
	v_fmac_f32_e32 v122, v116, v181
	v_add_f32_e32 v93, v93, v94
	v_mul_f32_e32 v94, v104, v162
	v_add_f32_e32 v125, v121, v122
	ds_read2_b64 v[121:124], v92 offset0:73 offset1:74
	v_fma_f32 v94, v103, v170, -v94
	s_waitcnt vmcnt(39) lgkmcnt(1)
	v_mul_f32_e32 v126, v117, v183
	v_add_f32_e32 v93, v93, v94
	v_mul_f32_e32 v94, v106, v163
	s_waitcnt vmcnt(38)
	v_fmac_f32_e32 v126, v118, v184
	v_fma_f32 v94, v105, v171, -v94
	v_add_f32_e32 v125, v125, v126
	s_waitcnt vmcnt(36)
	v_mul_f32_e32 v126, v119, v186
	v_add_f32_e32 v93, v93, v94
	v_mul_f32_e32 v94, v108, v164
	v_fmac_f32_e32 v126, v120, v185
	v_fma_f32 v94, v107, v172, -v94
	v_add_f32_e32 v125, v125, v126
	s_waitcnt vmcnt(34) lgkmcnt(0)
	v_mul_f32_e32 v126, v121, v188
	v_add_f32_e32 v93, v93, v94
	v_mul_f32_e32 v94, v110, v173
	v_fmac_f32_e32 v126, v122, v187
	v_fma_f32 v94, v109, v174, -v94
	v_add_f32_e32 v129, v125, v126
	ds_read2_b64 v[125:128], v92 offset0:75 offset1:76
	v_add_f32_e32 v93, v93, v94
	v_mul_f32_e32 v94, v112, v176
	v_fma_f32 v94, v111, v175, -v94
	s_waitcnt vmcnt(32)
	v_mul_f32_e32 v130, v123, v190
	v_add_f32_e32 v93, v93, v94
	v_mul_f32_e32 v94, v114, v179
	v_fmac_f32_e32 v130, v124, v189
	v_fma_f32 v94, v113, v180, -v94
	v_add_f32_e32 v133, v129, v130
	ds_read2_b64 v[129:132], v92 offset0:77 offset1:78
	v_add_f32_e32 v93, v93, v94
	v_mul_f32_e32 v94, v116, v182
	s_waitcnt vmcnt(30) lgkmcnt(1)
	v_mul_f32_e32 v134, v125, v192
	v_fma_f32 v94, v115, v181, -v94
	v_fmac_f32_e32 v134, v126, v191
	v_add_f32_e32 v93, v93, v94
	v_mul_f32_e32 v94, v118, v183
	v_add_f32_e32 v133, v133, v134
	s_waitcnt vmcnt(28)
	v_mul_f32_e32 v134, v127, v194
	v_fma_f32 v94, v117, v184, -v94
	v_fmac_f32_e32 v134, v128, v193
	v_add_f32_e32 v93, v93, v94
	v_mul_f32_e32 v94, v120, v186
	v_add_f32_e32 v133, v133, v134
	s_waitcnt vmcnt(26) lgkmcnt(0)
	v_mul_f32_e32 v134, v129, v196
	v_fma_f32 v94, v119, v185, -v94
	v_fmac_f32_e32 v134, v130, v195
	v_add_f32_e32 v93, v93, v94
	v_mul_f32_e32 v94, v122, v188
	v_add_f32_e32 v137, v133, v134
	ds_read2_b64 v[133:136], v92 offset0:79 offset1:80
	v_fma_f32 v94, v121, v187, -v94
	v_add_f32_e32 v93, v93, v94
	v_mul_f32_e32 v94, v124, v190
	s_waitcnt vmcnt(24)
	v_mul_f32_e32 v138, v131, v198
	v_fma_f32 v94, v123, v189, -v94
	v_fmac_f32_e32 v138, v132, v197
	v_add_f32_e32 v93, v93, v94
	v_mul_f32_e32 v94, v126, v192
	v_add_f32_e32 v141, v137, v138
	ds_read2_b64 v[137:140], v92 offset0:81 offset1:82
	v_fma_f32 v94, v125, v191, -v94
	s_waitcnt vmcnt(22) lgkmcnt(1)
	v_mul_f32_e32 v142, v133, v200
	v_add_f32_e32 v93, v93, v94
	v_mul_f32_e32 v94, v128, v194
	v_fmac_f32_e32 v142, v134, v199
	v_fma_f32 v94, v127, v193, -v94
	v_add_f32_e32 v141, v141, v142
	s_waitcnt vmcnt(20)
	v_mul_f32_e32 v142, v135, v202
	v_add_f32_e32 v93, v93, v94
	v_mul_f32_e32 v94, v130, v196
	v_fmac_f32_e32 v142, v136, v201
	v_fma_f32 v94, v129, v195, -v94
	v_add_f32_e32 v141, v141, v142
	s_waitcnt vmcnt(18) lgkmcnt(0)
	v_mul_f32_e32 v142, v137, v204
	v_add_f32_e32 v93, v93, v94
	v_mul_f32_e32 v94, v132, v198
	v_fmac_f32_e32 v142, v138, v203
	v_fma_f32 v94, v131, v197, -v94
	v_add_f32_e32 v145, v141, v142
	ds_read2_b64 v[141:144], v92 offset0:83 offset1:84
	v_add_f32_e32 v93, v93, v94
	v_mul_f32_e32 v94, v134, v200
	v_fma_f32 v94, v133, v199, -v94
	s_waitcnt vmcnt(16)
	v_mul_f32_e32 v146, v139, v206
	v_add_f32_e32 v93, v93, v94
	v_mul_f32_e32 v94, v136, v202
	v_fmac_f32_e32 v146, v140, v205
	v_fma_f32 v94, v135, v201, -v94
	v_add_f32_e32 v149, v145, v146
	ds_read2_b64 v[145:148], v92 offset0:85 offset1:86
	v_add_f32_e32 v93, v93, v94
	v_mul_f32_e32 v94, v138, v204
	s_waitcnt vmcnt(14) lgkmcnt(1)
	v_mul_f32_e32 v150, v141, v208
	v_fma_f32 v94, v137, v203, -v94
	v_fmac_f32_e32 v150, v142, v207
	v_add_f32_e32 v93, v93, v94
	v_mul_f32_e32 v94, v140, v206
	v_add_f32_e32 v149, v149, v150
	s_waitcnt vmcnt(12)
	v_mul_f32_e32 v150, v143, v210
	v_fma_f32 v94, v139, v205, -v94
	v_fmac_f32_e32 v150, v144, v209
	v_add_f32_e32 v93, v93, v94
	v_mul_f32_e32 v94, v142, v208
	v_add_f32_e32 v149, v149, v150
	s_waitcnt vmcnt(10) lgkmcnt(0)
	v_mul_f32_e32 v150, v145, v212
	v_fma_f32 v94, v141, v207, -v94
	v_fmac_f32_e32 v150, v146, v211
	v_add_f32_e32 v93, v93, v94
	v_mul_f32_e32 v94, v144, v210
	v_add_f32_e32 v153, v149, v150
	ds_read2_b64 v[149:152], v92 offset0:87 offset1:88
	v_fma_f32 v94, v143, v209, -v94
	v_add_f32_e32 v93, v93, v94
	v_mul_f32_e32 v94, v146, v212
	s_waitcnt vmcnt(8)
	v_mul_f32_e32 v154, v147, v214
	v_fma_f32 v94, v145, v211, -v94
	v_fmac_f32_e32 v154, v148, v213
	v_add_f32_e32 v93, v93, v94
	v_mul_f32_e32 v94, v148, v214
	v_add_f32_e32 v223, v153, v154
	ds_read2_b64 v[153:156], v92 offset0:89 offset1:90
	v_fma_f32 v94, v147, v213, -v94
	v_add_f32_e32 v93, v93, v94
	s_waitcnt vmcnt(6) lgkmcnt(1)
	v_mul_f32_e32 v94, v150, v216
	v_mul_f32_e32 v92, v149, v216
	v_fma_f32 v94, v149, v215, -v94
	v_fmac_f32_e32 v92, v150, v215
	v_add_f32_e32 v93, v93, v94
	s_waitcnt vmcnt(5)
	v_mul_f32_e32 v94, v152, v217
	v_add_f32_e32 v92, v223, v92
	v_mul_f32_e32 v223, v151, v217
	s_waitcnt vmcnt(4)
	v_fma_f32 v94, v151, v218, -v94
	v_fmac_f32_e32 v223, v152, v218
	v_add_f32_e32 v93, v93, v94
	s_waitcnt vmcnt(2) lgkmcnt(0)
	v_mul_f32_e32 v94, v154, v220
	v_add_f32_e32 v92, v92, v223
	v_mul_f32_e32 v223, v153, v220
	v_fma_f32 v94, v153, v219, -v94
	v_fmac_f32_e32 v223, v154, v219
	v_add_f32_e32 v93, v93, v94
	s_waitcnt vmcnt(0)
	v_mul_f32_e32 v94, v156, v222
	v_add_f32_e32 v92, v92, v223
	v_mul_f32_e32 v223, v155, v222
	v_fma_f32 v94, v155, v221, -v94
	v_fmac_f32_e32 v223, v156, v221
	v_add_f32_e32 v93, v93, v94
	v_add_f32_e32 v92, v92, v223
	v_sub_f32_e32 v93, v177, v93
	v_sub_f32_e32 v92, v178, v92
	buffer_store_dword v93, off, s[0:3], 0 offset:96
	buffer_store_dword v92, off, s[0:3], 0 offset:100
	s_and_saveexec_b64 s[4:5], vcc
	s_cbranch_execz .LBB108_261
; %bb.260:
	buffer_load_dword v92, off, s[0:3], 0 offset:88
	buffer_load_dword v93, off, s[0:3], 0 offset:92
	v_mov_b32_e32 v94, 0
	buffer_store_dword v94, off, s[0:3], 0 offset:88
	buffer_store_dword v94, off, s[0:3], 0 offset:92
	s_waitcnt vmcnt(2)
	ds_write_b64 v91, v[92:93]
.LBB108_261:
	s_or_b64 exec, exec, s[4:5]
	s_waitcnt lgkmcnt(0)
	; wave barrier
	buffer_load_dword v159, off, s[0:3], 0 offset:100
	buffer_load_dword v160, off, s[0:3], 0 offset:108
	;; [unrolled: 1-line block ×58, first 2 shown]
	v_mov_b32_e32 v92, 0
	ds_read_b128 v[93:96], v92 offset:464
	ds_read_b128 v[97:100], v92 offset:480
	;; [unrolled: 1-line block ×5, first 2 shown]
	buffer_load_dword v217, off, s[0:3], 0 offset:320
	buffer_load_dword v218, off, s[0:3], 0 offset:324
	v_cmp_lt_u32_e32 vcc, 10, v0
	s_waitcnt vmcnt(59) lgkmcnt(4)
	v_mul_f32_e32 v113, v93, v159
	s_waitcnt vmcnt(58)
	v_mul_f32_e32 v114, v95, v160
	s_waitcnt vmcnt(57) lgkmcnt(3)
	v_mul_f32_e32 v115, v97, v161
	s_waitcnt vmcnt(56)
	v_mul_f32_e32 v116, v99, v162
	;; [unrolled: 4-line block ×4, first 2 shown]
	s_waitcnt vmcnt(51)
	v_fmac_f32_e32 v113, v94, v167
	s_waitcnt vmcnt(50)
	v_fmac_f32_e32 v114, v96, v168
	v_add_f32_e32 v113, 0, v113
	s_waitcnt vmcnt(49)
	v_fmac_f32_e32 v115, v98, v169
	v_add_f32_e32 v113, v113, v114
	;; [unrolled: 3-line block ×7, first 2 shown]
	v_add_f32_e32 v117, v113, v120
	ds_read_b128 v[113:116], v92 offset:544
	buffer_load_dword v219, off, s[0:3], 0 offset:332
	buffer_load_dword v220, off, s[0:3], 0 offset:328
	;; [unrolled: 1-line block ×8, first 2 shown]
	s_waitcnt vmcnt(51) lgkmcnt(1)
	v_mul_f32_e32 v118, v109, v175
	s_waitcnt vmcnt(50)
	v_fmac_f32_e32 v118, v110, v176
	v_mul_f32_e32 v94, v94, v159
	v_add_f32_e32 v117, v117, v118
	s_waitcnt vmcnt(49)
	v_mul_f32_e32 v118, v111, v177
	v_fma_f32 v93, v93, v167, -v94
	v_mul_f32_e32 v94, v96, v160
	s_waitcnt vmcnt(46)
	v_fmac_f32_e32 v118, v112, v180
	v_add_f32_e32 v93, 0, v93
	v_fma_f32 v94, v95, v168, -v94
	v_add_f32_e32 v117, v117, v118
	s_waitcnt vmcnt(44) lgkmcnt(0)
	v_mul_f32_e32 v118, v113, v182
	v_add_f32_e32 v93, v93, v94
	v_mul_f32_e32 v94, v98, v161
	v_fmac_f32_e32 v118, v114, v181
	v_fma_f32 v94, v97, v169, -v94
	v_add_f32_e32 v121, v117, v118
	ds_read_b128 v[117:120], v92 offset:560
	v_add_f32_e32 v93, v93, v94
	v_mul_f32_e32 v94, v100, v162
	v_fma_f32 v94, v99, v170, -v94
	s_waitcnt vmcnt(42)
	v_mul_f32_e32 v122, v115, v184
	v_add_f32_e32 v93, v93, v94
	v_mul_f32_e32 v94, v102, v163
	v_fmac_f32_e32 v122, v116, v183
	v_fma_f32 v94, v101, v171, -v94
	v_add_f32_e32 v125, v121, v122
	ds_read_b128 v[121:124], v92 offset:576
	v_add_f32_e32 v93, v93, v94
	v_mul_f32_e32 v94, v104, v164
	s_waitcnt vmcnt(40) lgkmcnt(1)
	v_mul_f32_e32 v126, v117, v186
	v_fma_f32 v94, v103, v172, -v94
	v_fmac_f32_e32 v126, v118, v185
	v_add_f32_e32 v93, v93, v94
	v_mul_f32_e32 v94, v106, v165
	v_add_f32_e32 v125, v125, v126
	s_waitcnt vmcnt(38)
	v_mul_f32_e32 v126, v119, v188
	v_fma_f32 v94, v105, v173, -v94
	v_fmac_f32_e32 v126, v120, v187
	v_add_f32_e32 v93, v93, v94
	v_mul_f32_e32 v94, v108, v166
	v_add_f32_e32 v125, v125, v126
	s_waitcnt vmcnt(36) lgkmcnt(0)
	v_mul_f32_e32 v126, v121, v190
	v_fma_f32 v94, v107, v174, -v94
	v_fmac_f32_e32 v126, v122, v189
	v_add_f32_e32 v93, v93, v94
	v_mul_f32_e32 v94, v110, v175
	v_add_f32_e32 v129, v125, v126
	ds_read_b128 v[125:128], v92 offset:592
	v_fma_f32 v94, v109, v176, -v94
	v_add_f32_e32 v93, v93, v94
	v_mul_f32_e32 v94, v112, v177
	s_waitcnt vmcnt(34)
	v_mul_f32_e32 v130, v123, v192
	v_fma_f32 v94, v111, v180, -v94
	v_fmac_f32_e32 v130, v124, v191
	v_add_f32_e32 v93, v93, v94
	v_mul_f32_e32 v94, v114, v182
	v_add_f32_e32 v133, v129, v130
	ds_read_b128 v[129:132], v92 offset:608
	v_fma_f32 v94, v113, v181, -v94
	s_waitcnt vmcnt(32) lgkmcnt(1)
	v_mul_f32_e32 v134, v125, v194
	v_add_f32_e32 v93, v93, v94
	v_mul_f32_e32 v94, v116, v184
	v_fmac_f32_e32 v134, v126, v193
	v_fma_f32 v94, v115, v183, -v94
	v_add_f32_e32 v133, v133, v134
	s_waitcnt vmcnt(30)
	v_mul_f32_e32 v134, v127, v196
	v_add_f32_e32 v93, v93, v94
	v_mul_f32_e32 v94, v118, v186
	v_fmac_f32_e32 v134, v128, v195
	v_fma_f32 v94, v117, v185, -v94
	v_add_f32_e32 v133, v133, v134
	s_waitcnt vmcnt(28) lgkmcnt(0)
	v_mul_f32_e32 v134, v129, v198
	v_add_f32_e32 v93, v93, v94
	v_mul_f32_e32 v94, v120, v188
	v_fmac_f32_e32 v134, v130, v197
	v_fma_f32 v94, v119, v187, -v94
	v_add_f32_e32 v137, v133, v134
	ds_read_b128 v[133:136], v92 offset:624
	v_add_f32_e32 v93, v93, v94
	v_mul_f32_e32 v94, v122, v190
	v_fma_f32 v94, v121, v189, -v94
	s_waitcnt vmcnt(26)
	v_mul_f32_e32 v138, v131, v200
	v_add_f32_e32 v93, v93, v94
	v_mul_f32_e32 v94, v124, v192
	v_fmac_f32_e32 v138, v132, v199
	v_fma_f32 v94, v123, v191, -v94
	v_add_f32_e32 v141, v137, v138
	ds_read_b128 v[137:140], v92 offset:640
	v_add_f32_e32 v93, v93, v94
	v_mul_f32_e32 v94, v126, v194
	s_waitcnt vmcnt(24) lgkmcnt(1)
	v_mul_f32_e32 v142, v133, v202
	v_fma_f32 v94, v125, v193, -v94
	v_fmac_f32_e32 v142, v134, v201
	v_add_f32_e32 v93, v93, v94
	v_mul_f32_e32 v94, v128, v196
	v_add_f32_e32 v141, v141, v142
	s_waitcnt vmcnt(22)
	v_mul_f32_e32 v142, v135, v204
	v_fma_f32 v94, v127, v195, -v94
	v_fmac_f32_e32 v142, v136, v203
	v_add_f32_e32 v93, v93, v94
	v_mul_f32_e32 v94, v130, v198
	v_add_f32_e32 v141, v141, v142
	s_waitcnt vmcnt(20) lgkmcnt(0)
	v_mul_f32_e32 v142, v137, v206
	v_fma_f32 v94, v129, v197, -v94
	v_fmac_f32_e32 v142, v138, v205
	v_add_f32_e32 v93, v93, v94
	v_mul_f32_e32 v94, v132, v200
	v_add_f32_e32 v145, v141, v142
	ds_read_b128 v[141:144], v92 offset:656
	v_fma_f32 v94, v131, v199, -v94
	v_add_f32_e32 v93, v93, v94
	v_mul_f32_e32 v94, v134, v202
	s_waitcnt vmcnt(18)
	v_mul_f32_e32 v146, v139, v208
	v_fma_f32 v94, v133, v201, -v94
	v_fmac_f32_e32 v146, v140, v207
	v_add_f32_e32 v93, v93, v94
	v_mul_f32_e32 v94, v136, v204
	v_add_f32_e32 v149, v145, v146
	ds_read_b128 v[145:148], v92 offset:672
	v_fma_f32 v94, v135, v203, -v94
	s_waitcnt vmcnt(16) lgkmcnt(1)
	v_mul_f32_e32 v150, v141, v210
	v_add_f32_e32 v93, v93, v94
	v_mul_f32_e32 v94, v138, v206
	v_fmac_f32_e32 v150, v142, v209
	v_fma_f32 v94, v137, v205, -v94
	v_add_f32_e32 v149, v149, v150
	s_waitcnt vmcnt(14)
	v_mul_f32_e32 v150, v143, v212
	v_add_f32_e32 v93, v93, v94
	v_mul_f32_e32 v94, v140, v208
	v_fmac_f32_e32 v150, v144, v211
	v_fma_f32 v94, v139, v207, -v94
	v_add_f32_e32 v149, v149, v150
	s_waitcnt vmcnt(12) lgkmcnt(0)
	v_mul_f32_e32 v150, v145, v214
	v_add_f32_e32 v93, v93, v94
	v_mul_f32_e32 v94, v142, v210
	v_fmac_f32_e32 v150, v146, v213
	v_fma_f32 v94, v141, v209, -v94
	v_add_f32_e32 v153, v149, v150
	ds_read_b128 v[149:152], v92 offset:688
	v_add_f32_e32 v93, v93, v94
	v_mul_f32_e32 v94, v144, v212
	v_fma_f32 v94, v143, v211, -v94
	v_add_f32_e32 v93, v93, v94
	v_mul_f32_e32 v94, v146, v214
	s_waitcnt vmcnt(10)
	v_mul_f32_e32 v154, v147, v216
	v_fma_f32 v94, v145, v213, -v94
	v_fmac_f32_e32 v154, v148, v215
	v_add_f32_e32 v93, v93, v94
	v_mul_f32_e32 v94, v148, v216
	v_add_f32_e32 v157, v153, v154
	ds_read_b128 v[153:156], v92 offset:704
	s_waitcnt vmcnt(8) lgkmcnt(1)
	v_mul_f32_e32 v158, v149, v218
	v_fma_f32 v94, v147, v215, -v94
	v_fmac_f32_e32 v158, v150, v217
	v_add_f32_e32 v93, v93, v94
	v_mul_f32_e32 v94, v150, v218
	v_add_f32_e32 v157, v157, v158
	s_waitcnt vmcnt(7)
	v_mul_f32_e32 v158, v151, v219
	v_fma_f32 v94, v149, v217, -v94
	s_waitcnt vmcnt(6)
	v_fmac_f32_e32 v158, v152, v220
	v_add_f32_e32 v93, v93, v94
	v_mul_f32_e32 v94, v152, v219
	v_add_f32_e32 v227, v157, v158
	ds_read_b64 v[157:158], v92 offset:720
	v_fma_f32 v94, v151, v220, -v94
	v_add_f32_e32 v93, v93, v94
	s_waitcnt vmcnt(4) lgkmcnt(1)
	v_mul_f32_e32 v94, v154, v222
	v_mul_f32_e32 v228, v153, v222
	v_fma_f32 v94, v153, v221, -v94
	v_fmac_f32_e32 v228, v154, v221
	v_add_f32_e32 v93, v93, v94
	s_waitcnt vmcnt(3)
	v_mul_f32_e32 v94, v156, v223
	v_add_f32_e32 v227, v227, v228
	v_mul_f32_e32 v228, v155, v223
	s_waitcnt vmcnt(2)
	v_fma_f32 v94, v155, v224, -v94
	v_fmac_f32_e32 v228, v156, v224
	v_add_f32_e32 v93, v93, v94
	s_waitcnt vmcnt(0) lgkmcnt(0)
	v_mul_f32_e32 v94, v158, v226
	v_add_f32_e32 v227, v227, v228
	v_mul_f32_e32 v228, v157, v226
	v_fma_f32 v94, v157, v225, -v94
	v_fmac_f32_e32 v228, v158, v225
	v_add_f32_e32 v93, v93, v94
	v_add_f32_e32 v227, v227, v228
	v_sub_f32_e32 v93, v178, v93
	v_sub_f32_e32 v94, v179, v227
	buffer_store_dword v93, off, s[0:3], 0 offset:88
	buffer_store_dword v94, off, s[0:3], 0 offset:92
	s_and_saveexec_b64 s[4:5], vcc
	s_cbranch_execz .LBB108_263
; %bb.262:
	buffer_load_dword v93, off, s[0:3], 0 offset:80
	buffer_load_dword v94, off, s[0:3], 0 offset:84
	s_waitcnt vmcnt(0)
	ds_write_b64 v91, v[93:94]
	buffer_store_dword v92, off, s[0:3], 0 offset:80
	buffer_store_dword v92, off, s[0:3], 0 offset:84
.LBB108_263:
	s_or_b64 exec, exec, s[4:5]
	s_waitcnt lgkmcnt(0)
	; wave barrier
	buffer_load_dword v161, off, s[0:3], 0 offset:92
	buffer_load_dword v162, off, s[0:3], 0 offset:100
	;; [unrolled: 1-line block ×24, first 2 shown]
	ds_read2_b64 v[93:96], v92 offset0:57 offset1:58
	ds_read2_b64 v[97:100], v92 offset0:59 offset1:60
	;; [unrolled: 1-line block ×6, first 2 shown]
	buffer_load_dword v185, off, s[0:3], 0 offset:180
	buffer_load_dword v186, off, s[0:3], 0 offset:176
	;; [unrolled: 1-line block ×46, first 2 shown]
	v_cmp_lt_u32_e32 vcc, 9, v0
	s_waitcnt vmcnt(62) lgkmcnt(5)
	v_mul_f32_e32 v117, v93, v161
	v_mul_f32_e32 v118, v95, v162
	s_waitcnt lgkmcnt(4)
	v_mul_f32_e32 v119, v97, v163
	v_mul_f32_e32 v120, v99, v164
	s_waitcnt lgkmcnt(3)
	;; [unrolled: 3-line block ×3, first 2 shown]
	v_mul_f32_e32 v123, v105, v167
	v_mul_f32_e32 v124, v107, v168
	s_waitcnt vmcnt(61)
	v_fmac_f32_e32 v117, v94, v169
	s_waitcnt vmcnt(60)
	v_fmac_f32_e32 v118, v96, v170
	v_add_f32_e32 v117, 0, v117
	s_waitcnt vmcnt(59)
	v_fmac_f32_e32 v119, v98, v171
	v_add_f32_e32 v117, v117, v118
	;; [unrolled: 3-line block ×7, first 2 shown]
	s_waitcnt vmcnt(53) lgkmcnt(1)
	v_mul_f32_e32 v118, v109, v177
	v_add_f32_e32 v117, v117, v124
	s_waitcnt vmcnt(52)
	v_fmac_f32_e32 v118, v110, v178
	v_mul_f32_e32 v94, v94, v161
	v_add_f32_e32 v117, v117, v118
	s_waitcnt vmcnt(51)
	v_mul_f32_e32 v118, v111, v179
	v_fma_f32 v93, v93, v169, -v94
	v_mul_f32_e32 v94, v96, v162
	s_waitcnt vmcnt(50)
	v_fmac_f32_e32 v118, v112, v180
	v_add_f32_e32 v93, 0, v93
	v_fma_f32 v94, v95, v170, -v94
	v_add_f32_e32 v117, v117, v118
	s_waitcnt vmcnt(47) lgkmcnt(0)
	v_mul_f32_e32 v118, v113, v183
	v_add_f32_e32 v93, v93, v94
	v_mul_f32_e32 v94, v98, v163
	s_waitcnt vmcnt(46)
	v_fmac_f32_e32 v118, v114, v184
	v_fma_f32 v94, v97, v171, -v94
	v_add_f32_e32 v121, v117, v118
	ds_read2_b64 v[117:120], v92 offset0:69 offset1:70
	v_add_f32_e32 v93, v93, v94
	v_mul_f32_e32 v94, v100, v164
	v_fma_f32 v94, v99, v172, -v94
	s_waitcnt vmcnt(45)
	v_mul_f32_e32 v122, v115, v185
	v_add_f32_e32 v93, v93, v94
	v_mul_f32_e32 v94, v102, v165
	s_waitcnt vmcnt(44)
	v_fmac_f32_e32 v122, v116, v186
	v_fma_f32 v94, v101, v173, -v94
	v_add_f32_e32 v125, v121, v122
	ds_read2_b64 v[121:124], v92 offset0:71 offset1:72
	v_add_f32_e32 v93, v93, v94
	v_mul_f32_e32 v94, v104, v166
	s_waitcnt vmcnt(42) lgkmcnt(1)
	v_mul_f32_e32 v126, v117, v188
	v_fma_f32 v94, v103, v174, -v94
	v_fmac_f32_e32 v126, v118, v187
	v_add_f32_e32 v93, v93, v94
	v_mul_f32_e32 v94, v106, v167
	v_add_f32_e32 v125, v125, v126
	s_waitcnt vmcnt(40)
	v_mul_f32_e32 v126, v119, v190
	v_fma_f32 v94, v105, v175, -v94
	v_fmac_f32_e32 v126, v120, v189
	v_add_f32_e32 v93, v93, v94
	v_mul_f32_e32 v94, v108, v168
	v_add_f32_e32 v125, v125, v126
	s_waitcnt vmcnt(38) lgkmcnt(0)
	v_mul_f32_e32 v126, v121, v192
	v_fma_f32 v94, v107, v176, -v94
	v_fmac_f32_e32 v126, v122, v191
	v_add_f32_e32 v93, v93, v94
	v_mul_f32_e32 v94, v110, v177
	v_add_f32_e32 v129, v125, v126
	ds_read2_b64 v[125:128], v92 offset0:73 offset1:74
	v_fma_f32 v94, v109, v178, -v94
	v_add_f32_e32 v93, v93, v94
	v_mul_f32_e32 v94, v112, v179
	s_waitcnt vmcnt(36)
	v_mul_f32_e32 v130, v123, v194
	v_fma_f32 v94, v111, v180, -v94
	v_fmac_f32_e32 v130, v124, v193
	v_add_f32_e32 v93, v93, v94
	v_mul_f32_e32 v94, v114, v183
	v_add_f32_e32 v133, v129, v130
	ds_read2_b64 v[129:132], v92 offset0:75 offset1:76
	v_fma_f32 v94, v113, v184, -v94
	s_waitcnt vmcnt(34) lgkmcnt(1)
	v_mul_f32_e32 v134, v125, v196
	v_add_f32_e32 v93, v93, v94
	v_mul_f32_e32 v94, v116, v185
	v_fmac_f32_e32 v134, v126, v195
	v_fma_f32 v94, v115, v186, -v94
	v_add_f32_e32 v133, v133, v134
	s_waitcnt vmcnt(32)
	v_mul_f32_e32 v134, v127, v198
	v_add_f32_e32 v93, v93, v94
	v_mul_f32_e32 v94, v118, v188
	v_fmac_f32_e32 v134, v128, v197
	v_fma_f32 v94, v117, v187, -v94
	v_add_f32_e32 v133, v133, v134
	s_waitcnt vmcnt(30) lgkmcnt(0)
	v_mul_f32_e32 v134, v129, v200
	v_add_f32_e32 v93, v93, v94
	v_mul_f32_e32 v94, v120, v190
	v_fmac_f32_e32 v134, v130, v199
	v_fma_f32 v94, v119, v189, -v94
	v_add_f32_e32 v137, v133, v134
	ds_read2_b64 v[133:136], v92 offset0:77 offset1:78
	v_add_f32_e32 v93, v93, v94
	v_mul_f32_e32 v94, v122, v192
	v_fma_f32 v94, v121, v191, -v94
	s_waitcnt vmcnt(28)
	v_mul_f32_e32 v138, v131, v202
	v_add_f32_e32 v93, v93, v94
	v_mul_f32_e32 v94, v124, v194
	v_fmac_f32_e32 v138, v132, v201
	v_fma_f32 v94, v123, v193, -v94
	v_add_f32_e32 v141, v137, v138
	ds_read2_b64 v[137:140], v92 offset0:79 offset1:80
	v_add_f32_e32 v93, v93, v94
	v_mul_f32_e32 v94, v126, v196
	s_waitcnt vmcnt(26) lgkmcnt(1)
	v_mul_f32_e32 v142, v133, v204
	v_fma_f32 v94, v125, v195, -v94
	v_fmac_f32_e32 v142, v134, v203
	v_add_f32_e32 v93, v93, v94
	v_mul_f32_e32 v94, v128, v198
	v_add_f32_e32 v141, v141, v142
	s_waitcnt vmcnt(24)
	v_mul_f32_e32 v142, v135, v206
	v_fma_f32 v94, v127, v197, -v94
	v_fmac_f32_e32 v142, v136, v205
	v_add_f32_e32 v93, v93, v94
	v_mul_f32_e32 v94, v130, v200
	v_add_f32_e32 v141, v141, v142
	s_waitcnt vmcnt(22) lgkmcnt(0)
	v_mul_f32_e32 v142, v137, v208
	v_fma_f32 v94, v129, v199, -v94
	v_fmac_f32_e32 v142, v138, v207
	v_add_f32_e32 v93, v93, v94
	v_mul_f32_e32 v94, v132, v202
	v_add_f32_e32 v145, v141, v142
	ds_read2_b64 v[141:144], v92 offset0:81 offset1:82
	v_fma_f32 v94, v131, v201, -v94
	v_add_f32_e32 v93, v93, v94
	v_mul_f32_e32 v94, v134, v204
	s_waitcnt vmcnt(20)
	v_mul_f32_e32 v146, v139, v210
	v_fma_f32 v94, v133, v203, -v94
	v_fmac_f32_e32 v146, v140, v209
	v_add_f32_e32 v93, v93, v94
	v_mul_f32_e32 v94, v136, v206
	v_add_f32_e32 v149, v145, v146
	ds_read2_b64 v[145:148], v92 offset0:83 offset1:84
	v_fma_f32 v94, v135, v205, -v94
	s_waitcnt vmcnt(18) lgkmcnt(1)
	v_mul_f32_e32 v150, v141, v212
	v_add_f32_e32 v93, v93, v94
	v_mul_f32_e32 v94, v138, v208
	v_fmac_f32_e32 v150, v142, v211
	v_fma_f32 v94, v137, v207, -v94
	v_add_f32_e32 v149, v149, v150
	s_waitcnt vmcnt(16)
	v_mul_f32_e32 v150, v143, v214
	v_add_f32_e32 v93, v93, v94
	v_mul_f32_e32 v94, v140, v210
	v_fmac_f32_e32 v150, v144, v213
	v_fma_f32 v94, v139, v209, -v94
	v_add_f32_e32 v149, v149, v150
	s_waitcnt vmcnt(14) lgkmcnt(0)
	v_mul_f32_e32 v150, v145, v216
	v_add_f32_e32 v93, v93, v94
	v_mul_f32_e32 v94, v142, v212
	v_fmac_f32_e32 v150, v146, v215
	v_fma_f32 v94, v141, v211, -v94
	v_add_f32_e32 v153, v149, v150
	ds_read2_b64 v[149:152], v92 offset0:85 offset1:86
	v_add_f32_e32 v93, v93, v94
	v_mul_f32_e32 v94, v144, v214
	v_fma_f32 v94, v143, v213, -v94
	v_add_f32_e32 v93, v93, v94
	v_mul_f32_e32 v94, v146, v216
	s_waitcnt vmcnt(12)
	v_mul_f32_e32 v154, v147, v218
	v_fma_f32 v94, v145, v215, -v94
	v_fmac_f32_e32 v154, v148, v217
	v_add_f32_e32 v93, v93, v94
	v_mul_f32_e32 v94, v148, v218
	v_add_f32_e32 v157, v153, v154
	ds_read2_b64 v[153:156], v92 offset0:87 offset1:88
	s_waitcnt vmcnt(10) lgkmcnt(1)
	v_mul_f32_e32 v158, v149, v220
	v_fma_f32 v94, v147, v217, -v94
	v_fmac_f32_e32 v158, v150, v219
	v_add_f32_e32 v93, v93, v94
	v_mul_f32_e32 v94, v150, v220
	v_add_f32_e32 v157, v157, v158
	s_waitcnt vmcnt(9)
	v_mul_f32_e32 v158, v151, v221
	v_fma_f32 v94, v149, v219, -v94
	s_waitcnt vmcnt(8)
	v_fmac_f32_e32 v158, v152, v222
	v_add_f32_e32 v93, v93, v94
	v_mul_f32_e32 v94, v152, v221
	v_add_f32_e32 v231, v157, v158
	ds_read2_b64 v[157:160], v92 offset0:89 offset1:90
	v_fma_f32 v94, v151, v222, -v94
	v_add_f32_e32 v93, v93, v94
	s_waitcnt vmcnt(6) lgkmcnt(1)
	v_mul_f32_e32 v94, v154, v224
	v_mul_f32_e32 v232, v153, v224
	v_fma_f32 v94, v153, v223, -v94
	v_fmac_f32_e32 v232, v154, v223
	v_add_f32_e32 v93, v93, v94
	s_waitcnt vmcnt(4)
	v_mul_f32_e32 v94, v156, v226
	v_add_f32_e32 v92, v231, v232
	v_mul_f32_e32 v231, v155, v226
	v_fma_f32 v94, v155, v225, -v94
	v_fmac_f32_e32 v231, v156, v225
	v_add_f32_e32 v93, v93, v94
	s_waitcnt vmcnt(3) lgkmcnt(0)
	v_mul_f32_e32 v94, v158, v227
	v_add_f32_e32 v92, v92, v231
	v_mul_f32_e32 v231, v157, v227
	s_waitcnt vmcnt(2)
	v_fma_f32 v94, v157, v228, -v94
	v_fmac_f32_e32 v231, v158, v228
	v_add_f32_e32 v93, v93, v94
	s_waitcnt vmcnt(0)
	v_mul_f32_e32 v94, v160, v230
	v_add_f32_e32 v92, v92, v231
	v_mul_f32_e32 v231, v159, v230
	v_fma_f32 v94, v159, v229, -v94
	v_fmac_f32_e32 v231, v160, v229
	v_add_f32_e32 v93, v93, v94
	v_add_f32_e32 v92, v92, v231
	v_sub_f32_e32 v93, v181, v93
	v_sub_f32_e32 v92, v182, v92
	buffer_store_dword v93, off, s[0:3], 0 offset:80
	buffer_store_dword v92, off, s[0:3], 0 offset:84
	s_and_saveexec_b64 s[4:5], vcc
	s_cbranch_execz .LBB108_265
; %bb.264:
	buffer_load_dword v92, off, s[0:3], 0 offset:72
	buffer_load_dword v93, off, s[0:3], 0 offset:76
	v_mov_b32_e32 v94, 0
	buffer_store_dword v94, off, s[0:3], 0 offset:72
	buffer_store_dword v94, off, s[0:3], 0 offset:76
	s_waitcnt vmcnt(2)
	ds_write_b64 v91, v[92:93]
.LBB108_265:
	s_or_b64 exec, exec, s[4:5]
	s_waitcnt lgkmcnt(0)
	; wave barrier
	buffer_load_dword v163, off, s[0:3], 0 offset:84
	buffer_load_dword v164, off, s[0:3], 0 offset:92
	;; [unrolled: 1-line block ×56, first 2 shown]
	v_mov_b32_e32 v92, 0
	ds_read_b128 v[93:96], v92 offset:448
	ds_read_b128 v[97:100], v92 offset:464
	;; [unrolled: 1-line block ×6, first 2 shown]
	buffer_load_dword v219, off, s[0:3], 0 offset:296
	buffer_load_dword v220, off, s[0:3], 0 offset:300
	;; [unrolled: 1-line block ×12, first 2 shown]
	v_cmp_lt_u32_e32 vcc, 8, v0
	s_waitcnt vmcnt(62) lgkmcnt(5)
	v_mul_f32_e32 v117, v93, v163
	v_mul_f32_e32 v118, v95, v164
	s_waitcnt lgkmcnt(4)
	v_mul_f32_e32 v119, v97, v165
	v_mul_f32_e32 v120, v99, v166
	s_waitcnt lgkmcnt(3)
	v_mul_f32_e32 v121, v101, v167
	v_mul_f32_e32 v122, v103, v168
	s_waitcnt vmcnt(61) lgkmcnt(2)
	v_mul_f32_e32 v123, v105, v169
	s_waitcnt vmcnt(60)
	v_mul_f32_e32 v124, v107, v170
	s_waitcnt vmcnt(59) lgkmcnt(1)
	v_mul_f32_e32 v125, v109, v171
	s_waitcnt vmcnt(58)
	v_fmac_f32_e32 v117, v94, v172
	s_waitcnt vmcnt(57)
	v_fmac_f32_e32 v118, v96, v173
	v_add_f32_e32 v117, 0, v117
	s_waitcnt vmcnt(56)
	v_fmac_f32_e32 v119, v98, v174
	v_add_f32_e32 v117, v117, v118
	;; [unrolled: 3-line block ×7, first 2 shown]
	v_add_f32_e32 v117, v117, v124
	s_waitcnt vmcnt(50)
	v_fmac_f32_e32 v125, v110, v180
	s_waitcnt vmcnt(49)
	v_mul_f32_e32 v118, v111, v181
	v_add_f32_e32 v117, v117, v125
	s_waitcnt vmcnt(48)
	v_fmac_f32_e32 v118, v112, v182
	v_add_f32_e32 v117, v117, v118
	s_waitcnt vmcnt(47) lgkmcnt(0)
	v_mul_f32_e32 v118, v113, v183
	s_waitcnt vmcnt(44)
	v_fmac_f32_e32 v118, v114, v186
	v_add_f32_e32 v121, v117, v118
	ds_read_b128 v[117:120], v92 offset:544
	buffer_load_dword v231, off, s[0:3], 0 offset:348
	buffer_load_dword v232, off, s[0:3], 0 offset:344
	;; [unrolled: 1-line block ×4, first 2 shown]
	v_mul_f32_e32 v94, v94, v163
	v_fma_f32 v93, v93, v172, -v94
	v_mul_f32_e32 v94, v96, v164
	v_add_f32_e32 v93, 0, v93
	v_fma_f32 v94, v95, v173, -v94
	v_add_f32_e32 v93, v93, v94
	v_mul_f32_e32 v94, v98, v165
	v_fma_f32 v94, v97, v174, -v94
	s_waitcnt vmcnt(46)
	v_mul_f32_e32 v122, v115, v188
	v_add_f32_e32 v93, v93, v94
	v_mul_f32_e32 v94, v100, v166
	v_fmac_f32_e32 v122, v116, v187
	v_fma_f32 v94, v99, v175, -v94
	v_add_f32_e32 v125, v121, v122
	ds_read_b128 v[121:124], v92 offset:560
	v_add_f32_e32 v93, v93, v94
	v_mul_f32_e32 v94, v102, v167
	s_waitcnt vmcnt(44) lgkmcnt(1)
	v_mul_f32_e32 v126, v117, v190
	v_fma_f32 v94, v101, v176, -v94
	v_fmac_f32_e32 v126, v118, v189
	v_add_f32_e32 v93, v93, v94
	v_mul_f32_e32 v94, v104, v168
	v_add_f32_e32 v125, v125, v126
	s_waitcnt vmcnt(42)
	v_mul_f32_e32 v126, v119, v192
	v_fma_f32 v94, v103, v177, -v94
	v_fmac_f32_e32 v126, v120, v191
	v_add_f32_e32 v93, v93, v94
	v_mul_f32_e32 v94, v106, v169
	v_add_f32_e32 v125, v125, v126
	s_waitcnt vmcnt(40) lgkmcnt(0)
	v_mul_f32_e32 v126, v121, v194
	v_fma_f32 v94, v105, v178, -v94
	v_fmac_f32_e32 v126, v122, v193
	v_add_f32_e32 v93, v93, v94
	v_mul_f32_e32 v94, v108, v170
	v_add_f32_e32 v129, v125, v126
	ds_read_b128 v[125:128], v92 offset:576
	v_fma_f32 v94, v107, v179, -v94
	v_add_f32_e32 v93, v93, v94
	v_mul_f32_e32 v94, v110, v171
	s_waitcnt vmcnt(38)
	v_mul_f32_e32 v130, v123, v196
	v_fma_f32 v94, v109, v180, -v94
	v_fmac_f32_e32 v130, v124, v195
	v_add_f32_e32 v93, v93, v94
	v_mul_f32_e32 v94, v112, v181
	v_add_f32_e32 v133, v129, v130
	ds_read_b128 v[129:132], v92 offset:592
	v_fma_f32 v94, v111, v182, -v94
	s_waitcnt vmcnt(36) lgkmcnt(1)
	v_mul_f32_e32 v134, v125, v198
	v_add_f32_e32 v93, v93, v94
	v_mul_f32_e32 v94, v114, v183
	v_fmac_f32_e32 v134, v126, v197
	v_fma_f32 v94, v113, v186, -v94
	v_add_f32_e32 v133, v133, v134
	s_waitcnt vmcnt(34)
	v_mul_f32_e32 v134, v127, v200
	v_add_f32_e32 v93, v93, v94
	v_mul_f32_e32 v94, v116, v188
	v_fmac_f32_e32 v134, v128, v199
	v_fma_f32 v94, v115, v187, -v94
	v_add_f32_e32 v133, v133, v134
	s_waitcnt vmcnt(32) lgkmcnt(0)
	v_mul_f32_e32 v134, v129, v202
	v_add_f32_e32 v93, v93, v94
	v_mul_f32_e32 v94, v118, v190
	v_fmac_f32_e32 v134, v130, v201
	v_fma_f32 v94, v117, v189, -v94
	v_add_f32_e32 v137, v133, v134
	ds_read_b128 v[133:136], v92 offset:608
	v_add_f32_e32 v93, v93, v94
	v_mul_f32_e32 v94, v120, v192
	v_fma_f32 v94, v119, v191, -v94
	s_waitcnt vmcnt(30)
	v_mul_f32_e32 v138, v131, v204
	v_add_f32_e32 v93, v93, v94
	v_mul_f32_e32 v94, v122, v194
	v_fmac_f32_e32 v138, v132, v203
	v_fma_f32 v94, v121, v193, -v94
	v_add_f32_e32 v141, v137, v138
	ds_read_b128 v[137:140], v92 offset:624
	v_add_f32_e32 v93, v93, v94
	v_mul_f32_e32 v94, v124, v196
	s_waitcnt vmcnt(28) lgkmcnt(1)
	v_mul_f32_e32 v142, v133, v206
	v_fma_f32 v94, v123, v195, -v94
	v_fmac_f32_e32 v142, v134, v205
	v_add_f32_e32 v93, v93, v94
	v_mul_f32_e32 v94, v126, v198
	v_add_f32_e32 v141, v141, v142
	s_waitcnt vmcnt(26)
	v_mul_f32_e32 v142, v135, v208
	v_fma_f32 v94, v125, v197, -v94
	v_fmac_f32_e32 v142, v136, v207
	v_add_f32_e32 v93, v93, v94
	v_mul_f32_e32 v94, v128, v200
	v_add_f32_e32 v141, v141, v142
	s_waitcnt vmcnt(24) lgkmcnt(0)
	v_mul_f32_e32 v142, v137, v210
	v_fma_f32 v94, v127, v199, -v94
	v_fmac_f32_e32 v142, v138, v209
	v_add_f32_e32 v93, v93, v94
	v_mul_f32_e32 v94, v130, v202
	v_add_f32_e32 v145, v141, v142
	ds_read_b128 v[141:144], v92 offset:640
	v_fma_f32 v94, v129, v201, -v94
	v_add_f32_e32 v93, v93, v94
	v_mul_f32_e32 v94, v132, v204
	s_waitcnt vmcnt(22)
	v_mul_f32_e32 v146, v139, v212
	v_fma_f32 v94, v131, v203, -v94
	v_fmac_f32_e32 v146, v140, v211
	v_add_f32_e32 v93, v93, v94
	v_mul_f32_e32 v94, v134, v206
	v_add_f32_e32 v149, v145, v146
	ds_read_b128 v[145:148], v92 offset:656
	v_fma_f32 v94, v133, v205, -v94
	s_waitcnt vmcnt(20) lgkmcnt(1)
	v_mul_f32_e32 v150, v141, v214
	v_add_f32_e32 v93, v93, v94
	v_mul_f32_e32 v94, v136, v208
	v_fmac_f32_e32 v150, v142, v213
	v_fma_f32 v94, v135, v207, -v94
	v_add_f32_e32 v149, v149, v150
	s_waitcnt vmcnt(18)
	v_mul_f32_e32 v150, v143, v216
	v_add_f32_e32 v93, v93, v94
	v_mul_f32_e32 v94, v138, v210
	v_fmac_f32_e32 v150, v144, v215
	v_fma_f32 v94, v137, v209, -v94
	v_add_f32_e32 v149, v149, v150
	s_waitcnt vmcnt(16) lgkmcnt(0)
	v_mul_f32_e32 v150, v145, v218
	v_add_f32_e32 v93, v93, v94
	v_mul_f32_e32 v94, v140, v212
	v_fmac_f32_e32 v150, v146, v217
	v_fma_f32 v94, v139, v211, -v94
	v_add_f32_e32 v153, v149, v150
	ds_read_b128 v[149:152], v92 offset:672
	v_add_f32_e32 v93, v93, v94
	v_mul_f32_e32 v94, v142, v214
	v_fma_f32 v94, v141, v213, -v94
	s_waitcnt vmcnt(14)
	v_mul_f32_e32 v154, v147, v220
	v_add_f32_e32 v93, v93, v94
	v_mul_f32_e32 v94, v144, v216
	v_fmac_f32_e32 v154, v148, v219
	v_fma_f32 v94, v143, v215, -v94
	v_add_f32_e32 v157, v153, v154
	ds_read_b128 v[153:156], v92 offset:688
	v_add_f32_e32 v93, v93, v94
	v_mul_f32_e32 v94, v146, v218
	s_waitcnt vmcnt(12) lgkmcnt(1)
	v_mul_f32_e32 v158, v149, v222
	v_fma_f32 v94, v145, v217, -v94
	v_fmac_f32_e32 v158, v150, v221
	v_add_f32_e32 v93, v93, v94
	v_mul_f32_e32 v94, v148, v220
	v_add_f32_e32 v157, v157, v158
	s_waitcnt vmcnt(11)
	v_mul_f32_e32 v158, v151, v223
	v_fma_f32 v94, v147, v219, -v94
	s_waitcnt vmcnt(10)
	v_fmac_f32_e32 v158, v152, v224
	v_add_f32_e32 v93, v93, v94
	v_mul_f32_e32 v94, v150, v222
	v_add_f32_e32 v157, v157, v158
	s_waitcnt vmcnt(8) lgkmcnt(0)
	v_mul_f32_e32 v158, v153, v226
	v_fma_f32 v94, v149, v221, -v94
	v_fmac_f32_e32 v158, v154, v225
	v_add_f32_e32 v93, v93, v94
	v_mul_f32_e32 v94, v152, v223
	v_add_f32_e32 v161, v157, v158
	ds_read_b128 v[157:160], v92 offset:704
	v_fma_f32 v94, v151, v224, -v94
	v_add_f32_e32 v93, v93, v94
	v_mul_f32_e32 v94, v154, v226
	s_waitcnt vmcnt(6)
	v_mul_f32_e32 v162, v155, v228
	v_fma_f32 v94, v153, v225, -v94
	v_fmac_f32_e32 v162, v156, v227
	v_add_f32_e32 v93, v93, v94
	v_mul_f32_e32 v94, v156, v228
	v_add_f32_e32 v235, v161, v162
	ds_read_b64 v[161:162], v92 offset:720
	v_fma_f32 v94, v155, v227, -v94
	v_add_f32_e32 v93, v93, v94
	s_waitcnt vmcnt(4) lgkmcnt(1)
	v_mul_f32_e32 v94, v158, v230
	v_mul_f32_e32 v236, v157, v230
	v_fma_f32 v94, v157, v229, -v94
	v_fmac_f32_e32 v236, v158, v229
	v_add_f32_e32 v93, v93, v94
	s_waitcnt vmcnt(3)
	v_mul_f32_e32 v94, v160, v231
	v_add_f32_e32 v235, v235, v236
	v_mul_f32_e32 v236, v159, v231
	s_waitcnt vmcnt(2)
	v_fma_f32 v94, v159, v232, -v94
	v_fmac_f32_e32 v236, v160, v232
	v_add_f32_e32 v93, v93, v94
	s_waitcnt vmcnt(0) lgkmcnt(0)
	v_mul_f32_e32 v94, v162, v234
	v_add_f32_e32 v235, v235, v236
	v_mul_f32_e32 v236, v161, v234
	v_fma_f32 v94, v161, v233, -v94
	v_fmac_f32_e32 v236, v162, v233
	v_add_f32_e32 v93, v93, v94
	v_add_f32_e32 v235, v235, v236
	v_sub_f32_e32 v93, v184, v93
	v_sub_f32_e32 v94, v185, v235
	buffer_store_dword v93, off, s[0:3], 0 offset:72
	buffer_store_dword v94, off, s[0:3], 0 offset:76
	s_and_saveexec_b64 s[4:5], vcc
	s_cbranch_execz .LBB108_267
; %bb.266:
	buffer_load_dword v93, off, s[0:3], 0 offset:64
	buffer_load_dword v94, off, s[0:3], 0 offset:68
	s_waitcnt vmcnt(0)
	ds_write_b64 v91, v[93:94]
	buffer_store_dword v92, off, s[0:3], 0 offset:64
	buffer_store_dword v92, off, s[0:3], 0 offset:68
.LBB108_267:
	s_or_b64 exec, exec, s[4:5]
	s_waitcnt lgkmcnt(0)
	; wave barrier
	buffer_load_dword v165, off, s[0:3], 0 offset:76
	buffer_load_dword v166, off, s[0:3], 0 offset:84
	;; [unrolled: 1-line block ×26, first 2 shown]
	ds_read2_b64 v[93:96], v92 offset0:55 offset1:56
	ds_read2_b64 v[97:100], v92 offset0:57 offset1:58
	;; [unrolled: 1-line block ×6, first 2 shown]
	buffer_load_dword v191, off, s[0:3], 0 offset:168
	buffer_load_dword v192, off, s[0:3], 0 offset:172
	;; [unrolled: 1-line block ×42, first 2 shown]
	v_cmp_lt_u32_e32 vcc, 7, v0
	s_waitcnt vmcnt(62) lgkmcnt(5)
	v_mul_f32_e32 v117, v93, v165
	v_mul_f32_e32 v118, v95, v166
	s_waitcnt lgkmcnt(4)
	v_mul_f32_e32 v119, v97, v167
	v_mul_f32_e32 v120, v99, v168
	s_waitcnt lgkmcnt(3)
	v_mul_f32_e32 v121, v101, v169
	v_mul_f32_e32 v122, v103, v170
	s_waitcnt vmcnt(61) lgkmcnt(2)
	v_mul_f32_e32 v123, v105, v171
	s_waitcnt vmcnt(60)
	v_mul_f32_e32 v124, v107, v172
	s_waitcnt vmcnt(59) lgkmcnt(1)
	v_mul_f32_e32 v125, v109, v173
	s_waitcnt vmcnt(58)
	v_fmac_f32_e32 v117, v94, v174
	s_waitcnt vmcnt(57)
	v_fmac_f32_e32 v118, v96, v175
	v_add_f32_e32 v117, 0, v117
	s_waitcnt vmcnt(56)
	v_fmac_f32_e32 v119, v98, v176
	v_add_f32_e32 v117, v117, v118
	;; [unrolled: 3-line block ×8, first 2 shown]
	s_waitcnt vmcnt(49)
	v_mul_f32_e32 v118, v111, v183
	v_add_f32_e32 v117, v117, v125
	s_waitcnt vmcnt(48)
	v_fmac_f32_e32 v118, v112, v184
	v_add_f32_e32 v117, v117, v118
	s_waitcnt vmcnt(47) lgkmcnt(0)
	v_mul_f32_e32 v118, v113, v185
	s_waitcnt vmcnt(46)
	v_fmac_f32_e32 v118, v114, v186
	v_add_f32_e32 v117, v117, v118
	s_waitcnt vmcnt(42)
	v_mul_f32_e32 v118, v115, v190
	v_fmac_f32_e32 v118, v116, v189
	v_add_f32_e32 v125, v117, v118
	ds_read2_b64 v[117:120], v92 offset0:67 offset1:68
	buffer_load_dword v233, off, s[0:3], 0 offset:340
	buffer_load_dword v234, off, s[0:3], 0 offset:336
	;; [unrolled: 1-line block ×4, first 2 shown]
	ds_read2_b64 v[121:124], v92 offset0:69 offset1:70
	buffer_load_dword v237, off, s[0:3], 0 offset:352
	buffer_load_dword v238, off, s[0:3], 0 offset:356
	v_mul_f32_e32 v94, v94, v165
	v_fma_f32 v93, v93, v174, -v94
	v_mul_f32_e32 v94, v96, v166
	v_add_f32_e32 v93, 0, v93
	v_fma_f32 v94, v95, v175, -v94
	v_add_f32_e32 v93, v93, v94
	v_mul_f32_e32 v94, v98, v167
	v_fma_f32 v94, v97, v176, -v94
	v_add_f32_e32 v93, v93, v94
	v_mul_f32_e32 v94, v100, v168
	;; [unrolled: 3-line block ×3, first 2 shown]
	s_waitcnt vmcnt(46) lgkmcnt(1)
	v_mul_f32_e32 v126, v117, v192
	v_fma_f32 v94, v101, v178, -v94
	v_fmac_f32_e32 v126, v118, v191
	v_add_f32_e32 v93, v93, v94
	v_mul_f32_e32 v94, v104, v170
	v_add_f32_e32 v125, v125, v126
	s_waitcnt vmcnt(44)
	v_mul_f32_e32 v126, v119, v194
	v_fma_f32 v94, v103, v179, -v94
	v_fmac_f32_e32 v126, v120, v193
	v_add_f32_e32 v93, v93, v94
	v_mul_f32_e32 v94, v106, v171
	v_add_f32_e32 v125, v125, v126
	s_waitcnt vmcnt(42) lgkmcnt(0)
	v_mul_f32_e32 v126, v121, v196
	v_fma_f32 v94, v105, v180, -v94
	v_fmac_f32_e32 v126, v122, v195
	v_add_f32_e32 v93, v93, v94
	v_mul_f32_e32 v94, v108, v172
	v_add_f32_e32 v129, v125, v126
	ds_read2_b64 v[125:128], v92 offset0:71 offset1:72
	v_fma_f32 v94, v107, v181, -v94
	v_add_f32_e32 v93, v93, v94
	v_mul_f32_e32 v94, v110, v173
	s_waitcnt vmcnt(40)
	v_mul_f32_e32 v130, v123, v198
	v_fma_f32 v94, v109, v182, -v94
	v_fmac_f32_e32 v130, v124, v197
	v_add_f32_e32 v93, v93, v94
	v_mul_f32_e32 v94, v112, v183
	v_add_f32_e32 v133, v129, v130
	ds_read2_b64 v[129:132], v92 offset0:73 offset1:74
	v_fma_f32 v94, v111, v184, -v94
	s_waitcnt vmcnt(38) lgkmcnt(1)
	v_mul_f32_e32 v134, v125, v200
	v_add_f32_e32 v93, v93, v94
	v_mul_f32_e32 v94, v114, v185
	v_fmac_f32_e32 v134, v126, v199
	v_fma_f32 v94, v113, v186, -v94
	v_add_f32_e32 v133, v133, v134
	s_waitcnt vmcnt(36)
	v_mul_f32_e32 v134, v127, v202
	v_add_f32_e32 v93, v93, v94
	v_mul_f32_e32 v94, v116, v190
	v_fmac_f32_e32 v134, v128, v201
	v_fma_f32 v94, v115, v189, -v94
	v_add_f32_e32 v133, v133, v134
	s_waitcnt vmcnt(34) lgkmcnt(0)
	v_mul_f32_e32 v134, v129, v204
	v_add_f32_e32 v93, v93, v94
	v_mul_f32_e32 v94, v118, v192
	v_fmac_f32_e32 v134, v130, v203
	v_fma_f32 v94, v117, v191, -v94
	v_add_f32_e32 v137, v133, v134
	ds_read2_b64 v[133:136], v92 offset0:75 offset1:76
	v_add_f32_e32 v93, v93, v94
	v_mul_f32_e32 v94, v120, v194
	v_fma_f32 v94, v119, v193, -v94
	s_waitcnt vmcnt(32)
	v_mul_f32_e32 v138, v131, v206
	v_add_f32_e32 v93, v93, v94
	v_mul_f32_e32 v94, v122, v196
	v_fmac_f32_e32 v138, v132, v205
	v_fma_f32 v94, v121, v195, -v94
	v_add_f32_e32 v141, v137, v138
	ds_read2_b64 v[137:140], v92 offset0:77 offset1:78
	v_add_f32_e32 v93, v93, v94
	v_mul_f32_e32 v94, v124, v198
	s_waitcnt vmcnt(30) lgkmcnt(1)
	v_mul_f32_e32 v142, v133, v208
	v_fma_f32 v94, v123, v197, -v94
	v_fmac_f32_e32 v142, v134, v207
	v_add_f32_e32 v93, v93, v94
	v_mul_f32_e32 v94, v126, v200
	v_add_f32_e32 v141, v141, v142
	s_waitcnt vmcnt(28)
	v_mul_f32_e32 v142, v135, v210
	v_fma_f32 v94, v125, v199, -v94
	v_fmac_f32_e32 v142, v136, v209
	v_add_f32_e32 v93, v93, v94
	v_mul_f32_e32 v94, v128, v202
	v_add_f32_e32 v141, v141, v142
	s_waitcnt vmcnt(26) lgkmcnt(0)
	v_mul_f32_e32 v142, v137, v212
	v_fma_f32 v94, v127, v201, -v94
	v_fmac_f32_e32 v142, v138, v211
	v_add_f32_e32 v93, v93, v94
	v_mul_f32_e32 v94, v130, v204
	v_add_f32_e32 v145, v141, v142
	ds_read2_b64 v[141:144], v92 offset0:79 offset1:80
	v_fma_f32 v94, v129, v203, -v94
	v_add_f32_e32 v93, v93, v94
	v_mul_f32_e32 v94, v132, v206
	s_waitcnt vmcnt(24)
	v_mul_f32_e32 v146, v139, v214
	v_fma_f32 v94, v131, v205, -v94
	v_fmac_f32_e32 v146, v140, v213
	v_add_f32_e32 v93, v93, v94
	v_mul_f32_e32 v94, v134, v208
	v_add_f32_e32 v149, v145, v146
	ds_read2_b64 v[145:148], v92 offset0:81 offset1:82
	v_fma_f32 v94, v133, v207, -v94
	s_waitcnt vmcnt(22) lgkmcnt(1)
	v_mul_f32_e32 v150, v141, v216
	v_add_f32_e32 v93, v93, v94
	v_mul_f32_e32 v94, v136, v210
	v_fmac_f32_e32 v150, v142, v215
	v_fma_f32 v94, v135, v209, -v94
	v_add_f32_e32 v149, v149, v150
	s_waitcnt vmcnt(20)
	v_mul_f32_e32 v150, v143, v218
	v_add_f32_e32 v93, v93, v94
	v_mul_f32_e32 v94, v138, v212
	v_fmac_f32_e32 v150, v144, v217
	v_fma_f32 v94, v137, v211, -v94
	v_add_f32_e32 v149, v149, v150
	s_waitcnt vmcnt(18) lgkmcnt(0)
	v_mul_f32_e32 v150, v145, v220
	v_add_f32_e32 v93, v93, v94
	v_mul_f32_e32 v94, v140, v214
	v_fmac_f32_e32 v150, v146, v219
	v_fma_f32 v94, v139, v213, -v94
	v_add_f32_e32 v153, v149, v150
	ds_read2_b64 v[149:152], v92 offset0:83 offset1:84
	v_add_f32_e32 v93, v93, v94
	v_mul_f32_e32 v94, v142, v216
	v_fma_f32 v94, v141, v215, -v94
	s_waitcnt vmcnt(16)
	v_mul_f32_e32 v154, v147, v222
	v_add_f32_e32 v93, v93, v94
	v_mul_f32_e32 v94, v144, v218
	v_fmac_f32_e32 v154, v148, v221
	v_fma_f32 v94, v143, v217, -v94
	v_add_f32_e32 v157, v153, v154
	ds_read2_b64 v[153:156], v92 offset0:85 offset1:86
	v_add_f32_e32 v93, v93, v94
	v_mul_f32_e32 v94, v146, v220
	s_waitcnt vmcnt(14) lgkmcnt(1)
	v_mul_f32_e32 v158, v149, v224
	v_fma_f32 v94, v145, v219, -v94
	v_fmac_f32_e32 v158, v150, v223
	v_add_f32_e32 v93, v93, v94
	v_mul_f32_e32 v94, v148, v222
	v_add_f32_e32 v157, v157, v158
	s_waitcnt vmcnt(13)
	v_mul_f32_e32 v158, v151, v225
	v_fma_f32 v94, v147, v221, -v94
	s_waitcnt vmcnt(12)
	v_fmac_f32_e32 v158, v152, v226
	v_add_f32_e32 v93, v93, v94
	v_mul_f32_e32 v94, v150, v224
	v_add_f32_e32 v157, v157, v158
	s_waitcnt vmcnt(10) lgkmcnt(0)
	v_mul_f32_e32 v158, v153, v228
	v_fma_f32 v94, v149, v223, -v94
	v_fmac_f32_e32 v158, v154, v227
	v_add_f32_e32 v93, v93, v94
	v_mul_f32_e32 v94, v152, v225
	v_add_f32_e32 v161, v157, v158
	ds_read2_b64 v[157:160], v92 offset0:87 offset1:88
	v_fma_f32 v94, v151, v226, -v94
	v_add_f32_e32 v93, v93, v94
	v_mul_f32_e32 v94, v154, v228
	s_waitcnt vmcnt(8)
	v_mul_f32_e32 v162, v155, v230
	v_fma_f32 v94, v153, v227, -v94
	v_fmac_f32_e32 v162, v156, v229
	v_add_f32_e32 v93, v93, v94
	v_mul_f32_e32 v94, v156, v230
	v_add_f32_e32 v239, v161, v162
	ds_read2_b64 v[161:164], v92 offset0:89 offset1:90
	v_fma_f32 v94, v155, v229, -v94
	v_add_f32_e32 v93, v93, v94
	s_waitcnt vmcnt(6) lgkmcnt(1)
	v_mul_f32_e32 v94, v158, v232
	v_mul_f32_e32 v92, v157, v232
	v_fma_f32 v94, v157, v231, -v94
	v_fmac_f32_e32 v92, v158, v231
	v_add_f32_e32 v93, v93, v94
	s_waitcnt vmcnt(5)
	v_mul_f32_e32 v94, v160, v233
	v_add_f32_e32 v92, v239, v92
	v_mul_f32_e32 v239, v159, v233
	s_waitcnt vmcnt(4)
	v_fma_f32 v94, v159, v234, -v94
	v_fmac_f32_e32 v239, v160, v234
	v_add_f32_e32 v93, v93, v94
	s_waitcnt vmcnt(2) lgkmcnt(0)
	v_mul_f32_e32 v94, v162, v236
	v_add_f32_e32 v92, v92, v239
	v_mul_f32_e32 v239, v161, v236
	v_fma_f32 v94, v161, v235, -v94
	v_fmac_f32_e32 v239, v162, v235
	v_add_f32_e32 v93, v93, v94
	s_waitcnt vmcnt(0)
	v_mul_f32_e32 v94, v164, v238
	v_add_f32_e32 v92, v92, v239
	v_mul_f32_e32 v239, v163, v238
	v_fma_f32 v94, v163, v237, -v94
	v_fmac_f32_e32 v239, v164, v237
	v_add_f32_e32 v93, v93, v94
	v_add_f32_e32 v92, v92, v239
	v_sub_f32_e32 v93, v187, v93
	v_sub_f32_e32 v92, v188, v92
	buffer_store_dword v93, off, s[0:3], 0 offset:64
	buffer_store_dword v92, off, s[0:3], 0 offset:68
	s_and_saveexec_b64 s[4:5], vcc
	s_cbranch_execz .LBB108_269
; %bb.268:
	buffer_load_dword v92, off, s[0:3], 0 offset:56
	buffer_load_dword v93, off, s[0:3], 0 offset:60
	v_mov_b32_e32 v94, 0
	buffer_store_dword v94, off, s[0:3], 0 offset:56
	buffer_store_dword v94, off, s[0:3], 0 offset:60
	s_waitcnt vmcnt(2)
	ds_write_b64 v91, v[92:93]
.LBB108_269:
	s_or_b64 exec, exec, s[4:5]
	s_waitcnt lgkmcnt(0)
	; wave barrier
	buffer_load_dword v167, off, s[0:3], 0 offset:68
	buffer_load_dword v168, off, s[0:3], 0 offset:76
	;; [unrolled: 1-line block ×52, first 2 shown]
	v_mov_b32_e32 v92, 0
	ds_read_b128 v[93:96], v92 offset:432
	ds_read_b128 v[97:100], v92 offset:448
	;; [unrolled: 1-line block ×6, first 2 shown]
	buffer_load_dword v219, off, s[0:3], 0 offset:268
	buffer_load_dword v220, off, s[0:3], 0 offset:264
	;; [unrolled: 1-line block ×14, first 2 shown]
	v_cmp_lt_u32_e32 vcc, 6, v0
	s_waitcnt vmcnt(62) lgkmcnt(5)
	v_mul_f32_e32 v117, v93, v167
	v_mul_f32_e32 v118, v95, v168
	s_waitcnt lgkmcnt(4)
	v_mul_f32_e32 v119, v97, v169
	v_mul_f32_e32 v120, v99, v170
	s_waitcnt vmcnt(61) lgkmcnt(3)
	v_mul_f32_e32 v121, v101, v171
	s_waitcnt vmcnt(60)
	v_mul_f32_e32 v122, v103, v172
	s_waitcnt vmcnt(59) lgkmcnt(2)
	v_mul_f32_e32 v123, v105, v173
	s_waitcnt vmcnt(58)
	;; [unrolled: 4-line block ×3, first 2 shown]
	v_fmac_f32_e32 v117, v94, v176
	s_waitcnt vmcnt(55)
	v_fmac_f32_e32 v118, v96, v177
	v_add_f32_e32 v117, 0, v117
	s_waitcnt vmcnt(54)
	v_fmac_f32_e32 v119, v98, v178
	v_add_f32_e32 v117, v117, v118
	;; [unrolled: 3-line block ×8, first 2 shown]
	s_waitcnt vmcnt(47)
	v_mul_f32_e32 v118, v111, v185
	v_add_f32_e32 v117, v117, v125
	s_waitcnt vmcnt(46)
	v_fmac_f32_e32 v118, v112, v186
	v_add_f32_e32 v117, v117, v118
	s_waitcnt vmcnt(45) lgkmcnt(0)
	v_mul_f32_e32 v118, v113, v187
	s_waitcnt vmcnt(44)
	v_fmac_f32_e32 v118, v114, v188
	v_add_f32_e32 v121, v117, v118
	ds_read_b128 v[117:120], v92 offset:528
	buffer_load_dword v233, off, s[0:3], 0 offset:320
	buffer_load_dword v234, off, s[0:3], 0 offset:324
	s_waitcnt vmcnt(43)
	v_mul_f32_e32 v122, v115, v191
	s_waitcnt vmcnt(42)
	v_fmac_f32_e32 v122, v116, v192
	v_add_f32_e32 v125, v121, v122
	ds_read_b128 v[121:124], v92 offset:544
	buffer_load_dword v235, off, s[0:3], 0 offset:332
	buffer_load_dword v236, off, s[0:3], 0 offset:328
	;; [unrolled: 1-line block ×8, first 2 shown]
	v_mul_f32_e32 v94, v94, v167
	v_fma_f32 v93, v93, v176, -v94
	v_mul_f32_e32 v94, v96, v168
	v_add_f32_e32 v93, 0, v93
	v_fma_f32 v94, v95, v177, -v94
	v_add_f32_e32 v93, v93, v94
	v_mul_f32_e32 v94, v98, v169
	v_fma_f32 v94, v97, v178, -v94
	v_add_f32_e32 v93, v93, v94
	v_mul_f32_e32 v94, v100, v170
	v_fma_f32 v94, v99, v179, -v94
	s_waitcnt vmcnt(48) lgkmcnt(1)
	v_mul_f32_e32 v126, v117, v194
	v_add_f32_e32 v93, v93, v94
	v_mul_f32_e32 v94, v102, v171
	v_fmac_f32_e32 v126, v118, v193
	v_fma_f32 v94, v101, v180, -v94
	v_add_f32_e32 v125, v125, v126
	s_waitcnt vmcnt(46)
	v_mul_f32_e32 v126, v119, v196
	v_add_f32_e32 v93, v93, v94
	v_mul_f32_e32 v94, v104, v172
	v_fmac_f32_e32 v126, v120, v195
	v_fma_f32 v94, v103, v181, -v94
	v_add_f32_e32 v125, v125, v126
	s_waitcnt vmcnt(44) lgkmcnt(0)
	v_mul_f32_e32 v126, v121, v198
	v_add_f32_e32 v93, v93, v94
	v_mul_f32_e32 v94, v106, v173
	v_fmac_f32_e32 v126, v122, v197
	v_fma_f32 v94, v105, v182, -v94
	v_add_f32_e32 v129, v125, v126
	ds_read_b128 v[125:128], v92 offset:560
	v_add_f32_e32 v93, v93, v94
	v_mul_f32_e32 v94, v108, v174
	v_fma_f32 v94, v107, v183, -v94
	s_waitcnt vmcnt(42)
	v_mul_f32_e32 v130, v123, v200
	v_add_f32_e32 v93, v93, v94
	v_mul_f32_e32 v94, v110, v175
	v_fmac_f32_e32 v130, v124, v199
	v_fma_f32 v94, v109, v184, -v94
	v_add_f32_e32 v133, v129, v130
	ds_read_b128 v[129:132], v92 offset:576
	v_add_f32_e32 v93, v93, v94
	v_mul_f32_e32 v94, v112, v185
	s_waitcnt vmcnt(40) lgkmcnt(1)
	v_mul_f32_e32 v134, v125, v202
	v_fma_f32 v94, v111, v186, -v94
	v_fmac_f32_e32 v134, v126, v201
	v_add_f32_e32 v93, v93, v94
	v_mul_f32_e32 v94, v114, v187
	v_add_f32_e32 v133, v133, v134
	s_waitcnt vmcnt(38)
	v_mul_f32_e32 v134, v127, v204
	v_fma_f32 v94, v113, v188, -v94
	v_fmac_f32_e32 v134, v128, v203
	v_add_f32_e32 v93, v93, v94
	v_mul_f32_e32 v94, v116, v191
	v_add_f32_e32 v133, v133, v134
	s_waitcnt vmcnt(36) lgkmcnt(0)
	v_mul_f32_e32 v134, v129, v206
	v_fma_f32 v94, v115, v192, -v94
	v_fmac_f32_e32 v134, v130, v205
	v_add_f32_e32 v93, v93, v94
	v_mul_f32_e32 v94, v118, v194
	v_add_f32_e32 v137, v133, v134
	ds_read_b128 v[133:136], v92 offset:592
	v_fma_f32 v94, v117, v193, -v94
	v_add_f32_e32 v93, v93, v94
	v_mul_f32_e32 v94, v120, v196
	s_waitcnt vmcnt(34)
	v_mul_f32_e32 v138, v131, v208
	v_fma_f32 v94, v119, v195, -v94
	v_fmac_f32_e32 v138, v132, v207
	v_add_f32_e32 v93, v93, v94
	v_mul_f32_e32 v94, v122, v198
	v_add_f32_e32 v141, v137, v138
	ds_read_b128 v[137:140], v92 offset:608
	v_fma_f32 v94, v121, v197, -v94
	s_waitcnt vmcnt(32) lgkmcnt(1)
	v_mul_f32_e32 v142, v133, v210
	v_add_f32_e32 v93, v93, v94
	v_mul_f32_e32 v94, v124, v200
	v_fmac_f32_e32 v142, v134, v209
	v_fma_f32 v94, v123, v199, -v94
	v_add_f32_e32 v141, v141, v142
	s_waitcnt vmcnt(30)
	v_mul_f32_e32 v142, v135, v212
	v_add_f32_e32 v93, v93, v94
	v_mul_f32_e32 v94, v126, v202
	v_fmac_f32_e32 v142, v136, v211
	v_fma_f32 v94, v125, v201, -v94
	v_add_f32_e32 v141, v141, v142
	s_waitcnt vmcnt(28) lgkmcnt(0)
	v_mul_f32_e32 v142, v137, v214
	v_add_f32_e32 v93, v93, v94
	v_mul_f32_e32 v94, v128, v204
	v_fmac_f32_e32 v142, v138, v213
	v_fma_f32 v94, v127, v203, -v94
	v_add_f32_e32 v145, v141, v142
	ds_read_b128 v[141:144], v92 offset:624
	v_add_f32_e32 v93, v93, v94
	v_mul_f32_e32 v94, v130, v206
	v_fma_f32 v94, v129, v205, -v94
	s_waitcnt vmcnt(26)
	v_mul_f32_e32 v146, v139, v216
	v_add_f32_e32 v93, v93, v94
	v_mul_f32_e32 v94, v132, v208
	v_fmac_f32_e32 v146, v140, v215
	v_fma_f32 v94, v131, v207, -v94
	v_add_f32_e32 v149, v145, v146
	ds_read_b128 v[145:148], v92 offset:640
	v_add_f32_e32 v93, v93, v94
	v_mul_f32_e32 v94, v134, v210
	s_waitcnt vmcnt(24) lgkmcnt(1)
	v_mul_f32_e32 v150, v141, v218
	v_fma_f32 v94, v133, v209, -v94
	v_fmac_f32_e32 v150, v142, v217
	v_add_f32_e32 v93, v93, v94
	v_mul_f32_e32 v94, v136, v212
	v_add_f32_e32 v149, v149, v150
	s_waitcnt vmcnt(23)
	v_mul_f32_e32 v150, v143, v219
	v_fma_f32 v94, v135, v211, -v94
	s_waitcnt vmcnt(22)
	v_fmac_f32_e32 v150, v144, v220
	v_add_f32_e32 v93, v93, v94
	v_mul_f32_e32 v94, v138, v214
	v_add_f32_e32 v149, v149, v150
	s_waitcnt vmcnt(20) lgkmcnt(0)
	v_mul_f32_e32 v150, v145, v222
	v_fma_f32 v94, v137, v213, -v94
	v_fmac_f32_e32 v150, v146, v221
	v_add_f32_e32 v93, v93, v94
	v_mul_f32_e32 v94, v140, v216
	v_add_f32_e32 v153, v149, v150
	ds_read_b128 v[149:152], v92 offset:656
	v_fma_f32 v94, v139, v215, -v94
	v_add_f32_e32 v93, v93, v94
	v_mul_f32_e32 v94, v142, v218
	s_waitcnt vmcnt(18)
	v_mul_f32_e32 v154, v147, v224
	v_fma_f32 v94, v141, v217, -v94
	v_fmac_f32_e32 v154, v148, v223
	v_add_f32_e32 v93, v93, v94
	v_mul_f32_e32 v94, v144, v219
	v_add_f32_e32 v157, v153, v154
	ds_read_b128 v[153:156], v92 offset:672
	v_fma_f32 v94, v143, v220, -v94
	s_waitcnt vmcnt(16) lgkmcnt(1)
	v_mul_f32_e32 v158, v149, v226
	v_add_f32_e32 v93, v93, v94
	v_mul_f32_e32 v94, v146, v222
	v_fmac_f32_e32 v158, v150, v225
	v_fma_f32 v94, v145, v221, -v94
	v_add_f32_e32 v157, v157, v158
	s_waitcnt vmcnt(15)
	v_mul_f32_e32 v158, v151, v227
	v_add_f32_e32 v93, v93, v94
	v_mul_f32_e32 v94, v148, v224
	s_waitcnt vmcnt(14)
	v_fmac_f32_e32 v158, v152, v228
	v_fma_f32 v94, v147, v223, -v94
	v_add_f32_e32 v157, v157, v158
	s_waitcnt vmcnt(12) lgkmcnt(0)
	v_mul_f32_e32 v158, v153, v230
	v_add_f32_e32 v93, v93, v94
	v_mul_f32_e32 v94, v150, v226
	v_fmac_f32_e32 v158, v154, v229
	v_fma_f32 v94, v149, v225, -v94
	v_add_f32_e32 v161, v157, v158
	ds_read_b128 v[157:160], v92 offset:688
	v_add_f32_e32 v93, v93, v94
	v_mul_f32_e32 v94, v152, v227
	v_fma_f32 v94, v151, v228, -v94
	v_add_f32_e32 v93, v93, v94
	v_mul_f32_e32 v94, v154, v230
	s_waitcnt vmcnt(10)
	v_mul_f32_e32 v162, v155, v232
	v_fma_f32 v94, v153, v229, -v94
	v_fmac_f32_e32 v162, v156, v231
	v_add_f32_e32 v93, v93, v94
	v_mul_f32_e32 v94, v156, v232
	v_add_f32_e32 v165, v161, v162
	ds_read_b128 v[161:164], v92 offset:704
	s_waitcnt vmcnt(8) lgkmcnt(1)
	v_mul_f32_e32 v166, v157, v234
	v_fma_f32 v94, v155, v231, -v94
	v_fmac_f32_e32 v166, v158, v233
	v_add_f32_e32 v93, v93, v94
	v_mul_f32_e32 v94, v158, v234
	v_add_f32_e32 v165, v165, v166
	s_waitcnt vmcnt(7)
	v_mul_f32_e32 v166, v159, v235
	v_fma_f32 v94, v157, v233, -v94
	s_waitcnt vmcnt(6)
	v_fmac_f32_e32 v166, v160, v236
	v_add_f32_e32 v93, v93, v94
	v_mul_f32_e32 v94, v160, v235
	v_add_f32_e32 v243, v165, v166
	ds_read_b64 v[165:166], v92 offset:720
	v_fma_f32 v94, v159, v236, -v94
	v_add_f32_e32 v93, v93, v94
	s_waitcnt vmcnt(4) lgkmcnt(1)
	v_mul_f32_e32 v94, v162, v238
	v_mul_f32_e32 v244, v161, v238
	v_fma_f32 v94, v161, v237, -v94
	v_fmac_f32_e32 v244, v162, v237
	v_add_f32_e32 v93, v93, v94
	s_waitcnt vmcnt(3)
	v_mul_f32_e32 v94, v164, v239
	v_add_f32_e32 v243, v243, v244
	v_mul_f32_e32 v244, v163, v239
	s_waitcnt vmcnt(2)
	v_fma_f32 v94, v163, v240, -v94
	v_fmac_f32_e32 v244, v164, v240
	v_add_f32_e32 v93, v93, v94
	s_waitcnt vmcnt(0) lgkmcnt(0)
	v_mul_f32_e32 v94, v166, v242
	v_add_f32_e32 v243, v243, v244
	v_mul_f32_e32 v244, v165, v242
	v_fma_f32 v94, v165, v241, -v94
	v_fmac_f32_e32 v244, v166, v241
	v_add_f32_e32 v93, v93, v94
	v_add_f32_e32 v243, v243, v244
	v_sub_f32_e32 v93, v189, v93
	v_sub_f32_e32 v94, v190, v243
	buffer_store_dword v93, off, s[0:3], 0 offset:56
	buffer_store_dword v94, off, s[0:3], 0 offset:60
	s_and_saveexec_b64 s[4:5], vcc
	s_cbranch_execz .LBB108_271
; %bb.270:
	buffer_load_dword v93, off, s[0:3], 0 offset:48
	buffer_load_dword v94, off, s[0:3], 0 offset:52
	s_waitcnt vmcnt(0)
	ds_write_b64 v91, v[93:94]
	buffer_store_dword v92, off, s[0:3], 0 offset:48
	buffer_store_dword v92, off, s[0:3], 0 offset:52
.LBB108_271:
	s_or_b64 exec, exec, s[4:5]
	s_waitcnt lgkmcnt(0)
	; wave barrier
	buffer_load_dword v169, off, s[0:3], 0 offset:60
	buffer_load_dword v170, off, s[0:3], 0 offset:68
	;; [unrolled: 1-line block ×26, first 2 shown]
	ds_read2_b64 v[93:96], v92 offset0:53 offset1:54
	ds_read2_b64 v[97:100], v92 offset0:55 offset1:56
	;; [unrolled: 1-line block ×4, first 2 shown]
	buffer_load_dword v195, off, s[0:3], 0 offset:156
	ds_read2_b64 v[109:112], v92 offset0:61 offset1:62
	ds_read2_b64 v[113:116], v92 offset0:63 offset1:64
	buffer_load_dword v196, off, s[0:3], 0 offset:152
	buffer_load_dword v197, off, s[0:3], 0 offset:160
	;; [unrolled: 1-line block ×37, first 2 shown]
	v_cmp_lt_u32_e32 vcc, 5, v0
	s_waitcnt vmcnt(62) lgkmcnt(5)
	v_mul_f32_e32 v117, v93, v169
	v_mul_f32_e32 v118, v95, v170
	s_waitcnt vmcnt(61) lgkmcnt(4)
	v_mul_f32_e32 v119, v97, v171
	s_waitcnt vmcnt(60)
	v_mul_f32_e32 v120, v99, v172
	s_waitcnt vmcnt(59) lgkmcnt(3)
	v_mul_f32_e32 v121, v101, v173
	s_waitcnt vmcnt(58)
	;; [unrolled: 4-line block ×4, first 2 shown]
	v_mul_f32_e32 v126, v111, v178
	s_waitcnt vmcnt(53)
	v_fmac_f32_e32 v117, v94, v179
	s_waitcnt vmcnt(52)
	v_fmac_f32_e32 v118, v96, v180
	v_add_f32_e32 v117, 0, v117
	s_waitcnt vmcnt(51)
	v_fmac_f32_e32 v119, v98, v181
	v_add_f32_e32 v117, v117, v118
	;; [unrolled: 3-line block ×9, first 2 shown]
	s_waitcnt vmcnt(43) lgkmcnt(0)
	v_mul_f32_e32 v118, v113, v189
	v_add_f32_e32 v117, v117, v126
	s_waitcnt vmcnt(42)
	v_fmac_f32_e32 v118, v114, v190
	v_add_f32_e32 v121, v117, v118
	s_waitcnt vmcnt(41)
	v_mul_f32_e32 v122, v115, v191
	ds_read2_b64 v[117:120], v92 offset0:65 offset1:66
	buffer_load_dword v233, off, s[0:3], 0 offset:304
	buffer_load_dword v234, off, s[0:3], 0 offset:308
	s_waitcnt vmcnt(42)
	v_fmac_f32_e32 v122, v116, v192
	v_add_f32_e32 v125, v121, v122
	ds_read2_b64 v[121:124], v92 offset0:67 offset1:68
	buffer_load_dword v235, off, s[0:3], 0 offset:312
	buffer_load_dword v236, off, s[0:3], 0 offset:316
	;; [unrolled: 1-line block ×12, first 2 shown]
	v_mul_f32_e32 v94, v94, v169
	v_fma_f32 v93, v93, v179, -v94
	v_mul_f32_e32 v94, v96, v170
	v_add_f32_e32 v93, 0, v93
	v_fma_f32 v94, v95, v180, -v94
	v_add_f32_e32 v93, v93, v94
	v_mul_f32_e32 v94, v98, v171
	v_fma_f32 v94, v97, v181, -v94
	v_add_f32_e32 v93, v93, v94
	v_mul_f32_e32 v94, v100, v172
	v_fma_f32 v94, v99, v182, -v94
	s_waitcnt vmcnt(51) lgkmcnt(1)
	v_mul_f32_e32 v126, v117, v195
	v_add_f32_e32 v93, v93, v94
	v_mul_f32_e32 v94, v102, v173
	s_waitcnt vmcnt(50)
	v_fmac_f32_e32 v126, v118, v196
	v_fma_f32 v94, v101, v183, -v94
	v_add_f32_e32 v125, v125, v126
	s_waitcnt vmcnt(48)
	v_mul_f32_e32 v126, v119, v198
	v_add_f32_e32 v93, v93, v94
	v_mul_f32_e32 v94, v104, v174
	v_fmac_f32_e32 v126, v120, v197
	v_fma_f32 v94, v103, v184, -v94
	v_add_f32_e32 v125, v125, v126
	s_waitcnt vmcnt(46) lgkmcnt(0)
	v_mul_f32_e32 v126, v121, v200
	v_add_f32_e32 v93, v93, v94
	v_mul_f32_e32 v94, v106, v175
	v_fmac_f32_e32 v126, v122, v199
	v_fma_f32 v94, v105, v185, -v94
	v_add_f32_e32 v129, v125, v126
	ds_read2_b64 v[125:128], v92 offset0:69 offset1:70
	v_add_f32_e32 v93, v93, v94
	v_mul_f32_e32 v94, v108, v176
	v_fma_f32 v94, v107, v186, -v94
	s_waitcnt vmcnt(44)
	v_mul_f32_e32 v130, v123, v202
	v_add_f32_e32 v93, v93, v94
	v_mul_f32_e32 v94, v110, v177
	v_fmac_f32_e32 v130, v124, v201
	v_fma_f32 v94, v109, v187, -v94
	v_add_f32_e32 v133, v129, v130
	ds_read2_b64 v[129:132], v92 offset0:71 offset1:72
	v_add_f32_e32 v93, v93, v94
	v_mul_f32_e32 v94, v112, v178
	s_waitcnt vmcnt(42) lgkmcnt(1)
	v_mul_f32_e32 v134, v125, v204
	v_fma_f32 v94, v111, v188, -v94
	v_fmac_f32_e32 v134, v126, v203
	v_add_f32_e32 v93, v93, v94
	v_mul_f32_e32 v94, v114, v189
	v_add_f32_e32 v133, v133, v134
	s_waitcnt vmcnt(40)
	v_mul_f32_e32 v134, v127, v206
	v_fma_f32 v94, v113, v190, -v94
	v_fmac_f32_e32 v134, v128, v205
	v_add_f32_e32 v93, v93, v94
	v_mul_f32_e32 v94, v116, v191
	v_add_f32_e32 v133, v133, v134
	s_waitcnt vmcnt(38) lgkmcnt(0)
	v_mul_f32_e32 v134, v129, v208
	v_fma_f32 v94, v115, v192, -v94
	v_fmac_f32_e32 v134, v130, v207
	v_add_f32_e32 v93, v93, v94
	v_mul_f32_e32 v94, v118, v195
	v_add_f32_e32 v137, v133, v134
	ds_read2_b64 v[133:136], v92 offset0:73 offset1:74
	v_fma_f32 v94, v117, v196, -v94
	v_add_f32_e32 v93, v93, v94
	v_mul_f32_e32 v94, v120, v198
	s_waitcnt vmcnt(36)
	v_mul_f32_e32 v138, v131, v210
	v_fma_f32 v94, v119, v197, -v94
	v_fmac_f32_e32 v138, v132, v209
	v_add_f32_e32 v93, v93, v94
	v_mul_f32_e32 v94, v122, v200
	v_add_f32_e32 v141, v137, v138
	ds_read2_b64 v[137:140], v92 offset0:75 offset1:76
	v_fma_f32 v94, v121, v199, -v94
	s_waitcnt vmcnt(34) lgkmcnt(1)
	v_mul_f32_e32 v142, v133, v212
	v_add_f32_e32 v93, v93, v94
	v_mul_f32_e32 v94, v124, v202
	v_fmac_f32_e32 v142, v134, v211
	v_fma_f32 v94, v123, v201, -v94
	v_add_f32_e32 v141, v141, v142
	s_waitcnt vmcnt(32)
	v_mul_f32_e32 v142, v135, v214
	v_add_f32_e32 v93, v93, v94
	v_mul_f32_e32 v94, v126, v204
	v_fmac_f32_e32 v142, v136, v213
	v_fma_f32 v94, v125, v203, -v94
	v_add_f32_e32 v141, v141, v142
	s_waitcnt vmcnt(30) lgkmcnt(0)
	v_mul_f32_e32 v142, v137, v216
	v_add_f32_e32 v93, v93, v94
	v_mul_f32_e32 v94, v128, v206
	v_fmac_f32_e32 v142, v138, v215
	v_fma_f32 v94, v127, v205, -v94
	v_add_f32_e32 v145, v141, v142
	ds_read2_b64 v[141:144], v92 offset0:77 offset1:78
	v_add_f32_e32 v93, v93, v94
	v_mul_f32_e32 v94, v130, v208
	v_fma_f32 v94, v129, v207, -v94
	s_waitcnt vmcnt(28)
	v_mul_f32_e32 v146, v139, v218
	v_add_f32_e32 v93, v93, v94
	v_mul_f32_e32 v94, v132, v210
	v_fmac_f32_e32 v146, v140, v217
	v_fma_f32 v94, v131, v209, -v94
	v_add_f32_e32 v149, v145, v146
	ds_read2_b64 v[145:148], v92 offset0:79 offset1:80
	v_add_f32_e32 v93, v93, v94
	v_mul_f32_e32 v94, v134, v212
	s_waitcnt vmcnt(26) lgkmcnt(1)
	v_mul_f32_e32 v150, v141, v220
	v_fma_f32 v94, v133, v211, -v94
	v_fmac_f32_e32 v150, v142, v219
	v_add_f32_e32 v93, v93, v94
	v_mul_f32_e32 v94, v136, v214
	v_add_f32_e32 v149, v149, v150
	s_waitcnt vmcnt(25)
	v_mul_f32_e32 v150, v143, v221
	v_fma_f32 v94, v135, v213, -v94
	s_waitcnt vmcnt(24)
	v_fmac_f32_e32 v150, v144, v222
	v_add_f32_e32 v93, v93, v94
	v_mul_f32_e32 v94, v138, v216
	v_add_f32_e32 v149, v149, v150
	s_waitcnt vmcnt(22) lgkmcnt(0)
	v_mul_f32_e32 v150, v145, v224
	v_fma_f32 v94, v137, v215, -v94
	v_fmac_f32_e32 v150, v146, v223
	v_add_f32_e32 v93, v93, v94
	v_mul_f32_e32 v94, v140, v218
	v_add_f32_e32 v153, v149, v150
	ds_read2_b64 v[149:152], v92 offset0:81 offset1:82
	v_fma_f32 v94, v139, v217, -v94
	v_add_f32_e32 v93, v93, v94
	v_mul_f32_e32 v94, v142, v220
	s_waitcnt vmcnt(20)
	v_mul_f32_e32 v154, v147, v226
	v_fma_f32 v94, v141, v219, -v94
	v_fmac_f32_e32 v154, v148, v225
	v_add_f32_e32 v93, v93, v94
	v_mul_f32_e32 v94, v144, v221
	v_add_f32_e32 v157, v153, v154
	ds_read2_b64 v[153:156], v92 offset0:83 offset1:84
	v_fma_f32 v94, v143, v222, -v94
	s_waitcnt vmcnt(18) lgkmcnt(1)
	v_mul_f32_e32 v158, v149, v228
	v_add_f32_e32 v93, v93, v94
	v_mul_f32_e32 v94, v146, v224
	v_fmac_f32_e32 v158, v150, v227
	v_fma_f32 v94, v145, v223, -v94
	v_add_f32_e32 v157, v157, v158
	s_waitcnt vmcnt(17)
	v_mul_f32_e32 v158, v151, v229
	v_add_f32_e32 v93, v93, v94
	v_mul_f32_e32 v94, v148, v226
	s_waitcnt vmcnt(16)
	v_fmac_f32_e32 v158, v152, v230
	v_fma_f32 v94, v147, v225, -v94
	v_add_f32_e32 v157, v157, v158
	s_waitcnt vmcnt(14) lgkmcnt(0)
	v_mul_f32_e32 v158, v153, v232
	v_add_f32_e32 v93, v93, v94
	v_mul_f32_e32 v94, v150, v228
	v_fmac_f32_e32 v158, v154, v231
	v_fma_f32 v94, v149, v227, -v94
	v_add_f32_e32 v161, v157, v158
	ds_read2_b64 v[157:160], v92 offset0:85 offset1:86
	v_add_f32_e32 v93, v93, v94
	v_mul_f32_e32 v94, v152, v229
	v_fma_f32 v94, v151, v230, -v94
	v_add_f32_e32 v93, v93, v94
	v_mul_f32_e32 v94, v154, v232
	s_waitcnt vmcnt(12)
	v_mul_f32_e32 v162, v155, v234
	v_fma_f32 v94, v153, v231, -v94
	v_fmac_f32_e32 v162, v156, v233
	v_add_f32_e32 v93, v93, v94
	v_mul_f32_e32 v94, v156, v234
	v_add_f32_e32 v165, v161, v162
	ds_read2_b64 v[161:164], v92 offset0:87 offset1:88
	s_waitcnt vmcnt(10) lgkmcnt(1)
	v_mul_f32_e32 v166, v157, v236
	v_fma_f32 v94, v155, v233, -v94
	v_fmac_f32_e32 v166, v158, v235
	v_add_f32_e32 v93, v93, v94
	v_mul_f32_e32 v94, v158, v236
	v_add_f32_e32 v165, v165, v166
	s_waitcnt vmcnt(9)
	v_mul_f32_e32 v166, v159, v237
	v_fma_f32 v94, v157, v235, -v94
	s_waitcnt vmcnt(8)
	v_fmac_f32_e32 v166, v160, v238
	v_add_f32_e32 v93, v93, v94
	v_mul_f32_e32 v94, v160, v237
	v_add_f32_e32 v247, v165, v166
	ds_read2_b64 v[165:168], v92 offset0:89 offset1:90
	v_fma_f32 v94, v159, v238, -v94
	v_add_f32_e32 v93, v93, v94
	s_waitcnt vmcnt(6) lgkmcnt(1)
	v_mul_f32_e32 v94, v162, v240
	v_mul_f32_e32 v248, v161, v240
	v_fma_f32 v94, v161, v239, -v94
	v_fmac_f32_e32 v248, v162, v239
	v_add_f32_e32 v93, v93, v94
	s_waitcnt vmcnt(4)
	v_mul_f32_e32 v94, v164, v242
	v_add_f32_e32 v92, v247, v248
	v_mul_f32_e32 v247, v163, v242
	v_fma_f32 v94, v163, v241, -v94
	v_fmac_f32_e32 v247, v164, v241
	v_add_f32_e32 v93, v93, v94
	s_waitcnt vmcnt(3) lgkmcnt(0)
	v_mul_f32_e32 v94, v166, v243
	v_add_f32_e32 v92, v92, v247
	v_mul_f32_e32 v247, v165, v243
	s_waitcnt vmcnt(2)
	v_fma_f32 v94, v165, v244, -v94
	v_fmac_f32_e32 v247, v166, v244
	v_add_f32_e32 v93, v93, v94
	s_waitcnt vmcnt(0)
	v_mul_f32_e32 v94, v168, v246
	v_add_f32_e32 v92, v92, v247
	v_mul_f32_e32 v247, v167, v246
	v_fma_f32 v94, v167, v245, -v94
	v_fmac_f32_e32 v247, v168, v245
	v_add_f32_e32 v93, v93, v94
	v_add_f32_e32 v92, v92, v247
	v_sub_f32_e32 v93, v193, v93
	v_sub_f32_e32 v92, v194, v92
	buffer_store_dword v93, off, s[0:3], 0 offset:48
	buffer_store_dword v92, off, s[0:3], 0 offset:52
	s_and_saveexec_b64 s[4:5], vcc
	s_cbranch_execz .LBB108_273
; %bb.272:
	buffer_load_dword v92, off, s[0:3], 0 offset:40
	buffer_load_dword v93, off, s[0:3], 0 offset:44
	v_mov_b32_e32 v94, 0
	buffer_store_dword v94, off, s[0:3], 0 offset:40
	buffer_store_dword v94, off, s[0:3], 0 offset:44
	s_waitcnt vmcnt(2)
	ds_write_b64 v91, v[92:93]
.LBB108_273:
	s_or_b64 exec, exec, s[4:5]
	s_waitcnt lgkmcnt(0)
	; wave barrier
	buffer_load_dword v171, off, s[0:3], 0 offset:52
	buffer_load_dword v172, off, s[0:3], 0 offset:60
	;; [unrolled: 1-line block ×52, first 2 shown]
	v_mov_b32_e32 v92, 0
	ds_read_b128 v[93:96], v92 offset:416
	ds_read_b128 v[97:100], v92 offset:432
	;; [unrolled: 1-line block ×6, first 2 shown]
	buffer_load_dword v223, off, s[0:3], 0 offset:252
	buffer_load_dword v224, off, s[0:3], 0 offset:248
	buffer_load_dword v225, off, s[0:3], 0 offset:256
	buffer_load_dword v226, off, s[0:3], 0 offset:260
	buffer_load_dword v227, off, s[0:3], 0 offset:264
	buffer_load_dword v228, off, s[0:3], 0 offset:268
	buffer_load_dword v229, off, s[0:3], 0 offset:272
	buffer_load_dword v230, off, s[0:3], 0 offset:276
	v_cmp_lt_u32_e32 vcc, 4, v0
	s_waitcnt vmcnt(59) lgkmcnt(5)
	v_mul_f32_e32 v117, v93, v171
	s_waitcnt vmcnt(58)
	v_mul_f32_e32 v118, v95, v172
	s_waitcnt vmcnt(57) lgkmcnt(4)
	v_mul_f32_e32 v119, v97, v173
	s_waitcnt vmcnt(56)
	v_mul_f32_e32 v120, v99, v174
	;; [unrolled: 4-line block ×5, first 2 shown]
	s_waitcnt vmcnt(49) lgkmcnt(0)
	v_mul_f32_e32 v127, v113, v181
	s_waitcnt vmcnt(48)
	v_fmac_f32_e32 v117, v94, v182
	s_waitcnt vmcnt(47)
	v_fmac_f32_e32 v118, v96, v183
	v_add_f32_e32 v117, 0, v117
	s_waitcnt vmcnt(46)
	v_fmac_f32_e32 v119, v98, v184
	v_add_f32_e32 v117, v117, v118
	s_waitcnt vmcnt(45)
	v_fmac_f32_e32 v120, v100, v185
	v_add_f32_e32 v117, v117, v119
	s_waitcnt vmcnt(44)
	v_fmac_f32_e32 v121, v102, v186
	v_add_f32_e32 v117, v117, v120
	s_waitcnt vmcnt(43)
	v_fmac_f32_e32 v122, v104, v187
	v_add_f32_e32 v117, v117, v121
	s_waitcnt vmcnt(42)
	v_fmac_f32_e32 v123, v106, v188
	v_add_f32_e32 v117, v117, v122
	s_waitcnt vmcnt(41)
	v_fmac_f32_e32 v124, v108, v189
	v_add_f32_e32 v117, v117, v123
	s_waitcnt vmcnt(40)
	v_fmac_f32_e32 v125, v110, v190
	v_add_f32_e32 v117, v117, v124
	s_waitcnt vmcnt(39)
	v_fmac_f32_e32 v126, v112, v191
	v_add_f32_e32 v117, v117, v125
	v_add_f32_e32 v117, v117, v126
	s_waitcnt vmcnt(38)
	v_fmac_f32_e32 v127, v114, v192
	s_waitcnt vmcnt(37)
	v_mul_f32_e32 v118, v115, v193
	v_add_f32_e32 v117, v117, v127
	s_waitcnt vmcnt(36)
	v_fmac_f32_e32 v118, v116, v194
	v_add_f32_e32 v125, v117, v118
	ds_read_b128 v[117:120], v92 offset:512
	buffer_load_dword v231, off, s[0:3], 0 offset:284
	buffer_load_dword v232, off, s[0:3], 0 offset:280
	;; [unrolled: 1-line block ×4, first 2 shown]
	ds_read_b128 v[121:124], v92 offset:528
	buffer_load_dword v235, off, s[0:3], 0 offset:296
	buffer_load_dword v236, off, s[0:3], 0 offset:300
	;; [unrolled: 1-line block ×10, first 2 shown]
	s_waitcnt vmcnt(46) lgkmcnt(1)
	v_mul_f32_e32 v126, v117, v198
	v_fmac_f32_e32 v126, v118, v197
	v_add_f32_e32 v125, v125, v126
	s_waitcnt vmcnt(44)
	v_mul_f32_e32 v126, v119, v200
	buffer_load_dword v245, off, s[0:3], 0 offset:336
	buffer_load_dword v246, off, s[0:3], 0 offset:340
	v_fmac_f32_e32 v126, v120, v199
	v_add_f32_e32 v125, v125, v126
	s_waitcnt vmcnt(44) lgkmcnt(0)
	v_mul_f32_e32 v126, v121, v202
	v_fmac_f32_e32 v126, v122, v201
	v_add_f32_e32 v129, v125, v126
	ds_read_b128 v[125:128], v92 offset:544
	buffer_load_dword v247, off, s[0:3], 0 offset:348
	buffer_load_dword v248, off, s[0:3], 0 offset:344
	;; [unrolled: 1-line block ×4, first 2 shown]
	v_mul_f32_e32 v94, v94, v171
	v_fma_f32 v93, v93, v182, -v94
	v_mul_f32_e32 v94, v96, v172
	v_add_f32_e32 v93, 0, v93
	v_fma_f32 v94, v95, v183, -v94
	v_add_f32_e32 v93, v93, v94
	v_mul_f32_e32 v94, v98, v173
	v_fma_f32 v94, v97, v184, -v94
	v_add_f32_e32 v93, v93, v94
	v_mul_f32_e32 v94, v100, v174
	;; [unrolled: 3-line block ×5, first 2 shown]
	v_fma_f32 v94, v105, v188, -v94
	s_waitcnt vmcnt(46)
	v_mul_f32_e32 v130, v123, v204
	v_add_f32_e32 v93, v93, v94
	v_mul_f32_e32 v94, v108, v178
	v_fmac_f32_e32 v130, v124, v203
	v_fma_f32 v94, v107, v189, -v94
	v_add_f32_e32 v133, v129, v130
	ds_read_b128 v[129:132], v92 offset:560
	v_add_f32_e32 v93, v93, v94
	v_mul_f32_e32 v94, v110, v179
	s_waitcnt vmcnt(44) lgkmcnt(1)
	v_mul_f32_e32 v134, v125, v206
	v_fma_f32 v94, v109, v190, -v94
	v_fmac_f32_e32 v134, v126, v205
	v_add_f32_e32 v93, v93, v94
	v_mul_f32_e32 v94, v112, v180
	v_add_f32_e32 v133, v133, v134
	s_waitcnt vmcnt(42)
	v_mul_f32_e32 v134, v127, v208
	v_fma_f32 v94, v111, v191, -v94
	v_fmac_f32_e32 v134, v128, v207
	v_add_f32_e32 v93, v93, v94
	v_mul_f32_e32 v94, v114, v181
	v_add_f32_e32 v133, v133, v134
	s_waitcnt vmcnt(40) lgkmcnt(0)
	v_mul_f32_e32 v134, v129, v210
	v_fma_f32 v94, v113, v192, -v94
	v_fmac_f32_e32 v134, v130, v209
	v_add_f32_e32 v93, v93, v94
	v_mul_f32_e32 v94, v116, v193
	v_add_f32_e32 v137, v133, v134
	ds_read_b128 v[133:136], v92 offset:576
	v_fma_f32 v94, v115, v194, -v94
	v_add_f32_e32 v93, v93, v94
	v_mul_f32_e32 v94, v118, v198
	s_waitcnt vmcnt(38)
	v_mul_f32_e32 v138, v131, v212
	v_fma_f32 v94, v117, v197, -v94
	v_fmac_f32_e32 v138, v132, v211
	v_add_f32_e32 v93, v93, v94
	v_mul_f32_e32 v94, v120, v200
	v_add_f32_e32 v141, v137, v138
	ds_read_b128 v[137:140], v92 offset:592
	v_fma_f32 v94, v119, v199, -v94
	s_waitcnt vmcnt(36) lgkmcnt(1)
	v_mul_f32_e32 v142, v133, v214
	v_add_f32_e32 v93, v93, v94
	v_mul_f32_e32 v94, v122, v202
	v_fmac_f32_e32 v142, v134, v213
	v_fma_f32 v94, v121, v201, -v94
	v_add_f32_e32 v141, v141, v142
	s_waitcnt vmcnt(34)
	v_mul_f32_e32 v142, v135, v216
	v_add_f32_e32 v93, v93, v94
	v_mul_f32_e32 v94, v124, v204
	v_fmac_f32_e32 v142, v136, v215
	v_fma_f32 v94, v123, v203, -v94
	v_add_f32_e32 v141, v141, v142
	s_waitcnt vmcnt(32) lgkmcnt(0)
	v_mul_f32_e32 v142, v137, v218
	v_add_f32_e32 v93, v93, v94
	v_mul_f32_e32 v94, v126, v206
	v_fmac_f32_e32 v142, v138, v217
	v_fma_f32 v94, v125, v205, -v94
	v_add_f32_e32 v145, v141, v142
	ds_read_b128 v[141:144], v92 offset:608
	v_add_f32_e32 v93, v93, v94
	v_mul_f32_e32 v94, v128, v208
	v_fma_f32 v94, v127, v207, -v94
	s_waitcnt vmcnt(30)
	v_mul_f32_e32 v146, v139, v220
	v_add_f32_e32 v93, v93, v94
	v_mul_f32_e32 v94, v130, v210
	v_fmac_f32_e32 v146, v140, v219
	v_fma_f32 v94, v129, v209, -v94
	v_add_f32_e32 v149, v145, v146
	ds_read_b128 v[145:148], v92 offset:624
	v_add_f32_e32 v93, v93, v94
	v_mul_f32_e32 v94, v132, v212
	s_waitcnt vmcnt(28) lgkmcnt(1)
	v_mul_f32_e32 v150, v141, v222
	v_fma_f32 v94, v131, v211, -v94
	v_fmac_f32_e32 v150, v142, v221
	v_add_f32_e32 v93, v93, v94
	v_mul_f32_e32 v94, v134, v214
	v_add_f32_e32 v149, v149, v150
	s_waitcnt vmcnt(27)
	v_mul_f32_e32 v150, v143, v223
	v_fma_f32 v94, v133, v213, -v94
	s_waitcnt vmcnt(26)
	v_fmac_f32_e32 v150, v144, v224
	v_add_f32_e32 v93, v93, v94
	v_mul_f32_e32 v94, v136, v216
	v_add_f32_e32 v149, v149, v150
	s_waitcnt vmcnt(24) lgkmcnt(0)
	v_mul_f32_e32 v150, v145, v226
	v_fma_f32 v94, v135, v215, -v94
	v_fmac_f32_e32 v150, v146, v225
	v_add_f32_e32 v93, v93, v94
	v_mul_f32_e32 v94, v138, v218
	v_add_f32_e32 v153, v149, v150
	ds_read_b128 v[149:152], v92 offset:640
	v_fma_f32 v94, v137, v217, -v94
	v_add_f32_e32 v93, v93, v94
	v_mul_f32_e32 v94, v140, v220
	s_waitcnt vmcnt(22)
	v_mul_f32_e32 v154, v147, v228
	v_fma_f32 v94, v139, v219, -v94
	v_fmac_f32_e32 v154, v148, v227
	v_add_f32_e32 v93, v93, v94
	v_mul_f32_e32 v94, v142, v222
	v_add_f32_e32 v157, v153, v154
	ds_read_b128 v[153:156], v92 offset:656
	v_fma_f32 v94, v141, v221, -v94
	s_waitcnt vmcnt(20) lgkmcnt(1)
	v_mul_f32_e32 v158, v149, v230
	v_add_f32_e32 v93, v93, v94
	v_mul_f32_e32 v94, v144, v223
	v_fmac_f32_e32 v158, v150, v229
	v_fma_f32 v94, v143, v224, -v94
	v_add_f32_e32 v157, v157, v158
	s_waitcnt vmcnt(19)
	v_mul_f32_e32 v158, v151, v231
	v_add_f32_e32 v93, v93, v94
	v_mul_f32_e32 v94, v146, v226
	s_waitcnt vmcnt(18)
	v_fmac_f32_e32 v158, v152, v232
	v_fma_f32 v94, v145, v225, -v94
	v_add_f32_e32 v157, v157, v158
	s_waitcnt vmcnt(16) lgkmcnt(0)
	v_mul_f32_e32 v158, v153, v234
	v_add_f32_e32 v93, v93, v94
	v_mul_f32_e32 v94, v148, v228
	v_fmac_f32_e32 v158, v154, v233
	v_fma_f32 v94, v147, v227, -v94
	v_add_f32_e32 v161, v157, v158
	ds_read_b128 v[157:160], v92 offset:672
	v_add_f32_e32 v93, v93, v94
	v_mul_f32_e32 v94, v150, v230
	v_fma_f32 v94, v149, v229, -v94
	s_waitcnt vmcnt(14)
	v_mul_f32_e32 v162, v155, v236
	v_add_f32_e32 v93, v93, v94
	v_mul_f32_e32 v94, v152, v231
	v_fmac_f32_e32 v162, v156, v235
	v_fma_f32 v94, v151, v232, -v94
	v_add_f32_e32 v165, v161, v162
	ds_read_b128 v[161:164], v92 offset:688
	v_add_f32_e32 v93, v93, v94
	v_mul_f32_e32 v94, v154, v234
	s_waitcnt vmcnt(12) lgkmcnt(1)
	v_mul_f32_e32 v166, v157, v238
	v_fma_f32 v94, v153, v233, -v94
	v_fmac_f32_e32 v166, v158, v237
	v_add_f32_e32 v93, v93, v94
	v_mul_f32_e32 v94, v156, v236
	v_add_f32_e32 v165, v165, v166
	s_waitcnt vmcnt(11)
	v_mul_f32_e32 v166, v159, v239
	v_fma_f32 v94, v155, v235, -v94
	s_waitcnt vmcnt(10)
	v_fmac_f32_e32 v166, v160, v240
	v_add_f32_e32 v93, v93, v94
	v_mul_f32_e32 v94, v158, v238
	v_add_f32_e32 v165, v165, v166
	s_waitcnt vmcnt(8) lgkmcnt(0)
	v_mul_f32_e32 v166, v161, v242
	v_fma_f32 v94, v157, v237, -v94
	v_fmac_f32_e32 v166, v162, v241
	v_add_f32_e32 v93, v93, v94
	v_mul_f32_e32 v94, v160, v239
	v_add_f32_e32 v169, v165, v166
	ds_read_b128 v[165:168], v92 offset:704
	v_fma_f32 v94, v159, v240, -v94
	v_add_f32_e32 v93, v93, v94
	v_mul_f32_e32 v94, v162, v242
	s_waitcnt vmcnt(6)
	v_mul_f32_e32 v170, v163, v244
	v_fma_f32 v94, v161, v241, -v94
	v_fmac_f32_e32 v170, v164, v243
	v_add_f32_e32 v93, v93, v94
	v_mul_f32_e32 v94, v164, v244
	v_add_f32_e32 v251, v169, v170
	ds_read_b64 v[169:170], v92 offset:720
	v_fma_f32 v94, v163, v243, -v94
	v_add_f32_e32 v93, v93, v94
	s_waitcnt vmcnt(4) lgkmcnt(1)
	v_mul_f32_e32 v94, v166, v246
	v_mul_f32_e32 v252, v165, v246
	v_fma_f32 v94, v165, v245, -v94
	v_fmac_f32_e32 v252, v166, v245
	v_add_f32_e32 v93, v93, v94
	s_waitcnt vmcnt(3)
	v_mul_f32_e32 v94, v168, v247
	v_add_f32_e32 v251, v251, v252
	v_mul_f32_e32 v252, v167, v247
	s_waitcnt vmcnt(2)
	v_fma_f32 v94, v167, v248, -v94
	v_fmac_f32_e32 v252, v168, v248
	v_add_f32_e32 v93, v93, v94
	s_waitcnt vmcnt(0) lgkmcnt(0)
	v_mul_f32_e32 v94, v170, v250
	v_add_f32_e32 v251, v251, v252
	v_mul_f32_e32 v252, v169, v250
	v_fma_f32 v94, v169, v249, -v94
	v_fmac_f32_e32 v252, v170, v249
	v_add_f32_e32 v93, v93, v94
	v_add_f32_e32 v251, v251, v252
	v_sub_f32_e32 v93, v195, v93
	v_sub_f32_e32 v94, v196, v251
	buffer_store_dword v93, off, s[0:3], 0 offset:40
	buffer_store_dword v94, off, s[0:3], 0 offset:44
	s_and_saveexec_b64 s[4:5], vcc
	s_cbranch_execz .LBB108_275
; %bb.274:
	buffer_load_dword v93, off, s[0:3], 0 offset:32
	buffer_load_dword v94, off, s[0:3], 0 offset:36
	s_waitcnt vmcnt(0)
	ds_write_b64 v91, v[93:94]
	buffer_store_dword v92, off, s[0:3], 0 offset:32
	buffer_store_dword v92, off, s[0:3], 0 offset:36
.LBB108_275:
	s_or_b64 exec, exec, s[4:5]
	s_waitcnt lgkmcnt(0)
	; wave barrier
	buffer_load_dword v173, off, s[0:3], 0 offset:44
	buffer_load_dword v174, off, s[0:3], 0 offset:52
	;; [unrolled: 1-line block ×32, first 2 shown]
	ds_read2_b64 v[93:96], v92 offset0:51 offset1:52
	ds_read2_b64 v[97:100], v92 offset0:53 offset1:54
	;; [unrolled: 1-line block ×6, first 2 shown]
	buffer_load_dword v205, off, s[0:3], 0 offset:160
	buffer_load_dword v206, off, s[0:3], 0 offset:164
	;; [unrolled: 1-line block ×26, first 2 shown]
	v_cmp_lt_u32_e32 vcc, 3, v0
	s_waitcnt vmcnt(57) lgkmcnt(5)
	v_mul_f32_e32 v117, v93, v173
	s_waitcnt vmcnt(56)
	v_mul_f32_e32 v118, v95, v174
	s_waitcnt vmcnt(55) lgkmcnt(4)
	v_mul_f32_e32 v119, v97, v175
	s_waitcnt vmcnt(54)
	v_mul_f32_e32 v120, v99, v176
	;; [unrolled: 4-line block ×5, first 2 shown]
	s_waitcnt vmcnt(47) lgkmcnt(0)
	v_mul_f32_e32 v127, v113, v183
	s_waitcnt vmcnt(46)
	v_fmac_f32_e32 v119, v98, v184
	s_waitcnt vmcnt(45)
	v_fmac_f32_e32 v118, v96, v185
	;; [unrolled: 2-line block ×3, first 2 shown]
	v_add_f32_e32 v117, 0, v117
	v_add_f32_e32 v117, v117, v118
	;; [unrolled: 1-line block ×3, first 2 shown]
	s_waitcnt vmcnt(40)
	v_fmac_f32_e32 v120, v100, v190
	v_fmac_f32_e32 v121, v102, v189
	v_add_f32_e32 v117, v117, v120
	v_fmac_f32_e32 v122, v104, v188
	v_add_f32_e32 v117, v117, v121
	;; [unrolled: 2-line block ×3, first 2 shown]
	s_waitcnt vmcnt(36)
	v_fmac_f32_e32 v124, v108, v194
	v_add_f32_e32 v117, v117, v123
	v_fmac_f32_e32 v125, v110, v193
	v_add_f32_e32 v117, v117, v124
	;; [unrolled: 2-line block ×4, first 2 shown]
	v_add_f32_e32 v121, v117, v127
	ds_read2_b64 v[117:120], v92 offset0:63 offset1:64
	buffer_load_dword v231, off, s[0:3], 0 offset:264
	buffer_load_dword v232, off, s[0:3], 0 offset:268
	;; [unrolled: 1-line block ×6, first 2 shown]
	s_waitcnt vmcnt(41)
	v_mul_f32_e32 v122, v115, v195
	s_waitcnt vmcnt(35)
	v_fmac_f32_e32 v122, v116, v201
	v_add_f32_e32 v125, v121, v122
	ds_read2_b64 v[121:124], v92 offset0:65 offset1:66
	buffer_load_dword v237, off, s[0:3], 0 offset:288
	buffer_load_dword v238, off, s[0:3], 0 offset:292
	;; [unrolled: 1-line block ×10, first 2 shown]
	s_waitcnt vmcnt(44) lgkmcnt(1)
	v_mul_f32_e32 v126, v117, v202
	v_fmac_f32_e32 v126, v118, v200
	v_add_f32_e32 v125, v125, v126
	v_mul_f32_e32 v126, v119, v197
	v_fmac_f32_e32 v126, v120, v196
	v_add_f32_e32 v125, v125, v126
	s_waitcnt lgkmcnt(0)
	v_mul_f32_e32 v126, v121, v199
	buffer_load_dword v247, off, s[0:3], 0 offset:328
	buffer_load_dword v248, off, s[0:3], 0 offset:332
	;; [unrolled: 1-line block ×6, first 2 shown]
	v_fmac_f32_e32 v126, v122, v198
	s_waitcnt vmcnt(46)
	v_mul_f32_e32 v130, v123, v206
	v_add_f32_e32 v129, v125, v126
	v_fmac_f32_e32 v130, v124, v205
	ds_read2_b64 v[125:128], v92 offset0:67 offset1:68
	v_add_f32_e32 v133, v129, v130
	ds_read2_b64 v[129:132], v92 offset0:69 offset1:70
	buffer_load_dword v253, off, s[0:3], 0 offset:352
	buffer_load_dword v254, off, s[0:3], 0 offset:356
	v_mul_f32_e32 v94, v94, v173
	v_fma_f32 v93, v93, v186, -v94
	v_mul_f32_e32 v94, v96, v174
	v_add_f32_e32 v93, 0, v93
	v_fma_f32 v94, v95, v185, -v94
	v_add_f32_e32 v93, v93, v94
	v_mul_f32_e32 v94, v98, v175
	v_fma_f32 v94, v97, v184, -v94
	v_add_f32_e32 v93, v93, v94
	v_mul_f32_e32 v94, v100, v176
	;; [unrolled: 3-line block ×7, first 2 shown]
	s_waitcnt vmcnt(46) lgkmcnt(1)
	v_mul_f32_e32 v134, v125, v208
	v_fma_f32 v94, v109, v193, -v94
	v_fmac_f32_e32 v134, v126, v207
	v_add_f32_e32 v93, v93, v94
	v_mul_f32_e32 v94, v112, v182
	v_add_f32_e32 v133, v133, v134
	s_waitcnt vmcnt(44)
	v_mul_f32_e32 v134, v127, v210
	v_fma_f32 v94, v111, v192, -v94
	v_fmac_f32_e32 v134, v128, v209
	v_add_f32_e32 v93, v93, v94
	v_mul_f32_e32 v94, v114, v183
	v_add_f32_e32 v133, v133, v134
	s_waitcnt vmcnt(42) lgkmcnt(0)
	v_mul_f32_e32 v134, v129, v212
	v_fma_f32 v94, v113, v191, -v94
	v_fmac_f32_e32 v134, v130, v211
	v_add_f32_e32 v93, v93, v94
	v_mul_f32_e32 v94, v116, v195
	v_add_f32_e32 v137, v133, v134
	ds_read2_b64 v[133:136], v92 offset0:71 offset1:72
	v_fma_f32 v94, v115, v201, -v94
	v_add_f32_e32 v93, v93, v94
	v_mul_f32_e32 v94, v118, v202
	s_waitcnt vmcnt(40)
	v_mul_f32_e32 v138, v131, v214
	v_fma_f32 v94, v117, v200, -v94
	v_fmac_f32_e32 v138, v132, v213
	v_add_f32_e32 v93, v93, v94
	v_mul_f32_e32 v94, v120, v197
	v_add_f32_e32 v141, v137, v138
	ds_read2_b64 v[137:140], v92 offset0:73 offset1:74
	v_fma_f32 v94, v119, v196, -v94
	s_waitcnt vmcnt(38) lgkmcnt(1)
	v_mul_f32_e32 v142, v133, v216
	v_add_f32_e32 v93, v93, v94
	v_mul_f32_e32 v94, v122, v199
	v_fmac_f32_e32 v142, v134, v215
	v_fma_f32 v94, v121, v198, -v94
	v_add_f32_e32 v141, v141, v142
	s_waitcnt vmcnt(36)
	v_mul_f32_e32 v142, v135, v218
	v_add_f32_e32 v93, v93, v94
	v_mul_f32_e32 v94, v124, v206
	v_fmac_f32_e32 v142, v136, v217
	v_fma_f32 v94, v123, v205, -v94
	v_add_f32_e32 v141, v141, v142
	s_waitcnt vmcnt(34) lgkmcnt(0)
	v_mul_f32_e32 v142, v137, v220
	v_add_f32_e32 v93, v93, v94
	v_mul_f32_e32 v94, v126, v208
	v_fmac_f32_e32 v142, v138, v219
	v_fma_f32 v94, v125, v207, -v94
	v_add_f32_e32 v145, v141, v142
	ds_read2_b64 v[141:144], v92 offset0:75 offset1:76
	v_add_f32_e32 v93, v93, v94
	v_mul_f32_e32 v94, v128, v210
	v_fma_f32 v94, v127, v209, -v94
	s_waitcnt vmcnt(32)
	v_mul_f32_e32 v146, v139, v222
	v_add_f32_e32 v93, v93, v94
	v_mul_f32_e32 v94, v130, v212
	v_fmac_f32_e32 v146, v140, v221
	v_fma_f32 v94, v129, v211, -v94
	v_add_f32_e32 v149, v145, v146
	ds_read2_b64 v[145:148], v92 offset0:77 offset1:78
	v_add_f32_e32 v93, v93, v94
	v_mul_f32_e32 v94, v132, v214
	s_waitcnt vmcnt(30) lgkmcnt(1)
	v_mul_f32_e32 v150, v141, v224
	v_fma_f32 v94, v131, v213, -v94
	v_fmac_f32_e32 v150, v142, v223
	v_add_f32_e32 v93, v93, v94
	v_mul_f32_e32 v94, v134, v216
	v_add_f32_e32 v149, v149, v150
	s_waitcnt vmcnt(29)
	v_mul_f32_e32 v150, v143, v225
	v_fma_f32 v94, v133, v215, -v94
	s_waitcnt vmcnt(26)
	v_fmac_f32_e32 v150, v144, v228
	v_add_f32_e32 v93, v93, v94
	v_mul_f32_e32 v94, v136, v218
	v_add_f32_e32 v149, v149, v150
	s_waitcnt lgkmcnt(0)
	v_mul_f32_e32 v150, v145, v227
	v_fma_f32 v94, v135, v217, -v94
	v_fmac_f32_e32 v150, v146, v226
	v_add_f32_e32 v93, v93, v94
	v_mul_f32_e32 v94, v138, v220
	v_add_f32_e32 v153, v149, v150
	ds_read2_b64 v[149:152], v92 offset0:79 offset1:80
	v_fma_f32 v94, v137, v219, -v94
	v_add_f32_e32 v93, v93, v94
	v_mul_f32_e32 v94, v140, v222
	s_waitcnt vmcnt(24)
	v_mul_f32_e32 v154, v147, v230
	v_fma_f32 v94, v139, v221, -v94
	v_fmac_f32_e32 v154, v148, v229
	v_add_f32_e32 v93, v93, v94
	v_mul_f32_e32 v94, v142, v224
	v_add_f32_e32 v157, v153, v154
	ds_read2_b64 v[153:156], v92 offset0:81 offset1:82
	v_fma_f32 v94, v141, v223, -v94
	s_waitcnt vmcnt(22) lgkmcnt(1)
	v_mul_f32_e32 v158, v149, v232
	v_add_f32_e32 v93, v93, v94
	v_mul_f32_e32 v94, v144, v225
	v_fmac_f32_e32 v158, v150, v231
	v_fma_f32 v94, v143, v228, -v94
	v_add_f32_e32 v157, v157, v158
	s_waitcnt vmcnt(21)
	v_mul_f32_e32 v158, v151, v233
	v_add_f32_e32 v93, v93, v94
	v_mul_f32_e32 v94, v146, v227
	s_waitcnt vmcnt(18)
	v_fmac_f32_e32 v158, v152, v236
	v_fma_f32 v94, v145, v226, -v94
	v_add_f32_e32 v157, v157, v158
	s_waitcnt lgkmcnt(0)
	v_mul_f32_e32 v158, v153, v235
	v_add_f32_e32 v93, v93, v94
	v_mul_f32_e32 v94, v148, v230
	v_fmac_f32_e32 v158, v154, v234
	v_fma_f32 v94, v147, v229, -v94
	v_add_f32_e32 v161, v157, v158
	ds_read2_b64 v[157:160], v92 offset0:83 offset1:84
	v_add_f32_e32 v93, v93, v94
	v_mul_f32_e32 v94, v150, v232
	v_fma_f32 v94, v149, v231, -v94
	s_waitcnt vmcnt(16)
	v_mul_f32_e32 v162, v155, v238
	v_add_f32_e32 v93, v93, v94
	v_mul_f32_e32 v94, v152, v233
	v_fmac_f32_e32 v162, v156, v237
	v_fma_f32 v94, v151, v236, -v94
	v_add_f32_e32 v165, v161, v162
	ds_read2_b64 v[161:164], v92 offset0:85 offset1:86
	v_add_f32_e32 v93, v93, v94
	v_mul_f32_e32 v94, v154, v235
	s_waitcnt vmcnt(14) lgkmcnt(1)
	v_mul_f32_e32 v166, v157, v240
	v_fma_f32 v94, v153, v234, -v94
	v_fmac_f32_e32 v166, v158, v239
	v_add_f32_e32 v93, v93, v94
	v_mul_f32_e32 v94, v156, v238
	v_add_f32_e32 v165, v165, v166
	s_waitcnt vmcnt(13)
	v_mul_f32_e32 v166, v159, v241
	v_fma_f32 v94, v155, v237, -v94
	s_waitcnt vmcnt(10)
	v_fmac_f32_e32 v166, v160, v244
	v_add_f32_e32 v93, v93, v94
	v_mul_f32_e32 v94, v158, v240
	v_add_f32_e32 v165, v165, v166
	s_waitcnt lgkmcnt(0)
	v_mul_f32_e32 v166, v161, v243
	v_fma_f32 v94, v157, v239, -v94
	v_fmac_f32_e32 v166, v162, v242
	v_add_f32_e32 v93, v93, v94
	v_mul_f32_e32 v94, v160, v241
	v_add_f32_e32 v169, v165, v166
	ds_read2_b64 v[165:168], v92 offset0:87 offset1:88
	v_fma_f32 v94, v159, v244, -v94
	v_add_f32_e32 v93, v93, v94
	v_mul_f32_e32 v94, v162, v243
	s_waitcnt vmcnt(8)
	v_mul_f32_e32 v170, v163, v246
	v_fma_f32 v94, v161, v242, -v94
	v_fmac_f32_e32 v170, v164, v245
	v_add_f32_e32 v93, v93, v94
	v_mul_f32_e32 v94, v164, v246
	v_add_f32_e32 v255, v169, v170
	ds_read2_b64 v[169:172], v92 offset0:89 offset1:90
	v_fma_f32 v94, v163, v245, -v94
	v_add_f32_e32 v93, v93, v94
	s_waitcnt vmcnt(6) lgkmcnt(1)
	v_mul_f32_e32 v94, v166, v248
	v_mul_f32_e32 v92, v165, v248
	v_fma_f32 v94, v165, v247, -v94
	v_fmac_f32_e32 v92, v166, v247
	v_add_f32_e32 v93, v93, v94
	s_waitcnt vmcnt(5)
	v_mul_f32_e32 v94, v168, v249
	v_add_f32_e32 v92, v255, v92
	v_mul_f32_e32 v255, v167, v249
	s_waitcnt vmcnt(2)
	v_fma_f32 v94, v167, v252, -v94
	v_fmac_f32_e32 v255, v168, v252
	v_add_f32_e32 v93, v93, v94
	s_waitcnt lgkmcnt(0)
	v_mul_f32_e32 v94, v170, v251
	v_add_f32_e32 v92, v92, v255
	v_mul_f32_e32 v255, v169, v251
	v_fma_f32 v94, v169, v250, -v94
	v_fmac_f32_e32 v255, v170, v250
	v_add_f32_e32 v93, v93, v94
	s_waitcnt vmcnt(0)
	v_mul_f32_e32 v94, v172, v254
	v_add_f32_e32 v92, v92, v255
	v_mul_f32_e32 v255, v171, v254
	v_fma_f32 v94, v171, v253, -v94
	v_fmac_f32_e32 v255, v172, v253
	v_add_f32_e32 v93, v93, v94
	v_add_f32_e32 v92, v92, v255
	v_sub_f32_e32 v93, v203, v93
	v_sub_f32_e32 v92, v204, v92
	buffer_store_dword v93, off, s[0:3], 0 offset:32
	buffer_store_dword v92, off, s[0:3], 0 offset:36
	s_and_saveexec_b64 s[4:5], vcc
	s_cbranch_execz .LBB108_277
; %bb.276:
	buffer_load_dword v92, off, s[0:3], 0 offset:24
	buffer_load_dword v93, off, s[0:3], 0 offset:28
	v_mov_b32_e32 v94, 0
	buffer_store_dword v94, off, s[0:3], 0 offset:24
	buffer_store_dword v94, off, s[0:3], 0 offset:28
	s_waitcnt vmcnt(2)
	ds_write_b64 v91, v[92:93]
.LBB108_277:
	s_or_b64 exec, exec, s[4:5]
	s_waitcnt lgkmcnt(0)
	; wave barrier
	buffer_load_dword v101, off, s[0:3], 0 offset:36
	buffer_load_dword v100, off, s[0:3], 0 offset:44
	;; [unrolled: 1-line block ×50, first 2 shown]
	v_mov_b32_e32 v92, 0
	ds_read_b128 v[102:105], v92 offset:400
	ds_read_b128 v[106:109], v92 offset:416
	;; [unrolled: 1-line block ×6, first 2 shown]
	buffer_load_dword v225, off, s[0:3], 0 offset:224
	buffer_load_dword v226, off, s[0:3], 0 offset:228
	;; [unrolled: 1-line block ×6, first 2 shown]
	v_cmp_lt_u32_e32 vcc, 2, v0
	s_waitcnt vmcnt(55) lgkmcnt(5)
	v_mul_f32_e32 v126, v102, v101
	s_waitcnt vmcnt(54)
	v_mul_f32_e32 v127, v104, v100
	s_waitcnt vmcnt(53) lgkmcnt(4)
	v_mul_f32_e32 v128, v106, v99
	s_waitcnt vmcnt(52)
	v_mul_f32_e32 v129, v108, v98
	;; [unrolled: 4-line block ×5, first 2 shown]
	s_waitcnt vmcnt(45) lgkmcnt(0)
	v_mul_f32_e32 v136, v122, v187
	s_waitcnt vmcnt(44)
	v_fmac_f32_e32 v128, v107, v188
	s_waitcnt vmcnt(43)
	v_fmac_f32_e32 v127, v105, v189
	s_waitcnt vmcnt(42)
	v_fmac_f32_e32 v126, v103, v190
	v_add_f32_e32 v126, 0, v126
	v_add_f32_e32 v126, v126, v127
	;; [unrolled: 1-line block ×3, first 2 shown]
	s_waitcnt vmcnt(38)
	v_fmac_f32_e32 v129, v109, v194
	v_fmac_f32_e32 v130, v111, v193
	v_add_f32_e32 v126, v126, v129
	v_fmac_f32_e32 v131, v113, v192
	v_add_f32_e32 v126, v126, v130
	;; [unrolled: 2-line block ×3, first 2 shown]
	s_waitcnt vmcnt(34)
	v_fmac_f32_e32 v133, v117, v198
	v_add_f32_e32 v126, v126, v132
	v_fmac_f32_e32 v134, v119, v197
	v_add_f32_e32 v126, v126, v133
	;; [unrolled: 2-line block ×4, first 2 shown]
	v_add_f32_e32 v130, v126, v136
	ds_read_b128 v[126:129], v92 offset:496
	buffer_load_dword v231, off, s[0:3], 0 offset:248
	buffer_load_dword v232, off, s[0:3], 0 offset:252
	s_waitcnt vmcnt(35)
	v_mul_f32_e32 v131, v124, v199
	s_waitcnt vmcnt(29)
	v_fmac_f32_e32 v131, v125, v205
	v_add_f32_e32 v134, v130, v131
	ds_read_b128 v[130:133], v92 offset:512
	buffer_load_dword v233, off, s[0:3], 0 offset:256
	buffer_load_dword v234, off, s[0:3], 0 offset:260
	;; [unrolled: 1-line block ×14, first 2 shown]
	s_waitcnt vmcnt(42) lgkmcnt(1)
	v_mul_f32_e32 v135, v126, v206
	v_fmac_f32_e32 v135, v127, v204
	buffer_load_dword v247, off, s[0:3], 0 offset:312
	buffer_load_dword v248, off, s[0:3], 0 offset:316
	v_add_f32_e32 v134, v134, v135
	v_mul_f32_e32 v135, v128, v201
	v_fmac_f32_e32 v135, v129, v200
	v_add_f32_e32 v134, v134, v135
	s_waitcnt lgkmcnt(0)
	v_mul_f32_e32 v135, v130, v203
	v_fmac_f32_e32 v135, v131, v202
	v_add_f32_e32 v138, v134, v135
	ds_read_b128 v[134:137], v92 offset:528
	buffer_load_dword v249, off, s[0:3], 0 offset:320
	buffer_load_dword v250, off, s[0:3], 0 offset:324
	;; [unrolled: 1-line block ×6, first 2 shown]
	s_waitcnt vmcnt(46)
	v_mul_f32_e32 v139, v132, v208
	v_fmac_f32_e32 v139, v133, v207
	v_add_f32_e32 v142, v138, v139
	ds_read_b128 v[138:141], v92 offset:544
	buffer_load_dword v255, off, s[0:3], 0 offset:348
	buffer_load_dword v3, off, s[0:3], 0 offset:352
	;; [unrolled: 1-line block ×4, first 2 shown]
	s_waitcnt vmcnt(48) lgkmcnt(1)
	v_mul_f32_e32 v143, v134, v210
	v_fmac_f32_e32 v143, v135, v209
	v_add_f32_e32 v6, v142, v143
	s_waitcnt vmcnt(46)
	v_mul_f32_e32 v142, v136, v212
	v_fmac_f32_e32 v142, v137, v211
	v_add_f32_e32 v6, v6, v142
	s_waitcnt vmcnt(44) lgkmcnt(0)
	v_mul_f32_e32 v142, v138, v214
	v_fmac_f32_e32 v142, v139, v213
	v_add_f32_e32 v6, v6, v142
	ds_read_b128 v[142:145], v92 offset:560
	s_waitcnt vmcnt(42)
	v_mul_f32_e32 v146, v140, v216
	v_fmac_f32_e32 v146, v141, v215
	v_add_f32_e32 v6, v6, v146
	ds_read_b128 v[146:149], v92 offset:576
	s_waitcnt vmcnt(40) lgkmcnt(1)
	v_mul_f32_e32 v150, v142, v218
	v_fmac_f32_e32 v150, v143, v217
	v_add_f32_e32 v6, v6, v150
	s_waitcnt vmcnt(38)
	v_mul_f32_e32 v150, v144, v220
	v_fmac_f32_e32 v150, v145, v219
	v_add_f32_e32 v6, v6, v150
	s_waitcnt vmcnt(36) lgkmcnt(0)
	v_mul_f32_e32 v150, v146, v222
	v_fmac_f32_e32 v150, v147, v221
	v_add_f32_e32 v6, v6, v150
	ds_read_b128 v[150:153], v92 offset:592
	s_waitcnt vmcnt(34)
	v_mul_f32_e32 v154, v148, v224
	v_fmac_f32_e32 v154, v149, v223
	v_add_f32_e32 v6, v6, v154
	ds_read_b128 v[154:157], v92 offset:608
	s_waitcnt vmcnt(32) lgkmcnt(1)
	v_mul_f32_e32 v158, v150, v226
	v_fmac_f32_e32 v158, v151, v225
	v_add_f32_e32 v6, v6, v158
	s_waitcnt vmcnt(31)
	v_mul_f32_e32 v158, v152, v227
	s_waitcnt vmcnt(28)
	v_fmac_f32_e32 v158, v153, v230
	v_add_f32_e32 v6, v6, v158
	s_waitcnt lgkmcnt(0)
	v_mul_f32_e32 v158, v154, v229
	v_fmac_f32_e32 v158, v155, v228
	v_add_f32_e32 v6, v6, v158
	ds_read_b128 v[158:161], v92 offset:624
	v_mul_f32_e32 v8, v105, v100
	v_fma_f32 v8, v104, v189, -v8
	s_waitcnt vmcnt(26)
	v_mul_f32_e32 v162, v156, v232
	v_fmac_f32_e32 v162, v157, v231
	v_add_f32_e32 v6, v6, v162
	ds_read_b128 v[162:165], v92 offset:640
	s_waitcnt vmcnt(24) lgkmcnt(1)
	v_mul_f32_e32 v166, v158, v234
	v_fmac_f32_e32 v166, v159, v233
	v_add_f32_e32 v6, v6, v166
	s_waitcnt vmcnt(23)
	v_mul_f32_e32 v166, v160, v235
	s_waitcnt vmcnt(20)
	v_fmac_f32_e32 v166, v161, v238
	v_add_f32_e32 v6, v6, v166
	s_waitcnt lgkmcnt(0)
	v_mul_f32_e32 v166, v162, v237
	v_fmac_f32_e32 v166, v163, v236
	v_add_f32_e32 v6, v6, v166
	ds_read_b128 v[166:169], v92 offset:656
	s_waitcnt vmcnt(18)
	v_mul_f32_e32 v170, v164, v240
	v_fmac_f32_e32 v170, v165, v239
	v_add_f32_e32 v6, v6, v170
	ds_read_b128 v[170:173], v92 offset:672
	s_waitcnt vmcnt(16) lgkmcnt(1)
	v_mul_f32_e32 v174, v166, v242
	v_fmac_f32_e32 v174, v167, v241
	v_add_f32_e32 v6, v6, v174
	s_waitcnt vmcnt(15)
	v_mul_f32_e32 v174, v168, v243
	s_waitcnt vmcnt(12)
	v_fmac_f32_e32 v174, v169, v246
	v_add_f32_e32 v6, v6, v174
	s_waitcnt lgkmcnt(0)
	v_mul_f32_e32 v174, v170, v245
	v_fmac_f32_e32 v174, v171, v244
	v_add_f32_e32 v6, v6, v174
	ds_read_b128 v[174:177], v92 offset:688
	s_waitcnt vmcnt(10)
	v_mul_f32_e32 v178, v172, v248
	v_fmac_f32_e32 v178, v173, v247
	v_add_f32_e32 v6, v6, v178
	ds_read_b128 v[178:181], v92 offset:704
	s_waitcnt vmcnt(8) lgkmcnt(1)
	v_mul_f32_e32 v182, v174, v250
	v_fmac_f32_e32 v182, v175, v249
	v_add_f32_e32 v6, v6, v182
	s_waitcnt vmcnt(7)
	v_mul_f32_e32 v182, v176, v251
	s_waitcnt vmcnt(4)
	v_fmac_f32_e32 v182, v177, v254
	v_add_f32_e32 v6, v6, v182
	ds_read_b64 v[182:183], v92 offset:720
	s_waitcnt lgkmcnt(1)
	v_mul_f32_e32 v7, v178, v253
	v_fmac_f32_e32 v7, v179, v252
	v_add_f32_e32 v6, v6, v7
	s_waitcnt vmcnt(3)
	v_mul_f32_e32 v7, v180, v255
	s_waitcnt vmcnt(0)
	v_fmac_f32_e32 v7, v181, v5
	v_add_f32_e32 v6, v6, v7
	s_waitcnt lgkmcnt(0)
	v_mul_f32_e32 v7, v182, v4
	v_fmac_f32_e32 v7, v183, v3
	v_add_f32_e32 v6, v6, v7
	v_mul_f32_e32 v7, v103, v101
	v_fma_f32 v7, v102, v190, -v7
	v_add_f32_e32 v7, 0, v7
	v_add_f32_e32 v7, v7, v8
	v_mul_f32_e32 v8, v107, v99
	v_fma_f32 v8, v106, v188, -v8
	v_add_f32_e32 v7, v7, v8
	v_mul_f32_e32 v8, v109, v98
	v_fma_f32 v8, v108, v194, -v8
	;; [unrolled: 3-line block ×38, first 2 shown]
	v_mul_f32_e32 v4, v183, v4
	v_add_f32_e32 v5, v7, v5
	v_fma_f32 v3, v182, v3, -v4
	v_add_f32_e32 v3, v5, v3
	v_sub_f32_e32 v3, v93, v3
	v_sub_f32_e32 v4, v94, v6
	buffer_store_dword v3, off, s[0:3], 0 offset:24
	buffer_store_dword v4, off, s[0:3], 0 offset:28
	s_and_saveexec_b64 s[4:5], vcc
	s_cbranch_execz .LBB108_279
; %bb.278:
	buffer_load_dword v93, off, s[0:3], 0 offset:16
	buffer_load_dword v94, off, s[0:3], 0 offset:20
	s_waitcnt vmcnt(0)
	ds_write_b64 v91, v[93:94]
	buffer_store_dword v92, off, s[0:3], 0 offset:16
	buffer_store_dword v92, off, s[0:3], 0 offset:20
.LBB108_279:
	s_or_b64 exec, exec, s[4:5]
	s_waitcnt lgkmcnt(0)
	; wave barrier
	buffer_load_dword v3, off, s[0:3], 0 offset:28
	buffer_load_dword v4, off, s[0:3], 0 offset:36
	;; [unrolled: 1-line block ×32, first 2 shown]
	ds_read2_b64 v[93:96], v92 offset0:49 offset1:50
	ds_read2_b64 v[97:100], v92 offset0:51 offset1:52
	;; [unrolled: 1-line block ×6, first 2 shown]
	buffer_load_dword v203, off, s[0:3], 0 offset:144
	buffer_load_dword v204, off, s[0:3], 0 offset:148
	;; [unrolled: 1-line block ×18, first 2 shown]
	v_cmp_lt_u32_e32 vcc, 1, v0
	s_waitcnt vmcnt(49) lgkmcnt(5)
	v_mul_f32_e32 v117, v93, v3
	s_waitcnt vmcnt(48)
	v_mul_f32_e32 v118, v95, v4
	s_waitcnt vmcnt(47) lgkmcnt(4)
	v_mul_f32_e32 v119, v97, v5
	s_waitcnt vmcnt(46)
	v_mul_f32_e32 v120, v99, v6
	;; [unrolled: 4-line block ×6, first 2 shown]
	s_waitcnt vmcnt(37)
	v_fmac_f32_e32 v119, v98, v183
	s_waitcnt vmcnt(36)
	v_fmac_f32_e32 v118, v96, v184
	;; [unrolled: 2-line block ×3, first 2 shown]
	v_add_f32_e32 v117, 0, v117
	v_add_f32_e32 v117, v117, v118
	;; [unrolled: 1-line block ×3, first 2 shown]
	s_waitcnt vmcnt(31)
	v_fmac_f32_e32 v120, v100, v189
	v_fmac_f32_e32 v121, v102, v188
	v_add_f32_e32 v117, v117, v120
	v_fmac_f32_e32 v122, v104, v187
	v_add_f32_e32 v117, v117, v121
	;; [unrolled: 2-line block ×3, first 2 shown]
	s_waitcnt vmcnt(27)
	v_fmac_f32_e32 v124, v108, v193
	v_add_f32_e32 v117, v117, v123
	v_fmac_f32_e32 v125, v110, v192
	v_add_f32_e32 v117, v117, v124
	;; [unrolled: 2-line block ×3, first 2 shown]
	v_add_f32_e32 v121, v117, v126
	ds_read2_b64 v[117:120], v92 offset0:61 offset1:62
	buffer_load_dword v221, off, s[0:3], 0 offset:216
	buffer_load_dword v222, off, s[0:3], 0 offset:220
	;; [unrolled: 1-line block ×6, first 2 shown]
	v_fmac_f32_e32 v127, v114, v190
	s_waitcnt vmcnt(27)
	v_fmac_f32_e32 v128, v116, v199
	v_add_f32_e32 v121, v121, v127
	v_add_f32_e32 v125, v121, v128
	ds_read2_b64 v[121:124], v92 offset0:63 offset1:64
	buffer_load_dword v227, off, s[0:3], 0 offset:240
	buffer_load_dword v228, off, s[0:3], 0 offset:244
	;; [unrolled: 1-line block ×10, first 2 shown]
	s_waitcnt vmcnt(36) lgkmcnt(1)
	v_mul_f32_e32 v126, v117, v200
	buffer_load_dword v237, off, s[0:3], 0 offset:280
	buffer_load_dword v238, off, s[0:3], 0 offset:284
	;; [unrolled: 1-line block ×6, first 2 shown]
	v_fmac_f32_e32 v126, v118, v198
	v_add_f32_e32 v125, v125, v126
	v_mul_f32_e32 v126, v119, v195
	v_fmac_f32_e32 v126, v120, v194
	v_add_f32_e32 v125, v125, v126
	s_waitcnt lgkmcnt(0)
	v_mul_f32_e32 v126, v121, v197
	v_fmac_f32_e32 v126, v122, v196
	v_add_f32_e32 v129, v125, v126
	ds_read2_b64 v[125:128], v92 offset0:65 offset1:66
	buffer_load_dword v243, off, s[0:3], 0 offset:304
	buffer_load_dword v244, off, s[0:3], 0 offset:308
	s_waitcnt vmcnt(40)
	v_mul_f32_e32 v130, v123, v204
	v_fmac_f32_e32 v130, v124, v203
	v_add_f32_e32 v133, v129, v130
	ds_read2_b64 v[129:132], v92 offset0:67 offset1:68
	buffer_load_dword v245, off, s[0:3], 0 offset:312
	buffer_load_dword v246, off, s[0:3], 0 offset:316
	;; [unrolled: 1-line block ×12, first 2 shown]
	v_mul_f32_e32 v3, v94, v3
	v_fma_f32 v3, v93, v185, -v3
	v_mul_f32_e32 v4, v96, v4
	v_add_f32_e32 v3, 0, v3
	v_fma_f32 v4, v95, v184, -v4
	v_add_f32_e32 v3, v3, v4
	v_mul_f32_e32 v4, v98, v5
	v_fma_f32 v4, v97, v183, -v4
	v_add_f32_e32 v3, v3, v4
	v_mul_f32_e32 v4, v100, v6
	v_fma_f32 v4, v99, v189, -v4
	v_add_f32_e32 v3, v3, v4
	v_mul_f32_e32 v4, v102, v7
	v_fma_f32 v4, v101, v188, -v4
	v_add_f32_e32 v3, v3, v4
	v_mul_f32_e32 v4, v104, v8
	v_fma_f32 v4, v103, v187, -v4
	v_add_f32_e32 v3, v3, v4
	v_mul_f32_e32 v4, v106, v177
	v_fma_f32 v4, v105, v186, -v4
	v_add_f32_e32 v3, v3, v4
	v_mul_f32_e32 v4, v108, v178
	v_fma_f32 v4, v107, v193, -v4
	s_waitcnt vmcnt(50) lgkmcnt(1)
	v_mul_f32_e32 v134, v125, v206
	v_add_f32_e32 v3, v3, v4
	v_mul_f32_e32 v4, v110, v179
	v_fmac_f32_e32 v134, v126, v205
	v_fma_f32 v4, v109, v192, -v4
	v_add_f32_e32 v133, v133, v134
	s_waitcnt vmcnt(48)
	v_mul_f32_e32 v134, v127, v208
	v_add_f32_e32 v3, v3, v4
	v_mul_f32_e32 v4, v112, v180
	v_fmac_f32_e32 v134, v128, v207
	v_fma_f32 v4, v111, v191, -v4
	v_add_f32_e32 v10, v133, v134
	s_waitcnt vmcnt(46) lgkmcnt(0)
	v_mul_f32_e32 v133, v129, v210
	v_add_f32_e32 v3, v3, v4
	v_mul_f32_e32 v4, v114, v181
	v_fmac_f32_e32 v133, v130, v209
	v_fma_f32 v4, v113, v190, -v4
	v_add_f32_e32 v10, v10, v133
	ds_read2_b64 v[133:136], v92 offset0:69 offset1:70
	v_add_f32_e32 v3, v3, v4
	v_mul_f32_e32 v4, v116, v182
	v_fma_f32 v4, v115, v199, -v4
	s_waitcnt vmcnt(44)
	v_mul_f32_e32 v137, v131, v212
	v_add_f32_e32 v3, v3, v4
	v_mul_f32_e32 v4, v118, v200
	v_fmac_f32_e32 v137, v132, v211
	v_fma_f32 v4, v117, v198, -v4
	v_add_f32_e32 v10, v10, v137
	ds_read2_b64 v[137:140], v92 offset0:71 offset1:72
	v_add_f32_e32 v3, v3, v4
	v_mul_f32_e32 v4, v120, v195
	s_waitcnt vmcnt(42) lgkmcnt(1)
	v_mul_f32_e32 v141, v133, v214
	v_fma_f32 v4, v119, v194, -v4
	v_fmac_f32_e32 v141, v134, v213
	v_add_f32_e32 v3, v3, v4
	v_mul_f32_e32 v4, v122, v197
	v_add_f32_e32 v10, v10, v141
	s_waitcnt vmcnt(40)
	v_mul_f32_e32 v141, v135, v216
	v_fma_f32 v4, v121, v196, -v4
	v_fmac_f32_e32 v141, v136, v215
	v_add_f32_e32 v3, v3, v4
	v_mul_f32_e32 v4, v124, v204
	v_add_f32_e32 v10, v10, v141
	s_waitcnt vmcnt(38) lgkmcnt(0)
	v_mul_f32_e32 v141, v137, v218
	v_fma_f32 v4, v123, v203, -v4
	v_fmac_f32_e32 v141, v138, v217
	v_add_f32_e32 v3, v3, v4
	v_mul_f32_e32 v4, v126, v206
	v_add_f32_e32 v10, v10, v141
	ds_read2_b64 v[141:144], v92 offset0:73 offset1:74
	v_fma_f32 v4, v125, v205, -v4
	v_add_f32_e32 v3, v3, v4
	v_mul_f32_e32 v4, v128, v208
	s_waitcnt vmcnt(36)
	v_mul_f32_e32 v145, v139, v220
	v_fma_f32 v4, v127, v207, -v4
	v_fmac_f32_e32 v145, v140, v219
	v_add_f32_e32 v3, v3, v4
	v_mul_f32_e32 v4, v130, v210
	v_add_f32_e32 v10, v10, v145
	ds_read2_b64 v[145:148], v92 offset0:75 offset1:76
	v_fma_f32 v4, v129, v209, -v4
	s_waitcnt vmcnt(34) lgkmcnt(1)
	v_mul_f32_e32 v149, v141, v222
	v_add_f32_e32 v3, v3, v4
	v_mul_f32_e32 v4, v132, v212
	v_fmac_f32_e32 v149, v142, v221
	v_fma_f32 v4, v131, v211, -v4
	v_add_f32_e32 v10, v10, v149
	s_waitcnt vmcnt(33)
	v_mul_f32_e32 v149, v143, v223
	v_add_f32_e32 v3, v3, v4
	v_mul_f32_e32 v4, v134, v214
	s_waitcnt vmcnt(30)
	v_fmac_f32_e32 v149, v144, v226
	v_fma_f32 v4, v133, v213, -v4
	v_add_f32_e32 v10, v10, v149
	s_waitcnt lgkmcnt(0)
	v_mul_f32_e32 v149, v145, v225
	v_add_f32_e32 v3, v3, v4
	v_mul_f32_e32 v4, v136, v216
	v_fmac_f32_e32 v149, v146, v224
	v_fma_f32 v4, v135, v215, -v4
	v_add_f32_e32 v10, v10, v149
	ds_read2_b64 v[149:152], v92 offset0:77 offset1:78
	v_add_f32_e32 v3, v3, v4
	v_mul_f32_e32 v4, v138, v218
	v_fma_f32 v4, v137, v217, -v4
	s_waitcnt vmcnt(28)
	v_mul_f32_e32 v153, v147, v228
	v_add_f32_e32 v3, v3, v4
	v_mul_f32_e32 v4, v140, v220
	v_fmac_f32_e32 v153, v148, v227
	v_fma_f32 v4, v139, v219, -v4
	v_add_f32_e32 v10, v10, v153
	ds_read2_b64 v[153:156], v92 offset0:79 offset1:80
	v_add_f32_e32 v3, v3, v4
	v_mul_f32_e32 v4, v142, v222
	s_waitcnt vmcnt(26) lgkmcnt(1)
	v_mul_f32_e32 v157, v149, v230
	v_fma_f32 v4, v141, v221, -v4
	v_fmac_f32_e32 v157, v150, v229
	v_add_f32_e32 v3, v3, v4
	v_mul_f32_e32 v4, v144, v223
	v_add_f32_e32 v10, v10, v157
	s_waitcnt vmcnt(25)
	v_mul_f32_e32 v157, v151, v231
	v_fma_f32 v4, v143, v226, -v4
	s_waitcnt vmcnt(22)
	v_fmac_f32_e32 v157, v152, v234
	v_add_f32_e32 v3, v3, v4
	v_mul_f32_e32 v4, v146, v225
	v_add_f32_e32 v10, v10, v157
	s_waitcnt lgkmcnt(0)
	v_mul_f32_e32 v157, v153, v233
	v_fma_f32 v4, v145, v224, -v4
	v_fmac_f32_e32 v157, v154, v232
	v_add_f32_e32 v3, v3, v4
	v_mul_f32_e32 v4, v148, v228
	v_add_f32_e32 v10, v10, v157
	ds_read2_b64 v[157:160], v92 offset0:81 offset1:82
	v_fma_f32 v4, v147, v227, -v4
	v_add_f32_e32 v3, v3, v4
	v_mul_f32_e32 v4, v150, v230
	s_waitcnt vmcnt(20)
	v_mul_f32_e32 v161, v155, v236
	v_fma_f32 v4, v149, v229, -v4
	v_fmac_f32_e32 v161, v156, v235
	v_add_f32_e32 v3, v3, v4
	v_mul_f32_e32 v4, v152, v231
	v_add_f32_e32 v10, v10, v161
	ds_read2_b64 v[161:164], v92 offset0:83 offset1:84
	v_fma_f32 v4, v151, v234, -v4
	s_waitcnt vmcnt(18) lgkmcnt(1)
	v_mul_f32_e32 v165, v157, v238
	v_add_f32_e32 v3, v3, v4
	v_mul_f32_e32 v4, v154, v233
	v_fmac_f32_e32 v165, v158, v237
	v_fma_f32 v4, v153, v232, -v4
	v_add_f32_e32 v10, v10, v165
	s_waitcnt vmcnt(17)
	v_mul_f32_e32 v165, v159, v239
	v_add_f32_e32 v3, v3, v4
	v_mul_f32_e32 v4, v156, v236
	s_waitcnt vmcnt(14)
	v_fmac_f32_e32 v165, v160, v242
	v_fma_f32 v4, v155, v235, -v4
	v_add_f32_e32 v10, v10, v165
	s_waitcnt lgkmcnt(0)
	v_mul_f32_e32 v165, v161, v241
	v_add_f32_e32 v3, v3, v4
	v_mul_f32_e32 v4, v158, v238
	v_fmac_f32_e32 v165, v162, v240
	v_fma_f32 v4, v157, v237, -v4
	v_add_f32_e32 v10, v10, v165
	ds_read2_b64 v[165:168], v92 offset0:85 offset1:86
	v_add_f32_e32 v3, v3, v4
	v_mul_f32_e32 v4, v160, v239
	v_fma_f32 v4, v159, v242, -v4
	v_add_f32_e32 v3, v3, v4
	v_mul_f32_e32 v4, v162, v241
	s_waitcnt vmcnt(12)
	v_mul_f32_e32 v169, v163, v244
	v_fma_f32 v4, v161, v240, -v4
	v_fmac_f32_e32 v169, v164, v243
	v_add_f32_e32 v3, v3, v4
	v_mul_f32_e32 v4, v164, v244
	v_add_f32_e32 v10, v10, v169
	ds_read2_b64 v[169:172], v92 offset0:87 offset1:88
	s_waitcnt vmcnt(10) lgkmcnt(1)
	v_mul_f32_e32 v173, v165, v246
	v_fma_f32 v4, v163, v243, -v4
	v_fmac_f32_e32 v173, v166, v245
	v_add_f32_e32 v3, v3, v4
	v_mul_f32_e32 v4, v166, v246
	v_add_f32_e32 v10, v10, v173
	s_waitcnt vmcnt(9)
	v_mul_f32_e32 v173, v167, v247
	v_fma_f32 v4, v165, v245, -v4
	s_waitcnt vmcnt(6)
	v_fmac_f32_e32 v173, v168, v250
	v_add_f32_e32 v3, v3, v4
	v_mul_f32_e32 v4, v168, v247
	v_add_f32_e32 v10, v10, v173
	ds_read2_b64 v[173:176], v92 offset0:89 offset1:90
	v_fma_f32 v4, v167, v250, -v4
	v_add_f32_e32 v3, v3, v4
	s_waitcnt lgkmcnt(1)
	v_mul_f32_e32 v4, v170, v249
	v_mul_f32_e32 v11, v169, v249
	v_fma_f32 v4, v169, v248, -v4
	v_fmac_f32_e32 v11, v170, v248
	v_add_f32_e32 v3, v3, v4
	s_waitcnt vmcnt(4)
	v_mul_f32_e32 v4, v172, v252
	v_add_f32_e32 v10, v10, v11
	v_mul_f32_e32 v11, v171, v252
	v_fma_f32 v4, v171, v251, -v4
	v_fmac_f32_e32 v11, v172, v251
	v_add_f32_e32 v3, v3, v4
	s_waitcnt vmcnt(3) lgkmcnt(0)
	v_mul_f32_e32 v4, v174, v253
	v_add_f32_e32 v10, v10, v11
	v_mul_f32_e32 v11, v173, v253
	s_waitcnt vmcnt(0)
	v_fma_f32 v4, v173, v9, -v4
	v_fmac_f32_e32 v11, v174, v9
	v_add_f32_e32 v3, v3, v4
	v_mul_f32_e32 v4, v176, v255
	v_add_f32_e32 v10, v10, v11
	v_mul_f32_e32 v11, v175, v255
	v_fma_f32 v4, v175, v254, -v4
	v_fmac_f32_e32 v11, v176, v254
	v_add_f32_e32 v3, v3, v4
	v_add_f32_e32 v10, v10, v11
	v_sub_f32_e32 v3, v201, v3
	v_sub_f32_e32 v4, v202, v10
	buffer_store_dword v3, off, s[0:3], 0 offset:16
	buffer_store_dword v4, off, s[0:3], 0 offset:20
	s_and_saveexec_b64 s[4:5], vcc
	s_cbranch_execz .LBB108_281
; %bb.280:
	buffer_load_dword v92, off, s[0:3], 0 offset:8
	buffer_load_dword v93, off, s[0:3], 0 offset:12
	v_mov_b32_e32 v3, 0
	buffer_store_dword v3, off, s[0:3], 0 offset:8
	buffer_store_dword v3, off, s[0:3], 0 offset:12
	s_waitcnt vmcnt(2)
	ds_write_b64 v91, v[92:93]
.LBB108_281:
	s_or_b64 exec, exec, s[4:5]
	s_waitcnt lgkmcnt(0)
	; wave barrier
	buffer_load_dword v101, off, s[0:3], 0 offset:20
	buffer_load_dword v100, off, s[0:3], 0 offset:28
	;; [unrolled: 1-line block ×48, first 2 shown]
	v_mov_b32_e32 v92, 0
	ds_read_b128 v[107:110], v92 offset:384
	ds_read_b128 v[111:114], v92 offset:400
	;; [unrolled: 1-line block ×6, first 2 shown]
	buffer_load_dword v217, off, s[0:3], 0 offset:200
	buffer_load_dword v218, off, s[0:3], 0 offset:204
	v_cmp_ne_u32_e32 vcc, 0, v0
	s_waitcnt vmcnt(49) lgkmcnt(5)
	v_mul_f32_e32 v131, v107, v101
	s_waitcnt vmcnt(48)
	v_mul_f32_e32 v132, v109, v100
	s_waitcnt vmcnt(47) lgkmcnt(4)
	v_mul_f32_e32 v133, v111, v99
	s_waitcnt vmcnt(46)
	v_mul_f32_e32 v134, v113, v98
	;; [unrolled: 4-line block ×6, first 2 shown]
	s_waitcnt vmcnt(37)
	v_fmac_f32_e32 v133, v112, v3
	s_waitcnt vmcnt(36)
	v_fmac_f32_e32 v132, v110, v4
	s_waitcnt vmcnt(35)
	v_fmac_f32_e32 v131, v108, v5
	v_add_f32_e32 v131, 0, v131
	v_add_f32_e32 v131, v131, v132
	;; [unrolled: 1-line block ×3, first 2 shown]
	s_waitcnt vmcnt(31)
	v_fmac_f32_e32 v134, v114, v9
	v_fmac_f32_e32 v135, v116, v8
	v_add_f32_e32 v131, v131, v134
	v_fmac_f32_e32 v136, v118, v7
	v_add_f32_e32 v131, v131, v135
	;; [unrolled: 2-line block ×3, first 2 shown]
	s_waitcnt vmcnt(27)
	v_fmac_f32_e32 v138, v122, v193
	v_add_f32_e32 v131, v131, v137
	v_fmac_f32_e32 v139, v124, v12
	v_add_f32_e32 v131, v131, v138
	;; [unrolled: 2-line block ×4, first 2 shown]
	v_add_f32_e32 v135, v131, v141
	ds_read_b128 v[131:134], v92 offset:480
	buffer_load_dword v219, off, s[0:3], 0 offset:208
	buffer_load_dword v220, off, s[0:3], 0 offset:212
	;; [unrolled: 1-line block ×6, first 2 shown]
	s_waitcnt vmcnt(28)
	v_fmac_f32_e32 v142, v130, v198
	v_add_f32_e32 v139, v135, v142
	ds_read_b128 v[135:138], v92 offset:496
	buffer_load_dword v225, off, s[0:3], 0 offset:232
	buffer_load_dword v226, off, s[0:3], 0 offset:236
	;; [unrolled: 1-line block ×8, first 2 shown]
	s_waitcnt vmcnt(35) lgkmcnt(1)
	v_mul_f32_e32 v140, v131, v199
	buffer_load_dword v233, off, s[0:3], 0 offset:264
	buffer_load_dword v234, off, s[0:3], 0 offset:268
	v_fmac_f32_e32 v140, v132, v197
	v_add_f32_e32 v139, v139, v140
	s_waitcnt vmcnt(36)
	v_mul_f32_e32 v140, v133, v200
	v_fmac_f32_e32 v140, v134, v196
	v_add_f32_e32 v139, v139, v140
	s_waitcnt lgkmcnt(0)
	v_mul_f32_e32 v140, v135, v195
	v_fmac_f32_e32 v140, v136, v194
	v_add_f32_e32 v143, v139, v140
	ds_read_b128 v[139:142], v92 offset:512
	buffer_load_dword v235, off, s[0:3], 0 offset:272
	buffer_load_dword v236, off, s[0:3], 0 offset:276
	;; [unrolled: 1-line block ×6, first 2 shown]
	s_waitcnt vmcnt(38)
	v_mul_f32_e32 v144, v137, v202
	v_fmac_f32_e32 v144, v138, v201
	v_add_f32_e32 v147, v143, v144
	ds_read_b128 v[143:146], v92 offset:528
	buffer_load_dword v241, off, s[0:3], 0 offset:296
	buffer_load_dword v242, off, s[0:3], 0 offset:300
	;; [unrolled: 1-line block ×16, first 2 shown]
	s_waitcnt vmcnt(52) lgkmcnt(1)
	v_mul_f32_e32 v148, v139, v204
	v_fmac_f32_e32 v148, v140, v203
	v_add_f32_e32 v147, v147, v148
	s_waitcnt vmcnt(50)
	v_mul_f32_e32 v148, v141, v206
	v_fmac_f32_e32 v148, v142, v205
	v_add_f32_e32 v147, v147, v148
	s_waitcnt vmcnt(48) lgkmcnt(0)
	v_mul_f32_e32 v148, v143, v208
	v_fmac_f32_e32 v148, v144, v207
	v_add_f32_e32 v151, v147, v148
	ds_read_b128 v[147:150], v92 offset:544
	s_waitcnt vmcnt(46)
	v_mul_f32_e32 v14, v145, v210
	v_fmac_f32_e32 v14, v146, v209
	v_add_f32_e32 v14, v151, v14
	ds_read_b128 v[151:154], v92 offset:560
	s_waitcnt vmcnt(44) lgkmcnt(1)
	v_mul_f32_e32 v155, v147, v212
	v_fmac_f32_e32 v155, v148, v211
	v_add_f32_e32 v14, v14, v155
	s_waitcnt vmcnt(42)
	v_mul_f32_e32 v155, v149, v214
	v_fmac_f32_e32 v155, v150, v213
	v_add_f32_e32 v14, v14, v155
	s_waitcnt vmcnt(40) lgkmcnt(0)
	v_mul_f32_e32 v155, v151, v216
	v_fmac_f32_e32 v155, v152, v215
	v_add_f32_e32 v14, v14, v155
	ds_read_b128 v[155:158], v92 offset:576
	s_waitcnt vmcnt(38)
	v_mul_f32_e32 v159, v153, v218
	v_fmac_f32_e32 v159, v154, v217
	v_add_f32_e32 v14, v14, v159
	ds_read_b128 v[159:162], v92 offset:592
	s_waitcnt vmcnt(36) lgkmcnt(1)
	v_mul_f32_e32 v163, v155, v220
	v_fmac_f32_e32 v163, v156, v219
	v_add_f32_e32 v14, v14, v163
	s_waitcnt vmcnt(35)
	v_mul_f32_e32 v163, v157, v221
	s_waitcnt vmcnt(32)
	v_fmac_f32_e32 v163, v158, v224
	v_add_f32_e32 v14, v14, v163
	s_waitcnt lgkmcnt(0)
	v_mul_f32_e32 v163, v159, v223
	v_fmac_f32_e32 v163, v160, v222
	v_add_f32_e32 v14, v14, v163
	ds_read_b128 v[163:166], v92 offset:608
	s_waitcnt vmcnt(30)
	v_mul_f32_e32 v167, v161, v226
	v_fmac_f32_e32 v167, v162, v225
	v_add_f32_e32 v14, v14, v167
	ds_read_b128 v[167:170], v92 offset:624
	s_waitcnt vmcnt(28) lgkmcnt(1)
	v_mul_f32_e32 v171, v163, v228
	v_fmac_f32_e32 v171, v164, v227
	v_add_f32_e32 v14, v14, v171
	s_waitcnt vmcnt(27)
	v_mul_f32_e32 v171, v165, v229
	s_waitcnt vmcnt(24)
	v_fmac_f32_e32 v171, v166, v232
	v_add_f32_e32 v14, v14, v171
	s_waitcnt lgkmcnt(0)
	;; [unrolled: 19-line block ×4, first 2 shown]
	v_mul_f32_e32 v187, v183, v247
	v_fmac_f32_e32 v187, v184, v246
	v_add_f32_e32 v14, v14, v187
	ds_read_b128 v[187:190], v92 offset:704
	s_waitcnt vmcnt(6)
	v_mul_f32_e32 v191, v185, v250
	v_fmac_f32_e32 v191, v186, v249
	v_add_f32_e32 v14, v14, v191
	ds_read_b64 v[191:192], v92 offset:720
	s_waitcnt vmcnt(4) lgkmcnt(1)
	v_mul_f32_e32 v15, v187, v252
	v_fmac_f32_e32 v15, v188, v251
	v_add_f32_e32 v14, v14, v15
	s_waitcnt vmcnt(3)
	v_mul_f32_e32 v15, v189, v253
	s_waitcnt vmcnt(0)
	v_fmac_f32_e32 v15, v190, v13
	v_add_f32_e32 v14, v14, v15
	s_waitcnt lgkmcnt(0)
	v_mul_f32_e32 v15, v191, v255
	v_fmac_f32_e32 v15, v192, v254
	v_add_f32_e32 v14, v14, v15
	v_mul_f32_e32 v15, v108, v101
	v_fma_f32 v5, v107, v5, -v15
	v_mul_f32_e32 v15, v110, v100
	v_add_f32_e32 v5, 0, v5
	v_fma_f32 v4, v109, v4, -v15
	v_add_f32_e32 v4, v5, v4
	v_mul_f32_e32 v5, v112, v99
	v_fma_f32 v3, v111, v3, -v5
	v_add_f32_e32 v3, v4, v3
	v_mul_f32_e32 v4, v114, v98
	;; [unrolled: 3-line block ×41, first 2 shown]
	v_fma_f32 v4, v191, v254, -v4
	v_add_f32_e32 v3, v3, v4
	v_sub_f32_e32 v3, v93, v3
	v_sub_f32_e32 v4, v94, v14
	buffer_store_dword v3, off, s[0:3], 0 offset:8
	buffer_store_dword v4, off, s[0:3], 0 offset:12
	s_and_saveexec_b64 s[4:5], vcc
	s_cbranch_execz .LBB108_283
; %bb.282:
	buffer_load_dword v93, off, s[0:3], 0
	buffer_load_dword v94, off, s[0:3], 0 offset:4
	s_waitcnt vmcnt(0)
	ds_write_b64 v91, v[93:94]
	buffer_store_dword v92, off, s[0:3], 0
	buffer_store_dword v92, off, s[0:3], 0 offset:4
.LBB108_283:
	s_or_b64 exec, exec, s[4:5]
	s_waitcnt lgkmcnt(0)
	; wave barrier
	buffer_load_dword v99, off, s[0:3], 0 offset:12
	buffer_load_dword v98, off, s[0:3], 0 offset:20
	;; [unrolled: 1-line block ×30, first 2 shown]
	buffer_load_dword v0, off, s[0:3], 0
	buffer_load_dword v91, off, s[0:3], 0 offset:4
	ds_read2_b64 v[105:108], v92 offset0:47 offset1:48
	ds_read2_b64 v[109:112], v92 offset0:49 offset1:50
	;; [unrolled: 1-line block ×4, first 2 shown]
	buffer_load_dword v197, off, s[0:3], 0 offset:128
	buffer_load_dword v198, off, s[0:3], 0 offset:132
	ds_read2_b64 v[121:124], v92 offset0:55 offset1:56
	ds_read2_b64 v[125:128], v92 offset0:57 offset1:58
	;; [unrolled: 1-line block ×3, first 2 shown]
	buffer_load_dword v199, off, s[0:3], 0 offset:136
	buffer_load_dword v200, off, s[0:3], 0 offset:140
	;; [unrolled: 1-line block ×16, first 2 shown]
	s_and_b64 vcc, exec, s[14:15]
	s_waitcnt vmcnt(49) lgkmcnt(6)
	v_mul_f32_e32 v133, v105, v99
	s_waitcnt vmcnt(48)
	v_mul_f32_e32 v134, v107, v98
	s_waitcnt vmcnt(47) lgkmcnt(5)
	v_mul_f32_e32 v135, v109, v97
	s_waitcnt vmcnt(46)
	v_mul_f32_e32 v136, v111, v96
	;; [unrolled: 4-line block ×6, first 2 shown]
	s_waitcnt vmcnt(37)
	v_fmac_f32_e32 v135, v110, v3
	s_waitcnt vmcnt(36)
	v_fmac_f32_e32 v134, v108, v4
	;; [unrolled: 2-line block ×3, first 2 shown]
	v_add_f32_e32 v133, 0, v133
	v_add_f32_e32 v133, v133, v134
	;; [unrolled: 1-line block ×3, first 2 shown]
	s_waitcnt vmcnt(31)
	v_fmac_f32_e32 v136, v112, v9
	v_fmac_f32_e32 v137, v114, v8
	v_add_f32_e32 v133, v133, v136
	v_fmac_f32_e32 v138, v116, v7
	v_add_f32_e32 v133, v133, v137
	;; [unrolled: 2-line block ×3, first 2 shown]
	s_waitcnt vmcnt(27)
	v_fmac_f32_e32 v140, v120, v13
	v_add_f32_e32 v133, v133, v139
	v_fmac_f32_e32 v141, v122, v12
	v_add_f32_e32 v133, v133, v140
	v_fmac_f32_e32 v142, v124, v11
	v_add_f32_e32 v133, v133, v141
	v_fmac_f32_e32 v143, v126, v10
	v_add_f32_e32 v133, v133, v142
	s_waitcnt vmcnt(23)
	v_fmac_f32_e32 v144, v128, v193
	v_add_f32_e32 v133, v133, v143
	v_add_f32_e32 v137, v133, v144
	ds_read2_b64 v[133:136], v92 offset0:61 offset1:62
	buffer_load_dword v215, off, s[0:3], 0 offset:200
	buffer_load_dword v216, off, s[0:3], 0 offset:204
	;; [unrolled: 1-line block ×14, first 2 shown]
	s_waitcnt vmcnt(36) lgkmcnt(1)
	v_mul_f32_e32 v138, v129, v194
	buffer_load_dword v229, off, s[0:3], 0 offset:256
	buffer_load_dword v230, off, s[0:3], 0 offset:260
	v_fmac_f32_e32 v138, v130, v16
	v_add_f32_e32 v137, v137, v138
	s_waitcnt vmcnt(37)
	v_mul_f32_e32 v138, v131, v195
	v_fmac_f32_e32 v138, v132, v15
	v_add_f32_e32 v137, v137, v138
	s_waitcnt vmcnt(36) lgkmcnt(0)
	v_mul_f32_e32 v138, v133, v196
	v_fmac_f32_e32 v138, v134, v14
	v_add_f32_e32 v141, v137, v138
	ds_read2_b64 v[137:140], v92 offset0:63 offset1:64
	buffer_load_dword v231, off, s[0:3], 0 offset:264
	buffer_load_dword v232, off, s[0:3], 0 offset:268
	;; [unrolled: 1-line block ×6, first 2 shown]
	s_waitcnt vmcnt(38)
	v_mul_f32_e32 v142, v135, v198
	v_fmac_f32_e32 v142, v136, v197
	v_add_f32_e32 v145, v141, v142
	ds_read2_b64 v[141:144], v92 offset0:65 offset1:66
	buffer_load_dword v237, off, s[0:3], 0 offset:288
	buffer_load_dword v238, off, s[0:3], 0 offset:292
	;; [unrolled: 1-line block ×10, first 2 shown]
	s_waitcnt vmcnt(46) lgkmcnt(1)
	v_mul_f32_e32 v146, v137, v200
	v_fmac_f32_e32 v146, v138, v199
	v_add_f32_e32 v145, v145, v146
	s_waitcnt vmcnt(44)
	v_mul_f32_e32 v146, v139, v202
	v_mul_f32_e32 v99, v106, v99
	v_fmac_f32_e32 v146, v140, v201
	v_fma_f32 v5, v105, v5, -v99
	v_mul_f32_e32 v98, v108, v98
	v_add_f32_e32 v145, v145, v146
	s_waitcnt vmcnt(42) lgkmcnt(0)
	v_mul_f32_e32 v146, v141, v204
	buffer_load_dword v247, off, s[0:3], 0 offset:328
	buffer_load_dword v248, off, s[0:3], 0 offset:332
	;; [unrolled: 1-line block ×6, first 2 shown]
	v_add_f32_e32 v5, 0, v5
	v_fma_f32 v4, v107, v4, -v98
	v_fmac_f32_e32 v146, v142, v203
	s_waitcnt vmcnt(46)
	v_mul_f32_e32 v150, v143, v206
	v_add_f32_e32 v4, v5, v4
	v_mul_f32_e32 v5, v110, v97
	v_add_f32_e32 v149, v145, v146
	v_fmac_f32_e32 v150, v144, v205
	v_fma_f32 v3, v109, v3, -v5
	ds_read2_b64 v[145:148], v92 offset0:67 offset1:68
	v_add_f32_e32 v153, v149, v150
	ds_read2_b64 v[149:152], v92 offset0:69 offset1:70
	buffer_load_dword v253, off, s[0:3], 0 offset:352
	buffer_load_dword v254, off, s[0:3], 0 offset:356
	v_add_f32_e32 v3, v4, v3
	v_mul_f32_e32 v4, v112, v96
	v_fma_f32 v4, v111, v9, -v4
	v_add_f32_e32 v3, v3, v4
	v_mul_f32_e32 v4, v114, v95
	v_fma_f32 v4, v113, v8, -v4
	;; [unrolled: 3-line block ×9, first 2 shown]
	v_add_f32_e32 v3, v3, v4
	v_mul_f32_e32 v4, v130, v194
	s_waitcnt vmcnt(46) lgkmcnt(1)
	v_mul_f32_e32 v154, v145, v208
	v_fma_f32 v4, v129, v16, -v4
	v_fmac_f32_e32 v154, v146, v207
	v_add_f32_e32 v3, v3, v4
	v_mul_f32_e32 v4, v132, v195
	v_add_f32_e32 v153, v153, v154
	s_waitcnt vmcnt(44)
	v_mul_f32_e32 v154, v147, v210
	v_fma_f32 v4, v131, v15, -v4
	v_fmac_f32_e32 v154, v148, v209
	v_add_f32_e32 v3, v3, v4
	v_mul_f32_e32 v4, v134, v196
	v_add_f32_e32 v153, v153, v154
	s_waitcnt vmcnt(42) lgkmcnt(0)
	v_mul_f32_e32 v154, v149, v212
	v_fma_f32 v4, v133, v14, -v4
	v_fmac_f32_e32 v154, v150, v211
	v_add_f32_e32 v3, v3, v4
	v_mul_f32_e32 v4, v136, v198
	v_add_f32_e32 v157, v153, v154
	ds_read2_b64 v[153:156], v92 offset0:71 offset1:72
	v_fma_f32 v4, v135, v197, -v4
	v_add_f32_e32 v3, v3, v4
	v_mul_f32_e32 v4, v138, v200
	s_waitcnt vmcnt(40)
	v_mul_f32_e32 v158, v151, v214
	v_fma_f32 v4, v137, v199, -v4
	v_fmac_f32_e32 v158, v152, v213
	v_add_f32_e32 v3, v3, v4
	v_mul_f32_e32 v4, v140, v202
	v_add_f32_e32 v161, v157, v158
	ds_read2_b64 v[157:160], v92 offset0:73 offset1:74
	v_fma_f32 v4, v139, v201, -v4
	s_waitcnt vmcnt(38) lgkmcnt(1)
	v_mul_f32_e32 v162, v153, v216
	v_add_f32_e32 v3, v3, v4
	v_mul_f32_e32 v4, v142, v204
	v_fmac_f32_e32 v162, v154, v215
	v_fma_f32 v4, v141, v203, -v4
	v_add_f32_e32 v161, v161, v162
	s_waitcnt vmcnt(37)
	v_mul_f32_e32 v162, v155, v217
	v_add_f32_e32 v3, v3, v4
	v_mul_f32_e32 v4, v144, v206
	s_waitcnt vmcnt(34)
	v_fmac_f32_e32 v162, v156, v220
	v_fma_f32 v4, v143, v205, -v4
	v_add_f32_e32 v161, v161, v162
	s_waitcnt lgkmcnt(0)
	v_mul_f32_e32 v162, v157, v219
	v_add_f32_e32 v3, v3, v4
	v_mul_f32_e32 v4, v146, v208
	v_fmac_f32_e32 v162, v158, v218
	v_fma_f32 v4, v145, v207, -v4
	v_add_f32_e32 v165, v161, v162
	ds_read2_b64 v[161:164], v92 offset0:75 offset1:76
	v_add_f32_e32 v3, v3, v4
	v_mul_f32_e32 v4, v148, v210
	v_fma_f32 v4, v147, v209, -v4
	s_waitcnt vmcnt(32)
	v_mul_f32_e32 v166, v159, v222
	v_add_f32_e32 v3, v3, v4
	v_mul_f32_e32 v4, v150, v212
	v_fmac_f32_e32 v166, v160, v221
	v_fma_f32 v4, v149, v211, -v4
	v_add_f32_e32 v169, v165, v166
	ds_read2_b64 v[165:168], v92 offset0:77 offset1:78
	v_add_f32_e32 v3, v3, v4
	v_mul_f32_e32 v4, v152, v214
	s_waitcnt vmcnt(30) lgkmcnt(1)
	v_mul_f32_e32 v170, v161, v224
	v_fma_f32 v4, v151, v213, -v4
	v_fmac_f32_e32 v170, v162, v223
	v_add_f32_e32 v3, v3, v4
	v_mul_f32_e32 v4, v154, v216
	v_add_f32_e32 v169, v169, v170
	s_waitcnt vmcnt(29)
	v_mul_f32_e32 v170, v163, v225
	v_fma_f32 v4, v153, v215, -v4
	s_waitcnt vmcnt(26)
	v_fmac_f32_e32 v170, v164, v228
	v_add_f32_e32 v3, v3, v4
	v_mul_f32_e32 v4, v156, v217
	v_add_f32_e32 v169, v169, v170
	s_waitcnt lgkmcnt(0)
	v_mul_f32_e32 v170, v165, v227
	v_fma_f32 v4, v155, v220, -v4
	v_fmac_f32_e32 v170, v166, v226
	v_add_f32_e32 v3, v3, v4
	v_mul_f32_e32 v4, v158, v219
	v_add_f32_e32 v173, v169, v170
	ds_read2_b64 v[169:172], v92 offset0:79 offset1:80
	v_fma_f32 v4, v157, v218, -v4
	v_add_f32_e32 v3, v3, v4
	v_mul_f32_e32 v4, v160, v222
	s_waitcnt vmcnt(24)
	v_mul_f32_e32 v174, v167, v230
	v_fma_f32 v4, v159, v221, -v4
	v_fmac_f32_e32 v174, v168, v229
	v_add_f32_e32 v3, v3, v4
	v_mul_f32_e32 v4, v162, v224
	v_add_f32_e32 v177, v173, v174
	ds_read2_b64 v[173:176], v92 offset0:81 offset1:82
	v_fma_f32 v4, v161, v223, -v4
	s_waitcnt vmcnt(22) lgkmcnt(1)
	v_mul_f32_e32 v178, v169, v232
	v_add_f32_e32 v3, v3, v4
	v_mul_f32_e32 v4, v164, v225
	v_fmac_f32_e32 v178, v170, v231
	v_fma_f32 v4, v163, v228, -v4
	v_add_f32_e32 v177, v177, v178
	s_waitcnt vmcnt(21)
	v_mul_f32_e32 v178, v171, v233
	v_add_f32_e32 v3, v3, v4
	v_mul_f32_e32 v4, v166, v227
	s_waitcnt vmcnt(18)
	v_fmac_f32_e32 v178, v172, v236
	v_fma_f32 v4, v165, v226, -v4
	v_add_f32_e32 v177, v177, v178
	s_waitcnt lgkmcnt(0)
	v_mul_f32_e32 v178, v173, v235
	v_add_f32_e32 v3, v3, v4
	v_mul_f32_e32 v4, v168, v230
	v_fmac_f32_e32 v178, v174, v234
	v_fma_f32 v4, v167, v229, -v4
	v_add_f32_e32 v181, v177, v178
	ds_read2_b64 v[177:180], v92 offset0:83 offset1:84
	v_add_f32_e32 v3, v3, v4
	v_mul_f32_e32 v4, v170, v232
	v_fma_f32 v4, v169, v231, -v4
	s_waitcnt vmcnt(16)
	v_mul_f32_e32 v182, v175, v238
	v_add_f32_e32 v3, v3, v4
	v_mul_f32_e32 v4, v172, v233
	v_fmac_f32_e32 v182, v176, v237
	v_fma_f32 v4, v171, v236, -v4
	v_add_f32_e32 v185, v181, v182
	ds_read2_b64 v[181:184], v92 offset0:85 offset1:86
	v_add_f32_e32 v3, v3, v4
	v_mul_f32_e32 v4, v174, v235
	s_waitcnt vmcnt(14) lgkmcnt(1)
	v_mul_f32_e32 v186, v177, v240
	v_fma_f32 v4, v173, v234, -v4
	v_fmac_f32_e32 v186, v178, v239
	v_add_f32_e32 v3, v3, v4
	v_mul_f32_e32 v4, v176, v238
	v_add_f32_e32 v185, v185, v186
	s_waitcnt vmcnt(13)
	v_mul_f32_e32 v186, v179, v241
	v_fma_f32 v4, v175, v237, -v4
	s_waitcnt vmcnt(10)
	v_fmac_f32_e32 v186, v180, v244
	v_add_f32_e32 v3, v3, v4
	v_mul_f32_e32 v4, v178, v240
	v_add_f32_e32 v185, v185, v186
	s_waitcnt lgkmcnt(0)
	v_mul_f32_e32 v186, v181, v243
	v_fma_f32 v4, v177, v239, -v4
	v_fmac_f32_e32 v186, v182, v242
	v_add_f32_e32 v3, v3, v4
	v_mul_f32_e32 v4, v180, v241
	v_add_f32_e32 v189, v185, v186
	ds_read2_b64 v[185:188], v92 offset0:87 offset1:88
	v_fma_f32 v4, v179, v244, -v4
	v_add_f32_e32 v3, v3, v4
	v_mul_f32_e32 v4, v182, v243
	s_waitcnt vmcnt(8)
	v_mul_f32_e32 v190, v183, v246
	v_fma_f32 v4, v181, v242, -v4
	v_fmac_f32_e32 v190, v184, v245
	v_add_f32_e32 v3, v3, v4
	v_mul_f32_e32 v4, v184, v246
	v_add_f32_e32 v255, v189, v190
	ds_read2_b64 v[189:192], v92 offset0:89 offset1:90
	v_fma_f32 v4, v183, v245, -v4
	v_add_f32_e32 v3, v3, v4
	s_waitcnt vmcnt(6) lgkmcnt(1)
	v_mul_f32_e32 v4, v186, v248
	v_mul_f32_e32 v92, v185, v248
	v_fma_f32 v4, v185, v247, -v4
	v_fmac_f32_e32 v92, v186, v247
	v_add_f32_e32 v3, v3, v4
	s_waitcnt vmcnt(5)
	v_mul_f32_e32 v4, v188, v249
	v_add_f32_e32 v92, v255, v92
	v_mul_f32_e32 v255, v187, v249
	s_waitcnt vmcnt(2)
	v_fma_f32 v4, v187, v252, -v4
	v_fmac_f32_e32 v255, v188, v252
	v_add_f32_e32 v3, v3, v4
	s_waitcnt lgkmcnt(0)
	v_mul_f32_e32 v4, v190, v251
	v_add_f32_e32 v92, v92, v255
	v_mul_f32_e32 v255, v189, v251
	v_fma_f32 v4, v189, v250, -v4
	v_fmac_f32_e32 v255, v190, v250
	v_add_f32_e32 v3, v3, v4
	s_waitcnt vmcnt(0)
	v_mul_f32_e32 v4, v192, v254
	v_add_f32_e32 v92, v92, v255
	v_mul_f32_e32 v255, v191, v254
	v_fma_f32 v4, v191, v253, -v4
	v_fmac_f32_e32 v255, v192, v253
	v_add_f32_e32 v3, v3, v4
	v_add_f32_e32 v92, v92, v255
	v_sub_f32_e32 v0, v0, v3
	v_sub_f32_e32 v3, v91, v92
	buffer_store_dword v0, off, s[0:3], 0
	buffer_store_dword v3, off, s[0:3], 0 offset:4
	s_cbranch_vccz .LBB108_372
; %bb.284:
	v_mov_b32_e32 v0, 0
	global_load_dword v91, v0, s[12:13] offset:172
	s_waitcnt vmcnt(0)
	v_add_u32_e32 v91, -1, v91
	v_cmp_ne_u32_e32 vcc, 43, v91
	s_cbranch_vccz .LBB108_286
; %bb.285:
	v_lshlrev_b32_e32 v3, 3, v91
	buffer_load_dword v4, v3, s[0:3], 0 offen
	buffer_load_dword v5, v3, s[0:3], 0 offen offset:4
	buffer_load_dword v6, off, s[0:3], 0 offset:344
	buffer_load_dword v7, off, s[0:3], 0 offset:348
	s_waitcnt vmcnt(3)
	buffer_store_dword v4, off, s[0:3], 0 offset:344
	s_waitcnt vmcnt(3)
	buffer_store_dword v5, off, s[0:3], 0 offset:348
	s_waitcnt vmcnt(3)
	buffer_store_dword v6, v3, s[0:3], 0 offen
	s_waitcnt vmcnt(3)
	buffer_store_dword v7, v3, s[0:3], 0 offen offset:4
.LBB108_286:
	global_load_dword v0, v0, s[12:13] offset:168
	s_waitcnt vmcnt(0)
	v_add_u32_e32 v0, -1, v0
	v_cmp_eq_u32_e32 vcc, 42, v0
	s_cbranch_vccnz .LBB108_288
; %bb.287:
	v_lshlrev_b32_e32 v0, 3, v0
	buffer_load_dword v3, v0, s[0:3], 0 offen
	buffer_load_dword v4, v0, s[0:3], 0 offen offset:4
	buffer_load_dword v5, off, s[0:3], 0 offset:340
	buffer_load_dword v6, off, s[0:3], 0 offset:336
	s_waitcnt vmcnt(3)
	buffer_store_dword v3, off, s[0:3], 0 offset:336
	s_waitcnt vmcnt(3)
	buffer_store_dword v4, off, s[0:3], 0 offset:340
	s_waitcnt vmcnt(3)
	buffer_store_dword v5, v0, s[0:3], 0 offen offset:4
	s_waitcnt vmcnt(3)
	buffer_store_dword v6, v0, s[0:3], 0 offen
.LBB108_288:
	v_mov_b32_e32 v0, 0
	global_load_dword v3, v0, s[12:13] offset:164
	s_waitcnt vmcnt(0)
	v_add_u32_e32 v91, -1, v3
	v_cmp_eq_u32_e32 vcc, 41, v91
	s_cbranch_vccnz .LBB108_290
; %bb.289:
	v_lshlrev_b32_e32 v3, 3, v91
	buffer_load_dword v4, v3, s[0:3], 0 offen
	buffer_load_dword v5, v3, s[0:3], 0 offen offset:4
	buffer_load_dword v6, off, s[0:3], 0 offset:328
	buffer_load_dword v7, off, s[0:3], 0 offset:332
	s_waitcnt vmcnt(3)
	buffer_store_dword v4, off, s[0:3], 0 offset:328
	s_waitcnt vmcnt(3)
	buffer_store_dword v5, off, s[0:3], 0 offset:332
	s_waitcnt vmcnt(3)
	buffer_store_dword v6, v3, s[0:3], 0 offen
	s_waitcnt vmcnt(3)
	buffer_store_dword v7, v3, s[0:3], 0 offen offset:4
.LBB108_290:
	global_load_dword v0, v0, s[12:13] offset:160
	s_waitcnt vmcnt(0)
	v_add_u32_e32 v0, -1, v0
	v_cmp_eq_u32_e32 vcc, 40, v0
	s_cbranch_vccnz .LBB108_292
; %bb.291:
	v_lshlrev_b32_e32 v0, 3, v0
	buffer_load_dword v3, v0, s[0:3], 0 offen
	buffer_load_dword v4, v0, s[0:3], 0 offen offset:4
	buffer_load_dword v5, off, s[0:3], 0 offset:324
	buffer_load_dword v6, off, s[0:3], 0 offset:320
	s_waitcnt vmcnt(3)
	buffer_store_dword v3, off, s[0:3], 0 offset:320
	s_waitcnt vmcnt(3)
	buffer_store_dword v4, off, s[0:3], 0 offset:324
	s_waitcnt vmcnt(3)
	buffer_store_dword v5, v0, s[0:3], 0 offen offset:4
	s_waitcnt vmcnt(3)
	buffer_store_dword v6, v0, s[0:3], 0 offen
.LBB108_292:
	v_mov_b32_e32 v0, 0
	global_load_dword v3, v0, s[12:13] offset:156
	s_waitcnt vmcnt(0)
	v_add_u32_e32 v91, -1, v3
	v_cmp_eq_u32_e32 vcc, 39, v91
	s_cbranch_vccnz .LBB108_294
; %bb.293:
	v_lshlrev_b32_e32 v3, 3, v91
	buffer_load_dword v4, v3, s[0:3], 0 offen
	buffer_load_dword v5, v3, s[0:3], 0 offen offset:4
	buffer_load_dword v6, off, s[0:3], 0 offset:312
	buffer_load_dword v7, off, s[0:3], 0 offset:316
	s_waitcnt vmcnt(3)
	buffer_store_dword v4, off, s[0:3], 0 offset:312
	s_waitcnt vmcnt(3)
	buffer_store_dword v5, off, s[0:3], 0 offset:316
	s_waitcnt vmcnt(3)
	buffer_store_dword v6, v3, s[0:3], 0 offen
	s_waitcnt vmcnt(3)
	buffer_store_dword v7, v3, s[0:3], 0 offen offset:4
.LBB108_294:
	;; [unrolled: 41-line block ×21, first 2 shown]
	global_load_dword v0, v0, s[12:13]
	s_waitcnt vmcnt(0)
	v_add_u32_e32 v0, -1, v0
	v_cmp_eq_u32_e32 vcc, 0, v0
	s_cbranch_vccnz .LBB108_372
; %bb.371:
	v_lshlrev_b32_e32 v0, 3, v0
	buffer_load_dword v3, v0, s[0:3], 0 offen
	buffer_load_dword v4, v0, s[0:3], 0 offen offset:4
	buffer_load_dword v5, off, s[0:3], 0 offset:4
	buffer_load_dword v6, off, s[0:3], 0
	s_waitcnt vmcnt(3)
	buffer_store_dword v3, off, s[0:3], 0
	s_waitcnt vmcnt(3)
	buffer_store_dword v4, off, s[0:3], 0 offset:4
	s_waitcnt vmcnt(3)
	buffer_store_dword v5, v0, s[0:3], 0 offen offset:4
	s_waitcnt vmcnt(3)
	buffer_store_dword v6, v0, s[0:3], 0 offen
.LBB108_372:
	buffer_load_dword v91, off, s[0:3], 0
	buffer_load_dword v92, off, s[0:3], 0 offset:4
	s_waitcnt vmcnt(0)
	flat_store_dwordx2 v[1:2], v[91:92]
	buffer_load_dword v0, off, s[0:3], 0 offset:8
	s_nop 0
	buffer_load_dword v1, off, s[0:3], 0 offset:12
	buffer_load_dword v2, off, s[0:3], 0 offset:360 ; 4-byte Folded Reload
	buffer_load_dword v3, off, s[0:3], 0 offset:364 ; 4-byte Folded Reload
	s_waitcnt vmcnt(0)
	flat_store_dwordx2 v[2:3], v[0:1]
	buffer_load_dword v0, off, s[0:3], 0 offset:16
	s_nop 0
	buffer_load_dword v1, off, s[0:3], 0 offset:20
	buffer_load_dword v2, off, s[0:3], 0 offset:368 ; 4-byte Folded Reload
	buffer_load_dword v3, off, s[0:3], 0 offset:372 ; 4-byte Folded Reload
	s_waitcnt vmcnt(0)
	flat_store_dwordx2 v[2:3], v[0:1]
	buffer_load_dword v0, off, s[0:3], 0 offset:24
	s_nop 0
	buffer_load_dword v1, off, s[0:3], 0 offset:28
	buffer_load_dword v2, off, s[0:3], 0 offset:376 ; 4-byte Folded Reload
	buffer_load_dword v3, off, s[0:3], 0 offset:380 ; 4-byte Folded Reload
	s_waitcnt vmcnt(0)
	flat_store_dwordx2 v[2:3], v[0:1]
	buffer_load_dword v0, off, s[0:3], 0 offset:32
	s_nop 0
	buffer_load_dword v1, off, s[0:3], 0 offset:36
	buffer_load_dword v2, off, s[0:3], 0 offset:384 ; 4-byte Folded Reload
	buffer_load_dword v3, off, s[0:3], 0 offset:388 ; 4-byte Folded Reload
	s_waitcnt vmcnt(0)
	flat_store_dwordx2 v[2:3], v[0:1]
	buffer_load_dword v0, off, s[0:3], 0 offset:40
	s_nop 0
	buffer_load_dword v1, off, s[0:3], 0 offset:44
	buffer_load_dword v2, off, s[0:3], 0 offset:392 ; 4-byte Folded Reload
	buffer_load_dword v3, off, s[0:3], 0 offset:396 ; 4-byte Folded Reload
	s_waitcnt vmcnt(0)
	flat_store_dwordx2 v[2:3], v[0:1]
	buffer_load_dword v0, off, s[0:3], 0 offset:48
	s_nop 0
	buffer_load_dword v1, off, s[0:3], 0 offset:52
	buffer_load_dword v2, off, s[0:3], 0 offset:400 ; 4-byte Folded Reload
	buffer_load_dword v3, off, s[0:3], 0 offset:404 ; 4-byte Folded Reload
	s_waitcnt vmcnt(0)
	flat_store_dwordx2 v[2:3], v[0:1]
	buffer_load_dword v0, off, s[0:3], 0 offset:56
	s_nop 0
	buffer_load_dword v1, off, s[0:3], 0 offset:60
	buffer_load_dword v2, off, s[0:3], 0 offset:408 ; 4-byte Folded Reload
	buffer_load_dword v3, off, s[0:3], 0 offset:412 ; 4-byte Folded Reload
	s_waitcnt vmcnt(0)
	flat_store_dwordx2 v[2:3], v[0:1]
	buffer_load_dword v0, off, s[0:3], 0 offset:64
	s_nop 0
	buffer_load_dword v1, off, s[0:3], 0 offset:68
	s_waitcnt vmcnt(0)
	flat_store_dwordx2 v[17:18], v[0:1]
	buffer_load_dword v0, off, s[0:3], 0 offset:72
	s_nop 0
	buffer_load_dword v1, off, s[0:3], 0 offset:76
	;; [unrolled: 5-line block ×37, first 2 shown]
	s_waitcnt vmcnt(0)
	flat_store_dwordx2 v[89:90], v[0:1]
	s_endpgm
	.section	.rodata,"a",@progbits
	.p2align	6, 0x0
	.amdhsa_kernel _ZN9rocsolver6v33100L18getri_kernel_smallILi45E19rocblas_complex_numIfEPKPS3_EEvT1_iilPiilS8_bb
		.amdhsa_group_segment_fixed_size 728
		.amdhsa_private_segment_fixed_size 432
		.amdhsa_kernarg_size 60
		.amdhsa_user_sgpr_count 6
		.amdhsa_user_sgpr_private_segment_buffer 1
		.amdhsa_user_sgpr_dispatch_ptr 0
		.amdhsa_user_sgpr_queue_ptr 0
		.amdhsa_user_sgpr_kernarg_segment_ptr 1
		.amdhsa_user_sgpr_dispatch_id 0
		.amdhsa_user_sgpr_flat_scratch_init 0
		.amdhsa_user_sgpr_private_segment_size 0
		.amdhsa_uses_dynamic_stack 0
		.amdhsa_system_sgpr_private_segment_wavefront_offset 1
		.amdhsa_system_sgpr_workgroup_id_x 1
		.amdhsa_system_sgpr_workgroup_id_y 0
		.amdhsa_system_sgpr_workgroup_id_z 0
		.amdhsa_system_sgpr_workgroup_info 0
		.amdhsa_system_vgpr_workitem_id 0
		.amdhsa_next_free_vgpr 256
		.amdhsa_next_free_sgpr 21
		.amdhsa_reserve_vcc 1
		.amdhsa_reserve_flat_scratch 0
		.amdhsa_float_round_mode_32 0
		.amdhsa_float_round_mode_16_64 0
		.amdhsa_float_denorm_mode_32 3
		.amdhsa_float_denorm_mode_16_64 3
		.amdhsa_dx10_clamp 1
		.amdhsa_ieee_mode 1
		.amdhsa_fp16_overflow 0
		.amdhsa_exception_fp_ieee_invalid_op 0
		.amdhsa_exception_fp_denorm_src 0
		.amdhsa_exception_fp_ieee_div_zero 0
		.amdhsa_exception_fp_ieee_overflow 0
		.amdhsa_exception_fp_ieee_underflow 0
		.amdhsa_exception_fp_ieee_inexact 0
		.amdhsa_exception_int_div_zero 0
	.end_amdhsa_kernel
	.section	.text._ZN9rocsolver6v33100L18getri_kernel_smallILi45E19rocblas_complex_numIfEPKPS3_EEvT1_iilPiilS8_bb,"axG",@progbits,_ZN9rocsolver6v33100L18getri_kernel_smallILi45E19rocblas_complex_numIfEPKPS3_EEvT1_iilPiilS8_bb,comdat
.Lfunc_end108:
	.size	_ZN9rocsolver6v33100L18getri_kernel_smallILi45E19rocblas_complex_numIfEPKPS3_EEvT1_iilPiilS8_bb, .Lfunc_end108-_ZN9rocsolver6v33100L18getri_kernel_smallILi45E19rocblas_complex_numIfEPKPS3_EEvT1_iilPiilS8_bb
                                        ; -- End function
	.set _ZN9rocsolver6v33100L18getri_kernel_smallILi45E19rocblas_complex_numIfEPKPS3_EEvT1_iilPiilS8_bb.num_vgpr, 256
	.set _ZN9rocsolver6v33100L18getri_kernel_smallILi45E19rocblas_complex_numIfEPKPS3_EEvT1_iilPiilS8_bb.num_agpr, 0
	.set _ZN9rocsolver6v33100L18getri_kernel_smallILi45E19rocblas_complex_numIfEPKPS3_EEvT1_iilPiilS8_bb.numbered_sgpr, 21
	.set _ZN9rocsolver6v33100L18getri_kernel_smallILi45E19rocblas_complex_numIfEPKPS3_EEvT1_iilPiilS8_bb.num_named_barrier, 0
	.set _ZN9rocsolver6v33100L18getri_kernel_smallILi45E19rocblas_complex_numIfEPKPS3_EEvT1_iilPiilS8_bb.private_seg_size, 432
	.set _ZN9rocsolver6v33100L18getri_kernel_smallILi45E19rocblas_complex_numIfEPKPS3_EEvT1_iilPiilS8_bb.uses_vcc, 1
	.set _ZN9rocsolver6v33100L18getri_kernel_smallILi45E19rocblas_complex_numIfEPKPS3_EEvT1_iilPiilS8_bb.uses_flat_scratch, 0
	.set _ZN9rocsolver6v33100L18getri_kernel_smallILi45E19rocblas_complex_numIfEPKPS3_EEvT1_iilPiilS8_bb.has_dyn_sized_stack, 0
	.set _ZN9rocsolver6v33100L18getri_kernel_smallILi45E19rocblas_complex_numIfEPKPS3_EEvT1_iilPiilS8_bb.has_recursion, 0
	.set _ZN9rocsolver6v33100L18getri_kernel_smallILi45E19rocblas_complex_numIfEPKPS3_EEvT1_iilPiilS8_bb.has_indirect_call, 0
	.section	.AMDGPU.csdata,"",@progbits
; Kernel info:
; codeLenInByte = 78212
; TotalNumSgprs: 25
; NumVgprs: 256
; ScratchSize: 432
; MemoryBound: 0
; FloatMode: 240
; IeeeMode: 1
; LDSByteSize: 728 bytes/workgroup (compile time only)
; SGPRBlocks: 3
; VGPRBlocks: 63
; NumSGPRsForWavesPerEU: 25
; NumVGPRsForWavesPerEU: 256
; Occupancy: 1
; WaveLimiterHint : 1
; COMPUTE_PGM_RSRC2:SCRATCH_EN: 1
; COMPUTE_PGM_RSRC2:USER_SGPR: 6
; COMPUTE_PGM_RSRC2:TRAP_HANDLER: 0
; COMPUTE_PGM_RSRC2:TGID_X_EN: 1
; COMPUTE_PGM_RSRC2:TGID_Y_EN: 0
; COMPUTE_PGM_RSRC2:TGID_Z_EN: 0
; COMPUTE_PGM_RSRC2:TIDIG_COMP_CNT: 0
	.section	.text._ZN9rocsolver6v33100L18getri_kernel_smallILi46E19rocblas_complex_numIfEPKPS3_EEvT1_iilPiilS8_bb,"axG",@progbits,_ZN9rocsolver6v33100L18getri_kernel_smallILi46E19rocblas_complex_numIfEPKPS3_EEvT1_iilPiilS8_bb,comdat
	.globl	_ZN9rocsolver6v33100L18getri_kernel_smallILi46E19rocblas_complex_numIfEPKPS3_EEvT1_iilPiilS8_bb ; -- Begin function _ZN9rocsolver6v33100L18getri_kernel_smallILi46E19rocblas_complex_numIfEPKPS3_EEvT1_iilPiilS8_bb
	.p2align	8
	.type	_ZN9rocsolver6v33100L18getri_kernel_smallILi46E19rocblas_complex_numIfEPKPS3_EEvT1_iilPiilS8_bb,@function
_ZN9rocsolver6v33100L18getri_kernel_smallILi46E19rocblas_complex_numIfEPKPS3_EEvT1_iilPiilS8_bb: ; @_ZN9rocsolver6v33100L18getri_kernel_smallILi46E19rocblas_complex_numIfEPKPS3_EEvT1_iilPiilS8_bb
; %bb.0:
	s_add_u32 s0, s0, s7
	s_addc_u32 s1, s1, 0
	v_cmp_gt_u32_e32 vcc, 46, v0
	s_and_saveexec_b64 s[8:9], vcc
	s_cbranch_execz .LBB109_198
; %bb.1:
	s_load_dword s18, s[4:5], 0x38
	s_load_dwordx2 s[12:13], s[4:5], 0x0
	s_load_dwordx4 s[8:11], s[4:5], 0x28
	s_waitcnt lgkmcnt(0)
	s_bitcmp1_b32 s18, 8
	s_cselect_b64 s[14:15], -1, 0
	s_ashr_i32 s7, s6, 31
	s_lshl_b64 s[16:17], s[6:7], 3
	s_add_u32 s12, s12, s16
	s_addc_u32 s13, s13, s17
	s_load_dwordx2 s[16:17], s[12:13], 0x0
	s_bfe_u32 s12, s18, 0x10008
	s_cmp_eq_u32 s12, 0
                                        ; implicit-def: $sgpr12_sgpr13
	s_cbranch_scc1 .LBB109_3
; %bb.2:
	s_load_dword s12, s[4:5], 0x20
	s_load_dwordx2 s[18:19], s[4:5], 0x18
	s_mul_i32 s13, s8, s7
	s_mul_hi_u32 s20, s8, s6
	s_add_i32 s20, s20, s13
	s_mul_i32 s9, s9, s6
	s_add_i32 s9, s20, s9
	s_mul_i32 s8, s8, s6
	s_waitcnt lgkmcnt(0)
	s_ashr_i32 s13, s12, 31
	s_lshl_b64 s[8:9], s[8:9], 2
	s_add_u32 s18, s18, s8
	s_addc_u32 s19, s19, s9
	s_lshl_b64 s[8:9], s[12:13], 2
	s_add_u32 s12, s18, s8
	s_addc_u32 s13, s19, s9
.LBB109_3:
	s_load_dwordx2 s[8:9], s[4:5], 0x8
	s_load_dword s18, s[4:5], 0x38
	v_lshlrev_b32_e32 v95, 3, v0
	s_waitcnt lgkmcnt(0)
	s_ashr_i32 s5, s8, 31
	s_mov_b32 s4, s8
	s_lshl_b64 s[4:5], s[4:5], 3
	s_add_u32 s4, s16, s4
	s_addc_u32 s5, s17, s5
	v_mov_b32_e32 v2, s5
	v_add_co_u32_e32 v1, vcc, s4, v95
	v_addc_co_u32_e32 v2, vcc, 0, v2, vcc
	flat_load_dwordx2 v[5:6], v[1:2]
	s_mov_b32 s16, s9
	s_ashr_i32 s17, s9, 31
	s_lshl_b64 s[16:17], s[16:17], 3
	v_mov_b32_e32 v4, s17
	v_add_co_u32_e32 v3, vcc, s16, v1
	v_addc_co_u32_e32 v4, vcc, v2, v4, vcc
	s_add_i32 s8, s9, s9
	v_add_u32_e32 v9, s8, v0
	v_ashrrev_i32_e32 v10, 31, v9
	v_mov_b32_e32 v11, s5
	v_add_u32_e32 v12, s9, v9
	v_ashrrev_i32_e32 v13, 31, v12
	v_mov_b32_e32 v14, s5
	v_mov_b32_e32 v15, s5
	;; [unrolled: 1-line block ×42, first 2 shown]
	s_bitcmp0_b32 s18, 0
	s_waitcnt vmcnt(0) lgkmcnt(0)
	buffer_store_dword v6, off, s[0:3], 0 offset:4
	buffer_store_dword v5, off, s[0:3], 0
	buffer_store_dword v3, off, s[0:3], 0 offset:368 ; 4-byte Folded Spill
	s_nop 0
	buffer_store_dword v4, off, s[0:3], 0 offset:372 ; 4-byte Folded Spill
	v_lshlrev_b64 v[5:6], 3, v[9:10]
	flat_load_dwordx2 v[7:8], v[3:4]
	v_add_co_u32_e32 v3, vcc, s4, v5
	v_addc_co_u32_e32 v4, vcc, v11, v6, vcc
	s_waitcnt vmcnt(0) lgkmcnt(0)
	buffer_store_dword v8, off, s[0:3], 0 offset:12
	buffer_store_dword v7, off, s[0:3], 0 offset:8
	buffer_store_dword v3, off, s[0:3], 0 offset:376 ; 4-byte Folded Spill
	s_nop 0
	buffer_store_dword v4, off, s[0:3], 0 offset:380 ; 4-byte Folded Spill
	v_lshlrev_b64 v[7:8], 3, v[12:13]
	flat_load_dwordx2 v[10:11], v[3:4]
	v_add_co_u32_e32 v3, vcc, s4, v7
	v_addc_co_u32_e32 v4, vcc, v14, v8, vcc
	s_waitcnt vmcnt(0) lgkmcnt(0)
	buffer_store_dword v11, off, s[0:3], 0 offset:20
	buffer_store_dword v10, off, s[0:3], 0 offset:16
	buffer_store_dword v3, off, s[0:3], 0 offset:384 ; 4-byte Folded Spill
	s_nop 0
	buffer_store_dword v4, off, s[0:3], 0 offset:388 ; 4-byte Folded Spill
	v_add_u32_e32 v11, s9, v12
	v_ashrrev_i32_e32 v12, 31, v11
	v_lshlrev_b64 v[9:10], 3, v[11:12]
	flat_load_dwordx2 v[13:14], v[3:4]
	v_add_co_u32_e32 v3, vcc, s4, v9
	v_addc_co_u32_e32 v4, vcc, v15, v10, vcc
	v_add_u32_e32 v15, s9, v11
	v_ashrrev_i32_e32 v16, 31, v15
	v_lshlrev_b64 v[11:12], 3, v[15:16]
	v_add_u32_e32 v18, s9, v15
	v_ashrrev_i32_e32 v19, 31, v18
	s_waitcnt vmcnt(0) lgkmcnt(0)
	buffer_store_dword v14, off, s[0:3], 0 offset:28
	buffer_store_dword v13, off, s[0:3], 0 offset:24
	buffer_store_dword v3, off, s[0:3], 0 offset:392 ; 4-byte Folded Spill
	s_nop 0
	buffer_store_dword v4, off, s[0:3], 0 offset:396 ; 4-byte Folded Spill
	flat_load_dwordx2 v[13:14], v[3:4]
	v_add_co_u32_e32 v3, vcc, s4, v11
	v_addc_co_u32_e32 v4, vcc, v17, v12, vcc
	s_waitcnt vmcnt(0) lgkmcnt(0)
	buffer_store_dword v14, off, s[0:3], 0 offset:36
	buffer_store_dword v13, off, s[0:3], 0 offset:32
	buffer_store_dword v3, off, s[0:3], 0 offset:400 ; 4-byte Folded Spill
	s_nop 0
	buffer_store_dword v4, off, s[0:3], 0 offset:404 ; 4-byte Folded Spill
	v_lshlrev_b64 v[13:14], 3, v[18:19]
	flat_load_dwordx2 v[16:17], v[3:4]
	v_add_co_u32_e32 v3, vcc, s4, v13
	v_addc_co_u32_e32 v4, vcc, v20, v14, vcc
	s_waitcnt vmcnt(0) lgkmcnt(0)
	buffer_store_dword v17, off, s[0:3], 0 offset:44
	buffer_store_dword v16, off, s[0:3], 0 offset:40
	buffer_store_dword v3, off, s[0:3], 0 offset:408 ; 4-byte Folded Spill
	s_nop 0
	buffer_store_dword v4, off, s[0:3], 0 offset:412 ; 4-byte Folded Spill
	v_add_u32_e32 v17, s9, v18
	v_ashrrev_i32_e32 v18, 31, v17
	v_lshlrev_b64 v[15:16], 3, v[17:18]
	flat_load_dwordx2 v[19:20], v[3:4]
	v_add_co_u32_e32 v3, vcc, s4, v15
	v_addc_co_u32_e32 v4, vcc, v21, v16, vcc
	v_add_u32_e32 v21, s9, v17
	v_ashrrev_i32_e32 v22, 31, v21
	v_lshlrev_b64 v[17:18], 3, v[21:22]
	v_add_u32_e32 v24, s9, v21
	v_ashrrev_i32_e32 v25, 31, v24
	s_waitcnt vmcnt(0) lgkmcnt(0)
	buffer_store_dword v20, off, s[0:3], 0 offset:52
	buffer_store_dword v19, off, s[0:3], 0 offset:48
	buffer_store_dword v3, off, s[0:3], 0 offset:416 ; 4-byte Folded Spill
	s_nop 0
	buffer_store_dword v4, off, s[0:3], 0 offset:420 ; 4-byte Folded Spill
	flat_load_dwordx2 v[19:20], v[3:4]
	v_add_co_u32_e32 v3, vcc, s4, v17
	v_addc_co_u32_e32 v4, vcc, v23, v18, vcc
	s_waitcnt vmcnt(0) lgkmcnt(0)
	buffer_store_dword v20, off, s[0:3], 0 offset:60
	buffer_store_dword v19, off, s[0:3], 0 offset:56
	buffer_store_dword v3, off, s[0:3], 0 offset:424 ; 4-byte Folded Spill
	s_nop 0
	buffer_store_dword v4, off, s[0:3], 0 offset:428 ; 4-byte Folded Spill
	v_lshlrev_b64 v[19:20], 3, v[24:25]
	flat_load_dwordx2 v[22:23], v[3:4]
	v_add_co_u32_e32 v3, vcc, s4, v19
	v_addc_co_u32_e32 v4, vcc, v26, v20, vcc
	s_waitcnt vmcnt(0) lgkmcnt(0)
	buffer_store_dword v23, off, s[0:3], 0 offset:68
	buffer_store_dword v22, off, s[0:3], 0 offset:64
	buffer_store_dword v3, off, s[0:3], 0 offset:432 ; 4-byte Folded Spill
	s_nop 0
	buffer_store_dword v4, off, s[0:3], 0 offset:436 ; 4-byte Folded Spill
	v_add_u32_e32 v23, s9, v24
	v_ashrrev_i32_e32 v24, 31, v23
	v_lshlrev_b64 v[21:22], 3, v[23:24]
	flat_load_dwordx2 v[25:26], v[3:4]
	v_add_co_u32_e32 v3, vcc, s4, v21
	v_addc_co_u32_e32 v4, vcc, v27, v22, vcc
	v_add_u32_e32 v27, s9, v23
	v_ashrrev_i32_e32 v28, 31, v27
	v_lshlrev_b64 v[23:24], 3, v[27:28]
	v_add_u32_e32 v30, s9, v27
	v_ashrrev_i32_e32 v31, 31, v30
	s_waitcnt vmcnt(0) lgkmcnt(0)
	buffer_store_dword v26, off, s[0:3], 0 offset:76
	buffer_store_dword v25, off, s[0:3], 0 offset:72
	buffer_store_dword v3, off, s[0:3], 0 offset:440 ; 4-byte Folded Spill
	s_nop 0
	buffer_store_dword v4, off, s[0:3], 0 offset:444 ; 4-byte Folded Spill
	flat_load_dwordx2 v[25:26], v[3:4]
	v_add_co_u32_e32 v3, vcc, s4, v23
	v_addc_co_u32_e32 v4, vcc, v29, v24, vcc
	s_waitcnt vmcnt(0) lgkmcnt(0)
	buffer_store_dword v26, off, s[0:3], 0 offset:84
	buffer_store_dword v25, off, s[0:3], 0 offset:80
	buffer_store_dword v3, off, s[0:3], 0 offset:448 ; 4-byte Folded Spill
	s_nop 0
	buffer_store_dword v4, off, s[0:3], 0 offset:452 ; 4-byte Folded Spill
	v_lshlrev_b64 v[25:26], 3, v[30:31]
	v_add_co_u32_e32 v25, vcc, s4, v25
	v_addc_co_u32_e32 v26, vcc, v32, v26, vcc
	flat_load_dwordx2 v[28:29], v[3:4]
	s_waitcnt vmcnt(0) lgkmcnt(0)
	buffer_store_dword v29, off, s[0:3], 0 offset:92
	buffer_store_dword v28, off, s[0:3], 0 offset:88
	flat_load_dwordx2 v[31:32], v[25:26]
	v_add_u32_e32 v29, s9, v30
	v_ashrrev_i32_e32 v30, 31, v29
	v_lshlrev_b64 v[27:28], 3, v[29:30]
	s_waitcnt vmcnt(0) lgkmcnt(0)
	buffer_store_dword v32, off, s[0:3], 0 offset:100
	buffer_store_dword v31, off, s[0:3], 0 offset:96
	v_add_co_u32_e32 v27, vcc, s4, v27
	v_addc_co_u32_e32 v28, vcc, v33, v28, vcc
	flat_load_dwordx2 v[31:32], v[27:28]
	v_add_u32_e32 v33, s9, v29
	v_ashrrev_i32_e32 v34, 31, v33
	v_lshlrev_b64 v[29:30], 3, v[33:34]
	v_add_u32_e32 v36, s9, v33
	v_add_co_u32_e32 v29, vcc, s4, v29
	v_addc_co_u32_e32 v30, vcc, v35, v30, vcc
	v_ashrrev_i32_e32 v37, 31, v36
	s_waitcnt vmcnt(0) lgkmcnt(0)
	buffer_store_dword v32, off, s[0:3], 0 offset:108
	buffer_store_dword v31, off, s[0:3], 0 offset:104
	flat_load_dwordx2 v[34:35], v[29:30]
	v_lshlrev_b64 v[31:32], 3, v[36:37]
	s_waitcnt vmcnt(0) lgkmcnt(0)
	buffer_store_dword v35, off, s[0:3], 0 offset:116
	buffer_store_dword v34, off, s[0:3], 0 offset:112
	v_add_co_u32_e32 v31, vcc, s4, v31
	v_addc_co_u32_e32 v32, vcc, v38, v32, vcc
	flat_load_dwordx2 v[37:38], v[31:32]
	v_add_u32_e32 v35, s9, v36
	v_ashrrev_i32_e32 v36, 31, v35
	v_lshlrev_b64 v[33:34], 3, v[35:36]
	s_waitcnt vmcnt(0) lgkmcnt(0)
	buffer_store_dword v38, off, s[0:3], 0 offset:124
	buffer_store_dword v37, off, s[0:3], 0 offset:120
	v_add_co_u32_e32 v33, vcc, s4, v33
	v_addc_co_u32_e32 v34, vcc, v39, v34, vcc
	flat_load_dwordx2 v[37:38], v[33:34]
	v_add_u32_e32 v39, s9, v35
	v_ashrrev_i32_e32 v40, 31, v39
	v_lshlrev_b64 v[35:36], 3, v[39:40]
	v_add_u32_e32 v42, s9, v39
	v_add_co_u32_e32 v35, vcc, s4, v35
	v_addc_co_u32_e32 v36, vcc, v41, v36, vcc
	v_ashrrev_i32_e32 v43, 31, v42
	s_waitcnt vmcnt(0) lgkmcnt(0)
	buffer_store_dword v38, off, s[0:3], 0 offset:132
	buffer_store_dword v37, off, s[0:3], 0 offset:128
	flat_load_dwordx2 v[40:41], v[35:36]
	v_lshlrev_b64 v[37:38], 3, v[42:43]
	s_waitcnt vmcnt(0) lgkmcnt(0)
	buffer_store_dword v41, off, s[0:3], 0 offset:140
	buffer_store_dword v40, off, s[0:3], 0 offset:136
	v_add_co_u32_e32 v37, vcc, s4, v37
	v_addc_co_u32_e32 v38, vcc, v44, v38, vcc
	;; [unrolled: 27-line block ×8, first 2 shown]
	flat_load_dwordx2 v[79:80], v[73:74]
	v_add_u32_e32 v77, s9, v78
	v_ashrrev_i32_e32 v78, 31, v77
	v_lshlrev_b64 v[75:76], 3, v[77:78]
	s_waitcnt vmcnt(0) lgkmcnt(0)
	buffer_store_dword v80, off, s[0:3], 0 offset:292
	buffer_store_dword v79, off, s[0:3], 0 offset:288
	v_add_co_u32_e32 v75, vcc, s4, v75
	v_addc_co_u32_e32 v76, vcc, v81, v76, vcc
	flat_load_dwordx2 v[79:80], v[75:76]
	v_add_u32_e32 v81, s9, v77
	v_ashrrev_i32_e32 v82, 31, v81
	v_lshlrev_b64 v[77:78], 3, v[81:82]
	v_add_u32_e32 v84, s9, v81
	v_add_co_u32_e32 v77, vcc, s4, v77
	v_addc_co_u32_e32 v78, vcc, v83, v78, vcc
	s_waitcnt vmcnt(0) lgkmcnt(0)
	buffer_store_dword v80, off, s[0:3], 0 offset:300
	buffer_store_dword v79, off, s[0:3], 0 offset:296
	flat_load_dwordx2 v[82:83], v[77:78]
	v_ashrrev_i32_e32 v85, 31, v84
	v_lshlrev_b64 v[79:80], 3, v[84:85]
	s_waitcnt vmcnt(0) lgkmcnt(0)
	buffer_store_dword v83, off, s[0:3], 0 offset:308
	buffer_store_dword v82, off, s[0:3], 0 offset:304
	v_add_co_u32_e32 v79, vcc, s4, v79
	v_addc_co_u32_e32 v80, vcc, v86, v80, vcc
	flat_load_dwordx2 v[85:86], v[79:80]
	v_add_u32_e32 v83, s9, v84
	v_ashrrev_i32_e32 v84, 31, v83
	v_lshlrev_b64 v[81:82], 3, v[83:84]
	s_waitcnt vmcnt(0) lgkmcnt(0)
	buffer_store_dword v86, off, s[0:3], 0 offset:316
	buffer_store_dword v85, off, s[0:3], 0 offset:312
	v_add_co_u32_e32 v81, vcc, s4, v81
	v_addc_co_u32_e32 v82, vcc, v87, v82, vcc
	flat_load_dwordx2 v[85:86], v[81:82]
	v_add_u32_e32 v87, s9, v83
	;; [unrolled: 9-line block ×6, first 2 shown]
	v_ashrrev_i32_e32 v92, 31, v91
	v_lshlrev_b64 v[91:92], 3, v[91:92]
	v_mov_b32_e32 v94, s5
	v_add_co_u32_e32 v91, vcc, s4, v91
	v_addc_co_u32_e32 v92, vcc, v94, v92, vcc
	s_waitcnt vmcnt(0) lgkmcnt(0)
	buffer_store_dword v97, off, s[0:3], 0 offset:356
	buffer_store_dword v96, off, s[0:3], 0 offset:352
	flat_load_dwordx2 v[93:94], v[91:92]
	s_mov_b64 s[8:9], -1
	s_waitcnt vmcnt(0) lgkmcnt(0)
	buffer_store_dword v94, off, s[0:3], 0 offset:364
	buffer_store_dword v93, off, s[0:3], 0 offset:360
	s_cbranch_scc1 .LBB109_196
; %bb.4:
	v_cmp_eq_u32_e64 s[4:5], 0, v0
	s_and_saveexec_b64 s[8:9], s[4:5]
; %bb.5:
	v_mov_b32_e32 v93, 0
	ds_write_b32 v93, v93 offset:736
; %bb.6:
	s_or_b64 exec, exec, s[8:9]
	v_mov_b32_e32 v93, 0
	v_lshl_add_u32 v97, v0, 3, v93
	s_waitcnt lgkmcnt(0)
	; wave barrier
	buffer_load_dword v93, v97, s[0:3], 0 offen
	buffer_load_dword v94, v97, s[0:3], 0 offen offset:4
	s_waitcnt vmcnt(1)
	v_cmp_eq_f32_e32 vcc, 0, v93
	s_waitcnt vmcnt(0)
	v_cmp_eq_f32_e64 s[8:9], 0, v94
	s_and_b64 s[8:9], vcc, s[8:9]
	s_and_saveexec_b64 s[16:17], s[8:9]
	s_cbranch_execz .LBB109_10
; %bb.7:
	v_mov_b32_e32 v93, 0
	ds_read_b32 v96, v93 offset:736
	v_add_u32_e32 v94, 1, v0
	s_waitcnt lgkmcnt(0)
	v_readfirstlane_b32 s8, v96
	s_cmp_eq_u32 s8, 0
	s_cselect_b64 s[18:19], -1, 0
	v_cmp_gt_i32_e32 vcc, s8, v94
	s_or_b64 s[18:19], s[18:19], vcc
	s_and_b64 exec, exec, s[18:19]
	s_cbranch_execz .LBB109_10
; %bb.8:
	s_mov_b64 s[18:19], 0
	v_mov_b32_e32 v96, s8
.LBB109_9:                              ; =>This Inner Loop Header: Depth=1
	ds_cmpst_rtn_b32 v96, v93, v96, v94 offset:736
	s_waitcnt lgkmcnt(0)
	v_cmp_ne_u32_e32 vcc, 0, v96
	v_cmp_le_i32_e64 s[8:9], v96, v94
	s_and_b64 s[8:9], vcc, s[8:9]
	s_and_b64 s[8:9], exec, s[8:9]
	s_or_b64 s[18:19], s[8:9], s[18:19]
	s_andn2_b64 exec, exec, s[18:19]
	s_cbranch_execnz .LBB109_9
.LBB109_10:
	s_or_b64 exec, exec, s[16:17]
	v_mov_b32_e32 v94, 0
	; wave barrier
	ds_read_b32 v93, v94 offset:736
	s_and_saveexec_b64 s[8:9], s[4:5]
	s_cbranch_execz .LBB109_12
; %bb.11:
	s_lshl_b64 s[16:17], s[6:7], 2
	s_add_u32 s16, s10, s16
	s_addc_u32 s17, s11, s17
	s_waitcnt lgkmcnt(0)
	global_store_dword v94, v93, s[16:17]
.LBB109_12:
	s_or_b64 exec, exec, s[8:9]
	s_waitcnt lgkmcnt(0)
	v_cmp_ne_u32_e32 vcc, 0, v93
	s_mov_b64 s[8:9], 0
	s_cbranch_vccnz .LBB109_196
; %bb.13:
	buffer_load_dword v94, v97, s[0:3], 0 offen
	buffer_load_dword v96, v97, s[0:3], 0 offen offset:4
                                        ; implicit-def: $vgpr99
                                        ; implicit-def: $vgpr98
                                        ; implicit-def: $vgpr93
	s_waitcnt vmcnt(0)
	v_cmp_ngt_f32_e64 s[8:9], |v94|, |v96|
	s_and_saveexec_b64 s[16:17], s[8:9]
	s_xor_b64 s[8:9], exec, s[16:17]
	s_cbranch_execz .LBB109_15
; %bb.14:
	v_div_scale_f32 v93, s[16:17], v96, v96, v94
	v_div_scale_f32 v98, vcc, v94, v96, v94
	v_rcp_f32_e32 v99, v93
	v_fma_f32 v100, -v93, v99, 1.0
	v_fmac_f32_e32 v99, v100, v99
	v_mul_f32_e32 v100, v98, v99
	v_fma_f32 v101, -v93, v100, v98
	v_fmac_f32_e32 v100, v101, v99
	v_fma_f32 v93, -v93, v100, v98
	v_div_fmas_f32 v93, v93, v99, v100
	v_div_fixup_f32 v93, v93, v96, v94
	v_fmac_f32_e32 v96, v94, v93
	v_div_scale_f32 v94, s[16:17], v96, v96, 1.0
	v_div_scale_f32 v98, vcc, 1.0, v96, 1.0
	v_rcp_f32_e32 v99, v94
	v_fma_f32 v100, -v94, v99, 1.0
	v_fmac_f32_e32 v99, v100, v99
	v_mul_f32_e32 v100, v98, v99
	v_fma_f32 v101, -v94, v100, v98
	v_fmac_f32_e32 v100, v101, v99
	v_fma_f32 v94, -v94, v100, v98
	v_div_fmas_f32 v94, v94, v99, v100
	v_div_fixup_f32 v94, v94, v96, 1.0
	v_mul_f32_e32 v99, v93, v94
	v_xor_b32_e32 v98, 0x80000000, v94
	v_xor_b32_e32 v93, 0x80000000, v99
                                        ; implicit-def: $vgpr94
                                        ; implicit-def: $vgpr96
.LBB109_15:
	s_andn2_saveexec_b64 s[8:9], s[8:9]
	s_cbranch_execz .LBB109_17
; %bb.16:
	v_div_scale_f32 v93, s[16:17], v94, v94, v96
	v_div_scale_f32 v98, vcc, v96, v94, v96
	v_rcp_f32_e32 v99, v93
	v_fma_f32 v100, -v93, v99, 1.0
	v_fmac_f32_e32 v99, v100, v99
	v_mul_f32_e32 v100, v98, v99
	v_fma_f32 v101, -v93, v100, v98
	v_fmac_f32_e32 v100, v101, v99
	v_fma_f32 v93, -v93, v100, v98
	v_div_fmas_f32 v93, v93, v99, v100
	v_div_fixup_f32 v98, v93, v94, v96
	v_fmac_f32_e32 v94, v96, v98
	v_div_scale_f32 v93, s[16:17], v94, v94, 1.0
	v_div_scale_f32 v96, vcc, 1.0, v94, 1.0
	v_rcp_f32_e32 v99, v93
	v_fma_f32 v100, -v93, v99, 1.0
	v_fmac_f32_e32 v99, v100, v99
	v_mul_f32_e32 v100, v96, v99
	v_fma_f32 v101, -v93, v100, v96
	v_fmac_f32_e32 v100, v101, v99
	v_fma_f32 v93, -v93, v100, v96
	v_div_fmas_f32 v93, v93, v99, v100
	v_div_fixup_f32 v99, v93, v94, 1.0
	v_xor_b32_e32 v93, 0x80000000, v99
	v_mul_f32_e64 v98, v98, -v99
.LBB109_17:
	s_or_b64 exec, exec, s[8:9]
	buffer_store_dword v99, v97, s[0:3], 0 offen
	buffer_store_dword v98, v97, s[0:3], 0 offen offset:4
	buffer_load_dword v100, off, s[0:3], 0 offset:12
	s_nop 0
	buffer_load_dword v99, off, s[0:3], 0 offset:8
	v_xor_b32_e32 v94, 0x80000000, v98
	v_add_u32_e32 v96, 0x170, v95
	s_waitcnt vmcnt(0)
	ds_write2_b64 v95, v[93:94], v[99:100] offset1:46
	s_waitcnt lgkmcnt(0)
	; wave barrier
	s_and_saveexec_b64 s[8:9], s[4:5]
	s_cbranch_execz .LBB109_19
; %bb.18:
	buffer_load_dword v100, v97, s[0:3], 0 offen offset:4
	buffer_load_dword v101, v97, s[0:3], 0 offen
	ds_read_b64 v[93:94], v96
	v_mov_b32_e32 v98, 0
	ds_read_b64 v[98:99], v98 offset:8
	s_waitcnt vmcnt(1) lgkmcnt(1)
	v_mul_f32_e32 v102, v94, v100
	v_mul_f32_e32 v100, v93, v100
	s_waitcnt vmcnt(0)
	v_fmac_f32_e32 v100, v94, v101
	v_fma_f32 v93, v93, v101, -v102
	v_add_f32_e32 v94, 0, v100
	v_add_f32_e32 v93, 0, v93
	s_waitcnt lgkmcnt(0)
	v_mul_f32_e32 v100, v94, v99
	v_mul_f32_e32 v99, v93, v99
	v_fma_f32 v93, v93, v98, -v100
	v_fmac_f32_e32 v99, v94, v98
	buffer_store_dword v93, off, s[0:3], 0 offset:8
	buffer_store_dword v99, off, s[0:3], 0 offset:12
.LBB109_19:
	s_or_b64 exec, exec, s[8:9]
	; wave barrier
	buffer_load_dword v93, off, s[0:3], 0 offset:16
	buffer_load_dword v94, off, s[0:3], 0 offset:20
	v_cmp_gt_u32_e32 vcc, 2, v0
	s_waitcnt vmcnt(0)
	ds_write_b64 v96, v[93:94]
	s_waitcnt lgkmcnt(0)
	; wave barrier
	s_and_saveexec_b64 s[8:9], vcc
	s_cbranch_execz .LBB109_23
; %bb.20:
	buffer_load_dword v98, v97, s[0:3], 0 offen offset:4
	buffer_load_dword v99, v97, s[0:3], 0 offen
	ds_read_b64 v[93:94], v96
	s_waitcnt vmcnt(1) lgkmcnt(0)
	v_mul_f32_e32 v97, v94, v98
	v_mul_f32_e32 v98, v93, v98
	s_waitcnt vmcnt(0)
	v_fma_f32 v93, v93, v99, -v97
	v_fmac_f32_e32 v98, v94, v99
	v_add_f32_e32 v94, 0, v93
	v_add_f32_e32 v93, 0, v98
	s_and_saveexec_b64 s[16:17], s[4:5]
	s_cbranch_execz .LBB109_22
; %bb.21:
	buffer_load_dword v99, off, s[0:3], 0 offset:12
	buffer_load_dword v100, off, s[0:3], 0 offset:8
	v_mov_b32_e32 v97, 0
	ds_read_b64 v[97:98], v97 offset:376
	s_waitcnt vmcnt(1) lgkmcnt(0)
	v_mul_f32_e32 v101, v97, v99
	v_mul_f32_e32 v99, v98, v99
	s_waitcnt vmcnt(0)
	v_fmac_f32_e32 v101, v98, v100
	v_fma_f32 v97, v97, v100, -v99
	v_add_f32_e32 v93, v93, v101
	v_add_f32_e32 v94, v94, v97
.LBB109_22:
	s_or_b64 exec, exec, s[16:17]
	v_mov_b32_e32 v97, 0
	ds_read_b64 v[97:98], v97 offset:16
	s_waitcnt lgkmcnt(0)
	v_mul_f32_e32 v99, v93, v98
	v_mul_f32_e32 v98, v94, v98
	v_fma_f32 v94, v94, v97, -v99
	v_fmac_f32_e32 v98, v93, v97
	buffer_store_dword v94, off, s[0:3], 0 offset:16
	buffer_store_dword v98, off, s[0:3], 0 offset:20
.LBB109_23:
	s_or_b64 exec, exec, s[8:9]
	; wave barrier
	buffer_load_dword v93, off, s[0:3], 0 offset:24
	buffer_load_dword v94, off, s[0:3], 0 offset:28
	v_cmp_gt_u32_e32 vcc, 3, v0
	s_waitcnt vmcnt(0)
	ds_write_b64 v96, v[93:94]
	v_add_u32_e32 v93, -1, v0
	s_waitcnt lgkmcnt(0)
	; wave barrier
	s_and_saveexec_b64 s[4:5], vcc
	s_cbranch_execz .LBB109_27
; %bb.24:
	v_add_u32_e32 v97, -1, v0
	v_add_u32_e32 v98, 0x170, v95
	v_mov_b32_e32 v99, v95
	v_mov_b32_e32 v94, 0
	s_mov_b64 s[8:9], 0
	v_mov_b32_e32 v100, 0
.LBB109_25:                             ; =>This Inner Loop Header: Depth=1
	buffer_load_dword v103, v99, s[0:3], 0 offen offset:4
	buffer_load_dword v104, v99, s[0:3], 0 offen
	ds_read_b64 v[101:102], v98
	v_add_u32_e32 v97, 1, v97
	v_cmp_lt_u32_e32 vcc, 1, v97
	v_add_u32_e32 v98, 8, v98
	v_add_u32_e32 v99, 8, v99
	s_or_b64 s[8:9], vcc, s[8:9]
	s_waitcnt vmcnt(1) lgkmcnt(0)
	v_mul_f32_e32 v105, v102, v103
	v_mul_f32_e32 v103, v101, v103
	s_waitcnt vmcnt(0)
	v_fma_f32 v101, v101, v104, -v105
	v_fmac_f32_e32 v103, v102, v104
	v_add_f32_e32 v100, v100, v101
	v_add_f32_e32 v94, v94, v103
	s_andn2_b64 exec, exec, s[8:9]
	s_cbranch_execnz .LBB109_25
; %bb.26:
	s_or_b64 exec, exec, s[8:9]
	v_mov_b32_e32 v97, 0
	ds_read_b64 v[97:98], v97 offset:24
	s_waitcnt lgkmcnt(0)
	v_mul_f32_e32 v99, v94, v98
	v_mul_f32_e32 v98, v100, v98
	v_fma_f32 v99, v100, v97, -v99
	v_fmac_f32_e32 v98, v94, v97
	buffer_store_dword v99, off, s[0:3], 0 offset:24
	buffer_store_dword v98, off, s[0:3], 0 offset:28
.LBB109_27:
	s_or_b64 exec, exec, s[4:5]
	; wave barrier
	buffer_load_dword v97, off, s[0:3], 0 offset:32
	buffer_load_dword v98, off, s[0:3], 0 offset:36
	v_cmp_gt_u32_e32 vcc, 4, v0
	s_waitcnt vmcnt(0)
	ds_write_b64 v96, v[97:98]
	s_waitcnt lgkmcnt(0)
	; wave barrier
	s_and_saveexec_b64 s[4:5], vcc
	s_cbranch_execz .LBB109_31
; %bb.28:
	v_add_u32_e32 v97, -1, v0
	v_add_u32_e32 v98, 0x170, v95
	v_mov_b32_e32 v99, v95
	v_mov_b32_e32 v94, 0
	s_mov_b64 s[8:9], 0
	v_mov_b32_e32 v100, 0
.LBB109_29:                             ; =>This Inner Loop Header: Depth=1
	buffer_load_dword v103, v99, s[0:3], 0 offen offset:4
	buffer_load_dword v104, v99, s[0:3], 0 offen
	ds_read_b64 v[101:102], v98
	v_add_u32_e32 v97, 1, v97
	v_cmp_lt_u32_e32 vcc, 2, v97
	v_add_u32_e32 v98, 8, v98
	v_add_u32_e32 v99, 8, v99
	s_or_b64 s[8:9], vcc, s[8:9]
	s_waitcnt vmcnt(1) lgkmcnt(0)
	v_mul_f32_e32 v105, v102, v103
	v_mul_f32_e32 v103, v101, v103
	s_waitcnt vmcnt(0)
	v_fma_f32 v101, v101, v104, -v105
	v_fmac_f32_e32 v103, v102, v104
	v_add_f32_e32 v100, v100, v101
	v_add_f32_e32 v94, v94, v103
	s_andn2_b64 exec, exec, s[8:9]
	s_cbranch_execnz .LBB109_29
; %bb.30:
	s_or_b64 exec, exec, s[8:9]
	v_mov_b32_e32 v97, 0
	ds_read_b64 v[97:98], v97 offset:32
	s_waitcnt lgkmcnt(0)
	v_mul_f32_e32 v99, v94, v98
	v_mul_f32_e32 v98, v100, v98
	v_fma_f32 v99, v100, v97, -v99
	v_fmac_f32_e32 v98, v94, v97
	buffer_store_dword v99, off, s[0:3], 0 offset:32
	buffer_store_dword v98, off, s[0:3], 0 offset:36
.LBB109_31:
	s_or_b64 exec, exec, s[4:5]
	; wave barrier
	buffer_load_dword v97, off, s[0:3], 0 offset:40
	buffer_load_dword v98, off, s[0:3], 0 offset:44
	v_cmp_gt_u32_e32 vcc, 5, v0
	s_waitcnt vmcnt(0)
	ds_write_b64 v96, v[97:98]
	;; [unrolled: 49-line block ×19, first 2 shown]
	s_waitcnt lgkmcnt(0)
	; wave barrier
	s_and_saveexec_b64 s[4:5], vcc
	s_cbranch_execz .LBB109_103
; %bb.100:
	v_add_u32_e32 v97, -1, v0
	v_add_u32_e32 v98, 0x170, v95
	v_mov_b32_e32 v99, v95
	v_mov_b32_e32 v94, 0
	s_mov_b64 s[8:9], 0
	v_mov_b32_e32 v100, 0
.LBB109_101:                            ; =>This Inner Loop Header: Depth=1
	buffer_load_dword v103, v99, s[0:3], 0 offen offset:4
	buffer_load_dword v104, v99, s[0:3], 0 offen
	ds_read_b64 v[101:102], v98
	v_add_u32_e32 v97, 1, v97
	v_cmp_lt_u32_e32 vcc, 20, v97
	v_add_u32_e32 v98, 8, v98
	v_add_u32_e32 v99, 8, v99
	s_or_b64 s[8:9], vcc, s[8:9]
	s_waitcnt vmcnt(1) lgkmcnt(0)
	v_mul_f32_e32 v105, v102, v103
	v_mul_f32_e32 v103, v101, v103
	s_waitcnt vmcnt(0)
	v_fma_f32 v101, v101, v104, -v105
	v_fmac_f32_e32 v103, v102, v104
	v_add_f32_e32 v100, v100, v101
	v_add_f32_e32 v94, v94, v103
	s_andn2_b64 exec, exec, s[8:9]
	s_cbranch_execnz .LBB109_101
; %bb.102:
	s_or_b64 exec, exec, s[8:9]
	v_mov_b32_e32 v97, 0
	ds_read_b64 v[97:98], v97 offset:176
	s_waitcnt lgkmcnt(0)
	v_mul_f32_e32 v99, v94, v98
	v_mul_f32_e32 v98, v100, v98
	v_fma_f32 v99, v100, v97, -v99
	v_fmac_f32_e32 v98, v94, v97
	buffer_store_dword v99, off, s[0:3], 0 offset:176
	buffer_store_dword v98, off, s[0:3], 0 offset:180
.LBB109_103:
	s_or_b64 exec, exec, s[4:5]
	; wave barrier
	buffer_load_dword v97, off, s[0:3], 0 offset:184
	buffer_load_dword v98, off, s[0:3], 0 offset:188
	v_cmp_gt_u32_e32 vcc, 23, v0
	s_waitcnt vmcnt(0)
	ds_write_b64 v96, v[97:98]
	s_waitcnt lgkmcnt(0)
	; wave barrier
	s_and_saveexec_b64 s[4:5], vcc
	s_cbranch_execz .LBB109_107
; %bb.104:
	v_add_u32_e32 v97, -1, v0
	v_add_u32_e32 v98, 0x170, v95
	v_mov_b32_e32 v99, v95
	v_mov_b32_e32 v94, 0
	s_mov_b64 s[8:9], 0
	v_mov_b32_e32 v100, 0
.LBB109_105:                            ; =>This Inner Loop Header: Depth=1
	buffer_load_dword v103, v99, s[0:3], 0 offen offset:4
	buffer_load_dword v104, v99, s[0:3], 0 offen
	ds_read_b64 v[101:102], v98
	v_add_u32_e32 v97, 1, v97
	v_cmp_lt_u32_e32 vcc, 21, v97
	v_add_u32_e32 v98, 8, v98
	v_add_u32_e32 v99, 8, v99
	s_or_b64 s[8:9], vcc, s[8:9]
	s_waitcnt vmcnt(1) lgkmcnt(0)
	v_mul_f32_e32 v105, v102, v103
	v_mul_f32_e32 v103, v101, v103
	s_waitcnt vmcnt(0)
	v_fma_f32 v101, v101, v104, -v105
	v_fmac_f32_e32 v103, v102, v104
	v_add_f32_e32 v100, v100, v101
	v_add_f32_e32 v94, v94, v103
	s_andn2_b64 exec, exec, s[8:9]
	s_cbranch_execnz .LBB109_105
; %bb.106:
	s_or_b64 exec, exec, s[8:9]
	v_mov_b32_e32 v97, 0
	ds_read_b64 v[97:98], v97 offset:184
	s_waitcnt lgkmcnt(0)
	v_mul_f32_e32 v99, v94, v98
	v_mul_f32_e32 v98, v100, v98
	v_fma_f32 v99, v100, v97, -v99
	v_fmac_f32_e32 v98, v94, v97
	buffer_store_dword v99, off, s[0:3], 0 offset:184
	buffer_store_dword v98, off, s[0:3], 0 offset:188
.LBB109_107:
	s_or_b64 exec, exec, s[4:5]
	; wave barrier
	buffer_load_dword v97, off, s[0:3], 0 offset:192
	buffer_load_dword v98, off, s[0:3], 0 offset:196
	v_cmp_gt_u32_e32 vcc, 24, v0
	s_waitcnt vmcnt(0)
	ds_write_b64 v96, v[97:98]
	;; [unrolled: 49-line block ×22, first 2 shown]
	s_waitcnt lgkmcnt(0)
	; wave barrier
	s_and_saveexec_b64 s[4:5], vcc
	s_cbranch_execz .LBB109_191
; %bb.188:
	v_add_u32_e32 v97, -1, v0
	v_add_u32_e32 v98, 0x170, v95
	v_mov_b32_e32 v99, v95
	v_mov_b32_e32 v94, 0
	s_mov_b64 s[8:9], 0
	v_mov_b32_e32 v100, 0
.LBB109_189:                            ; =>This Inner Loop Header: Depth=1
	buffer_load_dword v103, v99, s[0:3], 0 offen offset:4
	buffer_load_dword v104, v99, s[0:3], 0 offen
	ds_read_b64 v[101:102], v98
	v_add_u32_e32 v97, 1, v97
	v_cmp_lt_u32_e32 vcc, 42, v97
	v_add_u32_e32 v98, 8, v98
	v_add_u32_e32 v99, 8, v99
	s_or_b64 s[8:9], vcc, s[8:9]
	s_waitcnt vmcnt(1) lgkmcnt(0)
	v_mul_f32_e32 v105, v102, v103
	v_mul_f32_e32 v103, v101, v103
	s_waitcnt vmcnt(0)
	v_fma_f32 v101, v101, v104, -v105
	v_fmac_f32_e32 v103, v102, v104
	v_add_f32_e32 v100, v100, v101
	v_add_f32_e32 v94, v94, v103
	s_andn2_b64 exec, exec, s[8:9]
	s_cbranch_execnz .LBB109_189
; %bb.190:
	s_or_b64 exec, exec, s[8:9]
	v_mov_b32_e32 v97, 0
	ds_read_b64 v[97:98], v97 offset:352
	s_waitcnt lgkmcnt(0)
	v_mul_f32_e32 v99, v94, v98
	v_mul_f32_e32 v98, v100, v98
	v_fma_f32 v99, v100, v97, -v99
	v_fmac_f32_e32 v98, v94, v97
	buffer_store_dword v99, off, s[0:3], 0 offset:352
	buffer_store_dword v98, off, s[0:3], 0 offset:356
.LBB109_191:
	s_or_b64 exec, exec, s[4:5]
	; wave barrier
	buffer_load_dword v97, off, s[0:3], 0 offset:360
	buffer_load_dword v98, off, s[0:3], 0 offset:364
	v_cmp_ne_u32_e32 vcc, 45, v0
	s_waitcnt vmcnt(0)
	ds_write_b64 v96, v[97:98]
	s_waitcnt lgkmcnt(0)
	; wave barrier
	s_and_saveexec_b64 s[4:5], vcc
	s_cbranch_execz .LBB109_195
; %bb.192:
	v_add_u32_e32 v96, 0x170, v95
	v_mov_b32_e32 v94, 0
	s_mov_b64 s[8:9], 0
	v_mov_b32_e32 v97, 0
.LBB109_193:                            ; =>This Inner Loop Header: Depth=1
	buffer_load_dword v100, v95, s[0:3], 0 offen offset:4
	buffer_load_dword v101, v95, s[0:3], 0 offen
	ds_read_b64 v[98:99], v96
	v_add_u32_e32 v93, 1, v93
	v_cmp_lt_u32_e32 vcc, 43, v93
	v_add_u32_e32 v96, 8, v96
	v_add_u32_e32 v95, 8, v95
	s_or_b64 s[8:9], vcc, s[8:9]
	s_waitcnt vmcnt(1) lgkmcnt(0)
	v_mul_f32_e32 v102, v99, v100
	v_mul_f32_e32 v100, v98, v100
	s_waitcnt vmcnt(0)
	v_fma_f32 v98, v98, v101, -v102
	v_fmac_f32_e32 v100, v99, v101
	v_add_f32_e32 v97, v97, v98
	v_add_f32_e32 v94, v94, v100
	s_andn2_b64 exec, exec, s[8:9]
	s_cbranch_execnz .LBB109_193
; %bb.194:
	s_or_b64 exec, exec, s[8:9]
	v_mov_b32_e32 v93, 0
	ds_read_b64 v[95:96], v93 offset:360
	s_waitcnt lgkmcnt(0)
	v_mul_f32_e32 v93, v94, v96
	v_mul_f32_e32 v96, v97, v96
	v_fma_f32 v93, v97, v95, -v93
	v_fmac_f32_e32 v96, v94, v95
	buffer_store_dword v93, off, s[0:3], 0 offset:360
	buffer_store_dword v96, off, s[0:3], 0 offset:364
.LBB109_195:
	s_or_b64 exec, exec, s[4:5]
	s_mov_b64 s[8:9], -1
	; wave barrier
.LBB109_196:
	s_and_b64 vcc, exec, s[8:9]
	s_cbranch_vccz .LBB109_198
; %bb.197:
	s_lshl_b64 s[4:5], s[6:7], 2
	s_add_u32 s4, s10, s4
	s_addc_u32 s5, s11, s5
	v_mov_b32_e32 v93, 0
	global_load_dword v93, v93, s[4:5]
	s_waitcnt vmcnt(0)
	v_cmp_ne_u32_e32 vcc, 0, v93
	s_cbranch_vccz .LBB109_199
.LBB109_198:
	s_endpgm
.LBB109_199:
	v_mov_b32_e32 v93, 0x170
	v_lshl_add_u32 v93, v0, 3, v93
	v_cmp_eq_u32_e32 vcc, 45, v0
	s_and_saveexec_b64 s[4:5], vcc
	s_cbranch_execz .LBB109_201
; %bb.200:
	buffer_load_dword v94, off, s[0:3], 0 offset:352
	buffer_load_dword v95, off, s[0:3], 0 offset:356
	v_mov_b32_e32 v96, 0
	buffer_store_dword v96, off, s[0:3], 0 offset:352
	buffer_store_dword v96, off, s[0:3], 0 offset:356
	s_waitcnt vmcnt(2)
	ds_write_b64 v93, v[94:95]
.LBB109_201:
	s_or_b64 exec, exec, s[4:5]
	s_waitcnt lgkmcnt(0)
	; wave barrier
	buffer_load_dword v97, off, s[0:3], 0 offset:364
	buffer_load_dword v98, off, s[0:3], 0 offset:360
	;; [unrolled: 1-line block ×4, first 2 shown]
	v_mov_b32_e32 v94, 0
	ds_read_b64 v[95:96], v94 offset:728
	v_cmp_lt_u32_e32 vcc, 43, v0
	s_waitcnt vmcnt(3) lgkmcnt(0)
	v_mul_f32_e32 v101, v95, v97
	v_mul_f32_e32 v97, v96, v97
	s_waitcnt vmcnt(2)
	v_fma_f32 v95, v95, v98, -v97
	v_fmac_f32_e32 v101, v96, v98
	v_add_f32_e32 v95, 0, v95
	v_add_f32_e32 v96, 0, v101
	s_waitcnt vmcnt(1)
	v_sub_f32_e32 v95, v99, v95
	s_waitcnt vmcnt(0)
	v_sub_f32_e32 v96, v100, v96
	buffer_store_dword v95, off, s[0:3], 0 offset:352
	buffer_store_dword v96, off, s[0:3], 0 offset:356
	s_and_saveexec_b64 s[4:5], vcc
	s_cbranch_execz .LBB109_203
; %bb.202:
	buffer_load_dword v95, off, s[0:3], 0 offset:344
	buffer_load_dword v96, off, s[0:3], 0 offset:348
	s_waitcnt vmcnt(0)
	ds_write_b64 v93, v[95:96]
	buffer_store_dword v94, off, s[0:3], 0 offset:344
	buffer_store_dword v94, off, s[0:3], 0 offset:348
.LBB109_203:
	s_or_b64 exec, exec, s[4:5]
	s_waitcnt lgkmcnt(0)
	; wave barrier
	buffer_load_dword v98, off, s[0:3], 0 offset:356
	buffer_load_dword v99, off, s[0:3], 0 offset:364
	;; [unrolled: 1-line block ×6, first 2 shown]
	ds_read_b128 v[94:97], v94 offset:720
	v_cmp_lt_u32_e32 vcc, 42, v0
	s_waitcnt vmcnt(5) lgkmcnt(0)
	v_mul_f32_e32 v104, v94, v98
	v_mul_f32_e32 v98, v95, v98
	s_waitcnt vmcnt(4)
	v_mul_f32_e32 v105, v96, v99
	v_mul_f32_e32 v99, v97, v99
	s_waitcnt vmcnt(3)
	v_fma_f32 v94, v94, v100, -v98
	v_fmac_f32_e32 v104, v95, v100
	s_waitcnt vmcnt(2)
	v_fma_f32 v95, v96, v101, -v99
	v_add_f32_e32 v94, 0, v94
	v_fmac_f32_e32 v105, v97, v101
	v_add_f32_e32 v96, 0, v104
	v_add_f32_e32 v94, v94, v95
	;; [unrolled: 1-line block ×3, first 2 shown]
	s_waitcnt vmcnt(1)
	v_sub_f32_e32 v94, v102, v94
	s_waitcnt vmcnt(0)
	v_sub_f32_e32 v95, v103, v96
	buffer_store_dword v94, off, s[0:3], 0 offset:344
	buffer_store_dword v95, off, s[0:3], 0 offset:348
	s_and_saveexec_b64 s[4:5], vcc
	s_cbranch_execz .LBB109_205
; %bb.204:
	buffer_load_dword v94, off, s[0:3], 0 offset:336
	buffer_load_dword v95, off, s[0:3], 0 offset:340
	v_mov_b32_e32 v96, 0
	buffer_store_dword v96, off, s[0:3], 0 offset:336
	buffer_store_dword v96, off, s[0:3], 0 offset:340
	s_waitcnt vmcnt(2)
	ds_write_b64 v93, v[94:95]
.LBB109_205:
	s_or_b64 exec, exec, s[4:5]
	s_waitcnt lgkmcnt(0)
	; wave barrier
	buffer_load_dword v101, off, s[0:3], 0 offset:348
	buffer_load_dword v102, off, s[0:3], 0 offset:356
	buffer_load_dword v103, off, s[0:3], 0 offset:364
	buffer_load_dword v104, off, s[0:3], 0 offset:344
	buffer_load_dword v105, off, s[0:3], 0 offset:352
	buffer_load_dword v106, off, s[0:3], 0 offset:360
	buffer_load_dword v107, off, s[0:3], 0 offset:336
	buffer_load_dword v108, off, s[0:3], 0 offset:340
	v_mov_b32_e32 v94, 0
	ds_read2_b64 v[95:98], v94 offset0:89 offset1:90
	ds_read_b64 v[99:100], v94 offset:728
	v_cmp_lt_u32_e32 vcc, 41, v0
	s_waitcnt vmcnt(7) lgkmcnt(1)
	v_mul_f32_e32 v109, v95, v101
	v_mul_f32_e32 v101, v96, v101
	s_waitcnt vmcnt(6)
	v_mul_f32_e32 v110, v97, v102
	v_mul_f32_e32 v102, v98, v102
	s_waitcnt vmcnt(4)
	v_fma_f32 v95, v95, v104, -v101
	s_waitcnt lgkmcnt(0)
	v_mul_f32_e32 v111, v99, v103
	v_mul_f32_e32 v103, v100, v103
	v_fmac_f32_e32 v109, v96, v104
	s_waitcnt vmcnt(3)
	v_fma_f32 v96, v97, v105, -v102
	v_add_f32_e32 v95, 0, v95
	v_fmac_f32_e32 v110, v98, v105
	s_waitcnt vmcnt(2)
	v_fma_f32 v97, v99, v106, -v103
	v_add_f32_e32 v98, 0, v109
	v_add_f32_e32 v95, v95, v96
	v_fmac_f32_e32 v111, v100, v106
	v_add_f32_e32 v98, v98, v110
	v_add_f32_e32 v95, v95, v97
	v_add_f32_e32 v96, v98, v111
	s_waitcnt vmcnt(1)
	v_sub_f32_e32 v95, v107, v95
	s_waitcnt vmcnt(0)
	v_sub_f32_e32 v96, v108, v96
	buffer_store_dword v95, off, s[0:3], 0 offset:336
	buffer_store_dword v96, off, s[0:3], 0 offset:340
	s_and_saveexec_b64 s[4:5], vcc
	s_cbranch_execz .LBB109_207
; %bb.206:
	buffer_load_dword v95, off, s[0:3], 0 offset:328
	buffer_load_dword v96, off, s[0:3], 0 offset:332
	s_waitcnt vmcnt(0)
	ds_write_b64 v93, v[95:96]
	buffer_store_dword v94, off, s[0:3], 0 offset:328
	buffer_store_dword v94, off, s[0:3], 0 offset:332
.LBB109_207:
	s_or_b64 exec, exec, s[4:5]
	s_waitcnt lgkmcnt(0)
	; wave barrier
	buffer_load_dword v103, off, s[0:3], 0 offset:340
	buffer_load_dword v104, off, s[0:3], 0 offset:348
	;; [unrolled: 1-line block ×10, first 2 shown]
	ds_read_b128 v[95:98], v94 offset:704
	ds_read_b128 v[99:102], v94 offset:720
	v_cmp_lt_u32_e32 vcc, 40, v0
	s_waitcnt vmcnt(9) lgkmcnt(1)
	v_mul_f32_e32 v94, v95, v103
	v_mul_f32_e32 v103, v96, v103
	s_waitcnt vmcnt(8)
	v_mul_f32_e32 v113, v97, v104
	v_mul_f32_e32 v104, v98, v104
	s_waitcnt vmcnt(5)
	v_fma_f32 v95, v95, v107, -v103
	s_waitcnt lgkmcnt(0)
	v_mul_f32_e32 v114, v99, v105
	v_mul_f32_e32 v105, v100, v105
	v_fmac_f32_e32 v94, v96, v107
	s_waitcnt vmcnt(4)
	v_fma_f32 v96, v97, v108, -v104
	v_add_f32_e32 v95, 0, v95
	v_mul_f32_e32 v115, v101, v106
	v_mul_f32_e32 v106, v102, v106
	v_fmac_f32_e32 v113, v98, v108
	s_waitcnt vmcnt(3)
	v_fma_f32 v97, v99, v109, -v105
	v_add_f32_e32 v94, 0, v94
	v_add_f32_e32 v95, v95, v96
	v_fmac_f32_e32 v114, v100, v109
	s_waitcnt vmcnt(2)
	v_fma_f32 v98, v101, v110, -v106
	v_add_f32_e32 v94, v94, v113
	v_add_f32_e32 v95, v95, v97
	v_fmac_f32_e32 v115, v102, v110
	v_add_f32_e32 v94, v94, v114
	v_add_f32_e32 v95, v95, v98
	;; [unrolled: 1-line block ×3, first 2 shown]
	s_waitcnt vmcnt(1)
	v_sub_f32_e32 v95, v111, v95
	s_waitcnt vmcnt(0)
	v_sub_f32_e32 v94, v112, v94
	buffer_store_dword v95, off, s[0:3], 0 offset:328
	buffer_store_dword v94, off, s[0:3], 0 offset:332
	s_and_saveexec_b64 s[4:5], vcc
	s_cbranch_execz .LBB109_209
; %bb.208:
	buffer_load_dword v94, off, s[0:3], 0 offset:320
	buffer_load_dword v95, off, s[0:3], 0 offset:324
	v_mov_b32_e32 v96, 0
	buffer_store_dword v96, off, s[0:3], 0 offset:320
	buffer_store_dword v96, off, s[0:3], 0 offset:324
	s_waitcnt vmcnt(2)
	ds_write_b64 v93, v[94:95]
.LBB109_209:
	s_or_b64 exec, exec, s[4:5]
	s_waitcnt lgkmcnt(0)
	; wave barrier
	buffer_load_dword v105, off, s[0:3], 0 offset:332
	buffer_load_dword v106, off, s[0:3], 0 offset:340
	;; [unrolled: 1-line block ×12, first 2 shown]
	v_mov_b32_e32 v94, 0
	ds_read2_b64 v[95:98], v94 offset0:87 offset1:88
	ds_read2_b64 v[99:102], v94 offset0:89 offset1:90
	ds_read_b64 v[103:104], v94 offset:728
	v_cmp_lt_u32_e32 vcc, 39, v0
	s_waitcnt vmcnt(11) lgkmcnt(2)
	v_mul_f32_e32 v117, v95, v105
	v_mul_f32_e32 v105, v96, v105
	s_waitcnt vmcnt(10)
	v_mul_f32_e32 v118, v97, v106
	v_mul_f32_e32 v106, v98, v106
	s_waitcnt vmcnt(9) lgkmcnt(1)
	v_mul_f32_e32 v119, v99, v107
	s_waitcnt vmcnt(6)
	v_fma_f32 v95, v95, v110, -v105
	v_mul_f32_e32 v107, v100, v107
	v_fmac_f32_e32 v117, v96, v110
	s_waitcnt vmcnt(5)
	v_fma_f32 v96, v97, v111, -v106
	v_add_f32_e32 v95, 0, v95
	v_mul_f32_e32 v120, v101, v108
	v_mul_f32_e32 v108, v102, v108
	v_fmac_f32_e32 v118, v98, v111
	s_waitcnt vmcnt(4)
	v_fmac_f32_e32 v119, v100, v112
	v_fma_f32 v97, v99, v112, -v107
	v_add_f32_e32 v100, 0, v117
	v_add_f32_e32 v95, v95, v96
	s_waitcnt lgkmcnt(0)
	v_mul_f32_e32 v121, v103, v109
	v_mul_f32_e32 v109, v104, v109
	s_waitcnt vmcnt(3)
	v_fma_f32 v98, v101, v113, -v108
	v_add_f32_e32 v100, v100, v118
	v_add_f32_e32 v95, v95, v97
	v_fmac_f32_e32 v120, v102, v113
	s_waitcnt vmcnt(2)
	v_fma_f32 v99, v103, v114, -v109
	v_add_f32_e32 v96, v100, v119
	v_add_f32_e32 v95, v95, v98
	v_fmac_f32_e32 v121, v104, v114
	v_add_f32_e32 v96, v96, v120
	v_add_f32_e32 v95, v95, v99
	;; [unrolled: 1-line block ×3, first 2 shown]
	s_waitcnt vmcnt(1)
	v_sub_f32_e32 v95, v115, v95
	s_waitcnt vmcnt(0)
	v_sub_f32_e32 v96, v116, v96
	buffer_store_dword v95, off, s[0:3], 0 offset:320
	buffer_store_dword v96, off, s[0:3], 0 offset:324
	s_and_saveexec_b64 s[4:5], vcc
	s_cbranch_execz .LBB109_211
; %bb.210:
	buffer_load_dword v95, off, s[0:3], 0 offset:312
	buffer_load_dword v96, off, s[0:3], 0 offset:316
	s_waitcnt vmcnt(0)
	ds_write_b64 v93, v[95:96]
	buffer_store_dword v94, off, s[0:3], 0 offset:312
	buffer_store_dword v94, off, s[0:3], 0 offset:316
.LBB109_211:
	s_or_b64 exec, exec, s[4:5]
	s_waitcnt lgkmcnt(0)
	; wave barrier
	buffer_load_dword v107, off, s[0:3], 0 offset:324
	buffer_load_dword v108, off, s[0:3], 0 offset:332
	;; [unrolled: 1-line block ×14, first 2 shown]
	ds_read_b128 v[95:98], v94 offset:688
	ds_read_b128 v[99:102], v94 offset:704
	;; [unrolled: 1-line block ×3, first 2 shown]
	v_cmp_lt_u32_e32 vcc, 38, v0
	s_waitcnt vmcnt(13) lgkmcnt(2)
	v_mul_f32_e32 v94, v95, v107
	v_mul_f32_e32 v107, v96, v107
	s_waitcnt vmcnt(12)
	v_mul_f32_e32 v121, v97, v108
	v_mul_f32_e32 v108, v98, v108
	s_waitcnt vmcnt(11) lgkmcnt(1)
	v_mul_f32_e32 v122, v99, v109
	v_mul_f32_e32 v109, v100, v109
	s_waitcnt vmcnt(7)
	v_fma_f32 v95, v95, v113, -v107
	v_fmac_f32_e32 v94, v96, v113
	s_waitcnt vmcnt(6)
	v_fma_f32 v96, v97, v114, -v108
	v_add_f32_e32 v95, 0, v95
	v_mul_f32_e32 v123, v101, v110
	v_mul_f32_e32 v110, v102, v110
	v_fmac_f32_e32 v121, v98, v114
	s_waitcnt vmcnt(5)
	v_fma_f32 v97, v99, v115, -v109
	v_add_f32_e32 v94, 0, v94
	v_add_f32_e32 v95, v95, v96
	s_waitcnt lgkmcnt(0)
	v_mul_f32_e32 v124, v103, v111
	v_mul_f32_e32 v111, v104, v111
	v_fmac_f32_e32 v122, v100, v115
	s_waitcnt vmcnt(4)
	v_fma_f32 v98, v101, v116, -v110
	v_add_f32_e32 v94, v94, v121
	v_add_f32_e32 v95, v95, v97
	v_mul_f32_e32 v125, v105, v112
	v_mul_f32_e32 v112, v106, v112
	v_fmac_f32_e32 v123, v102, v116
	s_waitcnt vmcnt(3)
	v_fma_f32 v99, v103, v117, -v111
	v_add_f32_e32 v94, v94, v122
	v_add_f32_e32 v95, v95, v98
	v_fmac_f32_e32 v124, v104, v117
	s_waitcnt vmcnt(2)
	v_fma_f32 v100, v105, v118, -v112
	v_add_f32_e32 v94, v94, v123
	v_add_f32_e32 v95, v95, v99
	v_fmac_f32_e32 v125, v106, v118
	v_add_f32_e32 v94, v94, v124
	v_add_f32_e32 v95, v95, v100
	;; [unrolled: 1-line block ×3, first 2 shown]
	s_waitcnt vmcnt(1)
	v_sub_f32_e32 v95, v119, v95
	s_waitcnt vmcnt(0)
	v_sub_f32_e32 v94, v120, v94
	buffer_store_dword v95, off, s[0:3], 0 offset:312
	buffer_store_dword v94, off, s[0:3], 0 offset:316
	s_and_saveexec_b64 s[4:5], vcc
	s_cbranch_execz .LBB109_213
; %bb.212:
	buffer_load_dword v94, off, s[0:3], 0 offset:304
	buffer_load_dword v95, off, s[0:3], 0 offset:308
	v_mov_b32_e32 v96, 0
	buffer_store_dword v96, off, s[0:3], 0 offset:304
	buffer_store_dword v96, off, s[0:3], 0 offset:308
	s_waitcnt vmcnt(2)
	ds_write_b64 v93, v[94:95]
.LBB109_213:
	s_or_b64 exec, exec, s[4:5]
	v_mov_b32_e32 v94, 0
	s_waitcnt lgkmcnt(0)
	; wave barrier
	ds_read2_b64 v[95:98], v94 offset0:85 offset1:86
	buffer_load_dword v109, off, s[0:3], 0 offset:304
	buffer_load_dword v110, off, s[0:3], 0 offset:308
	;; [unrolled: 1-line block ×16, first 2 shown]
	v_cmp_lt_u32_e32 vcc, 37, v0
	s_waitcnt vmcnt(12) lgkmcnt(0)
	v_mul_f32_e32 v99, v95, v112
	v_fmac_f32_e32 v99, v96, v111
	s_waitcnt vmcnt(10)
	v_mul_f32_e32 v100, v97, v114
	v_add_f32_e32 v99, 0, v99
	v_fmac_f32_e32 v100, v98, v113
	v_add_f32_e32 v103, v99, v100
	ds_read2_b64 v[99:102], v94 offset0:87 offset1:88
	v_mul_f32_e32 v96, v96, v112
	v_fma_f32 v95, v95, v111, -v96
	v_mul_f32_e32 v96, v98, v114
	v_add_f32_e32 v95, 0, v95
	s_waitcnt vmcnt(8) lgkmcnt(0)
	v_mul_f32_e32 v104, v99, v116
	v_fmac_f32_e32 v104, v100, v115
	v_add_f32_e32 v103, v103, v104
	s_waitcnt vmcnt(6)
	v_mul_f32_e32 v104, v101, v118
	v_fmac_f32_e32 v104, v102, v117
	v_add_f32_e32 v107, v103, v104
	ds_read2_b64 v[103:106], v94 offset0:89 offset1:90
	v_fma_f32 v96, v97, v113, -v96
	v_add_f32_e32 v95, v95, v96
	v_mul_f32_e32 v96, v100, v116
	v_fma_f32 v96, v99, v115, -v96
	s_waitcnt vmcnt(4) lgkmcnt(0)
	v_mul_f32_e32 v108, v103, v120
	v_fmac_f32_e32 v108, v104, v119
	v_add_f32_e32 v107, v107, v108
	s_waitcnt vmcnt(2)
	v_mul_f32_e32 v108, v105, v122
	v_fmac_f32_e32 v108, v106, v121
	v_add_f32_e32 v95, v95, v96
	v_mul_f32_e32 v96, v102, v118
	v_add_f32_e32 v125, v107, v108
	ds_read_b64 v[107:108], v94 offset:728
	v_fma_f32 v96, v101, v117, -v96
	v_add_f32_e32 v95, v95, v96
	v_mul_f32_e32 v96, v104, v120
	v_fma_f32 v96, v103, v119, -v96
	v_add_f32_e32 v95, v95, v96
	v_mul_f32_e32 v96, v106, v122
	v_fma_f32 v96, v105, v121, -v96
	v_add_f32_e32 v95, v95, v96
	s_waitcnt vmcnt(0) lgkmcnt(0)
	v_mul_f32_e32 v96, v108, v124
	v_mul_f32_e32 v126, v107, v124
	v_fma_f32 v96, v107, v123, -v96
	v_fmac_f32_e32 v126, v108, v123
	v_add_f32_e32 v95, v95, v96
	v_add_f32_e32 v125, v125, v126
	v_sub_f32_e32 v95, v109, v95
	v_sub_f32_e32 v96, v110, v125
	buffer_store_dword v95, off, s[0:3], 0 offset:304
	buffer_store_dword v96, off, s[0:3], 0 offset:308
	s_and_saveexec_b64 s[4:5], vcc
	s_cbranch_execz .LBB109_215
; %bb.214:
	buffer_load_dword v95, off, s[0:3], 0 offset:296
	buffer_load_dword v96, off, s[0:3], 0 offset:300
	s_waitcnt vmcnt(0)
	ds_write_b64 v93, v[95:96]
	buffer_store_dword v94, off, s[0:3], 0 offset:296
	buffer_store_dword v94, off, s[0:3], 0 offset:300
.LBB109_215:
	s_or_b64 exec, exec, s[4:5]
	s_waitcnt lgkmcnt(0)
	; wave barrier
	buffer_load_dword v111, off, s[0:3], 0 offset:308
	buffer_load_dword v112, off, s[0:3], 0 offset:316
	;; [unrolled: 1-line block ×18, first 2 shown]
	ds_read_b128 v[95:98], v94 offset:672
	ds_read_b128 v[99:102], v94 offset:688
	;; [unrolled: 1-line block ×4, first 2 shown]
	v_cmp_lt_u32_e32 vcc, 36, v0
	s_waitcnt vmcnt(17) lgkmcnt(3)
	v_mul_f32_e32 v94, v95, v111
	v_mul_f32_e32 v111, v96, v111
	s_waitcnt vmcnt(16)
	v_mul_f32_e32 v129, v97, v112
	v_mul_f32_e32 v112, v98, v112
	s_waitcnt vmcnt(15) lgkmcnt(2)
	v_mul_f32_e32 v130, v99, v113
	v_mul_f32_e32 v113, v100, v113
	s_waitcnt vmcnt(14)
	v_mul_f32_e32 v131, v101, v114
	v_mul_f32_e32 v114, v102, v114
	s_waitcnt vmcnt(9)
	v_fma_f32 v95, v95, v119, -v111
	v_fmac_f32_e32 v94, v96, v119
	s_waitcnt vmcnt(8)
	v_fma_f32 v96, v97, v120, -v112
	v_add_f32_e32 v95, 0, v95
	v_fmac_f32_e32 v129, v98, v120
	s_waitcnt vmcnt(7)
	v_fma_f32 v97, v99, v121, -v113
	v_add_f32_e32 v94, 0, v94
	v_add_f32_e32 v95, v95, v96
	s_waitcnt lgkmcnt(1)
	v_mul_f32_e32 v132, v103, v115
	v_mul_f32_e32 v115, v104, v115
	v_fmac_f32_e32 v130, v100, v121
	s_waitcnt vmcnt(6)
	v_fma_f32 v98, v101, v122, -v114
	v_add_f32_e32 v94, v94, v129
	v_add_f32_e32 v95, v95, v97
	v_mul_f32_e32 v133, v105, v116
	v_mul_f32_e32 v116, v106, v116
	v_fmac_f32_e32 v131, v102, v122
	s_waitcnt vmcnt(5)
	v_fma_f32 v99, v103, v123, -v115
	v_add_f32_e32 v94, v94, v130
	v_add_f32_e32 v95, v95, v98
	s_waitcnt lgkmcnt(0)
	v_mul_f32_e32 v134, v107, v117
	v_mul_f32_e32 v117, v108, v117
	v_fmac_f32_e32 v132, v104, v123
	s_waitcnt vmcnt(4)
	v_fma_f32 v100, v105, v124, -v116
	v_add_f32_e32 v94, v94, v131
	v_add_f32_e32 v95, v95, v99
	v_mul_f32_e32 v135, v109, v118
	v_mul_f32_e32 v118, v110, v118
	v_fmac_f32_e32 v133, v106, v124
	s_waitcnt vmcnt(3)
	v_fma_f32 v101, v107, v125, -v117
	v_add_f32_e32 v94, v94, v132
	v_add_f32_e32 v95, v95, v100
	v_fmac_f32_e32 v134, v108, v125
	s_waitcnt vmcnt(2)
	v_fma_f32 v102, v109, v126, -v118
	v_add_f32_e32 v94, v94, v133
	v_add_f32_e32 v95, v95, v101
	v_fmac_f32_e32 v135, v110, v126
	v_add_f32_e32 v94, v94, v134
	v_add_f32_e32 v95, v95, v102
	;; [unrolled: 1-line block ×3, first 2 shown]
	s_waitcnt vmcnt(1)
	v_sub_f32_e32 v95, v127, v95
	s_waitcnt vmcnt(0)
	v_sub_f32_e32 v94, v128, v94
	buffer_store_dword v95, off, s[0:3], 0 offset:296
	buffer_store_dword v94, off, s[0:3], 0 offset:300
	s_and_saveexec_b64 s[4:5], vcc
	s_cbranch_execz .LBB109_217
; %bb.216:
	buffer_load_dword v94, off, s[0:3], 0 offset:288
	buffer_load_dword v95, off, s[0:3], 0 offset:292
	v_mov_b32_e32 v96, 0
	buffer_store_dword v96, off, s[0:3], 0 offset:288
	buffer_store_dword v96, off, s[0:3], 0 offset:292
	s_waitcnt vmcnt(2)
	ds_write_b64 v93, v[94:95]
.LBB109_217:
	s_or_b64 exec, exec, s[4:5]
	s_waitcnt lgkmcnt(0)
	; wave barrier
	buffer_load_dword v113, off, s[0:3], 0 offset:300
	buffer_load_dword v114, off, s[0:3], 0 offset:308
	;; [unrolled: 1-line block ×20, first 2 shown]
	v_mov_b32_e32 v94, 0
	ds_read2_b64 v[95:98], v94 offset0:83 offset1:84
	ds_read2_b64 v[99:102], v94 offset0:85 offset1:86
	;; [unrolled: 1-line block ×4, first 2 shown]
	ds_read_b64 v[111:112], v94 offset:728
	v_cmp_lt_u32_e32 vcc, 35, v0
	s_waitcnt vmcnt(19) lgkmcnt(4)
	v_mul_f32_e32 v133, v95, v113
	v_mul_f32_e32 v113, v96, v113
	s_waitcnt vmcnt(18)
	v_mul_f32_e32 v134, v97, v114
	v_mul_f32_e32 v114, v98, v114
	s_waitcnt vmcnt(17) lgkmcnt(3)
	v_mul_f32_e32 v135, v99, v115
	s_waitcnt vmcnt(15) lgkmcnt(2)
	v_mul_f32_e32 v137, v103, v117
	v_mul_f32_e32 v115, v100, v115
	;; [unrolled: 1-line block ×4, first 2 shown]
	s_waitcnt vmcnt(10)
	v_fma_f32 v95, v95, v122, -v113
	v_fmac_f32_e32 v133, v96, v122
	s_waitcnt vmcnt(9)
	v_fma_f32 v96, v97, v123, -v114
	v_add_f32_e32 v95, 0, v95
	v_mul_f32_e32 v117, v104, v117
	v_fmac_f32_e32 v134, v98, v123
	s_waitcnt vmcnt(6)
	v_fmac_f32_e32 v137, v104, v126
	v_fma_f32 v97, v99, v124, -v115
	v_add_f32_e32 v104, 0, v133
	v_add_f32_e32 v95, v95, v96
	v_fmac_f32_e32 v135, v100, v124
	v_fma_f32 v98, v101, v125, -v116
	v_add_f32_e32 v104, v104, v134
	v_add_f32_e32 v95, v95, v97
	v_mul_f32_e32 v138, v105, v118
	v_mul_f32_e32 v118, v106, v118
	v_fmac_f32_e32 v136, v102, v125
	v_fma_f32 v99, v103, v126, -v117
	v_add_f32_e32 v96, v104, v135
	v_add_f32_e32 v95, v95, v98
	s_waitcnt lgkmcnt(1)
	v_mul_f32_e32 v139, v107, v119
	v_mul_f32_e32 v119, v108, v119
	s_waitcnt vmcnt(5)
	v_fma_f32 v100, v105, v127, -v118
	v_add_f32_e32 v96, v96, v136
	v_add_f32_e32 v95, v95, v99
	v_mul_f32_e32 v140, v109, v120
	v_mul_f32_e32 v120, v110, v120
	v_fmac_f32_e32 v138, v106, v127
	s_waitcnt vmcnt(4)
	v_fma_f32 v101, v107, v128, -v119
	v_add_f32_e32 v96, v96, v137
	v_add_f32_e32 v95, v95, v100
	s_waitcnt lgkmcnt(0)
	v_mul_f32_e32 v141, v111, v121
	v_mul_f32_e32 v121, v112, v121
	v_fmac_f32_e32 v139, v108, v128
	s_waitcnt vmcnt(3)
	v_fma_f32 v102, v109, v129, -v120
	v_add_f32_e32 v96, v96, v138
	v_add_f32_e32 v95, v95, v101
	v_fmac_f32_e32 v140, v110, v129
	s_waitcnt vmcnt(2)
	v_fma_f32 v103, v111, v130, -v121
	v_add_f32_e32 v96, v96, v139
	v_add_f32_e32 v95, v95, v102
	v_fmac_f32_e32 v141, v112, v130
	v_add_f32_e32 v96, v96, v140
	v_add_f32_e32 v95, v95, v103
	;; [unrolled: 1-line block ×3, first 2 shown]
	s_waitcnt vmcnt(1)
	v_sub_f32_e32 v95, v131, v95
	s_waitcnt vmcnt(0)
	v_sub_f32_e32 v96, v132, v96
	buffer_store_dword v95, off, s[0:3], 0 offset:288
	buffer_store_dword v96, off, s[0:3], 0 offset:292
	s_and_saveexec_b64 s[4:5], vcc
	s_cbranch_execz .LBB109_219
; %bb.218:
	buffer_load_dword v95, off, s[0:3], 0 offset:280
	buffer_load_dword v96, off, s[0:3], 0 offset:284
	s_waitcnt vmcnt(0)
	ds_write_b64 v93, v[95:96]
	buffer_store_dword v94, off, s[0:3], 0 offset:280
	buffer_store_dword v94, off, s[0:3], 0 offset:284
.LBB109_219:
	s_or_b64 exec, exec, s[4:5]
	s_waitcnt lgkmcnt(0)
	; wave barrier
	buffer_load_dword v115, off, s[0:3], 0 offset:292
	buffer_load_dword v116, off, s[0:3], 0 offset:300
	;; [unrolled: 1-line block ×22, first 2 shown]
	ds_read_b128 v[95:98], v94 offset:656
	ds_read_b128 v[99:102], v94 offset:672
	ds_read_b128 v[103:106], v94 offset:688
	ds_read_b128 v[107:110], v94 offset:704
	ds_read_b128 v[111:114], v94 offset:720
	v_cmp_lt_u32_e32 vcc, 34, v0
	s_waitcnt vmcnt(21) lgkmcnt(4)
	v_mul_f32_e32 v94, v95, v115
	v_mul_f32_e32 v115, v96, v115
	s_waitcnt vmcnt(20)
	v_mul_f32_e32 v137, v97, v116
	v_mul_f32_e32 v116, v98, v116
	s_waitcnt vmcnt(19) lgkmcnt(3)
	v_mul_f32_e32 v138, v99, v117
	v_mul_f32_e32 v117, v100, v117
	s_waitcnt vmcnt(18)
	v_mul_f32_e32 v139, v101, v118
	v_mul_f32_e32 v118, v102, v118
	s_waitcnt vmcnt(17) lgkmcnt(2)
	v_mul_f32_e32 v140, v103, v119
	v_mul_f32_e32 v119, v104, v119
	s_waitcnt vmcnt(11)
	v_fma_f32 v95, v95, v125, -v115
	v_fmac_f32_e32 v94, v96, v125
	s_waitcnt vmcnt(10)
	v_fma_f32 v96, v97, v126, -v116
	v_add_f32_e32 v95, 0, v95
	v_fmac_f32_e32 v137, v98, v126
	s_waitcnt vmcnt(9)
	v_fma_f32 v97, v99, v127, -v117
	v_add_f32_e32 v94, 0, v94
	v_add_f32_e32 v95, v95, v96
	v_fmac_f32_e32 v138, v100, v127
	s_waitcnt vmcnt(8)
	v_fma_f32 v98, v101, v128, -v118
	v_add_f32_e32 v94, v94, v137
	v_add_f32_e32 v95, v95, v97
	v_mul_f32_e32 v141, v105, v120
	v_mul_f32_e32 v120, v106, v120
	v_fmac_f32_e32 v139, v102, v128
	s_waitcnt vmcnt(7)
	v_fma_f32 v99, v103, v129, -v119
	v_add_f32_e32 v94, v94, v138
	v_add_f32_e32 v95, v95, v98
	s_waitcnt lgkmcnt(1)
	v_mul_f32_e32 v142, v107, v121
	v_mul_f32_e32 v121, v108, v121
	v_fmac_f32_e32 v140, v104, v129
	s_waitcnt vmcnt(6)
	v_fma_f32 v100, v105, v130, -v120
	v_add_f32_e32 v94, v94, v139
	v_add_f32_e32 v95, v95, v99
	v_mul_f32_e32 v143, v109, v122
	v_mul_f32_e32 v122, v110, v122
	v_fmac_f32_e32 v141, v106, v130
	s_waitcnt vmcnt(5)
	v_fma_f32 v101, v107, v131, -v121
	v_add_f32_e32 v94, v94, v140
	v_add_f32_e32 v95, v95, v100
	s_waitcnt lgkmcnt(0)
	v_mul_f32_e32 v144, v111, v123
	v_mul_f32_e32 v123, v112, v123
	v_fmac_f32_e32 v142, v108, v131
	s_waitcnt vmcnt(4)
	v_fma_f32 v102, v109, v132, -v122
	v_add_f32_e32 v94, v94, v141
	v_add_f32_e32 v95, v95, v101
	v_mul_f32_e32 v145, v113, v124
	v_mul_f32_e32 v124, v114, v124
	v_fmac_f32_e32 v143, v110, v132
	s_waitcnt vmcnt(3)
	v_fma_f32 v103, v111, v133, -v123
	v_add_f32_e32 v94, v94, v142
	v_add_f32_e32 v95, v95, v102
	v_fmac_f32_e32 v144, v112, v133
	s_waitcnt vmcnt(2)
	v_fma_f32 v104, v113, v134, -v124
	v_add_f32_e32 v94, v94, v143
	v_add_f32_e32 v95, v95, v103
	v_fmac_f32_e32 v145, v114, v134
	v_add_f32_e32 v94, v94, v144
	v_add_f32_e32 v95, v95, v104
	;; [unrolled: 1-line block ×3, first 2 shown]
	s_waitcnt vmcnt(1)
	v_sub_f32_e32 v95, v135, v95
	s_waitcnt vmcnt(0)
	v_sub_f32_e32 v94, v136, v94
	buffer_store_dword v95, off, s[0:3], 0 offset:280
	buffer_store_dword v94, off, s[0:3], 0 offset:284
	s_and_saveexec_b64 s[4:5], vcc
	s_cbranch_execz .LBB109_221
; %bb.220:
	buffer_load_dword v94, off, s[0:3], 0 offset:272
	buffer_load_dword v95, off, s[0:3], 0 offset:276
	v_mov_b32_e32 v96, 0
	buffer_store_dword v96, off, s[0:3], 0 offset:272
	buffer_store_dword v96, off, s[0:3], 0 offset:276
	s_waitcnt vmcnt(2)
	ds_write_b64 v93, v[94:95]
.LBB109_221:
	s_or_b64 exec, exec, s[4:5]
	s_waitcnt lgkmcnt(0)
	; wave barrier
	buffer_load_dword v117, off, s[0:3], 0 offset:284
	buffer_load_dword v118, off, s[0:3], 0 offset:292
	;; [unrolled: 1-line block ×24, first 2 shown]
	v_mov_b32_e32 v94, 0
	ds_read2_b64 v[95:98], v94 offset0:81 offset1:82
	ds_read2_b64 v[99:102], v94 offset0:83 offset1:84
	;; [unrolled: 1-line block ×5, first 2 shown]
	ds_read_b64 v[115:116], v94 offset:728
	v_cmp_lt_u32_e32 vcc, 33, v0
	s_waitcnt vmcnt(23) lgkmcnt(5)
	v_mul_f32_e32 v141, v95, v117
	v_mul_f32_e32 v117, v96, v117
	s_waitcnt vmcnt(22)
	v_mul_f32_e32 v142, v97, v118
	v_mul_f32_e32 v118, v98, v118
	s_waitcnt vmcnt(21) lgkmcnt(4)
	v_mul_f32_e32 v143, v99, v119
	v_mul_f32_e32 v119, v100, v119
	s_waitcnt vmcnt(20)
	v_mul_f32_e32 v144, v101, v120
	s_waitcnt vmcnt(19) lgkmcnt(3)
	v_mul_f32_e32 v145, v103, v121
	v_mul_f32_e32 v120, v102, v120
	v_mul_f32_e32 v121, v104, v121
	s_waitcnt vmcnt(18)
	v_mul_f32_e32 v146, v105, v122
	s_waitcnt vmcnt(12)
	v_fma_f32 v95, v95, v128, -v117
	v_fmac_f32_e32 v141, v96, v128
	s_waitcnt vmcnt(11)
	v_fma_f32 v96, v97, v129, -v118
	v_add_f32_e32 v95, 0, v95
	s_waitcnt vmcnt(10)
	v_fma_f32 v97, v99, v130, -v119
	v_add_f32_e32 v95, v95, v96
	v_fmac_f32_e32 v142, v98, v129
	s_waitcnt vmcnt(8)
	v_fmac_f32_e32 v145, v104, v132
	v_fma_f32 v98, v101, v131, -v120
	v_add_f32_e32 v104, 0, v141
	v_add_f32_e32 v95, v95, v97
	v_mul_f32_e32 v122, v106, v122
	v_fmac_f32_e32 v143, v100, v130
	v_fma_f32 v99, v103, v132, -v121
	v_add_f32_e32 v104, v104, v142
	v_add_f32_e32 v95, v95, v98
	s_waitcnt lgkmcnt(2)
	v_mul_f32_e32 v147, v107, v123
	v_mul_f32_e32 v123, v108, v123
	v_fmac_f32_e32 v144, v102, v131
	s_waitcnt vmcnt(7)
	v_fma_f32 v100, v105, v133, -v122
	v_add_f32_e32 v96, v104, v143
	v_add_f32_e32 v95, v95, v99
	v_mul_f32_e32 v148, v109, v124
	v_mul_f32_e32 v124, v110, v124
	s_waitcnt vmcnt(6)
	v_fma_f32 v101, v107, v134, -v123
	v_add_f32_e32 v96, v96, v144
	v_add_f32_e32 v95, v95, v100
	s_waitcnt lgkmcnt(1)
	v_mul_f32_e32 v149, v111, v125
	v_mul_f32_e32 v125, v112, v125
	v_fmac_f32_e32 v146, v106, v133
	s_waitcnt vmcnt(5)
	v_fma_f32 v102, v109, v135, -v124
	v_add_f32_e32 v96, v96, v145
	v_add_f32_e32 v95, v95, v101
	v_fmac_f32_e32 v147, v108, v134
	s_waitcnt vmcnt(4)
	v_fma_f32 v103, v111, v136, -v125
	v_add_f32_e32 v96, v96, v146
	v_add_f32_e32 v95, v95, v102
	v_mul_f32_e32 v97, v114, v126
	v_fmac_f32_e32 v148, v110, v135
	v_add_f32_e32 v96, v96, v147
	v_add_f32_e32 v95, v95, v103
	s_waitcnt vmcnt(3)
	v_fma_f32 v97, v113, v137, -v97
	v_mul_f32_e32 v150, v113, v126
	v_fmac_f32_e32 v149, v112, v136
	v_add_f32_e32 v96, v96, v148
	v_add_f32_e32 v95, v95, v97
	s_waitcnt lgkmcnt(0)
	v_mul_f32_e32 v97, v116, v127
	v_mul_f32_e32 v151, v115, v127
	v_fmac_f32_e32 v150, v114, v137
	v_add_f32_e32 v96, v96, v149
	s_waitcnt vmcnt(2)
	v_fma_f32 v97, v115, v138, -v97
	v_fmac_f32_e32 v151, v116, v138
	v_add_f32_e32 v96, v96, v150
	v_add_f32_e32 v95, v95, v97
	;; [unrolled: 1-line block ×3, first 2 shown]
	s_waitcnt vmcnt(1)
	v_sub_f32_e32 v95, v139, v95
	s_waitcnt vmcnt(0)
	v_sub_f32_e32 v96, v140, v96
	buffer_store_dword v95, off, s[0:3], 0 offset:272
	buffer_store_dword v96, off, s[0:3], 0 offset:276
	s_and_saveexec_b64 s[4:5], vcc
	s_cbranch_execz .LBB109_223
; %bb.222:
	buffer_load_dword v95, off, s[0:3], 0 offset:264
	buffer_load_dword v96, off, s[0:3], 0 offset:268
	s_waitcnt vmcnt(0)
	ds_write_b64 v93, v[95:96]
	buffer_store_dword v94, off, s[0:3], 0 offset:264
	buffer_store_dword v94, off, s[0:3], 0 offset:268
.LBB109_223:
	s_or_b64 exec, exec, s[4:5]
	s_waitcnt lgkmcnt(0)
	; wave barrier
	buffer_load_dword v119, off, s[0:3], 0 offset:276
	buffer_load_dword v120, off, s[0:3], 0 offset:284
	;; [unrolled: 1-line block ×26, first 2 shown]
	ds_read_b128 v[95:98], v94 offset:640
	ds_read_b128 v[99:102], v94 offset:656
	;; [unrolled: 1-line block ×6, first 2 shown]
	v_cmp_lt_u32_e32 vcc, 32, v0
	s_waitcnt vmcnt(25) lgkmcnt(5)
	v_mul_f32_e32 v94, v95, v119
	v_mul_f32_e32 v119, v96, v119
	s_waitcnt vmcnt(24)
	v_mul_f32_e32 v145, v97, v120
	v_mul_f32_e32 v120, v98, v120
	s_waitcnt vmcnt(23) lgkmcnt(4)
	v_mul_f32_e32 v146, v99, v121
	v_mul_f32_e32 v121, v100, v121
	s_waitcnt vmcnt(22)
	v_mul_f32_e32 v147, v101, v122
	v_mul_f32_e32 v122, v102, v122
	;; [unrolled: 6-line block ×3, first 2 shown]
	s_waitcnt vmcnt(13)
	v_fma_f32 v95, v95, v131, -v119
	v_fmac_f32_e32 v94, v96, v131
	s_waitcnt vmcnt(12)
	v_fma_f32 v96, v97, v132, -v120
	v_add_f32_e32 v95, 0, v95
	s_waitcnt vmcnt(11)
	v_fma_f32 v97, v99, v133, -v121
	v_add_f32_e32 v95, v95, v96
	v_fmac_f32_e32 v145, v98, v132
	s_waitcnt vmcnt(10)
	v_fma_f32 v98, v101, v134, -v122
	v_add_f32_e32 v95, v95, v97
	s_waitcnt vmcnt(9)
	v_fma_f32 v99, v103, v135, -v123
	v_add_f32_e32 v95, v95, v98
	s_waitcnt lgkmcnt(2)
	v_mul_f32_e32 v150, v107, v125
	v_mul_f32_e32 v125, v108, v125
	v_fmac_f32_e32 v146, v100, v133
	s_waitcnt vmcnt(8)
	v_fma_f32 v100, v105, v136, -v124
	v_add_f32_e32 v94, 0, v94
	v_add_f32_e32 v95, v95, v99
	v_mul_f32_e32 v151, v109, v126
	v_mul_f32_e32 v126, v110, v126
	s_waitcnt vmcnt(7)
	v_fma_f32 v101, v107, v137, -v125
	v_add_f32_e32 v94, v94, v145
	v_add_f32_e32 v95, v95, v100
	v_fmac_f32_e32 v147, v102, v134
	s_waitcnt vmcnt(6)
	v_fma_f32 v102, v109, v138, -v126
	v_add_f32_e32 v94, v94, v146
	v_add_f32_e32 v95, v95, v101
	s_waitcnt lgkmcnt(1)
	v_mul_f32_e32 v96, v112, v127
	v_fmac_f32_e32 v148, v104, v135
	v_add_f32_e32 v94, v94, v147
	v_add_f32_e32 v95, v95, v102
	s_waitcnt vmcnt(5)
	v_fma_f32 v96, v111, v139, -v96
	v_fmac_f32_e32 v149, v106, v136
	v_add_f32_e32 v94, v94, v148
	v_add_f32_e32 v95, v95, v96
	v_mul_f32_e32 v96, v114, v128
	v_fmac_f32_e32 v150, v108, v137
	v_add_f32_e32 v94, v94, v149
	s_waitcnt vmcnt(4)
	v_fma_f32 v96, v113, v140, -v96
	v_mul_f32_e32 v152, v111, v127
	v_fmac_f32_e32 v151, v110, v138
	v_add_f32_e32 v94, v94, v150
	v_add_f32_e32 v95, v95, v96
	s_waitcnt lgkmcnt(0)
	v_mul_f32_e32 v96, v116, v129
	v_mul_f32_e32 v153, v113, v128
	v_fmac_f32_e32 v152, v112, v139
	v_add_f32_e32 v94, v94, v151
	s_waitcnt vmcnt(3)
	v_fma_f32 v96, v115, v141, -v96
	v_mul_f32_e32 v154, v115, v129
	v_fmac_f32_e32 v153, v114, v140
	v_add_f32_e32 v94, v94, v152
	v_add_f32_e32 v95, v95, v96
	v_mul_f32_e32 v96, v118, v130
	v_mul_f32_e32 v155, v117, v130
	v_fmac_f32_e32 v154, v116, v141
	v_add_f32_e32 v94, v94, v153
	s_waitcnt vmcnt(2)
	v_fma_f32 v96, v117, v142, -v96
	v_fmac_f32_e32 v155, v118, v142
	v_add_f32_e32 v94, v94, v154
	v_add_f32_e32 v95, v95, v96
	;; [unrolled: 1-line block ×3, first 2 shown]
	s_waitcnt vmcnt(1)
	v_sub_f32_e32 v95, v143, v95
	s_waitcnt vmcnt(0)
	v_sub_f32_e32 v94, v144, v94
	buffer_store_dword v95, off, s[0:3], 0 offset:264
	buffer_store_dword v94, off, s[0:3], 0 offset:268
	s_and_saveexec_b64 s[4:5], vcc
	s_cbranch_execz .LBB109_225
; %bb.224:
	buffer_load_dword v94, off, s[0:3], 0 offset:256
	buffer_load_dword v95, off, s[0:3], 0 offset:260
	v_mov_b32_e32 v96, 0
	buffer_store_dword v96, off, s[0:3], 0 offset:256
	buffer_store_dword v96, off, s[0:3], 0 offset:260
	s_waitcnt vmcnt(2)
	ds_write_b64 v93, v[94:95]
.LBB109_225:
	s_or_b64 exec, exec, s[4:5]
	s_waitcnt lgkmcnt(0)
	; wave barrier
	buffer_load_dword v121, off, s[0:3], 0 offset:268
	buffer_load_dword v122, off, s[0:3], 0 offset:276
	;; [unrolled: 1-line block ×28, first 2 shown]
	v_mov_b32_e32 v94, 0
	ds_read2_b64 v[95:98], v94 offset0:79 offset1:80
	ds_read2_b64 v[99:102], v94 offset0:81 offset1:82
	;; [unrolled: 1-line block ×6, first 2 shown]
	ds_read_b64 v[119:120], v94 offset:728
	v_cmp_lt_u32_e32 vcc, 31, v0
	s_waitcnt vmcnt(27) lgkmcnt(6)
	v_mul_f32_e32 v149, v95, v121
	v_mul_f32_e32 v121, v96, v121
	s_waitcnt vmcnt(26)
	v_mul_f32_e32 v150, v97, v122
	v_mul_f32_e32 v122, v98, v122
	s_waitcnt vmcnt(25) lgkmcnt(5)
	v_mul_f32_e32 v151, v99, v123
	v_mul_f32_e32 v123, v100, v123
	s_waitcnt vmcnt(24)
	v_mul_f32_e32 v152, v101, v124
	v_mul_f32_e32 v124, v102, v124
	;; [unrolled: 6-line block ×3, first 2 shown]
	s_waitcnt vmcnt(21) lgkmcnt(3)
	v_mul_f32_e32 v155, v107, v127
	s_waitcnt vmcnt(14)
	v_fma_f32 v95, v95, v134, -v121
	v_fmac_f32_e32 v149, v96, v134
	s_waitcnt vmcnt(13)
	v_fma_f32 v96, v97, v135, -v122
	v_add_f32_e32 v95, 0, v95
	s_waitcnt vmcnt(12)
	v_fma_f32 v97, v99, v136, -v123
	v_add_f32_e32 v95, v95, v96
	v_fmac_f32_e32 v150, v98, v135
	s_waitcnt vmcnt(11)
	v_fma_f32 v98, v101, v137, -v124
	v_add_f32_e32 v95, v95, v97
	s_waitcnt vmcnt(10)
	v_fma_f32 v99, v103, v138, -v125
	v_add_f32_e32 v95, v95, v98
	v_fmac_f32_e32 v151, v100, v136
	s_waitcnt vmcnt(9)
	v_fma_f32 v100, v105, v139, -v126
	v_add_f32_e32 v95, v95, v99
	v_mul_f32_e32 v97, v108, v127
	v_add_f32_e32 v95, v95, v100
	s_waitcnt vmcnt(8)
	v_fma_f32 v97, v107, v140, -v97
	v_add_f32_e32 v95, v95, v97
	v_mul_f32_e32 v97, v110, v128
	v_add_f32_e32 v101, 0, v149
	s_waitcnt vmcnt(7)
	v_fma_f32 v97, v109, v141, -v97
	v_add_f32_e32 v101, v101, v150
	v_add_f32_e32 v95, v95, v97
	s_waitcnt lgkmcnt(2)
	v_mul_f32_e32 v97, v112, v129
	v_fmac_f32_e32 v152, v102, v137
	v_add_f32_e32 v96, v101, v151
	s_waitcnt vmcnt(6)
	v_fma_f32 v97, v111, v142, -v97
	v_fmac_f32_e32 v153, v104, v138
	v_add_f32_e32 v96, v96, v152
	v_add_f32_e32 v95, v95, v97
	v_mul_f32_e32 v97, v114, v130
	v_fmac_f32_e32 v154, v106, v139
	v_add_f32_e32 v96, v96, v153
	s_waitcnt vmcnt(5)
	v_fma_f32 v97, v113, v143, -v97
	v_mul_f32_e32 v156, v109, v128
	v_fmac_f32_e32 v155, v108, v140
	v_add_f32_e32 v96, v96, v154
	v_add_f32_e32 v95, v95, v97
	s_waitcnt lgkmcnt(1)
	v_mul_f32_e32 v97, v116, v131
	v_mul_f32_e32 v157, v111, v129
	v_fmac_f32_e32 v156, v110, v141
	v_add_f32_e32 v96, v96, v155
	s_waitcnt vmcnt(4)
	v_fma_f32 v97, v115, v144, -v97
	v_mul_f32_e32 v158, v113, v130
	v_fmac_f32_e32 v157, v112, v142
	v_add_f32_e32 v96, v96, v156
	v_add_f32_e32 v95, v95, v97
	v_mul_f32_e32 v97, v118, v132
	v_mul_f32_e32 v159, v115, v131
	v_fmac_f32_e32 v158, v114, v143
	v_add_f32_e32 v96, v96, v157
	s_waitcnt vmcnt(3)
	v_fma_f32 v97, v117, v145, -v97
	v_mul_f32_e32 v160, v117, v132
	v_fmac_f32_e32 v159, v116, v144
	v_add_f32_e32 v96, v96, v158
	v_add_f32_e32 v95, v95, v97
	s_waitcnt lgkmcnt(0)
	v_mul_f32_e32 v97, v120, v133
	v_mul_f32_e32 v161, v119, v133
	v_fmac_f32_e32 v160, v118, v145
	v_add_f32_e32 v96, v96, v159
	s_waitcnt vmcnt(2)
	v_fma_f32 v97, v119, v146, -v97
	v_fmac_f32_e32 v161, v120, v146
	v_add_f32_e32 v96, v96, v160
	v_add_f32_e32 v95, v95, v97
	;; [unrolled: 1-line block ×3, first 2 shown]
	s_waitcnt vmcnt(1)
	v_sub_f32_e32 v95, v147, v95
	s_waitcnt vmcnt(0)
	v_sub_f32_e32 v96, v148, v96
	buffer_store_dword v95, off, s[0:3], 0 offset:256
	buffer_store_dword v96, off, s[0:3], 0 offset:260
	s_and_saveexec_b64 s[4:5], vcc
	s_cbranch_execz .LBB109_227
; %bb.226:
	buffer_load_dword v95, off, s[0:3], 0 offset:248
	buffer_load_dword v96, off, s[0:3], 0 offset:252
	s_waitcnt vmcnt(0)
	ds_write_b64 v93, v[95:96]
	buffer_store_dword v94, off, s[0:3], 0 offset:248
	buffer_store_dword v94, off, s[0:3], 0 offset:252
.LBB109_227:
	s_or_b64 exec, exec, s[4:5]
	s_waitcnt lgkmcnt(0)
	; wave barrier
	buffer_load_dword v123, off, s[0:3], 0 offset:260
	buffer_load_dword v124, off, s[0:3], 0 offset:268
	;; [unrolled: 1-line block ×30, first 2 shown]
	ds_read_b128 v[95:98], v94 offset:624
	ds_read_b128 v[99:102], v94 offset:640
	;; [unrolled: 1-line block ×7, first 2 shown]
	v_cmp_lt_u32_e32 vcc, 30, v0
	s_waitcnt vmcnt(29) lgkmcnt(6)
	v_mul_f32_e32 v94, v95, v123
	v_mul_f32_e32 v123, v96, v123
	s_waitcnt vmcnt(28)
	v_mul_f32_e32 v153, v97, v124
	v_mul_f32_e32 v124, v98, v124
	s_waitcnt vmcnt(27) lgkmcnt(5)
	v_mul_f32_e32 v154, v99, v125
	v_mul_f32_e32 v125, v100, v125
	s_waitcnt vmcnt(26)
	v_mul_f32_e32 v155, v101, v126
	v_mul_f32_e32 v126, v102, v126
	s_waitcnt vmcnt(25) lgkmcnt(4)
	v_mul_f32_e32 v156, v103, v127
	v_mul_f32_e32 v127, v104, v127
	s_waitcnt vmcnt(24)
	v_mul_f32_e32 v157, v105, v128
	s_waitcnt vmcnt(23) lgkmcnt(3)
	v_mul_f32_e32 v158, v107, v129
	s_waitcnt vmcnt(22)
	v_mul_f32_e32 v159, v109, v130
	s_waitcnt vmcnt(21) lgkmcnt(2)
	v_mul_f32_e32 v160, v111, v131
	s_waitcnt vmcnt(15)
	v_fma_f32 v95, v95, v137, -v123
	v_fmac_f32_e32 v94, v96, v137
	s_waitcnt vmcnt(14)
	v_fma_f32 v96, v97, v138, -v124
	v_add_f32_e32 v95, 0, v95
	s_waitcnt vmcnt(13)
	v_fma_f32 v97, v99, v139, -v125
	v_add_f32_e32 v95, v95, v96
	v_fmac_f32_e32 v153, v98, v138
	s_waitcnt vmcnt(12)
	v_fma_f32 v98, v101, v140, -v126
	v_add_f32_e32 v95, v95, v97
	s_waitcnt vmcnt(11)
	v_fma_f32 v99, v103, v141, -v127
	v_add_f32_e32 v95, v95, v98
	v_mul_f32_e32 v96, v106, v128
	v_add_f32_e32 v95, v95, v99
	s_waitcnt vmcnt(10)
	v_fma_f32 v96, v105, v142, -v96
	v_add_f32_e32 v95, v95, v96
	v_mul_f32_e32 v96, v108, v129
	s_waitcnt vmcnt(9)
	v_fma_f32 v96, v107, v143, -v96
	v_add_f32_e32 v95, v95, v96
	v_mul_f32_e32 v96, v110, v130
	s_waitcnt vmcnt(8)
	v_fma_f32 v96, v109, v144, -v96
	v_add_f32_e32 v94, 0, v94
	v_add_f32_e32 v95, v95, v96
	v_mul_f32_e32 v96, v112, v131
	v_fmac_f32_e32 v154, v100, v139
	v_add_f32_e32 v94, v94, v153
	s_waitcnt vmcnt(7)
	v_fma_f32 v96, v111, v145, -v96
	v_fmac_f32_e32 v155, v102, v140
	v_add_f32_e32 v94, v94, v154
	v_add_f32_e32 v95, v95, v96
	v_mul_f32_e32 v96, v114, v132
	v_fmac_f32_e32 v156, v104, v141
	v_add_f32_e32 v94, v94, v155
	s_waitcnt vmcnt(6)
	v_fma_f32 v96, v113, v146, -v96
	v_fmac_f32_e32 v157, v106, v142
	v_add_f32_e32 v94, v94, v156
	v_add_f32_e32 v95, v95, v96
	s_waitcnt lgkmcnt(1)
	v_mul_f32_e32 v96, v116, v133
	v_fmac_f32_e32 v158, v108, v143
	v_add_f32_e32 v94, v94, v157
	s_waitcnt vmcnt(5)
	v_fma_f32 v96, v115, v147, -v96
	v_fmac_f32_e32 v159, v110, v144
	v_add_f32_e32 v94, v94, v158
	v_add_f32_e32 v95, v95, v96
	v_mul_f32_e32 v96, v118, v134
	v_mul_f32_e32 v161, v113, v132
	v_fmac_f32_e32 v160, v112, v145
	v_add_f32_e32 v94, v94, v159
	s_waitcnt vmcnt(4)
	v_fma_f32 v96, v117, v148, -v96
	v_mul_f32_e32 v162, v115, v133
	v_fmac_f32_e32 v161, v114, v146
	v_add_f32_e32 v94, v94, v160
	v_add_f32_e32 v95, v95, v96
	s_waitcnt lgkmcnt(0)
	v_mul_f32_e32 v96, v120, v135
	v_mul_f32_e32 v163, v117, v134
	v_fmac_f32_e32 v162, v116, v147
	v_add_f32_e32 v94, v94, v161
	s_waitcnt vmcnt(3)
	v_fma_f32 v96, v119, v149, -v96
	v_mul_f32_e32 v164, v119, v135
	v_fmac_f32_e32 v163, v118, v148
	v_add_f32_e32 v94, v94, v162
	v_add_f32_e32 v95, v95, v96
	v_mul_f32_e32 v96, v122, v136
	v_mul_f32_e32 v165, v121, v136
	v_fmac_f32_e32 v164, v120, v149
	v_add_f32_e32 v94, v94, v163
	s_waitcnt vmcnt(2)
	v_fma_f32 v96, v121, v150, -v96
	v_fmac_f32_e32 v165, v122, v150
	v_add_f32_e32 v94, v94, v164
	v_add_f32_e32 v95, v95, v96
	;; [unrolled: 1-line block ×3, first 2 shown]
	s_waitcnt vmcnt(1)
	v_sub_f32_e32 v95, v151, v95
	s_waitcnt vmcnt(0)
	v_sub_f32_e32 v94, v152, v94
	buffer_store_dword v95, off, s[0:3], 0 offset:248
	buffer_store_dword v94, off, s[0:3], 0 offset:252
	s_and_saveexec_b64 s[4:5], vcc
	s_cbranch_execz .LBB109_229
; %bb.228:
	buffer_load_dword v94, off, s[0:3], 0 offset:240
	buffer_load_dword v95, off, s[0:3], 0 offset:244
	v_mov_b32_e32 v96, 0
	buffer_store_dword v96, off, s[0:3], 0 offset:240
	buffer_store_dword v96, off, s[0:3], 0 offset:244
	s_waitcnt vmcnt(2)
	ds_write_b64 v93, v[94:95]
.LBB109_229:
	s_or_b64 exec, exec, s[4:5]
	s_waitcnt lgkmcnt(0)
	; wave barrier
	buffer_load_dword v125, off, s[0:3], 0 offset:252
	buffer_load_dword v126, off, s[0:3], 0 offset:260
	buffer_load_dword v127, off, s[0:3], 0 offset:268
	buffer_load_dword v128, off, s[0:3], 0 offset:276
	buffer_load_dword v129, off, s[0:3], 0 offset:284
	buffer_load_dword v130, off, s[0:3], 0 offset:292
	buffer_load_dword v131, off, s[0:3], 0 offset:300
	buffer_load_dword v132, off, s[0:3], 0 offset:308
	buffer_load_dword v133, off, s[0:3], 0 offset:316
	buffer_load_dword v134, off, s[0:3], 0 offset:324
	buffer_load_dword v135, off, s[0:3], 0 offset:332
	buffer_load_dword v136, off, s[0:3], 0 offset:340
	buffer_load_dword v137, off, s[0:3], 0 offset:348
	buffer_load_dword v138, off, s[0:3], 0 offset:356
	buffer_load_dword v139, off, s[0:3], 0 offset:364
	buffer_load_dword v140, off, s[0:3], 0 offset:248
	buffer_load_dword v141, off, s[0:3], 0 offset:256
	buffer_load_dword v142, off, s[0:3], 0 offset:264
	buffer_load_dword v143, off, s[0:3], 0 offset:272
	buffer_load_dword v144, off, s[0:3], 0 offset:280
	buffer_load_dword v145, off, s[0:3], 0 offset:288
	buffer_load_dword v146, off, s[0:3], 0 offset:296
	buffer_load_dword v147, off, s[0:3], 0 offset:304
	buffer_load_dword v148, off, s[0:3], 0 offset:312
	buffer_load_dword v149, off, s[0:3], 0 offset:320
	buffer_load_dword v150, off, s[0:3], 0 offset:328
	buffer_load_dword v151, off, s[0:3], 0 offset:336
	buffer_load_dword v152, off, s[0:3], 0 offset:344
	buffer_load_dword v153, off, s[0:3], 0 offset:352
	buffer_load_dword v154, off, s[0:3], 0 offset:360
	buffer_load_dword v155, off, s[0:3], 0 offset:240
	buffer_load_dword v156, off, s[0:3], 0 offset:244
	v_mov_b32_e32 v94, 0
	ds_read2_b64 v[95:98], v94 offset0:77 offset1:78
	ds_read2_b64 v[99:102], v94 offset0:79 offset1:80
	;; [unrolled: 1-line block ×7, first 2 shown]
	ds_read_b64 v[123:124], v94 offset:728
	v_cmp_lt_u32_e32 vcc, 29, v0
	s_waitcnt vmcnt(31) lgkmcnt(7)
	v_mul_f32_e32 v157, v95, v125
	v_mul_f32_e32 v125, v96, v125
	s_waitcnt vmcnt(30)
	v_mul_f32_e32 v158, v97, v126
	v_mul_f32_e32 v126, v98, v126
	s_waitcnt vmcnt(29) lgkmcnt(6)
	v_mul_f32_e32 v159, v99, v127
	v_mul_f32_e32 v127, v100, v127
	s_waitcnt vmcnt(28)
	v_mul_f32_e32 v160, v101, v128
	s_waitcnt vmcnt(27) lgkmcnt(5)
	v_mul_f32_e32 v161, v103, v129
	s_waitcnt vmcnt(26)
	v_mul_f32_e32 v162, v105, v130
	s_waitcnt vmcnt(25) lgkmcnt(4)
	;; [unrolled: 4-line block ×4, first 2 shown]
	v_mul_f32_e32 v167, v115, v135
	s_waitcnt vmcnt(20)
	v_mul_f32_e32 v168, v117, v136
	s_waitcnt vmcnt(16)
	v_fma_f32 v95, v95, v140, -v125
	v_fmac_f32_e32 v157, v96, v140
	s_waitcnt vmcnt(15)
	v_fma_f32 v96, v97, v141, -v126
	v_add_f32_e32 v95, 0, v95
	s_waitcnt vmcnt(14)
	v_fma_f32 v97, v99, v142, -v127
	v_add_f32_e32 v95, v95, v96
	v_add_f32_e32 v95, v95, v97
	v_mul_f32_e32 v97, v102, v128
	s_waitcnt vmcnt(13)
	v_fma_f32 v97, v101, v143, -v97
	v_add_f32_e32 v95, v95, v97
	v_mul_f32_e32 v97, v104, v129
	s_waitcnt vmcnt(12)
	v_fma_f32 v97, v103, v144, -v97
	;; [unrolled: 4-line block ×5, first 2 shown]
	v_add_f32_e32 v95, v95, v97
	v_mul_f32_e32 v97, v112, v133
	v_fmac_f32_e32 v158, v98, v141
	v_add_f32_e32 v98, 0, v157
	s_waitcnt vmcnt(8)
	v_fma_f32 v97, v111, v148, -v97
	v_fmac_f32_e32 v159, v100, v142
	v_add_f32_e32 v98, v98, v158
	v_add_f32_e32 v95, v95, v97
	v_mul_f32_e32 v97, v114, v134
	v_fmac_f32_e32 v160, v102, v143
	v_add_f32_e32 v96, v98, v159
	s_waitcnt vmcnt(7)
	v_fma_f32 v97, v113, v149, -v97
	v_fmac_f32_e32 v161, v104, v144
	v_add_f32_e32 v96, v96, v160
	v_add_f32_e32 v95, v95, v97
	v_mul_f32_e32 v97, v116, v135
	v_fmac_f32_e32 v162, v106, v145
	v_add_f32_e32 v96, v96, v161
	s_waitcnt vmcnt(6)
	v_fma_f32 v97, v115, v150, -v97
	v_fmac_f32_e32 v163, v108, v146
	v_add_f32_e32 v96, v96, v162
	v_add_f32_e32 v95, v95, v97
	v_mul_f32_e32 v97, v118, v136
	v_fmac_f32_e32 v164, v110, v147
	v_add_f32_e32 v96, v96, v163
	s_waitcnt vmcnt(5)
	v_fma_f32 v97, v117, v151, -v97
	v_fmac_f32_e32 v165, v112, v148
	v_add_f32_e32 v96, v96, v164
	v_add_f32_e32 v95, v95, v97
	s_waitcnt lgkmcnt(1)
	v_mul_f32_e32 v97, v120, v137
	v_fmac_f32_e32 v166, v114, v149
	v_add_f32_e32 v96, v96, v165
	s_waitcnt vmcnt(4)
	v_fma_f32 v97, v119, v152, -v97
	v_fmac_f32_e32 v167, v116, v150
	v_add_f32_e32 v96, v96, v166
	v_add_f32_e32 v95, v95, v97
	v_mul_f32_e32 v97, v122, v138
	v_mul_f32_e32 v169, v119, v137
	v_fmac_f32_e32 v168, v118, v151
	v_add_f32_e32 v96, v96, v167
	s_waitcnt vmcnt(3)
	v_fma_f32 v97, v121, v153, -v97
	v_mul_f32_e32 v170, v121, v138
	v_fmac_f32_e32 v169, v120, v152
	v_add_f32_e32 v96, v96, v168
	v_add_f32_e32 v95, v95, v97
	s_waitcnt lgkmcnt(0)
	v_mul_f32_e32 v97, v124, v139
	v_mul_f32_e32 v171, v123, v139
	v_fmac_f32_e32 v170, v122, v153
	v_add_f32_e32 v96, v96, v169
	s_waitcnt vmcnt(2)
	v_fma_f32 v97, v123, v154, -v97
	v_fmac_f32_e32 v171, v124, v154
	v_add_f32_e32 v96, v96, v170
	v_add_f32_e32 v95, v95, v97
	;; [unrolled: 1-line block ×3, first 2 shown]
	s_waitcnt vmcnt(1)
	v_sub_f32_e32 v95, v155, v95
	s_waitcnt vmcnt(0)
	v_sub_f32_e32 v96, v156, v96
	buffer_store_dword v95, off, s[0:3], 0 offset:240
	buffer_store_dword v96, off, s[0:3], 0 offset:244
	s_and_saveexec_b64 s[4:5], vcc
	s_cbranch_execz .LBB109_231
; %bb.230:
	buffer_load_dword v95, off, s[0:3], 0 offset:232
	buffer_load_dword v96, off, s[0:3], 0 offset:236
	s_waitcnt vmcnt(0)
	ds_write_b64 v93, v[95:96]
	buffer_store_dword v94, off, s[0:3], 0 offset:232
	buffer_store_dword v94, off, s[0:3], 0 offset:236
.LBB109_231:
	s_or_b64 exec, exec, s[4:5]
	s_waitcnt lgkmcnt(0)
	; wave barrier
	buffer_load_dword v127, off, s[0:3], 0 offset:244
	buffer_load_dword v128, off, s[0:3], 0 offset:252
	;; [unrolled: 1-line block ×34, first 2 shown]
	ds_read_b128 v[95:98], v94 offset:608
	ds_read_b128 v[99:102], v94 offset:624
	;; [unrolled: 1-line block ×8, first 2 shown]
	v_cmp_lt_u32_e32 vcc, 28, v0
	s_waitcnt vmcnt(33) lgkmcnt(7)
	v_mul_f32_e32 v94, v95, v127
	v_mul_f32_e32 v127, v96, v127
	s_waitcnt vmcnt(32)
	v_mul_f32_e32 v161, v97, v128
	v_mul_f32_e32 v128, v98, v128
	s_waitcnt vmcnt(31) lgkmcnt(6)
	v_mul_f32_e32 v162, v99, v129
	s_waitcnt vmcnt(30)
	v_mul_f32_e32 v163, v101, v130
	s_waitcnt vmcnt(29) lgkmcnt(5)
	v_mul_f32_e32 v164, v103, v131
	s_waitcnt vmcnt(28)
	;; [unrolled: 4-line block ×6, first 2 shown]
	v_mul_f32_e32 v173, v121, v140
	s_waitcnt vmcnt(17)
	v_fma_f32 v95, v95, v143, -v127
	v_fmac_f32_e32 v94, v96, v143
	s_waitcnt vmcnt(16)
	v_fma_f32 v96, v97, v144, -v128
	v_add_f32_e32 v95, 0, v95
	v_add_f32_e32 v95, v95, v96
	v_mul_f32_e32 v96, v100, v129
	s_waitcnt vmcnt(15)
	v_fma_f32 v96, v99, v145, -v96
	v_add_f32_e32 v95, v95, v96
	v_mul_f32_e32 v96, v102, v130
	s_waitcnt vmcnt(14)
	v_fma_f32 v96, v101, v146, -v96
	;; [unrolled: 4-line block ×7, first 2 shown]
	v_fmac_f32_e32 v161, v98, v144
	v_add_f32_e32 v94, 0, v94
	v_add_f32_e32 v95, v95, v96
	v_mul_f32_e32 v96, v114, v136
	v_fmac_f32_e32 v162, v100, v145
	v_add_f32_e32 v94, v94, v161
	s_waitcnt vmcnt(8)
	v_fma_f32 v96, v113, v152, -v96
	v_fmac_f32_e32 v163, v102, v146
	v_add_f32_e32 v94, v94, v162
	v_add_f32_e32 v95, v95, v96
	v_mul_f32_e32 v96, v116, v137
	v_fmac_f32_e32 v164, v104, v147
	v_add_f32_e32 v94, v94, v163
	s_waitcnt vmcnt(7)
	v_fma_f32 v96, v115, v153, -v96
	;; [unrolled: 8-line block ×5, first 2 shown]
	v_fmac_f32_e32 v171, v118, v154
	v_add_f32_e32 v94, v94, v170
	v_add_f32_e32 v95, v95, v96
	s_waitcnt lgkmcnt(0)
	v_mul_f32_e32 v96, v124, v141
	v_fmac_f32_e32 v172, v120, v155
	v_add_f32_e32 v94, v94, v171
	s_waitcnt vmcnt(3)
	v_fma_f32 v96, v123, v157, -v96
	v_mul_f32_e32 v174, v123, v141
	v_fmac_f32_e32 v173, v122, v156
	v_add_f32_e32 v94, v94, v172
	v_add_f32_e32 v95, v95, v96
	v_mul_f32_e32 v96, v126, v142
	v_mul_f32_e32 v175, v125, v142
	v_fmac_f32_e32 v174, v124, v157
	v_add_f32_e32 v94, v94, v173
	s_waitcnt vmcnt(2)
	v_fma_f32 v96, v125, v158, -v96
	v_fmac_f32_e32 v175, v126, v158
	v_add_f32_e32 v94, v94, v174
	v_add_f32_e32 v95, v95, v96
	;; [unrolled: 1-line block ×3, first 2 shown]
	s_waitcnt vmcnt(1)
	v_sub_f32_e32 v95, v159, v95
	s_waitcnt vmcnt(0)
	v_sub_f32_e32 v94, v160, v94
	buffer_store_dword v95, off, s[0:3], 0 offset:232
	buffer_store_dword v94, off, s[0:3], 0 offset:236
	s_and_saveexec_b64 s[4:5], vcc
	s_cbranch_execz .LBB109_233
; %bb.232:
	buffer_load_dword v94, off, s[0:3], 0 offset:224
	buffer_load_dword v95, off, s[0:3], 0 offset:228
	v_mov_b32_e32 v96, 0
	buffer_store_dword v96, off, s[0:3], 0 offset:224
	buffer_store_dword v96, off, s[0:3], 0 offset:228
	s_waitcnt vmcnt(2)
	ds_write_b64 v93, v[94:95]
.LBB109_233:
	s_or_b64 exec, exec, s[4:5]
	s_waitcnt lgkmcnt(0)
	; wave barrier
	buffer_load_dword v129, off, s[0:3], 0 offset:236
	buffer_load_dword v130, off, s[0:3], 0 offset:244
	;; [unrolled: 1-line block ×36, first 2 shown]
	v_mov_b32_e32 v94, 0
	ds_read2_b64 v[95:98], v94 offset0:75 offset1:76
	ds_read2_b64 v[99:102], v94 offset0:77 offset1:78
	;; [unrolled: 1-line block ×8, first 2 shown]
	ds_read_b64 v[127:128], v94 offset:728
	v_cmp_lt_u32_e32 vcc, 27, v0
	s_waitcnt vmcnt(35) lgkmcnt(8)
	v_mul_f32_e32 v165, v95, v129
	s_waitcnt vmcnt(34)
	v_mul_f32_e32 v166, v97, v130
	s_waitcnt vmcnt(33) lgkmcnt(7)
	v_mul_f32_e32 v167, v99, v131
	s_waitcnt vmcnt(32)
	v_mul_f32_e32 v168, v101, v132
	;; [unrolled: 4-line block ×8, first 2 shown]
	s_waitcnt vmcnt(19) lgkmcnt(0)
	v_mul_f32_e32 v181, v127, v145
	s_waitcnt vmcnt(18)
	v_fmac_f32_e32 v165, v96, v146
	v_mul_f32_e32 v96, v96, v129
	v_fma_f32 v95, v95, v146, -v96
	v_mul_f32_e32 v96, v98, v130
	v_add_f32_e32 v95, 0, v95
	s_waitcnt vmcnt(17)
	v_fma_f32 v96, v97, v147, -v96
	v_add_f32_e32 v95, v95, v96
	v_mul_f32_e32 v96, v100, v131
	s_waitcnt vmcnt(16)
	v_fma_f32 v96, v99, v148, -v96
	v_add_f32_e32 v95, v95, v96
	v_mul_f32_e32 v96, v102, v132
	;; [unrolled: 4-line block ×8, first 2 shown]
	v_fmac_f32_e32 v166, v98, v147
	v_add_f32_e32 v165, 0, v165
	s_waitcnt vmcnt(9)
	v_fma_f32 v96, v113, v155, -v96
	v_fmac_f32_e32 v167, v100, v148
	v_add_f32_e32 v165, v165, v166
	v_add_f32_e32 v95, v95, v96
	v_mul_f32_e32 v96, v116, v139
	v_fmac_f32_e32 v168, v102, v149
	v_add_f32_e32 v165, v165, v167
	s_waitcnt vmcnt(8)
	v_fma_f32 v96, v115, v156, -v96
	v_fmac_f32_e32 v169, v104, v150
	v_add_f32_e32 v165, v165, v168
	v_add_f32_e32 v95, v95, v96
	v_mul_f32_e32 v96, v118, v140
	;; [unrolled: 8-line block ×7, first 2 shown]
	v_fmac_f32_e32 v180, v126, v161
	v_add_f32_e32 v165, v165, v179
	s_waitcnt vmcnt(2)
	v_fma_f32 v96, v127, v162, -v96
	v_fmac_f32_e32 v181, v128, v162
	v_add_f32_e32 v165, v165, v180
	v_add_f32_e32 v95, v95, v96
	;; [unrolled: 1-line block ×3, first 2 shown]
	s_waitcnt vmcnt(1)
	v_sub_f32_e32 v95, v163, v95
	s_waitcnt vmcnt(0)
	v_sub_f32_e32 v96, v164, v165
	buffer_store_dword v95, off, s[0:3], 0 offset:224
	buffer_store_dword v96, off, s[0:3], 0 offset:228
	s_and_saveexec_b64 s[4:5], vcc
	s_cbranch_execz .LBB109_235
; %bb.234:
	buffer_load_dword v95, off, s[0:3], 0 offset:216
	buffer_load_dword v96, off, s[0:3], 0 offset:220
	s_waitcnt vmcnt(0)
	ds_write_b64 v93, v[95:96]
	buffer_store_dword v94, off, s[0:3], 0 offset:216
	buffer_store_dword v94, off, s[0:3], 0 offset:220
.LBB109_235:
	s_or_b64 exec, exec, s[4:5]
	s_waitcnt lgkmcnt(0)
	; wave barrier
	buffer_load_dword v131, off, s[0:3], 0 offset:228
	buffer_load_dword v132, off, s[0:3], 0 offset:236
	buffer_load_dword v133, off, s[0:3], 0 offset:244
	buffer_load_dword v134, off, s[0:3], 0 offset:252
	buffer_load_dword v135, off, s[0:3], 0 offset:260
	buffer_load_dword v136, off, s[0:3], 0 offset:268
	buffer_load_dword v137, off, s[0:3], 0 offset:276
	buffer_load_dword v138, off, s[0:3], 0 offset:284
	buffer_load_dword v139, off, s[0:3], 0 offset:292
	buffer_load_dword v140, off, s[0:3], 0 offset:300
	buffer_load_dword v141, off, s[0:3], 0 offset:308
	buffer_load_dword v142, off, s[0:3], 0 offset:316
	buffer_load_dword v143, off, s[0:3], 0 offset:324
	buffer_load_dword v144, off, s[0:3], 0 offset:332
	buffer_load_dword v145, off, s[0:3], 0 offset:340
	buffer_load_dword v146, off, s[0:3], 0 offset:348
	buffer_load_dword v147, off, s[0:3], 0 offset:356
	buffer_load_dword v148, off, s[0:3], 0 offset:224
	buffer_load_dword v149, off, s[0:3], 0 offset:232
	buffer_load_dword v150, off, s[0:3], 0 offset:240
	buffer_load_dword v151, off, s[0:3], 0 offset:248
	buffer_load_dword v152, off, s[0:3], 0 offset:256
	buffer_load_dword v153, off, s[0:3], 0 offset:264
	buffer_load_dword v154, off, s[0:3], 0 offset:272
	buffer_load_dword v155, off, s[0:3], 0 offset:280
	buffer_load_dword v156, off, s[0:3], 0 offset:288
	buffer_load_dword v157, off, s[0:3], 0 offset:296
	buffer_load_dword v158, off, s[0:3], 0 offset:304
	buffer_load_dword v159, off, s[0:3], 0 offset:312
	buffer_load_dword v160, off, s[0:3], 0 offset:320
	buffer_load_dword v161, off, s[0:3], 0 offset:328
	buffer_load_dword v162, off, s[0:3], 0 offset:336
	buffer_load_dword v163, off, s[0:3], 0 offset:344
	buffer_load_dword v164, off, s[0:3], 0 offset:352
	buffer_load_dword v165, off, s[0:3], 0 offset:364
	buffer_load_dword v166, off, s[0:3], 0 offset:360
	buffer_load_dword v167, off, s[0:3], 0 offset:216
	buffer_load_dword v168, off, s[0:3], 0 offset:220
	ds_read_b128 v[95:98], v94 offset:592
	ds_read_b128 v[99:102], v94 offset:608
	;; [unrolled: 1-line block ×9, first 2 shown]
	v_cmp_lt_u32_e32 vcc, 26, v0
	s_waitcnt vmcnt(37) lgkmcnt(8)
	v_mul_f32_e32 v94, v95, v131
	s_waitcnt vmcnt(36)
	v_mul_f32_e32 v169, v97, v132
	s_waitcnt vmcnt(35) lgkmcnt(7)
	v_mul_f32_e32 v170, v99, v133
	s_waitcnt vmcnt(34)
	v_mul_f32_e32 v171, v101, v134
	;; [unrolled: 4-line block ×8, first 2 shown]
	s_waitcnt vmcnt(21) lgkmcnt(0)
	v_mul_f32_e32 v184, v127, v147
	s_waitcnt vmcnt(20)
	v_fmac_f32_e32 v94, v96, v148
	v_mul_f32_e32 v96, v96, v131
	v_fma_f32 v95, v95, v148, -v96
	v_mul_f32_e32 v96, v98, v132
	v_add_f32_e32 v95, 0, v95
	s_waitcnt vmcnt(19)
	v_fma_f32 v96, v97, v149, -v96
	v_add_f32_e32 v95, v95, v96
	v_mul_f32_e32 v96, v100, v133
	s_waitcnt vmcnt(18)
	v_fma_f32 v96, v99, v150, -v96
	v_add_f32_e32 v95, v95, v96
	v_mul_f32_e32 v96, v102, v134
	;; [unrolled: 4-line block ×8, first 2 shown]
	s_waitcnt vmcnt(11)
	v_fma_f32 v96, v113, v157, -v96
	v_fmac_f32_e32 v169, v98, v149
	v_add_f32_e32 v94, 0, v94
	v_add_f32_e32 v95, v95, v96
	v_mul_f32_e32 v96, v116, v141
	v_fmac_f32_e32 v170, v100, v150
	v_add_f32_e32 v94, v94, v169
	s_waitcnt vmcnt(10)
	v_fma_f32 v96, v115, v158, -v96
	v_fmac_f32_e32 v171, v102, v151
	v_add_f32_e32 v94, v94, v170
	v_add_f32_e32 v95, v95, v96
	v_mul_f32_e32 v96, v118, v142
	v_fmac_f32_e32 v172, v104, v152
	v_add_f32_e32 v94, v94, v171
	s_waitcnt vmcnt(9)
	v_fma_f32 v96, v117, v159, -v96
	v_fmac_f32_e32 v173, v106, v153
	v_add_f32_e32 v94, v94, v172
	v_add_f32_e32 v95, v95, v96
	v_mul_f32_e32 v96, v120, v143
	v_fmac_f32_e32 v174, v108, v154
	v_add_f32_e32 v94, v94, v173
	s_waitcnt vmcnt(8)
	v_fma_f32 v96, v119, v160, -v96
	v_fmac_f32_e32 v175, v110, v155
	v_add_f32_e32 v94, v94, v174
	v_add_f32_e32 v95, v95, v96
	v_mul_f32_e32 v96, v122, v144
	v_fmac_f32_e32 v176, v112, v156
	v_add_f32_e32 v94, v94, v175
	s_waitcnt vmcnt(7)
	v_fma_f32 v96, v121, v161, -v96
	v_fmac_f32_e32 v177, v114, v157
	v_add_f32_e32 v94, v94, v176
	v_add_f32_e32 v95, v95, v96
	v_mul_f32_e32 v96, v124, v145
	v_fmac_f32_e32 v178, v116, v158
	v_add_f32_e32 v94, v94, v177
	s_waitcnt vmcnt(6)
	v_fma_f32 v96, v123, v162, -v96
	v_fmac_f32_e32 v179, v118, v159
	v_add_f32_e32 v94, v94, v178
	v_add_f32_e32 v95, v95, v96
	v_mul_f32_e32 v96, v126, v146
	v_fmac_f32_e32 v180, v120, v160
	v_add_f32_e32 v94, v94, v179
	s_waitcnt vmcnt(5)
	v_fma_f32 v96, v125, v163, -v96
	v_fmac_f32_e32 v181, v122, v161
	v_add_f32_e32 v94, v94, v180
	v_add_f32_e32 v95, v95, v96
	v_mul_f32_e32 v96, v128, v147
	v_fmac_f32_e32 v182, v124, v162
	v_add_f32_e32 v94, v94, v181
	s_waitcnt vmcnt(4)
	v_fma_f32 v96, v127, v164, -v96
	v_fmac_f32_e32 v183, v126, v163
	v_add_f32_e32 v94, v94, v182
	v_add_f32_e32 v95, v95, v96
	s_waitcnt vmcnt(3)
	v_mul_f32_e32 v96, v130, v165
	v_add_f32_e32 v94, v94, v183
	v_fmac_f32_e32 v184, v128, v164
	v_mul_f32_e32 v169, v129, v165
	s_waitcnt vmcnt(2)
	v_fma_f32 v96, v129, v166, -v96
	v_add_f32_e32 v94, v94, v184
	v_fmac_f32_e32 v169, v130, v166
	v_add_f32_e32 v95, v95, v96
	v_add_f32_e32 v94, v94, v169
	s_waitcnt vmcnt(1)
	v_sub_f32_e32 v95, v167, v95
	s_waitcnt vmcnt(0)
	v_sub_f32_e32 v94, v168, v94
	buffer_store_dword v95, off, s[0:3], 0 offset:216
	buffer_store_dword v94, off, s[0:3], 0 offset:220
	s_and_saveexec_b64 s[4:5], vcc
	s_cbranch_execz .LBB109_237
; %bb.236:
	buffer_load_dword v94, off, s[0:3], 0 offset:208
	buffer_load_dword v95, off, s[0:3], 0 offset:212
	v_mov_b32_e32 v96, 0
	buffer_store_dword v96, off, s[0:3], 0 offset:208
	buffer_store_dword v96, off, s[0:3], 0 offset:212
	s_waitcnt vmcnt(2)
	ds_write_b64 v93, v[94:95]
.LBB109_237:
	s_or_b64 exec, exec, s[4:5]
	s_waitcnt lgkmcnt(0)
	; wave barrier
	buffer_load_dword v133, off, s[0:3], 0 offset:220
	buffer_load_dword v134, off, s[0:3], 0 offset:228
	;; [unrolled: 1-line block ×40, first 2 shown]
	v_mov_b32_e32 v94, 0
	ds_read2_b64 v[95:98], v94 offset0:73 offset1:74
	ds_read2_b64 v[99:102], v94 offset0:75 offset1:76
	;; [unrolled: 1-line block ×9, first 2 shown]
	v_cmp_lt_u32_e32 vcc, 25, v0
	s_waitcnt vmcnt(39) lgkmcnt(8)
	v_mul_f32_e32 v131, v95, v133
	s_waitcnt vmcnt(38)
	v_mul_f32_e32 v132, v97, v134
	s_waitcnt vmcnt(37) lgkmcnt(7)
	v_mul_f32_e32 v173, v99, v135
	s_waitcnt vmcnt(36)
	v_mul_f32_e32 v174, v101, v136
	;; [unrolled: 4-line block ×7, first 2 shown]
	s_waitcnt vmcnt(25) lgkmcnt(1)
	v_mul_f32_e32 v185, v123, v147
	s_waitcnt vmcnt(24)
	v_fmac_f32_e32 v131, v96, v148
	v_mul_f32_e32 v96, v96, v133
	v_fma_f32 v95, v95, v148, -v96
	v_mul_f32_e32 v96, v98, v134
	v_add_f32_e32 v95, 0, v95
	s_waitcnt vmcnt(23)
	v_fma_f32 v96, v97, v149, -v96
	v_add_f32_e32 v95, v95, v96
	v_mul_f32_e32 v96, v100, v135
	s_waitcnt vmcnt(22)
	v_fma_f32 v96, v99, v150, -v96
	v_add_f32_e32 v95, v95, v96
	v_mul_f32_e32 v96, v102, v136
	;; [unrolled: 4-line block ×6, first 2 shown]
	s_waitcnt vmcnt(17)
	v_fma_f32 v96, v109, v155, -v96
	v_fmac_f32_e32 v132, v98, v149
	v_add_f32_e32 v131, 0, v131
	v_add_f32_e32 v95, v95, v96
	v_mul_f32_e32 v96, v112, v141
	v_fmac_f32_e32 v173, v100, v150
	v_add_f32_e32 v131, v131, v132
	s_waitcnt vmcnt(16)
	v_fma_f32 v96, v111, v156, -v96
	v_fmac_f32_e32 v174, v102, v151
	v_add_f32_e32 v131, v131, v173
	v_add_f32_e32 v95, v95, v96
	v_mul_f32_e32 v96, v114, v142
	v_fmac_f32_e32 v175, v104, v152
	v_add_f32_e32 v131, v131, v174
	;; [unrolled: 8-line block ×6, first 2 shown]
	s_waitcnt vmcnt(11)
	v_fma_f32 v96, v121, v161, -v96
	v_fmac_f32_e32 v184, v122, v161
	v_add_f32_e32 v131, v131, v183
	v_add_f32_e32 v95, v95, v96
	v_mul_f32_e32 v96, v124, v147
	s_waitcnt vmcnt(10)
	v_fmac_f32_e32 v185, v124, v162
	v_add_f32_e32 v131, v131, v184
	s_waitcnt vmcnt(9)
	v_mul_f32_e32 v132, v125, v163
	v_fma_f32 v96, v123, v162, -v96
	v_add_f32_e32 v131, v131, v185
	s_waitcnt vmcnt(8)
	v_fmac_f32_e32 v132, v126, v164
	v_add_f32_e32 v95, v95, v96
	v_mul_f32_e32 v96, v126, v163
	v_add_f32_e32 v173, v131, v132
	ds_read_b64 v[131:132], v94 offset:728
	v_fma_f32 v96, v125, v164, -v96
	v_add_f32_e32 v95, v95, v96
	s_waitcnt vmcnt(7) lgkmcnt(1)
	v_mul_f32_e32 v96, v128, v165
	v_mul_f32_e32 v174, v127, v165
	s_waitcnt vmcnt(6)
	v_fma_f32 v96, v127, v166, -v96
	v_fmac_f32_e32 v174, v128, v166
	v_add_f32_e32 v95, v95, v96
	s_waitcnt vmcnt(5)
	v_mul_f32_e32 v96, v130, v167
	v_add_f32_e32 v173, v173, v174
	v_mul_f32_e32 v174, v129, v167
	s_waitcnt vmcnt(4)
	v_fma_f32 v96, v129, v168, -v96
	v_fmac_f32_e32 v174, v130, v168
	v_add_f32_e32 v95, v95, v96
	s_waitcnt vmcnt(3) lgkmcnt(0)
	v_mul_f32_e32 v96, v132, v169
	v_add_f32_e32 v173, v173, v174
	v_mul_f32_e32 v174, v131, v169
	s_waitcnt vmcnt(2)
	v_fma_f32 v96, v131, v170, -v96
	v_fmac_f32_e32 v174, v132, v170
	v_add_f32_e32 v95, v95, v96
	v_add_f32_e32 v173, v173, v174
	s_waitcnt vmcnt(1)
	v_sub_f32_e32 v95, v171, v95
	s_waitcnt vmcnt(0)
	v_sub_f32_e32 v96, v172, v173
	buffer_store_dword v95, off, s[0:3], 0 offset:208
	buffer_store_dword v96, off, s[0:3], 0 offset:212
	s_and_saveexec_b64 s[4:5], vcc
	s_cbranch_execz .LBB109_239
; %bb.238:
	buffer_load_dword v95, off, s[0:3], 0 offset:200
	buffer_load_dword v96, off, s[0:3], 0 offset:204
	s_waitcnt vmcnt(0)
	ds_write_b64 v93, v[95:96]
	buffer_store_dword v94, off, s[0:3], 0 offset:200
	buffer_store_dword v94, off, s[0:3], 0 offset:204
.LBB109_239:
	s_or_b64 exec, exec, s[4:5]
	s_waitcnt lgkmcnt(0)
	; wave barrier
	buffer_load_dword v135, off, s[0:3], 0 offset:212
	buffer_load_dword v136, off, s[0:3], 0 offset:220
	;; [unrolled: 1-line block ×42, first 2 shown]
	ds_read_b128 v[95:98], v94 offset:576
	ds_read_b128 v[99:102], v94 offset:592
	;; [unrolled: 1-line block ×8, first 2 shown]
	v_cmp_lt_u32_e32 vcc, 24, v0
	s_waitcnt vmcnt(41) lgkmcnt(7)
	v_mul_f32_e32 v127, v95, v135
	s_waitcnt vmcnt(40)
	v_mul_f32_e32 v128, v97, v136
	s_waitcnt vmcnt(39) lgkmcnt(6)
	v_mul_f32_e32 v129, v99, v137
	s_waitcnt vmcnt(38)
	v_mul_f32_e32 v130, v101, v138
	;; [unrolled: 4-line block ×7, first 2 shown]
	s_waitcnt vmcnt(27) lgkmcnt(0)
	v_mul_f32_e32 v183, v123, v149
	s_waitcnt vmcnt(26)
	v_fmac_f32_e32 v127, v96, v150
	v_mul_f32_e32 v96, v96, v135
	v_fma_f32 v95, v95, v150, -v96
	v_mul_f32_e32 v96, v98, v136
	v_add_f32_e32 v95, 0, v95
	s_waitcnt vmcnt(25)
	v_fma_f32 v96, v97, v151, -v96
	v_add_f32_e32 v95, v95, v96
	v_mul_f32_e32 v96, v100, v137
	s_waitcnt vmcnt(24)
	v_fma_f32 v96, v99, v152, -v96
	v_add_f32_e32 v95, v95, v96
	v_mul_f32_e32 v96, v102, v138
	;; [unrolled: 4-line block ×5, first 2 shown]
	v_fmac_f32_e32 v128, v98, v151
	v_add_f32_e32 v127, 0, v127
	s_waitcnt vmcnt(20)
	v_fma_f32 v96, v107, v156, -v96
	v_fmac_f32_e32 v129, v100, v152
	v_add_f32_e32 v127, v127, v128
	v_add_f32_e32 v95, v95, v96
	v_mul_f32_e32 v96, v110, v142
	v_fmac_f32_e32 v130, v102, v153
	v_add_f32_e32 v127, v127, v129
	s_waitcnt vmcnt(19)
	v_fma_f32 v96, v109, v157, -v96
	v_fmac_f32_e32 v131, v104, v154
	v_add_f32_e32 v127, v127, v130
	v_add_f32_e32 v95, v95, v96
	v_mul_f32_e32 v96, v112, v143
	;; [unrolled: 8-line block ×5, first 2 shown]
	s_waitcnt vmcnt(15)
	v_fmac_f32_e32 v180, v118, v161
	v_add_f32_e32 v127, v127, v179
	v_fma_f32 v96, v117, v161, -v96
	s_waitcnt vmcnt(14)
	v_fmac_f32_e32 v181, v120, v162
	v_add_f32_e32 v127, v127, v180
	v_add_f32_e32 v95, v95, v96
	v_mul_f32_e32 v96, v120, v147
	s_waitcnt vmcnt(13)
	v_fmac_f32_e32 v182, v122, v163
	v_add_f32_e32 v127, v127, v181
	v_fma_f32 v96, v119, v162, -v96
	s_waitcnt vmcnt(12)
	v_fmac_f32_e32 v183, v124, v164
	v_add_f32_e32 v127, v127, v182
	v_add_f32_e32 v95, v95, v96
	v_mul_f32_e32 v96, v122, v148
	v_add_f32_e32 v131, v127, v183
	ds_read_b128 v[127:130], v94 offset:704
	v_fma_f32 v96, v121, v163, -v96
	v_add_f32_e32 v95, v95, v96
	v_mul_f32_e32 v96, v124, v149
	s_waitcnt vmcnt(11)
	v_mul_f32_e32 v132, v125, v165
	v_fma_f32 v96, v123, v164, -v96
	s_waitcnt vmcnt(10)
	v_fmac_f32_e32 v132, v126, v166
	v_add_f32_e32 v95, v95, v96
	v_mul_f32_e32 v96, v126, v165
	v_add_f32_e32 v177, v131, v132
	ds_read_b128 v[131:134], v94 offset:720
	v_fma_f32 v96, v125, v166, -v96
	v_add_f32_e32 v95, v95, v96
	s_waitcnt vmcnt(9) lgkmcnt(1)
	v_mul_f32_e32 v96, v128, v167
	v_mul_f32_e32 v94, v127, v167
	s_waitcnt vmcnt(8)
	v_fma_f32 v96, v127, v168, -v96
	v_fmac_f32_e32 v94, v128, v168
	v_add_f32_e32 v95, v95, v96
	s_waitcnt vmcnt(7)
	v_mul_f32_e32 v96, v130, v169
	v_add_f32_e32 v94, v177, v94
	v_mul_f32_e32 v177, v129, v169
	s_waitcnt vmcnt(6)
	v_fma_f32 v96, v129, v170, -v96
	v_fmac_f32_e32 v177, v130, v170
	v_add_f32_e32 v95, v95, v96
	s_waitcnt vmcnt(5) lgkmcnt(0)
	v_mul_f32_e32 v96, v132, v171
	v_add_f32_e32 v94, v94, v177
	v_mul_f32_e32 v177, v131, v171
	s_waitcnt vmcnt(4)
	v_fma_f32 v96, v131, v172, -v96
	v_fmac_f32_e32 v177, v132, v172
	v_add_f32_e32 v95, v95, v96
	s_waitcnt vmcnt(3)
	v_mul_f32_e32 v96, v134, v173
	v_add_f32_e32 v94, v94, v177
	v_mul_f32_e32 v177, v133, v173
	s_waitcnt vmcnt(2)
	v_fma_f32 v96, v133, v174, -v96
	v_fmac_f32_e32 v177, v134, v174
	v_add_f32_e32 v95, v95, v96
	v_add_f32_e32 v94, v94, v177
	s_waitcnt vmcnt(1)
	v_sub_f32_e32 v95, v175, v95
	s_waitcnt vmcnt(0)
	v_sub_f32_e32 v94, v176, v94
	buffer_store_dword v95, off, s[0:3], 0 offset:200
	buffer_store_dword v94, off, s[0:3], 0 offset:204
	s_and_saveexec_b64 s[4:5], vcc
	s_cbranch_execz .LBB109_241
; %bb.240:
	buffer_load_dword v94, off, s[0:3], 0 offset:192
	buffer_load_dword v95, off, s[0:3], 0 offset:196
	v_mov_b32_e32 v96, 0
	buffer_store_dword v96, off, s[0:3], 0 offset:192
	buffer_store_dword v96, off, s[0:3], 0 offset:196
	s_waitcnt vmcnt(2)
	ds_write_b64 v93, v[94:95]
.LBB109_241:
	s_or_b64 exec, exec, s[4:5]
	s_waitcnt lgkmcnt(0)
	; wave barrier
	buffer_load_dword v137, off, s[0:3], 0 offset:204
	buffer_load_dword v138, off, s[0:3], 0 offset:212
	buffer_load_dword v139, off, s[0:3], 0 offset:220
	buffer_load_dword v140, off, s[0:3], 0 offset:228
	buffer_load_dword v141, off, s[0:3], 0 offset:236
	buffer_load_dword v142, off, s[0:3], 0 offset:244
	buffer_load_dword v143, off, s[0:3], 0 offset:252
	buffer_load_dword v144, off, s[0:3], 0 offset:260
	buffer_load_dword v145, off, s[0:3], 0 offset:268
	buffer_load_dword v146, off, s[0:3], 0 offset:276
	buffer_load_dword v147, off, s[0:3], 0 offset:284
	buffer_load_dword v148, off, s[0:3], 0 offset:292
	buffer_load_dword v149, off, s[0:3], 0 offset:300
	buffer_load_dword v150, off, s[0:3], 0 offset:308
	buffer_load_dword v151, off, s[0:3], 0 offset:200
	buffer_load_dword v152, off, s[0:3], 0 offset:208
	buffer_load_dword v153, off, s[0:3], 0 offset:216
	buffer_load_dword v154, off, s[0:3], 0 offset:224
	buffer_load_dword v155, off, s[0:3], 0 offset:232
	buffer_load_dword v156, off, s[0:3], 0 offset:240
	buffer_load_dword v157, off, s[0:3], 0 offset:248
	buffer_load_dword v158, off, s[0:3], 0 offset:256
	buffer_load_dword v159, off, s[0:3], 0 offset:264
	buffer_load_dword v160, off, s[0:3], 0 offset:272
	buffer_load_dword v161, off, s[0:3], 0 offset:280
	buffer_load_dword v162, off, s[0:3], 0 offset:288
	buffer_load_dword v163, off, s[0:3], 0 offset:296
	buffer_load_dword v164, off, s[0:3], 0 offset:304
	buffer_load_dword v165, off, s[0:3], 0 offset:316
	buffer_load_dword v166, off, s[0:3], 0 offset:312
	buffer_load_dword v167, off, s[0:3], 0 offset:324
	buffer_load_dword v168, off, s[0:3], 0 offset:320
	buffer_load_dword v169, off, s[0:3], 0 offset:332
	buffer_load_dword v170, off, s[0:3], 0 offset:328
	buffer_load_dword v171, off, s[0:3], 0 offset:340
	buffer_load_dword v172, off, s[0:3], 0 offset:336
	buffer_load_dword v173, off, s[0:3], 0 offset:348
	buffer_load_dword v174, off, s[0:3], 0 offset:344
	buffer_load_dword v175, off, s[0:3], 0 offset:356
	buffer_load_dword v176, off, s[0:3], 0 offset:352
	buffer_load_dword v177, off, s[0:3], 0 offset:364
	buffer_load_dword v178, off, s[0:3], 0 offset:360
	buffer_load_dword v179, off, s[0:3], 0 offset:192
	buffer_load_dword v180, off, s[0:3], 0 offset:196
	v_mov_b32_e32 v94, 0
	ds_read2_b64 v[95:98], v94 offset0:71 offset1:72
	ds_read2_b64 v[99:102], v94 offset0:73 offset1:74
	ds_read2_b64 v[103:106], v94 offset0:75 offset1:76
	ds_read2_b64 v[107:110], v94 offset0:77 offset1:78
	ds_read2_b64 v[111:114], v94 offset0:79 offset1:80
	ds_read2_b64 v[115:118], v94 offset0:81 offset1:82
	ds_read2_b64 v[119:122], v94 offset0:83 offset1:84
	ds_read2_b64 v[123:126], v94 offset0:85 offset1:86
	v_cmp_lt_u32_e32 vcc, 23, v0
	s_waitcnt vmcnt(43) lgkmcnt(7)
	v_mul_f32_e32 v127, v95, v137
	s_waitcnt vmcnt(42)
	v_mul_f32_e32 v128, v97, v138
	s_waitcnt vmcnt(41) lgkmcnt(6)
	v_mul_f32_e32 v129, v99, v139
	s_waitcnt vmcnt(40)
	v_mul_f32_e32 v130, v101, v140
	;; [unrolled: 4-line block ×7, first 2 shown]
	s_waitcnt vmcnt(29)
	v_fmac_f32_e32 v127, v96, v151
	v_mul_f32_e32 v96, v96, v137
	v_fma_f32 v95, v95, v151, -v96
	v_mul_f32_e32 v96, v98, v138
	v_add_f32_e32 v95, 0, v95
	s_waitcnt vmcnt(28)
	v_fma_f32 v96, v97, v152, -v96
	v_add_f32_e32 v95, v95, v96
	v_mul_f32_e32 v96, v100, v139
	s_waitcnt vmcnt(27)
	v_fma_f32 v96, v99, v153, -v96
	v_add_f32_e32 v95, v95, v96
	v_mul_f32_e32 v96, v102, v140
	;; [unrolled: 4-line block ×4, first 2 shown]
	s_waitcnt vmcnt(24)
	v_fma_f32 v96, v105, v156, -v96
	v_fmac_f32_e32 v128, v98, v152
	v_add_f32_e32 v127, 0, v127
	v_add_f32_e32 v95, v95, v96
	v_mul_f32_e32 v96, v108, v143
	v_fmac_f32_e32 v129, v100, v153
	v_add_f32_e32 v127, v127, v128
	s_waitcnt vmcnt(23)
	v_fma_f32 v96, v107, v157, -v96
	v_fmac_f32_e32 v130, v102, v154
	v_add_f32_e32 v127, v127, v129
	v_add_f32_e32 v95, v95, v96
	v_mul_f32_e32 v96, v110, v144
	v_fmac_f32_e32 v131, v104, v155
	v_add_f32_e32 v127, v127, v130
	;; [unrolled: 8-line block ×4, first 2 shown]
	s_waitcnt vmcnt(20)
	v_fma_f32 v96, v113, v160, -v96
	v_fmac_f32_e32 v136, v114, v160
	v_add_f32_e32 v127, v127, v135
	v_add_f32_e32 v95, v95, v96
	v_mul_f32_e32 v96, v116, v147
	s_waitcnt vmcnt(19)
	v_fmac_f32_e32 v181, v116, v161
	v_add_f32_e32 v127, v127, v136
	v_fma_f32 v96, v115, v161, -v96
	s_waitcnt vmcnt(18)
	v_fmac_f32_e32 v182, v118, v162
	v_add_f32_e32 v127, v127, v181
	v_add_f32_e32 v95, v95, v96
	v_mul_f32_e32 v96, v118, v148
	s_waitcnt vmcnt(17)
	v_fmac_f32_e32 v183, v120, v163
	v_add_f32_e32 v127, v127, v182
	v_fma_f32 v96, v117, v162, -v96
	v_add_f32_e32 v127, v127, v183
	s_waitcnt vmcnt(16)
	v_fmac_f32_e32 v184, v122, v164
	s_waitcnt vmcnt(15) lgkmcnt(0)
	v_mul_f32_e32 v128, v123, v165
	v_add_f32_e32 v95, v95, v96
	v_mul_f32_e32 v96, v120, v149
	v_add_f32_e32 v127, v127, v184
	s_waitcnt vmcnt(14)
	v_fmac_f32_e32 v128, v124, v166
	v_fma_f32 v96, v119, v163, -v96
	v_add_f32_e32 v131, v127, v128
	ds_read2_b64 v[127:130], v94 offset0:87 offset1:88
	v_add_f32_e32 v95, v95, v96
	v_mul_f32_e32 v96, v122, v150
	v_fma_f32 v96, v121, v164, -v96
	v_add_f32_e32 v95, v95, v96
	v_mul_f32_e32 v96, v124, v165
	s_waitcnt vmcnt(13)
	v_mul_f32_e32 v132, v125, v167
	v_fma_f32 v96, v123, v166, -v96
	s_waitcnt vmcnt(12)
	v_fmac_f32_e32 v132, v126, v168
	v_add_f32_e32 v95, v95, v96
	v_mul_f32_e32 v96, v126, v167
	v_add_f32_e32 v135, v131, v132
	ds_read2_b64 v[131:134], v94 offset0:89 offset1:90
	s_waitcnt vmcnt(11) lgkmcnt(1)
	v_mul_f32_e32 v136, v127, v169
	v_fma_f32 v96, v125, v168, -v96
	s_waitcnt vmcnt(10)
	v_fmac_f32_e32 v136, v128, v170
	v_add_f32_e32 v95, v95, v96
	v_mul_f32_e32 v96, v128, v169
	v_add_f32_e32 v135, v135, v136
	s_waitcnt vmcnt(9)
	v_mul_f32_e32 v136, v129, v171
	v_fma_f32 v96, v127, v170, -v96
	s_waitcnt vmcnt(8)
	v_fmac_f32_e32 v136, v130, v172
	v_add_f32_e32 v95, v95, v96
	v_mul_f32_e32 v96, v130, v171
	v_add_f32_e32 v181, v135, v136
	ds_read_b64 v[135:136], v94 offset:728
	v_fma_f32 v96, v129, v172, -v96
	v_add_f32_e32 v95, v95, v96
	s_waitcnt vmcnt(7) lgkmcnt(1)
	v_mul_f32_e32 v96, v132, v173
	v_mul_f32_e32 v182, v131, v173
	s_waitcnt vmcnt(6)
	v_fma_f32 v96, v131, v174, -v96
	v_fmac_f32_e32 v182, v132, v174
	v_add_f32_e32 v95, v95, v96
	s_waitcnt vmcnt(5)
	v_mul_f32_e32 v96, v134, v175
	v_add_f32_e32 v181, v181, v182
	v_mul_f32_e32 v182, v133, v175
	s_waitcnt vmcnt(4)
	v_fma_f32 v96, v133, v176, -v96
	v_fmac_f32_e32 v182, v134, v176
	v_add_f32_e32 v95, v95, v96
	s_waitcnt vmcnt(3) lgkmcnt(0)
	v_mul_f32_e32 v96, v136, v177
	v_add_f32_e32 v181, v181, v182
	v_mul_f32_e32 v182, v135, v177
	s_waitcnt vmcnt(2)
	v_fma_f32 v96, v135, v178, -v96
	v_fmac_f32_e32 v182, v136, v178
	v_add_f32_e32 v95, v95, v96
	v_add_f32_e32 v181, v181, v182
	s_waitcnt vmcnt(1)
	v_sub_f32_e32 v95, v179, v95
	s_waitcnt vmcnt(0)
	v_sub_f32_e32 v96, v180, v181
	buffer_store_dword v95, off, s[0:3], 0 offset:192
	buffer_store_dword v96, off, s[0:3], 0 offset:196
	s_and_saveexec_b64 s[4:5], vcc
	s_cbranch_execz .LBB109_243
; %bb.242:
	buffer_load_dword v95, off, s[0:3], 0 offset:184
	buffer_load_dword v96, off, s[0:3], 0 offset:188
	s_waitcnt vmcnt(0)
	ds_write_b64 v93, v[95:96]
	buffer_store_dword v94, off, s[0:3], 0 offset:184
	buffer_store_dword v94, off, s[0:3], 0 offset:188
.LBB109_243:
	s_or_b64 exec, exec, s[4:5]
	s_waitcnt lgkmcnt(0)
	; wave barrier
	buffer_load_dword v139, off, s[0:3], 0 offset:196
	buffer_load_dword v140, off, s[0:3], 0 offset:204
	;; [unrolled: 1-line block ×46, first 2 shown]
	ds_read_b128 v[95:98], v94 offset:560
	ds_read_b128 v[99:102], v94 offset:576
	;; [unrolled: 1-line block ×8, first 2 shown]
	v_cmp_lt_u32_e32 vcc, 22, v0
	s_waitcnt vmcnt(45) lgkmcnt(7)
	v_mul_f32_e32 v127, v95, v139
	s_waitcnt vmcnt(44)
	v_mul_f32_e32 v128, v97, v140
	s_waitcnt vmcnt(43) lgkmcnt(6)
	v_mul_f32_e32 v129, v99, v141
	s_waitcnt vmcnt(42)
	v_mul_f32_e32 v130, v101, v142
	;; [unrolled: 4-line block ×6, first 2 shown]
	s_waitcnt vmcnt(33) lgkmcnt(1)
	v_mul_f32_e32 v185, v119, v151
	s_waitcnt vmcnt(32)
	v_fmac_f32_e32 v127, v96, v152
	v_mul_f32_e32 v96, v96, v139
	v_fma_f32 v95, v95, v152, -v96
	v_mul_f32_e32 v96, v98, v140
	v_add_f32_e32 v95, 0, v95
	s_waitcnt vmcnt(31)
	v_fma_f32 v96, v97, v153, -v96
	v_add_f32_e32 v95, v95, v96
	v_mul_f32_e32 v96, v100, v141
	s_waitcnt vmcnt(30)
	v_fma_f32 v96, v99, v154, -v96
	v_add_f32_e32 v95, v95, v96
	v_mul_f32_e32 v96, v102, v142
	;; [unrolled: 4-line block ×4, first 2 shown]
	v_fmac_f32_e32 v128, v98, v153
	v_add_f32_e32 v127, 0, v127
	s_waitcnt vmcnt(27)
	v_fma_f32 v96, v105, v157, -v96
	v_fmac_f32_e32 v129, v100, v154
	v_add_f32_e32 v127, v127, v128
	v_add_f32_e32 v95, v95, v96
	v_mul_f32_e32 v96, v108, v145
	v_fmac_f32_e32 v130, v102, v155
	v_add_f32_e32 v127, v127, v129
	s_waitcnt vmcnt(26)
	v_fma_f32 v96, v107, v158, -v96
	v_fmac_f32_e32 v131, v104, v156
	v_add_f32_e32 v127, v127, v130
	v_add_f32_e32 v95, v95, v96
	v_mul_f32_e32 v96, v110, v146
	;; [unrolled: 8-line block ×4, first 2 shown]
	s_waitcnt vmcnt(23)
	v_fmac_f32_e32 v136, v114, v161
	v_add_f32_e32 v127, v127, v135
	v_fma_f32 v96, v113, v161, -v96
	s_waitcnt vmcnt(22)
	v_fmac_f32_e32 v137, v116, v162
	v_add_f32_e32 v127, v127, v136
	v_add_f32_e32 v95, v95, v96
	v_mul_f32_e32 v96, v116, v149
	s_waitcnt vmcnt(21)
	v_fmac_f32_e32 v138, v118, v163
	v_add_f32_e32 v127, v127, v137
	v_fma_f32 v96, v115, v162, -v96
	s_waitcnt vmcnt(20)
	v_fmac_f32_e32 v185, v120, v164
	v_add_f32_e32 v127, v127, v138
	s_waitcnt vmcnt(19)
	v_mul_f32_e32 v128, v121, v165
	v_add_f32_e32 v95, v95, v96
	v_mul_f32_e32 v96, v118, v150
	v_add_f32_e32 v127, v127, v185
	s_waitcnt vmcnt(18)
	v_fmac_f32_e32 v128, v122, v166
	v_fma_f32 v96, v117, v163, -v96
	v_add_f32_e32 v127, v127, v128
	s_waitcnt vmcnt(17) lgkmcnt(0)
	v_mul_f32_e32 v128, v123, v167
	v_add_f32_e32 v95, v95, v96
	v_mul_f32_e32 v96, v120, v151
	s_waitcnt vmcnt(16)
	v_fmac_f32_e32 v128, v124, v168
	v_fma_f32 v96, v119, v164, -v96
	v_add_f32_e32 v131, v127, v128
	ds_read_b128 v[127:130], v94 offset:688
	v_add_f32_e32 v95, v95, v96
	v_mul_f32_e32 v96, v122, v165
	v_fma_f32 v96, v121, v166, -v96
	v_add_f32_e32 v95, v95, v96
	v_mul_f32_e32 v96, v124, v167
	s_waitcnt vmcnt(15)
	v_mul_f32_e32 v132, v125, v169
	v_fma_f32 v96, v123, v168, -v96
	s_waitcnt vmcnt(14)
	v_fmac_f32_e32 v132, v126, v170
	v_add_f32_e32 v95, v95, v96
	v_mul_f32_e32 v96, v126, v169
	v_add_f32_e32 v135, v131, v132
	ds_read_b128 v[131:134], v94 offset:704
	s_waitcnt vmcnt(13) lgkmcnt(1)
	v_mul_f32_e32 v136, v127, v171
	v_fma_f32 v96, v125, v170, -v96
	s_waitcnt vmcnt(12)
	v_fmac_f32_e32 v136, v128, v172
	v_add_f32_e32 v95, v95, v96
	v_mul_f32_e32 v96, v128, v171
	v_add_f32_e32 v135, v135, v136
	s_waitcnt vmcnt(11)
	v_mul_f32_e32 v136, v129, v173
	v_fma_f32 v96, v127, v172, -v96
	s_waitcnt vmcnt(10)
	v_fmac_f32_e32 v136, v130, v174
	v_add_f32_e32 v95, v95, v96
	v_mul_f32_e32 v96, v130, v173
	v_add_f32_e32 v185, v135, v136
	ds_read_b128 v[135:138], v94 offset:720
	v_fma_f32 v96, v129, v174, -v96
	v_add_f32_e32 v95, v95, v96
	s_waitcnt vmcnt(9) lgkmcnt(1)
	v_mul_f32_e32 v96, v132, v175
	v_mul_f32_e32 v186, v131, v175
	s_waitcnt vmcnt(8)
	v_fma_f32 v96, v131, v176, -v96
	v_fmac_f32_e32 v186, v132, v176
	v_add_f32_e32 v95, v95, v96
	s_waitcnt vmcnt(7)
	v_mul_f32_e32 v96, v134, v177
	v_add_f32_e32 v94, v185, v186
	v_mul_f32_e32 v185, v133, v177
	s_waitcnt vmcnt(6)
	v_fma_f32 v96, v133, v178, -v96
	v_fmac_f32_e32 v185, v134, v178
	v_add_f32_e32 v95, v95, v96
	s_waitcnt vmcnt(5) lgkmcnt(0)
	v_mul_f32_e32 v96, v136, v179
	v_add_f32_e32 v94, v94, v185
	v_mul_f32_e32 v185, v135, v179
	s_waitcnt vmcnt(4)
	v_fma_f32 v96, v135, v180, -v96
	v_fmac_f32_e32 v185, v136, v180
	v_add_f32_e32 v95, v95, v96
	s_waitcnt vmcnt(3)
	v_mul_f32_e32 v96, v138, v181
	v_add_f32_e32 v94, v94, v185
	v_mul_f32_e32 v185, v137, v181
	s_waitcnt vmcnt(2)
	v_fma_f32 v96, v137, v182, -v96
	v_fmac_f32_e32 v185, v138, v182
	v_add_f32_e32 v95, v95, v96
	v_add_f32_e32 v94, v94, v185
	s_waitcnt vmcnt(1)
	v_sub_f32_e32 v95, v183, v95
	s_waitcnt vmcnt(0)
	v_sub_f32_e32 v94, v184, v94
	buffer_store_dword v95, off, s[0:3], 0 offset:184
	buffer_store_dword v94, off, s[0:3], 0 offset:188
	s_and_saveexec_b64 s[4:5], vcc
	s_cbranch_execz .LBB109_245
; %bb.244:
	buffer_load_dword v94, off, s[0:3], 0 offset:176
	buffer_load_dword v95, off, s[0:3], 0 offset:180
	v_mov_b32_e32 v96, 0
	buffer_store_dword v96, off, s[0:3], 0 offset:176
	buffer_store_dword v96, off, s[0:3], 0 offset:180
	s_waitcnt vmcnt(2)
	ds_write_b64 v93, v[94:95]
.LBB109_245:
	s_or_b64 exec, exec, s[4:5]
	s_waitcnt lgkmcnt(0)
	; wave barrier
	buffer_load_dword v141, off, s[0:3], 0 offset:188
	buffer_load_dword v142, off, s[0:3], 0 offset:196
	;; [unrolled: 1-line block ×48, first 2 shown]
	v_mov_b32_e32 v94, 0
	ds_read2_b64 v[95:98], v94 offset0:69 offset1:70
	ds_read2_b64 v[99:102], v94 offset0:71 offset1:72
	;; [unrolled: 1-line block ×7, first 2 shown]
	v_cmp_lt_u32_e32 vcc, 21, v0
	s_waitcnt vmcnt(47) lgkmcnt(6)
	v_mul_f32_e32 v123, v95, v141
	s_waitcnt vmcnt(46)
	v_mul_f32_e32 v124, v97, v142
	s_waitcnt vmcnt(45) lgkmcnt(5)
	v_mul_f32_e32 v125, v99, v143
	s_waitcnt vmcnt(44)
	v_mul_f32_e32 v126, v101, v144
	;; [unrolled: 4-line block ×6, first 2 shown]
	s_waitcnt vmcnt(35)
	v_fmac_f32_e32 v123, v96, v153
	v_mul_f32_e32 v96, v96, v141
	v_fma_f32 v95, v95, v153, -v96
	v_mul_f32_e32 v96, v98, v142
	v_add_f32_e32 v95, 0, v95
	s_waitcnt vmcnt(34)
	v_fma_f32 v96, v97, v154, -v96
	v_add_f32_e32 v95, v95, v96
	v_mul_f32_e32 v96, v100, v143
	s_waitcnt vmcnt(33)
	v_fma_f32 v96, v99, v155, -v96
	v_fmac_f32_e32 v124, v98, v154
	v_add_f32_e32 v123, 0, v123
	v_add_f32_e32 v95, v95, v96
	v_mul_f32_e32 v96, v102, v144
	v_fmac_f32_e32 v125, v100, v155
	v_add_f32_e32 v123, v123, v124
	s_waitcnt vmcnt(32)
	v_fma_f32 v96, v101, v156, -v96
	v_fmac_f32_e32 v126, v102, v156
	v_add_f32_e32 v123, v123, v125
	v_add_f32_e32 v95, v95, v96
	v_mul_f32_e32 v96, v104, v145
	s_waitcnt vmcnt(31)
	v_fmac_f32_e32 v127, v104, v157
	v_add_f32_e32 v123, v123, v126
	v_fma_f32 v96, v103, v157, -v96
	s_waitcnt vmcnt(30)
	v_fmac_f32_e32 v128, v106, v158
	v_add_f32_e32 v123, v123, v127
	v_add_f32_e32 v95, v95, v96
	v_mul_f32_e32 v96, v106, v146
	s_waitcnt vmcnt(29)
	v_fmac_f32_e32 v129, v108, v159
	v_add_f32_e32 v123, v123, v128
	v_fma_f32 v96, v105, v158, -v96
	s_waitcnt vmcnt(28)
	;; [unrolled: 9-line block ×4, first 2 shown]
	v_fmac_f32_e32 v134, v118, v164
	v_add_f32_e32 v123, v123, v133
	v_add_f32_e32 v95, v95, v96
	v_mul_f32_e32 v96, v112, v149
	v_add_f32_e32 v127, v123, v134
	ds_read2_b64 v[123:126], v94 offset0:83 offset1:84
	v_fma_f32 v96, v111, v161, -v96
	s_waitcnt vmcnt(23) lgkmcnt(1)
	v_mul_f32_e32 v128, v119, v165
	v_add_f32_e32 v95, v95, v96
	v_mul_f32_e32 v96, v114, v150
	s_waitcnt vmcnt(22)
	v_fmac_f32_e32 v128, v120, v166
	v_fma_f32 v96, v113, v162, -v96
	v_add_f32_e32 v127, v127, v128
	s_waitcnt vmcnt(21)
	v_mul_f32_e32 v128, v121, v167
	v_add_f32_e32 v95, v95, v96
	v_mul_f32_e32 v96, v116, v151
	s_waitcnt vmcnt(20)
	v_fmac_f32_e32 v128, v122, v168
	v_fma_f32 v96, v115, v163, -v96
	v_add_f32_e32 v127, v127, v128
	s_waitcnt vmcnt(19) lgkmcnt(0)
	v_mul_f32_e32 v128, v123, v169
	v_add_f32_e32 v95, v95, v96
	v_mul_f32_e32 v96, v118, v152
	s_waitcnt vmcnt(18)
	v_fmac_f32_e32 v128, v124, v170
	v_fma_f32 v96, v117, v164, -v96
	v_add_f32_e32 v131, v127, v128
	ds_read2_b64 v[127:130], v94 offset0:85 offset1:86
	v_add_f32_e32 v95, v95, v96
	v_mul_f32_e32 v96, v120, v165
	v_fma_f32 v96, v119, v166, -v96
	s_waitcnt vmcnt(17)
	v_mul_f32_e32 v132, v125, v171
	v_add_f32_e32 v95, v95, v96
	v_mul_f32_e32 v96, v122, v167
	s_waitcnt vmcnt(16)
	v_fmac_f32_e32 v132, v126, v172
	v_fma_f32 v96, v121, v168, -v96
	v_add_f32_e32 v135, v131, v132
	ds_read2_b64 v[131:134], v94 offset0:87 offset1:88
	v_add_f32_e32 v95, v95, v96
	v_mul_f32_e32 v96, v124, v169
	s_waitcnt vmcnt(15) lgkmcnt(1)
	v_mul_f32_e32 v136, v127, v173
	v_fma_f32 v96, v123, v170, -v96
	s_waitcnt vmcnt(14)
	v_fmac_f32_e32 v136, v128, v174
	v_add_f32_e32 v95, v95, v96
	v_mul_f32_e32 v96, v126, v171
	v_add_f32_e32 v135, v135, v136
	s_waitcnt vmcnt(13)
	v_mul_f32_e32 v136, v129, v175
	v_fma_f32 v96, v125, v172, -v96
	s_waitcnt vmcnt(12)
	v_fmac_f32_e32 v136, v130, v176
	v_add_f32_e32 v95, v95, v96
	v_mul_f32_e32 v96, v128, v173
	v_add_f32_e32 v135, v135, v136
	s_waitcnt vmcnt(11) lgkmcnt(0)
	v_mul_f32_e32 v136, v131, v177
	v_fma_f32 v96, v127, v174, -v96
	s_waitcnt vmcnt(10)
	v_fmac_f32_e32 v136, v132, v178
	v_add_f32_e32 v95, v95, v96
	v_mul_f32_e32 v96, v130, v175
	v_add_f32_e32 v139, v135, v136
	ds_read2_b64 v[135:138], v94 offset0:89 offset1:90
	v_fma_f32 v96, v129, v176, -v96
	v_add_f32_e32 v95, v95, v96
	v_mul_f32_e32 v96, v132, v177
	s_waitcnt vmcnt(9)
	v_mul_f32_e32 v140, v133, v179
	v_fma_f32 v96, v131, v178, -v96
	s_waitcnt vmcnt(8)
	v_fmac_f32_e32 v140, v134, v180
	v_add_f32_e32 v95, v95, v96
	v_mul_f32_e32 v96, v134, v179
	v_add_f32_e32 v189, v139, v140
	ds_read_b64 v[139:140], v94 offset:728
	v_fma_f32 v96, v133, v180, -v96
	v_add_f32_e32 v95, v95, v96
	s_waitcnt vmcnt(6) lgkmcnt(1)
	v_mul_f32_e32 v96, v136, v182
	v_mul_f32_e32 v190, v135, v182
	v_fma_f32 v96, v135, v181, -v96
	v_fmac_f32_e32 v190, v136, v181
	v_add_f32_e32 v95, v95, v96
	s_waitcnt vmcnt(3)
	v_mul_f32_e32 v96, v138, v185
	v_add_f32_e32 v189, v189, v190
	v_mul_f32_e32 v190, v137, v185
	s_waitcnt vmcnt(2)
	v_fma_f32 v96, v137, v186, -v96
	v_fmac_f32_e32 v190, v138, v186
	v_add_f32_e32 v95, v95, v96
	s_waitcnt vmcnt(0) lgkmcnt(0)
	v_mul_f32_e32 v96, v140, v188
	v_add_f32_e32 v189, v189, v190
	v_mul_f32_e32 v190, v139, v188
	v_fma_f32 v96, v139, v187, -v96
	v_fmac_f32_e32 v190, v140, v187
	v_add_f32_e32 v95, v95, v96
	v_add_f32_e32 v189, v189, v190
	v_sub_f32_e32 v95, v183, v95
	v_sub_f32_e32 v96, v184, v189
	buffer_store_dword v95, off, s[0:3], 0 offset:176
	buffer_store_dword v96, off, s[0:3], 0 offset:180
	s_and_saveexec_b64 s[4:5], vcc
	s_cbranch_execz .LBB109_247
; %bb.246:
	buffer_load_dword v95, off, s[0:3], 0 offset:168
	buffer_load_dword v96, off, s[0:3], 0 offset:172
	s_waitcnt vmcnt(0)
	ds_write_b64 v93, v[95:96]
	buffer_store_dword v94, off, s[0:3], 0 offset:168
	buffer_store_dword v94, off, s[0:3], 0 offset:172
.LBB109_247:
	s_or_b64 exec, exec, s[4:5]
	s_waitcnt lgkmcnt(0)
	; wave barrier
	buffer_load_dword v143, off, s[0:3], 0 offset:180
	buffer_load_dword v144, off, s[0:3], 0 offset:188
	;; [unrolled: 1-line block ×48, first 2 shown]
	ds_read_b128 v[95:98], v94 offset:544
	ds_read_b128 v[99:102], v94 offset:560
	buffer_load_dword v191, off, s[0:3], 0 offset:360
	buffer_load_dword v192, off, s[0:3], 0 offset:364
	ds_read_b128 v[103:106], v94 offset:576
	ds_read_b128 v[107:110], v94 offset:592
	;; [unrolled: 1-line block ×5, first 2 shown]
	v_cmp_lt_u32_e32 vcc, 20, v0
	s_waitcnt vmcnt(49) lgkmcnt(6)
	v_mul_f32_e32 v123, v95, v143
	s_waitcnt vmcnt(48)
	v_mul_f32_e32 v124, v97, v144
	s_waitcnt vmcnt(47) lgkmcnt(5)
	v_mul_f32_e32 v125, v99, v145
	s_waitcnt vmcnt(46)
	v_mul_f32_e32 v126, v101, v146
	;; [unrolled: 4-line block ×6, first 2 shown]
	s_waitcnt vmcnt(37)
	v_fmac_f32_e32 v123, v96, v155
	v_mul_f32_e32 v96, v96, v143
	v_fma_f32 v95, v95, v155, -v96
	v_mul_f32_e32 v96, v98, v144
	v_add_f32_e32 v95, 0, v95
	s_waitcnt vmcnt(36)
	v_fma_f32 v96, v97, v156, -v96
	v_add_f32_e32 v95, v95, v96
	v_mul_f32_e32 v96, v100, v145
	s_waitcnt vmcnt(35)
	v_fma_f32 v96, v99, v157, -v96
	v_fmac_f32_e32 v124, v98, v156
	v_add_f32_e32 v123, 0, v123
	v_add_f32_e32 v95, v95, v96
	v_mul_f32_e32 v96, v102, v146
	v_fmac_f32_e32 v125, v100, v157
	v_add_f32_e32 v123, v123, v124
	s_waitcnt vmcnt(34)
	v_fma_f32 v96, v101, v158, -v96
	v_fmac_f32_e32 v126, v102, v158
	v_add_f32_e32 v123, v123, v125
	v_add_f32_e32 v95, v95, v96
	v_mul_f32_e32 v96, v104, v147
	s_waitcnt vmcnt(33)
	v_fmac_f32_e32 v127, v104, v159
	v_add_f32_e32 v123, v123, v126
	v_fma_f32 v96, v103, v159, -v96
	s_waitcnt vmcnt(32)
	v_fmac_f32_e32 v128, v106, v160
	v_add_f32_e32 v123, v123, v127
	v_add_f32_e32 v95, v95, v96
	v_mul_f32_e32 v96, v106, v148
	s_waitcnt vmcnt(31)
	v_fmac_f32_e32 v129, v108, v161
	v_add_f32_e32 v123, v123, v128
	v_fma_f32 v96, v105, v160, -v96
	s_waitcnt vmcnt(30)
	;; [unrolled: 9-line block ×3, first 2 shown]
	v_fmac_f32_e32 v132, v114, v164
	v_add_f32_e32 v123, v123, v131
	v_add_f32_e32 v95, v95, v96
	v_mul_f32_e32 v96, v110, v150
	s_waitcnt vmcnt(27)
	v_fmac_f32_e32 v133, v116, v165
	v_add_f32_e32 v123, v123, v132
	v_fma_f32 v96, v109, v162, -v96
	v_add_f32_e32 v123, v123, v133
	s_waitcnt vmcnt(26)
	v_fmac_f32_e32 v134, v118, v166
	v_add_f32_e32 v95, v95, v96
	v_mul_f32_e32 v96, v112, v151
	v_add_f32_e32 v127, v123, v134
	ds_read_b128 v[123:126], v94 offset:656
	v_fma_f32 v96, v111, v163, -v96
	s_waitcnt vmcnt(25) lgkmcnt(1)
	v_mul_f32_e32 v128, v119, v167
	v_add_f32_e32 v95, v95, v96
	v_mul_f32_e32 v96, v114, v152
	s_waitcnt vmcnt(24)
	v_fmac_f32_e32 v128, v120, v168
	v_fma_f32 v96, v113, v164, -v96
	v_add_f32_e32 v127, v127, v128
	s_waitcnt vmcnt(23)
	v_mul_f32_e32 v128, v121, v169
	v_add_f32_e32 v95, v95, v96
	v_mul_f32_e32 v96, v116, v153
	s_waitcnt vmcnt(22)
	v_fmac_f32_e32 v128, v122, v170
	v_fma_f32 v96, v115, v165, -v96
	v_add_f32_e32 v127, v127, v128
	s_waitcnt vmcnt(21) lgkmcnt(0)
	v_mul_f32_e32 v128, v123, v171
	v_add_f32_e32 v95, v95, v96
	v_mul_f32_e32 v96, v118, v154
	s_waitcnt vmcnt(20)
	v_fmac_f32_e32 v128, v124, v172
	v_fma_f32 v96, v117, v166, -v96
	v_add_f32_e32 v131, v127, v128
	ds_read_b128 v[127:130], v94 offset:672
	v_add_f32_e32 v95, v95, v96
	v_mul_f32_e32 v96, v120, v167
	v_fma_f32 v96, v119, v168, -v96
	s_waitcnt vmcnt(19)
	v_mul_f32_e32 v132, v125, v173
	v_add_f32_e32 v95, v95, v96
	v_mul_f32_e32 v96, v122, v169
	s_waitcnt vmcnt(18)
	v_fmac_f32_e32 v132, v126, v174
	v_fma_f32 v96, v121, v170, -v96
	v_add_f32_e32 v135, v131, v132
	ds_read_b128 v[131:134], v94 offset:688
	v_add_f32_e32 v95, v95, v96
	v_mul_f32_e32 v96, v124, v171
	s_waitcnt vmcnt(17) lgkmcnt(1)
	v_mul_f32_e32 v136, v127, v175
	v_fma_f32 v96, v123, v172, -v96
	s_waitcnt vmcnt(16)
	v_fmac_f32_e32 v136, v128, v176
	v_add_f32_e32 v95, v95, v96
	v_mul_f32_e32 v96, v126, v173
	v_add_f32_e32 v135, v135, v136
	s_waitcnt vmcnt(15)
	v_mul_f32_e32 v136, v129, v177
	v_fma_f32 v96, v125, v174, -v96
	s_waitcnt vmcnt(14)
	v_fmac_f32_e32 v136, v130, v178
	v_add_f32_e32 v95, v95, v96
	v_mul_f32_e32 v96, v128, v175
	v_add_f32_e32 v135, v135, v136
	s_waitcnt vmcnt(13) lgkmcnt(0)
	v_mul_f32_e32 v136, v131, v179
	v_fma_f32 v96, v127, v176, -v96
	s_waitcnt vmcnt(12)
	v_fmac_f32_e32 v136, v132, v180
	v_add_f32_e32 v95, v95, v96
	v_mul_f32_e32 v96, v130, v177
	v_add_f32_e32 v139, v135, v136
	ds_read_b128 v[135:138], v94 offset:704
	v_fma_f32 v96, v129, v178, -v96
	v_add_f32_e32 v95, v95, v96
	v_mul_f32_e32 v96, v132, v179
	s_waitcnt vmcnt(11)
	v_mul_f32_e32 v140, v133, v181
	v_fma_f32 v96, v131, v180, -v96
	s_waitcnt vmcnt(10)
	v_fmac_f32_e32 v140, v134, v182
	v_add_f32_e32 v95, v95, v96
	v_mul_f32_e32 v96, v134, v181
	v_add_f32_e32 v193, v139, v140
	ds_read_b128 v[139:142], v94 offset:720
	v_fma_f32 v96, v133, v182, -v96
	v_add_f32_e32 v95, v95, v96
	s_waitcnt vmcnt(7) lgkmcnt(1)
	v_mul_f32_e32 v96, v136, v185
	v_mul_f32_e32 v94, v135, v185
	s_waitcnt vmcnt(6)
	v_fma_f32 v96, v135, v186, -v96
	v_fmac_f32_e32 v94, v136, v186
	v_add_f32_e32 v95, v95, v96
	s_waitcnt vmcnt(4)
	v_mul_f32_e32 v96, v138, v188
	v_add_f32_e32 v94, v193, v94
	v_mul_f32_e32 v193, v137, v188
	v_fma_f32 v96, v137, v187, -v96
	v_fmac_f32_e32 v193, v138, v187
	v_add_f32_e32 v95, v95, v96
	s_waitcnt vmcnt(2) lgkmcnt(0)
	v_mul_f32_e32 v96, v140, v190
	v_add_f32_e32 v94, v94, v193
	v_mul_f32_e32 v193, v139, v190
	v_fma_f32 v96, v139, v189, -v96
	v_fmac_f32_e32 v193, v140, v189
	v_add_f32_e32 v95, v95, v96
	s_waitcnt vmcnt(0)
	v_mul_f32_e32 v96, v142, v192
	v_add_f32_e32 v94, v94, v193
	v_mul_f32_e32 v193, v141, v192
	v_fma_f32 v96, v141, v191, -v96
	v_fmac_f32_e32 v193, v142, v191
	v_add_f32_e32 v95, v95, v96
	v_add_f32_e32 v94, v94, v193
	v_sub_f32_e32 v95, v183, v95
	v_sub_f32_e32 v94, v184, v94
	buffer_store_dword v95, off, s[0:3], 0 offset:168
	buffer_store_dword v94, off, s[0:3], 0 offset:172
	s_and_saveexec_b64 s[4:5], vcc
	s_cbranch_execz .LBB109_249
; %bb.248:
	buffer_load_dword v94, off, s[0:3], 0 offset:160
	buffer_load_dword v95, off, s[0:3], 0 offset:164
	v_mov_b32_e32 v96, 0
	buffer_store_dword v96, off, s[0:3], 0 offset:160
	buffer_store_dword v96, off, s[0:3], 0 offset:164
	s_waitcnt vmcnt(2)
	ds_write_b64 v93, v[94:95]
.LBB109_249:
	s_or_b64 exec, exec, s[4:5]
	s_waitcnt lgkmcnt(0)
	; wave barrier
	buffer_load_dword v145, off, s[0:3], 0 offset:172
	buffer_load_dword v146, off, s[0:3], 0 offset:180
	;; [unrolled: 1-line block ×52, first 2 shown]
	v_mov_b32_e32 v94, 0
	ds_read2_b64 v[95:98], v94 offset0:67 offset1:68
	ds_read2_b64 v[99:102], v94 offset0:69 offset1:70
	;; [unrolled: 1-line block ×6, first 2 shown]
	v_cmp_lt_u32_e32 vcc, 19, v0
	s_waitcnt vmcnt(51) lgkmcnt(5)
	v_mul_f32_e32 v119, v95, v145
	s_waitcnt vmcnt(50)
	v_mul_f32_e32 v120, v97, v146
	s_waitcnt vmcnt(49) lgkmcnt(4)
	v_mul_f32_e32 v121, v99, v147
	s_waitcnt vmcnt(48)
	v_mul_f32_e32 v122, v101, v148
	s_waitcnt vmcnt(47) lgkmcnt(3)
	v_mul_f32_e32 v123, v103, v149
	s_waitcnt vmcnt(46)
	v_mul_f32_e32 v124, v105, v150
	s_waitcnt vmcnt(45) lgkmcnt(2)
	v_mul_f32_e32 v125, v107, v151
	s_waitcnt vmcnt(44)
	v_mul_f32_e32 v126, v109, v152
	s_waitcnt vmcnt(43) lgkmcnt(1)
	v_mul_f32_e32 v127, v111, v153
	s_waitcnt vmcnt(42)
	v_mul_f32_e32 v128, v113, v154
	s_waitcnt vmcnt(41) lgkmcnt(0)
	v_mul_f32_e32 v129, v115, v155
	s_waitcnt vmcnt(40)
	v_fmac_f32_e32 v119, v96, v156
	v_mul_f32_e32 v96, v96, v145
	s_waitcnt vmcnt(39)
	v_fmac_f32_e32 v120, v98, v157
	v_add_f32_e32 v119, 0, v119
	v_fma_f32 v95, v95, v156, -v96
	v_mul_f32_e32 v96, v98, v146
	s_waitcnt vmcnt(38)
	v_fmac_f32_e32 v121, v100, v158
	v_add_f32_e32 v119, v119, v120
	v_add_f32_e32 v95, 0, v95
	v_fma_f32 v96, v97, v157, -v96
	s_waitcnt vmcnt(37)
	v_fmac_f32_e32 v122, v102, v159
	v_add_f32_e32 v119, v119, v121
	v_add_f32_e32 v95, v95, v96
	v_mul_f32_e32 v96, v100, v147
	s_waitcnt vmcnt(36)
	v_fmac_f32_e32 v123, v104, v160
	v_add_f32_e32 v119, v119, v122
	v_fma_f32 v96, v99, v158, -v96
	s_waitcnt vmcnt(35)
	v_fmac_f32_e32 v124, v106, v161
	v_add_f32_e32 v119, v119, v123
	v_add_f32_e32 v95, v95, v96
	v_mul_f32_e32 v96, v102, v148
	s_waitcnt vmcnt(34)
	v_fmac_f32_e32 v125, v108, v162
	;; [unrolled: 9-line block ×3, first 2 shown]
	v_add_f32_e32 v119, v119, v126
	v_fma_f32 v96, v103, v160, -v96
	s_waitcnt vmcnt(31)
	v_fmac_f32_e32 v128, v114, v165
	v_add_f32_e32 v119, v119, v127
	v_add_f32_e32 v95, v95, v96
	v_mul_f32_e32 v96, v106, v150
	v_add_f32_e32 v119, v119, v128
	s_waitcnt vmcnt(30)
	v_fmac_f32_e32 v129, v116, v166
	v_fma_f32 v96, v105, v161, -v96
	v_add_f32_e32 v123, v119, v129
	ds_read2_b64 v[119:122], v94 offset0:79 offset1:80
	v_add_f32_e32 v95, v95, v96
	v_mul_f32_e32 v96, v108, v151
	v_fma_f32 v96, v107, v162, -v96
	s_waitcnt vmcnt(29)
	v_mul_f32_e32 v124, v117, v167
	v_add_f32_e32 v95, v95, v96
	v_mul_f32_e32 v96, v110, v152
	s_waitcnt vmcnt(28)
	v_fmac_f32_e32 v124, v118, v168
	v_fma_f32 v96, v109, v163, -v96
	v_add_f32_e32 v127, v123, v124
	ds_read2_b64 v[123:126], v94 offset0:81 offset1:82
	v_add_f32_e32 v95, v95, v96
	v_mul_f32_e32 v96, v112, v153
	s_waitcnt vmcnt(27) lgkmcnt(1)
	v_mul_f32_e32 v128, v119, v169
	v_fma_f32 v96, v111, v164, -v96
	s_waitcnt vmcnt(26)
	v_fmac_f32_e32 v128, v120, v170
	v_add_f32_e32 v95, v95, v96
	v_mul_f32_e32 v96, v114, v154
	v_add_f32_e32 v127, v127, v128
	s_waitcnt vmcnt(25)
	v_mul_f32_e32 v128, v121, v171
	v_fma_f32 v96, v113, v165, -v96
	s_waitcnt vmcnt(24)
	v_fmac_f32_e32 v128, v122, v172
	v_add_f32_e32 v95, v95, v96
	v_mul_f32_e32 v96, v116, v155
	v_add_f32_e32 v127, v127, v128
	s_waitcnt vmcnt(23) lgkmcnt(0)
	v_mul_f32_e32 v128, v123, v173
	v_fma_f32 v96, v115, v166, -v96
	s_waitcnt vmcnt(22)
	v_fmac_f32_e32 v128, v124, v174
	v_add_f32_e32 v95, v95, v96
	v_mul_f32_e32 v96, v118, v167
	v_add_f32_e32 v131, v127, v128
	ds_read2_b64 v[127:130], v94 offset0:83 offset1:84
	v_fma_f32 v96, v117, v168, -v96
	v_add_f32_e32 v95, v95, v96
	v_mul_f32_e32 v96, v120, v169
	s_waitcnt vmcnt(21)
	v_mul_f32_e32 v132, v125, v175
	v_fma_f32 v96, v119, v170, -v96
	s_waitcnt vmcnt(20)
	v_fmac_f32_e32 v132, v126, v176
	v_add_f32_e32 v95, v95, v96
	v_mul_f32_e32 v96, v122, v171
	v_add_f32_e32 v135, v131, v132
	ds_read2_b64 v[131:134], v94 offset0:85 offset1:86
	v_fma_f32 v96, v121, v172, -v96
	s_waitcnt vmcnt(19) lgkmcnt(1)
	v_mul_f32_e32 v136, v127, v177
	v_add_f32_e32 v95, v95, v96
	v_mul_f32_e32 v96, v124, v173
	s_waitcnt vmcnt(18)
	v_fmac_f32_e32 v136, v128, v178
	v_fma_f32 v96, v123, v174, -v96
	v_add_f32_e32 v135, v135, v136
	s_waitcnt vmcnt(17)
	v_mul_f32_e32 v136, v129, v179
	v_add_f32_e32 v95, v95, v96
	v_mul_f32_e32 v96, v126, v175
	s_waitcnt vmcnt(16)
	v_fmac_f32_e32 v136, v130, v180
	v_fma_f32 v96, v125, v176, -v96
	v_add_f32_e32 v135, v135, v136
	s_waitcnt vmcnt(14) lgkmcnt(0)
	v_mul_f32_e32 v136, v131, v182
	v_add_f32_e32 v95, v95, v96
	v_mul_f32_e32 v96, v128, v177
	v_fmac_f32_e32 v136, v132, v181
	v_fma_f32 v96, v127, v178, -v96
	v_add_f32_e32 v139, v135, v136
	ds_read2_b64 v[135:138], v94 offset0:87 offset1:88
	v_add_f32_e32 v95, v95, v96
	v_mul_f32_e32 v96, v130, v179
	v_fma_f32 v96, v129, v180, -v96
	v_add_f32_e32 v95, v95, v96
	v_mul_f32_e32 v96, v132, v182
	s_waitcnt vmcnt(11)
	v_mul_f32_e32 v140, v133, v185
	v_fma_f32 v96, v131, v181, -v96
	s_waitcnt vmcnt(10)
	v_fmac_f32_e32 v140, v134, v186
	v_add_f32_e32 v95, v95, v96
	v_mul_f32_e32 v96, v134, v185
	v_add_f32_e32 v143, v139, v140
	ds_read2_b64 v[139:142], v94 offset0:89 offset1:90
	s_waitcnt vmcnt(8) lgkmcnt(1)
	v_mul_f32_e32 v144, v135, v188
	v_fma_f32 v96, v133, v186, -v96
	v_fmac_f32_e32 v144, v136, v187
	v_add_f32_e32 v95, v95, v96
	v_mul_f32_e32 v96, v136, v188
	v_add_f32_e32 v143, v143, v144
	s_waitcnt vmcnt(6)
	v_mul_f32_e32 v144, v137, v190
	v_fma_f32 v96, v135, v187, -v96
	v_fmac_f32_e32 v144, v138, v189
	v_add_f32_e32 v95, v95, v96
	v_mul_f32_e32 v96, v138, v190
	v_add_f32_e32 v197, v143, v144
	ds_read_b64 v[143:144], v94 offset:728
	v_fma_f32 v96, v137, v189, -v96
	v_add_f32_e32 v95, v95, v96
	s_waitcnt vmcnt(4) lgkmcnt(1)
	v_mul_f32_e32 v96, v140, v192
	v_mul_f32_e32 v198, v139, v192
	v_fma_f32 v96, v139, v191, -v96
	v_fmac_f32_e32 v198, v140, v191
	v_add_f32_e32 v95, v95, v96
	s_waitcnt vmcnt(2)
	v_mul_f32_e32 v96, v142, v194
	v_add_f32_e32 v197, v197, v198
	v_mul_f32_e32 v198, v141, v194
	v_fma_f32 v96, v141, v193, -v96
	v_fmac_f32_e32 v198, v142, v193
	v_add_f32_e32 v95, v95, v96
	s_waitcnt vmcnt(0) lgkmcnt(0)
	v_mul_f32_e32 v96, v144, v196
	v_add_f32_e32 v197, v197, v198
	v_mul_f32_e32 v198, v143, v196
	v_fma_f32 v96, v143, v195, -v96
	v_fmac_f32_e32 v198, v144, v195
	v_add_f32_e32 v95, v95, v96
	v_add_f32_e32 v197, v197, v198
	v_sub_f32_e32 v95, v183, v95
	v_sub_f32_e32 v96, v184, v197
	buffer_store_dword v95, off, s[0:3], 0 offset:160
	buffer_store_dword v96, off, s[0:3], 0 offset:164
	s_and_saveexec_b64 s[4:5], vcc
	s_cbranch_execz .LBB109_251
; %bb.250:
	buffer_load_dword v95, off, s[0:3], 0 offset:152
	buffer_load_dword v96, off, s[0:3], 0 offset:156
	s_waitcnt vmcnt(0)
	ds_write_b64 v93, v[95:96]
	buffer_store_dword v94, off, s[0:3], 0 offset:152
	buffer_store_dword v94, off, s[0:3], 0 offset:156
.LBB109_251:
	s_or_b64 exec, exec, s[4:5]
	s_waitcnt lgkmcnt(0)
	; wave barrier
	buffer_load_dword v147, off, s[0:3], 0 offset:164
	buffer_load_dword v148, off, s[0:3], 0 offset:172
	;; [unrolled: 1-line block ×42, first 2 shown]
	ds_read_b128 v[95:98], v94 offset:528
	ds_read_b128 v[99:102], v94 offset:544
	;; [unrolled: 1-line block ×4, first 2 shown]
	buffer_load_dword v189, off, s[0:3], 0 offset:324
	buffer_load_dword v190, off, s[0:3], 0 offset:320
	buffer_load_dword v191, off, s[0:3], 0 offset:328
	buffer_load_dword v192, off, s[0:3], 0 offset:332
	buffer_load_dword v193, off, s[0:3], 0 offset:336
	buffer_load_dword v194, off, s[0:3], 0 offset:340
	ds_read_b128 v[111:114], v94 offset:592
	ds_read_b128 v[115:118], v94 offset:608
	buffer_load_dword v195, off, s[0:3], 0 offset:344
	buffer_load_dword v196, off, s[0:3], 0 offset:348
	;; [unrolled: 1-line block ×6, first 2 shown]
	v_cmp_lt_u32_e32 vcc, 18, v0
	s_waitcnt vmcnt(53) lgkmcnt(5)
	v_mul_f32_e32 v119, v95, v147
	s_waitcnt vmcnt(52)
	v_mul_f32_e32 v120, v97, v148
	s_waitcnt vmcnt(51) lgkmcnt(4)
	v_mul_f32_e32 v121, v99, v149
	s_waitcnt vmcnt(50)
	v_mul_f32_e32 v122, v101, v150
	;; [unrolled: 4-line block ×5, first 2 shown]
	s_waitcnt vmcnt(43)
	v_fmac_f32_e32 v119, v96, v157
	v_mul_f32_e32 v96, v96, v147
	s_waitcnt vmcnt(42)
	v_fmac_f32_e32 v120, v98, v158
	v_add_f32_e32 v119, 0, v119
	v_fma_f32 v95, v95, v157, -v96
	v_mul_f32_e32 v96, v98, v148
	s_waitcnt vmcnt(41)
	v_fmac_f32_e32 v121, v100, v159
	v_add_f32_e32 v119, v119, v120
	v_add_f32_e32 v95, 0, v95
	v_fma_f32 v96, v97, v158, -v96
	s_waitcnt vmcnt(40)
	v_fmac_f32_e32 v122, v102, v160
	v_add_f32_e32 v119, v119, v121
	v_add_f32_e32 v95, v95, v96
	v_mul_f32_e32 v96, v100, v149
	s_waitcnt vmcnt(39)
	v_fmac_f32_e32 v123, v104, v161
	v_add_f32_e32 v119, v119, v122
	v_fma_f32 v96, v99, v159, -v96
	s_waitcnt vmcnt(38)
	v_fmac_f32_e32 v124, v106, v162
	v_add_f32_e32 v119, v119, v123
	v_add_f32_e32 v95, v95, v96
	v_mul_f32_e32 v96, v102, v150
	s_waitcnt vmcnt(37)
	v_fmac_f32_e32 v125, v108, v163
	;; [unrolled: 9-line block ×3, first 2 shown]
	v_add_f32_e32 v119, v119, v126
	v_fma_f32 v96, v103, v161, -v96
	s_waitcnt vmcnt(34)
	v_fmac_f32_e32 v128, v114, v166
	v_add_f32_e32 v119, v119, v127
	s_waitcnt vmcnt(33) lgkmcnt(0)
	v_mul_f32_e32 v120, v115, v167
	v_add_f32_e32 v95, v95, v96
	v_mul_f32_e32 v96, v106, v152
	v_add_f32_e32 v119, v119, v128
	s_waitcnt vmcnt(32)
	v_fmac_f32_e32 v120, v116, v168
	v_fma_f32 v96, v105, v162, -v96
	v_add_f32_e32 v123, v119, v120
	ds_read_b128 v[119:122], v94 offset:624
	v_add_f32_e32 v95, v95, v96
	v_mul_f32_e32 v96, v108, v153
	v_fma_f32 v96, v107, v163, -v96
	s_waitcnt vmcnt(31)
	v_mul_f32_e32 v124, v117, v169
	v_add_f32_e32 v95, v95, v96
	v_mul_f32_e32 v96, v110, v154
	s_waitcnt vmcnt(30)
	v_fmac_f32_e32 v124, v118, v170
	v_fma_f32 v96, v109, v164, -v96
	v_add_f32_e32 v127, v123, v124
	ds_read_b128 v[123:126], v94 offset:640
	v_add_f32_e32 v95, v95, v96
	v_mul_f32_e32 v96, v112, v155
	s_waitcnt vmcnt(29) lgkmcnt(1)
	v_mul_f32_e32 v128, v119, v171
	v_fma_f32 v96, v111, v165, -v96
	s_waitcnt vmcnt(28)
	v_fmac_f32_e32 v128, v120, v172
	v_add_f32_e32 v95, v95, v96
	v_mul_f32_e32 v96, v114, v156
	v_add_f32_e32 v127, v127, v128
	s_waitcnt vmcnt(27)
	v_mul_f32_e32 v128, v121, v173
	v_fma_f32 v96, v113, v166, -v96
	s_waitcnt vmcnt(26)
	v_fmac_f32_e32 v128, v122, v174
	v_add_f32_e32 v95, v95, v96
	v_mul_f32_e32 v96, v116, v167
	v_add_f32_e32 v127, v127, v128
	s_waitcnt vmcnt(25) lgkmcnt(0)
	v_mul_f32_e32 v128, v123, v175
	v_fma_f32 v96, v115, v168, -v96
	s_waitcnt vmcnt(24)
	v_fmac_f32_e32 v128, v124, v176
	v_add_f32_e32 v95, v95, v96
	v_mul_f32_e32 v96, v118, v169
	v_add_f32_e32 v131, v127, v128
	ds_read_b128 v[127:130], v94 offset:656
	v_fma_f32 v96, v117, v170, -v96
	v_add_f32_e32 v95, v95, v96
	v_mul_f32_e32 v96, v120, v171
	s_waitcnt vmcnt(23)
	v_mul_f32_e32 v132, v125, v177
	v_fma_f32 v96, v119, v172, -v96
	s_waitcnt vmcnt(22)
	v_fmac_f32_e32 v132, v126, v178
	v_add_f32_e32 v95, v95, v96
	v_mul_f32_e32 v96, v122, v173
	v_add_f32_e32 v135, v131, v132
	ds_read_b128 v[131:134], v94 offset:672
	v_fma_f32 v96, v121, v174, -v96
	s_waitcnt vmcnt(21) lgkmcnt(1)
	v_mul_f32_e32 v136, v127, v179
	v_add_f32_e32 v95, v95, v96
	v_mul_f32_e32 v96, v124, v175
	s_waitcnt vmcnt(20)
	v_fmac_f32_e32 v136, v128, v180
	v_fma_f32 v96, v123, v176, -v96
	v_add_f32_e32 v135, v135, v136
	s_waitcnt vmcnt(18)
	v_mul_f32_e32 v136, v129, v182
	v_add_f32_e32 v95, v95, v96
	v_mul_f32_e32 v96, v126, v177
	v_fmac_f32_e32 v136, v130, v181
	v_fma_f32 v96, v125, v178, -v96
	v_add_f32_e32 v135, v135, v136
	s_waitcnt vmcnt(15) lgkmcnt(0)
	v_mul_f32_e32 v136, v131, v185
	v_add_f32_e32 v95, v95, v96
	v_mul_f32_e32 v96, v128, v179
	s_waitcnt vmcnt(14)
	v_fmac_f32_e32 v136, v132, v186
	v_fma_f32 v96, v127, v180, -v96
	v_add_f32_e32 v139, v135, v136
	ds_read_b128 v[135:138], v94 offset:688
	v_add_f32_e32 v95, v95, v96
	v_mul_f32_e32 v96, v130, v182
	v_fma_f32 v96, v129, v181, -v96
	v_add_f32_e32 v95, v95, v96
	v_mul_f32_e32 v96, v132, v185
	s_waitcnt vmcnt(12)
	v_mul_f32_e32 v140, v133, v188
	v_fma_f32 v96, v131, v186, -v96
	v_fmac_f32_e32 v140, v134, v187
	v_add_f32_e32 v95, v95, v96
	v_mul_f32_e32 v96, v134, v188
	v_add_f32_e32 v143, v139, v140
	ds_read_b128 v[139:142], v94 offset:704
	s_waitcnt vmcnt(11) lgkmcnt(1)
	v_mul_f32_e32 v144, v135, v189
	v_fma_f32 v96, v133, v187, -v96
	s_waitcnt vmcnt(10)
	v_fmac_f32_e32 v144, v136, v190
	v_add_f32_e32 v95, v95, v96
	v_mul_f32_e32 v96, v136, v189
	v_add_f32_e32 v143, v143, v144
	s_waitcnt vmcnt(8)
	v_mul_f32_e32 v144, v137, v192
	v_fma_f32 v96, v135, v190, -v96
	v_fmac_f32_e32 v144, v138, v191
	v_add_f32_e32 v95, v95, v96
	v_mul_f32_e32 v96, v138, v192
	v_add_f32_e32 v201, v143, v144
	ds_read_b128 v[143:146], v94 offset:720
	v_fma_f32 v96, v137, v191, -v96
	v_add_f32_e32 v95, v95, v96
	s_waitcnt vmcnt(6) lgkmcnt(1)
	v_mul_f32_e32 v96, v140, v194
	v_mul_f32_e32 v202, v139, v194
	v_fma_f32 v96, v139, v193, -v96
	v_fmac_f32_e32 v202, v140, v193
	v_add_f32_e32 v95, v95, v96
	s_waitcnt vmcnt(4)
	v_mul_f32_e32 v96, v142, v196
	v_add_f32_e32 v94, v201, v202
	v_mul_f32_e32 v201, v141, v196
	v_fma_f32 v96, v141, v195, -v96
	v_fmac_f32_e32 v201, v142, v195
	v_add_f32_e32 v95, v95, v96
	s_waitcnt vmcnt(2) lgkmcnt(0)
	v_mul_f32_e32 v96, v144, v198
	v_add_f32_e32 v94, v94, v201
	v_mul_f32_e32 v201, v143, v198
	v_fma_f32 v96, v143, v197, -v96
	v_fmac_f32_e32 v201, v144, v197
	v_add_f32_e32 v95, v95, v96
	s_waitcnt vmcnt(0)
	v_mul_f32_e32 v96, v146, v200
	v_add_f32_e32 v94, v94, v201
	v_mul_f32_e32 v201, v145, v200
	v_fma_f32 v96, v145, v199, -v96
	v_fmac_f32_e32 v201, v146, v199
	v_add_f32_e32 v95, v95, v96
	v_add_f32_e32 v94, v94, v201
	v_sub_f32_e32 v95, v183, v95
	v_sub_f32_e32 v94, v184, v94
	buffer_store_dword v95, off, s[0:3], 0 offset:152
	buffer_store_dword v94, off, s[0:3], 0 offset:156
	s_and_saveexec_b64 s[4:5], vcc
	s_cbranch_execz .LBB109_253
; %bb.252:
	buffer_load_dword v94, off, s[0:3], 0 offset:144
	buffer_load_dword v95, off, s[0:3], 0 offset:148
	v_mov_b32_e32 v96, 0
	buffer_store_dword v96, off, s[0:3], 0 offset:144
	buffer_store_dword v96, off, s[0:3], 0 offset:148
	s_waitcnt vmcnt(2)
	ds_write_b64 v93, v[94:95]
.LBB109_253:
	s_or_b64 exec, exec, s[4:5]
	s_waitcnt lgkmcnt(0)
	; wave barrier
	buffer_load_dword v149, off, s[0:3], 0 offset:156
	buffer_load_dword v150, off, s[0:3], 0 offset:164
	;; [unrolled: 1-line block ×56, first 2 shown]
	v_mov_b32_e32 v94, 0
	ds_read2_b64 v[95:98], v94 offset0:65 offset1:66
	ds_read2_b64 v[99:102], v94 offset0:67 offset1:68
	;; [unrolled: 1-line block ×6, first 2 shown]
	v_cmp_lt_u32_e32 vcc, 17, v0
	s_waitcnt vmcnt(55) lgkmcnt(5)
	v_mul_f32_e32 v119, v95, v149
	s_waitcnt vmcnt(54)
	v_mul_f32_e32 v120, v97, v150
	s_waitcnt vmcnt(53) lgkmcnt(4)
	v_mul_f32_e32 v121, v99, v151
	s_waitcnt vmcnt(52)
	v_mul_f32_e32 v122, v101, v152
	;; [unrolled: 4-line block ×4, first 2 shown]
	s_waitcnt vmcnt(47) lgkmcnt(1)
	v_mul_f32_e32 v127, v111, v157
	s_waitcnt vmcnt(46)
	v_fmac_f32_e32 v119, v96, v158
	s_waitcnt vmcnt(45)
	v_fmac_f32_e32 v120, v98, v159
	v_add_f32_e32 v119, 0, v119
	s_waitcnt vmcnt(44)
	v_fmac_f32_e32 v121, v100, v160
	v_add_f32_e32 v119, v119, v120
	;; [unrolled: 3-line block ×3, first 2 shown]
	v_mul_f32_e32 v96, v96, v149
	s_waitcnt vmcnt(42)
	v_fmac_f32_e32 v123, v104, v162
	v_add_f32_e32 v119, v119, v122
	v_fma_f32 v95, v95, v158, -v96
	v_mul_f32_e32 v96, v98, v150
	s_waitcnt vmcnt(41)
	v_fmac_f32_e32 v124, v106, v163
	v_add_f32_e32 v119, v119, v123
	v_add_f32_e32 v95, 0, v95
	v_fma_f32 v96, v97, v159, -v96
	s_waitcnt vmcnt(40)
	v_fmac_f32_e32 v125, v108, v164
	v_add_f32_e32 v119, v119, v124
	v_add_f32_e32 v95, v95, v96
	v_mul_f32_e32 v96, v100, v151
	s_waitcnt vmcnt(39)
	v_fmac_f32_e32 v126, v110, v165
	v_add_f32_e32 v119, v119, v125
	v_fma_f32 v96, v99, v160, -v96
	v_add_f32_e32 v119, v119, v126
	s_waitcnt vmcnt(38)
	v_fmac_f32_e32 v127, v112, v166
	s_waitcnt vmcnt(37)
	v_mul_f32_e32 v120, v113, v167
	v_add_f32_e32 v95, v95, v96
	v_mul_f32_e32 v96, v102, v152
	v_add_f32_e32 v119, v119, v127
	s_waitcnt vmcnt(36)
	v_fmac_f32_e32 v120, v114, v168
	v_fma_f32 v96, v101, v161, -v96
	v_add_f32_e32 v119, v119, v120
	s_waitcnt vmcnt(35) lgkmcnt(0)
	v_mul_f32_e32 v120, v115, v169
	v_add_f32_e32 v95, v95, v96
	v_mul_f32_e32 v96, v104, v153
	s_waitcnt vmcnt(34)
	v_fmac_f32_e32 v120, v116, v170
	v_fma_f32 v96, v103, v162, -v96
	v_add_f32_e32 v123, v119, v120
	ds_read2_b64 v[119:122], v94 offset0:77 offset1:78
	v_add_f32_e32 v95, v95, v96
	v_mul_f32_e32 v96, v106, v154
	v_fma_f32 v96, v105, v163, -v96
	s_waitcnt vmcnt(33)
	v_mul_f32_e32 v124, v117, v171
	v_add_f32_e32 v95, v95, v96
	v_mul_f32_e32 v96, v108, v155
	s_waitcnt vmcnt(32)
	v_fmac_f32_e32 v124, v118, v172
	v_fma_f32 v96, v107, v164, -v96
	v_add_f32_e32 v127, v123, v124
	ds_read2_b64 v[123:126], v94 offset0:79 offset1:80
	v_add_f32_e32 v95, v95, v96
	v_mul_f32_e32 v96, v110, v156
	s_waitcnt vmcnt(31) lgkmcnt(1)
	v_mul_f32_e32 v128, v119, v173
	v_fma_f32 v96, v109, v165, -v96
	s_waitcnt vmcnt(30)
	v_fmac_f32_e32 v128, v120, v174
	v_add_f32_e32 v95, v95, v96
	v_mul_f32_e32 v96, v112, v157
	v_add_f32_e32 v127, v127, v128
	s_waitcnt vmcnt(29)
	v_mul_f32_e32 v128, v121, v175
	v_fma_f32 v96, v111, v166, -v96
	s_waitcnt vmcnt(28)
	v_fmac_f32_e32 v128, v122, v176
	v_add_f32_e32 v95, v95, v96
	v_mul_f32_e32 v96, v114, v167
	v_add_f32_e32 v127, v127, v128
	s_waitcnt vmcnt(27) lgkmcnt(0)
	v_mul_f32_e32 v128, v123, v177
	v_fma_f32 v96, v113, v168, -v96
	s_waitcnt vmcnt(26)
	v_fmac_f32_e32 v128, v124, v178
	v_add_f32_e32 v95, v95, v96
	v_mul_f32_e32 v96, v116, v169
	v_add_f32_e32 v131, v127, v128
	ds_read2_b64 v[127:130], v94 offset0:81 offset1:82
	v_fma_f32 v96, v115, v170, -v96
	v_add_f32_e32 v95, v95, v96
	v_mul_f32_e32 v96, v118, v171
	s_waitcnt vmcnt(24)
	v_mul_f32_e32 v132, v125, v180
	v_fma_f32 v96, v117, v172, -v96
	v_fmac_f32_e32 v132, v126, v179
	v_add_f32_e32 v95, v95, v96
	v_mul_f32_e32 v96, v120, v173
	v_add_f32_e32 v135, v131, v132
	ds_read2_b64 v[131:134], v94 offset0:83 offset1:84
	v_fma_f32 v96, v119, v174, -v96
	s_waitcnt vmcnt(21) lgkmcnt(1)
	v_mul_f32_e32 v136, v127, v183
	v_add_f32_e32 v95, v95, v96
	v_mul_f32_e32 v96, v122, v175
	s_waitcnt vmcnt(20)
	v_fmac_f32_e32 v136, v128, v184
	v_fma_f32 v96, v121, v176, -v96
	v_add_f32_e32 v135, v135, v136
	s_waitcnt vmcnt(18)
	v_mul_f32_e32 v136, v129, v186
	v_add_f32_e32 v95, v95, v96
	v_mul_f32_e32 v96, v124, v177
	v_fmac_f32_e32 v136, v130, v185
	v_fma_f32 v96, v123, v178, -v96
	v_add_f32_e32 v135, v135, v136
	s_waitcnt vmcnt(16) lgkmcnt(0)
	v_mul_f32_e32 v136, v131, v188
	v_add_f32_e32 v95, v95, v96
	v_mul_f32_e32 v96, v126, v180
	v_fmac_f32_e32 v136, v132, v187
	v_fma_f32 v96, v125, v179, -v96
	v_add_f32_e32 v139, v135, v136
	ds_read2_b64 v[135:138], v94 offset0:85 offset1:86
	v_add_f32_e32 v95, v95, v96
	v_mul_f32_e32 v96, v128, v183
	v_fma_f32 v96, v127, v184, -v96
	s_waitcnt vmcnt(14)
	v_mul_f32_e32 v140, v133, v190
	v_add_f32_e32 v95, v95, v96
	v_mul_f32_e32 v96, v130, v186
	v_fmac_f32_e32 v140, v134, v189
	v_fma_f32 v96, v129, v185, -v96
	v_add_f32_e32 v143, v139, v140
	ds_read2_b64 v[139:142], v94 offset0:87 offset1:88
	v_add_f32_e32 v95, v95, v96
	v_mul_f32_e32 v96, v132, v188
	s_waitcnt vmcnt(12) lgkmcnt(1)
	v_mul_f32_e32 v144, v135, v192
	v_fma_f32 v96, v131, v187, -v96
	v_fmac_f32_e32 v144, v136, v191
	v_add_f32_e32 v95, v95, v96
	v_mul_f32_e32 v96, v134, v190
	v_add_f32_e32 v143, v143, v144
	s_waitcnt vmcnt(10)
	v_mul_f32_e32 v144, v137, v194
	v_fma_f32 v96, v133, v189, -v96
	v_fmac_f32_e32 v144, v138, v193
	v_add_f32_e32 v95, v95, v96
	v_mul_f32_e32 v96, v136, v192
	v_add_f32_e32 v143, v143, v144
	s_waitcnt vmcnt(8) lgkmcnt(0)
	v_mul_f32_e32 v144, v139, v196
	v_fma_f32 v96, v135, v191, -v96
	v_fmac_f32_e32 v144, v140, v195
	v_add_f32_e32 v95, v95, v96
	v_mul_f32_e32 v96, v138, v194
	v_add_f32_e32 v147, v143, v144
	ds_read2_b64 v[143:146], v94 offset0:89 offset1:90
	v_fma_f32 v96, v137, v193, -v96
	v_add_f32_e32 v95, v95, v96
	v_mul_f32_e32 v96, v140, v196
	s_waitcnt vmcnt(6)
	v_mul_f32_e32 v148, v141, v198
	v_fma_f32 v96, v139, v195, -v96
	v_fmac_f32_e32 v148, v142, v197
	v_add_f32_e32 v95, v95, v96
	v_mul_f32_e32 v96, v142, v198
	v_add_f32_e32 v205, v147, v148
	ds_read_b64 v[147:148], v94 offset:728
	v_fma_f32 v96, v141, v197, -v96
	v_add_f32_e32 v95, v95, v96
	s_waitcnt vmcnt(4) lgkmcnt(1)
	v_mul_f32_e32 v96, v144, v200
	v_mul_f32_e32 v206, v143, v200
	v_fma_f32 v96, v143, v199, -v96
	v_fmac_f32_e32 v206, v144, v199
	v_add_f32_e32 v95, v95, v96
	s_waitcnt vmcnt(2)
	v_mul_f32_e32 v96, v146, v202
	v_add_f32_e32 v205, v205, v206
	v_mul_f32_e32 v206, v145, v202
	v_fma_f32 v96, v145, v201, -v96
	v_fmac_f32_e32 v206, v146, v201
	v_add_f32_e32 v95, v95, v96
	s_waitcnt vmcnt(0) lgkmcnt(0)
	v_mul_f32_e32 v96, v148, v204
	v_add_f32_e32 v205, v205, v206
	v_mul_f32_e32 v206, v147, v204
	v_fma_f32 v96, v147, v203, -v96
	v_fmac_f32_e32 v206, v148, v203
	v_add_f32_e32 v95, v95, v96
	v_add_f32_e32 v205, v205, v206
	v_sub_f32_e32 v95, v181, v95
	v_sub_f32_e32 v96, v182, v205
	buffer_store_dword v95, off, s[0:3], 0 offset:144
	buffer_store_dword v96, off, s[0:3], 0 offset:148
	s_and_saveexec_b64 s[4:5], vcc
	s_cbranch_execz .LBB109_255
; %bb.254:
	buffer_load_dword v95, off, s[0:3], 0 offset:136
	buffer_load_dword v96, off, s[0:3], 0 offset:140
	s_waitcnt vmcnt(0)
	ds_write_b64 v93, v[95:96]
	buffer_store_dword v94, off, s[0:3], 0 offset:136
	buffer_store_dword v94, off, s[0:3], 0 offset:140
.LBB109_255:
	s_or_b64 exec, exec, s[4:5]
	s_waitcnt lgkmcnt(0)
	; wave barrier
	buffer_load_dword v151, off, s[0:3], 0 offset:148
	buffer_load_dword v152, off, s[0:3], 0 offset:156
	;; [unrolled: 1-line block ×34, first 2 shown]
	ds_read_b128 v[95:98], v94 offset:512
	ds_read_b128 v[99:102], v94 offset:528
	buffer_load_dword v185, off, s[0:3], 0 offset:276
	buffer_load_dword v186, off, s[0:3], 0 offset:272
	;; [unrolled: 1-line block ×6, first 2 shown]
	ds_read_b128 v[103:106], v94 offset:544
	ds_read_b128 v[107:110], v94 offset:560
	;; [unrolled: 1-line block ×4, first 2 shown]
	buffer_load_dword v191, off, s[0:3], 0 offset:300
	buffer_load_dword v192, off, s[0:3], 0 offset:296
	;; [unrolled: 1-line block ×18, first 2 shown]
	v_cmp_lt_u32_e32 vcc, 16, v0
	s_waitcnt vmcnt(57) lgkmcnt(5)
	v_mul_f32_e32 v119, v95, v151
	s_waitcnt vmcnt(56)
	v_mul_f32_e32 v120, v97, v152
	s_waitcnt vmcnt(55) lgkmcnt(4)
	v_mul_f32_e32 v121, v99, v153
	s_waitcnt vmcnt(54)
	v_mul_f32_e32 v122, v101, v154
	s_waitcnt vmcnt(53) lgkmcnt(3)
	v_mul_f32_e32 v123, v103, v155
	s_waitcnt vmcnt(52)
	v_mul_f32_e32 v124, v105, v156
	s_waitcnt vmcnt(51) lgkmcnt(2)
	v_mul_f32_e32 v125, v107, v157
	s_waitcnt vmcnt(50)
	v_mul_f32_e32 v126, v109, v158
	s_waitcnt vmcnt(49)
	v_fmac_f32_e32 v119, v96, v159
	s_waitcnt vmcnt(48)
	v_fmac_f32_e32 v120, v98, v160
	v_add_f32_e32 v119, 0, v119
	s_waitcnt vmcnt(47)
	v_fmac_f32_e32 v121, v100, v161
	v_add_f32_e32 v119, v119, v120
	;; [unrolled: 3-line block ×4, first 2 shown]
	v_mul_f32_e32 v96, v96, v151
	s_waitcnt vmcnt(44)
	v_fmac_f32_e32 v124, v106, v164
	v_add_f32_e32 v119, v119, v123
	v_fma_f32 v95, v95, v159, -v96
	v_mul_f32_e32 v96, v98, v152
	s_waitcnt vmcnt(43)
	v_fmac_f32_e32 v125, v108, v165
	v_add_f32_e32 v119, v119, v124
	v_add_f32_e32 v95, 0, v95
	v_fma_f32 v96, v97, v160, -v96
	s_waitcnt vmcnt(42)
	v_fmac_f32_e32 v126, v110, v166
	v_add_f32_e32 v119, v119, v125
	s_waitcnt vmcnt(41) lgkmcnt(1)
	v_mul_f32_e32 v120, v111, v167
	v_add_f32_e32 v95, v95, v96
	v_mul_f32_e32 v96, v100, v153
	v_add_f32_e32 v119, v119, v126
	s_waitcnt vmcnt(40)
	v_fmac_f32_e32 v120, v112, v168
	v_fma_f32 v96, v99, v161, -v96
	v_add_f32_e32 v119, v119, v120
	s_waitcnt vmcnt(39)
	v_mul_f32_e32 v120, v113, v169
	v_add_f32_e32 v95, v95, v96
	v_mul_f32_e32 v96, v102, v154
	s_waitcnt vmcnt(38)
	v_fmac_f32_e32 v120, v114, v170
	v_fma_f32 v96, v101, v162, -v96
	v_add_f32_e32 v119, v119, v120
	s_waitcnt vmcnt(37) lgkmcnt(0)
	v_mul_f32_e32 v120, v115, v171
	v_add_f32_e32 v95, v95, v96
	v_mul_f32_e32 v96, v104, v155
	s_waitcnt vmcnt(36)
	v_fmac_f32_e32 v120, v116, v172
	v_fma_f32 v96, v103, v163, -v96
	v_add_f32_e32 v123, v119, v120
	ds_read_b128 v[119:122], v94 offset:608
	v_add_f32_e32 v95, v95, v96
	v_mul_f32_e32 v96, v106, v156
	v_fma_f32 v96, v105, v164, -v96
	s_waitcnt vmcnt(35)
	v_mul_f32_e32 v124, v117, v173
	v_add_f32_e32 v95, v95, v96
	v_mul_f32_e32 v96, v108, v157
	s_waitcnt vmcnt(34)
	v_fmac_f32_e32 v124, v118, v174
	v_fma_f32 v96, v107, v165, -v96
	v_add_f32_e32 v127, v123, v124
	ds_read_b128 v[123:126], v94 offset:624
	v_add_f32_e32 v95, v95, v96
	v_mul_f32_e32 v96, v110, v158
	s_waitcnt vmcnt(33) lgkmcnt(1)
	v_mul_f32_e32 v128, v119, v175
	v_fma_f32 v96, v109, v166, -v96
	s_waitcnt vmcnt(32)
	v_fmac_f32_e32 v128, v120, v176
	v_add_f32_e32 v95, v95, v96
	v_mul_f32_e32 v96, v112, v167
	v_add_f32_e32 v127, v127, v128
	s_waitcnt vmcnt(31)
	v_mul_f32_e32 v128, v121, v177
	v_fma_f32 v96, v111, v168, -v96
	s_waitcnt vmcnt(30)
	v_fmac_f32_e32 v128, v122, v178
	v_add_f32_e32 v95, v95, v96
	v_mul_f32_e32 v96, v114, v169
	v_add_f32_e32 v127, v127, v128
	s_waitcnt vmcnt(29) lgkmcnt(0)
	v_mul_f32_e32 v128, v123, v179
	v_fma_f32 v96, v113, v170, -v96
	s_waitcnt vmcnt(28)
	v_fmac_f32_e32 v128, v124, v180
	v_add_f32_e32 v95, v95, v96
	v_mul_f32_e32 v96, v116, v171
	v_add_f32_e32 v131, v127, v128
	ds_read_b128 v[127:130], v94 offset:640
	v_fma_f32 v96, v115, v172, -v96
	v_add_f32_e32 v95, v95, v96
	v_mul_f32_e32 v96, v118, v173
	s_waitcnt vmcnt(25)
	v_mul_f32_e32 v132, v125, v183
	v_fma_f32 v96, v117, v174, -v96
	s_waitcnt vmcnt(24)
	v_fmac_f32_e32 v132, v126, v184
	v_add_f32_e32 v95, v95, v96
	v_mul_f32_e32 v96, v120, v175
	v_add_f32_e32 v135, v131, v132
	ds_read_b128 v[131:134], v94 offset:656
	v_fma_f32 v96, v119, v176, -v96
	s_waitcnt vmcnt(23) lgkmcnt(1)
	v_mul_f32_e32 v136, v127, v185
	v_add_f32_e32 v95, v95, v96
	v_mul_f32_e32 v96, v122, v177
	s_waitcnt vmcnt(22)
	v_fmac_f32_e32 v136, v128, v186
	v_fma_f32 v96, v121, v178, -v96
	v_add_f32_e32 v135, v135, v136
	s_waitcnt vmcnt(20)
	v_mul_f32_e32 v136, v129, v188
	v_add_f32_e32 v95, v95, v96
	v_mul_f32_e32 v96, v124, v179
	v_fmac_f32_e32 v136, v130, v187
	v_fma_f32 v96, v123, v180, -v96
	v_add_f32_e32 v135, v135, v136
	s_waitcnt vmcnt(18) lgkmcnt(0)
	v_mul_f32_e32 v136, v131, v190
	v_add_f32_e32 v95, v95, v96
	v_mul_f32_e32 v96, v126, v183
	v_fmac_f32_e32 v136, v132, v189
	v_fma_f32 v96, v125, v184, -v96
	v_add_f32_e32 v139, v135, v136
	ds_read_b128 v[135:138], v94 offset:672
	v_add_f32_e32 v95, v95, v96
	v_mul_f32_e32 v96, v128, v185
	v_fma_f32 v96, v127, v186, -v96
	s_waitcnt vmcnt(17)
	v_mul_f32_e32 v140, v133, v191
	v_add_f32_e32 v95, v95, v96
	v_mul_f32_e32 v96, v130, v188
	s_waitcnt vmcnt(16)
	v_fmac_f32_e32 v140, v134, v192
	v_fma_f32 v96, v129, v187, -v96
	v_add_f32_e32 v143, v139, v140
	ds_read_b128 v[139:142], v94 offset:688
	v_add_f32_e32 v95, v95, v96
	v_mul_f32_e32 v96, v132, v190
	s_waitcnt vmcnt(14) lgkmcnt(1)
	v_mul_f32_e32 v144, v135, v194
	v_fma_f32 v96, v131, v189, -v96
	v_fmac_f32_e32 v144, v136, v193
	v_add_f32_e32 v95, v95, v96
	v_mul_f32_e32 v96, v134, v191
	v_add_f32_e32 v143, v143, v144
	s_waitcnt vmcnt(12)
	v_mul_f32_e32 v144, v137, v196
	v_fma_f32 v96, v133, v192, -v96
	v_fmac_f32_e32 v144, v138, v195
	v_add_f32_e32 v95, v95, v96
	v_mul_f32_e32 v96, v136, v194
	v_add_f32_e32 v143, v143, v144
	s_waitcnt vmcnt(10) lgkmcnt(0)
	v_mul_f32_e32 v144, v139, v198
	v_fma_f32 v96, v135, v193, -v96
	v_fmac_f32_e32 v144, v140, v197
	v_add_f32_e32 v95, v95, v96
	v_mul_f32_e32 v96, v138, v196
	v_add_f32_e32 v147, v143, v144
	ds_read_b128 v[143:146], v94 offset:704
	v_fma_f32 v96, v137, v195, -v96
	v_add_f32_e32 v95, v95, v96
	v_mul_f32_e32 v96, v140, v198
	s_waitcnt vmcnt(8)
	v_mul_f32_e32 v148, v141, v200
	v_fma_f32 v96, v139, v197, -v96
	v_fmac_f32_e32 v148, v142, v199
	v_add_f32_e32 v95, v95, v96
	v_mul_f32_e32 v96, v142, v200
	v_add_f32_e32 v209, v147, v148
	ds_read_b128 v[147:150], v94 offset:720
	v_fma_f32 v96, v141, v199, -v96
	v_add_f32_e32 v95, v95, v96
	s_waitcnt vmcnt(6) lgkmcnt(1)
	v_mul_f32_e32 v96, v144, v202
	v_mul_f32_e32 v94, v143, v202
	v_fma_f32 v96, v143, v201, -v96
	v_fmac_f32_e32 v94, v144, v201
	v_add_f32_e32 v95, v95, v96
	s_waitcnt vmcnt(4)
	v_mul_f32_e32 v96, v146, v204
	v_add_f32_e32 v94, v209, v94
	v_mul_f32_e32 v209, v145, v204
	v_fma_f32 v96, v145, v203, -v96
	v_fmac_f32_e32 v209, v146, v203
	v_add_f32_e32 v95, v95, v96
	s_waitcnt vmcnt(2) lgkmcnt(0)
	v_mul_f32_e32 v96, v148, v206
	v_add_f32_e32 v94, v94, v209
	v_mul_f32_e32 v209, v147, v206
	v_fma_f32 v96, v147, v205, -v96
	v_fmac_f32_e32 v209, v148, v205
	v_add_f32_e32 v95, v95, v96
	s_waitcnt vmcnt(0)
	v_mul_f32_e32 v96, v150, v208
	v_add_f32_e32 v94, v94, v209
	v_mul_f32_e32 v209, v149, v208
	v_fma_f32 v96, v149, v207, -v96
	v_fmac_f32_e32 v209, v150, v207
	v_add_f32_e32 v95, v95, v96
	v_add_f32_e32 v94, v94, v209
	v_sub_f32_e32 v95, v181, v95
	v_sub_f32_e32 v94, v182, v94
	buffer_store_dword v95, off, s[0:3], 0 offset:136
	buffer_store_dword v94, off, s[0:3], 0 offset:140
	s_and_saveexec_b64 s[4:5], vcc
	s_cbranch_execz .LBB109_257
; %bb.256:
	buffer_load_dword v94, off, s[0:3], 0 offset:128
	buffer_load_dword v95, off, s[0:3], 0 offset:132
	v_mov_b32_e32 v96, 0
	buffer_store_dword v96, off, s[0:3], 0 offset:128
	buffer_store_dword v96, off, s[0:3], 0 offset:132
	s_waitcnt vmcnt(2)
	ds_write_b64 v93, v[94:95]
.LBB109_257:
	s_or_b64 exec, exec, s[4:5]
	s_waitcnt lgkmcnt(0)
	; wave barrier
	buffer_load_dword v153, off, s[0:3], 0 offset:140
	buffer_load_dword v154, off, s[0:3], 0 offset:148
	;; [unrolled: 1-line block ×60, first 2 shown]
	v_mov_b32_e32 v94, 0
	ds_read2_b64 v[95:98], v94 offset0:63 offset1:64
	ds_read2_b64 v[99:102], v94 offset0:65 offset1:66
	;; [unrolled: 1-line block ×5, first 2 shown]
	v_cmp_lt_u32_e32 vcc, 15, v0
	s_waitcnt vmcnt(59) lgkmcnt(4)
	v_mul_f32_e32 v115, v95, v153
	s_waitcnt vmcnt(58)
	v_mul_f32_e32 v116, v97, v154
	s_waitcnt vmcnt(57) lgkmcnt(3)
	v_mul_f32_e32 v117, v99, v155
	s_waitcnt vmcnt(56)
	v_mul_f32_e32 v118, v101, v156
	s_waitcnt vmcnt(55) lgkmcnt(2)
	v_mul_f32_e32 v119, v103, v157
	s_waitcnt vmcnt(54)
	v_mul_f32_e32 v120, v105, v158
	s_waitcnt vmcnt(53) lgkmcnt(1)
	v_mul_f32_e32 v121, v107, v159
	s_waitcnt vmcnt(52)
	v_fmac_f32_e32 v115, v96, v160
	s_waitcnt vmcnt(51)
	v_fmac_f32_e32 v116, v98, v161
	v_add_f32_e32 v115, 0, v115
	s_waitcnt vmcnt(50)
	v_fmac_f32_e32 v117, v100, v162
	v_add_f32_e32 v115, v115, v116
	s_waitcnt vmcnt(49)
	v_fmac_f32_e32 v118, v102, v163
	v_add_f32_e32 v115, v115, v117
	s_waitcnt vmcnt(48)
	v_fmac_f32_e32 v119, v104, v164
	v_add_f32_e32 v115, v115, v118
	s_waitcnt vmcnt(47)
	v_fmac_f32_e32 v120, v106, v165
	v_add_f32_e32 v115, v115, v119
	s_waitcnt vmcnt(46)
	v_fmac_f32_e32 v121, v108, v166
	v_add_f32_e32 v115, v115, v120
	s_waitcnt vmcnt(45)
	v_mul_f32_e32 v116, v109, v167
	v_add_f32_e32 v115, v115, v121
	s_waitcnt vmcnt(44)
	v_fmac_f32_e32 v116, v110, v168
	v_mul_f32_e32 v96, v96, v153
	v_add_f32_e32 v119, v115, v116
	ds_read2_b64 v[115:118], v94 offset0:73 offset1:74
	v_fma_f32 v95, v95, v160, -v96
	v_mul_f32_e32 v96, v98, v154
	s_waitcnt vmcnt(43) lgkmcnt(1)
	v_mul_f32_e32 v120, v111, v169
	v_add_f32_e32 v95, 0, v95
	v_fma_f32 v96, v97, v161, -v96
	s_waitcnt vmcnt(42)
	v_fmac_f32_e32 v120, v112, v170
	v_add_f32_e32 v95, v95, v96
	v_mul_f32_e32 v96, v100, v155
	v_add_f32_e32 v119, v119, v120
	s_waitcnt vmcnt(41)
	v_mul_f32_e32 v120, v113, v171
	v_fma_f32 v96, v99, v162, -v96
	s_waitcnt vmcnt(40)
	v_fmac_f32_e32 v120, v114, v172
	v_add_f32_e32 v95, v95, v96
	v_mul_f32_e32 v96, v102, v156
	v_add_f32_e32 v119, v119, v120
	s_waitcnt vmcnt(39) lgkmcnt(0)
	v_mul_f32_e32 v120, v115, v173
	v_fma_f32 v96, v101, v163, -v96
	s_waitcnt vmcnt(38)
	v_fmac_f32_e32 v120, v116, v174
	v_add_f32_e32 v95, v95, v96
	v_mul_f32_e32 v96, v104, v157
	v_add_f32_e32 v123, v119, v120
	ds_read2_b64 v[119:122], v94 offset0:75 offset1:76
	v_fma_f32 v96, v103, v164, -v96
	v_add_f32_e32 v95, v95, v96
	v_mul_f32_e32 v96, v106, v158
	s_waitcnt vmcnt(37)
	v_mul_f32_e32 v124, v117, v175
	v_fma_f32 v96, v105, v165, -v96
	s_waitcnt vmcnt(36)
	v_fmac_f32_e32 v124, v118, v176
	v_add_f32_e32 v95, v95, v96
	v_mul_f32_e32 v96, v108, v159
	v_add_f32_e32 v127, v123, v124
	ds_read2_b64 v[123:126], v94 offset0:77 offset1:78
	v_fma_f32 v96, v107, v166, -v96
	s_waitcnt vmcnt(34) lgkmcnt(1)
	v_mul_f32_e32 v128, v119, v178
	v_add_f32_e32 v95, v95, v96
	v_mul_f32_e32 v96, v110, v167
	v_fmac_f32_e32 v128, v120, v177
	v_fma_f32 v96, v109, v168, -v96
	v_add_f32_e32 v127, v127, v128
	s_waitcnt vmcnt(31)
	v_mul_f32_e32 v128, v121, v181
	v_add_f32_e32 v95, v95, v96
	v_mul_f32_e32 v96, v112, v169
	s_waitcnt vmcnt(30)
	v_fmac_f32_e32 v128, v122, v182
	v_fma_f32 v96, v111, v170, -v96
	v_add_f32_e32 v127, v127, v128
	s_waitcnt vmcnt(28) lgkmcnt(0)
	v_mul_f32_e32 v128, v123, v184
	v_add_f32_e32 v95, v95, v96
	v_mul_f32_e32 v96, v114, v171
	v_fmac_f32_e32 v128, v124, v183
	v_fma_f32 v96, v113, v172, -v96
	v_add_f32_e32 v131, v127, v128
	ds_read2_b64 v[127:130], v94 offset0:79 offset1:80
	v_add_f32_e32 v95, v95, v96
	v_mul_f32_e32 v96, v116, v173
	v_fma_f32 v96, v115, v174, -v96
	s_waitcnt vmcnt(26)
	v_mul_f32_e32 v132, v125, v186
	v_add_f32_e32 v95, v95, v96
	v_mul_f32_e32 v96, v118, v175
	v_fmac_f32_e32 v132, v126, v185
	v_fma_f32 v96, v117, v176, -v96
	v_add_f32_e32 v135, v131, v132
	ds_read2_b64 v[131:134], v94 offset0:81 offset1:82
	v_add_f32_e32 v95, v95, v96
	v_mul_f32_e32 v96, v120, v178
	s_waitcnt vmcnt(24) lgkmcnt(1)
	v_mul_f32_e32 v136, v127, v188
	v_fma_f32 v96, v119, v177, -v96
	v_fmac_f32_e32 v136, v128, v187
	v_add_f32_e32 v95, v95, v96
	v_mul_f32_e32 v96, v122, v181
	v_add_f32_e32 v135, v135, v136
	s_waitcnt vmcnt(22)
	v_mul_f32_e32 v136, v129, v190
	v_fma_f32 v96, v121, v182, -v96
	v_fmac_f32_e32 v136, v130, v189
	v_add_f32_e32 v95, v95, v96
	v_mul_f32_e32 v96, v124, v184
	v_add_f32_e32 v135, v135, v136
	s_waitcnt vmcnt(20) lgkmcnt(0)
	v_mul_f32_e32 v136, v131, v192
	v_fma_f32 v96, v123, v183, -v96
	v_fmac_f32_e32 v136, v132, v191
	v_add_f32_e32 v95, v95, v96
	v_mul_f32_e32 v96, v126, v186
	v_add_f32_e32 v139, v135, v136
	ds_read2_b64 v[135:138], v94 offset0:83 offset1:84
	v_fma_f32 v96, v125, v185, -v96
	v_add_f32_e32 v95, v95, v96
	v_mul_f32_e32 v96, v128, v188
	s_waitcnt vmcnt(18)
	v_mul_f32_e32 v140, v133, v194
	v_fma_f32 v96, v127, v187, -v96
	v_fmac_f32_e32 v140, v134, v193
	v_add_f32_e32 v95, v95, v96
	v_mul_f32_e32 v96, v130, v190
	v_add_f32_e32 v143, v139, v140
	ds_read2_b64 v[139:142], v94 offset0:85 offset1:86
	v_fma_f32 v96, v129, v189, -v96
	s_waitcnt vmcnt(16) lgkmcnt(1)
	v_mul_f32_e32 v144, v135, v196
	v_add_f32_e32 v95, v95, v96
	v_mul_f32_e32 v96, v132, v192
	v_fmac_f32_e32 v144, v136, v195
	v_fma_f32 v96, v131, v191, -v96
	v_add_f32_e32 v143, v143, v144
	s_waitcnt vmcnt(14)
	v_mul_f32_e32 v144, v137, v198
	v_add_f32_e32 v95, v95, v96
	v_mul_f32_e32 v96, v134, v194
	v_fmac_f32_e32 v144, v138, v197
	v_fma_f32 v96, v133, v193, -v96
	v_add_f32_e32 v143, v143, v144
	s_waitcnt vmcnt(12) lgkmcnt(0)
	v_mul_f32_e32 v144, v139, v200
	v_add_f32_e32 v95, v95, v96
	v_mul_f32_e32 v96, v136, v196
	v_fmac_f32_e32 v144, v140, v199
	v_fma_f32 v96, v135, v195, -v96
	v_add_f32_e32 v147, v143, v144
	ds_read2_b64 v[143:146], v94 offset0:87 offset1:88
	v_add_f32_e32 v95, v95, v96
	v_mul_f32_e32 v96, v138, v198
	v_fma_f32 v96, v137, v197, -v96
	v_add_f32_e32 v95, v95, v96
	v_mul_f32_e32 v96, v140, v200
	s_waitcnt vmcnt(10)
	v_mul_f32_e32 v148, v141, v202
	v_fma_f32 v96, v139, v199, -v96
	v_fmac_f32_e32 v148, v142, v201
	v_add_f32_e32 v95, v95, v96
	v_mul_f32_e32 v96, v142, v202
	v_add_f32_e32 v151, v147, v148
	ds_read2_b64 v[147:150], v94 offset0:89 offset1:90
	s_waitcnt vmcnt(8) lgkmcnt(1)
	v_mul_f32_e32 v152, v143, v204
	v_fma_f32 v96, v141, v201, -v96
	v_fmac_f32_e32 v152, v144, v203
	v_add_f32_e32 v95, v95, v96
	v_mul_f32_e32 v96, v144, v204
	v_add_f32_e32 v151, v151, v152
	s_waitcnt vmcnt(6)
	v_mul_f32_e32 v152, v145, v206
	v_fma_f32 v96, v143, v203, -v96
	v_fmac_f32_e32 v152, v146, v205
	v_add_f32_e32 v95, v95, v96
	v_mul_f32_e32 v96, v146, v206
	v_add_f32_e32 v213, v151, v152
	ds_read_b64 v[151:152], v94 offset:728
	v_fma_f32 v96, v145, v205, -v96
	v_add_f32_e32 v95, v95, v96
	s_waitcnt vmcnt(4) lgkmcnt(1)
	v_mul_f32_e32 v96, v148, v208
	v_mul_f32_e32 v214, v147, v208
	v_fma_f32 v96, v147, v207, -v96
	v_fmac_f32_e32 v214, v148, v207
	v_add_f32_e32 v95, v95, v96
	s_waitcnt vmcnt(2)
	v_mul_f32_e32 v96, v150, v210
	v_add_f32_e32 v213, v213, v214
	v_mul_f32_e32 v214, v149, v210
	v_fma_f32 v96, v149, v209, -v96
	v_fmac_f32_e32 v214, v150, v209
	v_add_f32_e32 v95, v95, v96
	s_waitcnt vmcnt(0) lgkmcnt(0)
	v_mul_f32_e32 v96, v152, v212
	v_add_f32_e32 v213, v213, v214
	v_mul_f32_e32 v214, v151, v212
	v_fma_f32 v96, v151, v211, -v96
	v_fmac_f32_e32 v214, v152, v211
	v_add_f32_e32 v95, v95, v96
	v_add_f32_e32 v213, v213, v214
	v_sub_f32_e32 v95, v179, v95
	v_sub_f32_e32 v96, v180, v213
	buffer_store_dword v95, off, s[0:3], 0 offset:128
	buffer_store_dword v96, off, s[0:3], 0 offset:132
	s_and_saveexec_b64 s[4:5], vcc
	s_cbranch_execz .LBB109_259
; %bb.258:
	buffer_load_dword v95, off, s[0:3], 0 offset:120
	buffer_load_dword v96, off, s[0:3], 0 offset:124
	s_waitcnt vmcnt(0)
	ds_write_b64 v93, v[95:96]
	buffer_store_dword v94, off, s[0:3], 0 offset:120
	buffer_store_dword v94, off, s[0:3], 0 offset:124
.LBB109_259:
	s_or_b64 exec, exec, s[4:5]
	s_waitcnt lgkmcnt(0)
	; wave barrier
	buffer_load_dword v155, off, s[0:3], 0 offset:132
	buffer_load_dword v156, off, s[0:3], 0 offset:140
	;; [unrolled: 1-line block ×32, first 2 shown]
	ds_read_b128 v[95:98], v94 offset:496
	ds_read_b128 v[99:102], v94 offset:512
	;; [unrolled: 1-line block ×4, first 2 shown]
	buffer_load_dword v187, off, s[0:3], 0 offset:252
	buffer_load_dword v188, off, s[0:3], 0 offset:248
	;; [unrolled: 1-line block ×30, first 2 shown]
	v_cmp_lt_u32_e32 vcc, 14, v0
	s_waitcnt vmcnt(61) lgkmcnt(3)
	v_mul_f32_e32 v111, v95, v155
	s_waitcnt vmcnt(60)
	v_mul_f32_e32 v112, v97, v156
	s_waitcnt vmcnt(59) lgkmcnt(2)
	v_mul_f32_e32 v113, v99, v157
	s_waitcnt vmcnt(58)
	v_mul_f32_e32 v114, v101, v158
	;; [unrolled: 4-line block ×3, first 2 shown]
	s_waitcnt vmcnt(55) lgkmcnt(0)
	v_mul_f32_e32 v117, v107, v161
	s_waitcnt vmcnt(54)
	v_fmac_f32_e32 v111, v96, v162
	s_waitcnt vmcnt(53)
	v_fmac_f32_e32 v112, v98, v163
	v_add_f32_e32 v111, 0, v111
	s_waitcnt vmcnt(52)
	v_fmac_f32_e32 v113, v100, v164
	v_add_f32_e32 v111, v111, v112
	;; [unrolled: 3-line block ×6, first 2 shown]
	v_add_f32_e32 v115, v111, v117
	ds_read_b128 v[111:114], v94 offset:560
	s_waitcnt vmcnt(47)
	v_mul_f32_e32 v116, v109, v169
	s_waitcnt vmcnt(46)
	v_fmac_f32_e32 v116, v110, v170
	v_mul_f32_e32 v96, v96, v155
	v_add_f32_e32 v119, v115, v116
	ds_read_b128 v[115:118], v94 offset:576
	v_fma_f32 v95, v95, v162, -v96
	v_mul_f32_e32 v96, v98, v156
	s_waitcnt vmcnt(45) lgkmcnt(1)
	v_mul_f32_e32 v120, v111, v171
	v_add_f32_e32 v95, 0, v95
	v_fma_f32 v96, v97, v163, -v96
	s_waitcnt vmcnt(44)
	v_fmac_f32_e32 v120, v112, v172
	v_add_f32_e32 v95, v95, v96
	v_mul_f32_e32 v96, v100, v157
	v_add_f32_e32 v119, v119, v120
	s_waitcnt vmcnt(43)
	v_mul_f32_e32 v120, v113, v173
	v_fma_f32 v96, v99, v164, -v96
	s_waitcnt vmcnt(42)
	v_fmac_f32_e32 v120, v114, v174
	v_add_f32_e32 v95, v95, v96
	v_mul_f32_e32 v96, v102, v158
	v_add_f32_e32 v119, v119, v120
	s_waitcnt vmcnt(41) lgkmcnt(0)
	v_mul_f32_e32 v120, v115, v175
	v_fma_f32 v96, v101, v165, -v96
	s_waitcnt vmcnt(40)
	v_fmac_f32_e32 v120, v116, v176
	v_add_f32_e32 v95, v95, v96
	v_mul_f32_e32 v96, v104, v159
	v_add_f32_e32 v123, v119, v120
	ds_read_b128 v[119:122], v94 offset:592
	v_fma_f32 v96, v103, v166, -v96
	v_add_f32_e32 v95, v95, v96
	v_mul_f32_e32 v96, v106, v160
	s_waitcnt vmcnt(39)
	v_mul_f32_e32 v124, v117, v177
	v_fma_f32 v96, v105, v167, -v96
	s_waitcnt vmcnt(38)
	v_fmac_f32_e32 v124, v118, v178
	v_add_f32_e32 v95, v95, v96
	v_mul_f32_e32 v96, v108, v161
	v_add_f32_e32 v127, v123, v124
	ds_read_b128 v[123:126], v94 offset:608
	v_fma_f32 v96, v107, v168, -v96
	s_waitcnt vmcnt(35) lgkmcnt(1)
	v_mul_f32_e32 v128, v119, v181
	v_add_f32_e32 v95, v95, v96
	v_mul_f32_e32 v96, v110, v169
	s_waitcnt vmcnt(34)
	v_fmac_f32_e32 v128, v120, v182
	v_fma_f32 v96, v109, v170, -v96
	v_add_f32_e32 v127, v127, v128
	s_waitcnt vmcnt(32)
	v_mul_f32_e32 v128, v121, v184
	v_add_f32_e32 v95, v95, v96
	v_mul_f32_e32 v96, v112, v171
	v_fmac_f32_e32 v128, v122, v183
	v_fma_f32 v96, v111, v172, -v96
	v_add_f32_e32 v127, v127, v128
	s_waitcnt vmcnt(30) lgkmcnt(0)
	v_mul_f32_e32 v128, v123, v186
	v_add_f32_e32 v95, v95, v96
	v_mul_f32_e32 v96, v114, v173
	v_fmac_f32_e32 v128, v124, v185
	v_fma_f32 v96, v113, v174, -v96
	v_add_f32_e32 v131, v127, v128
	ds_read_b128 v[127:130], v94 offset:624
	v_add_f32_e32 v95, v95, v96
	v_mul_f32_e32 v96, v116, v175
	v_fma_f32 v96, v115, v176, -v96
	s_waitcnt vmcnt(29)
	v_mul_f32_e32 v132, v125, v187
	v_add_f32_e32 v95, v95, v96
	v_mul_f32_e32 v96, v118, v177
	s_waitcnt vmcnt(28)
	v_fmac_f32_e32 v132, v126, v188
	v_fma_f32 v96, v117, v178, -v96
	v_add_f32_e32 v135, v131, v132
	ds_read_b128 v[131:134], v94 offset:640
	v_add_f32_e32 v95, v95, v96
	v_mul_f32_e32 v96, v120, v181
	s_waitcnt vmcnt(26) lgkmcnt(1)
	v_mul_f32_e32 v136, v127, v190
	v_fma_f32 v96, v119, v182, -v96
	v_fmac_f32_e32 v136, v128, v189
	v_add_f32_e32 v95, v95, v96
	v_mul_f32_e32 v96, v122, v184
	v_add_f32_e32 v135, v135, v136
	s_waitcnt vmcnt(24)
	v_mul_f32_e32 v136, v129, v192
	v_fma_f32 v96, v121, v183, -v96
	v_fmac_f32_e32 v136, v130, v191
	v_add_f32_e32 v95, v95, v96
	v_mul_f32_e32 v96, v124, v186
	v_add_f32_e32 v135, v135, v136
	s_waitcnt vmcnt(22) lgkmcnt(0)
	v_mul_f32_e32 v136, v131, v194
	v_fma_f32 v96, v123, v185, -v96
	v_fmac_f32_e32 v136, v132, v193
	v_add_f32_e32 v95, v95, v96
	v_mul_f32_e32 v96, v126, v187
	v_add_f32_e32 v139, v135, v136
	ds_read_b128 v[135:138], v94 offset:656
	v_fma_f32 v96, v125, v188, -v96
	v_add_f32_e32 v95, v95, v96
	v_mul_f32_e32 v96, v128, v190
	s_waitcnt vmcnt(20)
	v_mul_f32_e32 v140, v133, v196
	v_fma_f32 v96, v127, v189, -v96
	v_fmac_f32_e32 v140, v134, v195
	v_add_f32_e32 v95, v95, v96
	v_mul_f32_e32 v96, v130, v192
	v_add_f32_e32 v143, v139, v140
	ds_read_b128 v[139:142], v94 offset:672
	v_fma_f32 v96, v129, v191, -v96
	s_waitcnt vmcnt(18) lgkmcnt(1)
	v_mul_f32_e32 v144, v135, v198
	v_add_f32_e32 v95, v95, v96
	v_mul_f32_e32 v96, v132, v194
	v_fmac_f32_e32 v144, v136, v197
	v_fma_f32 v96, v131, v193, -v96
	v_add_f32_e32 v143, v143, v144
	s_waitcnt vmcnt(16)
	v_mul_f32_e32 v144, v137, v200
	v_add_f32_e32 v95, v95, v96
	v_mul_f32_e32 v96, v134, v196
	v_fmac_f32_e32 v144, v138, v199
	v_fma_f32 v96, v133, v195, -v96
	v_add_f32_e32 v143, v143, v144
	s_waitcnt vmcnt(14) lgkmcnt(0)
	v_mul_f32_e32 v144, v139, v202
	v_add_f32_e32 v95, v95, v96
	v_mul_f32_e32 v96, v136, v198
	v_fmac_f32_e32 v144, v140, v201
	v_fma_f32 v96, v135, v197, -v96
	v_add_f32_e32 v147, v143, v144
	ds_read_b128 v[143:146], v94 offset:688
	v_add_f32_e32 v95, v95, v96
	v_mul_f32_e32 v96, v138, v200
	v_fma_f32 v96, v137, v199, -v96
	v_add_f32_e32 v95, v95, v96
	v_mul_f32_e32 v96, v140, v202
	s_waitcnt vmcnt(12)
	v_mul_f32_e32 v148, v141, v204
	v_fma_f32 v96, v139, v201, -v96
	v_fmac_f32_e32 v148, v142, v203
	v_add_f32_e32 v95, v95, v96
	v_mul_f32_e32 v96, v142, v204
	v_add_f32_e32 v151, v147, v148
	ds_read_b128 v[147:150], v94 offset:704
	s_waitcnt vmcnt(10) lgkmcnt(1)
	v_mul_f32_e32 v152, v143, v206
	v_fma_f32 v96, v141, v203, -v96
	v_fmac_f32_e32 v152, v144, v205
	v_add_f32_e32 v95, v95, v96
	v_mul_f32_e32 v96, v144, v206
	v_add_f32_e32 v151, v151, v152
	s_waitcnt vmcnt(8)
	v_mul_f32_e32 v152, v145, v208
	v_fma_f32 v96, v143, v205, -v96
	v_fmac_f32_e32 v152, v146, v207
	v_add_f32_e32 v95, v95, v96
	v_mul_f32_e32 v96, v146, v208
	v_add_f32_e32 v217, v151, v152
	ds_read_b128 v[151:154], v94 offset:720
	v_fma_f32 v96, v145, v207, -v96
	v_add_f32_e32 v95, v95, v96
	s_waitcnt vmcnt(6) lgkmcnt(1)
	v_mul_f32_e32 v96, v148, v210
	v_mul_f32_e32 v218, v147, v210
	v_fma_f32 v96, v147, v209, -v96
	v_fmac_f32_e32 v218, v148, v209
	v_add_f32_e32 v95, v95, v96
	s_waitcnt vmcnt(4)
	v_mul_f32_e32 v96, v150, v212
	v_add_f32_e32 v94, v217, v218
	v_mul_f32_e32 v217, v149, v212
	v_fma_f32 v96, v149, v211, -v96
	v_fmac_f32_e32 v217, v150, v211
	v_add_f32_e32 v95, v95, v96
	s_waitcnt vmcnt(2) lgkmcnt(0)
	v_mul_f32_e32 v96, v152, v214
	v_add_f32_e32 v94, v94, v217
	v_mul_f32_e32 v217, v151, v214
	v_fma_f32 v96, v151, v213, -v96
	v_fmac_f32_e32 v217, v152, v213
	v_add_f32_e32 v95, v95, v96
	s_waitcnt vmcnt(0)
	v_mul_f32_e32 v96, v154, v216
	v_add_f32_e32 v94, v94, v217
	v_mul_f32_e32 v217, v153, v216
	v_fma_f32 v96, v153, v215, -v96
	v_fmac_f32_e32 v217, v154, v215
	v_add_f32_e32 v95, v95, v96
	v_add_f32_e32 v94, v94, v217
	v_sub_f32_e32 v95, v179, v95
	v_sub_f32_e32 v94, v180, v94
	buffer_store_dword v95, off, s[0:3], 0 offset:120
	buffer_store_dword v94, off, s[0:3], 0 offset:124
	s_and_saveexec_b64 s[4:5], vcc
	s_cbranch_execz .LBB109_261
; %bb.260:
	buffer_load_dword v94, off, s[0:3], 0 offset:112
	buffer_load_dword v95, off, s[0:3], 0 offset:116
	v_mov_b32_e32 v96, 0
	buffer_store_dword v96, off, s[0:3], 0 offset:112
	buffer_store_dword v96, off, s[0:3], 0 offset:116
	s_waitcnt vmcnt(2)
	ds_write_b64 v93, v[94:95]
.LBB109_261:
	s_or_b64 exec, exec, s[4:5]
	s_waitcnt lgkmcnt(0)
	; wave barrier
	buffer_load_dword v157, off, s[0:3], 0 offset:124
	buffer_load_dword v158, off, s[0:3], 0 offset:132
	;; [unrolled: 1-line block ×56, first 2 shown]
	v_mov_b32_e32 v94, 0
	ds_read2_b64 v[95:98], v94 offset0:61 offset1:62
	buffer_load_dword v213, off, s[0:3], 0 offset:336
	buffer_load_dword v214, off, s[0:3], 0 offset:340
	;; [unrolled: 1-line block ×4, first 2 shown]
	ds_read2_b64 v[99:102], v94 offset0:63 offset1:64
	ds_read2_b64 v[103:106], v94 offset0:65 offset1:66
	ds_read2_b64 v[107:110], v94 offset0:67 offset1:68
	v_cmp_lt_u32_e32 vcc, 13, v0
	s_waitcnt vmcnt(59) lgkmcnt(3)
	v_mul_f32_e32 v111, v95, v157
	s_waitcnt vmcnt(58)
	v_mul_f32_e32 v112, v97, v158
	s_waitcnt vmcnt(57) lgkmcnt(2)
	v_mul_f32_e32 v113, v99, v159
	s_waitcnt vmcnt(56)
	v_mul_f32_e32 v114, v101, v160
	;; [unrolled: 4-line block ×4, first 2 shown]
	s_waitcnt vmcnt(51)
	v_fmac_f32_e32 v111, v96, v165
	s_waitcnt vmcnt(50)
	v_fmac_f32_e32 v112, v98, v166
	v_add_f32_e32 v111, 0, v111
	s_waitcnt vmcnt(49)
	v_fmac_f32_e32 v113, v100, v167
	v_add_f32_e32 v111, v111, v112
	;; [unrolled: 3-line block ×6, first 2 shown]
	v_add_f32_e32 v115, v111, v117
	ds_read2_b64 v[111:114], v94 offset0:69 offset1:70
	buffer_load_dword v217, off, s[0:3], 0 offset:356
	buffer_load_dword v218, off, s[0:3], 0 offset:352
	;; [unrolled: 1-line block ×4, first 2 shown]
	s_waitcnt vmcnt(48)
	v_fmac_f32_e32 v118, v110, v172
	v_add_f32_e32 v119, v115, v118
	ds_read2_b64 v[115:118], v94 offset0:71 offset1:72
	s_waitcnt vmcnt(47) lgkmcnt(1)
	v_mul_f32_e32 v120, v111, v173
	v_mul_f32_e32 v96, v96, v157
	s_waitcnt vmcnt(46)
	v_fmac_f32_e32 v120, v112, v174
	v_fma_f32 v95, v95, v165, -v96
	v_mul_f32_e32 v96, v98, v158
	v_add_f32_e32 v119, v119, v120
	s_waitcnt vmcnt(45)
	v_mul_f32_e32 v120, v113, v175
	v_add_f32_e32 v95, 0, v95
	v_fma_f32 v96, v97, v166, -v96
	s_waitcnt vmcnt(44)
	v_fmac_f32_e32 v120, v114, v176
	v_add_f32_e32 v95, v95, v96
	v_mul_f32_e32 v96, v100, v159
	v_add_f32_e32 v119, v119, v120
	s_waitcnt vmcnt(42) lgkmcnt(0)
	v_mul_f32_e32 v120, v115, v178
	v_fma_f32 v96, v99, v167, -v96
	v_fmac_f32_e32 v120, v116, v177
	v_add_f32_e32 v95, v95, v96
	v_mul_f32_e32 v96, v102, v160
	v_add_f32_e32 v123, v119, v120
	ds_read2_b64 v[119:122], v94 offset0:73 offset1:74
	v_fma_f32 v96, v101, v168, -v96
	v_add_f32_e32 v95, v95, v96
	v_mul_f32_e32 v96, v104, v161
	s_waitcnt vmcnt(39)
	v_mul_f32_e32 v124, v117, v181
	v_fma_f32 v96, v103, v169, -v96
	s_waitcnt vmcnt(38)
	v_fmac_f32_e32 v124, v118, v182
	v_add_f32_e32 v95, v95, v96
	v_mul_f32_e32 v96, v106, v162
	v_add_f32_e32 v127, v123, v124
	ds_read2_b64 v[123:126], v94 offset0:75 offset1:76
	v_fma_f32 v96, v105, v170, -v96
	s_waitcnt vmcnt(36) lgkmcnt(1)
	v_mul_f32_e32 v128, v119, v184
	v_add_f32_e32 v95, v95, v96
	v_mul_f32_e32 v96, v108, v163
	v_fmac_f32_e32 v128, v120, v183
	v_fma_f32 v96, v107, v171, -v96
	v_add_f32_e32 v127, v127, v128
	s_waitcnt vmcnt(34)
	v_mul_f32_e32 v128, v121, v186
	v_add_f32_e32 v95, v95, v96
	v_mul_f32_e32 v96, v110, v164
	v_fmac_f32_e32 v128, v122, v185
	v_fma_f32 v96, v109, v172, -v96
	v_add_f32_e32 v127, v127, v128
	s_waitcnt vmcnt(32) lgkmcnt(0)
	v_mul_f32_e32 v128, v123, v188
	v_add_f32_e32 v95, v95, v96
	v_mul_f32_e32 v96, v112, v173
	v_fmac_f32_e32 v128, v124, v187
	v_fma_f32 v96, v111, v174, -v96
	v_add_f32_e32 v131, v127, v128
	ds_read2_b64 v[127:130], v94 offset0:77 offset1:78
	v_add_f32_e32 v95, v95, v96
	v_mul_f32_e32 v96, v114, v175
	v_fma_f32 v96, v113, v176, -v96
	s_waitcnt vmcnt(30)
	v_mul_f32_e32 v132, v125, v190
	v_add_f32_e32 v95, v95, v96
	v_mul_f32_e32 v96, v116, v178
	v_fmac_f32_e32 v132, v126, v189
	v_fma_f32 v96, v115, v177, -v96
	v_add_f32_e32 v135, v131, v132
	ds_read2_b64 v[131:134], v94 offset0:79 offset1:80
	v_add_f32_e32 v95, v95, v96
	v_mul_f32_e32 v96, v118, v181
	s_waitcnt vmcnt(28) lgkmcnt(1)
	v_mul_f32_e32 v136, v127, v192
	v_fma_f32 v96, v117, v182, -v96
	v_fmac_f32_e32 v136, v128, v191
	v_add_f32_e32 v95, v95, v96
	v_mul_f32_e32 v96, v120, v184
	v_add_f32_e32 v135, v135, v136
	s_waitcnt vmcnt(26)
	v_mul_f32_e32 v136, v129, v194
	v_fma_f32 v96, v119, v183, -v96
	v_fmac_f32_e32 v136, v130, v193
	v_add_f32_e32 v95, v95, v96
	v_mul_f32_e32 v96, v122, v186
	v_add_f32_e32 v135, v135, v136
	s_waitcnt vmcnt(24) lgkmcnt(0)
	v_mul_f32_e32 v136, v131, v196
	v_fma_f32 v96, v121, v185, -v96
	v_fmac_f32_e32 v136, v132, v195
	v_add_f32_e32 v95, v95, v96
	v_mul_f32_e32 v96, v124, v188
	v_add_f32_e32 v139, v135, v136
	ds_read2_b64 v[135:138], v94 offset0:81 offset1:82
	v_fma_f32 v96, v123, v187, -v96
	v_add_f32_e32 v95, v95, v96
	v_mul_f32_e32 v96, v126, v190
	s_waitcnt vmcnt(22)
	v_mul_f32_e32 v140, v133, v198
	v_fma_f32 v96, v125, v189, -v96
	v_fmac_f32_e32 v140, v134, v197
	v_add_f32_e32 v95, v95, v96
	v_mul_f32_e32 v96, v128, v192
	v_add_f32_e32 v143, v139, v140
	ds_read2_b64 v[139:142], v94 offset0:83 offset1:84
	v_fma_f32 v96, v127, v191, -v96
	s_waitcnt vmcnt(20) lgkmcnt(1)
	v_mul_f32_e32 v144, v135, v200
	v_add_f32_e32 v95, v95, v96
	v_mul_f32_e32 v96, v130, v194
	v_fmac_f32_e32 v144, v136, v199
	v_fma_f32 v96, v129, v193, -v96
	v_add_f32_e32 v143, v143, v144
	s_waitcnt vmcnt(18)
	v_mul_f32_e32 v144, v137, v202
	v_add_f32_e32 v95, v95, v96
	v_mul_f32_e32 v96, v132, v196
	v_fmac_f32_e32 v144, v138, v201
	v_fma_f32 v96, v131, v195, -v96
	v_add_f32_e32 v143, v143, v144
	s_waitcnt vmcnt(16) lgkmcnt(0)
	v_mul_f32_e32 v144, v139, v204
	v_add_f32_e32 v95, v95, v96
	v_mul_f32_e32 v96, v134, v198
	v_fmac_f32_e32 v144, v140, v203
	v_fma_f32 v96, v133, v197, -v96
	v_add_f32_e32 v147, v143, v144
	ds_read2_b64 v[143:146], v94 offset0:85 offset1:86
	v_add_f32_e32 v95, v95, v96
	v_mul_f32_e32 v96, v136, v200
	v_fma_f32 v96, v135, v199, -v96
	s_waitcnt vmcnt(14)
	v_mul_f32_e32 v148, v141, v206
	v_add_f32_e32 v95, v95, v96
	v_mul_f32_e32 v96, v138, v202
	v_fmac_f32_e32 v148, v142, v205
	v_fma_f32 v96, v137, v201, -v96
	v_add_f32_e32 v151, v147, v148
	ds_read2_b64 v[147:150], v94 offset0:87 offset1:88
	v_add_f32_e32 v95, v95, v96
	v_mul_f32_e32 v96, v140, v204
	s_waitcnt vmcnt(12) lgkmcnt(1)
	v_mul_f32_e32 v152, v143, v208
	v_fma_f32 v96, v139, v203, -v96
	v_fmac_f32_e32 v152, v144, v207
	v_add_f32_e32 v95, v95, v96
	v_mul_f32_e32 v96, v142, v206
	v_add_f32_e32 v151, v151, v152
	s_waitcnt vmcnt(10)
	v_mul_f32_e32 v152, v145, v210
	v_fma_f32 v96, v141, v205, -v96
	v_fmac_f32_e32 v152, v146, v209
	v_add_f32_e32 v95, v95, v96
	v_mul_f32_e32 v96, v144, v208
	v_add_f32_e32 v151, v151, v152
	s_waitcnt vmcnt(8) lgkmcnt(0)
	v_mul_f32_e32 v152, v147, v212
	v_fma_f32 v96, v143, v207, -v96
	v_fmac_f32_e32 v152, v148, v211
	v_add_f32_e32 v95, v95, v96
	v_mul_f32_e32 v96, v146, v210
	v_add_f32_e32 v155, v151, v152
	ds_read2_b64 v[151:154], v94 offset0:89 offset1:90
	v_fma_f32 v96, v145, v209, -v96
	v_add_f32_e32 v95, v95, v96
	v_mul_f32_e32 v96, v148, v212
	s_waitcnt vmcnt(6)
	v_mul_f32_e32 v156, v149, v214
	v_fma_f32 v96, v147, v211, -v96
	v_fmac_f32_e32 v156, v150, v213
	v_add_f32_e32 v95, v95, v96
	v_mul_f32_e32 v96, v150, v214
	v_add_f32_e32 v221, v155, v156
	ds_read_b64 v[155:156], v94 offset:728
	v_fma_f32 v96, v149, v213, -v96
	v_add_f32_e32 v95, v95, v96
	s_waitcnt vmcnt(4) lgkmcnt(1)
	v_mul_f32_e32 v96, v152, v216
	v_mul_f32_e32 v222, v151, v216
	v_fma_f32 v96, v151, v215, -v96
	v_fmac_f32_e32 v222, v152, v215
	v_add_f32_e32 v95, v95, v96
	s_waitcnt vmcnt(3)
	v_mul_f32_e32 v96, v154, v217
	v_add_f32_e32 v221, v221, v222
	v_mul_f32_e32 v222, v153, v217
	s_waitcnt vmcnt(2)
	v_fma_f32 v96, v153, v218, -v96
	v_fmac_f32_e32 v222, v154, v218
	v_add_f32_e32 v95, v95, v96
	s_waitcnt vmcnt(0) lgkmcnt(0)
	v_mul_f32_e32 v96, v156, v220
	v_add_f32_e32 v221, v221, v222
	v_mul_f32_e32 v222, v155, v220
	v_fma_f32 v96, v155, v219, -v96
	v_fmac_f32_e32 v222, v156, v219
	v_add_f32_e32 v95, v95, v96
	v_add_f32_e32 v221, v221, v222
	v_sub_f32_e32 v95, v179, v95
	v_sub_f32_e32 v96, v180, v221
	buffer_store_dword v95, off, s[0:3], 0 offset:112
	buffer_store_dword v96, off, s[0:3], 0 offset:116
	s_and_saveexec_b64 s[4:5], vcc
	s_cbranch_execz .LBB109_263
; %bb.262:
	buffer_load_dword v95, off, s[0:3], 0 offset:104
	buffer_load_dword v96, off, s[0:3], 0 offset:108
	s_waitcnt vmcnt(0)
	ds_write_b64 v93, v[95:96]
	buffer_store_dword v94, off, s[0:3], 0 offset:104
	buffer_store_dword v94, off, s[0:3], 0 offset:108
.LBB109_263:
	s_or_b64 exec, exec, s[4:5]
	s_waitcnt lgkmcnt(0)
	; wave barrier
	buffer_load_dword v159, off, s[0:3], 0 offset:116
	buffer_load_dword v160, off, s[0:3], 0 offset:124
	;; [unrolled: 1-line block ×26, first 2 shown]
	ds_read_b128 v[95:98], v94 offset:480
	ds_read_b128 v[99:102], v94 offset:496
	ds_read_b128 v[103:106], v94 offset:512
	ds_read_b128 v[107:110], v94 offset:528
	buffer_load_dword v185, off, s[0:3], 0 offset:212
	buffer_load_dword v186, off, s[0:3], 0 offset:208
	;; [unrolled: 1-line block ×34, first 2 shown]
	v_cmp_lt_u32_e32 vcc, 12, v0
	s_waitcnt vmcnt(59) lgkmcnt(3)
	v_mul_f32_e32 v111, v95, v159
	s_waitcnt vmcnt(58)
	v_mul_f32_e32 v112, v97, v160
	s_waitcnt vmcnt(57) lgkmcnt(2)
	v_mul_f32_e32 v113, v99, v161
	s_waitcnt vmcnt(56)
	v_mul_f32_e32 v114, v101, v162
	s_waitcnt vmcnt(55) lgkmcnt(1)
	v_mul_f32_e32 v115, v103, v163
	s_waitcnt vmcnt(54)
	v_mul_f32_e32 v116, v105, v164
	s_waitcnt vmcnt(53) lgkmcnt(0)
	v_mul_f32_e32 v117, v107, v165
	s_waitcnt vmcnt(52)
	v_mul_f32_e32 v118, v109, v166
	s_waitcnt vmcnt(51)
	v_fmac_f32_e32 v111, v96, v167
	s_waitcnt vmcnt(50)
	v_fmac_f32_e32 v112, v98, v168
	v_add_f32_e32 v111, 0, v111
	s_waitcnt vmcnt(49)
	v_fmac_f32_e32 v113, v100, v169
	v_add_f32_e32 v111, v111, v112
	;; [unrolled: 3-line block ×7, first 2 shown]
	v_add_f32_e32 v119, v111, v118
	ds_read_b128 v[111:114], v94 offset:544
	buffer_load_dword v219, off, s[0:3], 0 offset:348
	buffer_load_dword v220, off, s[0:3], 0 offset:344
	;; [unrolled: 1-line block ×4, first 2 shown]
	ds_read_b128 v[115:118], v94 offset:560
	buffer_load_dword v223, off, s[0:3], 0 offset:360
	buffer_load_dword v224, off, s[0:3], 0 offset:364
	v_mul_f32_e32 v96, v96, v159
	s_waitcnt vmcnt(49) lgkmcnt(1)
	v_mul_f32_e32 v120, v111, v175
	s_waitcnt vmcnt(48)
	v_fmac_f32_e32 v120, v112, v176
	v_fma_f32 v95, v95, v167, -v96
	v_mul_f32_e32 v96, v98, v160
	v_add_f32_e32 v119, v119, v120
	s_waitcnt vmcnt(46)
	v_mul_f32_e32 v120, v113, v178
	v_add_f32_e32 v95, 0, v95
	v_fma_f32 v96, v97, v168, -v96
	v_fmac_f32_e32 v120, v114, v177
	v_add_f32_e32 v95, v95, v96
	v_mul_f32_e32 v96, v100, v161
	v_add_f32_e32 v119, v119, v120
	s_waitcnt vmcnt(43) lgkmcnt(0)
	v_mul_f32_e32 v120, v115, v181
	v_fma_f32 v96, v99, v169, -v96
	s_waitcnt vmcnt(42)
	v_fmac_f32_e32 v120, v116, v182
	v_add_f32_e32 v95, v95, v96
	v_mul_f32_e32 v96, v102, v162
	v_add_f32_e32 v123, v119, v120
	ds_read_b128 v[119:122], v94 offset:576
	v_fma_f32 v96, v101, v170, -v96
	v_add_f32_e32 v95, v95, v96
	v_mul_f32_e32 v96, v104, v163
	s_waitcnt vmcnt(40)
	v_mul_f32_e32 v124, v117, v184
	v_fma_f32 v96, v103, v171, -v96
	v_fmac_f32_e32 v124, v118, v183
	v_add_f32_e32 v95, v95, v96
	v_mul_f32_e32 v96, v106, v164
	v_add_f32_e32 v127, v123, v124
	ds_read_b128 v[123:126], v94 offset:592
	v_fma_f32 v96, v105, v172, -v96
	s_waitcnt vmcnt(39) lgkmcnt(1)
	v_mul_f32_e32 v128, v119, v185
	v_add_f32_e32 v95, v95, v96
	v_mul_f32_e32 v96, v108, v165
	s_waitcnt vmcnt(38)
	v_fmac_f32_e32 v128, v120, v186
	v_fma_f32 v96, v107, v173, -v96
	v_add_f32_e32 v127, v127, v128
	s_waitcnt vmcnt(36)
	v_mul_f32_e32 v128, v121, v188
	v_add_f32_e32 v95, v95, v96
	v_mul_f32_e32 v96, v110, v166
	v_fmac_f32_e32 v128, v122, v187
	v_fma_f32 v96, v109, v174, -v96
	v_add_f32_e32 v127, v127, v128
	s_waitcnt vmcnt(34) lgkmcnt(0)
	v_mul_f32_e32 v128, v123, v190
	v_add_f32_e32 v95, v95, v96
	v_mul_f32_e32 v96, v112, v175
	v_fmac_f32_e32 v128, v124, v189
	v_fma_f32 v96, v111, v176, -v96
	v_add_f32_e32 v131, v127, v128
	ds_read_b128 v[127:130], v94 offset:608
	v_add_f32_e32 v95, v95, v96
	v_mul_f32_e32 v96, v114, v178
	v_fma_f32 v96, v113, v177, -v96
	s_waitcnt vmcnt(32)
	v_mul_f32_e32 v132, v125, v192
	v_add_f32_e32 v95, v95, v96
	v_mul_f32_e32 v96, v116, v181
	v_fmac_f32_e32 v132, v126, v191
	v_fma_f32 v96, v115, v182, -v96
	v_add_f32_e32 v135, v131, v132
	ds_read_b128 v[131:134], v94 offset:624
	v_add_f32_e32 v95, v95, v96
	v_mul_f32_e32 v96, v118, v184
	s_waitcnt vmcnt(30) lgkmcnt(1)
	v_mul_f32_e32 v136, v127, v194
	v_fma_f32 v96, v117, v183, -v96
	v_fmac_f32_e32 v136, v128, v193
	v_add_f32_e32 v95, v95, v96
	v_mul_f32_e32 v96, v120, v185
	v_add_f32_e32 v135, v135, v136
	s_waitcnt vmcnt(28)
	v_mul_f32_e32 v136, v129, v196
	v_fma_f32 v96, v119, v186, -v96
	v_fmac_f32_e32 v136, v130, v195
	v_add_f32_e32 v95, v95, v96
	v_mul_f32_e32 v96, v122, v188
	v_add_f32_e32 v135, v135, v136
	s_waitcnt vmcnt(26) lgkmcnt(0)
	v_mul_f32_e32 v136, v131, v198
	v_fma_f32 v96, v121, v187, -v96
	v_fmac_f32_e32 v136, v132, v197
	v_add_f32_e32 v95, v95, v96
	v_mul_f32_e32 v96, v124, v190
	v_add_f32_e32 v139, v135, v136
	ds_read_b128 v[135:138], v94 offset:640
	v_fma_f32 v96, v123, v189, -v96
	v_add_f32_e32 v95, v95, v96
	v_mul_f32_e32 v96, v126, v192
	s_waitcnt vmcnt(24)
	v_mul_f32_e32 v140, v133, v200
	v_fma_f32 v96, v125, v191, -v96
	v_fmac_f32_e32 v140, v134, v199
	v_add_f32_e32 v95, v95, v96
	v_mul_f32_e32 v96, v128, v194
	v_add_f32_e32 v143, v139, v140
	ds_read_b128 v[139:142], v94 offset:656
	v_fma_f32 v96, v127, v193, -v96
	s_waitcnt vmcnt(22) lgkmcnt(1)
	v_mul_f32_e32 v144, v135, v202
	v_add_f32_e32 v95, v95, v96
	v_mul_f32_e32 v96, v130, v196
	v_fmac_f32_e32 v144, v136, v201
	v_fma_f32 v96, v129, v195, -v96
	v_add_f32_e32 v143, v143, v144
	s_waitcnt vmcnt(20)
	v_mul_f32_e32 v144, v137, v204
	v_add_f32_e32 v95, v95, v96
	v_mul_f32_e32 v96, v132, v198
	v_fmac_f32_e32 v144, v138, v203
	v_fma_f32 v96, v131, v197, -v96
	v_add_f32_e32 v143, v143, v144
	s_waitcnt vmcnt(18) lgkmcnt(0)
	v_mul_f32_e32 v144, v139, v206
	v_add_f32_e32 v95, v95, v96
	v_mul_f32_e32 v96, v134, v200
	v_fmac_f32_e32 v144, v140, v205
	v_fma_f32 v96, v133, v199, -v96
	v_add_f32_e32 v147, v143, v144
	ds_read_b128 v[143:146], v94 offset:672
	v_add_f32_e32 v95, v95, v96
	v_mul_f32_e32 v96, v136, v202
	v_fma_f32 v96, v135, v201, -v96
	s_waitcnt vmcnt(16)
	v_mul_f32_e32 v148, v141, v208
	v_add_f32_e32 v95, v95, v96
	v_mul_f32_e32 v96, v138, v204
	v_fmac_f32_e32 v148, v142, v207
	v_fma_f32 v96, v137, v203, -v96
	v_add_f32_e32 v151, v147, v148
	ds_read_b128 v[147:150], v94 offset:688
	v_add_f32_e32 v95, v95, v96
	v_mul_f32_e32 v96, v140, v206
	s_waitcnt vmcnt(14) lgkmcnt(1)
	v_mul_f32_e32 v152, v143, v210
	v_fma_f32 v96, v139, v205, -v96
	v_fmac_f32_e32 v152, v144, v209
	v_add_f32_e32 v95, v95, v96
	v_mul_f32_e32 v96, v142, v208
	v_add_f32_e32 v151, v151, v152
	s_waitcnt vmcnt(12)
	v_mul_f32_e32 v152, v145, v212
	v_fma_f32 v96, v141, v207, -v96
	v_fmac_f32_e32 v152, v146, v211
	v_add_f32_e32 v95, v95, v96
	v_mul_f32_e32 v96, v144, v210
	v_add_f32_e32 v151, v151, v152
	s_waitcnt vmcnt(10) lgkmcnt(0)
	v_mul_f32_e32 v152, v147, v214
	v_fma_f32 v96, v143, v209, -v96
	v_fmac_f32_e32 v152, v148, v213
	v_add_f32_e32 v95, v95, v96
	v_mul_f32_e32 v96, v146, v212
	v_add_f32_e32 v155, v151, v152
	ds_read_b128 v[151:154], v94 offset:704
	v_fma_f32 v96, v145, v211, -v96
	v_add_f32_e32 v95, v95, v96
	v_mul_f32_e32 v96, v148, v214
	s_waitcnt vmcnt(8)
	v_mul_f32_e32 v156, v149, v216
	v_fma_f32 v96, v147, v213, -v96
	v_fmac_f32_e32 v156, v150, v215
	v_add_f32_e32 v95, v95, v96
	v_mul_f32_e32 v96, v150, v216
	v_add_f32_e32 v225, v155, v156
	ds_read_b128 v[155:158], v94 offset:720
	v_fma_f32 v96, v149, v215, -v96
	v_add_f32_e32 v95, v95, v96
	s_waitcnt vmcnt(6) lgkmcnt(1)
	v_mul_f32_e32 v96, v152, v218
	v_mul_f32_e32 v94, v151, v218
	v_fma_f32 v96, v151, v217, -v96
	v_fmac_f32_e32 v94, v152, v217
	v_add_f32_e32 v95, v95, v96
	s_waitcnt vmcnt(5)
	v_mul_f32_e32 v96, v154, v219
	v_add_f32_e32 v94, v225, v94
	v_mul_f32_e32 v225, v153, v219
	s_waitcnt vmcnt(4)
	v_fma_f32 v96, v153, v220, -v96
	v_fmac_f32_e32 v225, v154, v220
	v_add_f32_e32 v95, v95, v96
	s_waitcnt vmcnt(2) lgkmcnt(0)
	v_mul_f32_e32 v96, v156, v222
	v_add_f32_e32 v94, v94, v225
	v_mul_f32_e32 v225, v155, v222
	v_fma_f32 v96, v155, v221, -v96
	v_fmac_f32_e32 v225, v156, v221
	v_add_f32_e32 v95, v95, v96
	s_waitcnt vmcnt(0)
	v_mul_f32_e32 v96, v158, v224
	v_add_f32_e32 v94, v94, v225
	v_mul_f32_e32 v225, v157, v224
	v_fma_f32 v96, v157, v223, -v96
	v_fmac_f32_e32 v225, v158, v223
	v_add_f32_e32 v95, v95, v96
	v_add_f32_e32 v94, v94, v225
	v_sub_f32_e32 v95, v179, v95
	v_sub_f32_e32 v94, v180, v94
	buffer_store_dword v95, off, s[0:3], 0 offset:104
	buffer_store_dword v94, off, s[0:3], 0 offset:108
	s_and_saveexec_b64 s[4:5], vcc
	s_cbranch_execz .LBB109_265
; %bb.264:
	buffer_load_dword v94, off, s[0:3], 0 offset:96
	buffer_load_dword v95, off, s[0:3], 0 offset:100
	v_mov_b32_e32 v96, 0
	buffer_store_dword v96, off, s[0:3], 0 offset:96
	buffer_store_dword v96, off, s[0:3], 0 offset:100
	s_waitcnt vmcnt(2)
	ds_write_b64 v93, v[94:95]
.LBB109_265:
	s_or_b64 exec, exec, s[4:5]
	s_waitcnt lgkmcnt(0)
	; wave barrier
	buffer_load_dword v161, off, s[0:3], 0 offset:108
	buffer_load_dword v162, off, s[0:3], 0 offset:116
	;; [unrolled: 1-line block ×58, first 2 shown]
	v_mov_b32_e32 v94, 0
	ds_read2_b64 v[95:98], v94 offset0:59 offset1:60
	ds_read2_b64 v[99:102], v94 offset0:61 offset1:62
	;; [unrolled: 1-line block ×5, first 2 shown]
	buffer_load_dword v219, off, s[0:3], 0 offset:328
	buffer_load_dword v220, off, s[0:3], 0 offset:332
	v_cmp_lt_u32_e32 vcc, 11, v0
	s_waitcnt vmcnt(59) lgkmcnt(4)
	v_mul_f32_e32 v115, v95, v161
	s_waitcnt vmcnt(58)
	v_mul_f32_e32 v116, v97, v162
	s_waitcnt vmcnt(57) lgkmcnt(3)
	v_mul_f32_e32 v117, v99, v163
	s_waitcnt vmcnt(56)
	v_mul_f32_e32 v118, v101, v164
	;; [unrolled: 4-line block ×4, first 2 shown]
	s_waitcnt vmcnt(51)
	v_fmac_f32_e32 v115, v96, v169
	s_waitcnt vmcnt(50)
	v_fmac_f32_e32 v116, v98, v170
	v_add_f32_e32 v115, 0, v115
	s_waitcnt vmcnt(49)
	v_fmac_f32_e32 v117, v100, v171
	v_add_f32_e32 v115, v115, v116
	;; [unrolled: 3-line block ×7, first 2 shown]
	v_add_f32_e32 v119, v115, v122
	ds_read2_b64 v[115:118], v94 offset0:69 offset1:70
	buffer_load_dword v221, off, s[0:3], 0 offset:340
	buffer_load_dword v222, off, s[0:3], 0 offset:336
	;; [unrolled: 1-line block ×8, first 2 shown]
	s_waitcnt vmcnt(51) lgkmcnt(1)
	v_mul_f32_e32 v120, v111, v177
	s_waitcnt vmcnt(50)
	v_fmac_f32_e32 v120, v112, v178
	v_mul_f32_e32 v96, v96, v161
	v_add_f32_e32 v119, v119, v120
	s_waitcnt vmcnt(49)
	v_mul_f32_e32 v120, v113, v179
	v_fma_f32 v95, v95, v169, -v96
	v_mul_f32_e32 v96, v98, v162
	s_waitcnt vmcnt(46)
	v_fmac_f32_e32 v120, v114, v182
	v_add_f32_e32 v95, 0, v95
	v_fma_f32 v96, v97, v170, -v96
	v_add_f32_e32 v119, v119, v120
	s_waitcnt vmcnt(44) lgkmcnt(0)
	v_mul_f32_e32 v120, v115, v184
	v_add_f32_e32 v95, v95, v96
	v_mul_f32_e32 v96, v100, v163
	v_fmac_f32_e32 v120, v116, v183
	v_fma_f32 v96, v99, v171, -v96
	v_add_f32_e32 v123, v119, v120
	ds_read2_b64 v[119:122], v94 offset0:71 offset1:72
	v_add_f32_e32 v95, v95, v96
	v_mul_f32_e32 v96, v102, v164
	v_fma_f32 v96, v101, v172, -v96
	s_waitcnt vmcnt(42)
	v_mul_f32_e32 v124, v117, v186
	v_add_f32_e32 v95, v95, v96
	v_mul_f32_e32 v96, v104, v165
	v_fmac_f32_e32 v124, v118, v185
	v_fma_f32 v96, v103, v173, -v96
	v_add_f32_e32 v127, v123, v124
	ds_read2_b64 v[123:126], v94 offset0:73 offset1:74
	v_add_f32_e32 v95, v95, v96
	v_mul_f32_e32 v96, v106, v166
	s_waitcnt vmcnt(40) lgkmcnt(1)
	v_mul_f32_e32 v128, v119, v188
	v_fma_f32 v96, v105, v174, -v96
	v_fmac_f32_e32 v128, v120, v187
	v_add_f32_e32 v95, v95, v96
	v_mul_f32_e32 v96, v108, v167
	v_add_f32_e32 v127, v127, v128
	s_waitcnt vmcnt(38)
	v_mul_f32_e32 v128, v121, v190
	v_fma_f32 v96, v107, v175, -v96
	v_fmac_f32_e32 v128, v122, v189
	v_add_f32_e32 v95, v95, v96
	v_mul_f32_e32 v96, v110, v168
	v_add_f32_e32 v127, v127, v128
	s_waitcnt vmcnt(36) lgkmcnt(0)
	v_mul_f32_e32 v128, v123, v192
	v_fma_f32 v96, v109, v176, -v96
	v_fmac_f32_e32 v128, v124, v191
	v_add_f32_e32 v95, v95, v96
	v_mul_f32_e32 v96, v112, v177
	v_add_f32_e32 v131, v127, v128
	ds_read2_b64 v[127:130], v94 offset0:75 offset1:76
	v_fma_f32 v96, v111, v178, -v96
	v_add_f32_e32 v95, v95, v96
	v_mul_f32_e32 v96, v114, v179
	s_waitcnt vmcnt(34)
	v_mul_f32_e32 v132, v125, v194
	v_fma_f32 v96, v113, v182, -v96
	v_fmac_f32_e32 v132, v126, v193
	v_add_f32_e32 v95, v95, v96
	v_mul_f32_e32 v96, v116, v184
	v_add_f32_e32 v135, v131, v132
	ds_read2_b64 v[131:134], v94 offset0:77 offset1:78
	v_fma_f32 v96, v115, v183, -v96
	s_waitcnt vmcnt(32) lgkmcnt(1)
	v_mul_f32_e32 v136, v127, v196
	v_add_f32_e32 v95, v95, v96
	v_mul_f32_e32 v96, v118, v186
	v_fmac_f32_e32 v136, v128, v195
	v_fma_f32 v96, v117, v185, -v96
	v_add_f32_e32 v135, v135, v136
	s_waitcnt vmcnt(30)
	v_mul_f32_e32 v136, v129, v198
	v_add_f32_e32 v95, v95, v96
	v_mul_f32_e32 v96, v120, v188
	v_fmac_f32_e32 v136, v130, v197
	v_fma_f32 v96, v119, v187, -v96
	v_add_f32_e32 v135, v135, v136
	s_waitcnt vmcnt(28) lgkmcnt(0)
	v_mul_f32_e32 v136, v131, v200
	v_add_f32_e32 v95, v95, v96
	v_mul_f32_e32 v96, v122, v190
	v_fmac_f32_e32 v136, v132, v199
	v_fma_f32 v96, v121, v189, -v96
	v_add_f32_e32 v139, v135, v136
	ds_read2_b64 v[135:138], v94 offset0:79 offset1:80
	v_add_f32_e32 v95, v95, v96
	v_mul_f32_e32 v96, v124, v192
	v_fma_f32 v96, v123, v191, -v96
	s_waitcnt vmcnt(26)
	v_mul_f32_e32 v140, v133, v202
	v_add_f32_e32 v95, v95, v96
	v_mul_f32_e32 v96, v126, v194
	v_fmac_f32_e32 v140, v134, v201
	v_fma_f32 v96, v125, v193, -v96
	v_add_f32_e32 v143, v139, v140
	ds_read2_b64 v[139:142], v94 offset0:81 offset1:82
	v_add_f32_e32 v95, v95, v96
	v_mul_f32_e32 v96, v128, v196
	s_waitcnt vmcnt(24) lgkmcnt(1)
	v_mul_f32_e32 v144, v135, v204
	v_fma_f32 v96, v127, v195, -v96
	v_fmac_f32_e32 v144, v136, v203
	v_add_f32_e32 v95, v95, v96
	v_mul_f32_e32 v96, v130, v198
	v_add_f32_e32 v143, v143, v144
	s_waitcnt vmcnt(22)
	v_mul_f32_e32 v144, v137, v206
	v_fma_f32 v96, v129, v197, -v96
	v_fmac_f32_e32 v144, v138, v205
	v_add_f32_e32 v95, v95, v96
	v_mul_f32_e32 v96, v132, v200
	v_add_f32_e32 v143, v143, v144
	s_waitcnt vmcnt(20) lgkmcnt(0)
	v_mul_f32_e32 v144, v139, v208
	v_fma_f32 v96, v131, v199, -v96
	v_fmac_f32_e32 v144, v140, v207
	v_add_f32_e32 v95, v95, v96
	v_mul_f32_e32 v96, v134, v202
	v_add_f32_e32 v147, v143, v144
	ds_read2_b64 v[143:146], v94 offset0:83 offset1:84
	v_fma_f32 v96, v133, v201, -v96
	v_add_f32_e32 v95, v95, v96
	v_mul_f32_e32 v96, v136, v204
	s_waitcnt vmcnt(18)
	v_mul_f32_e32 v148, v141, v210
	v_fma_f32 v96, v135, v203, -v96
	v_fmac_f32_e32 v148, v142, v209
	v_add_f32_e32 v95, v95, v96
	v_mul_f32_e32 v96, v138, v206
	v_add_f32_e32 v151, v147, v148
	ds_read2_b64 v[147:150], v94 offset0:85 offset1:86
	v_fma_f32 v96, v137, v205, -v96
	s_waitcnt vmcnt(16) lgkmcnt(1)
	v_mul_f32_e32 v152, v143, v212
	v_add_f32_e32 v95, v95, v96
	v_mul_f32_e32 v96, v140, v208
	v_fmac_f32_e32 v152, v144, v211
	v_fma_f32 v96, v139, v207, -v96
	v_add_f32_e32 v151, v151, v152
	s_waitcnt vmcnt(14)
	v_mul_f32_e32 v152, v145, v214
	v_add_f32_e32 v95, v95, v96
	v_mul_f32_e32 v96, v142, v210
	v_fmac_f32_e32 v152, v146, v213
	v_fma_f32 v96, v141, v209, -v96
	v_add_f32_e32 v151, v151, v152
	s_waitcnt vmcnt(12) lgkmcnt(0)
	v_mul_f32_e32 v152, v147, v216
	v_add_f32_e32 v95, v95, v96
	v_mul_f32_e32 v96, v144, v212
	v_fmac_f32_e32 v152, v148, v215
	v_fma_f32 v96, v143, v211, -v96
	v_add_f32_e32 v155, v151, v152
	ds_read2_b64 v[151:154], v94 offset0:87 offset1:88
	v_add_f32_e32 v95, v95, v96
	v_mul_f32_e32 v96, v146, v214
	v_fma_f32 v96, v145, v213, -v96
	v_add_f32_e32 v95, v95, v96
	v_mul_f32_e32 v96, v148, v216
	s_waitcnt vmcnt(10)
	v_mul_f32_e32 v156, v149, v218
	v_fma_f32 v96, v147, v215, -v96
	v_fmac_f32_e32 v156, v150, v217
	v_add_f32_e32 v95, v95, v96
	v_mul_f32_e32 v96, v150, v218
	v_add_f32_e32 v159, v155, v156
	ds_read2_b64 v[155:158], v94 offset0:89 offset1:90
	s_waitcnt vmcnt(8) lgkmcnt(1)
	v_mul_f32_e32 v160, v151, v220
	v_fma_f32 v96, v149, v217, -v96
	v_fmac_f32_e32 v160, v152, v219
	v_add_f32_e32 v95, v95, v96
	v_mul_f32_e32 v96, v152, v220
	v_add_f32_e32 v159, v159, v160
	s_waitcnt vmcnt(7)
	v_mul_f32_e32 v160, v153, v221
	v_fma_f32 v96, v151, v219, -v96
	s_waitcnt vmcnt(6)
	v_fmac_f32_e32 v160, v154, v222
	v_add_f32_e32 v95, v95, v96
	v_mul_f32_e32 v96, v154, v221
	v_add_f32_e32 v229, v159, v160
	ds_read_b64 v[159:160], v94 offset:728
	v_fma_f32 v96, v153, v222, -v96
	v_add_f32_e32 v95, v95, v96
	s_waitcnt vmcnt(4) lgkmcnt(1)
	v_mul_f32_e32 v96, v156, v224
	v_mul_f32_e32 v230, v155, v224
	v_fma_f32 v96, v155, v223, -v96
	v_fmac_f32_e32 v230, v156, v223
	v_add_f32_e32 v95, v95, v96
	s_waitcnt vmcnt(3)
	v_mul_f32_e32 v96, v158, v225
	v_add_f32_e32 v229, v229, v230
	v_mul_f32_e32 v230, v157, v225
	s_waitcnt vmcnt(2)
	v_fma_f32 v96, v157, v226, -v96
	v_fmac_f32_e32 v230, v158, v226
	v_add_f32_e32 v95, v95, v96
	s_waitcnt vmcnt(0) lgkmcnt(0)
	v_mul_f32_e32 v96, v160, v228
	v_add_f32_e32 v229, v229, v230
	v_mul_f32_e32 v230, v159, v228
	v_fma_f32 v96, v159, v227, -v96
	v_fmac_f32_e32 v230, v160, v227
	v_add_f32_e32 v95, v95, v96
	v_add_f32_e32 v229, v229, v230
	v_sub_f32_e32 v95, v180, v95
	v_sub_f32_e32 v96, v181, v229
	buffer_store_dword v95, off, s[0:3], 0 offset:96
	buffer_store_dword v96, off, s[0:3], 0 offset:100
	s_and_saveexec_b64 s[4:5], vcc
	s_cbranch_execz .LBB109_267
; %bb.266:
	buffer_load_dword v95, off, s[0:3], 0 offset:88
	buffer_load_dword v96, off, s[0:3], 0 offset:92
	s_waitcnt vmcnt(0)
	ds_write_b64 v93, v[95:96]
	buffer_store_dword v94, off, s[0:3], 0 offset:88
	buffer_store_dword v94, off, s[0:3], 0 offset:92
.LBB109_267:
	s_or_b64 exec, exec, s[4:5]
	s_waitcnt lgkmcnt(0)
	; wave barrier
	buffer_load_dword v163, off, s[0:3], 0 offset:100
	buffer_load_dword v164, off, s[0:3], 0 offset:108
	;; [unrolled: 1-line block ×24, first 2 shown]
	ds_read_b128 v[95:98], v94 offset:464
	ds_read_b128 v[99:102], v94 offset:480
	;; [unrolled: 1-line block ×6, first 2 shown]
	buffer_load_dword v187, off, s[0:3], 0 offset:188
	buffer_load_dword v188, off, s[0:3], 0 offset:184
	;; [unrolled: 1-line block ×46, first 2 shown]
	v_cmp_lt_u32_e32 vcc, 10, v0
	s_waitcnt vmcnt(62) lgkmcnt(5)
	v_mul_f32_e32 v119, v95, v163
	v_mul_f32_e32 v120, v97, v164
	s_waitcnt lgkmcnt(4)
	v_mul_f32_e32 v121, v99, v165
	v_mul_f32_e32 v122, v101, v166
	s_waitcnt lgkmcnt(3)
	;; [unrolled: 3-line block ×3, first 2 shown]
	v_mul_f32_e32 v125, v107, v169
	v_mul_f32_e32 v126, v109, v170
	s_waitcnt vmcnt(61)
	v_fmac_f32_e32 v119, v96, v171
	s_waitcnt vmcnt(60)
	v_fmac_f32_e32 v120, v98, v172
	v_add_f32_e32 v119, 0, v119
	s_waitcnt vmcnt(59)
	v_fmac_f32_e32 v121, v100, v173
	v_add_f32_e32 v119, v119, v120
	;; [unrolled: 3-line block ×7, first 2 shown]
	s_waitcnt vmcnt(53) lgkmcnt(1)
	v_mul_f32_e32 v120, v111, v179
	v_add_f32_e32 v119, v119, v126
	s_waitcnt vmcnt(52)
	v_fmac_f32_e32 v120, v112, v180
	v_mul_f32_e32 v96, v96, v163
	v_add_f32_e32 v119, v119, v120
	s_waitcnt vmcnt(51)
	v_mul_f32_e32 v120, v113, v181
	v_fma_f32 v95, v95, v171, -v96
	v_mul_f32_e32 v96, v98, v164
	s_waitcnt vmcnt(50)
	v_fmac_f32_e32 v120, v114, v182
	v_add_f32_e32 v95, 0, v95
	v_fma_f32 v96, v97, v172, -v96
	v_add_f32_e32 v119, v119, v120
	s_waitcnt vmcnt(47) lgkmcnt(0)
	v_mul_f32_e32 v120, v115, v185
	v_add_f32_e32 v95, v95, v96
	v_mul_f32_e32 v96, v100, v165
	s_waitcnt vmcnt(46)
	v_fmac_f32_e32 v120, v116, v186
	v_fma_f32 v96, v99, v173, -v96
	v_add_f32_e32 v123, v119, v120
	ds_read_b128 v[119:122], v94 offset:560
	v_add_f32_e32 v95, v95, v96
	v_mul_f32_e32 v96, v102, v166
	v_fma_f32 v96, v101, v174, -v96
	s_waitcnt vmcnt(45)
	v_mul_f32_e32 v124, v117, v187
	v_add_f32_e32 v95, v95, v96
	v_mul_f32_e32 v96, v104, v167
	s_waitcnt vmcnt(44)
	v_fmac_f32_e32 v124, v118, v188
	v_fma_f32 v96, v103, v175, -v96
	v_add_f32_e32 v127, v123, v124
	ds_read_b128 v[123:126], v94 offset:576
	v_add_f32_e32 v95, v95, v96
	v_mul_f32_e32 v96, v106, v168
	s_waitcnt vmcnt(42) lgkmcnt(1)
	v_mul_f32_e32 v128, v119, v190
	v_fma_f32 v96, v105, v176, -v96
	v_fmac_f32_e32 v128, v120, v189
	v_add_f32_e32 v95, v95, v96
	v_mul_f32_e32 v96, v108, v169
	v_add_f32_e32 v127, v127, v128
	s_waitcnt vmcnt(40)
	v_mul_f32_e32 v128, v121, v192
	v_fma_f32 v96, v107, v177, -v96
	v_fmac_f32_e32 v128, v122, v191
	v_add_f32_e32 v95, v95, v96
	v_mul_f32_e32 v96, v110, v170
	v_add_f32_e32 v127, v127, v128
	s_waitcnt vmcnt(38) lgkmcnt(0)
	v_mul_f32_e32 v128, v123, v194
	v_fma_f32 v96, v109, v178, -v96
	v_fmac_f32_e32 v128, v124, v193
	v_add_f32_e32 v95, v95, v96
	v_mul_f32_e32 v96, v112, v179
	v_add_f32_e32 v131, v127, v128
	ds_read_b128 v[127:130], v94 offset:592
	v_fma_f32 v96, v111, v180, -v96
	v_add_f32_e32 v95, v95, v96
	v_mul_f32_e32 v96, v114, v181
	s_waitcnt vmcnt(36)
	v_mul_f32_e32 v132, v125, v196
	v_fma_f32 v96, v113, v182, -v96
	v_fmac_f32_e32 v132, v126, v195
	v_add_f32_e32 v95, v95, v96
	v_mul_f32_e32 v96, v116, v185
	v_add_f32_e32 v135, v131, v132
	ds_read_b128 v[131:134], v94 offset:608
	v_fma_f32 v96, v115, v186, -v96
	s_waitcnt vmcnt(34) lgkmcnt(1)
	v_mul_f32_e32 v136, v127, v198
	v_add_f32_e32 v95, v95, v96
	v_mul_f32_e32 v96, v118, v187
	v_fmac_f32_e32 v136, v128, v197
	v_fma_f32 v96, v117, v188, -v96
	v_add_f32_e32 v135, v135, v136
	s_waitcnt vmcnt(32)
	v_mul_f32_e32 v136, v129, v200
	v_add_f32_e32 v95, v95, v96
	v_mul_f32_e32 v96, v120, v190
	v_fmac_f32_e32 v136, v130, v199
	v_fma_f32 v96, v119, v189, -v96
	v_add_f32_e32 v135, v135, v136
	s_waitcnt vmcnt(30) lgkmcnt(0)
	v_mul_f32_e32 v136, v131, v202
	v_add_f32_e32 v95, v95, v96
	v_mul_f32_e32 v96, v122, v192
	v_fmac_f32_e32 v136, v132, v201
	v_fma_f32 v96, v121, v191, -v96
	v_add_f32_e32 v139, v135, v136
	ds_read_b128 v[135:138], v94 offset:624
	v_add_f32_e32 v95, v95, v96
	v_mul_f32_e32 v96, v124, v194
	v_fma_f32 v96, v123, v193, -v96
	s_waitcnt vmcnt(28)
	v_mul_f32_e32 v140, v133, v204
	v_add_f32_e32 v95, v95, v96
	v_mul_f32_e32 v96, v126, v196
	v_fmac_f32_e32 v140, v134, v203
	v_fma_f32 v96, v125, v195, -v96
	v_add_f32_e32 v143, v139, v140
	ds_read_b128 v[139:142], v94 offset:640
	v_add_f32_e32 v95, v95, v96
	v_mul_f32_e32 v96, v128, v198
	s_waitcnt vmcnt(26) lgkmcnt(1)
	v_mul_f32_e32 v144, v135, v206
	v_fma_f32 v96, v127, v197, -v96
	v_fmac_f32_e32 v144, v136, v205
	v_add_f32_e32 v95, v95, v96
	v_mul_f32_e32 v96, v130, v200
	v_add_f32_e32 v143, v143, v144
	s_waitcnt vmcnt(24)
	v_mul_f32_e32 v144, v137, v208
	v_fma_f32 v96, v129, v199, -v96
	v_fmac_f32_e32 v144, v138, v207
	v_add_f32_e32 v95, v95, v96
	v_mul_f32_e32 v96, v132, v202
	v_add_f32_e32 v143, v143, v144
	s_waitcnt vmcnt(22) lgkmcnt(0)
	v_mul_f32_e32 v144, v139, v210
	v_fma_f32 v96, v131, v201, -v96
	v_fmac_f32_e32 v144, v140, v209
	v_add_f32_e32 v95, v95, v96
	v_mul_f32_e32 v96, v134, v204
	v_add_f32_e32 v147, v143, v144
	ds_read_b128 v[143:146], v94 offset:656
	v_fma_f32 v96, v133, v203, -v96
	v_add_f32_e32 v95, v95, v96
	v_mul_f32_e32 v96, v136, v206
	s_waitcnt vmcnt(20)
	v_mul_f32_e32 v148, v141, v212
	v_fma_f32 v96, v135, v205, -v96
	v_fmac_f32_e32 v148, v142, v211
	v_add_f32_e32 v95, v95, v96
	v_mul_f32_e32 v96, v138, v208
	v_add_f32_e32 v151, v147, v148
	ds_read_b128 v[147:150], v94 offset:672
	v_fma_f32 v96, v137, v207, -v96
	s_waitcnt vmcnt(18) lgkmcnt(1)
	v_mul_f32_e32 v152, v143, v214
	v_add_f32_e32 v95, v95, v96
	v_mul_f32_e32 v96, v140, v210
	v_fmac_f32_e32 v152, v144, v213
	v_fma_f32 v96, v139, v209, -v96
	v_add_f32_e32 v151, v151, v152
	s_waitcnt vmcnt(16)
	v_mul_f32_e32 v152, v145, v216
	v_add_f32_e32 v95, v95, v96
	v_mul_f32_e32 v96, v142, v212
	v_fmac_f32_e32 v152, v146, v215
	v_fma_f32 v96, v141, v211, -v96
	v_add_f32_e32 v151, v151, v152
	s_waitcnt vmcnt(14) lgkmcnt(0)
	v_mul_f32_e32 v152, v147, v218
	v_add_f32_e32 v95, v95, v96
	v_mul_f32_e32 v96, v144, v214
	v_fmac_f32_e32 v152, v148, v217
	v_fma_f32 v96, v143, v213, -v96
	v_add_f32_e32 v155, v151, v152
	ds_read_b128 v[151:154], v94 offset:688
	v_add_f32_e32 v95, v95, v96
	v_mul_f32_e32 v96, v146, v216
	v_fma_f32 v96, v145, v215, -v96
	v_add_f32_e32 v95, v95, v96
	v_mul_f32_e32 v96, v148, v218
	s_waitcnt vmcnt(12)
	v_mul_f32_e32 v156, v149, v220
	v_fma_f32 v96, v147, v217, -v96
	v_fmac_f32_e32 v156, v150, v219
	v_add_f32_e32 v95, v95, v96
	v_mul_f32_e32 v96, v150, v220
	v_add_f32_e32 v159, v155, v156
	ds_read_b128 v[155:158], v94 offset:704
	s_waitcnt vmcnt(10) lgkmcnt(1)
	v_mul_f32_e32 v160, v151, v222
	v_fma_f32 v96, v149, v219, -v96
	v_fmac_f32_e32 v160, v152, v221
	v_add_f32_e32 v95, v95, v96
	v_mul_f32_e32 v96, v152, v222
	v_add_f32_e32 v159, v159, v160
	s_waitcnt vmcnt(9)
	v_mul_f32_e32 v160, v153, v223
	v_fma_f32 v96, v151, v221, -v96
	s_waitcnt vmcnt(8)
	v_fmac_f32_e32 v160, v154, v224
	v_add_f32_e32 v95, v95, v96
	v_mul_f32_e32 v96, v154, v223
	v_add_f32_e32 v233, v159, v160
	ds_read_b128 v[159:162], v94 offset:720
	v_fma_f32 v96, v153, v224, -v96
	v_add_f32_e32 v95, v95, v96
	s_waitcnt vmcnt(6) lgkmcnt(1)
	v_mul_f32_e32 v96, v156, v226
	v_mul_f32_e32 v234, v155, v226
	v_fma_f32 v96, v155, v225, -v96
	v_fmac_f32_e32 v234, v156, v225
	v_add_f32_e32 v95, v95, v96
	s_waitcnt vmcnt(4)
	v_mul_f32_e32 v96, v158, v228
	v_add_f32_e32 v94, v233, v234
	v_mul_f32_e32 v233, v157, v228
	v_fma_f32 v96, v157, v227, -v96
	v_fmac_f32_e32 v233, v158, v227
	v_add_f32_e32 v95, v95, v96
	s_waitcnt vmcnt(3) lgkmcnt(0)
	v_mul_f32_e32 v96, v160, v229
	v_add_f32_e32 v94, v94, v233
	v_mul_f32_e32 v233, v159, v229
	s_waitcnt vmcnt(2)
	v_fma_f32 v96, v159, v230, -v96
	v_fmac_f32_e32 v233, v160, v230
	v_add_f32_e32 v95, v95, v96
	s_waitcnt vmcnt(0)
	v_mul_f32_e32 v96, v162, v232
	v_add_f32_e32 v94, v94, v233
	v_mul_f32_e32 v233, v161, v232
	v_fma_f32 v96, v161, v231, -v96
	v_fmac_f32_e32 v233, v162, v231
	v_add_f32_e32 v95, v95, v96
	v_add_f32_e32 v94, v94, v233
	v_sub_f32_e32 v95, v183, v95
	v_sub_f32_e32 v94, v184, v94
	buffer_store_dword v95, off, s[0:3], 0 offset:88
	buffer_store_dword v94, off, s[0:3], 0 offset:92
	s_and_saveexec_b64 s[4:5], vcc
	s_cbranch_execz .LBB109_269
; %bb.268:
	buffer_load_dword v94, off, s[0:3], 0 offset:80
	buffer_load_dword v95, off, s[0:3], 0 offset:84
	v_mov_b32_e32 v96, 0
	buffer_store_dword v96, off, s[0:3], 0 offset:80
	buffer_store_dword v96, off, s[0:3], 0 offset:84
	s_waitcnt vmcnt(2)
	ds_write_b64 v93, v[94:95]
.LBB109_269:
	s_or_b64 exec, exec, s[4:5]
	s_waitcnt lgkmcnt(0)
	; wave barrier
	buffer_load_dword v165, off, s[0:3], 0 offset:92
	buffer_load_dword v166, off, s[0:3], 0 offset:100
	;; [unrolled: 1-line block ×56, first 2 shown]
	v_mov_b32_e32 v94, 0
	ds_read2_b64 v[95:98], v94 offset0:57 offset1:58
	ds_read2_b64 v[99:102], v94 offset0:59 offset1:60
	;; [unrolled: 1-line block ×6, first 2 shown]
	buffer_load_dword v221, off, s[0:3], 0 offset:304
	buffer_load_dword v222, off, s[0:3], 0 offset:308
	;; [unrolled: 1-line block ×12, first 2 shown]
	v_cmp_lt_u32_e32 vcc, 9, v0
	s_waitcnt vmcnt(62) lgkmcnt(5)
	v_mul_f32_e32 v119, v95, v165
	v_mul_f32_e32 v120, v97, v166
	s_waitcnt lgkmcnt(4)
	v_mul_f32_e32 v121, v99, v167
	v_mul_f32_e32 v122, v101, v168
	s_waitcnt lgkmcnt(3)
	v_mul_f32_e32 v123, v103, v169
	v_mul_f32_e32 v124, v105, v170
	s_waitcnt vmcnt(61) lgkmcnt(2)
	v_mul_f32_e32 v125, v107, v171
	s_waitcnt vmcnt(60)
	v_mul_f32_e32 v126, v109, v172
	s_waitcnt vmcnt(59) lgkmcnt(1)
	v_mul_f32_e32 v127, v111, v173
	s_waitcnt vmcnt(58)
	v_fmac_f32_e32 v119, v96, v174
	s_waitcnt vmcnt(57)
	v_fmac_f32_e32 v120, v98, v175
	v_add_f32_e32 v119, 0, v119
	s_waitcnt vmcnt(56)
	v_fmac_f32_e32 v121, v100, v176
	v_add_f32_e32 v119, v119, v120
	;; [unrolled: 3-line block ×7, first 2 shown]
	v_add_f32_e32 v119, v119, v126
	s_waitcnt vmcnt(50)
	v_fmac_f32_e32 v127, v112, v182
	s_waitcnt vmcnt(49)
	v_mul_f32_e32 v120, v113, v183
	v_add_f32_e32 v119, v119, v127
	s_waitcnt vmcnt(48)
	v_fmac_f32_e32 v120, v114, v184
	v_add_f32_e32 v119, v119, v120
	s_waitcnt vmcnt(47) lgkmcnt(0)
	v_mul_f32_e32 v120, v115, v185
	s_waitcnt vmcnt(44)
	v_fmac_f32_e32 v120, v116, v188
	v_add_f32_e32 v123, v119, v120
	ds_read2_b64 v[119:122], v94 offset0:69 offset1:70
	buffer_load_dword v233, off, s[0:3], 0 offset:356
	buffer_load_dword v234, off, s[0:3], 0 offset:352
	;; [unrolled: 1-line block ×4, first 2 shown]
	v_mul_f32_e32 v96, v96, v165
	v_fma_f32 v95, v95, v174, -v96
	v_mul_f32_e32 v96, v98, v166
	v_add_f32_e32 v95, 0, v95
	v_fma_f32 v96, v97, v175, -v96
	v_add_f32_e32 v95, v95, v96
	v_mul_f32_e32 v96, v100, v167
	v_fma_f32 v96, v99, v176, -v96
	s_waitcnt vmcnt(46)
	v_mul_f32_e32 v124, v117, v190
	v_add_f32_e32 v95, v95, v96
	v_mul_f32_e32 v96, v102, v168
	v_fmac_f32_e32 v124, v118, v189
	v_fma_f32 v96, v101, v177, -v96
	v_add_f32_e32 v127, v123, v124
	ds_read2_b64 v[123:126], v94 offset0:71 offset1:72
	v_add_f32_e32 v95, v95, v96
	v_mul_f32_e32 v96, v104, v169
	s_waitcnt vmcnt(44) lgkmcnt(1)
	v_mul_f32_e32 v128, v119, v192
	v_fma_f32 v96, v103, v178, -v96
	v_fmac_f32_e32 v128, v120, v191
	v_add_f32_e32 v95, v95, v96
	v_mul_f32_e32 v96, v106, v170
	v_add_f32_e32 v127, v127, v128
	s_waitcnt vmcnt(42)
	v_mul_f32_e32 v128, v121, v194
	v_fma_f32 v96, v105, v179, -v96
	v_fmac_f32_e32 v128, v122, v193
	v_add_f32_e32 v95, v95, v96
	v_mul_f32_e32 v96, v108, v171
	v_add_f32_e32 v127, v127, v128
	s_waitcnt vmcnt(40) lgkmcnt(0)
	v_mul_f32_e32 v128, v123, v196
	v_fma_f32 v96, v107, v180, -v96
	v_fmac_f32_e32 v128, v124, v195
	v_add_f32_e32 v95, v95, v96
	v_mul_f32_e32 v96, v110, v172
	v_add_f32_e32 v131, v127, v128
	ds_read2_b64 v[127:130], v94 offset0:73 offset1:74
	v_fma_f32 v96, v109, v181, -v96
	v_add_f32_e32 v95, v95, v96
	v_mul_f32_e32 v96, v112, v173
	s_waitcnt vmcnt(38)
	v_mul_f32_e32 v132, v125, v198
	v_fma_f32 v96, v111, v182, -v96
	v_fmac_f32_e32 v132, v126, v197
	v_add_f32_e32 v95, v95, v96
	v_mul_f32_e32 v96, v114, v183
	v_add_f32_e32 v135, v131, v132
	ds_read2_b64 v[131:134], v94 offset0:75 offset1:76
	v_fma_f32 v96, v113, v184, -v96
	s_waitcnt vmcnt(36) lgkmcnt(1)
	v_mul_f32_e32 v136, v127, v200
	v_add_f32_e32 v95, v95, v96
	v_mul_f32_e32 v96, v116, v185
	v_fmac_f32_e32 v136, v128, v199
	v_fma_f32 v96, v115, v188, -v96
	v_add_f32_e32 v135, v135, v136
	s_waitcnt vmcnt(34)
	v_mul_f32_e32 v136, v129, v202
	v_add_f32_e32 v95, v95, v96
	v_mul_f32_e32 v96, v118, v190
	v_fmac_f32_e32 v136, v130, v201
	v_fma_f32 v96, v117, v189, -v96
	v_add_f32_e32 v135, v135, v136
	s_waitcnt vmcnt(32) lgkmcnt(0)
	v_mul_f32_e32 v136, v131, v204
	v_add_f32_e32 v95, v95, v96
	v_mul_f32_e32 v96, v120, v192
	v_fmac_f32_e32 v136, v132, v203
	v_fma_f32 v96, v119, v191, -v96
	v_add_f32_e32 v139, v135, v136
	ds_read2_b64 v[135:138], v94 offset0:77 offset1:78
	v_add_f32_e32 v95, v95, v96
	v_mul_f32_e32 v96, v122, v194
	v_fma_f32 v96, v121, v193, -v96
	s_waitcnt vmcnt(30)
	v_mul_f32_e32 v140, v133, v206
	v_add_f32_e32 v95, v95, v96
	v_mul_f32_e32 v96, v124, v196
	v_fmac_f32_e32 v140, v134, v205
	v_fma_f32 v96, v123, v195, -v96
	v_add_f32_e32 v143, v139, v140
	ds_read2_b64 v[139:142], v94 offset0:79 offset1:80
	v_add_f32_e32 v95, v95, v96
	v_mul_f32_e32 v96, v126, v198
	s_waitcnt vmcnt(28) lgkmcnt(1)
	v_mul_f32_e32 v144, v135, v208
	v_fma_f32 v96, v125, v197, -v96
	v_fmac_f32_e32 v144, v136, v207
	v_add_f32_e32 v95, v95, v96
	v_mul_f32_e32 v96, v128, v200
	v_add_f32_e32 v143, v143, v144
	s_waitcnt vmcnt(26)
	v_mul_f32_e32 v144, v137, v210
	v_fma_f32 v96, v127, v199, -v96
	v_fmac_f32_e32 v144, v138, v209
	v_add_f32_e32 v95, v95, v96
	v_mul_f32_e32 v96, v130, v202
	v_add_f32_e32 v143, v143, v144
	s_waitcnt vmcnt(24) lgkmcnt(0)
	v_mul_f32_e32 v144, v139, v212
	v_fma_f32 v96, v129, v201, -v96
	v_fmac_f32_e32 v144, v140, v211
	v_add_f32_e32 v95, v95, v96
	v_mul_f32_e32 v96, v132, v204
	v_add_f32_e32 v147, v143, v144
	ds_read2_b64 v[143:146], v94 offset0:81 offset1:82
	v_fma_f32 v96, v131, v203, -v96
	v_add_f32_e32 v95, v95, v96
	v_mul_f32_e32 v96, v134, v206
	s_waitcnt vmcnt(22)
	v_mul_f32_e32 v148, v141, v214
	v_fma_f32 v96, v133, v205, -v96
	v_fmac_f32_e32 v148, v142, v213
	v_add_f32_e32 v95, v95, v96
	v_mul_f32_e32 v96, v136, v208
	v_add_f32_e32 v151, v147, v148
	ds_read2_b64 v[147:150], v94 offset0:83 offset1:84
	v_fma_f32 v96, v135, v207, -v96
	s_waitcnt vmcnt(20) lgkmcnt(1)
	v_mul_f32_e32 v152, v143, v216
	v_add_f32_e32 v95, v95, v96
	v_mul_f32_e32 v96, v138, v210
	v_fmac_f32_e32 v152, v144, v215
	v_fma_f32 v96, v137, v209, -v96
	v_add_f32_e32 v151, v151, v152
	s_waitcnt vmcnt(18)
	v_mul_f32_e32 v152, v145, v218
	v_add_f32_e32 v95, v95, v96
	v_mul_f32_e32 v96, v140, v212
	v_fmac_f32_e32 v152, v146, v217
	v_fma_f32 v96, v139, v211, -v96
	v_add_f32_e32 v151, v151, v152
	s_waitcnt vmcnt(16) lgkmcnt(0)
	v_mul_f32_e32 v152, v147, v220
	v_add_f32_e32 v95, v95, v96
	v_mul_f32_e32 v96, v142, v214
	v_fmac_f32_e32 v152, v148, v219
	v_fma_f32 v96, v141, v213, -v96
	v_add_f32_e32 v155, v151, v152
	ds_read2_b64 v[151:154], v94 offset0:85 offset1:86
	v_add_f32_e32 v95, v95, v96
	v_mul_f32_e32 v96, v144, v216
	v_fma_f32 v96, v143, v215, -v96
	s_waitcnt vmcnt(14)
	v_mul_f32_e32 v156, v149, v222
	v_add_f32_e32 v95, v95, v96
	v_mul_f32_e32 v96, v146, v218
	v_fmac_f32_e32 v156, v150, v221
	v_fma_f32 v96, v145, v217, -v96
	v_add_f32_e32 v159, v155, v156
	ds_read2_b64 v[155:158], v94 offset0:87 offset1:88
	v_add_f32_e32 v95, v95, v96
	v_mul_f32_e32 v96, v148, v220
	s_waitcnt vmcnt(12) lgkmcnt(1)
	v_mul_f32_e32 v160, v151, v224
	v_fma_f32 v96, v147, v219, -v96
	v_fmac_f32_e32 v160, v152, v223
	v_add_f32_e32 v95, v95, v96
	v_mul_f32_e32 v96, v150, v222
	v_add_f32_e32 v159, v159, v160
	s_waitcnt vmcnt(11)
	v_mul_f32_e32 v160, v153, v225
	v_fma_f32 v96, v149, v221, -v96
	s_waitcnt vmcnt(10)
	v_fmac_f32_e32 v160, v154, v226
	v_add_f32_e32 v95, v95, v96
	v_mul_f32_e32 v96, v152, v224
	v_add_f32_e32 v159, v159, v160
	s_waitcnt vmcnt(8) lgkmcnt(0)
	v_mul_f32_e32 v160, v155, v228
	v_fma_f32 v96, v151, v223, -v96
	v_fmac_f32_e32 v160, v156, v227
	v_add_f32_e32 v95, v95, v96
	v_mul_f32_e32 v96, v154, v225
	v_add_f32_e32 v163, v159, v160
	ds_read2_b64 v[159:162], v94 offset0:89 offset1:90
	v_fma_f32 v96, v153, v226, -v96
	v_add_f32_e32 v95, v95, v96
	v_mul_f32_e32 v96, v156, v228
	s_waitcnt vmcnt(6)
	v_mul_f32_e32 v164, v157, v230
	v_fma_f32 v96, v155, v227, -v96
	v_fmac_f32_e32 v164, v158, v229
	v_add_f32_e32 v95, v95, v96
	v_mul_f32_e32 v96, v158, v230
	v_add_f32_e32 v237, v163, v164
	ds_read_b64 v[163:164], v94 offset:728
	v_fma_f32 v96, v157, v229, -v96
	v_add_f32_e32 v95, v95, v96
	s_waitcnt vmcnt(4) lgkmcnt(1)
	v_mul_f32_e32 v96, v160, v232
	v_mul_f32_e32 v238, v159, v232
	v_fma_f32 v96, v159, v231, -v96
	v_fmac_f32_e32 v238, v160, v231
	v_add_f32_e32 v95, v95, v96
	s_waitcnt vmcnt(3)
	v_mul_f32_e32 v96, v162, v233
	v_add_f32_e32 v237, v237, v238
	v_mul_f32_e32 v238, v161, v233
	s_waitcnt vmcnt(2)
	v_fma_f32 v96, v161, v234, -v96
	v_fmac_f32_e32 v238, v162, v234
	v_add_f32_e32 v95, v95, v96
	s_waitcnt vmcnt(0) lgkmcnt(0)
	v_mul_f32_e32 v96, v164, v236
	v_add_f32_e32 v237, v237, v238
	v_mul_f32_e32 v238, v163, v236
	v_fma_f32 v96, v163, v235, -v96
	v_fmac_f32_e32 v238, v164, v235
	v_add_f32_e32 v95, v95, v96
	v_add_f32_e32 v237, v237, v238
	v_sub_f32_e32 v95, v186, v95
	v_sub_f32_e32 v96, v187, v237
	buffer_store_dword v95, off, s[0:3], 0 offset:80
	buffer_store_dword v96, off, s[0:3], 0 offset:84
	s_and_saveexec_b64 s[4:5], vcc
	s_cbranch_execz .LBB109_271
; %bb.270:
	buffer_load_dword v95, off, s[0:3], 0 offset:72
	buffer_load_dword v96, off, s[0:3], 0 offset:76
	s_waitcnt vmcnt(0)
	ds_write_b64 v93, v[95:96]
	buffer_store_dword v94, off, s[0:3], 0 offset:72
	buffer_store_dword v94, off, s[0:3], 0 offset:76
.LBB109_271:
	s_or_b64 exec, exec, s[4:5]
	s_waitcnt lgkmcnt(0)
	; wave barrier
	buffer_load_dword v167, off, s[0:3], 0 offset:84
	buffer_load_dword v168, off, s[0:3], 0 offset:92
	buffer_load_dword v169, off, s[0:3], 0 offset:100
	buffer_load_dword v170, off, s[0:3], 0 offset:108
	buffer_load_dword v171, off, s[0:3], 0 offset:116
	buffer_load_dword v172, off, s[0:3], 0 offset:124
	buffer_load_dword v173, off, s[0:3], 0 offset:132
	buffer_load_dword v174, off, s[0:3], 0 offset:140
	buffer_load_dword v175, off, s[0:3], 0 offset:148
	buffer_load_dword v176, off, s[0:3], 0 offset:80
	buffer_load_dword v177, off, s[0:3], 0 offset:88
	buffer_load_dword v178, off, s[0:3], 0 offset:96
	buffer_load_dword v179, off, s[0:3], 0 offset:104
	buffer_load_dword v180, off, s[0:3], 0 offset:112
	buffer_load_dword v181, off, s[0:3], 0 offset:120
	buffer_load_dword v182, off, s[0:3], 0 offset:128
	buffer_load_dword v183, off, s[0:3], 0 offset:136
	buffer_load_dword v184, off, s[0:3], 0 offset:144
	buffer_load_dword v185, off, s[0:3], 0 offset:156
	buffer_load_dword v186, off, s[0:3], 0 offset:152
	buffer_load_dword v187, off, s[0:3], 0 offset:164
	buffer_load_dword v188, off, s[0:3], 0 offset:160
	buffer_load_dword v189, off, s[0:3], 0 offset:72
	buffer_load_dword v190, off, s[0:3], 0 offset:76
	buffer_load_dword v191, off, s[0:3], 0 offset:168
	buffer_load_dword v192, off, s[0:3], 0 offset:172
	ds_read_b128 v[95:98], v94 offset:448
	ds_read_b128 v[99:102], v94 offset:464
	;; [unrolled: 1-line block ×6, first 2 shown]
	buffer_load_dword v193, off, s[0:3], 0 offset:176
	buffer_load_dword v194, off, s[0:3], 0 offset:180
	;; [unrolled: 1-line block ×42, first 2 shown]
	v_cmp_lt_u32_e32 vcc, 8, v0
	s_waitcnt vmcnt(62) lgkmcnt(5)
	v_mul_f32_e32 v119, v95, v167
	v_mul_f32_e32 v120, v97, v168
	s_waitcnt lgkmcnt(4)
	v_mul_f32_e32 v121, v99, v169
	v_mul_f32_e32 v122, v101, v170
	s_waitcnt lgkmcnt(3)
	v_mul_f32_e32 v123, v103, v171
	v_mul_f32_e32 v124, v105, v172
	s_waitcnt vmcnt(61) lgkmcnt(2)
	v_mul_f32_e32 v125, v107, v173
	s_waitcnt vmcnt(60)
	v_mul_f32_e32 v126, v109, v174
	s_waitcnt vmcnt(59) lgkmcnt(1)
	v_mul_f32_e32 v127, v111, v175
	s_waitcnt vmcnt(58)
	v_fmac_f32_e32 v119, v96, v176
	s_waitcnt vmcnt(57)
	v_fmac_f32_e32 v120, v98, v177
	v_add_f32_e32 v119, 0, v119
	s_waitcnt vmcnt(56)
	v_fmac_f32_e32 v121, v100, v178
	v_add_f32_e32 v119, v119, v120
	;; [unrolled: 3-line block ×8, first 2 shown]
	s_waitcnt vmcnt(49)
	v_mul_f32_e32 v120, v113, v185
	v_add_f32_e32 v119, v119, v127
	s_waitcnt vmcnt(48)
	v_fmac_f32_e32 v120, v114, v186
	v_add_f32_e32 v119, v119, v120
	s_waitcnt vmcnt(47) lgkmcnt(0)
	v_mul_f32_e32 v120, v115, v187
	s_waitcnt vmcnt(46)
	v_fmac_f32_e32 v120, v116, v188
	v_add_f32_e32 v119, v119, v120
	s_waitcnt vmcnt(42)
	v_mul_f32_e32 v120, v117, v192
	v_fmac_f32_e32 v120, v118, v191
	v_add_f32_e32 v127, v119, v120
	ds_read_b128 v[119:122], v94 offset:544
	buffer_load_dword v235, off, s[0:3], 0 offset:348
	buffer_load_dword v236, off, s[0:3], 0 offset:344
	;; [unrolled: 1-line block ×4, first 2 shown]
	ds_read_b128 v[123:126], v94 offset:560
	buffer_load_dword v239, off, s[0:3], 0 offset:360
	buffer_load_dword v240, off, s[0:3], 0 offset:364
	v_mul_f32_e32 v96, v96, v167
	v_fma_f32 v95, v95, v176, -v96
	v_mul_f32_e32 v96, v98, v168
	v_add_f32_e32 v95, 0, v95
	v_fma_f32 v96, v97, v177, -v96
	v_add_f32_e32 v95, v95, v96
	v_mul_f32_e32 v96, v100, v169
	v_fma_f32 v96, v99, v178, -v96
	v_add_f32_e32 v95, v95, v96
	v_mul_f32_e32 v96, v102, v170
	;; [unrolled: 3-line block ×3, first 2 shown]
	s_waitcnt vmcnt(46) lgkmcnt(1)
	v_mul_f32_e32 v128, v119, v194
	v_fma_f32 v96, v103, v180, -v96
	v_fmac_f32_e32 v128, v120, v193
	v_add_f32_e32 v95, v95, v96
	v_mul_f32_e32 v96, v106, v172
	v_add_f32_e32 v127, v127, v128
	s_waitcnt vmcnt(44)
	v_mul_f32_e32 v128, v121, v196
	v_fma_f32 v96, v105, v181, -v96
	v_fmac_f32_e32 v128, v122, v195
	v_add_f32_e32 v95, v95, v96
	v_mul_f32_e32 v96, v108, v173
	v_add_f32_e32 v127, v127, v128
	s_waitcnt vmcnt(42) lgkmcnt(0)
	v_mul_f32_e32 v128, v123, v198
	v_fma_f32 v96, v107, v182, -v96
	v_fmac_f32_e32 v128, v124, v197
	v_add_f32_e32 v95, v95, v96
	v_mul_f32_e32 v96, v110, v174
	v_add_f32_e32 v131, v127, v128
	ds_read_b128 v[127:130], v94 offset:576
	v_fma_f32 v96, v109, v183, -v96
	v_add_f32_e32 v95, v95, v96
	v_mul_f32_e32 v96, v112, v175
	s_waitcnt vmcnt(40)
	v_mul_f32_e32 v132, v125, v200
	v_fma_f32 v96, v111, v184, -v96
	v_fmac_f32_e32 v132, v126, v199
	v_add_f32_e32 v95, v95, v96
	v_mul_f32_e32 v96, v114, v185
	v_add_f32_e32 v135, v131, v132
	ds_read_b128 v[131:134], v94 offset:592
	v_fma_f32 v96, v113, v186, -v96
	s_waitcnt vmcnt(38) lgkmcnt(1)
	v_mul_f32_e32 v136, v127, v202
	v_add_f32_e32 v95, v95, v96
	v_mul_f32_e32 v96, v116, v187
	v_fmac_f32_e32 v136, v128, v201
	v_fma_f32 v96, v115, v188, -v96
	v_add_f32_e32 v135, v135, v136
	s_waitcnt vmcnt(36)
	v_mul_f32_e32 v136, v129, v204
	v_add_f32_e32 v95, v95, v96
	v_mul_f32_e32 v96, v118, v192
	v_fmac_f32_e32 v136, v130, v203
	v_fma_f32 v96, v117, v191, -v96
	v_add_f32_e32 v135, v135, v136
	s_waitcnt vmcnt(34) lgkmcnt(0)
	v_mul_f32_e32 v136, v131, v206
	v_add_f32_e32 v95, v95, v96
	v_mul_f32_e32 v96, v120, v194
	v_fmac_f32_e32 v136, v132, v205
	v_fma_f32 v96, v119, v193, -v96
	v_add_f32_e32 v139, v135, v136
	ds_read_b128 v[135:138], v94 offset:608
	v_add_f32_e32 v95, v95, v96
	v_mul_f32_e32 v96, v122, v196
	v_fma_f32 v96, v121, v195, -v96
	s_waitcnt vmcnt(32)
	v_mul_f32_e32 v140, v133, v208
	v_add_f32_e32 v95, v95, v96
	v_mul_f32_e32 v96, v124, v198
	v_fmac_f32_e32 v140, v134, v207
	v_fma_f32 v96, v123, v197, -v96
	v_add_f32_e32 v143, v139, v140
	ds_read_b128 v[139:142], v94 offset:624
	v_add_f32_e32 v95, v95, v96
	v_mul_f32_e32 v96, v126, v200
	s_waitcnt vmcnt(30) lgkmcnt(1)
	v_mul_f32_e32 v144, v135, v210
	v_fma_f32 v96, v125, v199, -v96
	v_fmac_f32_e32 v144, v136, v209
	v_add_f32_e32 v95, v95, v96
	v_mul_f32_e32 v96, v128, v202
	v_add_f32_e32 v143, v143, v144
	s_waitcnt vmcnt(28)
	v_mul_f32_e32 v144, v137, v212
	v_fma_f32 v96, v127, v201, -v96
	v_fmac_f32_e32 v144, v138, v211
	v_add_f32_e32 v95, v95, v96
	v_mul_f32_e32 v96, v130, v204
	v_add_f32_e32 v143, v143, v144
	s_waitcnt vmcnt(26) lgkmcnt(0)
	v_mul_f32_e32 v144, v139, v214
	v_fma_f32 v96, v129, v203, -v96
	v_fmac_f32_e32 v144, v140, v213
	v_add_f32_e32 v95, v95, v96
	v_mul_f32_e32 v96, v132, v206
	v_add_f32_e32 v147, v143, v144
	ds_read_b128 v[143:146], v94 offset:640
	v_fma_f32 v96, v131, v205, -v96
	v_add_f32_e32 v95, v95, v96
	v_mul_f32_e32 v96, v134, v208
	s_waitcnt vmcnt(24)
	v_mul_f32_e32 v148, v141, v216
	v_fma_f32 v96, v133, v207, -v96
	v_fmac_f32_e32 v148, v142, v215
	v_add_f32_e32 v95, v95, v96
	v_mul_f32_e32 v96, v136, v210
	v_add_f32_e32 v151, v147, v148
	ds_read_b128 v[147:150], v94 offset:656
	v_fma_f32 v96, v135, v209, -v96
	s_waitcnt vmcnt(22) lgkmcnt(1)
	v_mul_f32_e32 v152, v143, v218
	v_add_f32_e32 v95, v95, v96
	v_mul_f32_e32 v96, v138, v212
	v_fmac_f32_e32 v152, v144, v217
	v_fma_f32 v96, v137, v211, -v96
	v_add_f32_e32 v151, v151, v152
	s_waitcnt vmcnt(20)
	v_mul_f32_e32 v152, v145, v220
	v_add_f32_e32 v95, v95, v96
	v_mul_f32_e32 v96, v140, v214
	v_fmac_f32_e32 v152, v146, v219
	v_fma_f32 v96, v139, v213, -v96
	v_add_f32_e32 v151, v151, v152
	s_waitcnt vmcnt(18) lgkmcnt(0)
	v_mul_f32_e32 v152, v147, v222
	v_add_f32_e32 v95, v95, v96
	v_mul_f32_e32 v96, v142, v216
	v_fmac_f32_e32 v152, v148, v221
	v_fma_f32 v96, v141, v215, -v96
	v_add_f32_e32 v155, v151, v152
	ds_read_b128 v[151:154], v94 offset:672
	v_add_f32_e32 v95, v95, v96
	v_mul_f32_e32 v96, v144, v218
	v_fma_f32 v96, v143, v217, -v96
	s_waitcnt vmcnt(16)
	v_mul_f32_e32 v156, v149, v224
	v_add_f32_e32 v95, v95, v96
	v_mul_f32_e32 v96, v146, v220
	v_fmac_f32_e32 v156, v150, v223
	v_fma_f32 v96, v145, v219, -v96
	v_add_f32_e32 v159, v155, v156
	ds_read_b128 v[155:158], v94 offset:688
	v_add_f32_e32 v95, v95, v96
	v_mul_f32_e32 v96, v148, v222
	s_waitcnt vmcnt(14) lgkmcnt(1)
	v_mul_f32_e32 v160, v151, v226
	v_fma_f32 v96, v147, v221, -v96
	v_fmac_f32_e32 v160, v152, v225
	v_add_f32_e32 v95, v95, v96
	v_mul_f32_e32 v96, v150, v224
	v_add_f32_e32 v159, v159, v160
	s_waitcnt vmcnt(13)
	v_mul_f32_e32 v160, v153, v227
	v_fma_f32 v96, v149, v223, -v96
	s_waitcnt vmcnt(12)
	v_fmac_f32_e32 v160, v154, v228
	v_add_f32_e32 v95, v95, v96
	v_mul_f32_e32 v96, v152, v226
	v_add_f32_e32 v159, v159, v160
	s_waitcnt vmcnt(10) lgkmcnt(0)
	v_mul_f32_e32 v160, v155, v230
	v_fma_f32 v96, v151, v225, -v96
	v_fmac_f32_e32 v160, v156, v229
	v_add_f32_e32 v95, v95, v96
	v_mul_f32_e32 v96, v154, v227
	v_add_f32_e32 v163, v159, v160
	ds_read_b128 v[159:162], v94 offset:704
	v_fma_f32 v96, v153, v228, -v96
	v_add_f32_e32 v95, v95, v96
	v_mul_f32_e32 v96, v156, v230
	s_waitcnt vmcnt(8)
	v_mul_f32_e32 v164, v157, v232
	v_fma_f32 v96, v155, v229, -v96
	v_fmac_f32_e32 v164, v158, v231
	v_add_f32_e32 v95, v95, v96
	v_mul_f32_e32 v96, v158, v232
	v_add_f32_e32 v241, v163, v164
	ds_read_b128 v[163:166], v94 offset:720
	v_fma_f32 v96, v157, v231, -v96
	v_add_f32_e32 v95, v95, v96
	s_waitcnt vmcnt(6) lgkmcnt(1)
	v_mul_f32_e32 v96, v160, v234
	v_mul_f32_e32 v94, v159, v234
	v_fma_f32 v96, v159, v233, -v96
	v_fmac_f32_e32 v94, v160, v233
	v_add_f32_e32 v95, v95, v96
	s_waitcnt vmcnt(5)
	v_mul_f32_e32 v96, v162, v235
	v_add_f32_e32 v94, v241, v94
	v_mul_f32_e32 v241, v161, v235
	s_waitcnt vmcnt(4)
	v_fma_f32 v96, v161, v236, -v96
	v_fmac_f32_e32 v241, v162, v236
	v_add_f32_e32 v95, v95, v96
	s_waitcnt vmcnt(2) lgkmcnt(0)
	v_mul_f32_e32 v96, v164, v238
	v_add_f32_e32 v94, v94, v241
	v_mul_f32_e32 v241, v163, v238
	v_fma_f32 v96, v163, v237, -v96
	v_fmac_f32_e32 v241, v164, v237
	v_add_f32_e32 v95, v95, v96
	s_waitcnt vmcnt(0)
	v_mul_f32_e32 v96, v166, v240
	v_add_f32_e32 v94, v94, v241
	v_mul_f32_e32 v241, v165, v240
	v_fma_f32 v96, v165, v239, -v96
	v_fmac_f32_e32 v241, v166, v239
	v_add_f32_e32 v95, v95, v96
	v_add_f32_e32 v94, v94, v241
	v_sub_f32_e32 v95, v189, v95
	v_sub_f32_e32 v94, v190, v94
	buffer_store_dword v95, off, s[0:3], 0 offset:72
	buffer_store_dword v94, off, s[0:3], 0 offset:76
	s_and_saveexec_b64 s[4:5], vcc
	s_cbranch_execz .LBB109_273
; %bb.272:
	buffer_load_dword v94, off, s[0:3], 0 offset:64
	buffer_load_dword v95, off, s[0:3], 0 offset:68
	v_mov_b32_e32 v96, 0
	buffer_store_dword v96, off, s[0:3], 0 offset:64
	buffer_store_dword v96, off, s[0:3], 0 offset:68
	s_waitcnt vmcnt(2)
	ds_write_b64 v93, v[94:95]
.LBB109_273:
	s_or_b64 exec, exec, s[4:5]
	s_waitcnt lgkmcnt(0)
	; wave barrier
	buffer_load_dword v169, off, s[0:3], 0 offset:76
	buffer_load_dword v170, off, s[0:3], 0 offset:84
	;; [unrolled: 1-line block ×52, first 2 shown]
	v_mov_b32_e32 v94, 0
	ds_read2_b64 v[95:98], v94 offset0:55 offset1:56
	ds_read2_b64 v[99:102], v94 offset0:57 offset1:58
	;; [unrolled: 1-line block ×6, first 2 shown]
	buffer_load_dword v221, off, s[0:3], 0 offset:276
	buffer_load_dword v222, off, s[0:3], 0 offset:272
	;; [unrolled: 1-line block ×14, first 2 shown]
	v_cmp_lt_u32_e32 vcc, 7, v0
	s_waitcnt vmcnt(62) lgkmcnt(5)
	v_mul_f32_e32 v119, v95, v169
	v_mul_f32_e32 v120, v97, v170
	s_waitcnt lgkmcnt(4)
	v_mul_f32_e32 v121, v99, v171
	v_mul_f32_e32 v122, v101, v172
	s_waitcnt vmcnt(61) lgkmcnt(3)
	v_mul_f32_e32 v123, v103, v173
	s_waitcnt vmcnt(60)
	v_mul_f32_e32 v124, v105, v174
	s_waitcnt vmcnt(59) lgkmcnt(2)
	v_mul_f32_e32 v125, v107, v175
	s_waitcnt vmcnt(58)
	;; [unrolled: 4-line block ×3, first 2 shown]
	v_fmac_f32_e32 v119, v96, v178
	s_waitcnt vmcnt(55)
	v_fmac_f32_e32 v120, v98, v179
	v_add_f32_e32 v119, 0, v119
	s_waitcnt vmcnt(54)
	v_fmac_f32_e32 v121, v100, v180
	v_add_f32_e32 v119, v119, v120
	;; [unrolled: 3-line block ×8, first 2 shown]
	s_waitcnt vmcnt(47)
	v_mul_f32_e32 v120, v113, v187
	v_add_f32_e32 v119, v119, v127
	s_waitcnt vmcnt(46)
	v_fmac_f32_e32 v120, v114, v188
	v_add_f32_e32 v119, v119, v120
	s_waitcnt vmcnt(45) lgkmcnt(0)
	v_mul_f32_e32 v120, v115, v189
	s_waitcnt vmcnt(44)
	v_fmac_f32_e32 v120, v116, v190
	v_add_f32_e32 v123, v119, v120
	ds_read2_b64 v[119:122], v94 offset0:67 offset1:68
	buffer_load_dword v235, off, s[0:3], 0 offset:328
	buffer_load_dword v236, off, s[0:3], 0 offset:332
	s_waitcnt vmcnt(43)
	v_mul_f32_e32 v124, v117, v193
	s_waitcnt vmcnt(42)
	v_fmac_f32_e32 v124, v118, v194
	v_add_f32_e32 v127, v123, v124
	ds_read2_b64 v[123:126], v94 offset0:69 offset1:70
	buffer_load_dword v237, off, s[0:3], 0 offset:340
	buffer_load_dword v238, off, s[0:3], 0 offset:336
	;; [unrolled: 1-line block ×8, first 2 shown]
	v_mul_f32_e32 v96, v96, v169
	v_fma_f32 v95, v95, v178, -v96
	v_mul_f32_e32 v96, v98, v170
	v_add_f32_e32 v95, 0, v95
	v_fma_f32 v96, v97, v179, -v96
	v_add_f32_e32 v95, v95, v96
	v_mul_f32_e32 v96, v100, v171
	v_fma_f32 v96, v99, v180, -v96
	v_add_f32_e32 v95, v95, v96
	v_mul_f32_e32 v96, v102, v172
	v_fma_f32 v96, v101, v181, -v96
	s_waitcnt vmcnt(48) lgkmcnt(1)
	v_mul_f32_e32 v128, v119, v196
	v_add_f32_e32 v95, v95, v96
	v_mul_f32_e32 v96, v104, v173
	v_fmac_f32_e32 v128, v120, v195
	v_fma_f32 v96, v103, v182, -v96
	v_add_f32_e32 v127, v127, v128
	s_waitcnt vmcnt(46)
	v_mul_f32_e32 v128, v121, v198
	v_add_f32_e32 v95, v95, v96
	v_mul_f32_e32 v96, v106, v174
	v_fmac_f32_e32 v128, v122, v197
	v_fma_f32 v96, v105, v183, -v96
	v_add_f32_e32 v127, v127, v128
	s_waitcnt vmcnt(44) lgkmcnt(0)
	v_mul_f32_e32 v128, v123, v200
	v_add_f32_e32 v95, v95, v96
	v_mul_f32_e32 v96, v108, v175
	v_fmac_f32_e32 v128, v124, v199
	v_fma_f32 v96, v107, v184, -v96
	v_add_f32_e32 v131, v127, v128
	ds_read2_b64 v[127:130], v94 offset0:71 offset1:72
	v_add_f32_e32 v95, v95, v96
	v_mul_f32_e32 v96, v110, v176
	v_fma_f32 v96, v109, v185, -v96
	s_waitcnt vmcnt(42)
	v_mul_f32_e32 v132, v125, v202
	v_add_f32_e32 v95, v95, v96
	v_mul_f32_e32 v96, v112, v177
	v_fmac_f32_e32 v132, v126, v201
	v_fma_f32 v96, v111, v186, -v96
	v_add_f32_e32 v135, v131, v132
	ds_read2_b64 v[131:134], v94 offset0:73 offset1:74
	v_add_f32_e32 v95, v95, v96
	v_mul_f32_e32 v96, v114, v187
	s_waitcnt vmcnt(40) lgkmcnt(1)
	v_mul_f32_e32 v136, v127, v204
	v_fma_f32 v96, v113, v188, -v96
	v_fmac_f32_e32 v136, v128, v203
	v_add_f32_e32 v95, v95, v96
	v_mul_f32_e32 v96, v116, v189
	v_add_f32_e32 v135, v135, v136
	s_waitcnt vmcnt(38)
	v_mul_f32_e32 v136, v129, v206
	v_fma_f32 v96, v115, v190, -v96
	v_fmac_f32_e32 v136, v130, v205
	v_add_f32_e32 v95, v95, v96
	v_mul_f32_e32 v96, v118, v193
	v_add_f32_e32 v135, v135, v136
	s_waitcnt vmcnt(36) lgkmcnt(0)
	v_mul_f32_e32 v136, v131, v208
	v_fma_f32 v96, v117, v194, -v96
	v_fmac_f32_e32 v136, v132, v207
	v_add_f32_e32 v95, v95, v96
	v_mul_f32_e32 v96, v120, v196
	v_add_f32_e32 v139, v135, v136
	ds_read2_b64 v[135:138], v94 offset0:75 offset1:76
	v_fma_f32 v96, v119, v195, -v96
	v_add_f32_e32 v95, v95, v96
	v_mul_f32_e32 v96, v122, v198
	s_waitcnt vmcnt(34)
	v_mul_f32_e32 v140, v133, v210
	v_fma_f32 v96, v121, v197, -v96
	v_fmac_f32_e32 v140, v134, v209
	v_add_f32_e32 v95, v95, v96
	v_mul_f32_e32 v96, v124, v200
	v_add_f32_e32 v143, v139, v140
	ds_read2_b64 v[139:142], v94 offset0:77 offset1:78
	v_fma_f32 v96, v123, v199, -v96
	s_waitcnt vmcnt(32) lgkmcnt(1)
	v_mul_f32_e32 v144, v135, v212
	v_add_f32_e32 v95, v95, v96
	v_mul_f32_e32 v96, v126, v202
	v_fmac_f32_e32 v144, v136, v211
	v_fma_f32 v96, v125, v201, -v96
	v_add_f32_e32 v143, v143, v144
	s_waitcnt vmcnt(30)
	v_mul_f32_e32 v144, v137, v214
	v_add_f32_e32 v95, v95, v96
	v_mul_f32_e32 v96, v128, v204
	v_fmac_f32_e32 v144, v138, v213
	v_fma_f32 v96, v127, v203, -v96
	v_add_f32_e32 v143, v143, v144
	s_waitcnt vmcnt(28) lgkmcnt(0)
	v_mul_f32_e32 v144, v139, v216
	v_add_f32_e32 v95, v95, v96
	v_mul_f32_e32 v96, v130, v206
	v_fmac_f32_e32 v144, v140, v215
	v_fma_f32 v96, v129, v205, -v96
	v_add_f32_e32 v147, v143, v144
	ds_read2_b64 v[143:146], v94 offset0:79 offset1:80
	v_add_f32_e32 v95, v95, v96
	v_mul_f32_e32 v96, v132, v208
	v_fma_f32 v96, v131, v207, -v96
	s_waitcnt vmcnt(26)
	v_mul_f32_e32 v148, v141, v218
	v_add_f32_e32 v95, v95, v96
	v_mul_f32_e32 v96, v134, v210
	v_fmac_f32_e32 v148, v142, v217
	v_fma_f32 v96, v133, v209, -v96
	v_add_f32_e32 v151, v147, v148
	ds_read2_b64 v[147:150], v94 offset0:81 offset1:82
	v_add_f32_e32 v95, v95, v96
	v_mul_f32_e32 v96, v136, v212
	s_waitcnt vmcnt(24) lgkmcnt(1)
	v_mul_f32_e32 v152, v143, v220
	v_fma_f32 v96, v135, v211, -v96
	v_fmac_f32_e32 v152, v144, v219
	v_add_f32_e32 v95, v95, v96
	v_mul_f32_e32 v96, v138, v214
	v_add_f32_e32 v151, v151, v152
	s_waitcnt vmcnt(23)
	v_mul_f32_e32 v152, v145, v221
	v_fma_f32 v96, v137, v213, -v96
	s_waitcnt vmcnt(22)
	v_fmac_f32_e32 v152, v146, v222
	v_add_f32_e32 v95, v95, v96
	v_mul_f32_e32 v96, v140, v216
	v_add_f32_e32 v151, v151, v152
	s_waitcnt vmcnt(20) lgkmcnt(0)
	v_mul_f32_e32 v152, v147, v224
	v_fma_f32 v96, v139, v215, -v96
	v_fmac_f32_e32 v152, v148, v223
	v_add_f32_e32 v95, v95, v96
	v_mul_f32_e32 v96, v142, v218
	v_add_f32_e32 v155, v151, v152
	ds_read2_b64 v[151:154], v94 offset0:83 offset1:84
	v_fma_f32 v96, v141, v217, -v96
	v_add_f32_e32 v95, v95, v96
	v_mul_f32_e32 v96, v144, v220
	s_waitcnt vmcnt(18)
	v_mul_f32_e32 v156, v149, v226
	v_fma_f32 v96, v143, v219, -v96
	v_fmac_f32_e32 v156, v150, v225
	v_add_f32_e32 v95, v95, v96
	v_mul_f32_e32 v96, v146, v221
	v_add_f32_e32 v159, v155, v156
	ds_read2_b64 v[155:158], v94 offset0:85 offset1:86
	v_fma_f32 v96, v145, v222, -v96
	s_waitcnt vmcnt(16) lgkmcnt(1)
	v_mul_f32_e32 v160, v151, v228
	v_add_f32_e32 v95, v95, v96
	v_mul_f32_e32 v96, v148, v224
	v_fmac_f32_e32 v160, v152, v227
	v_fma_f32 v96, v147, v223, -v96
	v_add_f32_e32 v159, v159, v160
	s_waitcnt vmcnt(15)
	v_mul_f32_e32 v160, v153, v229
	v_add_f32_e32 v95, v95, v96
	v_mul_f32_e32 v96, v150, v226
	s_waitcnt vmcnt(14)
	v_fmac_f32_e32 v160, v154, v230
	v_fma_f32 v96, v149, v225, -v96
	v_add_f32_e32 v159, v159, v160
	s_waitcnt vmcnt(12) lgkmcnt(0)
	v_mul_f32_e32 v160, v155, v232
	v_add_f32_e32 v95, v95, v96
	v_mul_f32_e32 v96, v152, v228
	v_fmac_f32_e32 v160, v156, v231
	v_fma_f32 v96, v151, v227, -v96
	v_add_f32_e32 v163, v159, v160
	ds_read2_b64 v[159:162], v94 offset0:87 offset1:88
	v_add_f32_e32 v95, v95, v96
	v_mul_f32_e32 v96, v154, v229
	v_fma_f32 v96, v153, v230, -v96
	v_add_f32_e32 v95, v95, v96
	v_mul_f32_e32 v96, v156, v232
	s_waitcnt vmcnt(10)
	v_mul_f32_e32 v164, v157, v234
	v_fma_f32 v96, v155, v231, -v96
	v_fmac_f32_e32 v164, v158, v233
	v_add_f32_e32 v95, v95, v96
	v_mul_f32_e32 v96, v158, v234
	v_add_f32_e32 v167, v163, v164
	ds_read2_b64 v[163:166], v94 offset0:89 offset1:90
	s_waitcnt vmcnt(8) lgkmcnt(1)
	v_mul_f32_e32 v168, v159, v236
	v_fma_f32 v96, v157, v233, -v96
	v_fmac_f32_e32 v168, v160, v235
	v_add_f32_e32 v95, v95, v96
	v_mul_f32_e32 v96, v160, v236
	v_add_f32_e32 v167, v167, v168
	s_waitcnt vmcnt(7)
	v_mul_f32_e32 v168, v161, v237
	v_fma_f32 v96, v159, v235, -v96
	s_waitcnt vmcnt(6)
	v_fmac_f32_e32 v168, v162, v238
	v_add_f32_e32 v95, v95, v96
	v_mul_f32_e32 v96, v162, v237
	v_add_f32_e32 v245, v167, v168
	ds_read_b64 v[167:168], v94 offset:728
	v_fma_f32 v96, v161, v238, -v96
	v_add_f32_e32 v95, v95, v96
	s_waitcnt vmcnt(4) lgkmcnt(1)
	v_mul_f32_e32 v96, v164, v240
	v_mul_f32_e32 v246, v163, v240
	v_fma_f32 v96, v163, v239, -v96
	v_fmac_f32_e32 v246, v164, v239
	v_add_f32_e32 v95, v95, v96
	s_waitcnt vmcnt(3)
	v_mul_f32_e32 v96, v166, v241
	v_add_f32_e32 v245, v245, v246
	v_mul_f32_e32 v246, v165, v241
	s_waitcnt vmcnt(2)
	v_fma_f32 v96, v165, v242, -v96
	v_fmac_f32_e32 v246, v166, v242
	v_add_f32_e32 v95, v95, v96
	s_waitcnt vmcnt(0) lgkmcnt(0)
	v_mul_f32_e32 v96, v168, v244
	v_add_f32_e32 v245, v245, v246
	v_mul_f32_e32 v246, v167, v244
	v_fma_f32 v96, v167, v243, -v96
	v_fmac_f32_e32 v246, v168, v243
	v_add_f32_e32 v95, v95, v96
	v_add_f32_e32 v245, v245, v246
	v_sub_f32_e32 v95, v191, v95
	v_sub_f32_e32 v96, v192, v245
	buffer_store_dword v95, off, s[0:3], 0 offset:64
	buffer_store_dword v96, off, s[0:3], 0 offset:68
	s_and_saveexec_b64 s[4:5], vcc
	s_cbranch_execz .LBB109_275
; %bb.274:
	buffer_load_dword v95, off, s[0:3], 0 offset:56
	buffer_load_dword v96, off, s[0:3], 0 offset:60
	s_waitcnt vmcnt(0)
	ds_write_b64 v93, v[95:96]
	buffer_store_dword v94, off, s[0:3], 0 offset:56
	buffer_store_dword v94, off, s[0:3], 0 offset:60
.LBB109_275:
	s_or_b64 exec, exec, s[4:5]
	s_waitcnt lgkmcnt(0)
	; wave barrier
	buffer_load_dword v171, off, s[0:3], 0 offset:68
	buffer_load_dword v172, off, s[0:3], 0 offset:76
	;; [unrolled: 1-line block ×26, first 2 shown]
	ds_read_b128 v[95:98], v94 offset:432
	ds_read_b128 v[99:102], v94 offset:448
	ds_read_b128 v[103:106], v94 offset:464
	ds_read_b128 v[107:110], v94 offset:480
	buffer_load_dword v197, off, s[0:3], 0 offset:164
	ds_read_b128 v[111:114], v94 offset:496
	ds_read_b128 v[115:118], v94 offset:512
	buffer_load_dword v198, off, s[0:3], 0 offset:160
	buffer_load_dword v199, off, s[0:3], 0 offset:168
	;; [unrolled: 1-line block ×37, first 2 shown]
	v_cmp_lt_u32_e32 vcc, 6, v0
	s_waitcnt vmcnt(62) lgkmcnt(5)
	v_mul_f32_e32 v119, v95, v171
	v_mul_f32_e32 v120, v97, v172
	s_waitcnt vmcnt(61) lgkmcnt(4)
	v_mul_f32_e32 v121, v99, v173
	s_waitcnt vmcnt(60)
	v_mul_f32_e32 v122, v101, v174
	s_waitcnt vmcnt(59) lgkmcnt(3)
	v_mul_f32_e32 v123, v103, v175
	s_waitcnt vmcnt(58)
	;; [unrolled: 4-line block ×4, first 2 shown]
	v_mul_f32_e32 v128, v113, v180
	s_waitcnt vmcnt(53)
	v_fmac_f32_e32 v119, v96, v181
	s_waitcnt vmcnt(52)
	v_fmac_f32_e32 v120, v98, v182
	v_add_f32_e32 v119, 0, v119
	s_waitcnt vmcnt(51)
	v_fmac_f32_e32 v121, v100, v183
	v_add_f32_e32 v119, v119, v120
	s_waitcnt vmcnt(50)
	v_fmac_f32_e32 v122, v102, v184
	v_add_f32_e32 v119, v119, v121
	s_waitcnt vmcnt(49)
	v_fmac_f32_e32 v123, v104, v185
	v_add_f32_e32 v119, v119, v122
	s_waitcnt vmcnt(48)
	v_fmac_f32_e32 v124, v106, v186
	v_add_f32_e32 v119, v119, v123
	s_waitcnt vmcnt(47)
	v_fmac_f32_e32 v125, v108, v187
	v_add_f32_e32 v119, v119, v124
	s_waitcnt vmcnt(46)
	v_fmac_f32_e32 v126, v110, v188
	v_add_f32_e32 v119, v119, v125
	s_waitcnt vmcnt(45)
	v_fmac_f32_e32 v127, v112, v189
	v_add_f32_e32 v119, v119, v126
	s_waitcnt vmcnt(44)
	v_fmac_f32_e32 v128, v114, v190
	v_add_f32_e32 v119, v119, v127
	s_waitcnt vmcnt(43) lgkmcnt(0)
	v_mul_f32_e32 v120, v115, v191
	v_add_f32_e32 v119, v119, v128
	s_waitcnt vmcnt(42)
	v_fmac_f32_e32 v120, v116, v192
	v_add_f32_e32 v123, v119, v120
	s_waitcnt vmcnt(41)
	v_mul_f32_e32 v124, v117, v193
	ds_read_b128 v[119:122], v94 offset:528
	buffer_load_dword v235, off, s[0:3], 0 offset:312
	buffer_load_dword v236, off, s[0:3], 0 offset:316
	s_waitcnt vmcnt(42)
	v_fmac_f32_e32 v124, v118, v194
	v_add_f32_e32 v127, v123, v124
	ds_read_b128 v[123:126], v94 offset:544
	buffer_load_dword v237, off, s[0:3], 0 offset:320
	buffer_load_dword v238, off, s[0:3], 0 offset:324
	;; [unrolled: 1-line block ×12, first 2 shown]
	v_mul_f32_e32 v96, v96, v171
	v_fma_f32 v95, v95, v181, -v96
	v_mul_f32_e32 v96, v98, v172
	v_add_f32_e32 v95, 0, v95
	v_fma_f32 v96, v97, v182, -v96
	v_add_f32_e32 v95, v95, v96
	v_mul_f32_e32 v96, v100, v173
	v_fma_f32 v96, v99, v183, -v96
	v_add_f32_e32 v95, v95, v96
	v_mul_f32_e32 v96, v102, v174
	v_fma_f32 v96, v101, v184, -v96
	s_waitcnt vmcnt(51) lgkmcnt(1)
	v_mul_f32_e32 v128, v119, v197
	v_add_f32_e32 v95, v95, v96
	v_mul_f32_e32 v96, v104, v175
	s_waitcnt vmcnt(50)
	v_fmac_f32_e32 v128, v120, v198
	v_fma_f32 v96, v103, v185, -v96
	v_add_f32_e32 v127, v127, v128
	s_waitcnt vmcnt(48)
	v_mul_f32_e32 v128, v121, v200
	v_add_f32_e32 v95, v95, v96
	v_mul_f32_e32 v96, v106, v176
	v_fmac_f32_e32 v128, v122, v199
	v_fma_f32 v96, v105, v186, -v96
	v_add_f32_e32 v127, v127, v128
	s_waitcnt vmcnt(46) lgkmcnt(0)
	v_mul_f32_e32 v128, v123, v202
	v_add_f32_e32 v95, v95, v96
	v_mul_f32_e32 v96, v108, v177
	v_fmac_f32_e32 v128, v124, v201
	v_fma_f32 v96, v107, v187, -v96
	v_add_f32_e32 v131, v127, v128
	ds_read_b128 v[127:130], v94 offset:560
	v_add_f32_e32 v95, v95, v96
	v_mul_f32_e32 v96, v110, v178
	v_fma_f32 v96, v109, v188, -v96
	s_waitcnt vmcnt(44)
	v_mul_f32_e32 v132, v125, v204
	v_add_f32_e32 v95, v95, v96
	v_mul_f32_e32 v96, v112, v179
	v_fmac_f32_e32 v132, v126, v203
	v_fma_f32 v96, v111, v189, -v96
	v_add_f32_e32 v135, v131, v132
	ds_read_b128 v[131:134], v94 offset:576
	v_add_f32_e32 v95, v95, v96
	v_mul_f32_e32 v96, v114, v180
	s_waitcnt vmcnt(42) lgkmcnt(1)
	v_mul_f32_e32 v136, v127, v206
	v_fma_f32 v96, v113, v190, -v96
	v_fmac_f32_e32 v136, v128, v205
	v_add_f32_e32 v95, v95, v96
	v_mul_f32_e32 v96, v116, v191
	v_add_f32_e32 v135, v135, v136
	s_waitcnt vmcnt(40)
	v_mul_f32_e32 v136, v129, v208
	v_fma_f32 v96, v115, v192, -v96
	v_fmac_f32_e32 v136, v130, v207
	v_add_f32_e32 v95, v95, v96
	v_mul_f32_e32 v96, v118, v193
	v_add_f32_e32 v135, v135, v136
	s_waitcnt vmcnt(38) lgkmcnt(0)
	v_mul_f32_e32 v136, v131, v210
	v_fma_f32 v96, v117, v194, -v96
	v_fmac_f32_e32 v136, v132, v209
	v_add_f32_e32 v95, v95, v96
	v_mul_f32_e32 v96, v120, v197
	v_add_f32_e32 v139, v135, v136
	ds_read_b128 v[135:138], v94 offset:592
	v_fma_f32 v96, v119, v198, -v96
	v_add_f32_e32 v95, v95, v96
	v_mul_f32_e32 v96, v122, v200
	s_waitcnt vmcnt(36)
	v_mul_f32_e32 v140, v133, v212
	v_fma_f32 v96, v121, v199, -v96
	v_fmac_f32_e32 v140, v134, v211
	v_add_f32_e32 v95, v95, v96
	v_mul_f32_e32 v96, v124, v202
	v_add_f32_e32 v143, v139, v140
	ds_read_b128 v[139:142], v94 offset:608
	v_fma_f32 v96, v123, v201, -v96
	s_waitcnt vmcnt(34) lgkmcnt(1)
	v_mul_f32_e32 v144, v135, v214
	v_add_f32_e32 v95, v95, v96
	v_mul_f32_e32 v96, v126, v204
	v_fmac_f32_e32 v144, v136, v213
	v_fma_f32 v96, v125, v203, -v96
	v_add_f32_e32 v143, v143, v144
	s_waitcnt vmcnt(32)
	v_mul_f32_e32 v144, v137, v216
	v_add_f32_e32 v95, v95, v96
	v_mul_f32_e32 v96, v128, v206
	v_fmac_f32_e32 v144, v138, v215
	v_fma_f32 v96, v127, v205, -v96
	v_add_f32_e32 v143, v143, v144
	s_waitcnt vmcnt(30) lgkmcnt(0)
	v_mul_f32_e32 v144, v139, v218
	v_add_f32_e32 v95, v95, v96
	v_mul_f32_e32 v96, v130, v208
	v_fmac_f32_e32 v144, v140, v217
	v_fma_f32 v96, v129, v207, -v96
	v_add_f32_e32 v147, v143, v144
	ds_read_b128 v[143:146], v94 offset:624
	v_add_f32_e32 v95, v95, v96
	v_mul_f32_e32 v96, v132, v210
	v_fma_f32 v96, v131, v209, -v96
	s_waitcnt vmcnt(28)
	v_mul_f32_e32 v148, v141, v220
	v_add_f32_e32 v95, v95, v96
	v_mul_f32_e32 v96, v134, v212
	v_fmac_f32_e32 v148, v142, v219
	v_fma_f32 v96, v133, v211, -v96
	v_add_f32_e32 v151, v147, v148
	ds_read_b128 v[147:150], v94 offset:640
	v_add_f32_e32 v95, v95, v96
	v_mul_f32_e32 v96, v136, v214
	s_waitcnt vmcnt(26) lgkmcnt(1)
	v_mul_f32_e32 v152, v143, v222
	v_fma_f32 v96, v135, v213, -v96
	v_fmac_f32_e32 v152, v144, v221
	v_add_f32_e32 v95, v95, v96
	v_mul_f32_e32 v96, v138, v216
	v_add_f32_e32 v151, v151, v152
	s_waitcnt vmcnt(25)
	v_mul_f32_e32 v152, v145, v223
	v_fma_f32 v96, v137, v215, -v96
	s_waitcnt vmcnt(24)
	v_fmac_f32_e32 v152, v146, v224
	v_add_f32_e32 v95, v95, v96
	v_mul_f32_e32 v96, v140, v218
	v_add_f32_e32 v151, v151, v152
	s_waitcnt vmcnt(22) lgkmcnt(0)
	v_mul_f32_e32 v152, v147, v226
	v_fma_f32 v96, v139, v217, -v96
	v_fmac_f32_e32 v152, v148, v225
	v_add_f32_e32 v95, v95, v96
	v_mul_f32_e32 v96, v142, v220
	v_add_f32_e32 v155, v151, v152
	ds_read_b128 v[151:154], v94 offset:656
	v_fma_f32 v96, v141, v219, -v96
	v_add_f32_e32 v95, v95, v96
	v_mul_f32_e32 v96, v144, v222
	s_waitcnt vmcnt(20)
	v_mul_f32_e32 v156, v149, v228
	v_fma_f32 v96, v143, v221, -v96
	v_fmac_f32_e32 v156, v150, v227
	v_add_f32_e32 v95, v95, v96
	v_mul_f32_e32 v96, v146, v223
	v_add_f32_e32 v159, v155, v156
	ds_read_b128 v[155:158], v94 offset:672
	v_fma_f32 v96, v145, v224, -v96
	s_waitcnt vmcnt(18) lgkmcnt(1)
	v_mul_f32_e32 v160, v151, v230
	v_add_f32_e32 v95, v95, v96
	v_mul_f32_e32 v96, v148, v226
	v_fmac_f32_e32 v160, v152, v229
	v_fma_f32 v96, v147, v225, -v96
	v_add_f32_e32 v159, v159, v160
	s_waitcnt vmcnt(17)
	v_mul_f32_e32 v160, v153, v231
	v_add_f32_e32 v95, v95, v96
	v_mul_f32_e32 v96, v150, v228
	s_waitcnt vmcnt(16)
	v_fmac_f32_e32 v160, v154, v232
	v_fma_f32 v96, v149, v227, -v96
	v_add_f32_e32 v159, v159, v160
	s_waitcnt vmcnt(14) lgkmcnt(0)
	v_mul_f32_e32 v160, v155, v234
	v_add_f32_e32 v95, v95, v96
	v_mul_f32_e32 v96, v152, v230
	v_fmac_f32_e32 v160, v156, v233
	v_fma_f32 v96, v151, v229, -v96
	v_add_f32_e32 v163, v159, v160
	ds_read_b128 v[159:162], v94 offset:688
	v_add_f32_e32 v95, v95, v96
	v_mul_f32_e32 v96, v154, v231
	v_fma_f32 v96, v153, v232, -v96
	v_add_f32_e32 v95, v95, v96
	v_mul_f32_e32 v96, v156, v234
	s_waitcnt vmcnt(12)
	v_mul_f32_e32 v164, v157, v236
	v_fma_f32 v96, v155, v233, -v96
	v_fmac_f32_e32 v164, v158, v235
	v_add_f32_e32 v95, v95, v96
	v_mul_f32_e32 v96, v158, v236
	v_add_f32_e32 v167, v163, v164
	ds_read_b128 v[163:166], v94 offset:704
	s_waitcnt vmcnt(10) lgkmcnt(1)
	v_mul_f32_e32 v168, v159, v238
	v_fma_f32 v96, v157, v235, -v96
	v_fmac_f32_e32 v168, v160, v237
	v_add_f32_e32 v95, v95, v96
	v_mul_f32_e32 v96, v160, v238
	v_add_f32_e32 v167, v167, v168
	s_waitcnt vmcnt(9)
	v_mul_f32_e32 v168, v161, v239
	v_fma_f32 v96, v159, v237, -v96
	s_waitcnt vmcnt(8)
	v_fmac_f32_e32 v168, v162, v240
	v_add_f32_e32 v95, v95, v96
	v_mul_f32_e32 v96, v162, v239
	v_add_f32_e32 v249, v167, v168
	ds_read_b128 v[167:170], v94 offset:720
	v_fma_f32 v96, v161, v240, -v96
	v_add_f32_e32 v95, v95, v96
	s_waitcnt vmcnt(6) lgkmcnt(1)
	v_mul_f32_e32 v96, v164, v242
	v_mul_f32_e32 v250, v163, v242
	v_fma_f32 v96, v163, v241, -v96
	v_fmac_f32_e32 v250, v164, v241
	v_add_f32_e32 v95, v95, v96
	s_waitcnt vmcnt(4)
	v_mul_f32_e32 v96, v166, v244
	v_add_f32_e32 v94, v249, v250
	v_mul_f32_e32 v249, v165, v244
	v_fma_f32 v96, v165, v243, -v96
	v_fmac_f32_e32 v249, v166, v243
	v_add_f32_e32 v95, v95, v96
	s_waitcnt vmcnt(3) lgkmcnt(0)
	v_mul_f32_e32 v96, v168, v245
	v_add_f32_e32 v94, v94, v249
	v_mul_f32_e32 v249, v167, v245
	s_waitcnt vmcnt(2)
	v_fma_f32 v96, v167, v246, -v96
	v_fmac_f32_e32 v249, v168, v246
	v_add_f32_e32 v95, v95, v96
	s_waitcnt vmcnt(0)
	v_mul_f32_e32 v96, v170, v248
	v_add_f32_e32 v94, v94, v249
	v_mul_f32_e32 v249, v169, v248
	v_fma_f32 v96, v169, v247, -v96
	v_fmac_f32_e32 v249, v170, v247
	v_add_f32_e32 v95, v95, v96
	v_add_f32_e32 v94, v94, v249
	v_sub_f32_e32 v95, v195, v95
	v_sub_f32_e32 v94, v196, v94
	buffer_store_dword v95, off, s[0:3], 0 offset:56
	buffer_store_dword v94, off, s[0:3], 0 offset:60
	s_and_saveexec_b64 s[4:5], vcc
	s_cbranch_execz .LBB109_277
; %bb.276:
	buffer_load_dword v94, off, s[0:3], 0 offset:48
	buffer_load_dword v95, off, s[0:3], 0 offset:52
	v_mov_b32_e32 v96, 0
	buffer_store_dword v96, off, s[0:3], 0 offset:48
	buffer_store_dword v96, off, s[0:3], 0 offset:52
	s_waitcnt vmcnt(2)
	ds_write_b64 v93, v[94:95]
.LBB109_277:
	s_or_b64 exec, exec, s[4:5]
	s_waitcnt lgkmcnt(0)
	; wave barrier
	buffer_load_dword v173, off, s[0:3], 0 offset:60
	buffer_load_dword v174, off, s[0:3], 0 offset:68
	;; [unrolled: 1-line block ×52, first 2 shown]
	v_mov_b32_e32 v94, 0
	ds_read2_b64 v[95:98], v94 offset0:53 offset1:54
	ds_read2_b64 v[99:102], v94 offset0:55 offset1:56
	;; [unrolled: 1-line block ×6, first 2 shown]
	buffer_load_dword v225, off, s[0:3], 0 offset:260
	buffer_load_dword v226, off, s[0:3], 0 offset:256
	;; [unrolled: 1-line block ×8, first 2 shown]
	v_cmp_lt_u32_e32 vcc, 5, v0
	s_waitcnt vmcnt(59) lgkmcnt(5)
	v_mul_f32_e32 v119, v95, v173
	s_waitcnt vmcnt(58)
	v_mul_f32_e32 v120, v97, v174
	s_waitcnt vmcnt(57) lgkmcnt(4)
	v_mul_f32_e32 v121, v99, v175
	s_waitcnt vmcnt(56)
	v_mul_f32_e32 v122, v101, v176
	;; [unrolled: 4-line block ×5, first 2 shown]
	s_waitcnt vmcnt(49) lgkmcnt(0)
	v_mul_f32_e32 v129, v115, v183
	s_waitcnt vmcnt(48)
	v_fmac_f32_e32 v119, v96, v184
	s_waitcnt vmcnt(47)
	v_fmac_f32_e32 v120, v98, v185
	v_add_f32_e32 v119, 0, v119
	s_waitcnt vmcnt(46)
	v_fmac_f32_e32 v121, v100, v186
	v_add_f32_e32 v119, v119, v120
	;; [unrolled: 3-line block ×9, first 2 shown]
	v_add_f32_e32 v119, v119, v128
	s_waitcnt vmcnt(38)
	v_fmac_f32_e32 v129, v116, v194
	s_waitcnt vmcnt(37)
	v_mul_f32_e32 v120, v117, v195
	v_add_f32_e32 v119, v119, v129
	s_waitcnt vmcnt(36)
	v_fmac_f32_e32 v120, v118, v196
	v_add_f32_e32 v127, v119, v120
	ds_read2_b64 v[119:122], v94 offset0:65 offset1:66
	buffer_load_dword v233, off, s[0:3], 0 offset:292
	buffer_load_dword v234, off, s[0:3], 0 offset:288
	;; [unrolled: 1-line block ×4, first 2 shown]
	ds_read2_b64 v[123:126], v94 offset0:67 offset1:68
	buffer_load_dword v237, off, s[0:3], 0 offset:304
	buffer_load_dword v238, off, s[0:3], 0 offset:308
	;; [unrolled: 1-line block ×10, first 2 shown]
	s_waitcnt vmcnt(46) lgkmcnt(1)
	v_mul_f32_e32 v128, v119, v200
	v_fmac_f32_e32 v128, v120, v199
	v_add_f32_e32 v127, v127, v128
	s_waitcnt vmcnt(44)
	v_mul_f32_e32 v128, v121, v202
	buffer_load_dword v247, off, s[0:3], 0 offset:344
	buffer_load_dword v248, off, s[0:3], 0 offset:348
	v_fmac_f32_e32 v128, v122, v201
	v_add_f32_e32 v127, v127, v128
	s_waitcnt vmcnt(44) lgkmcnt(0)
	v_mul_f32_e32 v128, v123, v204
	v_fmac_f32_e32 v128, v124, v203
	v_add_f32_e32 v131, v127, v128
	ds_read2_b64 v[127:130], v94 offset0:69 offset1:70
	buffer_load_dword v249, off, s[0:3], 0 offset:356
	buffer_load_dword v250, off, s[0:3], 0 offset:352
	;; [unrolled: 1-line block ×4, first 2 shown]
	v_mul_f32_e32 v96, v96, v173
	v_fma_f32 v95, v95, v184, -v96
	v_mul_f32_e32 v96, v98, v174
	v_add_f32_e32 v95, 0, v95
	v_fma_f32 v96, v97, v185, -v96
	v_add_f32_e32 v95, v95, v96
	v_mul_f32_e32 v96, v100, v175
	v_fma_f32 v96, v99, v186, -v96
	v_add_f32_e32 v95, v95, v96
	v_mul_f32_e32 v96, v102, v176
	v_fma_f32 v96, v101, v187, -v96
	v_add_f32_e32 v95, v95, v96
	v_mul_f32_e32 v96, v104, v177
	v_fma_f32 v96, v103, v188, -v96
	v_add_f32_e32 v95, v95, v96
	v_mul_f32_e32 v96, v106, v178
	v_fma_f32 v96, v105, v189, -v96
	v_add_f32_e32 v95, v95, v96
	v_mul_f32_e32 v96, v108, v179
	v_fma_f32 v96, v107, v190, -v96
	s_waitcnt vmcnt(46)
	v_mul_f32_e32 v132, v125, v206
	v_add_f32_e32 v95, v95, v96
	v_mul_f32_e32 v96, v110, v180
	v_fmac_f32_e32 v132, v126, v205
	v_fma_f32 v96, v109, v191, -v96
	v_add_f32_e32 v135, v131, v132
	ds_read2_b64 v[131:134], v94 offset0:71 offset1:72
	v_add_f32_e32 v95, v95, v96
	v_mul_f32_e32 v96, v112, v181
	s_waitcnt vmcnt(44) lgkmcnt(1)
	v_mul_f32_e32 v136, v127, v208
	v_fma_f32 v96, v111, v192, -v96
	v_fmac_f32_e32 v136, v128, v207
	v_add_f32_e32 v95, v95, v96
	v_mul_f32_e32 v96, v114, v182
	v_add_f32_e32 v135, v135, v136
	s_waitcnt vmcnt(42)
	v_mul_f32_e32 v136, v129, v210
	v_fma_f32 v96, v113, v193, -v96
	v_fmac_f32_e32 v136, v130, v209
	v_add_f32_e32 v95, v95, v96
	v_mul_f32_e32 v96, v116, v183
	v_add_f32_e32 v135, v135, v136
	s_waitcnt vmcnt(40) lgkmcnt(0)
	v_mul_f32_e32 v136, v131, v212
	v_fma_f32 v96, v115, v194, -v96
	v_fmac_f32_e32 v136, v132, v211
	v_add_f32_e32 v95, v95, v96
	v_mul_f32_e32 v96, v118, v195
	v_add_f32_e32 v139, v135, v136
	ds_read2_b64 v[135:138], v94 offset0:73 offset1:74
	v_fma_f32 v96, v117, v196, -v96
	v_add_f32_e32 v95, v95, v96
	v_mul_f32_e32 v96, v120, v200
	s_waitcnt vmcnt(38)
	v_mul_f32_e32 v140, v133, v214
	v_fma_f32 v96, v119, v199, -v96
	v_fmac_f32_e32 v140, v134, v213
	v_add_f32_e32 v95, v95, v96
	v_mul_f32_e32 v96, v122, v202
	v_add_f32_e32 v143, v139, v140
	ds_read2_b64 v[139:142], v94 offset0:75 offset1:76
	v_fma_f32 v96, v121, v201, -v96
	s_waitcnt vmcnt(36) lgkmcnt(1)
	v_mul_f32_e32 v144, v135, v216
	v_add_f32_e32 v95, v95, v96
	v_mul_f32_e32 v96, v124, v204
	v_fmac_f32_e32 v144, v136, v215
	v_fma_f32 v96, v123, v203, -v96
	v_add_f32_e32 v143, v143, v144
	s_waitcnt vmcnt(34)
	v_mul_f32_e32 v144, v137, v218
	v_add_f32_e32 v95, v95, v96
	v_mul_f32_e32 v96, v126, v206
	v_fmac_f32_e32 v144, v138, v217
	v_fma_f32 v96, v125, v205, -v96
	v_add_f32_e32 v143, v143, v144
	s_waitcnt vmcnt(32) lgkmcnt(0)
	v_mul_f32_e32 v144, v139, v220
	v_add_f32_e32 v95, v95, v96
	v_mul_f32_e32 v96, v128, v208
	v_fmac_f32_e32 v144, v140, v219
	v_fma_f32 v96, v127, v207, -v96
	v_add_f32_e32 v147, v143, v144
	ds_read2_b64 v[143:146], v94 offset0:77 offset1:78
	v_add_f32_e32 v95, v95, v96
	v_mul_f32_e32 v96, v130, v210
	v_fma_f32 v96, v129, v209, -v96
	s_waitcnt vmcnt(30)
	v_mul_f32_e32 v148, v141, v222
	v_add_f32_e32 v95, v95, v96
	v_mul_f32_e32 v96, v132, v212
	v_fmac_f32_e32 v148, v142, v221
	v_fma_f32 v96, v131, v211, -v96
	v_add_f32_e32 v151, v147, v148
	ds_read2_b64 v[147:150], v94 offset0:79 offset1:80
	v_add_f32_e32 v95, v95, v96
	v_mul_f32_e32 v96, v134, v214
	s_waitcnt vmcnt(28) lgkmcnt(1)
	v_mul_f32_e32 v152, v143, v224
	v_fma_f32 v96, v133, v213, -v96
	v_fmac_f32_e32 v152, v144, v223
	v_add_f32_e32 v95, v95, v96
	v_mul_f32_e32 v96, v136, v216
	v_add_f32_e32 v151, v151, v152
	s_waitcnt vmcnt(27)
	v_mul_f32_e32 v152, v145, v225
	v_fma_f32 v96, v135, v215, -v96
	s_waitcnt vmcnt(26)
	v_fmac_f32_e32 v152, v146, v226
	v_add_f32_e32 v95, v95, v96
	v_mul_f32_e32 v96, v138, v218
	v_add_f32_e32 v151, v151, v152
	s_waitcnt vmcnt(24) lgkmcnt(0)
	v_mul_f32_e32 v152, v147, v228
	v_fma_f32 v96, v137, v217, -v96
	v_fmac_f32_e32 v152, v148, v227
	v_add_f32_e32 v95, v95, v96
	v_mul_f32_e32 v96, v140, v220
	v_add_f32_e32 v155, v151, v152
	ds_read2_b64 v[151:154], v94 offset0:81 offset1:82
	v_fma_f32 v96, v139, v219, -v96
	v_add_f32_e32 v95, v95, v96
	v_mul_f32_e32 v96, v142, v222
	s_waitcnt vmcnt(22)
	v_mul_f32_e32 v156, v149, v230
	v_fma_f32 v96, v141, v221, -v96
	v_fmac_f32_e32 v156, v150, v229
	v_add_f32_e32 v95, v95, v96
	v_mul_f32_e32 v96, v144, v224
	v_add_f32_e32 v159, v155, v156
	ds_read2_b64 v[155:158], v94 offset0:83 offset1:84
	v_fma_f32 v96, v143, v223, -v96
	s_waitcnt vmcnt(20) lgkmcnt(1)
	v_mul_f32_e32 v160, v151, v232
	v_add_f32_e32 v95, v95, v96
	v_mul_f32_e32 v96, v146, v225
	v_fmac_f32_e32 v160, v152, v231
	v_fma_f32 v96, v145, v226, -v96
	v_add_f32_e32 v159, v159, v160
	s_waitcnt vmcnt(19)
	v_mul_f32_e32 v160, v153, v233
	v_add_f32_e32 v95, v95, v96
	v_mul_f32_e32 v96, v148, v228
	s_waitcnt vmcnt(18)
	v_fmac_f32_e32 v160, v154, v234
	v_fma_f32 v96, v147, v227, -v96
	v_add_f32_e32 v159, v159, v160
	s_waitcnt vmcnt(16) lgkmcnt(0)
	v_mul_f32_e32 v160, v155, v236
	v_add_f32_e32 v95, v95, v96
	v_mul_f32_e32 v96, v150, v230
	v_fmac_f32_e32 v160, v156, v235
	v_fma_f32 v96, v149, v229, -v96
	v_add_f32_e32 v163, v159, v160
	ds_read2_b64 v[159:162], v94 offset0:85 offset1:86
	v_add_f32_e32 v95, v95, v96
	v_mul_f32_e32 v96, v152, v232
	v_fma_f32 v96, v151, v231, -v96
	s_waitcnt vmcnt(14)
	v_mul_f32_e32 v164, v157, v238
	v_add_f32_e32 v95, v95, v96
	v_mul_f32_e32 v96, v154, v233
	v_fmac_f32_e32 v164, v158, v237
	v_fma_f32 v96, v153, v234, -v96
	v_add_f32_e32 v167, v163, v164
	ds_read2_b64 v[163:166], v94 offset0:87 offset1:88
	v_add_f32_e32 v95, v95, v96
	v_mul_f32_e32 v96, v156, v236
	s_waitcnt vmcnt(12) lgkmcnt(1)
	v_mul_f32_e32 v168, v159, v240
	v_fma_f32 v96, v155, v235, -v96
	v_fmac_f32_e32 v168, v160, v239
	v_add_f32_e32 v95, v95, v96
	v_mul_f32_e32 v96, v158, v238
	v_add_f32_e32 v167, v167, v168
	s_waitcnt vmcnt(11)
	v_mul_f32_e32 v168, v161, v241
	v_fma_f32 v96, v157, v237, -v96
	s_waitcnt vmcnt(10)
	v_fmac_f32_e32 v168, v162, v242
	v_add_f32_e32 v95, v95, v96
	v_mul_f32_e32 v96, v160, v240
	v_add_f32_e32 v167, v167, v168
	s_waitcnt vmcnt(8) lgkmcnt(0)
	v_mul_f32_e32 v168, v163, v244
	v_fma_f32 v96, v159, v239, -v96
	v_fmac_f32_e32 v168, v164, v243
	v_add_f32_e32 v95, v95, v96
	v_mul_f32_e32 v96, v162, v241
	v_add_f32_e32 v171, v167, v168
	ds_read2_b64 v[167:170], v94 offset0:89 offset1:90
	v_fma_f32 v96, v161, v242, -v96
	v_add_f32_e32 v95, v95, v96
	v_mul_f32_e32 v96, v164, v244
	s_waitcnt vmcnt(6)
	v_mul_f32_e32 v172, v165, v246
	v_fma_f32 v96, v163, v243, -v96
	v_fmac_f32_e32 v172, v166, v245
	v_add_f32_e32 v95, v95, v96
	v_mul_f32_e32 v96, v166, v246
	v_add_f32_e32 v253, v171, v172
	ds_read_b64 v[171:172], v94 offset:728
	v_fma_f32 v96, v165, v245, -v96
	v_add_f32_e32 v95, v95, v96
	s_waitcnt vmcnt(4) lgkmcnt(1)
	v_mul_f32_e32 v96, v168, v248
	v_mul_f32_e32 v254, v167, v248
	v_fma_f32 v96, v167, v247, -v96
	v_fmac_f32_e32 v254, v168, v247
	v_add_f32_e32 v95, v95, v96
	s_waitcnt vmcnt(3)
	v_mul_f32_e32 v96, v170, v249
	v_add_f32_e32 v253, v253, v254
	v_mul_f32_e32 v254, v169, v249
	s_waitcnt vmcnt(2)
	v_fma_f32 v96, v169, v250, -v96
	v_fmac_f32_e32 v254, v170, v250
	v_add_f32_e32 v95, v95, v96
	s_waitcnt vmcnt(0) lgkmcnt(0)
	v_mul_f32_e32 v96, v172, v252
	v_add_f32_e32 v253, v253, v254
	v_mul_f32_e32 v254, v171, v252
	v_fma_f32 v96, v171, v251, -v96
	v_fmac_f32_e32 v254, v172, v251
	v_add_f32_e32 v95, v95, v96
	v_add_f32_e32 v253, v253, v254
	v_sub_f32_e32 v95, v197, v95
	v_sub_f32_e32 v96, v198, v253
	buffer_store_dword v95, off, s[0:3], 0 offset:48
	buffer_store_dword v96, off, s[0:3], 0 offset:52
	s_and_saveexec_b64 s[4:5], vcc
	s_cbranch_execz .LBB109_279
; %bb.278:
	buffer_load_dword v95, off, s[0:3], 0 offset:40
	buffer_load_dword v96, off, s[0:3], 0 offset:44
	s_waitcnt vmcnt(0)
	ds_write_b64 v93, v[95:96]
	buffer_store_dword v94, off, s[0:3], 0 offset:40
	buffer_store_dword v94, off, s[0:3], 0 offset:44
.LBB109_279:
	s_or_b64 exec, exec, s[4:5]
	s_waitcnt lgkmcnt(0)
	; wave barrier
	buffer_load_dword v175, off, s[0:3], 0 offset:52
	buffer_load_dword v176, off, s[0:3], 0 offset:60
	;; [unrolled: 1-line block ×32, first 2 shown]
	ds_read_b128 v[95:98], v94 offset:416
	ds_read_b128 v[99:102], v94 offset:432
	;; [unrolled: 1-line block ×6, first 2 shown]
	buffer_load_dword v207, off, s[0:3], 0 offset:168
	buffer_load_dword v208, off, s[0:3], 0 offset:172
	;; [unrolled: 1-line block ×26, first 2 shown]
	v_cmp_lt_u32_e32 vcc, 4, v0
	s_waitcnt vmcnt(57) lgkmcnt(5)
	v_mul_f32_e32 v119, v95, v175
	s_waitcnt vmcnt(56)
	v_mul_f32_e32 v120, v97, v176
	s_waitcnt vmcnt(55) lgkmcnt(4)
	v_mul_f32_e32 v121, v99, v177
	s_waitcnt vmcnt(54)
	v_mul_f32_e32 v122, v101, v178
	;; [unrolled: 4-line block ×5, first 2 shown]
	s_waitcnt vmcnt(47) lgkmcnt(0)
	v_mul_f32_e32 v129, v115, v185
	s_waitcnt vmcnt(46)
	v_fmac_f32_e32 v121, v100, v186
	s_waitcnt vmcnt(45)
	v_fmac_f32_e32 v120, v98, v187
	;; [unrolled: 2-line block ×3, first 2 shown]
	v_add_f32_e32 v119, 0, v119
	v_add_f32_e32 v119, v119, v120
	v_add_f32_e32 v119, v119, v121
	s_waitcnt vmcnt(40)
	v_fmac_f32_e32 v122, v102, v192
	v_fmac_f32_e32 v123, v104, v191
	v_add_f32_e32 v119, v119, v122
	v_fmac_f32_e32 v124, v106, v190
	v_add_f32_e32 v119, v119, v123
	;; [unrolled: 2-line block ×3, first 2 shown]
	s_waitcnt vmcnt(36)
	v_fmac_f32_e32 v126, v110, v196
	v_add_f32_e32 v119, v119, v125
	v_fmac_f32_e32 v127, v112, v195
	v_add_f32_e32 v119, v119, v126
	;; [unrolled: 2-line block ×4, first 2 shown]
	v_add_f32_e32 v123, v119, v129
	ds_read_b128 v[119:122], v94 offset:512
	buffer_load_dword v233, off, s[0:3], 0 offset:272
	buffer_load_dword v234, off, s[0:3], 0 offset:276
	;; [unrolled: 1-line block ×6, first 2 shown]
	s_waitcnt vmcnt(41)
	v_mul_f32_e32 v124, v117, v197
	s_waitcnt vmcnt(35)
	v_fmac_f32_e32 v124, v118, v203
	v_add_f32_e32 v127, v123, v124
	ds_read_b128 v[123:126], v94 offset:528
	buffer_load_dword v239, off, s[0:3], 0 offset:296
	buffer_load_dword v240, off, s[0:3], 0 offset:300
	;; [unrolled: 1-line block ×10, first 2 shown]
	s_waitcnt vmcnt(44) lgkmcnt(1)
	v_mul_f32_e32 v128, v119, v204
	v_fmac_f32_e32 v128, v120, v202
	v_add_f32_e32 v127, v127, v128
	v_mul_f32_e32 v128, v121, v199
	v_fmac_f32_e32 v128, v122, v198
	v_add_f32_e32 v127, v127, v128
	s_waitcnt lgkmcnt(0)
	v_mul_f32_e32 v128, v123, v201
	buffer_load_dword v249, off, s[0:3], 0 offset:336
	buffer_load_dword v250, off, s[0:3], 0 offset:340
	buffer_load_dword v251, off, s[0:3], 0 offset:348
	buffer_load_dword v252, off, s[0:3], 0 offset:352
	buffer_load_dword v253, off, s[0:3], 0 offset:356
	buffer_load_dword v254, off, s[0:3], 0 offset:344
	v_fmac_f32_e32 v128, v124, v200
	s_waitcnt vmcnt(46)
	v_mul_f32_e32 v132, v125, v208
	v_add_f32_e32 v131, v127, v128
	v_fmac_f32_e32 v132, v126, v207
	ds_read_b128 v[127:130], v94 offset:544
	v_add_f32_e32 v135, v131, v132
	ds_read_b128 v[131:134], v94 offset:560
	buffer_load_dword v255, off, s[0:3], 0 offset:360
	buffer_load_dword v3, off, s[0:3], 0 offset:364
	s_waitcnt vmcnt(46) lgkmcnt(1)
	v_mul_f32_e32 v4, v127, v210
	v_fmac_f32_e32 v4, v128, v209
	v_add_f32_e32 v4, v135, v4
	s_waitcnt vmcnt(44)
	v_mul_f32_e32 v135, v129, v212
	v_fmac_f32_e32 v135, v130, v211
	v_add_f32_e32 v4, v4, v135
	s_waitcnt vmcnt(42) lgkmcnt(0)
	v_mul_f32_e32 v135, v131, v214
	v_fmac_f32_e32 v135, v132, v213
	v_add_f32_e32 v4, v4, v135
	ds_read_b128 v[135:138], v94 offset:576
	s_waitcnt vmcnt(40)
	v_mul_f32_e32 v139, v133, v216
	v_fmac_f32_e32 v139, v134, v215
	v_add_f32_e32 v4, v4, v139
	ds_read_b128 v[139:142], v94 offset:592
	s_waitcnt vmcnt(38) lgkmcnt(1)
	v_mul_f32_e32 v143, v135, v218
	v_fmac_f32_e32 v143, v136, v217
	v_add_f32_e32 v4, v4, v143
	s_waitcnt vmcnt(36)
	v_mul_f32_e32 v143, v137, v220
	v_fmac_f32_e32 v143, v138, v219
	v_add_f32_e32 v4, v4, v143
	s_waitcnt vmcnt(34) lgkmcnt(0)
	v_mul_f32_e32 v143, v139, v222
	v_fmac_f32_e32 v143, v140, v221
	v_add_f32_e32 v4, v4, v143
	ds_read_b128 v[143:146], v94 offset:608
	s_waitcnt vmcnt(32)
	v_mul_f32_e32 v147, v141, v224
	v_fmac_f32_e32 v147, v142, v223
	v_add_f32_e32 v4, v4, v147
	ds_read_b128 v[147:150], v94 offset:624
	s_waitcnt vmcnt(30) lgkmcnt(1)
	v_mul_f32_e32 v151, v143, v226
	v_fmac_f32_e32 v151, v144, v225
	v_add_f32_e32 v4, v4, v151
	s_waitcnt vmcnt(29)
	v_mul_f32_e32 v151, v145, v227
	s_waitcnt vmcnt(26)
	v_fmac_f32_e32 v151, v146, v230
	v_add_f32_e32 v4, v4, v151
	s_waitcnt lgkmcnt(0)
	v_mul_f32_e32 v151, v147, v229
	v_fmac_f32_e32 v151, v148, v228
	v_add_f32_e32 v4, v4, v151
	ds_read_b128 v[151:154], v94 offset:640
	s_waitcnt vmcnt(24)
	v_mul_f32_e32 v155, v149, v232
	v_fmac_f32_e32 v155, v150, v231
	v_add_f32_e32 v4, v4, v155
	ds_read_b128 v[155:158], v94 offset:656
	s_waitcnt vmcnt(22) lgkmcnt(1)
	v_mul_f32_e32 v159, v151, v234
	v_fmac_f32_e32 v159, v152, v233
	v_add_f32_e32 v4, v4, v159
	s_waitcnt vmcnt(21)
	v_mul_f32_e32 v159, v153, v235
	s_waitcnt vmcnt(18)
	v_fmac_f32_e32 v159, v154, v238
	v_add_f32_e32 v4, v4, v159
	s_waitcnt lgkmcnt(0)
	;; [unrolled: 19-line block ×4, first 2 shown]
	v_mul_f32_e32 v94, v171, v253
	v_fmac_f32_e32 v94, v172, v252
	v_add_f32_e32 v4, v4, v94
	s_waitcnt vmcnt(0)
	v_mul_f32_e32 v94, v173, v3
	v_fmac_f32_e32 v94, v174, v255
	v_add_f32_e32 v4, v4, v94
	v_mul_f32_e32 v94, v96, v175
	v_fma_f32 v94, v95, v188, -v94
	v_mul_f32_e32 v95, v98, v176
	v_add_f32_e32 v94, 0, v94
	v_fma_f32 v95, v97, v187, -v95
	v_add_f32_e32 v94, v94, v95
	v_mul_f32_e32 v95, v100, v177
	v_fma_f32 v95, v99, v186, -v95
	v_add_f32_e32 v94, v94, v95
	v_mul_f32_e32 v95, v102, v178
	;; [unrolled: 3-line block ×37, first 2 shown]
	v_fma_f32 v95, v171, v252, -v95
	v_mul_f32_e32 v3, v174, v3
	v_add_f32_e32 v94, v94, v95
	v_fma_f32 v3, v173, v255, -v3
	v_add_f32_e32 v3, v94, v3
	v_sub_f32_e32 v3, v205, v3
	v_sub_f32_e32 v4, v206, v4
	buffer_store_dword v3, off, s[0:3], 0 offset:40
	buffer_store_dword v4, off, s[0:3], 0 offset:44
	s_and_saveexec_b64 s[4:5], vcc
	s_cbranch_execz .LBB109_281
; %bb.280:
	buffer_load_dword v94, off, s[0:3], 0 offset:32
	buffer_load_dword v95, off, s[0:3], 0 offset:36
	v_mov_b32_e32 v3, 0
	buffer_store_dword v3, off, s[0:3], 0 offset:32
	buffer_store_dword v3, off, s[0:3], 0 offset:36
	s_waitcnt vmcnt(2)
	ds_write_b64 v93, v[94:95]
.LBB109_281:
	s_or_b64 exec, exec, s[4:5]
	s_waitcnt lgkmcnt(0)
	; wave barrier
	buffer_load_dword v103, off, s[0:3], 0 offset:44
	buffer_load_dword v102, off, s[0:3], 0 offset:52
	;; [unrolled: 1-line block ×50, first 2 shown]
	v_mov_b32_e32 v94, 0
	ds_read2_b64 v[104:107], v94 offset0:51 offset1:52
	ds_read2_b64 v[108:111], v94 offset0:53 offset1:54
	;; [unrolled: 1-line block ×6, first 2 shown]
	buffer_load_dword v225, off, s[0:3], 0 offset:232
	buffer_load_dword v226, off, s[0:3], 0 offset:236
	;; [unrolled: 1-line block ×6, first 2 shown]
	v_cmp_lt_u32_e32 vcc, 3, v0
	s_waitcnt vmcnt(55) lgkmcnt(5)
	v_mul_f32_e32 v128, v104, v103
	s_waitcnt vmcnt(54)
	v_mul_f32_e32 v129, v106, v102
	s_waitcnt vmcnt(53) lgkmcnt(4)
	v_mul_f32_e32 v130, v108, v101
	s_waitcnt vmcnt(52)
	v_mul_f32_e32 v131, v110, v100
	;; [unrolled: 4-line block ×5, first 2 shown]
	s_waitcnt vmcnt(45) lgkmcnt(0)
	v_mul_f32_e32 v138, v124, v187
	s_waitcnt vmcnt(44)
	v_fmac_f32_e32 v130, v109, v188
	s_waitcnt vmcnt(43)
	v_fmac_f32_e32 v129, v107, v189
	;; [unrolled: 2-line block ×3, first 2 shown]
	v_add_f32_e32 v128, 0, v128
	v_add_f32_e32 v128, v128, v129
	;; [unrolled: 1-line block ×3, first 2 shown]
	s_waitcnt vmcnt(38)
	v_fmac_f32_e32 v131, v111, v194
	v_fmac_f32_e32 v132, v113, v193
	v_add_f32_e32 v128, v128, v131
	v_fmac_f32_e32 v133, v115, v192
	v_add_f32_e32 v128, v128, v132
	v_fmac_f32_e32 v134, v117, v191
	v_add_f32_e32 v128, v128, v133
	s_waitcnt vmcnt(34)
	v_fmac_f32_e32 v135, v119, v198
	v_add_f32_e32 v128, v128, v134
	v_fmac_f32_e32 v136, v121, v197
	v_add_f32_e32 v128, v128, v135
	v_fmac_f32_e32 v137, v123, v196
	v_add_f32_e32 v128, v128, v136
	v_fmac_f32_e32 v138, v125, v195
	v_add_f32_e32 v128, v128, v137
	v_add_f32_e32 v132, v128, v138
	ds_read2_b64 v[128:131], v94 offset0:63 offset1:64
	buffer_load_dword v231, off, s[0:3], 0 offset:256
	buffer_load_dword v232, off, s[0:3], 0 offset:260
	s_waitcnt vmcnt(35)
	v_mul_f32_e32 v133, v126, v199
	s_waitcnt vmcnt(29)
	v_fmac_f32_e32 v133, v127, v205
	v_add_f32_e32 v136, v132, v133
	ds_read2_b64 v[132:135], v94 offset0:65 offset1:66
	buffer_load_dword v233, off, s[0:3], 0 offset:264
	buffer_load_dword v234, off, s[0:3], 0 offset:268
	;; [unrolled: 1-line block ×14, first 2 shown]
	s_waitcnt vmcnt(42) lgkmcnt(1)
	v_mul_f32_e32 v137, v128, v206
	v_fmac_f32_e32 v137, v129, v204
	buffer_load_dword v247, off, s[0:3], 0 offset:320
	buffer_load_dword v248, off, s[0:3], 0 offset:324
	v_add_f32_e32 v136, v136, v137
	v_mul_f32_e32 v137, v130, v201
	v_fmac_f32_e32 v137, v131, v200
	v_add_f32_e32 v136, v136, v137
	s_waitcnt lgkmcnt(0)
	v_mul_f32_e32 v137, v132, v203
	v_fmac_f32_e32 v137, v133, v202
	v_add_f32_e32 v140, v136, v137
	ds_read2_b64 v[136:139], v94 offset0:67 offset1:68
	buffer_load_dword v249, off, s[0:3], 0 offset:328
	buffer_load_dword v250, off, s[0:3], 0 offset:332
	;; [unrolled: 1-line block ×6, first 2 shown]
	s_waitcnt vmcnt(46)
	v_mul_f32_e32 v141, v134, v208
	v_fmac_f32_e32 v141, v135, v207
	v_add_f32_e32 v144, v140, v141
	ds_read2_b64 v[140:143], v94 offset0:69 offset1:70
	buffer_load_dword v255, off, s[0:3], 0 offset:356
	buffer_load_dword v5, off, s[0:3], 0 offset:360
	;; [unrolled: 1-line block ×4, first 2 shown]
	s_waitcnt vmcnt(48) lgkmcnt(1)
	v_mul_f32_e32 v145, v136, v210
	v_fmac_f32_e32 v145, v137, v209
	v_add_f32_e32 v8, v144, v145
	s_waitcnt vmcnt(46)
	v_mul_f32_e32 v144, v138, v212
	v_fmac_f32_e32 v144, v139, v211
	v_add_f32_e32 v8, v8, v144
	s_waitcnt vmcnt(44) lgkmcnt(0)
	v_mul_f32_e32 v144, v140, v214
	v_fmac_f32_e32 v144, v141, v213
	v_add_f32_e32 v8, v8, v144
	ds_read2_b64 v[144:147], v94 offset0:71 offset1:72
	s_waitcnt vmcnt(42)
	v_mul_f32_e32 v148, v142, v216
	v_fmac_f32_e32 v148, v143, v215
	v_add_f32_e32 v8, v8, v148
	ds_read2_b64 v[148:151], v94 offset0:73 offset1:74
	s_waitcnt vmcnt(40) lgkmcnt(1)
	v_mul_f32_e32 v152, v144, v218
	v_fmac_f32_e32 v152, v145, v217
	v_add_f32_e32 v8, v8, v152
	s_waitcnt vmcnt(38)
	v_mul_f32_e32 v152, v146, v220
	v_fmac_f32_e32 v152, v147, v219
	v_add_f32_e32 v8, v8, v152
	s_waitcnt vmcnt(36) lgkmcnt(0)
	v_mul_f32_e32 v152, v148, v222
	v_fmac_f32_e32 v152, v149, v221
	v_add_f32_e32 v8, v8, v152
	ds_read2_b64 v[152:155], v94 offset0:75 offset1:76
	s_waitcnt vmcnt(34)
	v_mul_f32_e32 v156, v150, v224
	v_fmac_f32_e32 v156, v151, v223
	v_add_f32_e32 v8, v8, v156
	ds_read2_b64 v[156:159], v94 offset0:77 offset1:78
	s_waitcnt vmcnt(32) lgkmcnt(1)
	v_mul_f32_e32 v160, v152, v226
	v_fmac_f32_e32 v160, v153, v225
	v_add_f32_e32 v8, v8, v160
	s_waitcnt vmcnt(31)
	v_mul_f32_e32 v160, v154, v227
	s_waitcnt vmcnt(28)
	v_fmac_f32_e32 v160, v155, v230
	v_add_f32_e32 v8, v8, v160
	s_waitcnt lgkmcnt(0)
	v_mul_f32_e32 v160, v156, v229
	v_fmac_f32_e32 v160, v157, v228
	v_add_f32_e32 v8, v8, v160
	ds_read2_b64 v[160:163], v94 offset0:79 offset1:80
	v_mul_f32_e32 v10, v107, v102
	v_fma_f32 v10, v106, v189, -v10
	v_mul_f32_e32 v3, v119, v3
	v_fma_f32 v3, v118, v198, -v3
	;; [unrolled: 2-line block ×3, first 2 shown]
	s_waitcnt vmcnt(26)
	v_mul_f32_e32 v164, v158, v232
	v_fmac_f32_e32 v164, v159, v231
	v_add_f32_e32 v8, v8, v164
	ds_read2_b64 v[164:167], v94 offset0:81 offset1:82
	s_waitcnt vmcnt(24) lgkmcnt(1)
	v_mul_f32_e32 v168, v160, v234
	v_fmac_f32_e32 v168, v161, v233
	v_add_f32_e32 v8, v8, v168
	s_waitcnt vmcnt(23)
	v_mul_f32_e32 v168, v162, v235
	s_waitcnt vmcnt(20)
	v_fmac_f32_e32 v168, v163, v238
	v_add_f32_e32 v8, v8, v168
	s_waitcnt lgkmcnt(0)
	v_mul_f32_e32 v168, v164, v237
	v_fmac_f32_e32 v168, v165, v236
	v_add_f32_e32 v8, v8, v168
	ds_read2_b64 v[168:171], v94 offset0:83 offset1:84
	s_waitcnt vmcnt(18)
	v_mul_f32_e32 v172, v166, v240
	v_fmac_f32_e32 v172, v167, v239
	v_add_f32_e32 v8, v8, v172
	ds_read2_b64 v[172:175], v94 offset0:85 offset1:86
	s_waitcnt vmcnt(16) lgkmcnt(1)
	v_mul_f32_e32 v176, v168, v242
	v_fmac_f32_e32 v176, v169, v241
	v_add_f32_e32 v8, v8, v176
	s_waitcnt vmcnt(15)
	v_mul_f32_e32 v176, v170, v243
	s_waitcnt vmcnt(12)
	v_fmac_f32_e32 v176, v171, v246
	v_add_f32_e32 v8, v8, v176
	s_waitcnt lgkmcnt(0)
	v_mul_f32_e32 v176, v172, v245
	v_fmac_f32_e32 v176, v173, v244
	v_add_f32_e32 v8, v8, v176
	ds_read2_b64 v[176:179], v94 offset0:87 offset1:88
	s_waitcnt vmcnt(10)
	v_mul_f32_e32 v180, v174, v248
	v_fmac_f32_e32 v180, v175, v247
	v_add_f32_e32 v8, v8, v180
	ds_read2_b64 v[180:183], v94 offset0:89 offset1:90
	s_waitcnt vmcnt(8) lgkmcnt(1)
	v_mul_f32_e32 v184, v176, v250
	v_fmac_f32_e32 v184, v177, v249
	v_add_f32_e32 v8, v8, v184
	s_waitcnt vmcnt(7)
	v_mul_f32_e32 v184, v178, v251
	s_waitcnt vmcnt(4)
	v_fmac_f32_e32 v184, v179, v254
	v_add_f32_e32 v8, v8, v184
	ds_read_b64 v[184:185], v94 offset:728
	s_waitcnt lgkmcnt(1)
	v_mul_f32_e32 v9, v180, v253
	v_fmac_f32_e32 v9, v181, v252
	v_add_f32_e32 v8, v8, v9
	s_waitcnt vmcnt(3)
	v_mul_f32_e32 v9, v182, v255
	s_waitcnt vmcnt(0)
	v_fmac_f32_e32 v9, v183, v7
	v_add_f32_e32 v8, v8, v9
	s_waitcnt lgkmcnt(0)
	v_mul_f32_e32 v9, v184, v6
	v_fmac_f32_e32 v9, v185, v5
	v_add_f32_e32 v8, v8, v9
	v_mul_f32_e32 v9, v105, v103
	v_fma_f32 v9, v104, v190, -v9
	v_add_f32_e32 v9, 0, v9
	v_add_f32_e32 v9, v9, v10
	v_mul_f32_e32 v10, v109, v101
	v_fma_f32 v10, v108, v188, -v10
	v_add_f32_e32 v9, v9, v10
	v_mul_f32_e32 v10, v111, v100
	v_fma_f32 v10, v110, v194, -v10
	;; [unrolled: 3-line block ×5, first 2 shown]
	v_add_f32_e32 v9, v9, v10
	v_add_f32_e32 v3, v9, v3
	;; [unrolled: 1-line block ×3, first 2 shown]
	v_mul_f32_e32 v4, v123, v186
	v_fma_f32 v4, v122, v196, -v4
	v_add_f32_e32 v3, v3, v4
	v_mul_f32_e32 v4, v125, v187
	v_fma_f32 v4, v124, v195, -v4
	v_add_f32_e32 v3, v3, v4
	;; [unrolled: 3-line block ×32, first 2 shown]
	v_sub_f32_e32 v3, v97, v3
	v_sub_f32_e32 v4, v98, v8
	buffer_store_dword v3, off, s[0:3], 0 offset:32
	buffer_store_dword v4, off, s[0:3], 0 offset:36
	s_and_saveexec_b64 s[4:5], vcc
	s_cbranch_execz .LBB109_283
; %bb.282:
	buffer_load_dword v95, off, s[0:3], 0 offset:24
	buffer_load_dword v96, off, s[0:3], 0 offset:28
	s_waitcnt vmcnt(0)
	ds_write_b64 v93, v[95:96]
	buffer_store_dword v94, off, s[0:3], 0 offset:24
	buffer_store_dword v94, off, s[0:3], 0 offset:28
.LBB109_283:
	s_or_b64 exec, exec, s[4:5]
	s_waitcnt lgkmcnt(0)
	; wave barrier
	buffer_load_dword v3, off, s[0:3], 0 offset:36
	buffer_load_dword v4, off, s[0:3], 0 offset:44
	;; [unrolled: 1-line block ×32, first 2 shown]
	ds_read_b128 v[95:98], v94 offset:400
	ds_read_b128 v[99:102], v94 offset:416
	;; [unrolled: 1-line block ×6, first 2 shown]
	buffer_load_dword v203, off, s[0:3], 0 offset:152
	buffer_load_dword v204, off, s[0:3], 0 offset:156
	buffer_load_dword v205, off, s[0:3], 0 offset:160
	buffer_load_dword v206, off, s[0:3], 0 offset:164
	buffer_load_dword v207, off, s[0:3], 0 offset:168
	buffer_load_dword v208, off, s[0:3], 0 offset:172
	buffer_load_dword v209, off, s[0:3], 0 offset:176
	buffer_load_dword v210, off, s[0:3], 0 offset:180
	buffer_load_dword v211, off, s[0:3], 0 offset:184
	buffer_load_dword v212, off, s[0:3], 0 offset:188
	buffer_load_dword v213, off, s[0:3], 0 offset:192
	buffer_load_dword v214, off, s[0:3], 0 offset:196
	buffer_load_dword v215, off, s[0:3], 0 offset:200
	buffer_load_dword v216, off, s[0:3], 0 offset:204
	buffer_load_dword v217, off, s[0:3], 0 offset:208
	buffer_load_dword v218, off, s[0:3], 0 offset:212
	buffer_load_dword v219, off, s[0:3], 0 offset:216
	buffer_load_dword v220, off, s[0:3], 0 offset:220
	v_cmp_lt_u32_e32 vcc, 2, v0
	s_waitcnt vmcnt(49) lgkmcnt(5)
	v_mul_f32_e32 v119, v95, v3
	s_waitcnt vmcnt(48)
	v_mul_f32_e32 v120, v97, v4
	s_waitcnt vmcnt(47) lgkmcnt(4)
	v_mul_f32_e32 v121, v99, v5
	s_waitcnt vmcnt(46)
	v_mul_f32_e32 v122, v101, v6
	;; [unrolled: 4-line block ×6, first 2 shown]
	s_waitcnt vmcnt(37)
	v_fmac_f32_e32 v121, v100, v183
	s_waitcnt vmcnt(36)
	v_fmac_f32_e32 v120, v98, v184
	s_waitcnt vmcnt(35)
	v_fmac_f32_e32 v119, v96, v185
	v_add_f32_e32 v119, 0, v119
	v_add_f32_e32 v119, v119, v120
	;; [unrolled: 1-line block ×3, first 2 shown]
	s_waitcnt vmcnt(31)
	v_fmac_f32_e32 v122, v102, v189
	v_fmac_f32_e32 v123, v104, v188
	v_add_f32_e32 v119, v119, v122
	v_fmac_f32_e32 v124, v106, v187
	v_add_f32_e32 v119, v119, v123
	;; [unrolled: 2-line block ×3, first 2 shown]
	s_waitcnt vmcnt(27)
	v_fmac_f32_e32 v126, v110, v193
	v_add_f32_e32 v119, v119, v125
	v_fmac_f32_e32 v127, v112, v192
	v_add_f32_e32 v119, v119, v126
	;; [unrolled: 2-line block ×3, first 2 shown]
	v_add_f32_e32 v123, v119, v128
	ds_read_b128 v[119:122], v94 offset:496
	buffer_load_dword v221, off, s[0:3], 0 offset:224
	buffer_load_dword v222, off, s[0:3], 0 offset:228
	;; [unrolled: 1-line block ×6, first 2 shown]
	v_fmac_f32_e32 v129, v116, v190
	s_waitcnt vmcnt(27)
	v_fmac_f32_e32 v130, v118, v199
	v_add_f32_e32 v123, v123, v129
	v_add_f32_e32 v127, v123, v130
	ds_read_b128 v[123:126], v94 offset:512
	buffer_load_dword v227, off, s[0:3], 0 offset:248
	buffer_load_dword v228, off, s[0:3], 0 offset:252
	;; [unrolled: 1-line block ×10, first 2 shown]
	s_waitcnt vmcnt(36) lgkmcnt(1)
	v_mul_f32_e32 v128, v119, v200
	buffer_load_dword v237, off, s[0:3], 0 offset:288
	buffer_load_dword v238, off, s[0:3], 0 offset:292
	;; [unrolled: 1-line block ×6, first 2 shown]
	v_fmac_f32_e32 v128, v120, v198
	v_add_f32_e32 v127, v127, v128
	v_mul_f32_e32 v128, v121, v195
	v_fmac_f32_e32 v128, v122, v194
	v_add_f32_e32 v127, v127, v128
	s_waitcnt lgkmcnt(0)
	v_mul_f32_e32 v128, v123, v197
	v_fmac_f32_e32 v128, v124, v196
	v_add_f32_e32 v131, v127, v128
	ds_read_b128 v[127:130], v94 offset:528
	buffer_load_dword v243, off, s[0:3], 0 offset:312
	buffer_load_dword v244, off, s[0:3], 0 offset:316
	s_waitcnt vmcnt(40)
	v_mul_f32_e32 v132, v125, v204
	v_fmac_f32_e32 v132, v126, v203
	v_add_f32_e32 v135, v131, v132
	ds_read_b128 v[131:134], v94 offset:544
	buffer_load_dword v245, off, s[0:3], 0 offset:320
	buffer_load_dword v246, off, s[0:3], 0 offset:324
	;; [unrolled: 1-line block ×12, first 2 shown]
	v_mul_f32_e32 v3, v96, v3
	v_fma_f32 v3, v95, v185, -v3
	v_mul_f32_e32 v4, v98, v4
	v_add_f32_e32 v3, 0, v3
	v_fma_f32 v4, v97, v184, -v4
	v_add_f32_e32 v3, v3, v4
	v_mul_f32_e32 v4, v100, v5
	v_fma_f32 v4, v99, v183, -v4
	v_add_f32_e32 v3, v3, v4
	v_mul_f32_e32 v4, v102, v6
	;; [unrolled: 3-line block ×6, first 2 shown]
	v_fma_f32 v4, v109, v193, -v4
	s_waitcnt vmcnt(50) lgkmcnt(1)
	v_mul_f32_e32 v136, v127, v206
	v_add_f32_e32 v3, v3, v4
	v_mul_f32_e32 v4, v112, v179
	v_fmac_f32_e32 v136, v128, v205
	v_fma_f32 v4, v111, v192, -v4
	v_add_f32_e32 v135, v135, v136
	s_waitcnt vmcnt(48)
	v_mul_f32_e32 v136, v129, v208
	v_add_f32_e32 v3, v3, v4
	v_mul_f32_e32 v4, v114, v180
	v_fmac_f32_e32 v136, v130, v207
	v_fma_f32 v4, v113, v191, -v4
	v_add_f32_e32 v12, v135, v136
	s_waitcnt vmcnt(46) lgkmcnt(0)
	v_mul_f32_e32 v135, v131, v210
	v_add_f32_e32 v3, v3, v4
	v_mul_f32_e32 v4, v116, v181
	v_fmac_f32_e32 v135, v132, v209
	v_fma_f32 v4, v115, v190, -v4
	v_add_f32_e32 v12, v12, v135
	ds_read_b128 v[135:138], v94 offset:560
	v_add_f32_e32 v3, v3, v4
	v_mul_f32_e32 v4, v118, v182
	v_fma_f32 v4, v117, v199, -v4
	s_waitcnt vmcnt(44)
	v_mul_f32_e32 v139, v133, v212
	v_add_f32_e32 v3, v3, v4
	v_mul_f32_e32 v4, v120, v200
	v_fmac_f32_e32 v139, v134, v211
	v_fma_f32 v4, v119, v198, -v4
	v_add_f32_e32 v12, v12, v139
	ds_read_b128 v[139:142], v94 offset:576
	v_add_f32_e32 v3, v3, v4
	v_mul_f32_e32 v4, v122, v195
	s_waitcnt vmcnt(42) lgkmcnt(1)
	v_mul_f32_e32 v143, v135, v214
	v_fma_f32 v4, v121, v194, -v4
	v_fmac_f32_e32 v143, v136, v213
	v_add_f32_e32 v3, v3, v4
	v_mul_f32_e32 v4, v124, v197
	v_add_f32_e32 v12, v12, v143
	s_waitcnt vmcnt(40)
	v_mul_f32_e32 v143, v137, v216
	v_fma_f32 v4, v123, v196, -v4
	v_fmac_f32_e32 v143, v138, v215
	v_add_f32_e32 v3, v3, v4
	v_mul_f32_e32 v4, v126, v204
	v_add_f32_e32 v12, v12, v143
	s_waitcnt vmcnt(38) lgkmcnt(0)
	v_mul_f32_e32 v143, v139, v218
	v_fma_f32 v4, v125, v203, -v4
	v_fmac_f32_e32 v143, v140, v217
	v_add_f32_e32 v3, v3, v4
	v_mul_f32_e32 v4, v128, v206
	v_add_f32_e32 v12, v12, v143
	ds_read_b128 v[143:146], v94 offset:592
	v_fma_f32 v4, v127, v205, -v4
	v_add_f32_e32 v3, v3, v4
	v_mul_f32_e32 v4, v130, v208
	s_waitcnt vmcnt(36)
	v_mul_f32_e32 v147, v141, v220
	v_fma_f32 v4, v129, v207, -v4
	v_fmac_f32_e32 v147, v142, v219
	v_add_f32_e32 v3, v3, v4
	v_mul_f32_e32 v4, v132, v210
	v_add_f32_e32 v12, v12, v147
	ds_read_b128 v[147:150], v94 offset:608
	v_fma_f32 v4, v131, v209, -v4
	s_waitcnt vmcnt(34) lgkmcnt(1)
	v_mul_f32_e32 v151, v143, v222
	v_add_f32_e32 v3, v3, v4
	v_mul_f32_e32 v4, v134, v212
	v_fmac_f32_e32 v151, v144, v221
	v_fma_f32 v4, v133, v211, -v4
	v_add_f32_e32 v12, v12, v151
	s_waitcnt vmcnt(33)
	v_mul_f32_e32 v151, v145, v223
	v_add_f32_e32 v3, v3, v4
	v_mul_f32_e32 v4, v136, v214
	s_waitcnt vmcnt(30)
	v_fmac_f32_e32 v151, v146, v226
	v_fma_f32 v4, v135, v213, -v4
	v_add_f32_e32 v12, v12, v151
	s_waitcnt lgkmcnt(0)
	v_mul_f32_e32 v151, v147, v225
	v_add_f32_e32 v3, v3, v4
	v_mul_f32_e32 v4, v138, v216
	v_fmac_f32_e32 v151, v148, v224
	v_fma_f32 v4, v137, v215, -v4
	v_add_f32_e32 v12, v12, v151
	ds_read_b128 v[151:154], v94 offset:624
	v_add_f32_e32 v3, v3, v4
	v_mul_f32_e32 v4, v140, v218
	v_fma_f32 v4, v139, v217, -v4
	s_waitcnt vmcnt(28)
	v_mul_f32_e32 v155, v149, v228
	v_add_f32_e32 v3, v3, v4
	v_mul_f32_e32 v4, v142, v220
	v_fmac_f32_e32 v155, v150, v227
	v_fma_f32 v4, v141, v219, -v4
	v_add_f32_e32 v12, v12, v155
	ds_read_b128 v[155:158], v94 offset:640
	v_add_f32_e32 v3, v3, v4
	v_mul_f32_e32 v4, v144, v222
	s_waitcnt vmcnt(26) lgkmcnt(1)
	v_mul_f32_e32 v159, v151, v230
	v_fma_f32 v4, v143, v221, -v4
	v_fmac_f32_e32 v159, v152, v229
	v_add_f32_e32 v3, v3, v4
	v_mul_f32_e32 v4, v146, v223
	v_add_f32_e32 v12, v12, v159
	s_waitcnt vmcnt(25)
	v_mul_f32_e32 v159, v153, v231
	v_fma_f32 v4, v145, v226, -v4
	s_waitcnt vmcnt(22)
	v_fmac_f32_e32 v159, v154, v234
	v_add_f32_e32 v3, v3, v4
	v_mul_f32_e32 v4, v148, v225
	v_add_f32_e32 v12, v12, v159
	s_waitcnt lgkmcnt(0)
	v_mul_f32_e32 v159, v155, v233
	v_fma_f32 v4, v147, v224, -v4
	v_fmac_f32_e32 v159, v156, v232
	v_add_f32_e32 v3, v3, v4
	v_mul_f32_e32 v4, v150, v228
	v_add_f32_e32 v12, v12, v159
	ds_read_b128 v[159:162], v94 offset:656
	v_fma_f32 v4, v149, v227, -v4
	v_add_f32_e32 v3, v3, v4
	v_mul_f32_e32 v4, v152, v230
	s_waitcnt vmcnt(20)
	v_mul_f32_e32 v163, v157, v236
	v_fma_f32 v4, v151, v229, -v4
	v_fmac_f32_e32 v163, v158, v235
	v_add_f32_e32 v3, v3, v4
	v_mul_f32_e32 v4, v154, v231
	v_add_f32_e32 v12, v12, v163
	ds_read_b128 v[163:166], v94 offset:672
	v_fma_f32 v4, v153, v234, -v4
	s_waitcnt vmcnt(18) lgkmcnt(1)
	v_mul_f32_e32 v167, v159, v238
	v_add_f32_e32 v3, v3, v4
	v_mul_f32_e32 v4, v156, v233
	v_fmac_f32_e32 v167, v160, v237
	v_fma_f32 v4, v155, v232, -v4
	v_add_f32_e32 v12, v12, v167
	s_waitcnt vmcnt(17)
	v_mul_f32_e32 v167, v161, v239
	v_add_f32_e32 v3, v3, v4
	v_mul_f32_e32 v4, v158, v236
	s_waitcnt vmcnt(14)
	v_fmac_f32_e32 v167, v162, v242
	v_fma_f32 v4, v157, v235, -v4
	v_add_f32_e32 v12, v12, v167
	s_waitcnt lgkmcnt(0)
	v_mul_f32_e32 v167, v163, v241
	v_add_f32_e32 v3, v3, v4
	v_mul_f32_e32 v4, v160, v238
	v_fmac_f32_e32 v167, v164, v240
	v_fma_f32 v4, v159, v237, -v4
	v_add_f32_e32 v12, v12, v167
	ds_read_b128 v[167:170], v94 offset:688
	v_add_f32_e32 v3, v3, v4
	v_mul_f32_e32 v4, v162, v239
	v_fma_f32 v4, v161, v242, -v4
	v_add_f32_e32 v3, v3, v4
	v_mul_f32_e32 v4, v164, v241
	s_waitcnt vmcnt(12)
	v_mul_f32_e32 v171, v165, v244
	v_fma_f32 v4, v163, v240, -v4
	v_fmac_f32_e32 v171, v166, v243
	v_add_f32_e32 v3, v3, v4
	v_mul_f32_e32 v4, v166, v244
	v_add_f32_e32 v12, v12, v171
	ds_read_b128 v[171:174], v94 offset:704
	s_waitcnt vmcnt(10) lgkmcnt(1)
	v_mul_f32_e32 v175, v167, v246
	v_fma_f32 v4, v165, v243, -v4
	v_fmac_f32_e32 v175, v168, v245
	v_add_f32_e32 v3, v3, v4
	v_mul_f32_e32 v4, v168, v246
	v_add_f32_e32 v12, v12, v175
	s_waitcnt vmcnt(9)
	v_mul_f32_e32 v175, v169, v247
	v_fma_f32 v4, v167, v245, -v4
	s_waitcnt vmcnt(6)
	v_fmac_f32_e32 v175, v170, v250
	v_add_f32_e32 v3, v3, v4
	v_mul_f32_e32 v4, v170, v247
	v_add_f32_e32 v12, v12, v175
	ds_read_b128 v[175:178], v94 offset:720
	v_fma_f32 v4, v169, v250, -v4
	v_add_f32_e32 v3, v3, v4
	s_waitcnt lgkmcnt(1)
	v_mul_f32_e32 v4, v172, v249
	v_mul_f32_e32 v13, v171, v249
	v_fma_f32 v4, v171, v248, -v4
	v_fmac_f32_e32 v13, v172, v248
	v_add_f32_e32 v3, v3, v4
	s_waitcnt vmcnt(4)
	v_mul_f32_e32 v4, v174, v252
	v_add_f32_e32 v12, v12, v13
	v_mul_f32_e32 v13, v173, v252
	v_fma_f32 v4, v173, v251, -v4
	v_fmac_f32_e32 v13, v174, v251
	v_add_f32_e32 v3, v3, v4
	s_waitcnt vmcnt(3) lgkmcnt(0)
	v_mul_f32_e32 v4, v176, v253
	v_add_f32_e32 v12, v12, v13
	v_mul_f32_e32 v13, v175, v253
	s_waitcnt vmcnt(0)
	v_fma_f32 v4, v175, v11, -v4
	v_fmac_f32_e32 v13, v176, v11
	v_add_f32_e32 v3, v3, v4
	v_mul_f32_e32 v4, v178, v255
	v_add_f32_e32 v12, v12, v13
	v_mul_f32_e32 v13, v177, v255
	v_fma_f32 v4, v177, v254, -v4
	v_fmac_f32_e32 v13, v178, v254
	v_add_f32_e32 v3, v3, v4
	v_add_f32_e32 v12, v12, v13
	v_sub_f32_e32 v3, v201, v3
	v_sub_f32_e32 v4, v202, v12
	buffer_store_dword v3, off, s[0:3], 0 offset:24
	buffer_store_dword v4, off, s[0:3], 0 offset:28
	s_and_saveexec_b64 s[4:5], vcc
	s_cbranch_execz .LBB109_285
; %bb.284:
	buffer_load_dword v94, off, s[0:3], 0 offset:16
	buffer_load_dword v95, off, s[0:3], 0 offset:20
	v_mov_b32_e32 v3, 0
	buffer_store_dword v3, off, s[0:3], 0 offset:16
	buffer_store_dword v3, off, s[0:3], 0 offset:20
	s_waitcnt vmcnt(2)
	ds_write_b64 v93, v[94:95]
.LBB109_285:
	s_or_b64 exec, exec, s[4:5]
	s_waitcnt lgkmcnt(0)
	; wave barrier
	buffer_load_dword v103, off, s[0:3], 0 offset:28
	buffer_load_dword v102, off, s[0:3], 0 offset:36
	buffer_load_dword v101, off, s[0:3], 0 offset:44
	buffer_load_dword v100, off, s[0:3], 0 offset:52
	buffer_load_dword v99, off, s[0:3], 0 offset:60
	buffer_load_dword v98, off, s[0:3], 0 offset:68
	buffer_load_dword v97, off, s[0:3], 0 offset:76
	buffer_load_dword v104, off, s[0:3], 0 offset:84
	buffer_load_dword v105, off, s[0:3], 0 offset:92
	buffer_load_dword v106, off, s[0:3], 0 offset:100
	buffer_load_dword v107, off, s[0:3], 0 offset:108
	buffer_load_dword v108, off, s[0:3], 0 offset:116
	buffer_load_dword v3, off, s[0:3], 0 offset:40
	buffer_load_dword v4, off, s[0:3], 0 offset:32
	buffer_load_dword v5, off, s[0:3], 0 offset:24
	buffer_load_dword v6, off, s[0:3], 0 offset:72
	buffer_load_dword v7, off, s[0:3], 0 offset:64
	buffer_load_dword v8, off, s[0:3], 0 offset:56
	buffer_load_dword v9, off, s[0:3], 0 offset:48
	buffer_load_dword v10, off, s[0:3], 0 offset:104
	buffer_load_dword v11, off, s[0:3], 0 offset:96
	buffer_load_dword v12, off, s[0:3], 0 offset:88
	buffer_load_dword v13, off, s[0:3], 0 offset:80
	buffer_load_dword v14, off, s[0:3], 0 offset:136
	buffer_load_dword v195, off, s[0:3], 0 offset:140
	buffer_load_dword v196, off, s[0:3], 0 offset:128
	buffer_load_dword v197, off, s[0:3], 0 offset:120
	buffer_load_dword v198, off, s[0:3], 0 offset:112
	buffer_load_dword v199, off, s[0:3], 0 offset:124
	buffer_load_dword v200, off, s[0:3], 0 offset:132
	buffer_load_dword v95, off, s[0:3], 0 offset:16
	buffer_load_dword v96, off, s[0:3], 0 offset:20
	buffer_load_dword v201, off, s[0:3], 0 offset:144
	buffer_load_dword v202, off, s[0:3], 0 offset:148
	buffer_load_dword v203, off, s[0:3], 0 offset:152
	buffer_load_dword v204, off, s[0:3], 0 offset:156
	buffer_load_dword v205, off, s[0:3], 0 offset:160
	buffer_load_dword v206, off, s[0:3], 0 offset:164
	buffer_load_dword v207, off, s[0:3], 0 offset:168
	buffer_load_dword v208, off, s[0:3], 0 offset:172
	buffer_load_dword v209, off, s[0:3], 0 offset:176
	buffer_load_dword v210, off, s[0:3], 0 offset:180
	buffer_load_dword v211, off, s[0:3], 0 offset:184
	buffer_load_dword v212, off, s[0:3], 0 offset:188
	buffer_load_dword v213, off, s[0:3], 0 offset:192
	buffer_load_dword v214, off, s[0:3], 0 offset:196
	buffer_load_dword v215, off, s[0:3], 0 offset:200
	buffer_load_dword v216, off, s[0:3], 0 offset:204
	v_mov_b32_e32 v94, 0
	ds_read2_b64 v[109:112], v94 offset0:49 offset1:50
	ds_read2_b64 v[113:116], v94 offset0:51 offset1:52
	;; [unrolled: 1-line block ×6, first 2 shown]
	buffer_load_dword v217, off, s[0:3], 0 offset:208
	buffer_load_dword v218, off, s[0:3], 0 offset:212
	v_cmp_lt_u32_e32 vcc, 1, v0
	s_waitcnt vmcnt(49) lgkmcnt(5)
	v_mul_f32_e32 v133, v109, v103
	s_waitcnt vmcnt(48)
	v_mul_f32_e32 v134, v111, v102
	s_waitcnt vmcnt(47) lgkmcnt(4)
	v_mul_f32_e32 v135, v113, v101
	s_waitcnt vmcnt(46)
	v_mul_f32_e32 v136, v115, v100
	;; [unrolled: 4-line block ×6, first 2 shown]
	s_waitcnt vmcnt(37)
	v_fmac_f32_e32 v135, v114, v3
	s_waitcnt vmcnt(36)
	v_fmac_f32_e32 v134, v112, v4
	;; [unrolled: 2-line block ×3, first 2 shown]
	v_add_f32_e32 v133, 0, v133
	v_add_f32_e32 v133, v133, v134
	;; [unrolled: 1-line block ×3, first 2 shown]
	s_waitcnt vmcnt(31)
	v_fmac_f32_e32 v136, v116, v9
	v_fmac_f32_e32 v137, v118, v8
	v_add_f32_e32 v133, v133, v136
	v_fmac_f32_e32 v138, v120, v7
	v_add_f32_e32 v133, v133, v137
	;; [unrolled: 2-line block ×3, first 2 shown]
	s_waitcnt vmcnt(27)
	v_fmac_f32_e32 v140, v124, v13
	v_add_f32_e32 v133, v133, v139
	v_fmac_f32_e32 v141, v126, v12
	v_add_f32_e32 v133, v133, v140
	;; [unrolled: 2-line block ×4, first 2 shown]
	v_add_f32_e32 v137, v133, v143
	ds_read2_b64 v[133:136], v94 offset0:61 offset1:62
	buffer_load_dword v219, off, s[0:3], 0 offset:216
	buffer_load_dword v220, off, s[0:3], 0 offset:220
	;; [unrolled: 1-line block ×6, first 2 shown]
	s_waitcnt vmcnt(28)
	v_fmac_f32_e32 v144, v132, v198
	v_add_f32_e32 v141, v137, v144
	ds_read2_b64 v[137:140], v94 offset0:63 offset1:64
	buffer_load_dword v225, off, s[0:3], 0 offset:240
	buffer_load_dword v226, off, s[0:3], 0 offset:244
	;; [unrolled: 1-line block ×8, first 2 shown]
	s_waitcnt vmcnt(35) lgkmcnt(1)
	v_mul_f32_e32 v142, v133, v199
	buffer_load_dword v233, off, s[0:3], 0 offset:272
	buffer_load_dword v234, off, s[0:3], 0 offset:276
	v_fmac_f32_e32 v142, v134, v197
	v_add_f32_e32 v141, v141, v142
	s_waitcnt vmcnt(36)
	v_mul_f32_e32 v142, v135, v200
	v_fmac_f32_e32 v142, v136, v196
	v_add_f32_e32 v141, v141, v142
	s_waitcnt lgkmcnt(0)
	v_mul_f32_e32 v142, v137, v195
	v_fmac_f32_e32 v142, v138, v14
	v_add_f32_e32 v145, v141, v142
	ds_read2_b64 v[141:144], v94 offset0:65 offset1:66
	buffer_load_dword v235, off, s[0:3], 0 offset:280
	buffer_load_dword v236, off, s[0:3], 0 offset:284
	buffer_load_dword v237, off, s[0:3], 0 offset:292
	buffer_load_dword v238, off, s[0:3], 0 offset:296
	buffer_load_dword v239, off, s[0:3], 0 offset:300
	buffer_load_dword v240, off, s[0:3], 0 offset:288
	s_waitcnt vmcnt(38)
	v_mul_f32_e32 v146, v139, v202
	v_fmac_f32_e32 v146, v140, v201
	v_add_f32_e32 v149, v145, v146
	ds_read2_b64 v[145:148], v94 offset0:67 offset1:68
	buffer_load_dword v241, off, s[0:3], 0 offset:304
	buffer_load_dword v242, off, s[0:3], 0 offset:308
	;; [unrolled: 1-line block ×16, first 2 shown]
	s_waitcnt vmcnt(52) lgkmcnt(1)
	v_mul_f32_e32 v150, v141, v204
	v_fmac_f32_e32 v150, v142, v203
	v_add_f32_e32 v149, v149, v150
	s_waitcnt vmcnt(50)
	v_mul_f32_e32 v150, v143, v206
	v_fmac_f32_e32 v150, v144, v205
	v_add_f32_e32 v149, v149, v150
	s_waitcnt vmcnt(48) lgkmcnt(0)
	v_mul_f32_e32 v150, v145, v208
	v_fmac_f32_e32 v150, v146, v207
	v_add_f32_e32 v153, v149, v150
	ds_read2_b64 v[149:152], v94 offset0:69 offset1:70
	s_waitcnt vmcnt(46)
	v_mul_f32_e32 v16, v147, v210
	v_fmac_f32_e32 v16, v148, v209
	v_add_f32_e32 v16, v153, v16
	ds_read2_b64 v[153:156], v94 offset0:71 offset1:72
	s_waitcnt vmcnt(44) lgkmcnt(1)
	v_mul_f32_e32 v157, v149, v212
	v_fmac_f32_e32 v157, v150, v211
	v_add_f32_e32 v16, v16, v157
	s_waitcnt vmcnt(42)
	v_mul_f32_e32 v157, v151, v214
	v_fmac_f32_e32 v157, v152, v213
	v_add_f32_e32 v16, v16, v157
	s_waitcnt vmcnt(40) lgkmcnt(0)
	v_mul_f32_e32 v157, v153, v216
	v_fmac_f32_e32 v157, v154, v215
	v_add_f32_e32 v16, v16, v157
	ds_read2_b64 v[157:160], v94 offset0:73 offset1:74
	s_waitcnt vmcnt(38)
	v_mul_f32_e32 v161, v155, v218
	v_fmac_f32_e32 v161, v156, v217
	v_add_f32_e32 v16, v16, v161
	ds_read2_b64 v[161:164], v94 offset0:75 offset1:76
	s_waitcnt vmcnt(36) lgkmcnt(1)
	v_mul_f32_e32 v165, v157, v220
	v_fmac_f32_e32 v165, v158, v219
	v_add_f32_e32 v16, v16, v165
	s_waitcnt vmcnt(35)
	v_mul_f32_e32 v165, v159, v221
	s_waitcnt vmcnt(32)
	v_fmac_f32_e32 v165, v160, v224
	v_add_f32_e32 v16, v16, v165
	s_waitcnt lgkmcnt(0)
	v_mul_f32_e32 v165, v161, v223
	v_fmac_f32_e32 v165, v162, v222
	v_add_f32_e32 v16, v16, v165
	ds_read2_b64 v[165:168], v94 offset0:77 offset1:78
	s_waitcnt vmcnt(30)
	v_mul_f32_e32 v169, v163, v226
	v_fmac_f32_e32 v169, v164, v225
	v_add_f32_e32 v16, v16, v169
	ds_read2_b64 v[169:172], v94 offset0:79 offset1:80
	s_waitcnt vmcnt(28) lgkmcnt(1)
	v_mul_f32_e32 v173, v165, v228
	v_fmac_f32_e32 v173, v166, v227
	v_add_f32_e32 v16, v16, v173
	s_waitcnt vmcnt(27)
	v_mul_f32_e32 v173, v167, v229
	s_waitcnt vmcnt(24)
	v_fmac_f32_e32 v173, v168, v232
	v_add_f32_e32 v16, v16, v173
	s_waitcnt lgkmcnt(0)
	;; [unrolled: 19-line block ×4, first 2 shown]
	v_mul_f32_e32 v189, v185, v247
	v_fmac_f32_e32 v189, v186, v246
	v_add_f32_e32 v16, v16, v189
	ds_read2_b64 v[189:192], v94 offset0:89 offset1:90
	s_waitcnt vmcnt(6)
	v_mul_f32_e32 v193, v187, v250
	v_fmac_f32_e32 v193, v188, v249
	v_add_f32_e32 v16, v16, v193
	ds_read_b64 v[193:194], v94 offset:728
	s_waitcnt vmcnt(4) lgkmcnt(1)
	v_mul_f32_e32 v17, v189, v252
	v_fmac_f32_e32 v17, v190, v251
	v_add_f32_e32 v16, v16, v17
	s_waitcnt vmcnt(3)
	v_mul_f32_e32 v17, v191, v253
	s_waitcnt vmcnt(0)
	v_fmac_f32_e32 v17, v192, v15
	v_add_f32_e32 v16, v16, v17
	s_waitcnt lgkmcnt(0)
	v_mul_f32_e32 v17, v193, v255
	v_fmac_f32_e32 v17, v194, v254
	v_add_f32_e32 v16, v16, v17
	v_mul_f32_e32 v17, v110, v103
	v_fma_f32 v5, v109, v5, -v17
	v_mul_f32_e32 v17, v112, v102
	v_add_f32_e32 v5, 0, v5
	v_fma_f32 v4, v111, v4, -v17
	v_add_f32_e32 v4, v5, v4
	v_mul_f32_e32 v5, v114, v101
	v_fma_f32 v3, v113, v3, -v5
	v_add_f32_e32 v3, v4, v3
	v_mul_f32_e32 v4, v116, v100
	;; [unrolled: 3-line block ×41, first 2 shown]
	v_fma_f32 v4, v193, v254, -v4
	v_add_f32_e32 v3, v3, v4
	v_sub_f32_e32 v3, v95, v3
	v_sub_f32_e32 v4, v96, v16
	buffer_store_dword v3, off, s[0:3], 0 offset:16
	buffer_store_dword v4, off, s[0:3], 0 offset:20
	s_and_saveexec_b64 s[4:5], vcc
	s_cbranch_execz .LBB109_287
; %bb.286:
	buffer_load_dword v95, off, s[0:3], 0 offset:8
	buffer_load_dword v96, off, s[0:3], 0 offset:12
	s_waitcnt vmcnt(0)
	ds_write_b64 v93, v[95:96]
	buffer_store_dword v94, off, s[0:3], 0 offset:8
	buffer_store_dword v94, off, s[0:3], 0 offset:12
.LBB109_287:
	s_or_b64 exec, exec, s[4:5]
	s_waitcnt lgkmcnt(0)
	; wave barrier
	buffer_load_dword v103, off, s[0:3], 0 offset:20
	buffer_load_dword v102, off, s[0:3], 0 offset:28
	;; [unrolled: 1-line block ×32, first 2 shown]
	ds_read_b128 v[109:112], v94 offset:384
	ds_read_b128 v[113:116], v94 offset:400
	;; [unrolled: 1-line block ×4, first 2 shown]
	buffer_load_dword v199, off, s[0:3], 0 offset:136
	buffer_load_dword v200, off, s[0:3], 0 offset:140
	ds_read_b128 v[125:128], v94 offset:448
	ds_read_b128 v[129:132], v94 offset:464
	;; [unrolled: 1-line block ×3, first 2 shown]
	buffer_load_dword v201, off, s[0:3], 0 offset:144
	buffer_load_dword v202, off, s[0:3], 0 offset:148
	;; [unrolled: 1-line block ×16, first 2 shown]
	v_cmp_ne_u32_e32 vcc, 0, v0
	s_waitcnt vmcnt(49) lgkmcnt(6)
	v_mul_f32_e32 v137, v109, v103
	s_waitcnt vmcnt(48)
	v_mul_f32_e32 v138, v111, v102
	s_waitcnt vmcnt(47) lgkmcnt(5)
	v_mul_f32_e32 v139, v113, v101
	s_waitcnt vmcnt(46)
	v_mul_f32_e32 v140, v115, v100
	s_waitcnt vmcnt(45) lgkmcnt(4)
	v_mul_f32_e32 v141, v117, v99
	s_waitcnt vmcnt(44)
	v_mul_f32_e32 v142, v119, v98
	s_waitcnt vmcnt(43) lgkmcnt(3)
	v_mul_f32_e32 v143, v121, v97
	s_waitcnt vmcnt(42)
	v_mul_f32_e32 v144, v123, v104
	s_waitcnt vmcnt(41) lgkmcnt(2)
	v_mul_f32_e32 v145, v125, v105
	s_waitcnt vmcnt(40)
	v_mul_f32_e32 v146, v127, v106
	s_waitcnt vmcnt(39) lgkmcnt(1)
	v_mul_f32_e32 v147, v129, v107
	s_waitcnt vmcnt(38)
	v_mul_f32_e32 v148, v131, v108
	s_waitcnt vmcnt(37)
	v_fmac_f32_e32 v139, v114, v3
	s_waitcnt vmcnt(36)
	v_fmac_f32_e32 v138, v112, v4
	s_waitcnt vmcnt(35)
	v_fmac_f32_e32 v137, v110, v5
	v_add_f32_e32 v137, 0, v137
	v_add_f32_e32 v137, v137, v138
	;; [unrolled: 1-line block ×3, first 2 shown]
	s_waitcnt vmcnt(31)
	v_fmac_f32_e32 v140, v116, v9
	v_fmac_f32_e32 v141, v118, v8
	v_add_f32_e32 v137, v137, v140
	v_fmac_f32_e32 v142, v120, v7
	v_add_f32_e32 v137, v137, v141
	;; [unrolled: 2-line block ×3, first 2 shown]
	s_waitcnt vmcnt(27)
	v_fmac_f32_e32 v144, v124, v13
	v_add_f32_e32 v137, v137, v143
	v_fmac_f32_e32 v145, v126, v12
	v_add_f32_e32 v137, v137, v144
	;; [unrolled: 2-line block ×4, first 2 shown]
	s_waitcnt vmcnt(23)
	v_fmac_f32_e32 v148, v132, v17
	v_add_f32_e32 v137, v137, v147
	v_add_f32_e32 v141, v137, v148
	ds_read_b128 v[137:140], v94 offset:496
	buffer_load_dword v217, off, s[0:3], 0 offset:208
	buffer_load_dword v218, off, s[0:3], 0 offset:212
	;; [unrolled: 1-line block ×14, first 2 shown]
	s_waitcnt vmcnt(36) lgkmcnt(1)
	v_mul_f32_e32 v142, v133, v18
	buffer_load_dword v231, off, s[0:3], 0 offset:264
	buffer_load_dword v232, off, s[0:3], 0 offset:268
	v_fmac_f32_e32 v142, v134, v16
	v_add_f32_e32 v141, v141, v142
	s_waitcnt vmcnt(37)
	v_mul_f32_e32 v142, v135, v197
	v_fmac_f32_e32 v142, v136, v15
	v_add_f32_e32 v141, v141, v142
	s_waitcnt vmcnt(36) lgkmcnt(0)
	v_mul_f32_e32 v142, v137, v198
	v_fmac_f32_e32 v142, v138, v14
	v_add_f32_e32 v145, v141, v142
	ds_read_b128 v[141:144], v94 offset:512
	buffer_load_dword v233, off, s[0:3], 0 offset:272
	buffer_load_dword v234, off, s[0:3], 0 offset:276
	;; [unrolled: 1-line block ×6, first 2 shown]
	s_waitcnt vmcnt(38)
	v_mul_f32_e32 v146, v139, v200
	v_fmac_f32_e32 v146, v140, v199
	v_add_f32_e32 v149, v145, v146
	ds_read_b128 v[145:148], v94 offset:528
	buffer_load_dword v239, off, s[0:3], 0 offset:296
	buffer_load_dword v240, off, s[0:3], 0 offset:300
	;; [unrolled: 1-line block ×10, first 2 shown]
	s_waitcnt vmcnt(46) lgkmcnt(1)
	v_mul_f32_e32 v150, v141, v202
	v_fmac_f32_e32 v150, v142, v201
	v_add_f32_e32 v149, v149, v150
	s_waitcnt vmcnt(44)
	v_mul_f32_e32 v150, v143, v204
	v_fmac_f32_e32 v150, v144, v203
	v_add_f32_e32 v149, v149, v150
	s_waitcnt vmcnt(42) lgkmcnt(0)
	v_mul_f32_e32 v150, v145, v206
	buffer_load_dword v249, off, s[0:3], 0 offset:336
	buffer_load_dword v250, off, s[0:3], 0 offset:340
	;; [unrolled: 1-line block ×6, first 2 shown]
	v_fmac_f32_e32 v150, v146, v205
	s_waitcnt vmcnt(46)
	v_mul_f32_e32 v154, v147, v208
	v_add_f32_e32 v153, v149, v150
	v_fmac_f32_e32 v154, v148, v207
	ds_read_b128 v[149:152], v94 offset:544
	v_add_f32_e32 v157, v153, v154
	ds_read_b128 v[153:156], v94 offset:560
	buffer_load_dword v255, off, s[0:3], 0 offset:360
	buffer_load_dword v19, off, s[0:3], 0 offset:364
	s_waitcnt vmcnt(46) lgkmcnt(1)
	v_mul_f32_e32 v20, v149, v210
	v_fmac_f32_e32 v20, v150, v209
	v_add_f32_e32 v20, v157, v20
	s_waitcnt vmcnt(44)
	v_mul_f32_e32 v157, v151, v212
	v_fmac_f32_e32 v157, v152, v211
	v_add_f32_e32 v20, v20, v157
	s_waitcnt vmcnt(42) lgkmcnt(0)
	v_mul_f32_e32 v157, v153, v214
	v_fmac_f32_e32 v157, v154, v213
	v_add_f32_e32 v20, v20, v157
	ds_read_b128 v[157:160], v94 offset:576
	s_waitcnt vmcnt(40)
	v_mul_f32_e32 v161, v155, v216
	v_fmac_f32_e32 v161, v156, v215
	v_add_f32_e32 v20, v20, v161
	ds_read_b128 v[161:164], v94 offset:592
	s_waitcnt vmcnt(38) lgkmcnt(1)
	v_mul_f32_e32 v165, v157, v218
	v_fmac_f32_e32 v165, v158, v217
	v_add_f32_e32 v20, v20, v165
	s_waitcnt vmcnt(37)
	v_mul_f32_e32 v165, v159, v219
	s_waitcnt vmcnt(34)
	v_fmac_f32_e32 v165, v160, v222
	v_add_f32_e32 v20, v20, v165
	s_waitcnt lgkmcnt(0)
	v_mul_f32_e32 v165, v161, v221
	v_fmac_f32_e32 v165, v162, v220
	v_add_f32_e32 v20, v20, v165
	ds_read_b128 v[165:168], v94 offset:608
	s_waitcnt vmcnt(32)
	v_mul_f32_e32 v169, v163, v224
	v_fmac_f32_e32 v169, v164, v223
	v_add_f32_e32 v20, v20, v169
	ds_read_b128 v[169:172], v94 offset:624
	s_waitcnt vmcnt(30) lgkmcnt(1)
	v_mul_f32_e32 v173, v165, v226
	v_fmac_f32_e32 v173, v166, v225
	v_add_f32_e32 v20, v20, v173
	s_waitcnt vmcnt(29)
	v_mul_f32_e32 v173, v167, v227
	s_waitcnt vmcnt(26)
	v_fmac_f32_e32 v173, v168, v230
	v_add_f32_e32 v20, v20, v173
	s_waitcnt lgkmcnt(0)
	;; [unrolled: 19-line block ×5, first 2 shown]
	v_mul_f32_e32 v94, v193, v253
	v_fmac_f32_e32 v94, v194, v252
	v_add_f32_e32 v20, v20, v94
	s_waitcnt vmcnt(0)
	v_mul_f32_e32 v94, v195, v19
	v_fmac_f32_e32 v94, v196, v255
	v_add_f32_e32 v20, v20, v94
	v_mul_f32_e32 v94, v110, v103
	v_fma_f32 v5, v109, v5, -v94
	v_mul_f32_e32 v94, v112, v102
	v_add_f32_e32 v5, 0, v5
	v_fma_f32 v4, v111, v4, -v94
	v_add_f32_e32 v4, v5, v4
	v_mul_f32_e32 v5, v114, v101
	v_fma_f32 v3, v113, v3, -v5
	v_add_f32_e32 v3, v4, v3
	v_mul_f32_e32 v4, v116, v100
	;; [unrolled: 3-line block ×42, first 2 shown]
	v_fma_f32 v4, v195, v255, -v4
	v_add_f32_e32 v3, v3, v4
	v_sub_f32_e32 v3, v95, v3
	v_sub_f32_e32 v4, v96, v20
	buffer_store_dword v3, off, s[0:3], 0 offset:8
	buffer_store_dword v4, off, s[0:3], 0 offset:12
	s_and_saveexec_b64 s[4:5], vcc
	s_cbranch_execz .LBB109_289
; %bb.288:
	buffer_load_dword v94, off, s[0:3], 0
	buffer_load_dword v95, off, s[0:3], 0 offset:4
	v_mov_b32_e32 v0, 0
	buffer_store_dword v0, off, s[0:3], 0
	buffer_store_dword v0, off, s[0:3], 0 offset:4
	s_waitcnt vmcnt(2)
	ds_write_b64 v93, v[94:95]
.LBB109_289:
	s_or_b64 exec, exec, s[4:5]
	s_waitcnt lgkmcnt(0)
	; wave barrier
	buffer_load_dword v3, off, s[0:3], 0 offset:12
	buffer_load_dword v4, off, s[0:3], 0 offset:20
	buffer_load_dword v5, off, s[0:3], 0 offset:28
	buffer_load_dword v6, off, s[0:3], 0 offset:36
	buffer_load_dword v7, off, s[0:3], 0 offset:44
	buffer_load_dword v8, off, s[0:3], 0 offset:52
	buffer_load_dword v9, off, s[0:3], 0 offset:60
	buffer_load_dword v10, off, s[0:3], 0 offset:68
	buffer_load_dword v11, off, s[0:3], 0 offset:76
	buffer_load_dword v12, off, s[0:3], 0 offset:84
	buffer_load_dword v13, off, s[0:3], 0 offset:92
	buffer_load_dword v14, off, s[0:3], 0 offset:100
	buffer_load_dword v15, off, s[0:3], 0 offset:24
	buffer_load_dword v16, off, s[0:3], 0 offset:16
	buffer_load_dword v17, off, s[0:3], 0 offset:8
	buffer_load_dword v18, off, s[0:3], 0 offset:56
	buffer_load_dword v19, off, s[0:3], 0 offset:48
	buffer_load_dword v20, off, s[0:3], 0 offset:40
	buffer_load_dword v185, off, s[0:3], 0 offset:32
	buffer_load_dword v186, off, s[0:3], 0 offset:88
	buffer_load_dword v187, off, s[0:3], 0 offset:80
	buffer_load_dword v188, off, s[0:3], 0 offset:72
	buffer_load_dword v189, off, s[0:3], 0 offset:64
	buffer_load_dword v190, off, s[0:3], 0 offset:120
	buffer_load_dword v191, off, s[0:3], 0 offset:112
	buffer_load_dword v192, off, s[0:3], 0 offset:104
	buffer_load_dword v193, off, s[0:3], 0 offset:96
	buffer_load_dword v194, off, s[0:3], 0 offset:108
	buffer_load_dword v195, off, s[0:3], 0 offset:116
	buffer_load_dword v196, off, s[0:3], 0 offset:124
	buffer_load_dword v93, off, s[0:3], 0
	buffer_load_dword v94, off, s[0:3], 0 offset:4
	buffer_load_dword v197, off, s[0:3], 0 offset:128
	;; [unrolled: 1-line block ×17, first 2 shown]
	v_mov_b32_e32 v0, 0
	ds_read2_b64 v[95:98], v0 offset0:47 offset1:48
	ds_read2_b64 v[99:102], v0 offset0:49 offset1:50
	;; [unrolled: 1-line block ×7, first 2 shown]
	s_and_b64 vcc, exec, s[14:15]
	s_waitcnt vmcnt(47) lgkmcnt(6)
	v_mul_f32_e32 v123, v95, v3
	s_waitcnt vmcnt(46)
	v_mul_f32_e32 v124, v97, v4
	s_waitcnt vmcnt(45) lgkmcnt(5)
	v_mul_f32_e32 v125, v99, v5
	s_waitcnt vmcnt(44)
	v_mul_f32_e32 v126, v101, v6
	;; [unrolled: 4-line block ×6, first 2 shown]
	s_waitcnt vmcnt(35)
	v_fmac_f32_e32 v125, v100, v15
	s_waitcnt vmcnt(34)
	v_fmac_f32_e32 v124, v98, v16
	;; [unrolled: 2-line block ×3, first 2 shown]
	v_add_f32_e32 v123, 0, v123
	v_add_f32_e32 v123, v123, v124
	;; [unrolled: 1-line block ×3, first 2 shown]
	s_waitcnt vmcnt(29)
	v_fmac_f32_e32 v126, v102, v185
	v_fmac_f32_e32 v127, v104, v20
	v_add_f32_e32 v123, v123, v126
	v_fmac_f32_e32 v128, v106, v19
	v_add_f32_e32 v123, v123, v127
	;; [unrolled: 2-line block ×3, first 2 shown]
	s_waitcnt vmcnt(25)
	v_fmac_f32_e32 v130, v110, v189
	v_add_f32_e32 v123, v123, v129
	v_fmac_f32_e32 v131, v112, v188
	v_add_f32_e32 v123, v123, v130
	;; [unrolled: 2-line block ×4, first 2 shown]
	s_waitcnt vmcnt(21)
	v_fmac_f32_e32 v134, v118, v193
	v_add_f32_e32 v123, v123, v133
	v_add_f32_e32 v127, v123, v134
	ds_read2_b64 v[123:126], v0 offset0:61 offset1:62
	buffer_load_dword v213, off, s[0:3], 0 offset:192
	buffer_load_dword v214, off, s[0:3], 0 offset:196
	;; [unrolled: 1-line block ×10, first 2 shown]
	s_waitcnt vmcnt(30) lgkmcnt(1)
	v_mul_f32_e32 v128, v119, v194
	v_fmac_f32_e32 v128, v120, v192
	buffer_load_dword v223, off, s[0:3], 0 offset:232
	buffer_load_dword v224, off, s[0:3], 0 offset:236
	;; [unrolled: 1-line block ×6, first 2 shown]
	v_add_f32_e32 v127, v127, v128
	s_waitcnt vmcnt(35)
	v_mul_f32_e32 v128, v121, v195
	v_fmac_f32_e32 v128, v122, v191
	v_add_f32_e32 v127, v127, v128
	s_waitcnt vmcnt(34) lgkmcnt(0)
	v_mul_f32_e32 v128, v123, v196
	v_fmac_f32_e32 v128, v124, v190
	v_add_f32_e32 v131, v127, v128
	ds_read2_b64 v[127:130], v0 offset0:63 offset1:64
	buffer_load_dword v229, off, s[0:3], 0 offset:256
	buffer_load_dword v230, off, s[0:3], 0 offset:260
	s_waitcnt vmcnt(32)
	v_mul_f32_e32 v132, v125, v198
	v_fmac_f32_e32 v132, v126, v197
	v_add_f32_e32 v135, v131, v132
	ds_read2_b64 v[131:134], v0 offset0:65 offset1:66
	buffer_load_dword v231, off, s[0:3], 0 offset:264
	buffer_load_dword v232, off, s[0:3], 0 offset:268
	;; [unrolled: 1-line block ×14, first 2 shown]
	s_waitcnt vmcnt(44) lgkmcnt(1)
	v_mul_f32_e32 v136, v127, v200
	v_fmac_f32_e32 v136, v128, v199
	buffer_load_dword v245, off, s[0:3], 0 offset:320
	buffer_load_dword v246, off, s[0:3], 0 offset:324
	v_add_f32_e32 v135, v135, v136
	s_waitcnt vmcnt(44)
	v_mul_f32_e32 v136, v129, v202
	v_fmac_f32_e32 v136, v130, v201
	v_add_f32_e32 v135, v135, v136
	s_waitcnt vmcnt(42) lgkmcnt(0)
	v_mul_f32_e32 v136, v131, v204
	v_fmac_f32_e32 v136, v132, v203
	v_mul_f32_e32 v3, v96, v3
	v_add_f32_e32 v139, v135, v136
	ds_read2_b64 v[135:138], v0 offset0:67 offset1:68
	buffer_load_dword v247, off, s[0:3], 0 offset:328
	buffer_load_dword v248, off, s[0:3], 0 offset:332
	;; [unrolled: 1-line block ×6, first 2 shown]
	v_fma_f32 v3, v95, v17, -v3
	v_mul_f32_e32 v4, v98, v4
	v_add_f32_e32 v3, 0, v3
	v_fma_f32 v4, v97, v16, -v4
	v_add_f32_e32 v3, v3, v4
	v_mul_f32_e32 v4, v100, v5
	s_waitcnt vmcnt(46)
	v_mul_f32_e32 v140, v133, v206
	v_fma_f32 v4, v99, v15, -v4
	v_fmac_f32_e32 v140, v134, v205
	v_add_f32_e32 v3, v3, v4
	v_mul_f32_e32 v4, v102, v6
	v_add_f32_e32 v143, v139, v140
	ds_read2_b64 v[139:142], v0 offset0:69 offset1:70
	buffer_load_dword v253, off, s[0:3], 0 offset:356
	buffer_load_dword v254, off, s[0:3], 0 offset:360
	;; [unrolled: 1-line block ×4, first 2 shown]
	v_fma_f32 v4, v101, v185, -v4
	v_add_f32_e32 v3, v3, v4
	v_mul_f32_e32 v4, v104, v7
	v_fma_f32 v4, v103, v20, -v4
	v_add_f32_e32 v3, v3, v4
	v_mul_f32_e32 v4, v106, v8
	;; [unrolled: 3-line block ×8, first 2 shown]
	v_fma_f32 v4, v117, v193, -v4
	s_waitcnt vmcnt(48) lgkmcnt(1)
	v_mul_f32_e32 v144, v135, v208
	v_add_f32_e32 v3, v3, v4
	v_mul_f32_e32 v4, v120, v194
	v_fmac_f32_e32 v144, v136, v207
	v_fma_f32 v4, v119, v192, -v4
	v_add_f32_e32 v22, v143, v144
	s_waitcnt vmcnt(46)
	v_mul_f32_e32 v143, v137, v210
	v_add_f32_e32 v3, v3, v4
	v_mul_f32_e32 v4, v122, v195
	v_fmac_f32_e32 v143, v138, v209
	v_fma_f32 v4, v121, v191, -v4
	v_add_f32_e32 v22, v22, v143
	s_waitcnt vmcnt(44) lgkmcnt(0)
	v_mul_f32_e32 v143, v139, v212
	v_add_f32_e32 v3, v3, v4
	v_mul_f32_e32 v4, v124, v196
	v_fmac_f32_e32 v143, v140, v211
	v_fma_f32 v4, v123, v190, -v4
	v_add_f32_e32 v22, v22, v143
	ds_read2_b64 v[143:146], v0 offset0:71 offset1:72
	v_add_f32_e32 v3, v3, v4
	v_mul_f32_e32 v4, v126, v198
	v_fma_f32 v4, v125, v197, -v4
	s_waitcnt vmcnt(42)
	v_mul_f32_e32 v147, v141, v214
	v_add_f32_e32 v3, v3, v4
	v_mul_f32_e32 v4, v128, v200
	v_fmac_f32_e32 v147, v142, v213
	v_fma_f32 v4, v127, v199, -v4
	v_add_f32_e32 v22, v22, v147
	ds_read2_b64 v[147:150], v0 offset0:73 offset1:74
	v_add_f32_e32 v3, v3, v4
	v_mul_f32_e32 v4, v130, v202
	s_waitcnt vmcnt(40) lgkmcnt(1)
	v_mul_f32_e32 v151, v143, v216
	v_fma_f32 v4, v129, v201, -v4
	v_fmac_f32_e32 v151, v144, v215
	v_add_f32_e32 v3, v3, v4
	v_mul_f32_e32 v4, v132, v204
	v_add_f32_e32 v22, v22, v151
	s_waitcnt vmcnt(39)
	v_mul_f32_e32 v151, v145, v217
	v_fma_f32 v4, v131, v203, -v4
	s_waitcnt vmcnt(36)
	v_fmac_f32_e32 v151, v146, v220
	v_add_f32_e32 v3, v3, v4
	v_mul_f32_e32 v4, v134, v206
	v_add_f32_e32 v22, v22, v151
	s_waitcnt lgkmcnt(0)
	v_mul_f32_e32 v151, v147, v219
	v_fma_f32 v4, v133, v205, -v4
	v_fmac_f32_e32 v151, v148, v218
	v_add_f32_e32 v3, v3, v4
	v_mul_f32_e32 v4, v136, v208
	v_add_f32_e32 v22, v22, v151
	ds_read2_b64 v[151:154], v0 offset0:75 offset1:76
	v_fma_f32 v4, v135, v207, -v4
	v_add_f32_e32 v3, v3, v4
	v_mul_f32_e32 v4, v138, v210
	s_waitcnt vmcnt(34)
	v_mul_f32_e32 v155, v149, v222
	v_fma_f32 v4, v137, v209, -v4
	v_fmac_f32_e32 v155, v150, v221
	v_add_f32_e32 v3, v3, v4
	v_mul_f32_e32 v4, v140, v212
	v_add_f32_e32 v22, v22, v155
	ds_read2_b64 v[155:158], v0 offset0:77 offset1:78
	v_fma_f32 v4, v139, v211, -v4
	s_waitcnt vmcnt(32) lgkmcnt(1)
	v_mul_f32_e32 v159, v151, v224
	v_add_f32_e32 v3, v3, v4
	v_mul_f32_e32 v4, v142, v214
	v_fmac_f32_e32 v159, v152, v223
	v_fma_f32 v4, v141, v213, -v4
	v_add_f32_e32 v22, v22, v159
	s_waitcnt vmcnt(31)
	v_mul_f32_e32 v159, v153, v225
	v_add_f32_e32 v3, v3, v4
	v_mul_f32_e32 v4, v144, v216
	s_waitcnt vmcnt(28)
	v_fmac_f32_e32 v159, v154, v228
	v_fma_f32 v4, v143, v215, -v4
	v_add_f32_e32 v22, v22, v159
	s_waitcnt lgkmcnt(0)
	v_mul_f32_e32 v159, v155, v227
	v_add_f32_e32 v3, v3, v4
	v_mul_f32_e32 v4, v146, v217
	v_fmac_f32_e32 v159, v156, v226
	v_fma_f32 v4, v145, v220, -v4
	v_add_f32_e32 v22, v22, v159
	ds_read2_b64 v[159:162], v0 offset0:79 offset1:80
	v_add_f32_e32 v3, v3, v4
	v_mul_f32_e32 v4, v148, v219
	v_fma_f32 v4, v147, v218, -v4
	s_waitcnt vmcnt(26)
	v_mul_f32_e32 v163, v157, v230
	v_add_f32_e32 v3, v3, v4
	v_mul_f32_e32 v4, v150, v222
	v_fmac_f32_e32 v163, v158, v229
	v_fma_f32 v4, v149, v221, -v4
	v_add_f32_e32 v22, v22, v163
	ds_read2_b64 v[163:166], v0 offset0:81 offset1:82
	v_add_f32_e32 v3, v3, v4
	v_mul_f32_e32 v4, v152, v224
	s_waitcnt vmcnt(24) lgkmcnt(1)
	v_mul_f32_e32 v167, v159, v232
	v_fma_f32 v4, v151, v223, -v4
	v_fmac_f32_e32 v167, v160, v231
	v_add_f32_e32 v3, v3, v4
	v_mul_f32_e32 v4, v154, v225
	v_add_f32_e32 v22, v22, v167
	s_waitcnt vmcnt(23)
	v_mul_f32_e32 v167, v161, v233
	v_fma_f32 v4, v153, v228, -v4
	s_waitcnt vmcnt(20)
	v_fmac_f32_e32 v167, v162, v236
	v_add_f32_e32 v3, v3, v4
	v_mul_f32_e32 v4, v156, v227
	v_add_f32_e32 v22, v22, v167
	s_waitcnt lgkmcnt(0)
	v_mul_f32_e32 v167, v163, v235
	v_fma_f32 v4, v155, v226, -v4
	v_fmac_f32_e32 v167, v164, v234
	v_add_f32_e32 v3, v3, v4
	v_mul_f32_e32 v4, v158, v230
	v_add_f32_e32 v22, v22, v167
	ds_read2_b64 v[167:170], v0 offset0:83 offset1:84
	v_fma_f32 v4, v157, v229, -v4
	v_add_f32_e32 v3, v3, v4
	v_mul_f32_e32 v4, v160, v232
	s_waitcnt vmcnt(18)
	v_mul_f32_e32 v171, v165, v238
	v_fma_f32 v4, v159, v231, -v4
	v_fmac_f32_e32 v171, v166, v237
	v_add_f32_e32 v3, v3, v4
	v_mul_f32_e32 v4, v162, v233
	v_add_f32_e32 v22, v22, v171
	ds_read2_b64 v[171:174], v0 offset0:85 offset1:86
	v_fma_f32 v4, v161, v236, -v4
	s_waitcnt vmcnt(16) lgkmcnt(1)
	v_mul_f32_e32 v175, v167, v240
	v_add_f32_e32 v3, v3, v4
	v_mul_f32_e32 v4, v164, v235
	v_fmac_f32_e32 v175, v168, v239
	v_fma_f32 v4, v163, v234, -v4
	v_add_f32_e32 v22, v22, v175
	s_waitcnt vmcnt(15)
	v_mul_f32_e32 v175, v169, v241
	v_add_f32_e32 v3, v3, v4
	v_mul_f32_e32 v4, v166, v238
	s_waitcnt vmcnt(12)
	v_fmac_f32_e32 v175, v170, v244
	v_fma_f32 v4, v165, v237, -v4
	v_add_f32_e32 v22, v22, v175
	s_waitcnt lgkmcnt(0)
	v_mul_f32_e32 v175, v171, v243
	v_add_f32_e32 v3, v3, v4
	v_mul_f32_e32 v4, v168, v240
	v_fmac_f32_e32 v175, v172, v242
	v_fma_f32 v4, v167, v239, -v4
	v_add_f32_e32 v22, v22, v175
	ds_read2_b64 v[175:178], v0 offset0:87 offset1:88
	v_add_f32_e32 v3, v3, v4
	v_mul_f32_e32 v4, v170, v241
	v_fma_f32 v4, v169, v244, -v4
	v_add_f32_e32 v3, v3, v4
	v_mul_f32_e32 v4, v172, v243
	s_waitcnt vmcnt(10)
	v_mul_f32_e32 v179, v173, v246
	v_fma_f32 v4, v171, v242, -v4
	v_fmac_f32_e32 v179, v174, v245
	v_add_f32_e32 v3, v3, v4
	v_mul_f32_e32 v4, v174, v246
	v_add_f32_e32 v22, v22, v179
	ds_read2_b64 v[179:182], v0 offset0:89 offset1:90
	s_waitcnt vmcnt(8) lgkmcnt(1)
	v_mul_f32_e32 v183, v175, v248
	v_fma_f32 v4, v173, v245, -v4
	v_fmac_f32_e32 v183, v176, v247
	v_add_f32_e32 v3, v3, v4
	v_mul_f32_e32 v4, v176, v248
	v_add_f32_e32 v22, v22, v183
	s_waitcnt vmcnt(7)
	v_mul_f32_e32 v183, v177, v249
	v_fma_f32 v4, v175, v247, -v4
	s_waitcnt vmcnt(4)
	v_fmac_f32_e32 v183, v178, v252
	v_add_f32_e32 v3, v3, v4
	v_mul_f32_e32 v4, v178, v249
	v_add_f32_e32 v22, v22, v183
	ds_read_b64 v[183:184], v0 offset:728
	v_fma_f32 v4, v177, v252, -v4
	v_add_f32_e32 v3, v3, v4
	s_waitcnt lgkmcnt(1)
	v_mul_f32_e32 v4, v180, v251
	v_mul_f32_e32 v23, v179, v251
	v_fma_f32 v4, v179, v250, -v4
	v_fmac_f32_e32 v23, v180, v250
	v_add_f32_e32 v3, v3, v4
	s_waitcnt vmcnt(3)
	v_mul_f32_e32 v4, v182, v253
	v_add_f32_e32 v22, v22, v23
	v_mul_f32_e32 v23, v181, v253
	s_waitcnt vmcnt(0)
	v_fma_f32 v4, v181, v21, -v4
	v_fmac_f32_e32 v23, v182, v21
	v_add_f32_e32 v3, v3, v4
	s_waitcnt lgkmcnt(0)
	v_mul_f32_e32 v4, v184, v255
	v_add_f32_e32 v22, v22, v23
	v_mul_f32_e32 v23, v183, v255
	v_fma_f32 v4, v183, v254, -v4
	v_fmac_f32_e32 v23, v184, v254
	v_add_f32_e32 v3, v3, v4
	v_add_f32_e32 v22, v22, v23
	v_sub_f32_e32 v3, v93, v3
	v_sub_f32_e32 v4, v94, v22
	buffer_store_dword v3, off, s[0:3], 0
	buffer_store_dword v4, off, s[0:3], 0 offset:4
	s_cbranch_vccz .LBB109_380
; %bb.290:
	global_load_dword v0, v0, s[12:13] offset:176
	s_waitcnt vmcnt(0)
	v_add_u32_e32 v0, -1, v0
	v_cmp_ne_u32_e32 vcc, 44, v0
	s_cbranch_vccz .LBB109_292
; %bb.291:
	v_lshlrev_b32_e32 v0, 3, v0
	buffer_load_dword v3, v0, s[0:3], 0 offen
	buffer_load_dword v4, v0, s[0:3], 0 offen offset:4
	buffer_load_dword v5, off, s[0:3], 0 offset:356
	buffer_load_dword v6, off, s[0:3], 0 offset:352
	s_waitcnt vmcnt(3)
	buffer_store_dword v3, off, s[0:3], 0 offset:352
	s_waitcnt vmcnt(3)
	buffer_store_dword v4, off, s[0:3], 0 offset:356
	s_waitcnt vmcnt(3)
	buffer_store_dword v5, v0, s[0:3], 0 offen offset:4
	s_waitcnt vmcnt(3)
	buffer_store_dword v6, v0, s[0:3], 0 offen
.LBB109_292:
	v_mov_b32_e32 v0, 0
	global_load_dword v3, v0, s[12:13] offset:172
	s_waitcnt vmcnt(0)
	v_add_u32_e32 v93, -1, v3
	v_cmp_eq_u32_e32 vcc, 43, v93
	s_cbranch_vccnz .LBB109_294
; %bb.293:
	v_lshlrev_b32_e32 v3, 3, v93
	buffer_load_dword v4, v3, s[0:3], 0 offen
	buffer_load_dword v5, v3, s[0:3], 0 offen offset:4
	buffer_load_dword v6, off, s[0:3], 0 offset:344
	buffer_load_dword v7, off, s[0:3], 0 offset:348
	s_waitcnt vmcnt(3)
	buffer_store_dword v4, off, s[0:3], 0 offset:344
	s_waitcnt vmcnt(3)
	buffer_store_dword v5, off, s[0:3], 0 offset:348
	s_waitcnt vmcnt(3)
	buffer_store_dword v6, v3, s[0:3], 0 offen
	s_waitcnt vmcnt(3)
	buffer_store_dword v7, v3, s[0:3], 0 offen offset:4
.LBB109_294:
	global_load_dword v0, v0, s[12:13] offset:168
	s_waitcnt vmcnt(0)
	v_add_u32_e32 v0, -1, v0
	v_cmp_eq_u32_e32 vcc, 42, v0
	s_cbranch_vccnz .LBB109_296
; %bb.295:
	v_lshlrev_b32_e32 v0, 3, v0
	buffer_load_dword v3, v0, s[0:3], 0 offen
	buffer_load_dword v4, v0, s[0:3], 0 offen offset:4
	buffer_load_dword v5, off, s[0:3], 0 offset:340
	buffer_load_dword v6, off, s[0:3], 0 offset:336
	s_waitcnt vmcnt(3)
	buffer_store_dword v3, off, s[0:3], 0 offset:336
	s_waitcnt vmcnt(3)
	buffer_store_dword v4, off, s[0:3], 0 offset:340
	s_waitcnt vmcnt(3)
	buffer_store_dword v5, v0, s[0:3], 0 offen offset:4
	s_waitcnt vmcnt(3)
	buffer_store_dword v6, v0, s[0:3], 0 offen
.LBB109_296:
	v_mov_b32_e32 v0, 0
	global_load_dword v3, v0, s[12:13] offset:164
	s_waitcnt vmcnt(0)
	v_add_u32_e32 v93, -1, v3
	v_cmp_eq_u32_e32 vcc, 41, v93
	s_cbranch_vccnz .LBB109_298
; %bb.297:
	v_lshlrev_b32_e32 v3, 3, v93
	buffer_load_dword v4, v3, s[0:3], 0 offen
	buffer_load_dword v5, v3, s[0:3], 0 offen offset:4
	buffer_load_dword v6, off, s[0:3], 0 offset:328
	buffer_load_dword v7, off, s[0:3], 0 offset:332
	s_waitcnt vmcnt(3)
	buffer_store_dword v4, off, s[0:3], 0 offset:328
	s_waitcnt vmcnt(3)
	buffer_store_dword v5, off, s[0:3], 0 offset:332
	s_waitcnt vmcnt(3)
	buffer_store_dword v6, v3, s[0:3], 0 offen
	s_waitcnt vmcnt(3)
	buffer_store_dword v7, v3, s[0:3], 0 offen offset:4
.LBB109_298:
	global_load_dword v0, v0, s[12:13] offset:160
	s_waitcnt vmcnt(0)
	v_add_u32_e32 v0, -1, v0
	v_cmp_eq_u32_e32 vcc, 40, v0
	s_cbranch_vccnz .LBB109_300
; %bb.299:
	v_lshlrev_b32_e32 v0, 3, v0
	buffer_load_dword v3, v0, s[0:3], 0 offen
	buffer_load_dword v4, v0, s[0:3], 0 offen offset:4
	buffer_load_dword v5, off, s[0:3], 0 offset:324
	buffer_load_dword v6, off, s[0:3], 0 offset:320
	s_waitcnt vmcnt(3)
	buffer_store_dword v3, off, s[0:3], 0 offset:320
	s_waitcnt vmcnt(3)
	buffer_store_dword v4, off, s[0:3], 0 offset:324
	s_waitcnt vmcnt(3)
	buffer_store_dword v5, v0, s[0:3], 0 offen offset:4
	s_waitcnt vmcnt(3)
	buffer_store_dword v6, v0, s[0:3], 0 offen
.LBB109_300:
	v_mov_b32_e32 v0, 0
	global_load_dword v3, v0, s[12:13] offset:156
	s_waitcnt vmcnt(0)
	v_add_u32_e32 v93, -1, v3
	v_cmp_eq_u32_e32 vcc, 39, v93
	s_cbranch_vccnz .LBB109_302
; %bb.301:
	v_lshlrev_b32_e32 v3, 3, v93
	buffer_load_dword v4, v3, s[0:3], 0 offen
	buffer_load_dword v5, v3, s[0:3], 0 offen offset:4
	buffer_load_dword v6, off, s[0:3], 0 offset:312
	buffer_load_dword v7, off, s[0:3], 0 offset:316
	s_waitcnt vmcnt(3)
	buffer_store_dword v4, off, s[0:3], 0 offset:312
	s_waitcnt vmcnt(3)
	buffer_store_dword v5, off, s[0:3], 0 offset:316
	s_waitcnt vmcnt(3)
	buffer_store_dword v6, v3, s[0:3], 0 offen
	s_waitcnt vmcnt(3)
	buffer_store_dword v7, v3, s[0:3], 0 offen offset:4
.LBB109_302:
	global_load_dword v0, v0, s[12:13] offset:152
	s_waitcnt vmcnt(0)
	v_add_u32_e32 v0, -1, v0
	v_cmp_eq_u32_e32 vcc, 38, v0
	s_cbranch_vccnz .LBB109_304
; %bb.303:
	v_lshlrev_b32_e32 v0, 3, v0
	buffer_load_dword v3, v0, s[0:3], 0 offen
	buffer_load_dword v4, v0, s[0:3], 0 offen offset:4
	buffer_load_dword v5, off, s[0:3], 0 offset:308
	buffer_load_dword v6, off, s[0:3], 0 offset:304
	s_waitcnt vmcnt(3)
	buffer_store_dword v3, off, s[0:3], 0 offset:304
	s_waitcnt vmcnt(3)
	buffer_store_dword v4, off, s[0:3], 0 offset:308
	s_waitcnt vmcnt(3)
	buffer_store_dword v5, v0, s[0:3], 0 offen offset:4
	s_waitcnt vmcnt(3)
	buffer_store_dword v6, v0, s[0:3], 0 offen
.LBB109_304:
	v_mov_b32_e32 v0, 0
	global_load_dword v3, v0, s[12:13] offset:148
	s_waitcnt vmcnt(0)
	v_add_u32_e32 v93, -1, v3
	v_cmp_eq_u32_e32 vcc, 37, v93
	s_cbranch_vccnz .LBB109_306
; %bb.305:
	v_lshlrev_b32_e32 v3, 3, v93
	buffer_load_dword v4, v3, s[0:3], 0 offen
	buffer_load_dword v5, v3, s[0:3], 0 offen offset:4
	buffer_load_dword v6, off, s[0:3], 0 offset:296
	buffer_load_dword v7, off, s[0:3], 0 offset:300
	s_waitcnt vmcnt(3)
	buffer_store_dword v4, off, s[0:3], 0 offset:296
	s_waitcnt vmcnt(3)
	buffer_store_dword v5, off, s[0:3], 0 offset:300
	s_waitcnt vmcnt(3)
	buffer_store_dword v6, v3, s[0:3], 0 offen
	s_waitcnt vmcnt(3)
	buffer_store_dword v7, v3, s[0:3], 0 offen offset:4
.LBB109_306:
	global_load_dword v0, v0, s[12:13] offset:144
	s_waitcnt vmcnt(0)
	v_add_u32_e32 v0, -1, v0
	v_cmp_eq_u32_e32 vcc, 36, v0
	s_cbranch_vccnz .LBB109_308
; %bb.307:
	v_lshlrev_b32_e32 v0, 3, v0
	buffer_load_dword v3, v0, s[0:3], 0 offen
	buffer_load_dword v4, v0, s[0:3], 0 offen offset:4
	buffer_load_dword v5, off, s[0:3], 0 offset:292
	buffer_load_dword v6, off, s[0:3], 0 offset:288
	s_waitcnt vmcnt(3)
	buffer_store_dword v3, off, s[0:3], 0 offset:288
	s_waitcnt vmcnt(3)
	buffer_store_dword v4, off, s[0:3], 0 offset:292
	s_waitcnt vmcnt(3)
	buffer_store_dword v5, v0, s[0:3], 0 offen offset:4
	s_waitcnt vmcnt(3)
	buffer_store_dword v6, v0, s[0:3], 0 offen
.LBB109_308:
	v_mov_b32_e32 v0, 0
	global_load_dword v3, v0, s[12:13] offset:140
	s_waitcnt vmcnt(0)
	v_add_u32_e32 v93, -1, v3
	v_cmp_eq_u32_e32 vcc, 35, v93
	s_cbranch_vccnz .LBB109_310
; %bb.309:
	v_lshlrev_b32_e32 v3, 3, v93
	buffer_load_dword v4, v3, s[0:3], 0 offen
	buffer_load_dword v5, v3, s[0:3], 0 offen offset:4
	buffer_load_dword v6, off, s[0:3], 0 offset:280
	buffer_load_dword v7, off, s[0:3], 0 offset:284
	s_waitcnt vmcnt(3)
	buffer_store_dword v4, off, s[0:3], 0 offset:280
	s_waitcnt vmcnt(3)
	buffer_store_dword v5, off, s[0:3], 0 offset:284
	s_waitcnt vmcnt(3)
	buffer_store_dword v6, v3, s[0:3], 0 offen
	s_waitcnt vmcnt(3)
	buffer_store_dword v7, v3, s[0:3], 0 offen offset:4
.LBB109_310:
	global_load_dword v0, v0, s[12:13] offset:136
	s_waitcnt vmcnt(0)
	v_add_u32_e32 v0, -1, v0
	v_cmp_eq_u32_e32 vcc, 34, v0
	s_cbranch_vccnz .LBB109_312
; %bb.311:
	v_lshlrev_b32_e32 v0, 3, v0
	buffer_load_dword v3, v0, s[0:3], 0 offen
	buffer_load_dword v4, v0, s[0:3], 0 offen offset:4
	buffer_load_dword v5, off, s[0:3], 0 offset:276
	buffer_load_dword v6, off, s[0:3], 0 offset:272
	s_waitcnt vmcnt(3)
	buffer_store_dword v3, off, s[0:3], 0 offset:272
	s_waitcnt vmcnt(3)
	buffer_store_dword v4, off, s[0:3], 0 offset:276
	s_waitcnt vmcnt(3)
	buffer_store_dword v5, v0, s[0:3], 0 offen offset:4
	s_waitcnt vmcnt(3)
	buffer_store_dword v6, v0, s[0:3], 0 offen
.LBB109_312:
	v_mov_b32_e32 v0, 0
	global_load_dword v3, v0, s[12:13] offset:132
	s_waitcnt vmcnt(0)
	v_add_u32_e32 v93, -1, v3
	v_cmp_eq_u32_e32 vcc, 33, v93
	s_cbranch_vccnz .LBB109_314
; %bb.313:
	v_lshlrev_b32_e32 v3, 3, v93
	buffer_load_dword v4, v3, s[0:3], 0 offen
	buffer_load_dword v5, v3, s[0:3], 0 offen offset:4
	buffer_load_dword v6, off, s[0:3], 0 offset:264
	buffer_load_dword v7, off, s[0:3], 0 offset:268
	s_waitcnt vmcnt(3)
	buffer_store_dword v4, off, s[0:3], 0 offset:264
	s_waitcnt vmcnt(3)
	buffer_store_dword v5, off, s[0:3], 0 offset:268
	s_waitcnt vmcnt(3)
	buffer_store_dword v6, v3, s[0:3], 0 offen
	s_waitcnt vmcnt(3)
	buffer_store_dword v7, v3, s[0:3], 0 offen offset:4
.LBB109_314:
	global_load_dword v0, v0, s[12:13] offset:128
	s_waitcnt vmcnt(0)
	v_add_u32_e32 v0, -1, v0
	v_cmp_eq_u32_e32 vcc, 32, v0
	s_cbranch_vccnz .LBB109_316
; %bb.315:
	v_lshlrev_b32_e32 v0, 3, v0
	buffer_load_dword v3, v0, s[0:3], 0 offen
	buffer_load_dword v4, v0, s[0:3], 0 offen offset:4
	buffer_load_dword v5, off, s[0:3], 0 offset:260
	buffer_load_dword v6, off, s[0:3], 0 offset:256
	s_waitcnt vmcnt(3)
	buffer_store_dword v3, off, s[0:3], 0 offset:256
	s_waitcnt vmcnt(3)
	buffer_store_dword v4, off, s[0:3], 0 offset:260
	s_waitcnt vmcnt(3)
	buffer_store_dword v5, v0, s[0:3], 0 offen offset:4
	s_waitcnt vmcnt(3)
	buffer_store_dword v6, v0, s[0:3], 0 offen
.LBB109_316:
	v_mov_b32_e32 v0, 0
	global_load_dword v3, v0, s[12:13] offset:124
	s_waitcnt vmcnt(0)
	v_add_u32_e32 v93, -1, v3
	v_cmp_eq_u32_e32 vcc, 31, v93
	s_cbranch_vccnz .LBB109_318
; %bb.317:
	v_lshlrev_b32_e32 v3, 3, v93
	buffer_load_dword v4, v3, s[0:3], 0 offen
	buffer_load_dword v5, v3, s[0:3], 0 offen offset:4
	buffer_load_dword v6, off, s[0:3], 0 offset:248
	buffer_load_dword v7, off, s[0:3], 0 offset:252
	s_waitcnt vmcnt(3)
	buffer_store_dword v4, off, s[0:3], 0 offset:248
	s_waitcnt vmcnt(3)
	buffer_store_dword v5, off, s[0:3], 0 offset:252
	s_waitcnt vmcnt(3)
	buffer_store_dword v6, v3, s[0:3], 0 offen
	s_waitcnt vmcnt(3)
	buffer_store_dword v7, v3, s[0:3], 0 offen offset:4
.LBB109_318:
	global_load_dword v0, v0, s[12:13] offset:120
	s_waitcnt vmcnt(0)
	v_add_u32_e32 v0, -1, v0
	v_cmp_eq_u32_e32 vcc, 30, v0
	s_cbranch_vccnz .LBB109_320
; %bb.319:
	v_lshlrev_b32_e32 v0, 3, v0
	buffer_load_dword v3, v0, s[0:3], 0 offen
	buffer_load_dword v4, v0, s[0:3], 0 offen offset:4
	buffer_load_dword v5, off, s[0:3], 0 offset:244
	buffer_load_dword v6, off, s[0:3], 0 offset:240
	s_waitcnt vmcnt(3)
	buffer_store_dword v3, off, s[0:3], 0 offset:240
	s_waitcnt vmcnt(3)
	buffer_store_dword v4, off, s[0:3], 0 offset:244
	s_waitcnt vmcnt(3)
	buffer_store_dword v5, v0, s[0:3], 0 offen offset:4
	s_waitcnt vmcnt(3)
	buffer_store_dword v6, v0, s[0:3], 0 offen
.LBB109_320:
	v_mov_b32_e32 v0, 0
	global_load_dword v3, v0, s[12:13] offset:116
	s_waitcnt vmcnt(0)
	v_add_u32_e32 v93, -1, v3
	v_cmp_eq_u32_e32 vcc, 29, v93
	s_cbranch_vccnz .LBB109_322
; %bb.321:
	v_lshlrev_b32_e32 v3, 3, v93
	buffer_load_dword v4, v3, s[0:3], 0 offen
	buffer_load_dword v5, v3, s[0:3], 0 offen offset:4
	buffer_load_dword v6, off, s[0:3], 0 offset:232
	buffer_load_dword v7, off, s[0:3], 0 offset:236
	s_waitcnt vmcnt(3)
	buffer_store_dword v4, off, s[0:3], 0 offset:232
	s_waitcnt vmcnt(3)
	buffer_store_dword v5, off, s[0:3], 0 offset:236
	s_waitcnt vmcnt(3)
	buffer_store_dword v6, v3, s[0:3], 0 offen
	s_waitcnt vmcnt(3)
	buffer_store_dword v7, v3, s[0:3], 0 offen offset:4
.LBB109_322:
	global_load_dword v0, v0, s[12:13] offset:112
	s_waitcnt vmcnt(0)
	v_add_u32_e32 v0, -1, v0
	v_cmp_eq_u32_e32 vcc, 28, v0
	s_cbranch_vccnz .LBB109_324
; %bb.323:
	v_lshlrev_b32_e32 v0, 3, v0
	buffer_load_dword v3, v0, s[0:3], 0 offen
	buffer_load_dword v4, v0, s[0:3], 0 offen offset:4
	buffer_load_dword v5, off, s[0:3], 0 offset:228
	buffer_load_dword v6, off, s[0:3], 0 offset:224
	s_waitcnt vmcnt(3)
	buffer_store_dword v3, off, s[0:3], 0 offset:224
	s_waitcnt vmcnt(3)
	buffer_store_dword v4, off, s[0:3], 0 offset:228
	s_waitcnt vmcnt(3)
	buffer_store_dword v5, v0, s[0:3], 0 offen offset:4
	s_waitcnt vmcnt(3)
	buffer_store_dword v6, v0, s[0:3], 0 offen
.LBB109_324:
	v_mov_b32_e32 v0, 0
	global_load_dword v3, v0, s[12:13] offset:108
	s_waitcnt vmcnt(0)
	v_add_u32_e32 v93, -1, v3
	v_cmp_eq_u32_e32 vcc, 27, v93
	s_cbranch_vccnz .LBB109_326
; %bb.325:
	v_lshlrev_b32_e32 v3, 3, v93
	buffer_load_dword v4, v3, s[0:3], 0 offen
	buffer_load_dword v5, v3, s[0:3], 0 offen offset:4
	buffer_load_dword v6, off, s[0:3], 0 offset:216
	buffer_load_dword v7, off, s[0:3], 0 offset:220
	s_waitcnt vmcnt(3)
	buffer_store_dword v4, off, s[0:3], 0 offset:216
	s_waitcnt vmcnt(3)
	buffer_store_dword v5, off, s[0:3], 0 offset:220
	s_waitcnt vmcnt(3)
	buffer_store_dword v6, v3, s[0:3], 0 offen
	s_waitcnt vmcnt(3)
	buffer_store_dword v7, v3, s[0:3], 0 offen offset:4
.LBB109_326:
	global_load_dword v0, v0, s[12:13] offset:104
	s_waitcnt vmcnt(0)
	v_add_u32_e32 v0, -1, v0
	v_cmp_eq_u32_e32 vcc, 26, v0
	s_cbranch_vccnz .LBB109_328
; %bb.327:
	v_lshlrev_b32_e32 v0, 3, v0
	buffer_load_dword v3, v0, s[0:3], 0 offen
	buffer_load_dword v4, v0, s[0:3], 0 offen offset:4
	buffer_load_dword v5, off, s[0:3], 0 offset:212
	buffer_load_dword v6, off, s[0:3], 0 offset:208
	s_waitcnt vmcnt(3)
	buffer_store_dword v3, off, s[0:3], 0 offset:208
	s_waitcnt vmcnt(3)
	buffer_store_dword v4, off, s[0:3], 0 offset:212
	s_waitcnt vmcnt(3)
	buffer_store_dword v5, v0, s[0:3], 0 offen offset:4
	s_waitcnt vmcnt(3)
	buffer_store_dword v6, v0, s[0:3], 0 offen
.LBB109_328:
	v_mov_b32_e32 v0, 0
	global_load_dword v3, v0, s[12:13] offset:100
	s_waitcnt vmcnt(0)
	v_add_u32_e32 v93, -1, v3
	v_cmp_eq_u32_e32 vcc, 25, v93
	s_cbranch_vccnz .LBB109_330
; %bb.329:
	v_lshlrev_b32_e32 v3, 3, v93
	buffer_load_dword v4, v3, s[0:3], 0 offen
	buffer_load_dword v5, v3, s[0:3], 0 offen offset:4
	buffer_load_dword v6, off, s[0:3], 0 offset:200
	buffer_load_dword v7, off, s[0:3], 0 offset:204
	s_waitcnt vmcnt(3)
	buffer_store_dword v4, off, s[0:3], 0 offset:200
	s_waitcnt vmcnt(3)
	buffer_store_dword v5, off, s[0:3], 0 offset:204
	s_waitcnt vmcnt(3)
	buffer_store_dword v6, v3, s[0:3], 0 offen
	s_waitcnt vmcnt(3)
	buffer_store_dword v7, v3, s[0:3], 0 offen offset:4
.LBB109_330:
	global_load_dword v0, v0, s[12:13] offset:96
	s_waitcnt vmcnt(0)
	v_add_u32_e32 v0, -1, v0
	v_cmp_eq_u32_e32 vcc, 24, v0
	s_cbranch_vccnz .LBB109_332
; %bb.331:
	v_lshlrev_b32_e32 v0, 3, v0
	buffer_load_dword v3, v0, s[0:3], 0 offen
	buffer_load_dword v4, v0, s[0:3], 0 offen offset:4
	buffer_load_dword v5, off, s[0:3], 0 offset:196
	buffer_load_dword v6, off, s[0:3], 0 offset:192
	s_waitcnt vmcnt(3)
	buffer_store_dword v3, off, s[0:3], 0 offset:192
	s_waitcnt vmcnt(3)
	buffer_store_dword v4, off, s[0:3], 0 offset:196
	s_waitcnt vmcnt(3)
	buffer_store_dword v5, v0, s[0:3], 0 offen offset:4
	s_waitcnt vmcnt(3)
	buffer_store_dword v6, v0, s[0:3], 0 offen
.LBB109_332:
	v_mov_b32_e32 v0, 0
	global_load_dword v3, v0, s[12:13] offset:92
	s_waitcnt vmcnt(0)
	v_add_u32_e32 v93, -1, v3
	v_cmp_eq_u32_e32 vcc, 23, v93
	s_cbranch_vccnz .LBB109_334
; %bb.333:
	v_lshlrev_b32_e32 v3, 3, v93
	buffer_load_dword v4, v3, s[0:3], 0 offen
	buffer_load_dword v5, v3, s[0:3], 0 offen offset:4
	buffer_load_dword v6, off, s[0:3], 0 offset:184
	buffer_load_dword v7, off, s[0:3], 0 offset:188
	s_waitcnt vmcnt(3)
	buffer_store_dword v4, off, s[0:3], 0 offset:184
	s_waitcnt vmcnt(3)
	buffer_store_dword v5, off, s[0:3], 0 offset:188
	s_waitcnt vmcnt(3)
	buffer_store_dword v6, v3, s[0:3], 0 offen
	s_waitcnt vmcnt(3)
	buffer_store_dword v7, v3, s[0:3], 0 offen offset:4
.LBB109_334:
	global_load_dword v0, v0, s[12:13] offset:88
	s_waitcnt vmcnt(0)
	v_add_u32_e32 v0, -1, v0
	v_cmp_eq_u32_e32 vcc, 22, v0
	s_cbranch_vccnz .LBB109_336
; %bb.335:
	v_lshlrev_b32_e32 v0, 3, v0
	buffer_load_dword v3, v0, s[0:3], 0 offen
	buffer_load_dword v4, v0, s[0:3], 0 offen offset:4
	buffer_load_dword v5, off, s[0:3], 0 offset:180
	buffer_load_dword v6, off, s[0:3], 0 offset:176
	s_waitcnt vmcnt(3)
	buffer_store_dword v3, off, s[0:3], 0 offset:176
	s_waitcnt vmcnt(3)
	buffer_store_dword v4, off, s[0:3], 0 offset:180
	s_waitcnt vmcnt(3)
	buffer_store_dword v5, v0, s[0:3], 0 offen offset:4
	s_waitcnt vmcnt(3)
	buffer_store_dword v6, v0, s[0:3], 0 offen
.LBB109_336:
	v_mov_b32_e32 v0, 0
	global_load_dword v3, v0, s[12:13] offset:84
	s_waitcnt vmcnt(0)
	v_add_u32_e32 v93, -1, v3
	v_cmp_eq_u32_e32 vcc, 21, v93
	s_cbranch_vccnz .LBB109_338
; %bb.337:
	v_lshlrev_b32_e32 v3, 3, v93
	buffer_load_dword v4, v3, s[0:3], 0 offen
	buffer_load_dword v5, v3, s[0:3], 0 offen offset:4
	buffer_load_dword v6, off, s[0:3], 0 offset:168
	buffer_load_dword v7, off, s[0:3], 0 offset:172
	s_waitcnt vmcnt(3)
	buffer_store_dword v4, off, s[0:3], 0 offset:168
	s_waitcnt vmcnt(3)
	buffer_store_dword v5, off, s[0:3], 0 offset:172
	s_waitcnt vmcnt(3)
	buffer_store_dword v6, v3, s[0:3], 0 offen
	s_waitcnt vmcnt(3)
	buffer_store_dword v7, v3, s[0:3], 0 offen offset:4
.LBB109_338:
	global_load_dword v0, v0, s[12:13] offset:80
	s_waitcnt vmcnt(0)
	v_add_u32_e32 v0, -1, v0
	v_cmp_eq_u32_e32 vcc, 20, v0
	s_cbranch_vccnz .LBB109_340
; %bb.339:
	v_lshlrev_b32_e32 v0, 3, v0
	buffer_load_dword v3, v0, s[0:3], 0 offen
	buffer_load_dword v4, v0, s[0:3], 0 offen offset:4
	buffer_load_dword v5, off, s[0:3], 0 offset:164
	buffer_load_dword v6, off, s[0:3], 0 offset:160
	s_waitcnt vmcnt(3)
	buffer_store_dword v3, off, s[0:3], 0 offset:160
	s_waitcnt vmcnt(3)
	buffer_store_dword v4, off, s[0:3], 0 offset:164
	s_waitcnt vmcnt(3)
	buffer_store_dword v5, v0, s[0:3], 0 offen offset:4
	s_waitcnt vmcnt(3)
	buffer_store_dword v6, v0, s[0:3], 0 offen
.LBB109_340:
	v_mov_b32_e32 v0, 0
	global_load_dword v3, v0, s[12:13] offset:76
	s_waitcnt vmcnt(0)
	v_add_u32_e32 v93, -1, v3
	v_cmp_eq_u32_e32 vcc, 19, v93
	s_cbranch_vccnz .LBB109_342
; %bb.341:
	v_lshlrev_b32_e32 v3, 3, v93
	buffer_load_dword v4, v3, s[0:3], 0 offen
	buffer_load_dword v5, v3, s[0:3], 0 offen offset:4
	buffer_load_dword v6, off, s[0:3], 0 offset:152
	buffer_load_dword v7, off, s[0:3], 0 offset:156
	s_waitcnt vmcnt(3)
	buffer_store_dword v4, off, s[0:3], 0 offset:152
	s_waitcnt vmcnt(3)
	buffer_store_dword v5, off, s[0:3], 0 offset:156
	s_waitcnt vmcnt(3)
	buffer_store_dword v6, v3, s[0:3], 0 offen
	s_waitcnt vmcnt(3)
	buffer_store_dword v7, v3, s[0:3], 0 offen offset:4
.LBB109_342:
	global_load_dword v0, v0, s[12:13] offset:72
	s_waitcnt vmcnt(0)
	v_add_u32_e32 v0, -1, v0
	v_cmp_eq_u32_e32 vcc, 18, v0
	s_cbranch_vccnz .LBB109_344
; %bb.343:
	v_lshlrev_b32_e32 v0, 3, v0
	buffer_load_dword v3, v0, s[0:3], 0 offen
	buffer_load_dword v4, v0, s[0:3], 0 offen offset:4
	buffer_load_dword v5, off, s[0:3], 0 offset:148
	buffer_load_dword v6, off, s[0:3], 0 offset:144
	s_waitcnt vmcnt(3)
	buffer_store_dword v3, off, s[0:3], 0 offset:144
	s_waitcnt vmcnt(3)
	buffer_store_dword v4, off, s[0:3], 0 offset:148
	s_waitcnt vmcnt(3)
	buffer_store_dword v5, v0, s[0:3], 0 offen offset:4
	s_waitcnt vmcnt(3)
	buffer_store_dword v6, v0, s[0:3], 0 offen
.LBB109_344:
	v_mov_b32_e32 v0, 0
	global_load_dword v3, v0, s[12:13] offset:68
	s_waitcnt vmcnt(0)
	v_add_u32_e32 v93, -1, v3
	v_cmp_eq_u32_e32 vcc, 17, v93
	s_cbranch_vccnz .LBB109_346
; %bb.345:
	v_lshlrev_b32_e32 v3, 3, v93
	buffer_load_dword v4, v3, s[0:3], 0 offen
	buffer_load_dword v5, v3, s[0:3], 0 offen offset:4
	buffer_load_dword v6, off, s[0:3], 0 offset:136
	buffer_load_dword v7, off, s[0:3], 0 offset:140
	s_waitcnt vmcnt(3)
	buffer_store_dword v4, off, s[0:3], 0 offset:136
	s_waitcnt vmcnt(3)
	buffer_store_dword v5, off, s[0:3], 0 offset:140
	s_waitcnt vmcnt(3)
	buffer_store_dword v6, v3, s[0:3], 0 offen
	s_waitcnt vmcnt(3)
	buffer_store_dword v7, v3, s[0:3], 0 offen offset:4
.LBB109_346:
	global_load_dword v0, v0, s[12:13] offset:64
	s_waitcnt vmcnt(0)
	v_add_u32_e32 v0, -1, v0
	v_cmp_eq_u32_e32 vcc, 16, v0
	s_cbranch_vccnz .LBB109_348
; %bb.347:
	v_lshlrev_b32_e32 v0, 3, v0
	buffer_load_dword v3, v0, s[0:3], 0 offen
	buffer_load_dword v4, v0, s[0:3], 0 offen offset:4
	buffer_load_dword v5, off, s[0:3], 0 offset:132
	buffer_load_dword v6, off, s[0:3], 0 offset:128
	s_waitcnt vmcnt(3)
	buffer_store_dword v3, off, s[0:3], 0 offset:128
	s_waitcnt vmcnt(3)
	buffer_store_dword v4, off, s[0:3], 0 offset:132
	s_waitcnt vmcnt(3)
	buffer_store_dword v5, v0, s[0:3], 0 offen offset:4
	s_waitcnt vmcnt(3)
	buffer_store_dword v6, v0, s[0:3], 0 offen
.LBB109_348:
	v_mov_b32_e32 v0, 0
	global_load_dword v3, v0, s[12:13] offset:60
	s_waitcnt vmcnt(0)
	v_add_u32_e32 v93, -1, v3
	v_cmp_eq_u32_e32 vcc, 15, v93
	s_cbranch_vccnz .LBB109_350
; %bb.349:
	v_lshlrev_b32_e32 v3, 3, v93
	buffer_load_dword v4, v3, s[0:3], 0 offen
	buffer_load_dword v5, v3, s[0:3], 0 offen offset:4
	buffer_load_dword v6, off, s[0:3], 0 offset:120
	buffer_load_dword v7, off, s[0:3], 0 offset:124
	s_waitcnt vmcnt(3)
	buffer_store_dword v4, off, s[0:3], 0 offset:120
	s_waitcnt vmcnt(3)
	buffer_store_dword v5, off, s[0:3], 0 offset:124
	s_waitcnt vmcnt(3)
	buffer_store_dword v6, v3, s[0:3], 0 offen
	s_waitcnt vmcnt(3)
	buffer_store_dword v7, v3, s[0:3], 0 offen offset:4
.LBB109_350:
	global_load_dword v0, v0, s[12:13] offset:56
	s_waitcnt vmcnt(0)
	v_add_u32_e32 v0, -1, v0
	v_cmp_eq_u32_e32 vcc, 14, v0
	s_cbranch_vccnz .LBB109_352
; %bb.351:
	v_lshlrev_b32_e32 v0, 3, v0
	buffer_load_dword v3, v0, s[0:3], 0 offen
	buffer_load_dword v4, v0, s[0:3], 0 offen offset:4
	buffer_load_dword v5, off, s[0:3], 0 offset:116
	buffer_load_dword v6, off, s[0:3], 0 offset:112
	s_waitcnt vmcnt(3)
	buffer_store_dword v3, off, s[0:3], 0 offset:112
	s_waitcnt vmcnt(3)
	buffer_store_dword v4, off, s[0:3], 0 offset:116
	s_waitcnt vmcnt(3)
	buffer_store_dword v5, v0, s[0:3], 0 offen offset:4
	s_waitcnt vmcnt(3)
	buffer_store_dword v6, v0, s[0:3], 0 offen
.LBB109_352:
	v_mov_b32_e32 v0, 0
	global_load_dword v3, v0, s[12:13] offset:52
	s_waitcnt vmcnt(0)
	v_add_u32_e32 v93, -1, v3
	v_cmp_eq_u32_e32 vcc, 13, v93
	s_cbranch_vccnz .LBB109_354
; %bb.353:
	v_lshlrev_b32_e32 v3, 3, v93
	buffer_load_dword v4, v3, s[0:3], 0 offen
	buffer_load_dword v5, v3, s[0:3], 0 offen offset:4
	buffer_load_dword v6, off, s[0:3], 0 offset:104
	buffer_load_dword v7, off, s[0:3], 0 offset:108
	s_waitcnt vmcnt(3)
	buffer_store_dword v4, off, s[0:3], 0 offset:104
	s_waitcnt vmcnt(3)
	buffer_store_dword v5, off, s[0:3], 0 offset:108
	s_waitcnt vmcnt(3)
	buffer_store_dword v6, v3, s[0:3], 0 offen
	s_waitcnt vmcnt(3)
	buffer_store_dword v7, v3, s[0:3], 0 offen offset:4
.LBB109_354:
	global_load_dword v0, v0, s[12:13] offset:48
	s_waitcnt vmcnt(0)
	v_add_u32_e32 v0, -1, v0
	v_cmp_eq_u32_e32 vcc, 12, v0
	s_cbranch_vccnz .LBB109_356
; %bb.355:
	v_lshlrev_b32_e32 v0, 3, v0
	buffer_load_dword v3, v0, s[0:3], 0 offen
	buffer_load_dword v4, v0, s[0:3], 0 offen offset:4
	buffer_load_dword v5, off, s[0:3], 0 offset:100
	buffer_load_dword v6, off, s[0:3], 0 offset:96
	s_waitcnt vmcnt(3)
	buffer_store_dword v3, off, s[0:3], 0 offset:96
	s_waitcnt vmcnt(3)
	buffer_store_dword v4, off, s[0:3], 0 offset:100
	s_waitcnt vmcnt(3)
	buffer_store_dword v5, v0, s[0:3], 0 offen offset:4
	s_waitcnt vmcnt(3)
	buffer_store_dword v6, v0, s[0:3], 0 offen
.LBB109_356:
	v_mov_b32_e32 v0, 0
	global_load_dword v3, v0, s[12:13] offset:44
	s_waitcnt vmcnt(0)
	v_add_u32_e32 v93, -1, v3
	v_cmp_eq_u32_e32 vcc, 11, v93
	s_cbranch_vccnz .LBB109_358
; %bb.357:
	v_lshlrev_b32_e32 v3, 3, v93
	buffer_load_dword v4, v3, s[0:3], 0 offen
	buffer_load_dword v5, v3, s[0:3], 0 offen offset:4
	buffer_load_dword v6, off, s[0:3], 0 offset:88
	buffer_load_dword v7, off, s[0:3], 0 offset:92
	s_waitcnt vmcnt(3)
	buffer_store_dword v4, off, s[0:3], 0 offset:88
	s_waitcnt vmcnt(3)
	buffer_store_dword v5, off, s[0:3], 0 offset:92
	s_waitcnt vmcnt(3)
	buffer_store_dword v6, v3, s[0:3], 0 offen
	s_waitcnt vmcnt(3)
	buffer_store_dword v7, v3, s[0:3], 0 offen offset:4
.LBB109_358:
	global_load_dword v0, v0, s[12:13] offset:40
	s_waitcnt vmcnt(0)
	v_add_u32_e32 v0, -1, v0
	v_cmp_eq_u32_e32 vcc, 10, v0
	s_cbranch_vccnz .LBB109_360
; %bb.359:
	v_lshlrev_b32_e32 v0, 3, v0
	buffer_load_dword v3, v0, s[0:3], 0 offen
	buffer_load_dword v4, v0, s[0:3], 0 offen offset:4
	buffer_load_dword v5, off, s[0:3], 0 offset:84
	buffer_load_dword v6, off, s[0:3], 0 offset:80
	s_waitcnt vmcnt(3)
	buffer_store_dword v3, off, s[0:3], 0 offset:80
	s_waitcnt vmcnt(3)
	buffer_store_dword v4, off, s[0:3], 0 offset:84
	s_waitcnt vmcnt(3)
	buffer_store_dword v5, v0, s[0:3], 0 offen offset:4
	s_waitcnt vmcnt(3)
	buffer_store_dword v6, v0, s[0:3], 0 offen
.LBB109_360:
	v_mov_b32_e32 v0, 0
	global_load_dword v3, v0, s[12:13] offset:36
	s_waitcnt vmcnt(0)
	v_add_u32_e32 v93, -1, v3
	v_cmp_eq_u32_e32 vcc, 9, v93
	s_cbranch_vccnz .LBB109_362
; %bb.361:
	v_lshlrev_b32_e32 v3, 3, v93
	buffer_load_dword v4, v3, s[0:3], 0 offen
	buffer_load_dword v5, v3, s[0:3], 0 offen offset:4
	buffer_load_dword v6, off, s[0:3], 0 offset:72
	buffer_load_dword v7, off, s[0:3], 0 offset:76
	s_waitcnt vmcnt(3)
	buffer_store_dword v4, off, s[0:3], 0 offset:72
	s_waitcnt vmcnt(3)
	buffer_store_dword v5, off, s[0:3], 0 offset:76
	s_waitcnt vmcnt(3)
	buffer_store_dword v6, v3, s[0:3], 0 offen
	s_waitcnt vmcnt(3)
	buffer_store_dword v7, v3, s[0:3], 0 offen offset:4
.LBB109_362:
	global_load_dword v0, v0, s[12:13] offset:32
	s_waitcnt vmcnt(0)
	v_add_u32_e32 v0, -1, v0
	v_cmp_eq_u32_e32 vcc, 8, v0
	s_cbranch_vccnz .LBB109_364
; %bb.363:
	v_lshlrev_b32_e32 v0, 3, v0
	buffer_load_dword v3, v0, s[0:3], 0 offen
	buffer_load_dword v4, v0, s[0:3], 0 offen offset:4
	buffer_load_dword v5, off, s[0:3], 0 offset:68
	buffer_load_dword v6, off, s[0:3], 0 offset:64
	s_waitcnt vmcnt(3)
	buffer_store_dword v3, off, s[0:3], 0 offset:64
	s_waitcnt vmcnt(3)
	buffer_store_dword v4, off, s[0:3], 0 offset:68
	s_waitcnt vmcnt(3)
	buffer_store_dword v5, v0, s[0:3], 0 offen offset:4
	s_waitcnt vmcnt(3)
	buffer_store_dword v6, v0, s[0:3], 0 offen
.LBB109_364:
	v_mov_b32_e32 v0, 0
	global_load_dword v3, v0, s[12:13] offset:28
	s_waitcnt vmcnt(0)
	v_add_u32_e32 v93, -1, v3
	v_cmp_eq_u32_e32 vcc, 7, v93
	s_cbranch_vccnz .LBB109_366
; %bb.365:
	v_lshlrev_b32_e32 v3, 3, v93
	buffer_load_dword v4, v3, s[0:3], 0 offen
	buffer_load_dword v5, v3, s[0:3], 0 offen offset:4
	buffer_load_dword v6, off, s[0:3], 0 offset:56
	buffer_load_dword v7, off, s[0:3], 0 offset:60
	s_waitcnt vmcnt(3)
	buffer_store_dword v4, off, s[0:3], 0 offset:56
	s_waitcnt vmcnt(3)
	buffer_store_dword v5, off, s[0:3], 0 offset:60
	s_waitcnt vmcnt(3)
	buffer_store_dword v6, v3, s[0:3], 0 offen
	s_waitcnt vmcnt(3)
	buffer_store_dword v7, v3, s[0:3], 0 offen offset:4
.LBB109_366:
	global_load_dword v0, v0, s[12:13] offset:24
	s_waitcnt vmcnt(0)
	v_add_u32_e32 v0, -1, v0
	v_cmp_eq_u32_e32 vcc, 6, v0
	s_cbranch_vccnz .LBB109_368
; %bb.367:
	v_lshlrev_b32_e32 v0, 3, v0
	buffer_load_dword v3, v0, s[0:3], 0 offen
	buffer_load_dword v4, v0, s[0:3], 0 offen offset:4
	buffer_load_dword v5, off, s[0:3], 0 offset:52
	buffer_load_dword v6, off, s[0:3], 0 offset:48
	s_waitcnt vmcnt(3)
	buffer_store_dword v3, off, s[0:3], 0 offset:48
	s_waitcnt vmcnt(3)
	buffer_store_dword v4, off, s[0:3], 0 offset:52
	s_waitcnt vmcnt(3)
	buffer_store_dword v5, v0, s[0:3], 0 offen offset:4
	s_waitcnt vmcnt(3)
	buffer_store_dword v6, v0, s[0:3], 0 offen
.LBB109_368:
	v_mov_b32_e32 v0, 0
	global_load_dword v3, v0, s[12:13] offset:20
	s_waitcnt vmcnt(0)
	v_add_u32_e32 v93, -1, v3
	v_cmp_eq_u32_e32 vcc, 5, v93
	s_cbranch_vccnz .LBB109_370
; %bb.369:
	v_lshlrev_b32_e32 v3, 3, v93
	buffer_load_dword v4, v3, s[0:3], 0 offen
	buffer_load_dword v5, v3, s[0:3], 0 offen offset:4
	buffer_load_dword v6, off, s[0:3], 0 offset:40
	buffer_load_dword v7, off, s[0:3], 0 offset:44
	s_waitcnt vmcnt(3)
	buffer_store_dword v4, off, s[0:3], 0 offset:40
	s_waitcnt vmcnt(3)
	buffer_store_dword v5, off, s[0:3], 0 offset:44
	s_waitcnt vmcnt(3)
	buffer_store_dword v6, v3, s[0:3], 0 offen
	s_waitcnt vmcnt(3)
	buffer_store_dword v7, v3, s[0:3], 0 offen offset:4
.LBB109_370:
	global_load_dword v0, v0, s[12:13] offset:16
	s_waitcnt vmcnt(0)
	v_add_u32_e32 v0, -1, v0
	v_cmp_eq_u32_e32 vcc, 4, v0
	s_cbranch_vccnz .LBB109_372
; %bb.371:
	v_lshlrev_b32_e32 v0, 3, v0
	buffer_load_dword v3, v0, s[0:3], 0 offen
	buffer_load_dword v4, v0, s[0:3], 0 offen offset:4
	buffer_load_dword v5, off, s[0:3], 0 offset:36
	buffer_load_dword v6, off, s[0:3], 0 offset:32
	s_waitcnt vmcnt(3)
	buffer_store_dword v3, off, s[0:3], 0 offset:32
	s_waitcnt vmcnt(3)
	buffer_store_dword v4, off, s[0:3], 0 offset:36
	s_waitcnt vmcnt(3)
	buffer_store_dword v5, v0, s[0:3], 0 offen offset:4
	s_waitcnt vmcnt(3)
	buffer_store_dword v6, v0, s[0:3], 0 offen
.LBB109_372:
	v_mov_b32_e32 v0, 0
	global_load_dword v3, v0, s[12:13] offset:12
	s_waitcnt vmcnt(0)
	v_add_u32_e32 v93, -1, v3
	v_cmp_eq_u32_e32 vcc, 3, v93
	s_cbranch_vccnz .LBB109_374
; %bb.373:
	v_lshlrev_b32_e32 v3, 3, v93
	buffer_load_dword v4, v3, s[0:3], 0 offen
	buffer_load_dword v5, v3, s[0:3], 0 offen offset:4
	buffer_load_dword v6, off, s[0:3], 0 offset:24
	buffer_load_dword v7, off, s[0:3], 0 offset:28
	s_waitcnt vmcnt(3)
	buffer_store_dword v4, off, s[0:3], 0 offset:24
	s_waitcnt vmcnt(3)
	buffer_store_dword v5, off, s[0:3], 0 offset:28
	s_waitcnt vmcnt(3)
	buffer_store_dword v6, v3, s[0:3], 0 offen
	s_waitcnt vmcnt(3)
	buffer_store_dword v7, v3, s[0:3], 0 offen offset:4
.LBB109_374:
	global_load_dword v0, v0, s[12:13] offset:8
	s_waitcnt vmcnt(0)
	v_add_u32_e32 v0, -1, v0
	v_cmp_eq_u32_e32 vcc, 2, v0
	s_cbranch_vccnz .LBB109_376
; %bb.375:
	v_lshlrev_b32_e32 v0, 3, v0
	buffer_load_dword v3, v0, s[0:3], 0 offen
	buffer_load_dword v4, v0, s[0:3], 0 offen offset:4
	buffer_load_dword v5, off, s[0:3], 0 offset:20
	buffer_load_dword v6, off, s[0:3], 0 offset:16
	s_waitcnt vmcnt(3)
	buffer_store_dword v3, off, s[0:3], 0 offset:16
	s_waitcnt vmcnt(3)
	buffer_store_dword v4, off, s[0:3], 0 offset:20
	s_waitcnt vmcnt(3)
	buffer_store_dword v5, v0, s[0:3], 0 offen offset:4
	s_waitcnt vmcnt(3)
	buffer_store_dword v6, v0, s[0:3], 0 offen
.LBB109_376:
	v_mov_b32_e32 v0, 0
	global_load_dword v3, v0, s[12:13] offset:4
	s_waitcnt vmcnt(0)
	v_add_u32_e32 v93, -1, v3
	v_cmp_eq_u32_e32 vcc, 1, v93
	s_cbranch_vccnz .LBB109_378
; %bb.377:
	v_lshlrev_b32_e32 v3, 3, v93
	buffer_load_dword v4, v3, s[0:3], 0 offen
	buffer_load_dword v5, v3, s[0:3], 0 offen offset:4
	buffer_load_dword v6, off, s[0:3], 0 offset:8
	buffer_load_dword v7, off, s[0:3], 0 offset:12
	s_waitcnt vmcnt(3)
	buffer_store_dword v4, off, s[0:3], 0 offset:8
	s_waitcnt vmcnt(3)
	buffer_store_dword v5, off, s[0:3], 0 offset:12
	s_waitcnt vmcnt(3)
	buffer_store_dword v6, v3, s[0:3], 0 offen
	s_waitcnt vmcnt(3)
	buffer_store_dword v7, v3, s[0:3], 0 offen offset:4
.LBB109_378:
	global_load_dword v0, v0, s[12:13]
	s_waitcnt vmcnt(0)
	v_add_u32_e32 v0, -1, v0
	v_cmp_eq_u32_e32 vcc, 0, v0
	s_cbranch_vccnz .LBB109_380
; %bb.379:
	v_lshlrev_b32_e32 v0, 3, v0
	buffer_load_dword v3, v0, s[0:3], 0 offen
	buffer_load_dword v4, v0, s[0:3], 0 offen offset:4
	buffer_load_dword v5, off, s[0:3], 0 offset:4
	buffer_load_dword v6, off, s[0:3], 0
	s_waitcnt vmcnt(3)
	buffer_store_dword v3, off, s[0:3], 0
	s_waitcnt vmcnt(3)
	buffer_store_dword v4, off, s[0:3], 0 offset:4
	s_waitcnt vmcnt(3)
	buffer_store_dword v5, v0, s[0:3], 0 offen offset:4
	s_waitcnt vmcnt(3)
	buffer_store_dword v6, v0, s[0:3], 0 offen
.LBB109_380:
	buffer_load_dword v93, off, s[0:3], 0
	buffer_load_dword v94, off, s[0:3], 0 offset:4
	s_waitcnt vmcnt(0)
	flat_store_dwordx2 v[1:2], v[93:94]
	buffer_load_dword v0, off, s[0:3], 0 offset:8
	s_nop 0
	buffer_load_dword v1, off, s[0:3], 0 offset:12
	buffer_load_dword v2, off, s[0:3], 0 offset:368 ; 4-byte Folded Reload
	buffer_load_dword v3, off, s[0:3], 0 offset:372 ; 4-byte Folded Reload
	s_waitcnt vmcnt(0)
	flat_store_dwordx2 v[2:3], v[0:1]
	buffer_load_dword v0, off, s[0:3], 0 offset:16
	s_nop 0
	buffer_load_dword v1, off, s[0:3], 0 offset:20
	buffer_load_dword v2, off, s[0:3], 0 offset:376 ; 4-byte Folded Reload
	buffer_load_dword v3, off, s[0:3], 0 offset:380 ; 4-byte Folded Reload
	;; [unrolled: 7-line block ×11, first 2 shown]
	s_waitcnt vmcnt(0)
	flat_store_dwordx2 v[2:3], v[0:1]
	buffer_load_dword v0, off, s[0:3], 0 offset:96
	s_nop 0
	buffer_load_dword v1, off, s[0:3], 0 offset:100
	s_waitcnt vmcnt(0)
	flat_store_dwordx2 v[25:26], v[0:1]
	buffer_load_dword v0, off, s[0:3], 0 offset:104
	s_nop 0
	buffer_load_dword v1, off, s[0:3], 0 offset:108
	;; [unrolled: 5-line block ×34, first 2 shown]
	s_waitcnt vmcnt(0)
	flat_store_dwordx2 v[91:92], v[0:1]
	s_endpgm
	.section	.rodata,"a",@progbits
	.p2align	6, 0x0
	.amdhsa_kernel _ZN9rocsolver6v33100L18getri_kernel_smallILi46E19rocblas_complex_numIfEPKPS3_EEvT1_iilPiilS8_bb
		.amdhsa_group_segment_fixed_size 740
		.amdhsa_private_segment_fixed_size 464
		.amdhsa_kernarg_size 60
		.amdhsa_user_sgpr_count 6
		.amdhsa_user_sgpr_private_segment_buffer 1
		.amdhsa_user_sgpr_dispatch_ptr 0
		.amdhsa_user_sgpr_queue_ptr 0
		.amdhsa_user_sgpr_kernarg_segment_ptr 1
		.amdhsa_user_sgpr_dispatch_id 0
		.amdhsa_user_sgpr_flat_scratch_init 0
		.amdhsa_user_sgpr_private_segment_size 0
		.amdhsa_uses_dynamic_stack 0
		.amdhsa_system_sgpr_private_segment_wavefront_offset 1
		.amdhsa_system_sgpr_workgroup_id_x 1
		.amdhsa_system_sgpr_workgroup_id_y 0
		.amdhsa_system_sgpr_workgroup_id_z 0
		.amdhsa_system_sgpr_workgroup_info 0
		.amdhsa_system_vgpr_workitem_id 0
		.amdhsa_next_free_vgpr 256
		.amdhsa_next_free_sgpr 21
		.amdhsa_reserve_vcc 1
		.amdhsa_reserve_flat_scratch 0
		.amdhsa_float_round_mode_32 0
		.amdhsa_float_round_mode_16_64 0
		.amdhsa_float_denorm_mode_32 3
		.amdhsa_float_denorm_mode_16_64 3
		.amdhsa_dx10_clamp 1
		.amdhsa_ieee_mode 1
		.amdhsa_fp16_overflow 0
		.amdhsa_exception_fp_ieee_invalid_op 0
		.amdhsa_exception_fp_denorm_src 0
		.amdhsa_exception_fp_ieee_div_zero 0
		.amdhsa_exception_fp_ieee_overflow 0
		.amdhsa_exception_fp_ieee_underflow 0
		.amdhsa_exception_fp_ieee_inexact 0
		.amdhsa_exception_int_div_zero 0
	.end_amdhsa_kernel
	.section	.text._ZN9rocsolver6v33100L18getri_kernel_smallILi46E19rocblas_complex_numIfEPKPS3_EEvT1_iilPiilS8_bb,"axG",@progbits,_ZN9rocsolver6v33100L18getri_kernel_smallILi46E19rocblas_complex_numIfEPKPS3_EEvT1_iilPiilS8_bb,comdat
.Lfunc_end109:
	.size	_ZN9rocsolver6v33100L18getri_kernel_smallILi46E19rocblas_complex_numIfEPKPS3_EEvT1_iilPiilS8_bb, .Lfunc_end109-_ZN9rocsolver6v33100L18getri_kernel_smallILi46E19rocblas_complex_numIfEPKPS3_EEvT1_iilPiilS8_bb
                                        ; -- End function
	.set _ZN9rocsolver6v33100L18getri_kernel_smallILi46E19rocblas_complex_numIfEPKPS3_EEvT1_iilPiilS8_bb.num_vgpr, 256
	.set _ZN9rocsolver6v33100L18getri_kernel_smallILi46E19rocblas_complex_numIfEPKPS3_EEvT1_iilPiilS8_bb.num_agpr, 0
	.set _ZN9rocsolver6v33100L18getri_kernel_smallILi46E19rocblas_complex_numIfEPKPS3_EEvT1_iilPiilS8_bb.numbered_sgpr, 21
	.set _ZN9rocsolver6v33100L18getri_kernel_smallILi46E19rocblas_complex_numIfEPKPS3_EEvT1_iilPiilS8_bb.num_named_barrier, 0
	.set _ZN9rocsolver6v33100L18getri_kernel_smallILi46E19rocblas_complex_numIfEPKPS3_EEvT1_iilPiilS8_bb.private_seg_size, 464
	.set _ZN9rocsolver6v33100L18getri_kernel_smallILi46E19rocblas_complex_numIfEPKPS3_EEvT1_iilPiilS8_bb.uses_vcc, 1
	.set _ZN9rocsolver6v33100L18getri_kernel_smallILi46E19rocblas_complex_numIfEPKPS3_EEvT1_iilPiilS8_bb.uses_flat_scratch, 0
	.set _ZN9rocsolver6v33100L18getri_kernel_smallILi46E19rocblas_complex_numIfEPKPS3_EEvT1_iilPiilS8_bb.has_dyn_sized_stack, 0
	.set _ZN9rocsolver6v33100L18getri_kernel_smallILi46E19rocblas_complex_numIfEPKPS3_EEvT1_iilPiilS8_bb.has_recursion, 0
	.set _ZN9rocsolver6v33100L18getri_kernel_smallILi46E19rocblas_complex_numIfEPKPS3_EEvT1_iilPiilS8_bb.has_indirect_call, 0
	.section	.AMDGPU.csdata,"",@progbits
; Kernel info:
; codeLenInByte = 81280
; TotalNumSgprs: 25
; NumVgprs: 256
; ScratchSize: 464
; MemoryBound: 0
; FloatMode: 240
; IeeeMode: 1
; LDSByteSize: 740 bytes/workgroup (compile time only)
; SGPRBlocks: 3
; VGPRBlocks: 63
; NumSGPRsForWavesPerEU: 25
; NumVGPRsForWavesPerEU: 256
; Occupancy: 1
; WaveLimiterHint : 1
; COMPUTE_PGM_RSRC2:SCRATCH_EN: 1
; COMPUTE_PGM_RSRC2:USER_SGPR: 6
; COMPUTE_PGM_RSRC2:TRAP_HANDLER: 0
; COMPUTE_PGM_RSRC2:TGID_X_EN: 1
; COMPUTE_PGM_RSRC2:TGID_Y_EN: 0
; COMPUTE_PGM_RSRC2:TGID_Z_EN: 0
; COMPUTE_PGM_RSRC2:TIDIG_COMP_CNT: 0
	.section	.text._ZN9rocsolver6v33100L18getri_kernel_smallILi47E19rocblas_complex_numIfEPKPS3_EEvT1_iilPiilS8_bb,"axG",@progbits,_ZN9rocsolver6v33100L18getri_kernel_smallILi47E19rocblas_complex_numIfEPKPS3_EEvT1_iilPiilS8_bb,comdat
	.globl	_ZN9rocsolver6v33100L18getri_kernel_smallILi47E19rocblas_complex_numIfEPKPS3_EEvT1_iilPiilS8_bb ; -- Begin function _ZN9rocsolver6v33100L18getri_kernel_smallILi47E19rocblas_complex_numIfEPKPS3_EEvT1_iilPiilS8_bb
	.p2align	8
	.type	_ZN9rocsolver6v33100L18getri_kernel_smallILi47E19rocblas_complex_numIfEPKPS3_EEvT1_iilPiilS8_bb,@function
_ZN9rocsolver6v33100L18getri_kernel_smallILi47E19rocblas_complex_numIfEPKPS3_EEvT1_iilPiilS8_bb: ; @_ZN9rocsolver6v33100L18getri_kernel_smallILi47E19rocblas_complex_numIfEPKPS3_EEvT1_iilPiilS8_bb
; %bb.0:
	s_add_u32 s0, s0, s7
	s_addc_u32 s1, s1, 0
	v_cmp_gt_u32_e32 vcc, 47, v0
	s_and_saveexec_b64 s[8:9], vcc
	s_cbranch_execz .LBB110_202
; %bb.1:
	s_load_dword s18, s[4:5], 0x38
	s_load_dwordx2 s[12:13], s[4:5], 0x0
	s_load_dwordx4 s[8:11], s[4:5], 0x28
	s_waitcnt lgkmcnt(0)
	s_bitcmp1_b32 s18, 8
	s_cselect_b64 s[14:15], -1, 0
	s_ashr_i32 s7, s6, 31
	s_lshl_b64 s[16:17], s[6:7], 3
	s_add_u32 s12, s12, s16
	s_addc_u32 s13, s13, s17
	s_load_dwordx2 s[16:17], s[12:13], 0x0
	s_bfe_u32 s12, s18, 0x10008
	s_cmp_eq_u32 s12, 0
                                        ; implicit-def: $sgpr12_sgpr13
	s_cbranch_scc1 .LBB110_3
; %bb.2:
	s_load_dword s12, s[4:5], 0x20
	s_load_dwordx2 s[18:19], s[4:5], 0x18
	s_mul_i32 s13, s8, s7
	s_mul_hi_u32 s20, s8, s6
	s_add_i32 s20, s20, s13
	s_mul_i32 s9, s9, s6
	s_add_i32 s9, s20, s9
	s_mul_i32 s8, s8, s6
	s_waitcnt lgkmcnt(0)
	s_ashr_i32 s13, s12, 31
	s_lshl_b64 s[8:9], s[8:9], 2
	s_add_u32 s18, s18, s8
	s_addc_u32 s19, s19, s9
	s_lshl_b64 s[8:9], s[12:13], 2
	s_add_u32 s12, s18, s8
	s_addc_u32 s13, s19, s9
.LBB110_3:
	s_load_dwordx2 s[8:9], s[4:5], 0x8
	s_load_dword s18, s[4:5], 0x38
	v_lshlrev_b32_e32 v97, 3, v0
	s_waitcnt lgkmcnt(0)
	s_ashr_i32 s5, s8, 31
	s_mov_b32 s4, s8
	s_lshl_b64 s[4:5], s[4:5], 3
	s_add_u32 s4, s16, s4
	s_addc_u32 s5, s17, s5
	v_mov_b32_e32 v2, s5
	v_add_co_u32_e32 v1, vcc, s4, v97
	v_addc_co_u32_e32 v2, vcc, 0, v2, vcc
	flat_load_dwordx2 v[5:6], v[1:2]
	s_mov_b32 s16, s9
	s_ashr_i32 s17, s9, 31
	s_lshl_b64 s[16:17], s[16:17], 3
	v_mov_b32_e32 v4, s17
	v_add_co_u32_e32 v3, vcc, s16, v1
	v_addc_co_u32_e32 v4, vcc, v2, v4, vcc
	s_add_i32 s8, s9, s9
	v_add_u32_e32 v9, s8, v0
	v_ashrrev_i32_e32 v10, 31, v9
	v_mov_b32_e32 v11, s5
	v_add_u32_e32 v12, s9, v9
	v_ashrrev_i32_e32 v13, 31, v12
	v_mov_b32_e32 v14, s5
	v_mov_b32_e32 v15, s5
	;; [unrolled: 1-line block ×43, first 2 shown]
	s_bitcmp0_b32 s18, 0
	s_waitcnt vmcnt(0) lgkmcnt(0)
	buffer_store_dword v6, off, s[0:3], 0 offset:4
	buffer_store_dword v5, off, s[0:3], 0
	buffer_store_dword v3, off, s[0:3], 0 offset:376 ; 4-byte Folded Spill
	s_nop 0
	buffer_store_dword v4, off, s[0:3], 0 offset:380 ; 4-byte Folded Spill
	v_lshlrev_b64 v[5:6], 3, v[9:10]
	flat_load_dwordx2 v[7:8], v[3:4]
	v_add_co_u32_e32 v3, vcc, s4, v5
	v_addc_co_u32_e32 v4, vcc, v11, v6, vcc
	s_waitcnt vmcnt(0) lgkmcnt(0)
	buffer_store_dword v8, off, s[0:3], 0 offset:12
	buffer_store_dword v7, off, s[0:3], 0 offset:8
	buffer_store_dword v3, off, s[0:3], 0 offset:384 ; 4-byte Folded Spill
	s_nop 0
	buffer_store_dword v4, off, s[0:3], 0 offset:388 ; 4-byte Folded Spill
	v_lshlrev_b64 v[7:8], 3, v[12:13]
	flat_load_dwordx2 v[10:11], v[3:4]
	v_add_co_u32_e32 v3, vcc, s4, v7
	v_addc_co_u32_e32 v4, vcc, v14, v8, vcc
	s_waitcnt vmcnt(0) lgkmcnt(0)
	buffer_store_dword v11, off, s[0:3], 0 offset:20
	buffer_store_dword v10, off, s[0:3], 0 offset:16
	buffer_store_dword v3, off, s[0:3], 0 offset:392 ; 4-byte Folded Spill
	s_nop 0
	buffer_store_dword v4, off, s[0:3], 0 offset:396 ; 4-byte Folded Spill
	v_add_u32_e32 v11, s9, v12
	v_ashrrev_i32_e32 v12, 31, v11
	v_lshlrev_b64 v[9:10], 3, v[11:12]
	flat_load_dwordx2 v[13:14], v[3:4]
	v_add_co_u32_e32 v3, vcc, s4, v9
	v_addc_co_u32_e32 v4, vcc, v15, v10, vcc
	v_add_u32_e32 v15, s9, v11
	v_ashrrev_i32_e32 v16, 31, v15
	v_lshlrev_b64 v[11:12], 3, v[15:16]
	v_add_u32_e32 v18, s9, v15
	v_ashrrev_i32_e32 v19, 31, v18
	s_waitcnt vmcnt(0) lgkmcnt(0)
	buffer_store_dword v14, off, s[0:3], 0 offset:28
	buffer_store_dword v13, off, s[0:3], 0 offset:24
	buffer_store_dword v3, off, s[0:3], 0 offset:400 ; 4-byte Folded Spill
	s_nop 0
	buffer_store_dword v4, off, s[0:3], 0 offset:404 ; 4-byte Folded Spill
	flat_load_dwordx2 v[13:14], v[3:4]
	v_add_co_u32_e32 v3, vcc, s4, v11
	v_addc_co_u32_e32 v4, vcc, v17, v12, vcc
	s_waitcnt vmcnt(0) lgkmcnt(0)
	buffer_store_dword v14, off, s[0:3], 0 offset:36
	buffer_store_dword v13, off, s[0:3], 0 offset:32
	buffer_store_dword v3, off, s[0:3], 0 offset:408 ; 4-byte Folded Spill
	s_nop 0
	buffer_store_dword v4, off, s[0:3], 0 offset:412 ; 4-byte Folded Spill
	v_lshlrev_b64 v[13:14], 3, v[18:19]
	flat_load_dwordx2 v[16:17], v[3:4]
	v_add_co_u32_e32 v3, vcc, s4, v13
	v_addc_co_u32_e32 v4, vcc, v20, v14, vcc
	s_waitcnt vmcnt(0) lgkmcnt(0)
	buffer_store_dword v17, off, s[0:3], 0 offset:44
	buffer_store_dword v16, off, s[0:3], 0 offset:40
	buffer_store_dword v3, off, s[0:3], 0 offset:416 ; 4-byte Folded Spill
	s_nop 0
	buffer_store_dword v4, off, s[0:3], 0 offset:420 ; 4-byte Folded Spill
	v_add_u32_e32 v17, s9, v18
	v_ashrrev_i32_e32 v18, 31, v17
	v_lshlrev_b64 v[15:16], 3, v[17:18]
	flat_load_dwordx2 v[19:20], v[3:4]
	v_add_co_u32_e32 v3, vcc, s4, v15
	v_addc_co_u32_e32 v4, vcc, v21, v16, vcc
	v_add_u32_e32 v21, s9, v17
	v_ashrrev_i32_e32 v22, 31, v21
	v_lshlrev_b64 v[17:18], 3, v[21:22]
	v_add_u32_e32 v24, s9, v21
	v_ashrrev_i32_e32 v25, 31, v24
	s_waitcnt vmcnt(0) lgkmcnt(0)
	buffer_store_dword v20, off, s[0:3], 0 offset:52
	buffer_store_dword v19, off, s[0:3], 0 offset:48
	buffer_store_dword v3, off, s[0:3], 0 offset:424 ; 4-byte Folded Spill
	s_nop 0
	buffer_store_dword v4, off, s[0:3], 0 offset:428 ; 4-byte Folded Spill
	;; [unrolled: 36-line block ×4, first 2 shown]
	flat_load_dwordx2 v[31:32], v[3:4]
	v_add_co_u32_e32 v3, vcc, s4, v29
	v_addc_co_u32_e32 v4, vcc, v35, v30, vcc
	s_waitcnt vmcnt(0) lgkmcnt(0)
	buffer_store_dword v32, off, s[0:3], 0 offset:108
	buffer_store_dword v31, off, s[0:3], 0 offset:104
	buffer_store_dword v3, off, s[0:3], 0 offset:480 ; 4-byte Folded Spill
	s_nop 0
	buffer_store_dword v4, off, s[0:3], 0 offset:484 ; 4-byte Folded Spill
	v_lshlrev_b64 v[31:32], 3, v[36:37]
	v_add_co_u32_e32 v31, vcc, s4, v31
	v_addc_co_u32_e32 v32, vcc, v38, v32, vcc
	flat_load_dwordx2 v[34:35], v[3:4]
	s_waitcnt vmcnt(0) lgkmcnt(0)
	buffer_store_dword v35, off, s[0:3], 0 offset:116
	buffer_store_dword v34, off, s[0:3], 0 offset:112
	flat_load_dwordx2 v[37:38], v[31:32]
	v_add_u32_e32 v35, s9, v36
	v_ashrrev_i32_e32 v36, 31, v35
	v_lshlrev_b64 v[33:34], 3, v[35:36]
	s_waitcnt vmcnt(0) lgkmcnt(0)
	buffer_store_dword v38, off, s[0:3], 0 offset:124
	buffer_store_dword v37, off, s[0:3], 0 offset:120
	v_add_co_u32_e32 v33, vcc, s4, v33
	v_addc_co_u32_e32 v34, vcc, v39, v34, vcc
	flat_load_dwordx2 v[37:38], v[33:34]
	v_add_u32_e32 v39, s9, v35
	v_ashrrev_i32_e32 v40, 31, v39
	v_lshlrev_b64 v[35:36], 3, v[39:40]
	v_add_u32_e32 v42, s9, v39
	v_add_co_u32_e32 v35, vcc, s4, v35
	v_addc_co_u32_e32 v36, vcc, v41, v36, vcc
	v_ashrrev_i32_e32 v43, 31, v42
	s_waitcnt vmcnt(0) lgkmcnt(0)
	buffer_store_dword v38, off, s[0:3], 0 offset:132
	buffer_store_dword v37, off, s[0:3], 0 offset:128
	flat_load_dwordx2 v[40:41], v[35:36]
	v_lshlrev_b64 v[37:38], 3, v[42:43]
	s_waitcnt vmcnt(0) lgkmcnt(0)
	buffer_store_dword v41, off, s[0:3], 0 offset:140
	buffer_store_dword v40, off, s[0:3], 0 offset:136
	v_add_co_u32_e32 v37, vcc, s4, v37
	v_addc_co_u32_e32 v38, vcc, v44, v38, vcc
	flat_load_dwordx2 v[43:44], v[37:38]
	v_add_u32_e32 v41, s9, v42
	v_ashrrev_i32_e32 v42, 31, v41
	v_lshlrev_b64 v[39:40], 3, v[41:42]
	s_waitcnt vmcnt(0) lgkmcnt(0)
	buffer_store_dword v44, off, s[0:3], 0 offset:148
	buffer_store_dword v43, off, s[0:3], 0 offset:144
	v_add_co_u32_e32 v39, vcc, s4, v39
	v_addc_co_u32_e32 v40, vcc, v45, v40, vcc
	flat_load_dwordx2 v[43:44], v[39:40]
	v_add_u32_e32 v45, s9, v41
	v_ashrrev_i32_e32 v46, 31, v45
	v_lshlrev_b64 v[41:42], 3, v[45:46]
	v_add_u32_e32 v48, s9, v45
	v_add_co_u32_e32 v41, vcc, s4, v41
	v_addc_co_u32_e32 v42, vcc, v47, v42, vcc
	v_ashrrev_i32_e32 v49, 31, v48
	s_waitcnt vmcnt(0) lgkmcnt(0)
	buffer_store_dword v44, off, s[0:3], 0 offset:156
	buffer_store_dword v43, off, s[0:3], 0 offset:152
	flat_load_dwordx2 v[46:47], v[41:42]
	v_lshlrev_b64 v[43:44], 3, v[48:49]
	s_waitcnt vmcnt(0) lgkmcnt(0)
	buffer_store_dword v47, off, s[0:3], 0 offset:164
	buffer_store_dword v46, off, s[0:3], 0 offset:160
	v_add_co_u32_e32 v43, vcc, s4, v43
	v_addc_co_u32_e32 v44, vcc, v50, v44, vcc
	;; [unrolled: 27-line block ×8, first 2 shown]
	flat_load_dwordx2 v[85:86], v[79:80]
	v_add_u32_e32 v83, s9, v84
	v_ashrrev_i32_e32 v84, 31, v83
	v_lshlrev_b64 v[81:82], 3, v[83:84]
	s_waitcnt vmcnt(0) lgkmcnt(0)
	buffer_store_dword v86, off, s[0:3], 0 offset:316
	buffer_store_dword v85, off, s[0:3], 0 offset:312
	v_add_co_u32_e32 v81, vcc, s4, v81
	v_addc_co_u32_e32 v82, vcc, v87, v82, vcc
	flat_load_dwordx2 v[85:86], v[81:82]
	v_add_u32_e32 v87, s9, v83
	v_ashrrev_i32_e32 v88, 31, v87
	v_lshlrev_b64 v[83:84], 3, v[87:88]
	v_add_u32_e32 v90, s9, v87
	v_add_co_u32_e32 v83, vcc, s4, v83
	v_addc_co_u32_e32 v84, vcc, v89, v84, vcc
	s_waitcnt vmcnt(0) lgkmcnt(0)
	buffer_store_dword v86, off, s[0:3], 0 offset:324
	buffer_store_dword v85, off, s[0:3], 0 offset:320
	flat_load_dwordx2 v[88:89], v[83:84]
	v_ashrrev_i32_e32 v91, 31, v90
	v_lshlrev_b64 v[85:86], 3, v[90:91]
	s_waitcnt vmcnt(0) lgkmcnt(0)
	buffer_store_dword v89, off, s[0:3], 0 offset:332
	buffer_store_dword v88, off, s[0:3], 0 offset:328
	v_add_co_u32_e32 v85, vcc, s4, v85
	v_addc_co_u32_e32 v86, vcc, v92, v86, vcc
	flat_load_dwordx2 v[91:92], v[85:86]
	v_add_u32_e32 v89, s9, v90
	v_ashrrev_i32_e32 v90, 31, v89
	v_lshlrev_b64 v[87:88], 3, v[89:90]
	s_waitcnt vmcnt(0) lgkmcnt(0)
	buffer_store_dword v92, off, s[0:3], 0 offset:340
	buffer_store_dword v91, off, s[0:3], 0 offset:336
	v_add_co_u32_e32 v87, vcc, s4, v87
	v_addc_co_u32_e32 v88, vcc, v93, v88, vcc
	flat_load_dwordx2 v[91:92], v[87:88]
	v_add_u32_e32 v93, s9, v89
	;; [unrolled: 9-line block ×4, first 2 shown]
	v_ashrrev_i32_e32 v94, 31, v93
	v_lshlrev_b64 v[93:94], 3, v[93:94]
	v_mov_b32_e32 v99, s5
	v_add_co_u32_e32 v93, vcc, s4, v93
	v_addc_co_u32_e32 v94, vcc, v99, v94, vcc
	s_waitcnt vmcnt(0) lgkmcnt(0)
	buffer_store_dword v96, off, s[0:3], 0 offset:364
	buffer_store_dword v95, off, s[0:3], 0 offset:360
	flat_load_dwordx2 v[95:96], v[93:94]
	s_mov_b64 s[8:9], -1
	s_waitcnt vmcnt(0) lgkmcnt(0)
	buffer_store_dword v96, off, s[0:3], 0 offset:372
	buffer_store_dword v95, off, s[0:3], 0 offset:368
	s_cbranch_scc1 .LBB110_200
; %bb.4:
	v_cmp_eq_u32_e64 s[4:5], 0, v0
	s_and_saveexec_b64 s[8:9], s[4:5]
; %bb.5:
	v_mov_b32_e32 v95, 0
	ds_write_b32 v95, v95 offset:376
; %bb.6:
	s_or_b64 exec, exec, s[8:9]
	v_mov_b32_e32 v95, 0
	v_lshl_add_u32 v99, v0, 3, v95
	s_waitcnt lgkmcnt(0)
	; wave barrier
	buffer_load_dword v95, v99, s[0:3], 0 offen
	buffer_load_dword v96, v99, s[0:3], 0 offen offset:4
	s_waitcnt vmcnt(1)
	v_cmp_eq_f32_e32 vcc, 0, v95
	s_waitcnt vmcnt(0)
	v_cmp_eq_f32_e64 s[8:9], 0, v96
	s_and_b64 s[8:9], vcc, s[8:9]
	s_and_saveexec_b64 s[16:17], s[8:9]
	s_cbranch_execz .LBB110_10
; %bb.7:
	v_mov_b32_e32 v95, 0
	ds_read_b32 v98, v95 offset:376
	v_add_u32_e32 v96, 1, v0
	s_waitcnt lgkmcnt(0)
	v_readfirstlane_b32 s8, v98
	s_cmp_eq_u32 s8, 0
	s_cselect_b64 s[18:19], -1, 0
	v_cmp_gt_i32_e32 vcc, s8, v96
	s_or_b64 s[18:19], s[18:19], vcc
	s_and_b64 exec, exec, s[18:19]
	s_cbranch_execz .LBB110_10
; %bb.8:
	s_mov_b64 s[18:19], 0
	v_mov_b32_e32 v98, s8
.LBB110_9:                              ; =>This Inner Loop Header: Depth=1
	ds_cmpst_rtn_b32 v98, v95, v98, v96 offset:376
	s_waitcnt lgkmcnt(0)
	v_cmp_ne_u32_e32 vcc, 0, v98
	v_cmp_le_i32_e64 s[8:9], v98, v96
	s_and_b64 s[8:9], vcc, s[8:9]
	s_and_b64 s[8:9], exec, s[8:9]
	s_or_b64 s[18:19], s[8:9], s[18:19]
	s_andn2_b64 exec, exec, s[18:19]
	s_cbranch_execnz .LBB110_9
.LBB110_10:
	s_or_b64 exec, exec, s[16:17]
	v_mov_b32_e32 v96, 0
	; wave barrier
	ds_read_b32 v95, v96 offset:376
	s_and_saveexec_b64 s[8:9], s[4:5]
	s_cbranch_execz .LBB110_12
; %bb.11:
	s_lshl_b64 s[16:17], s[6:7], 2
	s_add_u32 s16, s10, s16
	s_addc_u32 s17, s11, s17
	s_waitcnt lgkmcnt(0)
	global_store_dword v96, v95, s[16:17]
.LBB110_12:
	s_or_b64 exec, exec, s[8:9]
	s_waitcnt lgkmcnt(0)
	v_cmp_ne_u32_e32 vcc, 0, v95
	s_mov_b64 s[8:9], 0
	s_cbranch_vccnz .LBB110_200
; %bb.13:
	buffer_load_dword v96, v99, s[0:3], 0 offen
	buffer_load_dword v98, v99, s[0:3], 0 offen offset:4
                                        ; implicit-def: $vgpr101
                                        ; implicit-def: $vgpr100
                                        ; implicit-def: $vgpr95
	s_waitcnt vmcnt(0)
	v_cmp_ngt_f32_e64 s[8:9], |v96|, |v98|
	s_and_saveexec_b64 s[16:17], s[8:9]
	s_xor_b64 s[8:9], exec, s[16:17]
	s_cbranch_execz .LBB110_15
; %bb.14:
	v_div_scale_f32 v95, s[16:17], v98, v98, v96
	v_div_scale_f32 v100, vcc, v96, v98, v96
	v_rcp_f32_e32 v101, v95
	v_fma_f32 v102, -v95, v101, 1.0
	v_fmac_f32_e32 v101, v102, v101
	v_mul_f32_e32 v102, v100, v101
	v_fma_f32 v103, -v95, v102, v100
	v_fmac_f32_e32 v102, v103, v101
	v_fma_f32 v95, -v95, v102, v100
	v_div_fmas_f32 v95, v95, v101, v102
	v_div_fixup_f32 v95, v95, v98, v96
	v_fmac_f32_e32 v98, v96, v95
	v_div_scale_f32 v96, s[16:17], v98, v98, 1.0
	v_div_scale_f32 v100, vcc, 1.0, v98, 1.0
	v_rcp_f32_e32 v101, v96
	v_fma_f32 v102, -v96, v101, 1.0
	v_fmac_f32_e32 v101, v102, v101
	v_mul_f32_e32 v102, v100, v101
	v_fma_f32 v103, -v96, v102, v100
	v_fmac_f32_e32 v102, v103, v101
	v_fma_f32 v96, -v96, v102, v100
	v_div_fmas_f32 v96, v96, v101, v102
	v_div_fixup_f32 v96, v96, v98, 1.0
	v_mul_f32_e32 v101, v95, v96
	v_xor_b32_e32 v100, 0x80000000, v96
	v_xor_b32_e32 v95, 0x80000000, v101
                                        ; implicit-def: $vgpr96
                                        ; implicit-def: $vgpr98
.LBB110_15:
	s_andn2_saveexec_b64 s[8:9], s[8:9]
	s_cbranch_execz .LBB110_17
; %bb.16:
	v_div_scale_f32 v95, s[16:17], v96, v96, v98
	v_div_scale_f32 v100, vcc, v98, v96, v98
	v_rcp_f32_e32 v101, v95
	v_fma_f32 v102, -v95, v101, 1.0
	v_fmac_f32_e32 v101, v102, v101
	v_mul_f32_e32 v102, v100, v101
	v_fma_f32 v103, -v95, v102, v100
	v_fmac_f32_e32 v102, v103, v101
	v_fma_f32 v95, -v95, v102, v100
	v_div_fmas_f32 v95, v95, v101, v102
	v_div_fixup_f32 v100, v95, v96, v98
	v_fmac_f32_e32 v96, v98, v100
	v_div_scale_f32 v95, s[16:17], v96, v96, 1.0
	v_div_scale_f32 v98, vcc, 1.0, v96, 1.0
	v_rcp_f32_e32 v101, v95
	v_fma_f32 v102, -v95, v101, 1.0
	v_fmac_f32_e32 v101, v102, v101
	v_mul_f32_e32 v102, v98, v101
	v_fma_f32 v103, -v95, v102, v98
	v_fmac_f32_e32 v102, v103, v101
	v_fma_f32 v95, -v95, v102, v98
	v_div_fmas_f32 v95, v95, v101, v102
	v_div_fixup_f32 v101, v95, v96, 1.0
	v_xor_b32_e32 v95, 0x80000000, v101
	v_mul_f32_e64 v100, v100, -v101
.LBB110_17:
	s_or_b64 exec, exec, s[8:9]
	buffer_store_dword v101, v99, s[0:3], 0 offen
	buffer_store_dword v100, v99, s[0:3], 0 offen offset:4
	buffer_load_dword v102, off, s[0:3], 0 offset:12
	s_nop 0
	buffer_load_dword v101, off, s[0:3], 0 offset:8
	v_xor_b32_e32 v96, 0x80000000, v100
	v_add_u32_e32 v98, 0x180, v97
	s_waitcnt vmcnt(0)
	ds_write2_b64 v97, v[95:96], v[101:102] offset1:48
	s_waitcnt lgkmcnt(0)
	; wave barrier
	s_and_saveexec_b64 s[8:9], s[4:5]
	s_cbranch_execz .LBB110_19
; %bb.18:
	buffer_load_dword v102, v99, s[0:3], 0 offen offset:4
	buffer_load_dword v103, v99, s[0:3], 0 offen
	ds_read_b64 v[95:96], v98
	v_mov_b32_e32 v100, 0
	ds_read_b64 v[100:101], v100 offset:8
	s_waitcnt vmcnt(1) lgkmcnt(1)
	v_mul_f32_e32 v104, v96, v102
	v_mul_f32_e32 v102, v95, v102
	s_waitcnt vmcnt(0)
	v_fmac_f32_e32 v102, v96, v103
	v_fma_f32 v95, v95, v103, -v104
	v_add_f32_e32 v96, 0, v102
	v_add_f32_e32 v95, 0, v95
	s_waitcnt lgkmcnt(0)
	v_mul_f32_e32 v102, v96, v101
	v_mul_f32_e32 v101, v95, v101
	v_fma_f32 v95, v95, v100, -v102
	v_fmac_f32_e32 v101, v96, v100
	buffer_store_dword v95, off, s[0:3], 0 offset:8
	buffer_store_dword v101, off, s[0:3], 0 offset:12
.LBB110_19:
	s_or_b64 exec, exec, s[8:9]
	; wave barrier
	buffer_load_dword v95, off, s[0:3], 0 offset:16
	buffer_load_dword v96, off, s[0:3], 0 offset:20
	v_cmp_gt_u32_e32 vcc, 2, v0
	s_waitcnt vmcnt(0)
	ds_write_b64 v98, v[95:96]
	s_waitcnt lgkmcnt(0)
	; wave barrier
	s_and_saveexec_b64 s[8:9], vcc
	s_cbranch_execz .LBB110_23
; %bb.20:
	buffer_load_dword v100, v99, s[0:3], 0 offen offset:4
	buffer_load_dword v101, v99, s[0:3], 0 offen
	ds_read_b64 v[95:96], v98
	s_waitcnt vmcnt(1) lgkmcnt(0)
	v_mul_f32_e32 v99, v96, v100
	v_mul_f32_e32 v100, v95, v100
	s_waitcnt vmcnt(0)
	v_fma_f32 v95, v95, v101, -v99
	v_fmac_f32_e32 v100, v96, v101
	v_add_f32_e32 v96, 0, v95
	v_add_f32_e32 v95, 0, v100
	s_and_saveexec_b64 s[16:17], s[4:5]
	s_cbranch_execz .LBB110_22
; %bb.21:
	buffer_load_dword v101, off, s[0:3], 0 offset:12
	buffer_load_dword v102, off, s[0:3], 0 offset:8
	v_mov_b32_e32 v99, 0
	ds_read_b64 v[99:100], v99 offset:392
	s_waitcnt vmcnt(1) lgkmcnt(0)
	v_mul_f32_e32 v103, v99, v101
	v_mul_f32_e32 v101, v100, v101
	s_waitcnt vmcnt(0)
	v_fmac_f32_e32 v103, v100, v102
	v_fma_f32 v99, v99, v102, -v101
	v_add_f32_e32 v95, v95, v103
	v_add_f32_e32 v96, v96, v99
.LBB110_22:
	s_or_b64 exec, exec, s[16:17]
	v_mov_b32_e32 v99, 0
	ds_read_b64 v[99:100], v99 offset:16
	s_waitcnt lgkmcnt(0)
	v_mul_f32_e32 v101, v95, v100
	v_mul_f32_e32 v100, v96, v100
	v_fma_f32 v96, v96, v99, -v101
	v_fmac_f32_e32 v100, v95, v99
	buffer_store_dword v96, off, s[0:3], 0 offset:16
	buffer_store_dword v100, off, s[0:3], 0 offset:20
.LBB110_23:
	s_or_b64 exec, exec, s[8:9]
	; wave barrier
	buffer_load_dword v95, off, s[0:3], 0 offset:24
	buffer_load_dword v96, off, s[0:3], 0 offset:28
	v_cmp_gt_u32_e32 vcc, 3, v0
	s_waitcnt vmcnt(0)
	ds_write_b64 v98, v[95:96]
	v_add_u32_e32 v95, -1, v0
	s_waitcnt lgkmcnt(0)
	; wave barrier
	s_and_saveexec_b64 s[4:5], vcc
	s_cbranch_execz .LBB110_27
; %bb.24:
	v_add_u32_e32 v99, -1, v0
	v_add_u32_e32 v100, 0x180, v97
	v_mov_b32_e32 v101, v97
	v_mov_b32_e32 v96, 0
	s_mov_b64 s[8:9], 0
	v_mov_b32_e32 v102, 0
.LBB110_25:                             ; =>This Inner Loop Header: Depth=1
	buffer_load_dword v105, v101, s[0:3], 0 offen offset:4
	buffer_load_dword v106, v101, s[0:3], 0 offen
	ds_read_b64 v[103:104], v100
	v_add_u32_e32 v99, 1, v99
	v_cmp_lt_u32_e32 vcc, 1, v99
	v_add_u32_e32 v100, 8, v100
	v_add_u32_e32 v101, 8, v101
	s_or_b64 s[8:9], vcc, s[8:9]
	s_waitcnt vmcnt(1) lgkmcnt(0)
	v_mul_f32_e32 v107, v104, v105
	v_mul_f32_e32 v105, v103, v105
	s_waitcnt vmcnt(0)
	v_fma_f32 v103, v103, v106, -v107
	v_fmac_f32_e32 v105, v104, v106
	v_add_f32_e32 v102, v102, v103
	v_add_f32_e32 v96, v96, v105
	s_andn2_b64 exec, exec, s[8:9]
	s_cbranch_execnz .LBB110_25
; %bb.26:
	s_or_b64 exec, exec, s[8:9]
	v_mov_b32_e32 v99, 0
	ds_read_b64 v[99:100], v99 offset:24
	s_waitcnt lgkmcnt(0)
	v_mul_f32_e32 v101, v96, v100
	v_mul_f32_e32 v100, v102, v100
	v_fma_f32 v101, v102, v99, -v101
	v_fmac_f32_e32 v100, v96, v99
	buffer_store_dword v101, off, s[0:3], 0 offset:24
	buffer_store_dword v100, off, s[0:3], 0 offset:28
.LBB110_27:
	s_or_b64 exec, exec, s[4:5]
	; wave barrier
	buffer_load_dword v99, off, s[0:3], 0 offset:32
	buffer_load_dword v100, off, s[0:3], 0 offset:36
	v_cmp_gt_u32_e32 vcc, 4, v0
	s_waitcnt vmcnt(0)
	ds_write_b64 v98, v[99:100]
	s_waitcnt lgkmcnt(0)
	; wave barrier
	s_and_saveexec_b64 s[4:5], vcc
	s_cbranch_execz .LBB110_31
; %bb.28:
	v_add_u32_e32 v99, -1, v0
	v_add_u32_e32 v100, 0x180, v97
	v_mov_b32_e32 v101, v97
	v_mov_b32_e32 v96, 0
	s_mov_b64 s[8:9], 0
	v_mov_b32_e32 v102, 0
.LBB110_29:                             ; =>This Inner Loop Header: Depth=1
	buffer_load_dword v105, v101, s[0:3], 0 offen offset:4
	buffer_load_dword v106, v101, s[0:3], 0 offen
	ds_read_b64 v[103:104], v100
	v_add_u32_e32 v99, 1, v99
	v_cmp_lt_u32_e32 vcc, 2, v99
	v_add_u32_e32 v100, 8, v100
	v_add_u32_e32 v101, 8, v101
	s_or_b64 s[8:9], vcc, s[8:9]
	s_waitcnt vmcnt(1) lgkmcnt(0)
	v_mul_f32_e32 v107, v104, v105
	v_mul_f32_e32 v105, v103, v105
	s_waitcnt vmcnt(0)
	v_fma_f32 v103, v103, v106, -v107
	v_fmac_f32_e32 v105, v104, v106
	v_add_f32_e32 v102, v102, v103
	v_add_f32_e32 v96, v96, v105
	s_andn2_b64 exec, exec, s[8:9]
	s_cbranch_execnz .LBB110_29
; %bb.30:
	s_or_b64 exec, exec, s[8:9]
	v_mov_b32_e32 v99, 0
	ds_read_b64 v[99:100], v99 offset:32
	s_waitcnt lgkmcnt(0)
	v_mul_f32_e32 v101, v96, v100
	v_mul_f32_e32 v100, v102, v100
	v_fma_f32 v101, v102, v99, -v101
	v_fmac_f32_e32 v100, v96, v99
	buffer_store_dword v101, off, s[0:3], 0 offset:32
	buffer_store_dword v100, off, s[0:3], 0 offset:36
.LBB110_31:
	s_or_b64 exec, exec, s[4:5]
	; wave barrier
	buffer_load_dword v99, off, s[0:3], 0 offset:40
	buffer_load_dword v100, off, s[0:3], 0 offset:44
	v_cmp_gt_u32_e32 vcc, 5, v0
	s_waitcnt vmcnt(0)
	ds_write_b64 v98, v[99:100]
	;; [unrolled: 49-line block ×19, first 2 shown]
	s_waitcnt lgkmcnt(0)
	; wave barrier
	s_and_saveexec_b64 s[4:5], vcc
	s_cbranch_execz .LBB110_103
; %bb.100:
	v_add_u32_e32 v99, -1, v0
	v_add_u32_e32 v100, 0x180, v97
	v_mov_b32_e32 v101, v97
	v_mov_b32_e32 v96, 0
	s_mov_b64 s[8:9], 0
	v_mov_b32_e32 v102, 0
.LBB110_101:                            ; =>This Inner Loop Header: Depth=1
	buffer_load_dword v105, v101, s[0:3], 0 offen offset:4
	buffer_load_dword v106, v101, s[0:3], 0 offen
	ds_read_b64 v[103:104], v100
	v_add_u32_e32 v99, 1, v99
	v_cmp_lt_u32_e32 vcc, 20, v99
	v_add_u32_e32 v100, 8, v100
	v_add_u32_e32 v101, 8, v101
	s_or_b64 s[8:9], vcc, s[8:9]
	s_waitcnt vmcnt(1) lgkmcnt(0)
	v_mul_f32_e32 v107, v104, v105
	v_mul_f32_e32 v105, v103, v105
	s_waitcnt vmcnt(0)
	v_fma_f32 v103, v103, v106, -v107
	v_fmac_f32_e32 v105, v104, v106
	v_add_f32_e32 v102, v102, v103
	v_add_f32_e32 v96, v96, v105
	s_andn2_b64 exec, exec, s[8:9]
	s_cbranch_execnz .LBB110_101
; %bb.102:
	s_or_b64 exec, exec, s[8:9]
	v_mov_b32_e32 v99, 0
	ds_read_b64 v[99:100], v99 offset:176
	s_waitcnt lgkmcnt(0)
	v_mul_f32_e32 v101, v96, v100
	v_mul_f32_e32 v100, v102, v100
	v_fma_f32 v101, v102, v99, -v101
	v_fmac_f32_e32 v100, v96, v99
	buffer_store_dword v101, off, s[0:3], 0 offset:176
	buffer_store_dword v100, off, s[0:3], 0 offset:180
.LBB110_103:
	s_or_b64 exec, exec, s[4:5]
	; wave barrier
	buffer_load_dword v99, off, s[0:3], 0 offset:184
	buffer_load_dword v100, off, s[0:3], 0 offset:188
	v_cmp_gt_u32_e32 vcc, 23, v0
	s_waitcnt vmcnt(0)
	ds_write_b64 v98, v[99:100]
	s_waitcnt lgkmcnt(0)
	; wave barrier
	s_and_saveexec_b64 s[4:5], vcc
	s_cbranch_execz .LBB110_107
; %bb.104:
	v_add_u32_e32 v99, -1, v0
	v_add_u32_e32 v100, 0x180, v97
	v_mov_b32_e32 v101, v97
	v_mov_b32_e32 v96, 0
	s_mov_b64 s[8:9], 0
	v_mov_b32_e32 v102, 0
.LBB110_105:                            ; =>This Inner Loop Header: Depth=1
	buffer_load_dword v105, v101, s[0:3], 0 offen offset:4
	buffer_load_dword v106, v101, s[0:3], 0 offen
	ds_read_b64 v[103:104], v100
	v_add_u32_e32 v99, 1, v99
	v_cmp_lt_u32_e32 vcc, 21, v99
	v_add_u32_e32 v100, 8, v100
	v_add_u32_e32 v101, 8, v101
	s_or_b64 s[8:9], vcc, s[8:9]
	s_waitcnt vmcnt(1) lgkmcnt(0)
	v_mul_f32_e32 v107, v104, v105
	v_mul_f32_e32 v105, v103, v105
	s_waitcnt vmcnt(0)
	v_fma_f32 v103, v103, v106, -v107
	v_fmac_f32_e32 v105, v104, v106
	v_add_f32_e32 v102, v102, v103
	v_add_f32_e32 v96, v96, v105
	s_andn2_b64 exec, exec, s[8:9]
	s_cbranch_execnz .LBB110_105
; %bb.106:
	s_or_b64 exec, exec, s[8:9]
	v_mov_b32_e32 v99, 0
	ds_read_b64 v[99:100], v99 offset:184
	s_waitcnt lgkmcnt(0)
	v_mul_f32_e32 v101, v96, v100
	v_mul_f32_e32 v100, v102, v100
	v_fma_f32 v101, v102, v99, -v101
	v_fmac_f32_e32 v100, v96, v99
	buffer_store_dword v101, off, s[0:3], 0 offset:184
	buffer_store_dword v100, off, s[0:3], 0 offset:188
.LBB110_107:
	s_or_b64 exec, exec, s[4:5]
	; wave barrier
	buffer_load_dword v99, off, s[0:3], 0 offset:192
	buffer_load_dword v100, off, s[0:3], 0 offset:196
	v_cmp_gt_u32_e32 vcc, 24, v0
	s_waitcnt vmcnt(0)
	ds_write_b64 v98, v[99:100]
	;; [unrolled: 49-line block ×23, first 2 shown]
	s_waitcnt lgkmcnt(0)
	; wave barrier
	s_and_saveexec_b64 s[4:5], vcc
	s_cbranch_execz .LBB110_195
; %bb.192:
	v_add_u32_e32 v99, -1, v0
	v_add_u32_e32 v100, 0x180, v97
	v_mov_b32_e32 v101, v97
	v_mov_b32_e32 v96, 0
	s_mov_b64 s[8:9], 0
	v_mov_b32_e32 v102, 0
.LBB110_193:                            ; =>This Inner Loop Header: Depth=1
	buffer_load_dword v105, v101, s[0:3], 0 offen offset:4
	buffer_load_dword v106, v101, s[0:3], 0 offen
	ds_read_b64 v[103:104], v100
	v_add_u32_e32 v99, 1, v99
	v_cmp_lt_u32_e32 vcc, 43, v99
	v_add_u32_e32 v100, 8, v100
	v_add_u32_e32 v101, 8, v101
	s_or_b64 s[8:9], vcc, s[8:9]
	s_waitcnt vmcnt(1) lgkmcnt(0)
	v_mul_f32_e32 v107, v104, v105
	v_mul_f32_e32 v105, v103, v105
	s_waitcnt vmcnt(0)
	v_fma_f32 v103, v103, v106, -v107
	v_fmac_f32_e32 v105, v104, v106
	v_add_f32_e32 v102, v102, v103
	v_add_f32_e32 v96, v96, v105
	s_andn2_b64 exec, exec, s[8:9]
	s_cbranch_execnz .LBB110_193
; %bb.194:
	s_or_b64 exec, exec, s[8:9]
	v_mov_b32_e32 v99, 0
	ds_read_b64 v[99:100], v99 offset:360
	s_waitcnt lgkmcnt(0)
	v_mul_f32_e32 v101, v96, v100
	v_mul_f32_e32 v100, v102, v100
	v_fma_f32 v101, v102, v99, -v101
	v_fmac_f32_e32 v100, v96, v99
	buffer_store_dword v101, off, s[0:3], 0 offset:360
	buffer_store_dword v100, off, s[0:3], 0 offset:364
.LBB110_195:
	s_or_b64 exec, exec, s[4:5]
	; wave barrier
	buffer_load_dword v99, off, s[0:3], 0 offset:368
	buffer_load_dword v100, off, s[0:3], 0 offset:372
	v_cmp_ne_u32_e32 vcc, 46, v0
	s_waitcnt vmcnt(0)
	ds_write_b64 v98, v[99:100]
	s_waitcnt lgkmcnt(0)
	; wave barrier
	s_and_saveexec_b64 s[4:5], vcc
	s_cbranch_execz .LBB110_199
; %bb.196:
	v_add_u32_e32 v98, 0x180, v97
	v_mov_b32_e32 v96, 0
	s_mov_b64 s[8:9], 0
	v_mov_b32_e32 v99, 0
.LBB110_197:                            ; =>This Inner Loop Header: Depth=1
	buffer_load_dword v102, v97, s[0:3], 0 offen offset:4
	buffer_load_dword v103, v97, s[0:3], 0 offen
	ds_read_b64 v[100:101], v98
	v_add_u32_e32 v95, 1, v95
	v_cmp_lt_u32_e32 vcc, 44, v95
	v_add_u32_e32 v98, 8, v98
	v_add_u32_e32 v97, 8, v97
	s_or_b64 s[8:9], vcc, s[8:9]
	s_waitcnt vmcnt(1) lgkmcnt(0)
	v_mul_f32_e32 v104, v101, v102
	v_mul_f32_e32 v102, v100, v102
	s_waitcnt vmcnt(0)
	v_fma_f32 v100, v100, v103, -v104
	v_fmac_f32_e32 v102, v101, v103
	v_add_f32_e32 v99, v99, v100
	v_add_f32_e32 v96, v96, v102
	s_andn2_b64 exec, exec, s[8:9]
	s_cbranch_execnz .LBB110_197
; %bb.198:
	s_or_b64 exec, exec, s[8:9]
	v_mov_b32_e32 v95, 0
	ds_read_b64 v[97:98], v95 offset:368
	s_waitcnt lgkmcnt(0)
	v_mul_f32_e32 v95, v96, v98
	v_mul_f32_e32 v98, v99, v98
	v_fma_f32 v95, v99, v97, -v95
	v_fmac_f32_e32 v98, v96, v97
	buffer_store_dword v95, off, s[0:3], 0 offset:368
	buffer_store_dword v98, off, s[0:3], 0 offset:372
.LBB110_199:
	s_or_b64 exec, exec, s[4:5]
	s_mov_b64 s[8:9], -1
	; wave barrier
.LBB110_200:
	s_and_b64 vcc, exec, s[8:9]
	s_cbranch_vccz .LBB110_202
; %bb.201:
	s_lshl_b64 s[4:5], s[6:7], 2
	s_add_u32 s4, s10, s4
	s_addc_u32 s5, s11, s5
	v_mov_b32_e32 v95, 0
	global_load_dword v95, v95, s[4:5]
	s_waitcnt vmcnt(0)
	v_cmp_ne_u32_e32 vcc, 0, v95
	s_cbranch_vccz .LBB110_203
.LBB110_202:
	s_endpgm
.LBB110_203:
	v_mov_b32_e32 v95, 0x180
	v_lshl_add_u32 v95, v0, 3, v95
	v_cmp_eq_u32_e32 vcc, 46, v0
	s_and_saveexec_b64 s[4:5], vcc
	s_cbranch_execz .LBB110_205
; %bb.204:
	buffer_load_dword v96, off, s[0:3], 0 offset:360
	buffer_load_dword v97, off, s[0:3], 0 offset:364
	v_mov_b32_e32 v98, 0
	buffer_store_dword v98, off, s[0:3], 0 offset:360
	buffer_store_dword v98, off, s[0:3], 0 offset:364
	s_waitcnt vmcnt(2)
	ds_write_b64 v95, v[96:97]
.LBB110_205:
	s_or_b64 exec, exec, s[4:5]
	s_waitcnt lgkmcnt(0)
	; wave barrier
	buffer_load_dword v99, off, s[0:3], 0 offset:372
	buffer_load_dword v100, off, s[0:3], 0 offset:368
	;; [unrolled: 1-line block ×4, first 2 shown]
	v_mov_b32_e32 v96, 0
	ds_read_b64 v[97:98], v96 offset:752
	v_cmp_lt_u32_e32 vcc, 44, v0
	s_waitcnt vmcnt(3) lgkmcnt(0)
	v_mul_f32_e32 v103, v97, v99
	v_mul_f32_e32 v99, v98, v99
	s_waitcnt vmcnt(2)
	v_fma_f32 v97, v97, v100, -v99
	v_fmac_f32_e32 v103, v98, v100
	v_add_f32_e32 v97, 0, v97
	v_add_f32_e32 v98, 0, v103
	s_waitcnt vmcnt(1)
	v_sub_f32_e32 v97, v101, v97
	s_waitcnt vmcnt(0)
	v_sub_f32_e32 v98, v102, v98
	buffer_store_dword v97, off, s[0:3], 0 offset:360
	buffer_store_dword v98, off, s[0:3], 0 offset:364
	s_and_saveexec_b64 s[4:5], vcc
	s_cbranch_execz .LBB110_207
; %bb.206:
	buffer_load_dword v97, off, s[0:3], 0 offset:352
	buffer_load_dword v98, off, s[0:3], 0 offset:356
	s_waitcnt vmcnt(0)
	ds_write_b64 v95, v[97:98]
	buffer_store_dword v96, off, s[0:3], 0 offset:352
	buffer_store_dword v96, off, s[0:3], 0 offset:356
.LBB110_207:
	s_or_b64 exec, exec, s[4:5]
	s_waitcnt lgkmcnt(0)
	; wave barrier
	buffer_load_dword v100, off, s[0:3], 0 offset:364
	buffer_load_dword v101, off, s[0:3], 0 offset:372
	;; [unrolled: 1-line block ×6, first 2 shown]
	ds_read2_b64 v[96:99], v96 offset0:93 offset1:94
	v_cmp_lt_u32_e32 vcc, 43, v0
	s_waitcnt vmcnt(5) lgkmcnt(0)
	v_mul_f32_e32 v106, v96, v100
	v_mul_f32_e32 v100, v97, v100
	s_waitcnt vmcnt(4)
	v_mul_f32_e32 v107, v98, v101
	v_mul_f32_e32 v101, v99, v101
	s_waitcnt vmcnt(3)
	v_fma_f32 v96, v96, v102, -v100
	v_fmac_f32_e32 v106, v97, v102
	s_waitcnt vmcnt(2)
	v_fma_f32 v97, v98, v103, -v101
	v_add_f32_e32 v96, 0, v96
	v_fmac_f32_e32 v107, v99, v103
	v_add_f32_e32 v98, 0, v106
	v_add_f32_e32 v96, v96, v97
	v_add_f32_e32 v98, v98, v107
	s_waitcnt vmcnt(1)
	v_sub_f32_e32 v96, v104, v96
	s_waitcnt vmcnt(0)
	v_sub_f32_e32 v97, v105, v98
	buffer_store_dword v96, off, s[0:3], 0 offset:352
	buffer_store_dword v97, off, s[0:3], 0 offset:356
	s_and_saveexec_b64 s[4:5], vcc
	s_cbranch_execz .LBB110_209
; %bb.208:
	buffer_load_dword v96, off, s[0:3], 0 offset:344
	buffer_load_dword v97, off, s[0:3], 0 offset:348
	v_mov_b32_e32 v98, 0
	buffer_store_dword v98, off, s[0:3], 0 offset:344
	buffer_store_dword v98, off, s[0:3], 0 offset:348
	s_waitcnt vmcnt(2)
	ds_write_b64 v95, v[96:97]
.LBB110_209:
	s_or_b64 exec, exec, s[4:5]
	s_waitcnt lgkmcnt(0)
	; wave barrier
	buffer_load_dword v103, off, s[0:3], 0 offset:356
	buffer_load_dword v104, off, s[0:3], 0 offset:364
	buffer_load_dword v105, off, s[0:3], 0 offset:372
	buffer_load_dword v106, off, s[0:3], 0 offset:352
	buffer_load_dword v107, off, s[0:3], 0 offset:360
	buffer_load_dword v108, off, s[0:3], 0 offset:368
	buffer_load_dword v109, off, s[0:3], 0 offset:344
	buffer_load_dword v110, off, s[0:3], 0 offset:348
	v_mov_b32_e32 v96, 0
	ds_read_b128 v[97:100], v96 offset:736
	ds_read_b64 v[101:102], v96 offset:752
	v_cmp_lt_u32_e32 vcc, 42, v0
	s_waitcnt vmcnt(7) lgkmcnt(1)
	v_mul_f32_e32 v111, v97, v103
	v_mul_f32_e32 v103, v98, v103
	s_waitcnt vmcnt(6)
	v_mul_f32_e32 v112, v99, v104
	v_mul_f32_e32 v104, v100, v104
	s_waitcnt vmcnt(4)
	v_fma_f32 v97, v97, v106, -v103
	s_waitcnt lgkmcnt(0)
	v_mul_f32_e32 v113, v101, v105
	v_mul_f32_e32 v105, v102, v105
	v_fmac_f32_e32 v111, v98, v106
	s_waitcnt vmcnt(3)
	v_fma_f32 v98, v99, v107, -v104
	v_add_f32_e32 v97, 0, v97
	v_fmac_f32_e32 v112, v100, v107
	s_waitcnt vmcnt(2)
	v_fma_f32 v99, v101, v108, -v105
	v_add_f32_e32 v100, 0, v111
	v_add_f32_e32 v97, v97, v98
	v_fmac_f32_e32 v113, v102, v108
	v_add_f32_e32 v100, v100, v112
	v_add_f32_e32 v97, v97, v99
	;; [unrolled: 1-line block ×3, first 2 shown]
	s_waitcnt vmcnt(1)
	v_sub_f32_e32 v97, v109, v97
	s_waitcnt vmcnt(0)
	v_sub_f32_e32 v98, v110, v98
	buffer_store_dword v97, off, s[0:3], 0 offset:344
	buffer_store_dword v98, off, s[0:3], 0 offset:348
	s_and_saveexec_b64 s[4:5], vcc
	s_cbranch_execz .LBB110_211
; %bb.210:
	buffer_load_dword v97, off, s[0:3], 0 offset:336
	buffer_load_dword v98, off, s[0:3], 0 offset:340
	s_waitcnt vmcnt(0)
	ds_write_b64 v95, v[97:98]
	buffer_store_dword v96, off, s[0:3], 0 offset:336
	buffer_store_dword v96, off, s[0:3], 0 offset:340
.LBB110_211:
	s_or_b64 exec, exec, s[4:5]
	s_waitcnt lgkmcnt(0)
	; wave barrier
	buffer_load_dword v105, off, s[0:3], 0 offset:348
	buffer_load_dword v106, off, s[0:3], 0 offset:356
	;; [unrolled: 1-line block ×10, first 2 shown]
	ds_read2_b64 v[97:100], v96 offset0:91 offset1:92
	ds_read2_b64 v[101:104], v96 offset0:93 offset1:94
	v_cmp_lt_u32_e32 vcc, 41, v0
	s_waitcnt vmcnt(9) lgkmcnt(1)
	v_mul_f32_e32 v96, v97, v105
	v_mul_f32_e32 v105, v98, v105
	s_waitcnt vmcnt(8)
	v_mul_f32_e32 v115, v99, v106
	v_mul_f32_e32 v106, v100, v106
	s_waitcnt vmcnt(5)
	v_fma_f32 v97, v97, v109, -v105
	s_waitcnt lgkmcnt(0)
	v_mul_f32_e32 v116, v101, v107
	v_mul_f32_e32 v107, v102, v107
	v_fmac_f32_e32 v96, v98, v109
	s_waitcnt vmcnt(4)
	v_fma_f32 v98, v99, v110, -v106
	v_add_f32_e32 v97, 0, v97
	v_mul_f32_e32 v117, v103, v108
	v_mul_f32_e32 v108, v104, v108
	v_fmac_f32_e32 v115, v100, v110
	s_waitcnt vmcnt(3)
	v_fma_f32 v99, v101, v111, -v107
	v_add_f32_e32 v96, 0, v96
	v_add_f32_e32 v97, v97, v98
	v_fmac_f32_e32 v116, v102, v111
	s_waitcnt vmcnt(2)
	v_fma_f32 v100, v103, v112, -v108
	v_add_f32_e32 v96, v96, v115
	v_add_f32_e32 v97, v97, v99
	v_fmac_f32_e32 v117, v104, v112
	v_add_f32_e32 v96, v96, v116
	v_add_f32_e32 v97, v97, v100
	;; [unrolled: 1-line block ×3, first 2 shown]
	s_waitcnt vmcnt(1)
	v_sub_f32_e32 v97, v113, v97
	s_waitcnt vmcnt(0)
	v_sub_f32_e32 v96, v114, v96
	buffer_store_dword v97, off, s[0:3], 0 offset:336
	buffer_store_dword v96, off, s[0:3], 0 offset:340
	s_and_saveexec_b64 s[4:5], vcc
	s_cbranch_execz .LBB110_213
; %bb.212:
	buffer_load_dword v96, off, s[0:3], 0 offset:328
	buffer_load_dword v97, off, s[0:3], 0 offset:332
	v_mov_b32_e32 v98, 0
	buffer_store_dword v98, off, s[0:3], 0 offset:328
	buffer_store_dword v98, off, s[0:3], 0 offset:332
	s_waitcnt vmcnt(2)
	ds_write_b64 v95, v[96:97]
.LBB110_213:
	s_or_b64 exec, exec, s[4:5]
	s_waitcnt lgkmcnt(0)
	; wave barrier
	buffer_load_dword v107, off, s[0:3], 0 offset:340
	buffer_load_dword v108, off, s[0:3], 0 offset:348
	buffer_load_dword v109, off, s[0:3], 0 offset:356
	buffer_load_dword v110, off, s[0:3], 0 offset:364
	buffer_load_dword v111, off, s[0:3], 0 offset:372
	buffer_load_dword v112, off, s[0:3], 0 offset:336
	buffer_load_dword v113, off, s[0:3], 0 offset:344
	buffer_load_dword v114, off, s[0:3], 0 offset:352
	buffer_load_dword v115, off, s[0:3], 0 offset:360
	buffer_load_dword v116, off, s[0:3], 0 offset:368
	buffer_load_dword v117, off, s[0:3], 0 offset:328
	buffer_load_dword v118, off, s[0:3], 0 offset:332
	v_mov_b32_e32 v96, 0
	ds_read_b128 v[97:100], v96 offset:720
	ds_read_b128 v[101:104], v96 offset:736
	ds_read_b64 v[105:106], v96 offset:752
	v_cmp_lt_u32_e32 vcc, 40, v0
	s_waitcnt vmcnt(11) lgkmcnt(2)
	v_mul_f32_e32 v119, v97, v107
	v_mul_f32_e32 v107, v98, v107
	s_waitcnt vmcnt(10)
	v_mul_f32_e32 v120, v99, v108
	v_mul_f32_e32 v108, v100, v108
	s_waitcnt vmcnt(9) lgkmcnt(1)
	v_mul_f32_e32 v121, v101, v109
	s_waitcnt vmcnt(6)
	v_fma_f32 v97, v97, v112, -v107
	v_mul_f32_e32 v109, v102, v109
	v_fmac_f32_e32 v119, v98, v112
	s_waitcnt vmcnt(5)
	v_fma_f32 v98, v99, v113, -v108
	v_add_f32_e32 v97, 0, v97
	v_mul_f32_e32 v122, v103, v110
	v_mul_f32_e32 v110, v104, v110
	v_fmac_f32_e32 v120, v100, v113
	s_waitcnt vmcnt(4)
	v_fmac_f32_e32 v121, v102, v114
	v_fma_f32 v99, v101, v114, -v109
	v_add_f32_e32 v102, 0, v119
	v_add_f32_e32 v97, v97, v98
	s_waitcnt lgkmcnt(0)
	v_mul_f32_e32 v123, v105, v111
	v_mul_f32_e32 v111, v106, v111
	s_waitcnt vmcnt(3)
	v_fma_f32 v100, v103, v115, -v110
	v_add_f32_e32 v102, v102, v120
	v_add_f32_e32 v97, v97, v99
	v_fmac_f32_e32 v122, v104, v115
	s_waitcnt vmcnt(2)
	v_fma_f32 v101, v105, v116, -v111
	v_add_f32_e32 v98, v102, v121
	v_add_f32_e32 v97, v97, v100
	v_fmac_f32_e32 v123, v106, v116
	v_add_f32_e32 v98, v98, v122
	v_add_f32_e32 v97, v97, v101
	;; [unrolled: 1-line block ×3, first 2 shown]
	s_waitcnt vmcnt(1)
	v_sub_f32_e32 v97, v117, v97
	s_waitcnt vmcnt(0)
	v_sub_f32_e32 v98, v118, v98
	buffer_store_dword v97, off, s[0:3], 0 offset:328
	buffer_store_dword v98, off, s[0:3], 0 offset:332
	s_and_saveexec_b64 s[4:5], vcc
	s_cbranch_execz .LBB110_215
; %bb.214:
	buffer_load_dword v97, off, s[0:3], 0 offset:320
	buffer_load_dword v98, off, s[0:3], 0 offset:324
	s_waitcnt vmcnt(0)
	ds_write_b64 v95, v[97:98]
	buffer_store_dword v96, off, s[0:3], 0 offset:320
	buffer_store_dword v96, off, s[0:3], 0 offset:324
.LBB110_215:
	s_or_b64 exec, exec, s[4:5]
	s_waitcnt lgkmcnt(0)
	; wave barrier
	ds_read2_b64 v[97:100], v96 offset0:89 offset1:90
	buffer_load_dword v109, off, s[0:3], 0 offset:320
	buffer_load_dword v110, off, s[0:3], 0 offset:324
	;; [unrolled: 1-line block ×14, first 2 shown]
	v_cmp_lt_u32_e32 vcc, 39, v0
	s_waitcnt vmcnt(10) lgkmcnt(0)
	v_mul_f32_e32 v101, v97, v112
	v_fmac_f32_e32 v101, v98, v111
	s_waitcnt vmcnt(8)
	v_mul_f32_e32 v102, v99, v114
	v_add_f32_e32 v101, 0, v101
	v_fmac_f32_e32 v102, v100, v113
	v_add_f32_e32 v105, v101, v102
	ds_read2_b64 v[101:104], v96 offset0:91 offset1:92
	v_mul_f32_e32 v98, v98, v112
	v_fma_f32 v97, v97, v111, -v98
	v_mul_f32_e32 v98, v100, v114
	v_add_f32_e32 v97, 0, v97
	s_waitcnt vmcnt(6) lgkmcnt(0)
	v_mul_f32_e32 v106, v101, v116
	v_fmac_f32_e32 v106, v102, v115
	v_add_f32_e32 v105, v105, v106
	s_waitcnt vmcnt(4)
	v_mul_f32_e32 v106, v103, v118
	v_fmac_f32_e32 v106, v104, v117
	v_add_f32_e32 v123, v105, v106
	ds_read2_b64 v[105:108], v96 offset0:93 offset1:94
	v_fma_f32 v98, v99, v113, -v98
	v_add_f32_e32 v97, v97, v98
	v_mul_f32_e32 v98, v102, v116
	v_fma_f32 v98, v101, v115, -v98
	v_add_f32_e32 v97, v97, v98
	v_mul_f32_e32 v98, v104, v118
	v_fma_f32 v98, v103, v117, -v98
	v_add_f32_e32 v97, v97, v98
	s_waitcnt vmcnt(2) lgkmcnt(0)
	v_mul_f32_e32 v98, v106, v120
	v_mul_f32_e32 v96, v105, v120
	v_fma_f32 v98, v105, v119, -v98
	v_fmac_f32_e32 v96, v106, v119
	v_add_f32_e32 v97, v97, v98
	s_waitcnt vmcnt(0)
	v_mul_f32_e32 v98, v108, v122
	v_add_f32_e32 v96, v123, v96
	v_mul_f32_e32 v123, v107, v122
	v_fma_f32 v98, v107, v121, -v98
	v_fmac_f32_e32 v123, v108, v121
	v_add_f32_e32 v97, v97, v98
	v_add_f32_e32 v96, v96, v123
	v_sub_f32_e32 v97, v109, v97
	v_sub_f32_e32 v96, v110, v96
	buffer_store_dword v97, off, s[0:3], 0 offset:320
	buffer_store_dword v96, off, s[0:3], 0 offset:324
	s_and_saveexec_b64 s[4:5], vcc
	s_cbranch_execz .LBB110_217
; %bb.216:
	buffer_load_dword v96, off, s[0:3], 0 offset:312
	buffer_load_dword v97, off, s[0:3], 0 offset:316
	v_mov_b32_e32 v98, 0
	buffer_store_dword v98, off, s[0:3], 0 offset:312
	buffer_store_dword v98, off, s[0:3], 0 offset:316
	s_waitcnt vmcnt(2)
	ds_write_b64 v95, v[96:97]
.LBB110_217:
	s_or_b64 exec, exec, s[4:5]
	s_waitcnt lgkmcnt(0)
	; wave barrier
	buffer_load_dword v111, off, s[0:3], 0 offset:324
	buffer_load_dword v112, off, s[0:3], 0 offset:332
	;; [unrolled: 1-line block ×16, first 2 shown]
	v_mov_b32_e32 v96, 0
	ds_read_b128 v[97:100], v96 offset:704
	ds_read_b128 v[101:104], v96 offset:720
	ds_read_b128 v[105:108], v96 offset:736
	ds_read_b64 v[109:110], v96 offset:752
	v_cmp_lt_u32_e32 vcc, 38, v0
	s_waitcnt vmcnt(15) lgkmcnt(3)
	v_mul_f32_e32 v127, v97, v111
	v_mul_f32_e32 v111, v98, v111
	s_waitcnt vmcnt(14)
	v_mul_f32_e32 v128, v99, v112
	v_mul_f32_e32 v112, v100, v112
	s_waitcnt vmcnt(13) lgkmcnt(2)
	v_mul_f32_e32 v129, v101, v113
	s_waitcnt vmcnt(12)
	v_mul_f32_e32 v130, v103, v114
	v_mul_f32_e32 v113, v102, v113
	s_waitcnt vmcnt(8)
	v_fma_f32 v97, v97, v118, -v111
	v_fmac_f32_e32 v127, v98, v118
	s_waitcnt vmcnt(7)
	v_fma_f32 v98, v99, v119, -v112
	v_add_f32_e32 v97, 0, v97
	v_mul_f32_e32 v114, v104, v114
	v_fmac_f32_e32 v128, v100, v119
	s_waitcnt vmcnt(5)
	v_fmac_f32_e32 v130, v104, v121
	v_fma_f32 v99, v101, v120, -v113
	v_add_f32_e32 v104, 0, v127
	v_add_f32_e32 v97, v97, v98
	s_waitcnt lgkmcnt(1)
	v_mul_f32_e32 v131, v105, v115
	v_mul_f32_e32 v115, v106, v115
	v_fmac_f32_e32 v129, v102, v120
	v_fma_f32 v100, v103, v121, -v114
	v_add_f32_e32 v104, v104, v128
	v_add_f32_e32 v97, v97, v99
	v_mul_f32_e32 v132, v107, v116
	v_mul_f32_e32 v116, v108, v116
	s_waitcnt vmcnt(4)
	v_fma_f32 v101, v105, v122, -v115
	v_add_f32_e32 v98, v104, v129
	v_add_f32_e32 v97, v97, v100
	s_waitcnt lgkmcnt(0)
	v_mul_f32_e32 v133, v109, v117
	v_mul_f32_e32 v117, v110, v117
	v_fmac_f32_e32 v131, v106, v122
	s_waitcnt vmcnt(3)
	v_fma_f32 v102, v107, v123, -v116
	v_add_f32_e32 v98, v98, v130
	v_add_f32_e32 v97, v97, v101
	v_fmac_f32_e32 v132, v108, v123
	s_waitcnt vmcnt(2)
	v_fma_f32 v103, v109, v124, -v117
	v_add_f32_e32 v98, v98, v131
	v_add_f32_e32 v97, v97, v102
	v_fmac_f32_e32 v133, v110, v124
	v_add_f32_e32 v98, v98, v132
	v_add_f32_e32 v97, v97, v103
	;; [unrolled: 1-line block ×3, first 2 shown]
	s_waitcnt vmcnt(1)
	v_sub_f32_e32 v97, v125, v97
	s_waitcnt vmcnt(0)
	v_sub_f32_e32 v98, v126, v98
	buffer_store_dword v97, off, s[0:3], 0 offset:312
	buffer_store_dword v98, off, s[0:3], 0 offset:316
	s_and_saveexec_b64 s[4:5], vcc
	s_cbranch_execz .LBB110_219
; %bb.218:
	buffer_load_dword v97, off, s[0:3], 0 offset:304
	buffer_load_dword v98, off, s[0:3], 0 offset:308
	s_waitcnt vmcnt(0)
	ds_write_b64 v95, v[97:98]
	buffer_store_dword v96, off, s[0:3], 0 offset:304
	buffer_store_dword v96, off, s[0:3], 0 offset:308
.LBB110_219:
	s_or_b64 exec, exec, s[4:5]
	s_waitcnt lgkmcnt(0)
	; wave barrier
	buffer_load_dword v113, off, s[0:3], 0 offset:316
	buffer_load_dword v114, off, s[0:3], 0 offset:324
	;; [unrolled: 1-line block ×18, first 2 shown]
	ds_read2_b64 v[97:100], v96 offset0:87 offset1:88
	ds_read2_b64 v[101:104], v96 offset0:89 offset1:90
	;; [unrolled: 1-line block ×4, first 2 shown]
	v_cmp_lt_u32_e32 vcc, 37, v0
	s_waitcnt vmcnt(17) lgkmcnt(3)
	v_mul_f32_e32 v96, v97, v113
	v_mul_f32_e32 v113, v98, v113
	s_waitcnt vmcnt(16)
	v_mul_f32_e32 v131, v99, v114
	v_mul_f32_e32 v114, v100, v114
	s_waitcnt vmcnt(15) lgkmcnt(2)
	v_mul_f32_e32 v132, v101, v115
	v_mul_f32_e32 v115, v102, v115
	s_waitcnt vmcnt(14)
	v_mul_f32_e32 v133, v103, v116
	v_mul_f32_e32 v116, v104, v116
	s_waitcnt vmcnt(9)
	v_fma_f32 v97, v97, v121, -v113
	v_fmac_f32_e32 v96, v98, v121
	s_waitcnt vmcnt(8)
	v_fma_f32 v98, v99, v122, -v114
	v_add_f32_e32 v97, 0, v97
	v_fmac_f32_e32 v131, v100, v122
	s_waitcnt vmcnt(7)
	v_fma_f32 v99, v101, v123, -v115
	v_add_f32_e32 v96, 0, v96
	v_add_f32_e32 v97, v97, v98
	s_waitcnt lgkmcnt(1)
	v_mul_f32_e32 v134, v105, v117
	v_mul_f32_e32 v117, v106, v117
	v_fmac_f32_e32 v132, v102, v123
	s_waitcnt vmcnt(6)
	v_fma_f32 v100, v103, v124, -v116
	v_add_f32_e32 v96, v96, v131
	v_add_f32_e32 v97, v97, v99
	v_mul_f32_e32 v135, v107, v118
	v_mul_f32_e32 v118, v108, v118
	v_fmac_f32_e32 v133, v104, v124
	s_waitcnt vmcnt(5)
	v_fma_f32 v101, v105, v125, -v117
	v_add_f32_e32 v96, v96, v132
	v_add_f32_e32 v97, v97, v100
	s_waitcnt lgkmcnt(0)
	v_mul_f32_e32 v136, v109, v119
	v_mul_f32_e32 v119, v110, v119
	v_fmac_f32_e32 v134, v106, v125
	s_waitcnt vmcnt(4)
	v_fma_f32 v102, v107, v126, -v118
	v_add_f32_e32 v96, v96, v133
	v_add_f32_e32 v97, v97, v101
	v_mul_f32_e32 v137, v111, v120
	v_mul_f32_e32 v120, v112, v120
	v_fmac_f32_e32 v135, v108, v126
	s_waitcnt vmcnt(3)
	v_fma_f32 v103, v109, v127, -v119
	v_add_f32_e32 v96, v96, v134
	v_add_f32_e32 v97, v97, v102
	v_fmac_f32_e32 v136, v110, v127
	s_waitcnt vmcnt(2)
	v_fma_f32 v104, v111, v128, -v120
	v_add_f32_e32 v96, v96, v135
	v_add_f32_e32 v97, v97, v103
	v_fmac_f32_e32 v137, v112, v128
	v_add_f32_e32 v96, v96, v136
	v_add_f32_e32 v97, v97, v104
	v_add_f32_e32 v96, v96, v137
	s_waitcnt vmcnt(1)
	v_sub_f32_e32 v97, v129, v97
	s_waitcnt vmcnt(0)
	v_sub_f32_e32 v96, v130, v96
	buffer_store_dword v97, off, s[0:3], 0 offset:304
	buffer_store_dword v96, off, s[0:3], 0 offset:308
	s_and_saveexec_b64 s[4:5], vcc
	s_cbranch_execz .LBB110_221
; %bb.220:
	buffer_load_dword v96, off, s[0:3], 0 offset:296
	buffer_load_dword v97, off, s[0:3], 0 offset:300
	v_mov_b32_e32 v98, 0
	buffer_store_dword v98, off, s[0:3], 0 offset:296
	buffer_store_dword v98, off, s[0:3], 0 offset:300
	s_waitcnt vmcnt(2)
	ds_write_b64 v95, v[96:97]
.LBB110_221:
	s_or_b64 exec, exec, s[4:5]
	s_waitcnt lgkmcnt(0)
	; wave barrier
	buffer_load_dword v115, off, s[0:3], 0 offset:308
	buffer_load_dword v116, off, s[0:3], 0 offset:316
	;; [unrolled: 1-line block ×20, first 2 shown]
	v_mov_b32_e32 v96, 0
	ds_read_b128 v[97:100], v96 offset:688
	ds_read_b128 v[101:104], v96 offset:704
	;; [unrolled: 1-line block ×4, first 2 shown]
	ds_read_b64 v[113:114], v96 offset:752
	v_cmp_lt_u32_e32 vcc, 36, v0
	s_waitcnt vmcnt(19) lgkmcnt(4)
	v_mul_f32_e32 v135, v97, v115
	v_mul_f32_e32 v115, v98, v115
	s_waitcnt vmcnt(18)
	v_mul_f32_e32 v136, v99, v116
	v_mul_f32_e32 v116, v100, v116
	s_waitcnt vmcnt(17) lgkmcnt(3)
	v_mul_f32_e32 v137, v101, v117
	s_waitcnt vmcnt(15) lgkmcnt(2)
	v_mul_f32_e32 v139, v105, v119
	v_mul_f32_e32 v117, v102, v117
	;; [unrolled: 1-line block ×4, first 2 shown]
	s_waitcnt vmcnt(10)
	v_fma_f32 v97, v97, v124, -v115
	v_fmac_f32_e32 v135, v98, v124
	s_waitcnt vmcnt(9)
	v_fma_f32 v98, v99, v125, -v116
	v_add_f32_e32 v97, 0, v97
	v_mul_f32_e32 v119, v106, v119
	v_fmac_f32_e32 v136, v100, v125
	s_waitcnt vmcnt(6)
	v_fmac_f32_e32 v139, v106, v128
	v_fma_f32 v99, v101, v126, -v117
	v_add_f32_e32 v106, 0, v135
	v_add_f32_e32 v97, v97, v98
	v_fmac_f32_e32 v137, v102, v126
	v_fma_f32 v100, v103, v127, -v118
	v_add_f32_e32 v106, v106, v136
	v_add_f32_e32 v97, v97, v99
	v_mul_f32_e32 v140, v107, v120
	v_mul_f32_e32 v120, v108, v120
	v_fmac_f32_e32 v138, v104, v127
	v_fma_f32 v101, v105, v128, -v119
	v_add_f32_e32 v98, v106, v137
	v_add_f32_e32 v97, v97, v100
	s_waitcnt lgkmcnt(1)
	v_mul_f32_e32 v141, v109, v121
	v_mul_f32_e32 v121, v110, v121
	s_waitcnt vmcnt(5)
	v_fma_f32 v102, v107, v129, -v120
	v_add_f32_e32 v98, v98, v138
	v_add_f32_e32 v97, v97, v101
	v_mul_f32_e32 v142, v111, v122
	v_mul_f32_e32 v122, v112, v122
	v_fmac_f32_e32 v140, v108, v129
	s_waitcnt vmcnt(4)
	v_fma_f32 v103, v109, v130, -v121
	v_add_f32_e32 v98, v98, v139
	v_add_f32_e32 v97, v97, v102
	s_waitcnt lgkmcnt(0)
	v_mul_f32_e32 v143, v113, v123
	v_mul_f32_e32 v123, v114, v123
	v_fmac_f32_e32 v141, v110, v130
	s_waitcnt vmcnt(3)
	v_fma_f32 v104, v111, v131, -v122
	v_add_f32_e32 v98, v98, v140
	v_add_f32_e32 v97, v97, v103
	v_fmac_f32_e32 v142, v112, v131
	s_waitcnt vmcnt(2)
	v_fma_f32 v105, v113, v132, -v123
	v_add_f32_e32 v98, v98, v141
	v_add_f32_e32 v97, v97, v104
	v_fmac_f32_e32 v143, v114, v132
	v_add_f32_e32 v98, v98, v142
	v_add_f32_e32 v97, v97, v105
	;; [unrolled: 1-line block ×3, first 2 shown]
	s_waitcnt vmcnt(1)
	v_sub_f32_e32 v97, v133, v97
	s_waitcnt vmcnt(0)
	v_sub_f32_e32 v98, v134, v98
	buffer_store_dword v97, off, s[0:3], 0 offset:296
	buffer_store_dword v98, off, s[0:3], 0 offset:300
	s_and_saveexec_b64 s[4:5], vcc
	s_cbranch_execz .LBB110_223
; %bb.222:
	buffer_load_dword v97, off, s[0:3], 0 offset:288
	buffer_load_dword v98, off, s[0:3], 0 offset:292
	s_waitcnt vmcnt(0)
	ds_write_b64 v95, v[97:98]
	buffer_store_dword v96, off, s[0:3], 0 offset:288
	buffer_store_dword v96, off, s[0:3], 0 offset:292
.LBB110_223:
	s_or_b64 exec, exec, s[4:5]
	s_waitcnt lgkmcnt(0)
	; wave barrier
	buffer_load_dword v117, off, s[0:3], 0 offset:300
	buffer_load_dword v118, off, s[0:3], 0 offset:308
	;; [unrolled: 1-line block ×22, first 2 shown]
	ds_read2_b64 v[97:100], v96 offset0:85 offset1:86
	ds_read2_b64 v[101:104], v96 offset0:87 offset1:88
	;; [unrolled: 1-line block ×5, first 2 shown]
	v_cmp_lt_u32_e32 vcc, 35, v0
	s_waitcnt vmcnt(21) lgkmcnt(4)
	v_mul_f32_e32 v96, v97, v117
	v_mul_f32_e32 v117, v98, v117
	s_waitcnt vmcnt(20)
	v_mul_f32_e32 v139, v99, v118
	v_mul_f32_e32 v118, v100, v118
	s_waitcnt vmcnt(19) lgkmcnt(3)
	v_mul_f32_e32 v140, v101, v119
	v_mul_f32_e32 v119, v102, v119
	s_waitcnt vmcnt(18)
	v_mul_f32_e32 v141, v103, v120
	v_mul_f32_e32 v120, v104, v120
	s_waitcnt vmcnt(17) lgkmcnt(2)
	v_mul_f32_e32 v142, v105, v121
	v_mul_f32_e32 v121, v106, v121
	s_waitcnt vmcnt(11)
	v_fma_f32 v97, v97, v127, -v117
	v_fmac_f32_e32 v96, v98, v127
	s_waitcnt vmcnt(10)
	v_fma_f32 v98, v99, v128, -v118
	v_add_f32_e32 v97, 0, v97
	v_fmac_f32_e32 v139, v100, v128
	s_waitcnt vmcnt(9)
	v_fma_f32 v99, v101, v129, -v119
	v_add_f32_e32 v96, 0, v96
	v_add_f32_e32 v97, v97, v98
	v_fmac_f32_e32 v140, v102, v129
	s_waitcnt vmcnt(8)
	v_fma_f32 v100, v103, v130, -v120
	v_add_f32_e32 v96, v96, v139
	v_add_f32_e32 v97, v97, v99
	v_mul_f32_e32 v143, v107, v122
	v_mul_f32_e32 v122, v108, v122
	v_fmac_f32_e32 v141, v104, v130
	s_waitcnt vmcnt(7)
	v_fma_f32 v101, v105, v131, -v121
	v_add_f32_e32 v96, v96, v140
	v_add_f32_e32 v97, v97, v100
	s_waitcnt lgkmcnt(1)
	v_mul_f32_e32 v144, v109, v123
	v_mul_f32_e32 v123, v110, v123
	v_fmac_f32_e32 v142, v106, v131
	s_waitcnt vmcnt(6)
	v_fma_f32 v102, v107, v132, -v122
	v_add_f32_e32 v96, v96, v141
	v_add_f32_e32 v97, v97, v101
	v_mul_f32_e32 v145, v111, v124
	v_mul_f32_e32 v124, v112, v124
	v_fmac_f32_e32 v143, v108, v132
	s_waitcnt vmcnt(5)
	v_fma_f32 v103, v109, v133, -v123
	v_add_f32_e32 v96, v96, v142
	v_add_f32_e32 v97, v97, v102
	s_waitcnt lgkmcnt(0)
	v_mul_f32_e32 v146, v113, v125
	v_mul_f32_e32 v125, v114, v125
	v_fmac_f32_e32 v144, v110, v133
	s_waitcnt vmcnt(4)
	v_fma_f32 v104, v111, v134, -v124
	v_add_f32_e32 v96, v96, v143
	v_add_f32_e32 v97, v97, v103
	v_mul_f32_e32 v147, v115, v126
	v_mul_f32_e32 v126, v116, v126
	v_fmac_f32_e32 v145, v112, v134
	s_waitcnt vmcnt(3)
	v_fma_f32 v105, v113, v135, -v125
	v_add_f32_e32 v96, v96, v144
	v_add_f32_e32 v97, v97, v104
	v_fmac_f32_e32 v146, v114, v135
	s_waitcnt vmcnt(2)
	v_fma_f32 v106, v115, v136, -v126
	v_add_f32_e32 v96, v96, v145
	v_add_f32_e32 v97, v97, v105
	v_fmac_f32_e32 v147, v116, v136
	v_add_f32_e32 v96, v96, v146
	v_add_f32_e32 v97, v97, v106
	;; [unrolled: 1-line block ×3, first 2 shown]
	s_waitcnt vmcnt(1)
	v_sub_f32_e32 v97, v137, v97
	s_waitcnt vmcnt(0)
	v_sub_f32_e32 v96, v138, v96
	buffer_store_dword v97, off, s[0:3], 0 offset:288
	buffer_store_dword v96, off, s[0:3], 0 offset:292
	s_and_saveexec_b64 s[4:5], vcc
	s_cbranch_execz .LBB110_225
; %bb.224:
	buffer_load_dword v96, off, s[0:3], 0 offset:280
	buffer_load_dword v97, off, s[0:3], 0 offset:284
	v_mov_b32_e32 v98, 0
	buffer_store_dword v98, off, s[0:3], 0 offset:280
	buffer_store_dword v98, off, s[0:3], 0 offset:284
	s_waitcnt vmcnt(2)
	ds_write_b64 v95, v[96:97]
.LBB110_225:
	s_or_b64 exec, exec, s[4:5]
	s_waitcnt lgkmcnt(0)
	; wave barrier
	buffer_load_dword v119, off, s[0:3], 0 offset:292
	buffer_load_dword v120, off, s[0:3], 0 offset:300
	;; [unrolled: 1-line block ×24, first 2 shown]
	v_mov_b32_e32 v96, 0
	ds_read_b128 v[97:100], v96 offset:672
	ds_read_b128 v[101:104], v96 offset:688
	;; [unrolled: 1-line block ×5, first 2 shown]
	ds_read_b64 v[117:118], v96 offset:752
	v_cmp_lt_u32_e32 vcc, 34, v0
	s_waitcnt vmcnt(23) lgkmcnt(5)
	v_mul_f32_e32 v143, v97, v119
	v_mul_f32_e32 v119, v98, v119
	s_waitcnt vmcnt(22)
	v_mul_f32_e32 v144, v99, v120
	v_mul_f32_e32 v120, v100, v120
	s_waitcnt vmcnt(21) lgkmcnt(4)
	v_mul_f32_e32 v145, v101, v121
	v_mul_f32_e32 v121, v102, v121
	s_waitcnt vmcnt(20)
	v_mul_f32_e32 v146, v103, v122
	s_waitcnt vmcnt(19) lgkmcnt(3)
	v_mul_f32_e32 v147, v105, v123
	v_mul_f32_e32 v122, v104, v122
	;; [unrolled: 1-line block ×3, first 2 shown]
	s_waitcnt vmcnt(18)
	v_mul_f32_e32 v148, v107, v124
	s_waitcnt vmcnt(12)
	v_fma_f32 v97, v97, v130, -v119
	v_fmac_f32_e32 v143, v98, v130
	s_waitcnt vmcnt(11)
	v_fma_f32 v98, v99, v131, -v120
	v_add_f32_e32 v97, 0, v97
	s_waitcnt vmcnt(10)
	v_fma_f32 v99, v101, v132, -v121
	v_add_f32_e32 v97, v97, v98
	v_fmac_f32_e32 v144, v100, v131
	s_waitcnt vmcnt(8)
	v_fmac_f32_e32 v147, v106, v134
	v_fma_f32 v100, v103, v133, -v122
	v_add_f32_e32 v106, 0, v143
	v_add_f32_e32 v97, v97, v99
	v_mul_f32_e32 v124, v108, v124
	v_fmac_f32_e32 v145, v102, v132
	v_fma_f32 v101, v105, v134, -v123
	v_add_f32_e32 v106, v106, v144
	v_add_f32_e32 v97, v97, v100
	s_waitcnt lgkmcnt(2)
	v_mul_f32_e32 v149, v109, v125
	v_mul_f32_e32 v125, v110, v125
	v_fmac_f32_e32 v146, v104, v133
	s_waitcnt vmcnt(7)
	v_fma_f32 v102, v107, v135, -v124
	v_add_f32_e32 v98, v106, v145
	v_add_f32_e32 v97, v97, v101
	v_mul_f32_e32 v150, v111, v126
	v_mul_f32_e32 v126, v112, v126
	s_waitcnt vmcnt(6)
	v_fma_f32 v103, v109, v136, -v125
	v_add_f32_e32 v98, v98, v146
	v_add_f32_e32 v97, v97, v102
	s_waitcnt lgkmcnt(1)
	v_mul_f32_e32 v151, v113, v127
	v_mul_f32_e32 v127, v114, v127
	v_fmac_f32_e32 v148, v108, v135
	s_waitcnt vmcnt(5)
	v_fma_f32 v104, v111, v137, -v126
	v_add_f32_e32 v98, v98, v147
	v_add_f32_e32 v97, v97, v103
	v_fmac_f32_e32 v149, v110, v136
	s_waitcnt vmcnt(4)
	v_fma_f32 v105, v113, v138, -v127
	v_add_f32_e32 v98, v98, v148
	v_add_f32_e32 v97, v97, v104
	v_mul_f32_e32 v99, v116, v128
	v_fmac_f32_e32 v150, v112, v137
	v_add_f32_e32 v98, v98, v149
	v_add_f32_e32 v97, v97, v105
	s_waitcnt vmcnt(3)
	v_fma_f32 v99, v115, v139, -v99
	v_mul_f32_e32 v152, v115, v128
	v_fmac_f32_e32 v151, v114, v138
	v_add_f32_e32 v98, v98, v150
	v_add_f32_e32 v97, v97, v99
	s_waitcnt lgkmcnt(0)
	v_mul_f32_e32 v99, v118, v129
	v_mul_f32_e32 v153, v117, v129
	v_fmac_f32_e32 v152, v116, v139
	v_add_f32_e32 v98, v98, v151
	s_waitcnt vmcnt(2)
	v_fma_f32 v99, v117, v140, -v99
	v_fmac_f32_e32 v153, v118, v140
	v_add_f32_e32 v98, v98, v152
	v_add_f32_e32 v97, v97, v99
	;; [unrolled: 1-line block ×3, first 2 shown]
	s_waitcnt vmcnt(1)
	v_sub_f32_e32 v97, v141, v97
	s_waitcnt vmcnt(0)
	v_sub_f32_e32 v98, v142, v98
	buffer_store_dword v97, off, s[0:3], 0 offset:280
	buffer_store_dword v98, off, s[0:3], 0 offset:284
	s_and_saveexec_b64 s[4:5], vcc
	s_cbranch_execz .LBB110_227
; %bb.226:
	buffer_load_dword v97, off, s[0:3], 0 offset:272
	buffer_load_dword v98, off, s[0:3], 0 offset:276
	s_waitcnt vmcnt(0)
	ds_write_b64 v95, v[97:98]
	buffer_store_dword v96, off, s[0:3], 0 offset:272
	buffer_store_dword v96, off, s[0:3], 0 offset:276
.LBB110_227:
	s_or_b64 exec, exec, s[4:5]
	s_waitcnt lgkmcnt(0)
	; wave barrier
	buffer_load_dword v121, off, s[0:3], 0 offset:284
	buffer_load_dword v122, off, s[0:3], 0 offset:292
	;; [unrolled: 1-line block ×26, first 2 shown]
	ds_read2_b64 v[97:100], v96 offset0:83 offset1:84
	ds_read2_b64 v[101:104], v96 offset0:85 offset1:86
	;; [unrolled: 1-line block ×6, first 2 shown]
	v_cmp_lt_u32_e32 vcc, 33, v0
	s_waitcnt vmcnt(25) lgkmcnt(5)
	v_mul_f32_e32 v96, v97, v121
	v_mul_f32_e32 v121, v98, v121
	s_waitcnt vmcnt(24)
	v_mul_f32_e32 v147, v99, v122
	v_mul_f32_e32 v122, v100, v122
	s_waitcnt vmcnt(23) lgkmcnt(4)
	v_mul_f32_e32 v148, v101, v123
	v_mul_f32_e32 v123, v102, v123
	s_waitcnt vmcnt(22)
	v_mul_f32_e32 v149, v103, v124
	v_mul_f32_e32 v124, v104, v124
	;; [unrolled: 6-line block ×3, first 2 shown]
	s_waitcnt vmcnt(13)
	v_fma_f32 v97, v97, v133, -v121
	v_fmac_f32_e32 v96, v98, v133
	s_waitcnt vmcnt(12)
	v_fma_f32 v98, v99, v134, -v122
	v_add_f32_e32 v97, 0, v97
	s_waitcnt vmcnt(11)
	v_fma_f32 v99, v101, v135, -v123
	v_add_f32_e32 v97, v97, v98
	v_fmac_f32_e32 v147, v100, v134
	s_waitcnt vmcnt(10)
	v_fma_f32 v100, v103, v136, -v124
	v_add_f32_e32 v97, v97, v99
	s_waitcnt vmcnt(9)
	v_fma_f32 v101, v105, v137, -v125
	v_add_f32_e32 v97, v97, v100
	s_waitcnt lgkmcnt(2)
	v_mul_f32_e32 v152, v109, v127
	v_mul_f32_e32 v127, v110, v127
	v_fmac_f32_e32 v148, v102, v135
	s_waitcnt vmcnt(8)
	v_fma_f32 v102, v107, v138, -v126
	v_add_f32_e32 v96, 0, v96
	v_add_f32_e32 v97, v97, v101
	v_mul_f32_e32 v153, v111, v128
	v_mul_f32_e32 v128, v112, v128
	s_waitcnt vmcnt(7)
	v_fma_f32 v103, v109, v139, -v127
	v_add_f32_e32 v96, v96, v147
	v_add_f32_e32 v97, v97, v102
	v_fmac_f32_e32 v149, v104, v136
	s_waitcnt vmcnt(6)
	v_fma_f32 v104, v111, v140, -v128
	v_add_f32_e32 v96, v96, v148
	v_add_f32_e32 v97, v97, v103
	s_waitcnt lgkmcnt(1)
	v_mul_f32_e32 v98, v114, v129
	v_fmac_f32_e32 v150, v106, v137
	v_add_f32_e32 v96, v96, v149
	v_add_f32_e32 v97, v97, v104
	s_waitcnt vmcnt(5)
	v_fma_f32 v98, v113, v141, -v98
	v_fmac_f32_e32 v151, v108, v138
	v_add_f32_e32 v96, v96, v150
	v_add_f32_e32 v97, v97, v98
	v_mul_f32_e32 v98, v116, v130
	v_fmac_f32_e32 v152, v110, v139
	v_add_f32_e32 v96, v96, v151
	s_waitcnt vmcnt(4)
	v_fma_f32 v98, v115, v142, -v98
	v_mul_f32_e32 v154, v113, v129
	v_fmac_f32_e32 v153, v112, v140
	v_add_f32_e32 v96, v96, v152
	v_add_f32_e32 v97, v97, v98
	s_waitcnt lgkmcnt(0)
	v_mul_f32_e32 v98, v118, v131
	v_mul_f32_e32 v155, v115, v130
	v_fmac_f32_e32 v154, v114, v141
	v_add_f32_e32 v96, v96, v153
	s_waitcnt vmcnt(3)
	v_fma_f32 v98, v117, v143, -v98
	v_mul_f32_e32 v156, v117, v131
	v_fmac_f32_e32 v155, v116, v142
	v_add_f32_e32 v96, v96, v154
	v_add_f32_e32 v97, v97, v98
	v_mul_f32_e32 v98, v120, v132
	v_mul_f32_e32 v157, v119, v132
	v_fmac_f32_e32 v156, v118, v143
	v_add_f32_e32 v96, v96, v155
	s_waitcnt vmcnt(2)
	v_fma_f32 v98, v119, v144, -v98
	v_fmac_f32_e32 v157, v120, v144
	v_add_f32_e32 v96, v96, v156
	v_add_f32_e32 v97, v97, v98
	;; [unrolled: 1-line block ×3, first 2 shown]
	s_waitcnt vmcnt(1)
	v_sub_f32_e32 v97, v145, v97
	s_waitcnt vmcnt(0)
	v_sub_f32_e32 v96, v146, v96
	buffer_store_dword v97, off, s[0:3], 0 offset:272
	buffer_store_dword v96, off, s[0:3], 0 offset:276
	s_and_saveexec_b64 s[4:5], vcc
	s_cbranch_execz .LBB110_229
; %bb.228:
	buffer_load_dword v96, off, s[0:3], 0 offset:264
	buffer_load_dword v97, off, s[0:3], 0 offset:268
	v_mov_b32_e32 v98, 0
	buffer_store_dword v98, off, s[0:3], 0 offset:264
	buffer_store_dword v98, off, s[0:3], 0 offset:268
	s_waitcnt vmcnt(2)
	ds_write_b64 v95, v[96:97]
.LBB110_229:
	s_or_b64 exec, exec, s[4:5]
	s_waitcnt lgkmcnt(0)
	; wave barrier
	buffer_load_dword v123, off, s[0:3], 0 offset:276
	buffer_load_dword v124, off, s[0:3], 0 offset:284
	;; [unrolled: 1-line block ×28, first 2 shown]
	v_mov_b32_e32 v96, 0
	ds_read_b128 v[97:100], v96 offset:656
	ds_read_b128 v[101:104], v96 offset:672
	;; [unrolled: 1-line block ×6, first 2 shown]
	ds_read_b64 v[121:122], v96 offset:752
	v_cmp_lt_u32_e32 vcc, 32, v0
	s_waitcnt vmcnt(27) lgkmcnt(6)
	v_mul_f32_e32 v151, v97, v123
	v_mul_f32_e32 v123, v98, v123
	s_waitcnt vmcnt(26)
	v_mul_f32_e32 v152, v99, v124
	v_mul_f32_e32 v124, v100, v124
	s_waitcnt vmcnt(25) lgkmcnt(5)
	v_mul_f32_e32 v153, v101, v125
	v_mul_f32_e32 v125, v102, v125
	s_waitcnt vmcnt(24)
	v_mul_f32_e32 v154, v103, v126
	v_mul_f32_e32 v126, v104, v126
	;; [unrolled: 6-line block ×3, first 2 shown]
	s_waitcnt vmcnt(21) lgkmcnt(3)
	v_mul_f32_e32 v157, v109, v129
	s_waitcnt vmcnt(14)
	v_fma_f32 v97, v97, v136, -v123
	v_fmac_f32_e32 v151, v98, v136
	s_waitcnt vmcnt(13)
	v_fma_f32 v98, v99, v137, -v124
	v_add_f32_e32 v97, 0, v97
	s_waitcnt vmcnt(12)
	v_fma_f32 v99, v101, v138, -v125
	v_add_f32_e32 v97, v97, v98
	v_fmac_f32_e32 v152, v100, v137
	s_waitcnt vmcnt(11)
	v_fma_f32 v100, v103, v139, -v126
	v_add_f32_e32 v97, v97, v99
	s_waitcnt vmcnt(10)
	v_fma_f32 v101, v105, v140, -v127
	v_add_f32_e32 v97, v97, v100
	v_fmac_f32_e32 v153, v102, v138
	s_waitcnt vmcnt(9)
	v_fma_f32 v102, v107, v141, -v128
	v_add_f32_e32 v97, v97, v101
	v_mul_f32_e32 v99, v110, v129
	v_add_f32_e32 v97, v97, v102
	s_waitcnt vmcnt(8)
	v_fma_f32 v99, v109, v142, -v99
	v_add_f32_e32 v97, v97, v99
	v_mul_f32_e32 v99, v112, v130
	v_add_f32_e32 v103, 0, v151
	s_waitcnt vmcnt(7)
	v_fma_f32 v99, v111, v143, -v99
	v_add_f32_e32 v103, v103, v152
	v_add_f32_e32 v97, v97, v99
	s_waitcnt lgkmcnt(2)
	v_mul_f32_e32 v99, v114, v131
	v_fmac_f32_e32 v154, v104, v139
	v_add_f32_e32 v98, v103, v153
	s_waitcnt vmcnt(6)
	v_fma_f32 v99, v113, v144, -v99
	v_fmac_f32_e32 v155, v106, v140
	v_add_f32_e32 v98, v98, v154
	v_add_f32_e32 v97, v97, v99
	v_mul_f32_e32 v99, v116, v132
	v_fmac_f32_e32 v156, v108, v141
	v_add_f32_e32 v98, v98, v155
	s_waitcnt vmcnt(5)
	v_fma_f32 v99, v115, v145, -v99
	v_mul_f32_e32 v158, v111, v130
	v_fmac_f32_e32 v157, v110, v142
	v_add_f32_e32 v98, v98, v156
	v_add_f32_e32 v97, v97, v99
	s_waitcnt lgkmcnt(1)
	v_mul_f32_e32 v99, v118, v133
	v_mul_f32_e32 v159, v113, v131
	v_fmac_f32_e32 v158, v112, v143
	v_add_f32_e32 v98, v98, v157
	s_waitcnt vmcnt(4)
	v_fma_f32 v99, v117, v146, -v99
	v_mul_f32_e32 v160, v115, v132
	v_fmac_f32_e32 v159, v114, v144
	v_add_f32_e32 v98, v98, v158
	v_add_f32_e32 v97, v97, v99
	v_mul_f32_e32 v99, v120, v134
	v_mul_f32_e32 v161, v117, v133
	v_fmac_f32_e32 v160, v116, v145
	v_add_f32_e32 v98, v98, v159
	s_waitcnt vmcnt(3)
	v_fma_f32 v99, v119, v147, -v99
	v_mul_f32_e32 v162, v119, v134
	v_fmac_f32_e32 v161, v118, v146
	v_add_f32_e32 v98, v98, v160
	v_add_f32_e32 v97, v97, v99
	s_waitcnt lgkmcnt(0)
	v_mul_f32_e32 v99, v122, v135
	v_mul_f32_e32 v163, v121, v135
	v_fmac_f32_e32 v162, v120, v147
	v_add_f32_e32 v98, v98, v161
	s_waitcnt vmcnt(2)
	v_fma_f32 v99, v121, v148, -v99
	v_fmac_f32_e32 v163, v122, v148
	v_add_f32_e32 v98, v98, v162
	v_add_f32_e32 v97, v97, v99
	v_add_f32_e32 v98, v98, v163
	s_waitcnt vmcnt(1)
	v_sub_f32_e32 v97, v149, v97
	s_waitcnt vmcnt(0)
	v_sub_f32_e32 v98, v150, v98
	buffer_store_dword v97, off, s[0:3], 0 offset:264
	buffer_store_dword v98, off, s[0:3], 0 offset:268
	s_and_saveexec_b64 s[4:5], vcc
	s_cbranch_execz .LBB110_231
; %bb.230:
	buffer_load_dword v97, off, s[0:3], 0 offset:256
	buffer_load_dword v98, off, s[0:3], 0 offset:260
	s_waitcnt vmcnt(0)
	ds_write_b64 v95, v[97:98]
	buffer_store_dword v96, off, s[0:3], 0 offset:256
	buffer_store_dword v96, off, s[0:3], 0 offset:260
.LBB110_231:
	s_or_b64 exec, exec, s[4:5]
	s_waitcnt lgkmcnt(0)
	; wave barrier
	buffer_load_dword v125, off, s[0:3], 0 offset:268
	buffer_load_dword v126, off, s[0:3], 0 offset:276
	;; [unrolled: 1-line block ×30, first 2 shown]
	ds_read2_b64 v[97:100], v96 offset0:81 offset1:82
	ds_read2_b64 v[101:104], v96 offset0:83 offset1:84
	;; [unrolled: 1-line block ×7, first 2 shown]
	v_cmp_lt_u32_e32 vcc, 31, v0
	s_waitcnt vmcnt(29) lgkmcnt(6)
	v_mul_f32_e32 v96, v97, v125
	v_mul_f32_e32 v125, v98, v125
	s_waitcnt vmcnt(28)
	v_mul_f32_e32 v155, v99, v126
	v_mul_f32_e32 v126, v100, v126
	s_waitcnt vmcnt(27) lgkmcnt(5)
	v_mul_f32_e32 v156, v101, v127
	v_mul_f32_e32 v127, v102, v127
	s_waitcnt vmcnt(26)
	v_mul_f32_e32 v157, v103, v128
	v_mul_f32_e32 v128, v104, v128
	s_waitcnt vmcnt(25) lgkmcnt(4)
	v_mul_f32_e32 v158, v105, v129
	v_mul_f32_e32 v129, v106, v129
	s_waitcnt vmcnt(24)
	v_mul_f32_e32 v159, v107, v130
	s_waitcnt vmcnt(23) lgkmcnt(3)
	v_mul_f32_e32 v160, v109, v131
	s_waitcnt vmcnt(22)
	v_mul_f32_e32 v161, v111, v132
	s_waitcnt vmcnt(21) lgkmcnt(2)
	v_mul_f32_e32 v162, v113, v133
	s_waitcnt vmcnt(15)
	v_fma_f32 v97, v97, v139, -v125
	v_fmac_f32_e32 v96, v98, v139
	s_waitcnt vmcnt(14)
	v_fma_f32 v98, v99, v140, -v126
	v_add_f32_e32 v97, 0, v97
	s_waitcnt vmcnt(13)
	v_fma_f32 v99, v101, v141, -v127
	v_add_f32_e32 v97, v97, v98
	v_fmac_f32_e32 v155, v100, v140
	s_waitcnt vmcnt(12)
	v_fma_f32 v100, v103, v142, -v128
	v_add_f32_e32 v97, v97, v99
	s_waitcnt vmcnt(11)
	v_fma_f32 v101, v105, v143, -v129
	v_add_f32_e32 v97, v97, v100
	v_mul_f32_e32 v98, v108, v130
	v_add_f32_e32 v97, v97, v101
	s_waitcnt vmcnt(10)
	v_fma_f32 v98, v107, v144, -v98
	v_add_f32_e32 v97, v97, v98
	v_mul_f32_e32 v98, v110, v131
	s_waitcnt vmcnt(9)
	v_fma_f32 v98, v109, v145, -v98
	v_add_f32_e32 v97, v97, v98
	v_mul_f32_e32 v98, v112, v132
	s_waitcnt vmcnt(8)
	v_fma_f32 v98, v111, v146, -v98
	v_add_f32_e32 v96, 0, v96
	v_add_f32_e32 v97, v97, v98
	v_mul_f32_e32 v98, v114, v133
	v_fmac_f32_e32 v156, v102, v141
	v_add_f32_e32 v96, v96, v155
	s_waitcnt vmcnt(7)
	v_fma_f32 v98, v113, v147, -v98
	v_fmac_f32_e32 v157, v104, v142
	v_add_f32_e32 v96, v96, v156
	v_add_f32_e32 v97, v97, v98
	v_mul_f32_e32 v98, v116, v134
	v_fmac_f32_e32 v158, v106, v143
	v_add_f32_e32 v96, v96, v157
	s_waitcnt vmcnt(6)
	v_fma_f32 v98, v115, v148, -v98
	v_fmac_f32_e32 v159, v108, v144
	v_add_f32_e32 v96, v96, v158
	v_add_f32_e32 v97, v97, v98
	s_waitcnt lgkmcnt(1)
	v_mul_f32_e32 v98, v118, v135
	v_fmac_f32_e32 v160, v110, v145
	v_add_f32_e32 v96, v96, v159
	s_waitcnt vmcnt(5)
	v_fma_f32 v98, v117, v149, -v98
	v_fmac_f32_e32 v161, v112, v146
	v_add_f32_e32 v96, v96, v160
	v_add_f32_e32 v97, v97, v98
	v_mul_f32_e32 v98, v120, v136
	v_mul_f32_e32 v163, v115, v134
	v_fmac_f32_e32 v162, v114, v147
	v_add_f32_e32 v96, v96, v161
	s_waitcnt vmcnt(4)
	v_fma_f32 v98, v119, v150, -v98
	v_mul_f32_e32 v164, v117, v135
	v_fmac_f32_e32 v163, v116, v148
	v_add_f32_e32 v96, v96, v162
	v_add_f32_e32 v97, v97, v98
	s_waitcnt lgkmcnt(0)
	v_mul_f32_e32 v98, v122, v137
	v_mul_f32_e32 v165, v119, v136
	v_fmac_f32_e32 v164, v118, v149
	v_add_f32_e32 v96, v96, v163
	s_waitcnt vmcnt(3)
	v_fma_f32 v98, v121, v151, -v98
	v_mul_f32_e32 v166, v121, v137
	v_fmac_f32_e32 v165, v120, v150
	v_add_f32_e32 v96, v96, v164
	v_add_f32_e32 v97, v97, v98
	v_mul_f32_e32 v98, v124, v138
	v_mul_f32_e32 v167, v123, v138
	v_fmac_f32_e32 v166, v122, v151
	v_add_f32_e32 v96, v96, v165
	s_waitcnt vmcnt(2)
	v_fma_f32 v98, v123, v152, -v98
	v_fmac_f32_e32 v167, v124, v152
	v_add_f32_e32 v96, v96, v166
	v_add_f32_e32 v97, v97, v98
	;; [unrolled: 1-line block ×3, first 2 shown]
	s_waitcnt vmcnt(1)
	v_sub_f32_e32 v97, v153, v97
	s_waitcnt vmcnt(0)
	v_sub_f32_e32 v96, v154, v96
	buffer_store_dword v97, off, s[0:3], 0 offset:256
	buffer_store_dword v96, off, s[0:3], 0 offset:260
	s_and_saveexec_b64 s[4:5], vcc
	s_cbranch_execz .LBB110_233
; %bb.232:
	buffer_load_dword v96, off, s[0:3], 0 offset:248
	buffer_load_dword v97, off, s[0:3], 0 offset:252
	v_mov_b32_e32 v98, 0
	buffer_store_dword v98, off, s[0:3], 0 offset:248
	buffer_store_dword v98, off, s[0:3], 0 offset:252
	s_waitcnt vmcnt(2)
	ds_write_b64 v95, v[96:97]
.LBB110_233:
	s_or_b64 exec, exec, s[4:5]
	s_waitcnt lgkmcnt(0)
	; wave barrier
	buffer_load_dword v127, off, s[0:3], 0 offset:260
	buffer_load_dword v128, off, s[0:3], 0 offset:268
	;; [unrolled: 1-line block ×32, first 2 shown]
	v_mov_b32_e32 v96, 0
	ds_read_b128 v[97:100], v96 offset:640
	ds_read_b128 v[101:104], v96 offset:656
	;; [unrolled: 1-line block ×7, first 2 shown]
	ds_read_b64 v[125:126], v96 offset:752
	v_cmp_lt_u32_e32 vcc, 30, v0
	s_waitcnt vmcnt(31) lgkmcnt(7)
	v_mul_f32_e32 v159, v97, v127
	v_mul_f32_e32 v127, v98, v127
	s_waitcnt vmcnt(30)
	v_mul_f32_e32 v160, v99, v128
	v_mul_f32_e32 v128, v100, v128
	s_waitcnt vmcnt(29) lgkmcnt(6)
	v_mul_f32_e32 v161, v101, v129
	v_mul_f32_e32 v129, v102, v129
	s_waitcnt vmcnt(28)
	v_mul_f32_e32 v162, v103, v130
	s_waitcnt vmcnt(27) lgkmcnt(5)
	v_mul_f32_e32 v163, v105, v131
	s_waitcnt vmcnt(26)
	v_mul_f32_e32 v164, v107, v132
	s_waitcnt vmcnt(25) lgkmcnt(4)
	;; [unrolled: 4-line block ×4, first 2 shown]
	v_mul_f32_e32 v169, v117, v137
	s_waitcnt vmcnt(20)
	v_mul_f32_e32 v170, v119, v138
	s_waitcnt vmcnt(16)
	v_fma_f32 v97, v97, v142, -v127
	v_fmac_f32_e32 v159, v98, v142
	s_waitcnt vmcnt(15)
	v_fma_f32 v98, v99, v143, -v128
	v_add_f32_e32 v97, 0, v97
	s_waitcnt vmcnt(14)
	v_fma_f32 v99, v101, v144, -v129
	v_add_f32_e32 v97, v97, v98
	v_add_f32_e32 v97, v97, v99
	v_mul_f32_e32 v99, v104, v130
	s_waitcnt vmcnt(13)
	v_fma_f32 v99, v103, v145, -v99
	v_add_f32_e32 v97, v97, v99
	v_mul_f32_e32 v99, v106, v131
	s_waitcnt vmcnt(12)
	v_fma_f32 v99, v105, v146, -v99
	;; [unrolled: 4-line block ×5, first 2 shown]
	v_add_f32_e32 v97, v97, v99
	v_mul_f32_e32 v99, v114, v135
	v_fmac_f32_e32 v160, v100, v143
	v_add_f32_e32 v100, 0, v159
	s_waitcnt vmcnt(8)
	v_fma_f32 v99, v113, v150, -v99
	v_fmac_f32_e32 v161, v102, v144
	v_add_f32_e32 v100, v100, v160
	v_add_f32_e32 v97, v97, v99
	v_mul_f32_e32 v99, v116, v136
	v_fmac_f32_e32 v162, v104, v145
	v_add_f32_e32 v98, v100, v161
	s_waitcnt vmcnt(7)
	v_fma_f32 v99, v115, v151, -v99
	v_fmac_f32_e32 v163, v106, v146
	v_add_f32_e32 v98, v98, v162
	;; [unrolled: 8-line block ×4, first 2 shown]
	v_add_f32_e32 v97, v97, v99
	s_waitcnt lgkmcnt(1)
	v_mul_f32_e32 v99, v122, v139
	v_fmac_f32_e32 v168, v116, v151
	v_add_f32_e32 v98, v98, v167
	s_waitcnt vmcnt(4)
	v_fma_f32 v99, v121, v154, -v99
	v_fmac_f32_e32 v169, v118, v152
	v_add_f32_e32 v98, v98, v168
	v_add_f32_e32 v97, v97, v99
	v_mul_f32_e32 v99, v124, v140
	v_mul_f32_e32 v171, v121, v139
	v_fmac_f32_e32 v170, v120, v153
	v_add_f32_e32 v98, v98, v169
	s_waitcnt vmcnt(3)
	v_fma_f32 v99, v123, v155, -v99
	v_mul_f32_e32 v172, v123, v140
	v_fmac_f32_e32 v171, v122, v154
	v_add_f32_e32 v98, v98, v170
	v_add_f32_e32 v97, v97, v99
	s_waitcnt lgkmcnt(0)
	v_mul_f32_e32 v99, v126, v141
	v_mul_f32_e32 v173, v125, v141
	v_fmac_f32_e32 v172, v124, v155
	v_add_f32_e32 v98, v98, v171
	s_waitcnt vmcnt(2)
	v_fma_f32 v99, v125, v156, -v99
	v_fmac_f32_e32 v173, v126, v156
	v_add_f32_e32 v98, v98, v172
	v_add_f32_e32 v97, v97, v99
	;; [unrolled: 1-line block ×3, first 2 shown]
	s_waitcnt vmcnt(1)
	v_sub_f32_e32 v97, v157, v97
	s_waitcnt vmcnt(0)
	v_sub_f32_e32 v98, v158, v98
	buffer_store_dword v97, off, s[0:3], 0 offset:248
	buffer_store_dword v98, off, s[0:3], 0 offset:252
	s_and_saveexec_b64 s[4:5], vcc
	s_cbranch_execz .LBB110_235
; %bb.234:
	buffer_load_dword v97, off, s[0:3], 0 offset:240
	buffer_load_dword v98, off, s[0:3], 0 offset:244
	s_waitcnt vmcnt(0)
	ds_write_b64 v95, v[97:98]
	buffer_store_dword v96, off, s[0:3], 0 offset:240
	buffer_store_dword v96, off, s[0:3], 0 offset:244
.LBB110_235:
	s_or_b64 exec, exec, s[4:5]
	s_waitcnt lgkmcnt(0)
	; wave barrier
	buffer_load_dword v129, off, s[0:3], 0 offset:252
	buffer_load_dword v130, off, s[0:3], 0 offset:260
	;; [unrolled: 1-line block ×34, first 2 shown]
	ds_read2_b64 v[97:100], v96 offset0:79 offset1:80
	ds_read2_b64 v[101:104], v96 offset0:81 offset1:82
	;; [unrolled: 1-line block ×8, first 2 shown]
	v_cmp_lt_u32_e32 vcc, 29, v0
	s_waitcnt vmcnt(33) lgkmcnt(7)
	v_mul_f32_e32 v96, v97, v129
	v_mul_f32_e32 v129, v98, v129
	s_waitcnt vmcnt(32)
	v_mul_f32_e32 v163, v99, v130
	v_mul_f32_e32 v130, v100, v130
	s_waitcnt vmcnt(31) lgkmcnt(6)
	v_mul_f32_e32 v164, v101, v131
	s_waitcnt vmcnt(30)
	v_mul_f32_e32 v165, v103, v132
	s_waitcnt vmcnt(29) lgkmcnt(5)
	v_mul_f32_e32 v166, v105, v133
	s_waitcnt vmcnt(28)
	;; [unrolled: 4-line block ×6, first 2 shown]
	v_mul_f32_e32 v175, v123, v142
	s_waitcnt vmcnt(17)
	v_fma_f32 v97, v97, v145, -v129
	v_fmac_f32_e32 v96, v98, v145
	s_waitcnt vmcnt(16)
	v_fma_f32 v98, v99, v146, -v130
	v_add_f32_e32 v97, 0, v97
	v_add_f32_e32 v97, v97, v98
	v_mul_f32_e32 v98, v102, v131
	s_waitcnt vmcnt(15)
	v_fma_f32 v98, v101, v147, -v98
	v_add_f32_e32 v97, v97, v98
	v_mul_f32_e32 v98, v104, v132
	s_waitcnt vmcnt(14)
	v_fma_f32 v98, v103, v148, -v98
	v_add_f32_e32 v97, v97, v98
	v_mul_f32_e32 v98, v106, v133
	s_waitcnt vmcnt(13)
	v_fma_f32 v98, v105, v149, -v98
	v_add_f32_e32 v97, v97, v98
	v_mul_f32_e32 v98, v108, v134
	s_waitcnt vmcnt(12)
	v_fma_f32 v98, v107, v150, -v98
	v_add_f32_e32 v97, v97, v98
	v_mul_f32_e32 v98, v110, v135
	s_waitcnt vmcnt(11)
	v_fma_f32 v98, v109, v151, -v98
	v_add_f32_e32 v97, v97, v98
	v_mul_f32_e32 v98, v112, v136
	s_waitcnt vmcnt(10)
	v_fma_f32 v98, v111, v152, -v98
	v_add_f32_e32 v97, v97, v98
	v_mul_f32_e32 v98, v114, v137
	s_waitcnt vmcnt(9)
	v_fma_f32 v98, v113, v153, -v98
	v_fmac_f32_e32 v163, v100, v146
	v_add_f32_e32 v96, 0, v96
	v_add_f32_e32 v97, v97, v98
	v_mul_f32_e32 v98, v116, v138
	v_fmac_f32_e32 v164, v102, v147
	v_add_f32_e32 v96, v96, v163
	s_waitcnt vmcnt(8)
	v_fma_f32 v98, v115, v154, -v98
	v_fmac_f32_e32 v165, v104, v148
	v_add_f32_e32 v96, v96, v164
	v_add_f32_e32 v97, v97, v98
	v_mul_f32_e32 v98, v118, v139
	v_fmac_f32_e32 v166, v106, v149
	v_add_f32_e32 v96, v96, v165
	s_waitcnt vmcnt(7)
	v_fma_f32 v98, v117, v155, -v98
	;; [unrolled: 8-line block ×5, first 2 shown]
	v_fmac_f32_e32 v173, v120, v156
	v_add_f32_e32 v96, v96, v172
	v_add_f32_e32 v97, v97, v98
	s_waitcnt lgkmcnt(0)
	v_mul_f32_e32 v98, v126, v143
	v_fmac_f32_e32 v174, v122, v157
	v_add_f32_e32 v96, v96, v173
	s_waitcnt vmcnt(3)
	v_fma_f32 v98, v125, v159, -v98
	v_mul_f32_e32 v176, v125, v143
	v_fmac_f32_e32 v175, v124, v158
	v_add_f32_e32 v96, v96, v174
	v_add_f32_e32 v97, v97, v98
	v_mul_f32_e32 v98, v128, v144
	v_mul_f32_e32 v177, v127, v144
	v_fmac_f32_e32 v176, v126, v159
	v_add_f32_e32 v96, v96, v175
	s_waitcnt vmcnt(2)
	v_fma_f32 v98, v127, v160, -v98
	v_fmac_f32_e32 v177, v128, v160
	v_add_f32_e32 v96, v96, v176
	v_add_f32_e32 v97, v97, v98
	;; [unrolled: 1-line block ×3, first 2 shown]
	s_waitcnt vmcnt(1)
	v_sub_f32_e32 v97, v161, v97
	s_waitcnt vmcnt(0)
	v_sub_f32_e32 v96, v162, v96
	buffer_store_dword v97, off, s[0:3], 0 offset:240
	buffer_store_dword v96, off, s[0:3], 0 offset:244
	s_and_saveexec_b64 s[4:5], vcc
	s_cbranch_execz .LBB110_237
; %bb.236:
	buffer_load_dword v96, off, s[0:3], 0 offset:232
	buffer_load_dword v97, off, s[0:3], 0 offset:236
	v_mov_b32_e32 v98, 0
	buffer_store_dword v98, off, s[0:3], 0 offset:232
	buffer_store_dword v98, off, s[0:3], 0 offset:236
	s_waitcnt vmcnt(2)
	ds_write_b64 v95, v[96:97]
.LBB110_237:
	s_or_b64 exec, exec, s[4:5]
	s_waitcnt lgkmcnt(0)
	; wave barrier
	buffer_load_dword v131, off, s[0:3], 0 offset:244
	buffer_load_dword v132, off, s[0:3], 0 offset:252
	;; [unrolled: 1-line block ×36, first 2 shown]
	v_mov_b32_e32 v96, 0
	ds_read_b128 v[97:100], v96 offset:624
	ds_read_b128 v[101:104], v96 offset:640
	;; [unrolled: 1-line block ×8, first 2 shown]
	ds_read_b64 v[129:130], v96 offset:752
	v_cmp_lt_u32_e32 vcc, 28, v0
	s_waitcnt vmcnt(35) lgkmcnt(8)
	v_mul_f32_e32 v167, v97, v131
	s_waitcnt vmcnt(34)
	v_mul_f32_e32 v168, v99, v132
	s_waitcnt vmcnt(33) lgkmcnt(7)
	v_mul_f32_e32 v169, v101, v133
	s_waitcnt vmcnt(32)
	v_mul_f32_e32 v170, v103, v134
	;; [unrolled: 4-line block ×8, first 2 shown]
	s_waitcnt vmcnt(19) lgkmcnt(0)
	v_mul_f32_e32 v183, v129, v147
	s_waitcnt vmcnt(18)
	v_fmac_f32_e32 v167, v98, v148
	v_mul_f32_e32 v98, v98, v131
	v_fma_f32 v97, v97, v148, -v98
	v_mul_f32_e32 v98, v100, v132
	v_add_f32_e32 v97, 0, v97
	s_waitcnt vmcnt(17)
	v_fma_f32 v98, v99, v149, -v98
	v_add_f32_e32 v97, v97, v98
	v_mul_f32_e32 v98, v102, v133
	s_waitcnt vmcnt(16)
	v_fma_f32 v98, v101, v150, -v98
	v_add_f32_e32 v97, v97, v98
	v_mul_f32_e32 v98, v104, v134
	;; [unrolled: 4-line block ×8, first 2 shown]
	v_fmac_f32_e32 v168, v100, v149
	v_add_f32_e32 v167, 0, v167
	s_waitcnt vmcnt(9)
	v_fma_f32 v98, v115, v157, -v98
	v_fmac_f32_e32 v169, v102, v150
	v_add_f32_e32 v167, v167, v168
	v_add_f32_e32 v97, v97, v98
	v_mul_f32_e32 v98, v118, v141
	v_fmac_f32_e32 v170, v104, v151
	v_add_f32_e32 v167, v167, v169
	s_waitcnt vmcnt(8)
	v_fma_f32 v98, v117, v158, -v98
	v_fmac_f32_e32 v171, v106, v152
	v_add_f32_e32 v167, v167, v170
	v_add_f32_e32 v97, v97, v98
	v_mul_f32_e32 v98, v120, v142
	;; [unrolled: 8-line block ×7, first 2 shown]
	v_fmac_f32_e32 v182, v128, v163
	v_add_f32_e32 v167, v167, v181
	s_waitcnt vmcnt(2)
	v_fma_f32 v98, v129, v164, -v98
	v_fmac_f32_e32 v183, v130, v164
	v_add_f32_e32 v167, v167, v182
	v_add_f32_e32 v97, v97, v98
	;; [unrolled: 1-line block ×3, first 2 shown]
	s_waitcnt vmcnt(1)
	v_sub_f32_e32 v97, v165, v97
	s_waitcnt vmcnt(0)
	v_sub_f32_e32 v98, v166, v167
	buffer_store_dword v97, off, s[0:3], 0 offset:232
	buffer_store_dword v98, off, s[0:3], 0 offset:236
	s_and_saveexec_b64 s[4:5], vcc
	s_cbranch_execz .LBB110_239
; %bb.238:
	buffer_load_dword v97, off, s[0:3], 0 offset:224
	buffer_load_dword v98, off, s[0:3], 0 offset:228
	s_waitcnt vmcnt(0)
	ds_write_b64 v95, v[97:98]
	buffer_store_dword v96, off, s[0:3], 0 offset:224
	buffer_store_dword v96, off, s[0:3], 0 offset:228
.LBB110_239:
	s_or_b64 exec, exec, s[4:5]
	s_waitcnt lgkmcnt(0)
	; wave barrier
	buffer_load_dword v133, off, s[0:3], 0 offset:236
	buffer_load_dword v134, off, s[0:3], 0 offset:244
	buffer_load_dword v135, off, s[0:3], 0 offset:252
	buffer_load_dword v136, off, s[0:3], 0 offset:260
	buffer_load_dword v137, off, s[0:3], 0 offset:268
	buffer_load_dword v138, off, s[0:3], 0 offset:276
	buffer_load_dword v139, off, s[0:3], 0 offset:284
	buffer_load_dword v140, off, s[0:3], 0 offset:292
	buffer_load_dword v141, off, s[0:3], 0 offset:300
	buffer_load_dword v142, off, s[0:3], 0 offset:308
	buffer_load_dword v143, off, s[0:3], 0 offset:316
	buffer_load_dword v144, off, s[0:3], 0 offset:324
	buffer_load_dword v145, off, s[0:3], 0 offset:332
	buffer_load_dword v146, off, s[0:3], 0 offset:340
	buffer_load_dword v147, off, s[0:3], 0 offset:348
	buffer_load_dword v148, off, s[0:3], 0 offset:356
	buffer_load_dword v149, off, s[0:3], 0 offset:364
	buffer_load_dword v150, off, s[0:3], 0 offset:232
	buffer_load_dword v151, off, s[0:3], 0 offset:240
	buffer_load_dword v152, off, s[0:3], 0 offset:248
	buffer_load_dword v153, off, s[0:3], 0 offset:256
	buffer_load_dword v154, off, s[0:3], 0 offset:264
	buffer_load_dword v155, off, s[0:3], 0 offset:272
	buffer_load_dword v156, off, s[0:3], 0 offset:280
	buffer_load_dword v157, off, s[0:3], 0 offset:288
	buffer_load_dword v158, off, s[0:3], 0 offset:296
	buffer_load_dword v159, off, s[0:3], 0 offset:304
	buffer_load_dword v160, off, s[0:3], 0 offset:312
	buffer_load_dword v161, off, s[0:3], 0 offset:320
	buffer_load_dword v162, off, s[0:3], 0 offset:328
	buffer_load_dword v163, off, s[0:3], 0 offset:336
	buffer_load_dword v164, off, s[0:3], 0 offset:344
	buffer_load_dword v165, off, s[0:3], 0 offset:352
	buffer_load_dword v166, off, s[0:3], 0 offset:360
	buffer_load_dword v167, off, s[0:3], 0 offset:372
	buffer_load_dword v168, off, s[0:3], 0 offset:368
	buffer_load_dword v169, off, s[0:3], 0 offset:224
	buffer_load_dword v170, off, s[0:3], 0 offset:228
	ds_read2_b64 v[97:100], v96 offset0:77 offset1:78
	ds_read2_b64 v[101:104], v96 offset0:79 offset1:80
	;; [unrolled: 1-line block ×9, first 2 shown]
	v_cmp_lt_u32_e32 vcc, 27, v0
	s_waitcnt vmcnt(37) lgkmcnt(8)
	v_mul_f32_e32 v96, v97, v133
	s_waitcnt vmcnt(36)
	v_mul_f32_e32 v171, v99, v134
	s_waitcnt vmcnt(35) lgkmcnt(7)
	v_mul_f32_e32 v172, v101, v135
	s_waitcnt vmcnt(34)
	v_mul_f32_e32 v173, v103, v136
	;; [unrolled: 4-line block ×8, first 2 shown]
	s_waitcnt vmcnt(21) lgkmcnt(0)
	v_mul_f32_e32 v186, v129, v149
	s_waitcnt vmcnt(20)
	v_fmac_f32_e32 v96, v98, v150
	v_mul_f32_e32 v98, v98, v133
	v_fma_f32 v97, v97, v150, -v98
	v_mul_f32_e32 v98, v100, v134
	v_add_f32_e32 v97, 0, v97
	s_waitcnt vmcnt(19)
	v_fma_f32 v98, v99, v151, -v98
	v_add_f32_e32 v97, v97, v98
	v_mul_f32_e32 v98, v102, v135
	s_waitcnt vmcnt(18)
	v_fma_f32 v98, v101, v152, -v98
	v_add_f32_e32 v97, v97, v98
	v_mul_f32_e32 v98, v104, v136
	;; [unrolled: 4-line block ×8, first 2 shown]
	s_waitcnt vmcnt(11)
	v_fma_f32 v98, v115, v159, -v98
	v_fmac_f32_e32 v171, v100, v151
	v_add_f32_e32 v96, 0, v96
	v_add_f32_e32 v97, v97, v98
	v_mul_f32_e32 v98, v118, v143
	v_fmac_f32_e32 v172, v102, v152
	v_add_f32_e32 v96, v96, v171
	s_waitcnt vmcnt(10)
	v_fma_f32 v98, v117, v160, -v98
	v_fmac_f32_e32 v173, v104, v153
	v_add_f32_e32 v96, v96, v172
	v_add_f32_e32 v97, v97, v98
	v_mul_f32_e32 v98, v120, v144
	v_fmac_f32_e32 v174, v106, v154
	v_add_f32_e32 v96, v96, v173
	s_waitcnt vmcnt(9)
	v_fma_f32 v98, v119, v161, -v98
	v_fmac_f32_e32 v175, v108, v155
	v_add_f32_e32 v96, v96, v174
	v_add_f32_e32 v97, v97, v98
	v_mul_f32_e32 v98, v122, v145
	v_fmac_f32_e32 v176, v110, v156
	v_add_f32_e32 v96, v96, v175
	s_waitcnt vmcnt(8)
	v_fma_f32 v98, v121, v162, -v98
	v_fmac_f32_e32 v177, v112, v157
	v_add_f32_e32 v96, v96, v176
	v_add_f32_e32 v97, v97, v98
	v_mul_f32_e32 v98, v124, v146
	v_fmac_f32_e32 v178, v114, v158
	v_add_f32_e32 v96, v96, v177
	s_waitcnt vmcnt(7)
	v_fma_f32 v98, v123, v163, -v98
	v_fmac_f32_e32 v179, v116, v159
	v_add_f32_e32 v96, v96, v178
	v_add_f32_e32 v97, v97, v98
	v_mul_f32_e32 v98, v126, v147
	v_fmac_f32_e32 v180, v118, v160
	v_add_f32_e32 v96, v96, v179
	s_waitcnt vmcnt(6)
	v_fma_f32 v98, v125, v164, -v98
	v_fmac_f32_e32 v181, v120, v161
	v_add_f32_e32 v96, v96, v180
	v_add_f32_e32 v97, v97, v98
	v_mul_f32_e32 v98, v128, v148
	v_fmac_f32_e32 v182, v122, v162
	v_add_f32_e32 v96, v96, v181
	s_waitcnt vmcnt(5)
	v_fma_f32 v98, v127, v165, -v98
	v_fmac_f32_e32 v183, v124, v163
	v_add_f32_e32 v96, v96, v182
	v_add_f32_e32 v97, v97, v98
	v_mul_f32_e32 v98, v130, v149
	v_fmac_f32_e32 v184, v126, v164
	v_add_f32_e32 v96, v96, v183
	s_waitcnt vmcnt(4)
	v_fma_f32 v98, v129, v166, -v98
	v_fmac_f32_e32 v185, v128, v165
	v_add_f32_e32 v96, v96, v184
	v_add_f32_e32 v97, v97, v98
	s_waitcnt vmcnt(3)
	v_mul_f32_e32 v98, v132, v167
	v_add_f32_e32 v96, v96, v185
	v_fmac_f32_e32 v186, v130, v166
	v_mul_f32_e32 v171, v131, v167
	s_waitcnt vmcnt(2)
	v_fma_f32 v98, v131, v168, -v98
	v_add_f32_e32 v96, v96, v186
	v_fmac_f32_e32 v171, v132, v168
	v_add_f32_e32 v97, v97, v98
	v_add_f32_e32 v96, v96, v171
	s_waitcnt vmcnt(1)
	v_sub_f32_e32 v97, v169, v97
	s_waitcnt vmcnt(0)
	v_sub_f32_e32 v96, v170, v96
	buffer_store_dword v97, off, s[0:3], 0 offset:224
	buffer_store_dword v96, off, s[0:3], 0 offset:228
	s_and_saveexec_b64 s[4:5], vcc
	s_cbranch_execz .LBB110_241
; %bb.240:
	buffer_load_dword v96, off, s[0:3], 0 offset:216
	buffer_load_dword v97, off, s[0:3], 0 offset:220
	v_mov_b32_e32 v98, 0
	buffer_store_dword v98, off, s[0:3], 0 offset:216
	buffer_store_dword v98, off, s[0:3], 0 offset:220
	s_waitcnt vmcnt(2)
	ds_write_b64 v95, v[96:97]
.LBB110_241:
	s_or_b64 exec, exec, s[4:5]
	s_waitcnt lgkmcnt(0)
	; wave barrier
	buffer_load_dword v135, off, s[0:3], 0 offset:228
	buffer_load_dword v136, off, s[0:3], 0 offset:236
	;; [unrolled: 1-line block ×40, first 2 shown]
	v_mov_b32_e32 v96, 0
	ds_read_b128 v[97:100], v96 offset:608
	ds_read_b128 v[101:104], v96 offset:624
	;; [unrolled: 1-line block ×9, first 2 shown]
	v_cmp_lt_u32_e32 vcc, 26, v0
	s_waitcnt vmcnt(39) lgkmcnt(8)
	v_mul_f32_e32 v133, v97, v135
	s_waitcnt vmcnt(38)
	v_mul_f32_e32 v134, v99, v136
	s_waitcnt vmcnt(37) lgkmcnt(7)
	v_mul_f32_e32 v175, v101, v137
	s_waitcnt vmcnt(36)
	v_mul_f32_e32 v176, v103, v138
	;; [unrolled: 4-line block ×7, first 2 shown]
	s_waitcnt vmcnt(25) lgkmcnt(1)
	v_mul_f32_e32 v187, v125, v149
	s_waitcnt vmcnt(24)
	v_fmac_f32_e32 v133, v98, v150
	v_mul_f32_e32 v98, v98, v135
	v_fma_f32 v97, v97, v150, -v98
	v_mul_f32_e32 v98, v100, v136
	v_add_f32_e32 v97, 0, v97
	s_waitcnt vmcnt(23)
	v_fma_f32 v98, v99, v151, -v98
	v_add_f32_e32 v97, v97, v98
	v_mul_f32_e32 v98, v102, v137
	s_waitcnt vmcnt(22)
	v_fma_f32 v98, v101, v152, -v98
	v_add_f32_e32 v97, v97, v98
	v_mul_f32_e32 v98, v104, v138
	;; [unrolled: 4-line block ×6, first 2 shown]
	s_waitcnt vmcnt(17)
	v_fma_f32 v98, v111, v157, -v98
	v_fmac_f32_e32 v134, v100, v151
	v_add_f32_e32 v133, 0, v133
	v_add_f32_e32 v97, v97, v98
	v_mul_f32_e32 v98, v114, v143
	v_fmac_f32_e32 v175, v102, v152
	v_add_f32_e32 v133, v133, v134
	s_waitcnt vmcnt(16)
	v_fma_f32 v98, v113, v158, -v98
	v_fmac_f32_e32 v176, v104, v153
	v_add_f32_e32 v133, v133, v175
	v_add_f32_e32 v97, v97, v98
	v_mul_f32_e32 v98, v116, v144
	v_fmac_f32_e32 v177, v106, v154
	v_add_f32_e32 v133, v133, v176
	;; [unrolled: 8-line block ×6, first 2 shown]
	s_waitcnt vmcnt(11)
	v_fma_f32 v98, v123, v163, -v98
	v_fmac_f32_e32 v186, v124, v163
	v_add_f32_e32 v133, v133, v185
	v_add_f32_e32 v97, v97, v98
	v_mul_f32_e32 v98, v126, v149
	s_waitcnt vmcnt(10)
	v_fmac_f32_e32 v187, v126, v164
	v_add_f32_e32 v133, v133, v186
	s_waitcnt vmcnt(9)
	v_mul_f32_e32 v134, v127, v165
	v_fma_f32 v98, v125, v164, -v98
	v_add_f32_e32 v133, v133, v187
	s_waitcnt vmcnt(8)
	v_fmac_f32_e32 v134, v128, v166
	v_add_f32_e32 v97, v97, v98
	v_mul_f32_e32 v98, v128, v165
	v_add_f32_e32 v175, v133, v134
	ds_read_b64 v[133:134], v96 offset:752
	v_fma_f32 v98, v127, v166, -v98
	v_add_f32_e32 v97, v97, v98
	s_waitcnt vmcnt(7) lgkmcnt(1)
	v_mul_f32_e32 v98, v130, v167
	v_mul_f32_e32 v176, v129, v167
	s_waitcnt vmcnt(6)
	v_fma_f32 v98, v129, v168, -v98
	v_fmac_f32_e32 v176, v130, v168
	v_add_f32_e32 v97, v97, v98
	s_waitcnt vmcnt(5)
	v_mul_f32_e32 v98, v132, v169
	v_add_f32_e32 v175, v175, v176
	v_mul_f32_e32 v176, v131, v169
	s_waitcnt vmcnt(4)
	v_fma_f32 v98, v131, v170, -v98
	v_fmac_f32_e32 v176, v132, v170
	v_add_f32_e32 v97, v97, v98
	s_waitcnt vmcnt(3) lgkmcnt(0)
	v_mul_f32_e32 v98, v134, v171
	v_add_f32_e32 v175, v175, v176
	v_mul_f32_e32 v176, v133, v171
	s_waitcnt vmcnt(2)
	v_fma_f32 v98, v133, v172, -v98
	v_fmac_f32_e32 v176, v134, v172
	v_add_f32_e32 v97, v97, v98
	v_add_f32_e32 v175, v175, v176
	s_waitcnt vmcnt(1)
	v_sub_f32_e32 v97, v173, v97
	s_waitcnt vmcnt(0)
	v_sub_f32_e32 v98, v174, v175
	buffer_store_dword v97, off, s[0:3], 0 offset:216
	buffer_store_dword v98, off, s[0:3], 0 offset:220
	s_and_saveexec_b64 s[4:5], vcc
	s_cbranch_execz .LBB110_243
; %bb.242:
	buffer_load_dword v97, off, s[0:3], 0 offset:208
	buffer_load_dword v98, off, s[0:3], 0 offset:212
	s_waitcnt vmcnt(0)
	ds_write_b64 v95, v[97:98]
	buffer_store_dword v96, off, s[0:3], 0 offset:208
	buffer_store_dword v96, off, s[0:3], 0 offset:212
.LBB110_243:
	s_or_b64 exec, exec, s[4:5]
	s_waitcnt lgkmcnt(0)
	; wave barrier
	buffer_load_dword v137, off, s[0:3], 0 offset:220
	buffer_load_dword v138, off, s[0:3], 0 offset:228
	;; [unrolled: 1-line block ×42, first 2 shown]
	ds_read2_b64 v[97:100], v96 offset0:75 offset1:76
	ds_read2_b64 v[101:104], v96 offset0:77 offset1:78
	;; [unrolled: 1-line block ×8, first 2 shown]
	v_cmp_lt_u32_e32 vcc, 25, v0
	s_waitcnt vmcnt(41) lgkmcnt(7)
	v_mul_f32_e32 v129, v97, v137
	s_waitcnt vmcnt(40)
	v_mul_f32_e32 v130, v99, v138
	s_waitcnt vmcnt(39) lgkmcnt(6)
	v_mul_f32_e32 v131, v101, v139
	s_waitcnt vmcnt(38)
	v_mul_f32_e32 v132, v103, v140
	;; [unrolled: 4-line block ×7, first 2 shown]
	s_waitcnt vmcnt(27) lgkmcnt(0)
	v_mul_f32_e32 v185, v125, v151
	s_waitcnt vmcnt(26)
	v_fmac_f32_e32 v129, v98, v152
	v_mul_f32_e32 v98, v98, v137
	v_fma_f32 v97, v97, v152, -v98
	v_mul_f32_e32 v98, v100, v138
	v_add_f32_e32 v97, 0, v97
	s_waitcnt vmcnt(25)
	v_fma_f32 v98, v99, v153, -v98
	v_add_f32_e32 v97, v97, v98
	v_mul_f32_e32 v98, v102, v139
	s_waitcnt vmcnt(24)
	v_fma_f32 v98, v101, v154, -v98
	v_add_f32_e32 v97, v97, v98
	v_mul_f32_e32 v98, v104, v140
	;; [unrolled: 4-line block ×5, first 2 shown]
	v_fmac_f32_e32 v130, v100, v153
	v_add_f32_e32 v129, 0, v129
	s_waitcnt vmcnt(20)
	v_fma_f32 v98, v109, v158, -v98
	v_fmac_f32_e32 v131, v102, v154
	v_add_f32_e32 v129, v129, v130
	v_add_f32_e32 v97, v97, v98
	v_mul_f32_e32 v98, v112, v144
	v_fmac_f32_e32 v132, v104, v155
	v_add_f32_e32 v129, v129, v131
	s_waitcnt vmcnt(19)
	v_fma_f32 v98, v111, v159, -v98
	v_fmac_f32_e32 v133, v106, v156
	v_add_f32_e32 v129, v129, v132
	v_add_f32_e32 v97, v97, v98
	v_mul_f32_e32 v98, v114, v145
	;; [unrolled: 8-line block ×5, first 2 shown]
	s_waitcnt vmcnt(15)
	v_fmac_f32_e32 v182, v120, v163
	v_add_f32_e32 v129, v129, v181
	v_fma_f32 v98, v119, v163, -v98
	s_waitcnt vmcnt(14)
	v_fmac_f32_e32 v183, v122, v164
	v_add_f32_e32 v129, v129, v182
	v_add_f32_e32 v97, v97, v98
	v_mul_f32_e32 v98, v122, v149
	s_waitcnt vmcnt(13)
	v_fmac_f32_e32 v184, v124, v165
	v_add_f32_e32 v129, v129, v183
	v_fma_f32 v98, v121, v164, -v98
	s_waitcnt vmcnt(12)
	v_fmac_f32_e32 v185, v126, v166
	v_add_f32_e32 v129, v129, v184
	v_add_f32_e32 v97, v97, v98
	v_mul_f32_e32 v98, v124, v150
	v_add_f32_e32 v133, v129, v185
	ds_read2_b64 v[129:132], v96 offset0:91 offset1:92
	v_fma_f32 v98, v123, v165, -v98
	v_add_f32_e32 v97, v97, v98
	v_mul_f32_e32 v98, v126, v151
	s_waitcnt vmcnt(11)
	v_mul_f32_e32 v134, v127, v167
	v_fma_f32 v98, v125, v166, -v98
	s_waitcnt vmcnt(10)
	v_fmac_f32_e32 v134, v128, v168
	v_add_f32_e32 v97, v97, v98
	v_mul_f32_e32 v98, v128, v167
	v_add_f32_e32 v179, v133, v134
	ds_read2_b64 v[133:136], v96 offset0:93 offset1:94
	v_fma_f32 v98, v127, v168, -v98
	v_add_f32_e32 v97, v97, v98
	s_waitcnt vmcnt(9) lgkmcnt(1)
	v_mul_f32_e32 v98, v130, v169
	v_mul_f32_e32 v96, v129, v169
	s_waitcnt vmcnt(8)
	v_fma_f32 v98, v129, v170, -v98
	v_fmac_f32_e32 v96, v130, v170
	v_add_f32_e32 v97, v97, v98
	s_waitcnt vmcnt(7)
	v_mul_f32_e32 v98, v132, v171
	v_add_f32_e32 v96, v179, v96
	v_mul_f32_e32 v179, v131, v171
	s_waitcnt vmcnt(6)
	v_fma_f32 v98, v131, v172, -v98
	v_fmac_f32_e32 v179, v132, v172
	v_add_f32_e32 v97, v97, v98
	s_waitcnt vmcnt(5) lgkmcnt(0)
	v_mul_f32_e32 v98, v134, v173
	v_add_f32_e32 v96, v96, v179
	v_mul_f32_e32 v179, v133, v173
	s_waitcnt vmcnt(4)
	v_fma_f32 v98, v133, v174, -v98
	v_fmac_f32_e32 v179, v134, v174
	v_add_f32_e32 v97, v97, v98
	s_waitcnt vmcnt(3)
	v_mul_f32_e32 v98, v136, v175
	v_add_f32_e32 v96, v96, v179
	v_mul_f32_e32 v179, v135, v175
	s_waitcnt vmcnt(2)
	v_fma_f32 v98, v135, v176, -v98
	v_fmac_f32_e32 v179, v136, v176
	v_add_f32_e32 v97, v97, v98
	v_add_f32_e32 v96, v96, v179
	s_waitcnt vmcnt(1)
	v_sub_f32_e32 v97, v177, v97
	s_waitcnt vmcnt(0)
	v_sub_f32_e32 v96, v178, v96
	buffer_store_dword v97, off, s[0:3], 0 offset:208
	buffer_store_dword v96, off, s[0:3], 0 offset:212
	s_and_saveexec_b64 s[4:5], vcc
	s_cbranch_execz .LBB110_245
; %bb.244:
	buffer_load_dword v96, off, s[0:3], 0 offset:200
	buffer_load_dword v97, off, s[0:3], 0 offset:204
	v_mov_b32_e32 v98, 0
	buffer_store_dword v98, off, s[0:3], 0 offset:200
	buffer_store_dword v98, off, s[0:3], 0 offset:204
	s_waitcnt vmcnt(2)
	ds_write_b64 v95, v[96:97]
.LBB110_245:
	s_or_b64 exec, exec, s[4:5]
	s_waitcnt lgkmcnt(0)
	; wave barrier
	buffer_load_dword v139, off, s[0:3], 0 offset:212
	buffer_load_dword v140, off, s[0:3], 0 offset:220
	;; [unrolled: 1-line block ×44, first 2 shown]
	v_mov_b32_e32 v96, 0
	ds_read_b128 v[97:100], v96 offset:592
	ds_read_b128 v[101:104], v96 offset:608
	;; [unrolled: 1-line block ×8, first 2 shown]
	v_cmp_lt_u32_e32 vcc, 24, v0
	s_waitcnt vmcnt(43) lgkmcnt(7)
	v_mul_f32_e32 v129, v97, v139
	s_waitcnt vmcnt(42)
	v_mul_f32_e32 v130, v99, v140
	s_waitcnt vmcnt(41) lgkmcnt(6)
	v_mul_f32_e32 v131, v101, v141
	s_waitcnt vmcnt(40)
	v_mul_f32_e32 v132, v103, v142
	;; [unrolled: 4-line block ×7, first 2 shown]
	s_waitcnt vmcnt(29)
	v_fmac_f32_e32 v129, v98, v153
	v_mul_f32_e32 v98, v98, v139
	v_fma_f32 v97, v97, v153, -v98
	v_mul_f32_e32 v98, v100, v140
	v_add_f32_e32 v97, 0, v97
	s_waitcnt vmcnt(28)
	v_fma_f32 v98, v99, v154, -v98
	v_add_f32_e32 v97, v97, v98
	v_mul_f32_e32 v98, v102, v141
	s_waitcnt vmcnt(27)
	v_fma_f32 v98, v101, v155, -v98
	v_add_f32_e32 v97, v97, v98
	v_mul_f32_e32 v98, v104, v142
	;; [unrolled: 4-line block ×4, first 2 shown]
	s_waitcnt vmcnt(24)
	v_fma_f32 v98, v107, v158, -v98
	v_fmac_f32_e32 v130, v100, v154
	v_add_f32_e32 v129, 0, v129
	v_add_f32_e32 v97, v97, v98
	v_mul_f32_e32 v98, v110, v145
	v_fmac_f32_e32 v131, v102, v155
	v_add_f32_e32 v129, v129, v130
	s_waitcnt vmcnt(23)
	v_fma_f32 v98, v109, v159, -v98
	v_fmac_f32_e32 v132, v104, v156
	v_add_f32_e32 v129, v129, v131
	v_add_f32_e32 v97, v97, v98
	v_mul_f32_e32 v98, v112, v146
	v_fmac_f32_e32 v133, v106, v157
	v_add_f32_e32 v129, v129, v132
	;; [unrolled: 8-line block ×4, first 2 shown]
	s_waitcnt vmcnt(20)
	v_fma_f32 v98, v115, v162, -v98
	v_fmac_f32_e32 v138, v116, v162
	v_add_f32_e32 v129, v129, v137
	v_add_f32_e32 v97, v97, v98
	v_mul_f32_e32 v98, v118, v149
	s_waitcnt vmcnt(19)
	v_fmac_f32_e32 v183, v118, v163
	v_add_f32_e32 v129, v129, v138
	v_fma_f32 v98, v117, v163, -v98
	s_waitcnt vmcnt(18)
	v_fmac_f32_e32 v184, v120, v164
	v_add_f32_e32 v129, v129, v183
	v_add_f32_e32 v97, v97, v98
	v_mul_f32_e32 v98, v120, v150
	s_waitcnt vmcnt(17)
	v_fmac_f32_e32 v185, v122, v165
	v_add_f32_e32 v129, v129, v184
	v_fma_f32 v98, v119, v164, -v98
	v_add_f32_e32 v129, v129, v185
	s_waitcnt vmcnt(16)
	v_fmac_f32_e32 v186, v124, v166
	s_waitcnt vmcnt(15) lgkmcnt(0)
	v_mul_f32_e32 v130, v125, v167
	v_add_f32_e32 v97, v97, v98
	v_mul_f32_e32 v98, v122, v151
	v_add_f32_e32 v129, v129, v186
	s_waitcnt vmcnt(14)
	v_fmac_f32_e32 v130, v126, v168
	v_fma_f32 v98, v121, v165, -v98
	v_add_f32_e32 v133, v129, v130
	ds_read_b128 v[129:132], v96 offset:720
	v_add_f32_e32 v97, v97, v98
	v_mul_f32_e32 v98, v124, v152
	v_fma_f32 v98, v123, v166, -v98
	v_add_f32_e32 v97, v97, v98
	v_mul_f32_e32 v98, v126, v167
	s_waitcnt vmcnt(13)
	v_mul_f32_e32 v134, v127, v169
	v_fma_f32 v98, v125, v168, -v98
	s_waitcnt vmcnt(12)
	v_fmac_f32_e32 v134, v128, v170
	v_add_f32_e32 v97, v97, v98
	v_mul_f32_e32 v98, v128, v169
	v_add_f32_e32 v137, v133, v134
	ds_read_b128 v[133:136], v96 offset:736
	s_waitcnt vmcnt(11) lgkmcnt(1)
	v_mul_f32_e32 v138, v129, v171
	v_fma_f32 v98, v127, v170, -v98
	s_waitcnt vmcnt(10)
	v_fmac_f32_e32 v138, v130, v172
	v_add_f32_e32 v97, v97, v98
	v_mul_f32_e32 v98, v130, v171
	v_add_f32_e32 v137, v137, v138
	s_waitcnt vmcnt(9)
	v_mul_f32_e32 v138, v131, v173
	v_fma_f32 v98, v129, v172, -v98
	s_waitcnt vmcnt(8)
	v_fmac_f32_e32 v138, v132, v174
	v_add_f32_e32 v97, v97, v98
	v_mul_f32_e32 v98, v132, v173
	v_add_f32_e32 v183, v137, v138
	ds_read_b64 v[137:138], v96 offset:752
	v_fma_f32 v98, v131, v174, -v98
	v_add_f32_e32 v97, v97, v98
	s_waitcnt vmcnt(7) lgkmcnt(1)
	v_mul_f32_e32 v98, v134, v175
	v_mul_f32_e32 v184, v133, v175
	s_waitcnt vmcnt(6)
	v_fma_f32 v98, v133, v176, -v98
	v_fmac_f32_e32 v184, v134, v176
	v_add_f32_e32 v97, v97, v98
	s_waitcnt vmcnt(5)
	v_mul_f32_e32 v98, v136, v177
	v_add_f32_e32 v183, v183, v184
	v_mul_f32_e32 v184, v135, v177
	s_waitcnt vmcnt(4)
	v_fma_f32 v98, v135, v178, -v98
	v_fmac_f32_e32 v184, v136, v178
	v_add_f32_e32 v97, v97, v98
	s_waitcnt vmcnt(3) lgkmcnt(0)
	v_mul_f32_e32 v98, v138, v179
	v_add_f32_e32 v183, v183, v184
	v_mul_f32_e32 v184, v137, v179
	s_waitcnt vmcnt(2)
	v_fma_f32 v98, v137, v180, -v98
	v_fmac_f32_e32 v184, v138, v180
	v_add_f32_e32 v97, v97, v98
	v_add_f32_e32 v183, v183, v184
	s_waitcnt vmcnt(1)
	v_sub_f32_e32 v97, v181, v97
	s_waitcnt vmcnt(0)
	v_sub_f32_e32 v98, v182, v183
	buffer_store_dword v97, off, s[0:3], 0 offset:200
	buffer_store_dword v98, off, s[0:3], 0 offset:204
	s_and_saveexec_b64 s[4:5], vcc
	s_cbranch_execz .LBB110_247
; %bb.246:
	buffer_load_dword v97, off, s[0:3], 0 offset:192
	buffer_load_dword v98, off, s[0:3], 0 offset:196
	s_waitcnt vmcnt(0)
	ds_write_b64 v95, v[97:98]
	buffer_store_dword v96, off, s[0:3], 0 offset:192
	buffer_store_dword v96, off, s[0:3], 0 offset:196
.LBB110_247:
	s_or_b64 exec, exec, s[4:5]
	s_waitcnt lgkmcnt(0)
	; wave barrier
	buffer_load_dword v141, off, s[0:3], 0 offset:204
	buffer_load_dword v142, off, s[0:3], 0 offset:212
	;; [unrolled: 1-line block ×46, first 2 shown]
	ds_read2_b64 v[97:100], v96 offset0:73 offset1:74
	ds_read2_b64 v[101:104], v96 offset0:75 offset1:76
	ds_read2_b64 v[105:108], v96 offset0:77 offset1:78
	ds_read2_b64 v[109:112], v96 offset0:79 offset1:80
	ds_read2_b64 v[113:116], v96 offset0:81 offset1:82
	ds_read2_b64 v[117:120], v96 offset0:83 offset1:84
	ds_read2_b64 v[121:124], v96 offset0:85 offset1:86
	ds_read2_b64 v[125:128], v96 offset0:87 offset1:88
	v_cmp_lt_u32_e32 vcc, 23, v0
	s_waitcnt vmcnt(45) lgkmcnt(7)
	v_mul_f32_e32 v129, v97, v141
	s_waitcnt vmcnt(44)
	v_mul_f32_e32 v130, v99, v142
	s_waitcnt vmcnt(43) lgkmcnt(6)
	v_mul_f32_e32 v131, v101, v143
	s_waitcnt vmcnt(42)
	v_mul_f32_e32 v132, v103, v144
	;; [unrolled: 4-line block ×6, first 2 shown]
	s_waitcnt vmcnt(33) lgkmcnt(1)
	v_mul_f32_e32 v187, v121, v153
	s_waitcnt vmcnt(32)
	v_fmac_f32_e32 v129, v98, v154
	v_mul_f32_e32 v98, v98, v141
	v_fma_f32 v97, v97, v154, -v98
	v_mul_f32_e32 v98, v100, v142
	v_add_f32_e32 v97, 0, v97
	s_waitcnt vmcnt(31)
	v_fma_f32 v98, v99, v155, -v98
	v_add_f32_e32 v97, v97, v98
	v_mul_f32_e32 v98, v102, v143
	s_waitcnt vmcnt(30)
	v_fma_f32 v98, v101, v156, -v98
	v_add_f32_e32 v97, v97, v98
	v_mul_f32_e32 v98, v104, v144
	;; [unrolled: 4-line block ×4, first 2 shown]
	v_fmac_f32_e32 v130, v100, v155
	v_add_f32_e32 v129, 0, v129
	s_waitcnt vmcnt(27)
	v_fma_f32 v98, v107, v159, -v98
	v_fmac_f32_e32 v131, v102, v156
	v_add_f32_e32 v129, v129, v130
	v_add_f32_e32 v97, v97, v98
	v_mul_f32_e32 v98, v110, v147
	v_fmac_f32_e32 v132, v104, v157
	v_add_f32_e32 v129, v129, v131
	s_waitcnt vmcnt(26)
	v_fma_f32 v98, v109, v160, -v98
	v_fmac_f32_e32 v133, v106, v158
	v_add_f32_e32 v129, v129, v132
	v_add_f32_e32 v97, v97, v98
	v_mul_f32_e32 v98, v112, v148
	;; [unrolled: 8-line block ×4, first 2 shown]
	s_waitcnt vmcnt(23)
	v_fmac_f32_e32 v138, v116, v163
	v_add_f32_e32 v129, v129, v137
	v_fma_f32 v98, v115, v163, -v98
	s_waitcnt vmcnt(22)
	v_fmac_f32_e32 v139, v118, v164
	v_add_f32_e32 v129, v129, v138
	v_add_f32_e32 v97, v97, v98
	v_mul_f32_e32 v98, v118, v151
	s_waitcnt vmcnt(21)
	v_fmac_f32_e32 v140, v120, v165
	v_add_f32_e32 v129, v129, v139
	v_fma_f32 v98, v117, v164, -v98
	s_waitcnt vmcnt(20)
	v_fmac_f32_e32 v187, v122, v166
	v_add_f32_e32 v129, v129, v140
	s_waitcnt vmcnt(19)
	v_mul_f32_e32 v130, v123, v167
	v_add_f32_e32 v97, v97, v98
	v_mul_f32_e32 v98, v120, v152
	v_add_f32_e32 v129, v129, v187
	s_waitcnt vmcnt(18)
	v_fmac_f32_e32 v130, v124, v168
	v_fma_f32 v98, v119, v165, -v98
	v_add_f32_e32 v129, v129, v130
	s_waitcnt vmcnt(17) lgkmcnt(0)
	v_mul_f32_e32 v130, v125, v169
	v_add_f32_e32 v97, v97, v98
	v_mul_f32_e32 v98, v122, v153
	s_waitcnt vmcnt(16)
	v_fmac_f32_e32 v130, v126, v170
	v_fma_f32 v98, v121, v166, -v98
	v_add_f32_e32 v133, v129, v130
	ds_read2_b64 v[129:132], v96 offset0:89 offset1:90
	v_add_f32_e32 v97, v97, v98
	v_mul_f32_e32 v98, v124, v167
	v_fma_f32 v98, v123, v168, -v98
	v_add_f32_e32 v97, v97, v98
	v_mul_f32_e32 v98, v126, v169
	s_waitcnt vmcnt(15)
	v_mul_f32_e32 v134, v127, v171
	v_fma_f32 v98, v125, v170, -v98
	s_waitcnt vmcnt(14)
	v_fmac_f32_e32 v134, v128, v172
	v_add_f32_e32 v97, v97, v98
	v_mul_f32_e32 v98, v128, v171
	v_add_f32_e32 v137, v133, v134
	ds_read2_b64 v[133:136], v96 offset0:91 offset1:92
	s_waitcnt vmcnt(13) lgkmcnt(1)
	v_mul_f32_e32 v138, v129, v173
	v_fma_f32 v98, v127, v172, -v98
	s_waitcnt vmcnt(12)
	v_fmac_f32_e32 v138, v130, v174
	v_add_f32_e32 v97, v97, v98
	v_mul_f32_e32 v98, v130, v173
	v_add_f32_e32 v137, v137, v138
	s_waitcnt vmcnt(11)
	v_mul_f32_e32 v138, v131, v175
	v_fma_f32 v98, v129, v174, -v98
	s_waitcnt vmcnt(10)
	v_fmac_f32_e32 v138, v132, v176
	v_add_f32_e32 v97, v97, v98
	v_mul_f32_e32 v98, v132, v175
	v_add_f32_e32 v187, v137, v138
	ds_read2_b64 v[137:140], v96 offset0:93 offset1:94
	v_fma_f32 v98, v131, v176, -v98
	v_add_f32_e32 v97, v97, v98
	s_waitcnt vmcnt(9) lgkmcnt(1)
	v_mul_f32_e32 v98, v134, v177
	v_mul_f32_e32 v188, v133, v177
	s_waitcnt vmcnt(8)
	v_fma_f32 v98, v133, v178, -v98
	v_fmac_f32_e32 v188, v134, v178
	v_add_f32_e32 v97, v97, v98
	s_waitcnt vmcnt(7)
	v_mul_f32_e32 v98, v136, v179
	v_add_f32_e32 v96, v187, v188
	v_mul_f32_e32 v187, v135, v179
	s_waitcnt vmcnt(6)
	v_fma_f32 v98, v135, v180, -v98
	v_fmac_f32_e32 v187, v136, v180
	v_add_f32_e32 v97, v97, v98
	s_waitcnt vmcnt(5) lgkmcnt(0)
	v_mul_f32_e32 v98, v138, v181
	v_add_f32_e32 v96, v96, v187
	v_mul_f32_e32 v187, v137, v181
	s_waitcnt vmcnt(4)
	v_fma_f32 v98, v137, v182, -v98
	v_fmac_f32_e32 v187, v138, v182
	v_add_f32_e32 v97, v97, v98
	s_waitcnt vmcnt(3)
	v_mul_f32_e32 v98, v140, v183
	v_add_f32_e32 v96, v96, v187
	v_mul_f32_e32 v187, v139, v183
	s_waitcnt vmcnt(2)
	v_fma_f32 v98, v139, v184, -v98
	v_fmac_f32_e32 v187, v140, v184
	v_add_f32_e32 v97, v97, v98
	v_add_f32_e32 v96, v96, v187
	s_waitcnt vmcnt(1)
	v_sub_f32_e32 v97, v185, v97
	s_waitcnt vmcnt(0)
	v_sub_f32_e32 v96, v186, v96
	buffer_store_dword v97, off, s[0:3], 0 offset:192
	buffer_store_dword v96, off, s[0:3], 0 offset:196
	s_and_saveexec_b64 s[4:5], vcc
	s_cbranch_execz .LBB110_249
; %bb.248:
	buffer_load_dword v96, off, s[0:3], 0 offset:184
	buffer_load_dword v97, off, s[0:3], 0 offset:188
	v_mov_b32_e32 v98, 0
	buffer_store_dword v98, off, s[0:3], 0 offset:184
	buffer_store_dword v98, off, s[0:3], 0 offset:188
	s_waitcnt vmcnt(2)
	ds_write_b64 v95, v[96:97]
.LBB110_249:
	s_or_b64 exec, exec, s[4:5]
	s_waitcnt lgkmcnt(0)
	; wave barrier
	buffer_load_dword v143, off, s[0:3], 0 offset:196
	buffer_load_dword v144, off, s[0:3], 0 offset:204
	;; [unrolled: 1-line block ×48, first 2 shown]
	v_mov_b32_e32 v96, 0
	ds_read_b128 v[97:100], v96 offset:576
	ds_read_b128 v[101:104], v96 offset:592
	;; [unrolled: 1-line block ×7, first 2 shown]
	v_cmp_lt_u32_e32 vcc, 22, v0
	s_waitcnt vmcnt(47) lgkmcnt(6)
	v_mul_f32_e32 v125, v97, v143
	s_waitcnt vmcnt(46)
	v_mul_f32_e32 v126, v99, v144
	s_waitcnt vmcnt(45) lgkmcnt(5)
	v_mul_f32_e32 v127, v101, v145
	s_waitcnt vmcnt(44)
	v_mul_f32_e32 v128, v103, v146
	;; [unrolled: 4-line block ×6, first 2 shown]
	s_waitcnt vmcnt(35)
	v_fmac_f32_e32 v125, v98, v155
	v_mul_f32_e32 v98, v98, v143
	v_fma_f32 v97, v97, v155, -v98
	v_mul_f32_e32 v98, v100, v144
	v_add_f32_e32 v97, 0, v97
	s_waitcnt vmcnt(34)
	v_fma_f32 v98, v99, v156, -v98
	v_add_f32_e32 v97, v97, v98
	v_mul_f32_e32 v98, v102, v145
	s_waitcnt vmcnt(33)
	v_fma_f32 v98, v101, v157, -v98
	v_fmac_f32_e32 v126, v100, v156
	v_add_f32_e32 v125, 0, v125
	v_add_f32_e32 v97, v97, v98
	v_mul_f32_e32 v98, v104, v146
	v_fmac_f32_e32 v127, v102, v157
	v_add_f32_e32 v125, v125, v126
	s_waitcnt vmcnt(32)
	v_fma_f32 v98, v103, v158, -v98
	v_fmac_f32_e32 v128, v104, v158
	v_add_f32_e32 v125, v125, v127
	v_add_f32_e32 v97, v97, v98
	v_mul_f32_e32 v98, v106, v147
	s_waitcnt vmcnt(31)
	v_fmac_f32_e32 v129, v106, v159
	v_add_f32_e32 v125, v125, v128
	v_fma_f32 v98, v105, v159, -v98
	s_waitcnt vmcnt(30)
	v_fmac_f32_e32 v130, v108, v160
	v_add_f32_e32 v125, v125, v129
	v_add_f32_e32 v97, v97, v98
	v_mul_f32_e32 v98, v108, v148
	s_waitcnt vmcnt(29)
	v_fmac_f32_e32 v131, v110, v161
	v_add_f32_e32 v125, v125, v130
	v_fma_f32 v98, v107, v160, -v98
	s_waitcnt vmcnt(28)
	;; [unrolled: 9-line block ×4, first 2 shown]
	v_fmac_f32_e32 v136, v120, v166
	v_add_f32_e32 v125, v125, v135
	v_add_f32_e32 v97, v97, v98
	v_mul_f32_e32 v98, v114, v151
	v_add_f32_e32 v129, v125, v136
	ds_read_b128 v[125:128], v96 offset:688
	v_fma_f32 v98, v113, v163, -v98
	s_waitcnt vmcnt(23) lgkmcnt(1)
	v_mul_f32_e32 v130, v121, v167
	v_add_f32_e32 v97, v97, v98
	v_mul_f32_e32 v98, v116, v152
	s_waitcnt vmcnt(22)
	v_fmac_f32_e32 v130, v122, v168
	v_fma_f32 v98, v115, v164, -v98
	v_add_f32_e32 v129, v129, v130
	s_waitcnt vmcnt(21)
	v_mul_f32_e32 v130, v123, v169
	v_add_f32_e32 v97, v97, v98
	v_mul_f32_e32 v98, v118, v153
	s_waitcnt vmcnt(20)
	v_fmac_f32_e32 v130, v124, v170
	v_fma_f32 v98, v117, v165, -v98
	v_add_f32_e32 v129, v129, v130
	s_waitcnt vmcnt(19) lgkmcnt(0)
	v_mul_f32_e32 v130, v125, v171
	v_add_f32_e32 v97, v97, v98
	v_mul_f32_e32 v98, v120, v154
	s_waitcnt vmcnt(18)
	v_fmac_f32_e32 v130, v126, v172
	v_fma_f32 v98, v119, v166, -v98
	v_add_f32_e32 v133, v129, v130
	ds_read_b128 v[129:132], v96 offset:704
	v_add_f32_e32 v97, v97, v98
	v_mul_f32_e32 v98, v122, v167
	v_fma_f32 v98, v121, v168, -v98
	s_waitcnt vmcnt(17)
	v_mul_f32_e32 v134, v127, v173
	v_add_f32_e32 v97, v97, v98
	v_mul_f32_e32 v98, v124, v169
	s_waitcnt vmcnt(16)
	v_fmac_f32_e32 v134, v128, v174
	v_fma_f32 v98, v123, v170, -v98
	v_add_f32_e32 v137, v133, v134
	ds_read_b128 v[133:136], v96 offset:720
	v_add_f32_e32 v97, v97, v98
	v_mul_f32_e32 v98, v126, v171
	s_waitcnt vmcnt(15) lgkmcnt(1)
	v_mul_f32_e32 v138, v129, v175
	v_fma_f32 v98, v125, v172, -v98
	s_waitcnt vmcnt(14)
	v_fmac_f32_e32 v138, v130, v176
	v_add_f32_e32 v97, v97, v98
	v_mul_f32_e32 v98, v128, v173
	v_add_f32_e32 v137, v137, v138
	s_waitcnt vmcnt(13)
	v_mul_f32_e32 v138, v131, v177
	v_fma_f32 v98, v127, v174, -v98
	s_waitcnt vmcnt(12)
	v_fmac_f32_e32 v138, v132, v178
	v_add_f32_e32 v97, v97, v98
	v_mul_f32_e32 v98, v130, v175
	v_add_f32_e32 v137, v137, v138
	s_waitcnt vmcnt(11) lgkmcnt(0)
	v_mul_f32_e32 v138, v133, v179
	v_fma_f32 v98, v129, v176, -v98
	s_waitcnt vmcnt(10)
	v_fmac_f32_e32 v138, v134, v180
	v_add_f32_e32 v97, v97, v98
	v_mul_f32_e32 v98, v132, v177
	v_add_f32_e32 v141, v137, v138
	ds_read_b128 v[137:140], v96 offset:736
	v_fma_f32 v98, v131, v178, -v98
	v_add_f32_e32 v97, v97, v98
	v_mul_f32_e32 v98, v134, v179
	s_waitcnt vmcnt(9)
	v_mul_f32_e32 v142, v135, v181
	v_fma_f32 v98, v133, v180, -v98
	s_waitcnt vmcnt(8)
	v_fmac_f32_e32 v142, v136, v182
	v_add_f32_e32 v97, v97, v98
	v_mul_f32_e32 v98, v136, v181
	v_add_f32_e32 v191, v141, v142
	ds_read_b64 v[141:142], v96 offset:752
	v_fma_f32 v98, v135, v182, -v98
	v_add_f32_e32 v97, v97, v98
	s_waitcnt vmcnt(6) lgkmcnt(1)
	v_mul_f32_e32 v98, v138, v184
	v_mul_f32_e32 v192, v137, v184
	v_fma_f32 v98, v137, v183, -v98
	v_fmac_f32_e32 v192, v138, v183
	v_add_f32_e32 v97, v97, v98
	s_waitcnt vmcnt(3)
	v_mul_f32_e32 v98, v140, v187
	v_add_f32_e32 v191, v191, v192
	v_mul_f32_e32 v192, v139, v187
	s_waitcnt vmcnt(2)
	v_fma_f32 v98, v139, v188, -v98
	v_fmac_f32_e32 v192, v140, v188
	v_add_f32_e32 v97, v97, v98
	s_waitcnt vmcnt(0) lgkmcnt(0)
	v_mul_f32_e32 v98, v142, v190
	v_add_f32_e32 v191, v191, v192
	v_mul_f32_e32 v192, v141, v190
	v_fma_f32 v98, v141, v189, -v98
	v_fmac_f32_e32 v192, v142, v189
	v_add_f32_e32 v97, v97, v98
	v_add_f32_e32 v191, v191, v192
	v_sub_f32_e32 v97, v185, v97
	v_sub_f32_e32 v98, v186, v191
	buffer_store_dword v97, off, s[0:3], 0 offset:184
	buffer_store_dword v98, off, s[0:3], 0 offset:188
	s_and_saveexec_b64 s[4:5], vcc
	s_cbranch_execz .LBB110_251
; %bb.250:
	buffer_load_dword v97, off, s[0:3], 0 offset:176
	buffer_load_dword v98, off, s[0:3], 0 offset:180
	s_waitcnt vmcnt(0)
	ds_write_b64 v95, v[97:98]
	buffer_store_dword v96, off, s[0:3], 0 offset:176
	buffer_store_dword v96, off, s[0:3], 0 offset:180
.LBB110_251:
	s_or_b64 exec, exec, s[4:5]
	s_waitcnt lgkmcnt(0)
	; wave barrier
	buffer_load_dword v145, off, s[0:3], 0 offset:188
	buffer_load_dword v146, off, s[0:3], 0 offset:196
	buffer_load_dword v147, off, s[0:3], 0 offset:204
	buffer_load_dword v148, off, s[0:3], 0 offset:212
	buffer_load_dword v149, off, s[0:3], 0 offset:220
	buffer_load_dword v150, off, s[0:3], 0 offset:228
	buffer_load_dword v151, off, s[0:3], 0 offset:236
	buffer_load_dword v152, off, s[0:3], 0 offset:244
	buffer_load_dword v153, off, s[0:3], 0 offset:252
	buffer_load_dword v154, off, s[0:3], 0 offset:260
	buffer_load_dword v155, off, s[0:3], 0 offset:268
	buffer_load_dword v156, off, s[0:3], 0 offset:276
	buffer_load_dword v157, off, s[0:3], 0 offset:184
	buffer_load_dword v158, off, s[0:3], 0 offset:192
	buffer_load_dword v159, off, s[0:3], 0 offset:200
	buffer_load_dword v160, off, s[0:3], 0 offset:208
	buffer_load_dword v161, off, s[0:3], 0 offset:216
	buffer_load_dword v162, off, s[0:3], 0 offset:224
	buffer_load_dword v163, off, s[0:3], 0 offset:232
	buffer_load_dword v164, off, s[0:3], 0 offset:240
	buffer_load_dword v165, off, s[0:3], 0 offset:248
	buffer_load_dword v166, off, s[0:3], 0 offset:256
	buffer_load_dword v167, off, s[0:3], 0 offset:264
	buffer_load_dword v168, off, s[0:3], 0 offset:272
	buffer_load_dword v169, off, s[0:3], 0 offset:284
	buffer_load_dword v170, off, s[0:3], 0 offset:280
	buffer_load_dword v171, off, s[0:3], 0 offset:292
	buffer_load_dword v172, off, s[0:3], 0 offset:288
	buffer_load_dword v173, off, s[0:3], 0 offset:300
	buffer_load_dword v174, off, s[0:3], 0 offset:296
	buffer_load_dword v175, off, s[0:3], 0 offset:308
	buffer_load_dword v176, off, s[0:3], 0 offset:304
	buffer_load_dword v177, off, s[0:3], 0 offset:316
	buffer_load_dword v178, off, s[0:3], 0 offset:312
	buffer_load_dword v179, off, s[0:3], 0 offset:324
	buffer_load_dword v180, off, s[0:3], 0 offset:320
	buffer_load_dword v181, off, s[0:3], 0 offset:332
	buffer_load_dword v182, off, s[0:3], 0 offset:328
	buffer_load_dword v183, off, s[0:3], 0 offset:340
	buffer_load_dword v184, off, s[0:3], 0 offset:336
	buffer_load_dword v185, off, s[0:3], 0 offset:176
	buffer_load_dword v186, off, s[0:3], 0 offset:180
	buffer_load_dword v187, off, s[0:3], 0 offset:348
	buffer_load_dword v188, off, s[0:3], 0 offset:344
	buffer_load_dword v189, off, s[0:3], 0 offset:352
	buffer_load_dword v190, off, s[0:3], 0 offset:356
	buffer_load_dword v191, off, s[0:3], 0 offset:360
	buffer_load_dword v192, off, s[0:3], 0 offset:364
	ds_read2_b64 v[97:100], v96 offset0:71 offset1:72
	ds_read2_b64 v[101:104], v96 offset0:73 offset1:74
	buffer_load_dword v193, off, s[0:3], 0 offset:368
	buffer_load_dword v194, off, s[0:3], 0 offset:372
	ds_read2_b64 v[105:108], v96 offset0:75 offset1:76
	ds_read2_b64 v[109:112], v96 offset0:77 offset1:78
	;; [unrolled: 1-line block ×5, first 2 shown]
	v_cmp_lt_u32_e32 vcc, 21, v0
	s_waitcnt vmcnt(49) lgkmcnt(6)
	v_mul_f32_e32 v125, v97, v145
	s_waitcnt vmcnt(48)
	v_mul_f32_e32 v126, v99, v146
	s_waitcnt vmcnt(47) lgkmcnt(5)
	v_mul_f32_e32 v127, v101, v147
	s_waitcnt vmcnt(46)
	v_mul_f32_e32 v128, v103, v148
	;; [unrolled: 4-line block ×6, first 2 shown]
	s_waitcnt vmcnt(37)
	v_fmac_f32_e32 v125, v98, v157
	v_mul_f32_e32 v98, v98, v145
	v_fma_f32 v97, v97, v157, -v98
	v_mul_f32_e32 v98, v100, v146
	v_add_f32_e32 v97, 0, v97
	s_waitcnt vmcnt(36)
	v_fma_f32 v98, v99, v158, -v98
	v_add_f32_e32 v97, v97, v98
	v_mul_f32_e32 v98, v102, v147
	s_waitcnt vmcnt(35)
	v_fma_f32 v98, v101, v159, -v98
	v_fmac_f32_e32 v126, v100, v158
	v_add_f32_e32 v125, 0, v125
	v_add_f32_e32 v97, v97, v98
	v_mul_f32_e32 v98, v104, v148
	v_fmac_f32_e32 v127, v102, v159
	v_add_f32_e32 v125, v125, v126
	s_waitcnt vmcnt(34)
	v_fma_f32 v98, v103, v160, -v98
	v_fmac_f32_e32 v128, v104, v160
	v_add_f32_e32 v125, v125, v127
	v_add_f32_e32 v97, v97, v98
	v_mul_f32_e32 v98, v106, v149
	s_waitcnt vmcnt(33)
	v_fmac_f32_e32 v129, v106, v161
	v_add_f32_e32 v125, v125, v128
	v_fma_f32 v98, v105, v161, -v98
	s_waitcnt vmcnt(32)
	v_fmac_f32_e32 v130, v108, v162
	v_add_f32_e32 v125, v125, v129
	v_add_f32_e32 v97, v97, v98
	v_mul_f32_e32 v98, v108, v150
	s_waitcnt vmcnt(31)
	v_fmac_f32_e32 v131, v110, v163
	v_add_f32_e32 v125, v125, v130
	v_fma_f32 v98, v107, v162, -v98
	s_waitcnt vmcnt(30)
	;; [unrolled: 9-line block ×3, first 2 shown]
	v_fmac_f32_e32 v134, v116, v166
	v_add_f32_e32 v125, v125, v133
	v_add_f32_e32 v97, v97, v98
	v_mul_f32_e32 v98, v112, v152
	s_waitcnt vmcnt(27)
	v_fmac_f32_e32 v135, v118, v167
	v_add_f32_e32 v125, v125, v134
	v_fma_f32 v98, v111, v164, -v98
	v_add_f32_e32 v125, v125, v135
	s_waitcnt vmcnt(26)
	v_fmac_f32_e32 v136, v120, v168
	v_add_f32_e32 v97, v97, v98
	v_mul_f32_e32 v98, v114, v153
	v_add_f32_e32 v129, v125, v136
	ds_read2_b64 v[125:128], v96 offset0:85 offset1:86
	v_fma_f32 v98, v113, v165, -v98
	s_waitcnt vmcnt(25) lgkmcnt(1)
	v_mul_f32_e32 v130, v121, v169
	v_add_f32_e32 v97, v97, v98
	v_mul_f32_e32 v98, v116, v154
	s_waitcnt vmcnt(24)
	v_fmac_f32_e32 v130, v122, v170
	v_fma_f32 v98, v115, v166, -v98
	v_add_f32_e32 v129, v129, v130
	s_waitcnt vmcnt(23)
	v_mul_f32_e32 v130, v123, v171
	v_add_f32_e32 v97, v97, v98
	v_mul_f32_e32 v98, v118, v155
	s_waitcnt vmcnt(22)
	v_fmac_f32_e32 v130, v124, v172
	v_fma_f32 v98, v117, v167, -v98
	v_add_f32_e32 v129, v129, v130
	s_waitcnt vmcnt(21) lgkmcnt(0)
	v_mul_f32_e32 v130, v125, v173
	v_add_f32_e32 v97, v97, v98
	v_mul_f32_e32 v98, v120, v156
	s_waitcnt vmcnt(20)
	v_fmac_f32_e32 v130, v126, v174
	v_fma_f32 v98, v119, v168, -v98
	v_add_f32_e32 v133, v129, v130
	ds_read2_b64 v[129:132], v96 offset0:87 offset1:88
	v_add_f32_e32 v97, v97, v98
	v_mul_f32_e32 v98, v122, v169
	v_fma_f32 v98, v121, v170, -v98
	s_waitcnt vmcnt(19)
	v_mul_f32_e32 v134, v127, v175
	v_add_f32_e32 v97, v97, v98
	v_mul_f32_e32 v98, v124, v171
	s_waitcnt vmcnt(18)
	v_fmac_f32_e32 v134, v128, v176
	v_fma_f32 v98, v123, v172, -v98
	v_add_f32_e32 v137, v133, v134
	ds_read2_b64 v[133:136], v96 offset0:89 offset1:90
	v_add_f32_e32 v97, v97, v98
	v_mul_f32_e32 v98, v126, v173
	s_waitcnt vmcnt(17) lgkmcnt(1)
	v_mul_f32_e32 v138, v129, v177
	v_fma_f32 v98, v125, v174, -v98
	s_waitcnt vmcnt(16)
	v_fmac_f32_e32 v138, v130, v178
	v_add_f32_e32 v97, v97, v98
	v_mul_f32_e32 v98, v128, v175
	v_add_f32_e32 v137, v137, v138
	s_waitcnt vmcnt(15)
	v_mul_f32_e32 v138, v131, v179
	v_fma_f32 v98, v127, v176, -v98
	s_waitcnt vmcnt(14)
	v_fmac_f32_e32 v138, v132, v180
	v_add_f32_e32 v97, v97, v98
	v_mul_f32_e32 v98, v130, v177
	v_add_f32_e32 v137, v137, v138
	s_waitcnt vmcnt(13) lgkmcnt(0)
	v_mul_f32_e32 v138, v133, v181
	v_fma_f32 v98, v129, v178, -v98
	s_waitcnt vmcnt(12)
	v_fmac_f32_e32 v138, v134, v182
	v_add_f32_e32 v97, v97, v98
	v_mul_f32_e32 v98, v132, v179
	v_add_f32_e32 v141, v137, v138
	ds_read2_b64 v[137:140], v96 offset0:91 offset1:92
	v_fma_f32 v98, v131, v180, -v98
	v_add_f32_e32 v97, v97, v98
	v_mul_f32_e32 v98, v134, v181
	s_waitcnt vmcnt(11)
	v_mul_f32_e32 v142, v135, v183
	v_fma_f32 v98, v133, v182, -v98
	s_waitcnt vmcnt(10)
	v_fmac_f32_e32 v142, v136, v184
	v_add_f32_e32 v97, v97, v98
	v_mul_f32_e32 v98, v136, v183
	v_add_f32_e32 v195, v141, v142
	ds_read2_b64 v[141:144], v96 offset0:93 offset1:94
	v_fma_f32 v98, v135, v184, -v98
	v_add_f32_e32 v97, v97, v98
	s_waitcnt vmcnt(7) lgkmcnt(1)
	v_mul_f32_e32 v98, v138, v187
	v_mul_f32_e32 v96, v137, v187
	s_waitcnt vmcnt(6)
	v_fma_f32 v98, v137, v188, -v98
	v_fmac_f32_e32 v96, v138, v188
	v_add_f32_e32 v97, v97, v98
	s_waitcnt vmcnt(4)
	v_mul_f32_e32 v98, v140, v190
	v_add_f32_e32 v96, v195, v96
	v_mul_f32_e32 v195, v139, v190
	v_fma_f32 v98, v139, v189, -v98
	v_fmac_f32_e32 v195, v140, v189
	v_add_f32_e32 v97, v97, v98
	s_waitcnt vmcnt(2) lgkmcnt(0)
	v_mul_f32_e32 v98, v142, v192
	v_add_f32_e32 v96, v96, v195
	v_mul_f32_e32 v195, v141, v192
	v_fma_f32 v98, v141, v191, -v98
	v_fmac_f32_e32 v195, v142, v191
	v_add_f32_e32 v97, v97, v98
	s_waitcnt vmcnt(0)
	v_mul_f32_e32 v98, v144, v194
	v_add_f32_e32 v96, v96, v195
	v_mul_f32_e32 v195, v143, v194
	v_fma_f32 v98, v143, v193, -v98
	v_fmac_f32_e32 v195, v144, v193
	v_add_f32_e32 v97, v97, v98
	v_add_f32_e32 v96, v96, v195
	v_sub_f32_e32 v97, v185, v97
	v_sub_f32_e32 v96, v186, v96
	buffer_store_dword v97, off, s[0:3], 0 offset:176
	buffer_store_dword v96, off, s[0:3], 0 offset:180
	s_and_saveexec_b64 s[4:5], vcc
	s_cbranch_execz .LBB110_253
; %bb.252:
	buffer_load_dword v96, off, s[0:3], 0 offset:168
	buffer_load_dword v97, off, s[0:3], 0 offset:172
	v_mov_b32_e32 v98, 0
	buffer_store_dword v98, off, s[0:3], 0 offset:168
	buffer_store_dword v98, off, s[0:3], 0 offset:172
	s_waitcnt vmcnt(2)
	ds_write_b64 v95, v[96:97]
.LBB110_253:
	s_or_b64 exec, exec, s[4:5]
	s_waitcnt lgkmcnt(0)
	; wave barrier
	buffer_load_dword v147, off, s[0:3], 0 offset:180
	buffer_load_dword v148, off, s[0:3], 0 offset:188
	;; [unrolled: 1-line block ×52, first 2 shown]
	v_mov_b32_e32 v96, 0
	ds_read_b128 v[97:100], v96 offset:560
	ds_read_b128 v[101:104], v96 offset:576
	ds_read_b128 v[105:108], v96 offset:592
	ds_read_b128 v[109:112], v96 offset:608
	ds_read_b128 v[113:116], v96 offset:624
	ds_read_b128 v[117:120], v96 offset:640
	v_cmp_lt_u32_e32 vcc, 20, v0
	s_waitcnt vmcnt(51) lgkmcnt(5)
	v_mul_f32_e32 v121, v97, v147
	s_waitcnt vmcnt(50)
	v_mul_f32_e32 v122, v99, v148
	s_waitcnt vmcnt(49) lgkmcnt(4)
	v_mul_f32_e32 v123, v101, v149
	s_waitcnt vmcnt(48)
	v_mul_f32_e32 v124, v103, v150
	;; [unrolled: 4-line block ×5, first 2 shown]
	s_waitcnt vmcnt(41) lgkmcnt(0)
	v_mul_f32_e32 v131, v117, v157
	s_waitcnt vmcnt(40)
	v_fmac_f32_e32 v121, v98, v158
	v_mul_f32_e32 v98, v98, v147
	s_waitcnt vmcnt(39)
	v_fmac_f32_e32 v122, v100, v159
	v_add_f32_e32 v121, 0, v121
	v_fma_f32 v97, v97, v158, -v98
	v_mul_f32_e32 v98, v100, v148
	s_waitcnt vmcnt(38)
	v_fmac_f32_e32 v123, v102, v160
	v_add_f32_e32 v121, v121, v122
	v_add_f32_e32 v97, 0, v97
	v_fma_f32 v98, v99, v159, -v98
	s_waitcnt vmcnt(37)
	v_fmac_f32_e32 v124, v104, v161
	v_add_f32_e32 v121, v121, v123
	v_add_f32_e32 v97, v97, v98
	v_mul_f32_e32 v98, v102, v149
	s_waitcnt vmcnt(36)
	v_fmac_f32_e32 v125, v106, v162
	v_add_f32_e32 v121, v121, v124
	v_fma_f32 v98, v101, v160, -v98
	s_waitcnt vmcnt(35)
	v_fmac_f32_e32 v126, v108, v163
	v_add_f32_e32 v121, v121, v125
	v_add_f32_e32 v97, v97, v98
	v_mul_f32_e32 v98, v104, v150
	s_waitcnt vmcnt(34)
	v_fmac_f32_e32 v127, v110, v164
	;; [unrolled: 9-line block ×3, first 2 shown]
	v_add_f32_e32 v121, v121, v128
	v_fma_f32 v98, v105, v162, -v98
	s_waitcnt vmcnt(31)
	v_fmac_f32_e32 v130, v116, v167
	v_add_f32_e32 v121, v121, v129
	v_add_f32_e32 v97, v97, v98
	v_mul_f32_e32 v98, v108, v152
	v_add_f32_e32 v121, v121, v130
	s_waitcnt vmcnt(30)
	v_fmac_f32_e32 v131, v118, v168
	v_fma_f32 v98, v107, v163, -v98
	v_add_f32_e32 v125, v121, v131
	ds_read_b128 v[121:124], v96 offset:656
	v_add_f32_e32 v97, v97, v98
	v_mul_f32_e32 v98, v110, v153
	v_fma_f32 v98, v109, v164, -v98
	s_waitcnt vmcnt(29)
	v_mul_f32_e32 v126, v119, v169
	v_add_f32_e32 v97, v97, v98
	v_mul_f32_e32 v98, v112, v154
	s_waitcnt vmcnt(28)
	v_fmac_f32_e32 v126, v120, v170
	v_fma_f32 v98, v111, v165, -v98
	v_add_f32_e32 v129, v125, v126
	ds_read_b128 v[125:128], v96 offset:672
	v_add_f32_e32 v97, v97, v98
	v_mul_f32_e32 v98, v114, v155
	s_waitcnt vmcnt(27) lgkmcnt(1)
	v_mul_f32_e32 v130, v121, v171
	v_fma_f32 v98, v113, v166, -v98
	s_waitcnt vmcnt(26)
	v_fmac_f32_e32 v130, v122, v172
	v_add_f32_e32 v97, v97, v98
	v_mul_f32_e32 v98, v116, v156
	v_add_f32_e32 v129, v129, v130
	s_waitcnt vmcnt(25)
	v_mul_f32_e32 v130, v123, v173
	v_fma_f32 v98, v115, v167, -v98
	s_waitcnt vmcnt(24)
	v_fmac_f32_e32 v130, v124, v174
	v_add_f32_e32 v97, v97, v98
	v_mul_f32_e32 v98, v118, v157
	v_add_f32_e32 v129, v129, v130
	s_waitcnt vmcnt(23) lgkmcnt(0)
	v_mul_f32_e32 v130, v125, v175
	v_fma_f32 v98, v117, v168, -v98
	s_waitcnt vmcnt(22)
	v_fmac_f32_e32 v130, v126, v176
	v_add_f32_e32 v97, v97, v98
	v_mul_f32_e32 v98, v120, v169
	v_add_f32_e32 v133, v129, v130
	ds_read_b128 v[129:132], v96 offset:688
	v_fma_f32 v98, v119, v170, -v98
	v_add_f32_e32 v97, v97, v98
	v_mul_f32_e32 v98, v122, v171
	s_waitcnt vmcnt(21)
	v_mul_f32_e32 v134, v127, v177
	v_fma_f32 v98, v121, v172, -v98
	s_waitcnt vmcnt(20)
	v_fmac_f32_e32 v134, v128, v178
	v_add_f32_e32 v97, v97, v98
	v_mul_f32_e32 v98, v124, v173
	v_add_f32_e32 v137, v133, v134
	ds_read_b128 v[133:136], v96 offset:704
	v_fma_f32 v98, v123, v174, -v98
	s_waitcnt vmcnt(19) lgkmcnt(1)
	v_mul_f32_e32 v138, v129, v179
	v_add_f32_e32 v97, v97, v98
	v_mul_f32_e32 v98, v126, v175
	s_waitcnt vmcnt(18)
	v_fmac_f32_e32 v138, v130, v180
	v_fma_f32 v98, v125, v176, -v98
	v_add_f32_e32 v137, v137, v138
	s_waitcnt vmcnt(17)
	v_mul_f32_e32 v138, v131, v181
	v_add_f32_e32 v97, v97, v98
	v_mul_f32_e32 v98, v128, v177
	s_waitcnt vmcnt(16)
	v_fmac_f32_e32 v138, v132, v182
	v_fma_f32 v98, v127, v178, -v98
	v_add_f32_e32 v137, v137, v138
	s_waitcnt vmcnt(14) lgkmcnt(0)
	v_mul_f32_e32 v138, v133, v184
	v_add_f32_e32 v97, v97, v98
	v_mul_f32_e32 v98, v130, v179
	v_fmac_f32_e32 v138, v134, v183
	v_fma_f32 v98, v129, v180, -v98
	v_add_f32_e32 v141, v137, v138
	ds_read_b128 v[137:140], v96 offset:720
	v_add_f32_e32 v97, v97, v98
	v_mul_f32_e32 v98, v132, v181
	v_fma_f32 v98, v131, v182, -v98
	v_add_f32_e32 v97, v97, v98
	v_mul_f32_e32 v98, v134, v184
	s_waitcnt vmcnt(11)
	v_mul_f32_e32 v142, v135, v187
	v_fma_f32 v98, v133, v183, -v98
	s_waitcnt vmcnt(10)
	v_fmac_f32_e32 v142, v136, v188
	v_add_f32_e32 v97, v97, v98
	v_mul_f32_e32 v98, v136, v187
	v_add_f32_e32 v145, v141, v142
	ds_read_b128 v[141:144], v96 offset:736
	s_waitcnt vmcnt(8) lgkmcnt(1)
	v_mul_f32_e32 v146, v137, v190
	v_fma_f32 v98, v135, v188, -v98
	v_fmac_f32_e32 v146, v138, v189
	v_add_f32_e32 v97, v97, v98
	v_mul_f32_e32 v98, v138, v190
	v_add_f32_e32 v145, v145, v146
	s_waitcnt vmcnt(6)
	v_mul_f32_e32 v146, v139, v192
	v_fma_f32 v98, v137, v189, -v98
	v_fmac_f32_e32 v146, v140, v191
	v_add_f32_e32 v97, v97, v98
	v_mul_f32_e32 v98, v140, v192
	v_add_f32_e32 v199, v145, v146
	ds_read_b64 v[145:146], v96 offset:752
	v_fma_f32 v98, v139, v191, -v98
	v_add_f32_e32 v97, v97, v98
	s_waitcnt vmcnt(4) lgkmcnt(1)
	v_mul_f32_e32 v98, v142, v194
	v_mul_f32_e32 v200, v141, v194
	v_fma_f32 v98, v141, v193, -v98
	v_fmac_f32_e32 v200, v142, v193
	v_add_f32_e32 v97, v97, v98
	s_waitcnt vmcnt(2)
	v_mul_f32_e32 v98, v144, v196
	v_add_f32_e32 v199, v199, v200
	v_mul_f32_e32 v200, v143, v196
	v_fma_f32 v98, v143, v195, -v98
	v_fmac_f32_e32 v200, v144, v195
	v_add_f32_e32 v97, v97, v98
	s_waitcnt vmcnt(0) lgkmcnt(0)
	v_mul_f32_e32 v98, v146, v198
	v_add_f32_e32 v199, v199, v200
	v_mul_f32_e32 v200, v145, v198
	v_fma_f32 v98, v145, v197, -v98
	v_fmac_f32_e32 v200, v146, v197
	v_add_f32_e32 v97, v97, v98
	v_add_f32_e32 v199, v199, v200
	v_sub_f32_e32 v97, v185, v97
	v_sub_f32_e32 v98, v186, v199
	buffer_store_dword v97, off, s[0:3], 0 offset:168
	buffer_store_dword v98, off, s[0:3], 0 offset:172
	s_and_saveexec_b64 s[4:5], vcc
	s_cbranch_execz .LBB110_255
; %bb.254:
	buffer_load_dword v97, off, s[0:3], 0 offset:160
	buffer_load_dword v98, off, s[0:3], 0 offset:164
	s_waitcnt vmcnt(0)
	ds_write_b64 v95, v[97:98]
	buffer_store_dword v96, off, s[0:3], 0 offset:160
	buffer_store_dword v96, off, s[0:3], 0 offset:164
.LBB110_255:
	s_or_b64 exec, exec, s[4:5]
	s_waitcnt lgkmcnt(0)
	; wave barrier
	buffer_load_dword v149, off, s[0:3], 0 offset:172
	buffer_load_dword v150, off, s[0:3], 0 offset:180
	;; [unrolled: 1-line block ×42, first 2 shown]
	ds_read2_b64 v[97:100], v96 offset0:69 offset1:70
	ds_read2_b64 v[101:104], v96 offset0:71 offset1:72
	;; [unrolled: 1-line block ×4, first 2 shown]
	buffer_load_dword v191, off, s[0:3], 0 offset:332
	buffer_load_dword v192, off, s[0:3], 0 offset:328
	;; [unrolled: 1-line block ×6, first 2 shown]
	ds_read2_b64 v[113:116], v96 offset0:77 offset1:78
	ds_read2_b64 v[117:120], v96 offset0:79 offset1:80
	buffer_load_dword v197, off, s[0:3], 0 offset:352
	buffer_load_dword v198, off, s[0:3], 0 offset:356
	;; [unrolled: 1-line block ×6, first 2 shown]
	v_cmp_lt_u32_e32 vcc, 19, v0
	s_waitcnt vmcnt(53) lgkmcnt(5)
	v_mul_f32_e32 v121, v97, v149
	s_waitcnt vmcnt(52)
	v_mul_f32_e32 v122, v99, v150
	s_waitcnt vmcnt(51) lgkmcnt(4)
	v_mul_f32_e32 v123, v101, v151
	s_waitcnt vmcnt(50)
	v_mul_f32_e32 v124, v103, v152
	;; [unrolled: 4-line block ×5, first 2 shown]
	s_waitcnt vmcnt(43)
	v_fmac_f32_e32 v121, v98, v159
	v_mul_f32_e32 v98, v98, v149
	s_waitcnt vmcnt(42)
	v_fmac_f32_e32 v122, v100, v160
	v_add_f32_e32 v121, 0, v121
	v_fma_f32 v97, v97, v159, -v98
	v_mul_f32_e32 v98, v100, v150
	s_waitcnt vmcnt(41)
	v_fmac_f32_e32 v123, v102, v161
	v_add_f32_e32 v121, v121, v122
	v_add_f32_e32 v97, 0, v97
	v_fma_f32 v98, v99, v160, -v98
	s_waitcnt vmcnt(40)
	v_fmac_f32_e32 v124, v104, v162
	v_add_f32_e32 v121, v121, v123
	v_add_f32_e32 v97, v97, v98
	v_mul_f32_e32 v98, v102, v151
	s_waitcnt vmcnt(39)
	v_fmac_f32_e32 v125, v106, v163
	v_add_f32_e32 v121, v121, v124
	v_fma_f32 v98, v101, v161, -v98
	s_waitcnt vmcnt(38)
	v_fmac_f32_e32 v126, v108, v164
	v_add_f32_e32 v121, v121, v125
	v_add_f32_e32 v97, v97, v98
	v_mul_f32_e32 v98, v104, v152
	s_waitcnt vmcnt(37)
	v_fmac_f32_e32 v127, v110, v165
	;; [unrolled: 9-line block ×3, first 2 shown]
	v_add_f32_e32 v121, v121, v128
	v_fma_f32 v98, v105, v163, -v98
	s_waitcnt vmcnt(34)
	v_fmac_f32_e32 v130, v116, v168
	v_add_f32_e32 v121, v121, v129
	s_waitcnt vmcnt(33) lgkmcnt(0)
	v_mul_f32_e32 v122, v117, v169
	v_add_f32_e32 v97, v97, v98
	v_mul_f32_e32 v98, v108, v154
	v_add_f32_e32 v121, v121, v130
	s_waitcnt vmcnt(32)
	v_fmac_f32_e32 v122, v118, v170
	v_fma_f32 v98, v107, v164, -v98
	v_add_f32_e32 v125, v121, v122
	ds_read2_b64 v[121:124], v96 offset0:81 offset1:82
	v_add_f32_e32 v97, v97, v98
	v_mul_f32_e32 v98, v110, v155
	v_fma_f32 v98, v109, v165, -v98
	s_waitcnt vmcnt(31)
	v_mul_f32_e32 v126, v119, v171
	v_add_f32_e32 v97, v97, v98
	v_mul_f32_e32 v98, v112, v156
	s_waitcnt vmcnt(30)
	v_fmac_f32_e32 v126, v120, v172
	v_fma_f32 v98, v111, v166, -v98
	v_add_f32_e32 v129, v125, v126
	ds_read2_b64 v[125:128], v96 offset0:83 offset1:84
	v_add_f32_e32 v97, v97, v98
	v_mul_f32_e32 v98, v114, v157
	s_waitcnt vmcnt(29) lgkmcnt(1)
	v_mul_f32_e32 v130, v121, v173
	v_fma_f32 v98, v113, v167, -v98
	s_waitcnt vmcnt(28)
	v_fmac_f32_e32 v130, v122, v174
	v_add_f32_e32 v97, v97, v98
	v_mul_f32_e32 v98, v116, v158
	v_add_f32_e32 v129, v129, v130
	s_waitcnt vmcnt(27)
	v_mul_f32_e32 v130, v123, v175
	v_fma_f32 v98, v115, v168, -v98
	s_waitcnt vmcnt(26)
	v_fmac_f32_e32 v130, v124, v176
	v_add_f32_e32 v97, v97, v98
	v_mul_f32_e32 v98, v118, v169
	v_add_f32_e32 v129, v129, v130
	s_waitcnt vmcnt(25) lgkmcnt(0)
	v_mul_f32_e32 v130, v125, v177
	v_fma_f32 v98, v117, v170, -v98
	s_waitcnt vmcnt(24)
	v_fmac_f32_e32 v130, v126, v178
	v_add_f32_e32 v97, v97, v98
	v_mul_f32_e32 v98, v120, v171
	v_add_f32_e32 v133, v129, v130
	ds_read2_b64 v[129:132], v96 offset0:85 offset1:86
	v_fma_f32 v98, v119, v172, -v98
	v_add_f32_e32 v97, v97, v98
	v_mul_f32_e32 v98, v122, v173
	s_waitcnt vmcnt(23)
	v_mul_f32_e32 v134, v127, v179
	v_fma_f32 v98, v121, v174, -v98
	s_waitcnt vmcnt(22)
	v_fmac_f32_e32 v134, v128, v180
	v_add_f32_e32 v97, v97, v98
	v_mul_f32_e32 v98, v124, v175
	v_add_f32_e32 v137, v133, v134
	ds_read2_b64 v[133:136], v96 offset0:87 offset1:88
	v_fma_f32 v98, v123, v176, -v98
	s_waitcnt vmcnt(21) lgkmcnt(1)
	v_mul_f32_e32 v138, v129, v181
	v_add_f32_e32 v97, v97, v98
	v_mul_f32_e32 v98, v126, v177
	s_waitcnt vmcnt(20)
	v_fmac_f32_e32 v138, v130, v182
	v_fma_f32 v98, v125, v178, -v98
	v_add_f32_e32 v137, v137, v138
	s_waitcnt vmcnt(18)
	v_mul_f32_e32 v138, v131, v184
	v_add_f32_e32 v97, v97, v98
	v_mul_f32_e32 v98, v128, v179
	v_fmac_f32_e32 v138, v132, v183
	v_fma_f32 v98, v127, v180, -v98
	v_add_f32_e32 v137, v137, v138
	s_waitcnt vmcnt(15) lgkmcnt(0)
	v_mul_f32_e32 v138, v133, v187
	v_add_f32_e32 v97, v97, v98
	v_mul_f32_e32 v98, v130, v181
	s_waitcnt vmcnt(14)
	v_fmac_f32_e32 v138, v134, v188
	v_fma_f32 v98, v129, v182, -v98
	v_add_f32_e32 v141, v137, v138
	ds_read2_b64 v[137:140], v96 offset0:89 offset1:90
	v_add_f32_e32 v97, v97, v98
	v_mul_f32_e32 v98, v132, v184
	v_fma_f32 v98, v131, v183, -v98
	v_add_f32_e32 v97, v97, v98
	v_mul_f32_e32 v98, v134, v187
	s_waitcnt vmcnt(12)
	v_mul_f32_e32 v142, v135, v190
	v_fma_f32 v98, v133, v188, -v98
	v_fmac_f32_e32 v142, v136, v189
	v_add_f32_e32 v97, v97, v98
	v_mul_f32_e32 v98, v136, v190
	v_add_f32_e32 v145, v141, v142
	ds_read2_b64 v[141:144], v96 offset0:91 offset1:92
	s_waitcnt vmcnt(11) lgkmcnt(1)
	v_mul_f32_e32 v146, v137, v191
	v_fma_f32 v98, v135, v189, -v98
	s_waitcnt vmcnt(10)
	v_fmac_f32_e32 v146, v138, v192
	v_add_f32_e32 v97, v97, v98
	v_mul_f32_e32 v98, v138, v191
	v_add_f32_e32 v145, v145, v146
	s_waitcnt vmcnt(8)
	v_mul_f32_e32 v146, v139, v194
	v_fma_f32 v98, v137, v192, -v98
	v_fmac_f32_e32 v146, v140, v193
	v_add_f32_e32 v97, v97, v98
	v_mul_f32_e32 v98, v140, v194
	v_add_f32_e32 v203, v145, v146
	ds_read2_b64 v[145:148], v96 offset0:93 offset1:94
	v_fma_f32 v98, v139, v193, -v98
	v_add_f32_e32 v97, v97, v98
	s_waitcnt vmcnt(6) lgkmcnt(1)
	v_mul_f32_e32 v98, v142, v196
	v_mul_f32_e32 v204, v141, v196
	v_fma_f32 v98, v141, v195, -v98
	v_fmac_f32_e32 v204, v142, v195
	v_add_f32_e32 v97, v97, v98
	s_waitcnt vmcnt(4)
	v_mul_f32_e32 v98, v144, v198
	v_add_f32_e32 v96, v203, v204
	v_mul_f32_e32 v203, v143, v198
	v_fma_f32 v98, v143, v197, -v98
	v_fmac_f32_e32 v203, v144, v197
	v_add_f32_e32 v97, v97, v98
	s_waitcnt vmcnt(2) lgkmcnt(0)
	v_mul_f32_e32 v98, v146, v200
	v_add_f32_e32 v96, v96, v203
	v_mul_f32_e32 v203, v145, v200
	v_fma_f32 v98, v145, v199, -v98
	v_fmac_f32_e32 v203, v146, v199
	v_add_f32_e32 v97, v97, v98
	s_waitcnt vmcnt(0)
	v_mul_f32_e32 v98, v148, v202
	v_add_f32_e32 v96, v96, v203
	v_mul_f32_e32 v203, v147, v202
	v_fma_f32 v98, v147, v201, -v98
	v_fmac_f32_e32 v203, v148, v201
	v_add_f32_e32 v97, v97, v98
	v_add_f32_e32 v96, v96, v203
	v_sub_f32_e32 v97, v185, v97
	v_sub_f32_e32 v96, v186, v96
	buffer_store_dword v97, off, s[0:3], 0 offset:160
	buffer_store_dword v96, off, s[0:3], 0 offset:164
	s_and_saveexec_b64 s[4:5], vcc
	s_cbranch_execz .LBB110_257
; %bb.256:
	buffer_load_dword v96, off, s[0:3], 0 offset:152
	buffer_load_dword v97, off, s[0:3], 0 offset:156
	v_mov_b32_e32 v98, 0
	buffer_store_dword v98, off, s[0:3], 0 offset:152
	buffer_store_dword v98, off, s[0:3], 0 offset:156
	s_waitcnt vmcnt(2)
	ds_write_b64 v95, v[96:97]
.LBB110_257:
	s_or_b64 exec, exec, s[4:5]
	s_waitcnt lgkmcnt(0)
	; wave barrier
	buffer_load_dword v151, off, s[0:3], 0 offset:164
	buffer_load_dword v152, off, s[0:3], 0 offset:172
	;; [unrolled: 1-line block ×56, first 2 shown]
	v_mov_b32_e32 v96, 0
	ds_read_b128 v[97:100], v96 offset:544
	ds_read_b128 v[101:104], v96 offset:560
	;; [unrolled: 1-line block ×6, first 2 shown]
	v_cmp_lt_u32_e32 vcc, 18, v0
	s_waitcnt vmcnt(55) lgkmcnt(5)
	v_mul_f32_e32 v121, v97, v151
	s_waitcnt vmcnt(54)
	v_mul_f32_e32 v122, v99, v152
	s_waitcnt vmcnt(53) lgkmcnt(4)
	v_mul_f32_e32 v123, v101, v153
	s_waitcnt vmcnt(52)
	v_mul_f32_e32 v124, v103, v154
	;; [unrolled: 4-line block ×4, first 2 shown]
	s_waitcnt vmcnt(47) lgkmcnt(1)
	v_mul_f32_e32 v129, v113, v159
	s_waitcnt vmcnt(46)
	v_fmac_f32_e32 v121, v98, v160
	s_waitcnt vmcnt(45)
	v_fmac_f32_e32 v122, v100, v161
	v_add_f32_e32 v121, 0, v121
	s_waitcnt vmcnt(44)
	v_fmac_f32_e32 v123, v102, v162
	v_add_f32_e32 v121, v121, v122
	;; [unrolled: 3-line block ×3, first 2 shown]
	v_mul_f32_e32 v98, v98, v151
	s_waitcnt vmcnt(42)
	v_fmac_f32_e32 v125, v106, v164
	v_add_f32_e32 v121, v121, v124
	v_fma_f32 v97, v97, v160, -v98
	v_mul_f32_e32 v98, v100, v152
	s_waitcnt vmcnt(41)
	v_fmac_f32_e32 v126, v108, v165
	v_add_f32_e32 v121, v121, v125
	v_add_f32_e32 v97, 0, v97
	v_fma_f32 v98, v99, v161, -v98
	s_waitcnt vmcnt(40)
	v_fmac_f32_e32 v127, v110, v166
	v_add_f32_e32 v121, v121, v126
	v_add_f32_e32 v97, v97, v98
	v_mul_f32_e32 v98, v102, v153
	s_waitcnt vmcnt(39)
	v_fmac_f32_e32 v128, v112, v167
	v_add_f32_e32 v121, v121, v127
	v_fma_f32 v98, v101, v162, -v98
	v_add_f32_e32 v121, v121, v128
	s_waitcnt vmcnt(38)
	v_fmac_f32_e32 v129, v114, v168
	s_waitcnt vmcnt(37)
	v_mul_f32_e32 v122, v115, v169
	v_add_f32_e32 v97, v97, v98
	v_mul_f32_e32 v98, v104, v154
	v_add_f32_e32 v121, v121, v129
	s_waitcnt vmcnt(36)
	v_fmac_f32_e32 v122, v116, v170
	v_fma_f32 v98, v103, v163, -v98
	v_add_f32_e32 v121, v121, v122
	s_waitcnt vmcnt(35) lgkmcnt(0)
	v_mul_f32_e32 v122, v117, v171
	v_add_f32_e32 v97, v97, v98
	v_mul_f32_e32 v98, v106, v155
	s_waitcnt vmcnt(34)
	v_fmac_f32_e32 v122, v118, v172
	v_fma_f32 v98, v105, v164, -v98
	v_add_f32_e32 v125, v121, v122
	ds_read_b128 v[121:124], v96 offset:640
	v_add_f32_e32 v97, v97, v98
	v_mul_f32_e32 v98, v108, v156
	v_fma_f32 v98, v107, v165, -v98
	s_waitcnt vmcnt(33)
	v_mul_f32_e32 v126, v119, v173
	v_add_f32_e32 v97, v97, v98
	v_mul_f32_e32 v98, v110, v157
	s_waitcnt vmcnt(32)
	v_fmac_f32_e32 v126, v120, v174
	v_fma_f32 v98, v109, v166, -v98
	v_add_f32_e32 v129, v125, v126
	ds_read_b128 v[125:128], v96 offset:656
	v_add_f32_e32 v97, v97, v98
	v_mul_f32_e32 v98, v112, v158
	s_waitcnt vmcnt(31) lgkmcnt(1)
	v_mul_f32_e32 v130, v121, v175
	v_fma_f32 v98, v111, v167, -v98
	s_waitcnt vmcnt(30)
	v_fmac_f32_e32 v130, v122, v176
	v_add_f32_e32 v97, v97, v98
	v_mul_f32_e32 v98, v114, v159
	v_add_f32_e32 v129, v129, v130
	s_waitcnt vmcnt(29)
	v_mul_f32_e32 v130, v123, v177
	v_fma_f32 v98, v113, v168, -v98
	s_waitcnt vmcnt(28)
	v_fmac_f32_e32 v130, v124, v178
	v_add_f32_e32 v97, v97, v98
	v_mul_f32_e32 v98, v116, v169
	v_add_f32_e32 v129, v129, v130
	s_waitcnt vmcnt(27) lgkmcnt(0)
	v_mul_f32_e32 v130, v125, v179
	v_fma_f32 v98, v115, v170, -v98
	s_waitcnt vmcnt(26)
	v_fmac_f32_e32 v130, v126, v180
	v_add_f32_e32 v97, v97, v98
	v_mul_f32_e32 v98, v118, v171
	v_add_f32_e32 v133, v129, v130
	ds_read_b128 v[129:132], v96 offset:672
	v_fma_f32 v98, v117, v172, -v98
	v_add_f32_e32 v97, v97, v98
	v_mul_f32_e32 v98, v120, v173
	s_waitcnt vmcnt(24)
	v_mul_f32_e32 v134, v127, v182
	v_fma_f32 v98, v119, v174, -v98
	v_fmac_f32_e32 v134, v128, v181
	v_add_f32_e32 v97, v97, v98
	v_mul_f32_e32 v98, v122, v175
	v_add_f32_e32 v137, v133, v134
	ds_read_b128 v[133:136], v96 offset:688
	v_fma_f32 v98, v121, v176, -v98
	s_waitcnt vmcnt(21) lgkmcnt(1)
	v_mul_f32_e32 v138, v129, v185
	v_add_f32_e32 v97, v97, v98
	v_mul_f32_e32 v98, v124, v177
	s_waitcnt vmcnt(20)
	v_fmac_f32_e32 v138, v130, v186
	v_fma_f32 v98, v123, v178, -v98
	v_add_f32_e32 v137, v137, v138
	s_waitcnt vmcnt(18)
	v_mul_f32_e32 v138, v131, v188
	v_add_f32_e32 v97, v97, v98
	v_mul_f32_e32 v98, v126, v179
	v_fmac_f32_e32 v138, v132, v187
	v_fma_f32 v98, v125, v180, -v98
	v_add_f32_e32 v137, v137, v138
	s_waitcnt vmcnt(16) lgkmcnt(0)
	v_mul_f32_e32 v138, v133, v190
	v_add_f32_e32 v97, v97, v98
	v_mul_f32_e32 v98, v128, v182
	v_fmac_f32_e32 v138, v134, v189
	v_fma_f32 v98, v127, v181, -v98
	v_add_f32_e32 v141, v137, v138
	ds_read_b128 v[137:140], v96 offset:704
	v_add_f32_e32 v97, v97, v98
	v_mul_f32_e32 v98, v130, v185
	v_fma_f32 v98, v129, v186, -v98
	s_waitcnt vmcnt(14)
	v_mul_f32_e32 v142, v135, v192
	v_add_f32_e32 v97, v97, v98
	v_mul_f32_e32 v98, v132, v188
	v_fmac_f32_e32 v142, v136, v191
	v_fma_f32 v98, v131, v187, -v98
	v_add_f32_e32 v145, v141, v142
	ds_read_b128 v[141:144], v96 offset:720
	v_add_f32_e32 v97, v97, v98
	v_mul_f32_e32 v98, v134, v190
	s_waitcnt vmcnt(12) lgkmcnt(1)
	v_mul_f32_e32 v146, v137, v194
	v_fma_f32 v98, v133, v189, -v98
	v_fmac_f32_e32 v146, v138, v193
	v_add_f32_e32 v97, v97, v98
	v_mul_f32_e32 v98, v136, v192
	v_add_f32_e32 v145, v145, v146
	s_waitcnt vmcnt(10)
	v_mul_f32_e32 v146, v139, v196
	v_fma_f32 v98, v135, v191, -v98
	v_fmac_f32_e32 v146, v140, v195
	v_add_f32_e32 v97, v97, v98
	v_mul_f32_e32 v98, v138, v194
	v_add_f32_e32 v145, v145, v146
	s_waitcnt vmcnt(8) lgkmcnt(0)
	v_mul_f32_e32 v146, v141, v198
	v_fma_f32 v98, v137, v193, -v98
	v_fmac_f32_e32 v146, v142, v197
	v_add_f32_e32 v97, v97, v98
	v_mul_f32_e32 v98, v140, v196
	v_add_f32_e32 v149, v145, v146
	ds_read_b128 v[145:148], v96 offset:736
	v_fma_f32 v98, v139, v195, -v98
	v_add_f32_e32 v97, v97, v98
	v_mul_f32_e32 v98, v142, v198
	s_waitcnt vmcnt(6)
	v_mul_f32_e32 v150, v143, v200
	v_fma_f32 v98, v141, v197, -v98
	v_fmac_f32_e32 v150, v144, v199
	v_add_f32_e32 v97, v97, v98
	v_mul_f32_e32 v98, v144, v200
	v_add_f32_e32 v207, v149, v150
	ds_read_b64 v[149:150], v96 offset:752
	v_fma_f32 v98, v143, v199, -v98
	v_add_f32_e32 v97, v97, v98
	s_waitcnt vmcnt(4) lgkmcnt(1)
	v_mul_f32_e32 v98, v146, v202
	v_mul_f32_e32 v208, v145, v202
	v_fma_f32 v98, v145, v201, -v98
	v_fmac_f32_e32 v208, v146, v201
	v_add_f32_e32 v97, v97, v98
	s_waitcnt vmcnt(2)
	v_mul_f32_e32 v98, v148, v204
	v_add_f32_e32 v207, v207, v208
	v_mul_f32_e32 v208, v147, v204
	v_fma_f32 v98, v147, v203, -v98
	v_fmac_f32_e32 v208, v148, v203
	v_add_f32_e32 v97, v97, v98
	s_waitcnt vmcnt(0) lgkmcnt(0)
	v_mul_f32_e32 v98, v150, v206
	v_add_f32_e32 v207, v207, v208
	v_mul_f32_e32 v208, v149, v206
	v_fma_f32 v98, v149, v205, -v98
	v_fmac_f32_e32 v208, v150, v205
	v_add_f32_e32 v97, v97, v98
	v_add_f32_e32 v207, v207, v208
	v_sub_f32_e32 v97, v183, v97
	v_sub_f32_e32 v98, v184, v207
	buffer_store_dword v97, off, s[0:3], 0 offset:152
	buffer_store_dword v98, off, s[0:3], 0 offset:156
	s_and_saveexec_b64 s[4:5], vcc
	s_cbranch_execz .LBB110_259
; %bb.258:
	buffer_load_dword v97, off, s[0:3], 0 offset:144
	buffer_load_dword v98, off, s[0:3], 0 offset:148
	s_waitcnt vmcnt(0)
	ds_write_b64 v95, v[97:98]
	buffer_store_dword v96, off, s[0:3], 0 offset:144
	buffer_store_dword v96, off, s[0:3], 0 offset:148
.LBB110_259:
	s_or_b64 exec, exec, s[4:5]
	s_waitcnt lgkmcnt(0)
	; wave barrier
	buffer_load_dword v153, off, s[0:3], 0 offset:156
	buffer_load_dword v154, off, s[0:3], 0 offset:164
	;; [unrolled: 1-line block ×34, first 2 shown]
	ds_read2_b64 v[97:100], v96 offset0:67 offset1:68
	ds_read2_b64 v[101:104], v96 offset0:69 offset1:70
	buffer_load_dword v187, off, s[0:3], 0 offset:284
	buffer_load_dword v188, off, s[0:3], 0 offset:280
	;; [unrolled: 1-line block ×6, first 2 shown]
	ds_read2_b64 v[105:108], v96 offset0:71 offset1:72
	ds_read2_b64 v[109:112], v96 offset0:73 offset1:74
	;; [unrolled: 1-line block ×4, first 2 shown]
	buffer_load_dword v193, off, s[0:3], 0 offset:308
	buffer_load_dword v194, off, s[0:3], 0 offset:304
	;; [unrolled: 1-line block ×18, first 2 shown]
	v_cmp_lt_u32_e32 vcc, 17, v0
	s_waitcnt vmcnt(57) lgkmcnt(5)
	v_mul_f32_e32 v121, v97, v153
	s_waitcnt vmcnt(56)
	v_mul_f32_e32 v122, v99, v154
	s_waitcnt vmcnt(55) lgkmcnt(4)
	v_mul_f32_e32 v123, v101, v155
	s_waitcnt vmcnt(54)
	v_mul_f32_e32 v124, v103, v156
	;; [unrolled: 4-line block ×4, first 2 shown]
	s_waitcnt vmcnt(49)
	v_fmac_f32_e32 v121, v98, v161
	s_waitcnt vmcnt(48)
	v_fmac_f32_e32 v122, v100, v162
	v_add_f32_e32 v121, 0, v121
	s_waitcnt vmcnt(47)
	v_fmac_f32_e32 v123, v102, v163
	v_add_f32_e32 v121, v121, v122
	;; [unrolled: 3-line block ×4, first 2 shown]
	v_mul_f32_e32 v98, v98, v153
	s_waitcnt vmcnt(44)
	v_fmac_f32_e32 v126, v108, v166
	v_add_f32_e32 v121, v121, v125
	v_fma_f32 v97, v97, v161, -v98
	v_mul_f32_e32 v98, v100, v154
	s_waitcnt vmcnt(43)
	v_fmac_f32_e32 v127, v110, v167
	v_add_f32_e32 v121, v121, v126
	v_add_f32_e32 v97, 0, v97
	v_fma_f32 v98, v99, v162, -v98
	s_waitcnt vmcnt(42)
	v_fmac_f32_e32 v128, v112, v168
	v_add_f32_e32 v121, v121, v127
	s_waitcnt vmcnt(41) lgkmcnt(1)
	v_mul_f32_e32 v122, v113, v169
	v_add_f32_e32 v97, v97, v98
	v_mul_f32_e32 v98, v102, v155
	v_add_f32_e32 v121, v121, v128
	s_waitcnt vmcnt(40)
	v_fmac_f32_e32 v122, v114, v170
	v_fma_f32 v98, v101, v163, -v98
	v_add_f32_e32 v121, v121, v122
	s_waitcnt vmcnt(39)
	v_mul_f32_e32 v122, v115, v171
	v_add_f32_e32 v97, v97, v98
	v_mul_f32_e32 v98, v104, v156
	s_waitcnt vmcnt(38)
	v_fmac_f32_e32 v122, v116, v172
	v_fma_f32 v98, v103, v164, -v98
	v_add_f32_e32 v121, v121, v122
	s_waitcnt vmcnt(37) lgkmcnt(0)
	v_mul_f32_e32 v122, v117, v173
	v_add_f32_e32 v97, v97, v98
	v_mul_f32_e32 v98, v106, v157
	s_waitcnt vmcnt(36)
	v_fmac_f32_e32 v122, v118, v174
	v_fma_f32 v98, v105, v165, -v98
	v_add_f32_e32 v125, v121, v122
	ds_read2_b64 v[121:124], v96 offset0:79 offset1:80
	v_add_f32_e32 v97, v97, v98
	v_mul_f32_e32 v98, v108, v158
	v_fma_f32 v98, v107, v166, -v98
	s_waitcnt vmcnt(35)
	v_mul_f32_e32 v126, v119, v175
	v_add_f32_e32 v97, v97, v98
	v_mul_f32_e32 v98, v110, v159
	s_waitcnt vmcnt(34)
	v_fmac_f32_e32 v126, v120, v176
	v_fma_f32 v98, v109, v167, -v98
	v_add_f32_e32 v129, v125, v126
	ds_read2_b64 v[125:128], v96 offset0:81 offset1:82
	v_add_f32_e32 v97, v97, v98
	v_mul_f32_e32 v98, v112, v160
	s_waitcnt vmcnt(33) lgkmcnt(1)
	v_mul_f32_e32 v130, v121, v177
	v_fma_f32 v98, v111, v168, -v98
	s_waitcnt vmcnt(32)
	v_fmac_f32_e32 v130, v122, v178
	v_add_f32_e32 v97, v97, v98
	v_mul_f32_e32 v98, v114, v169
	v_add_f32_e32 v129, v129, v130
	s_waitcnt vmcnt(31)
	v_mul_f32_e32 v130, v123, v179
	v_fma_f32 v98, v113, v170, -v98
	s_waitcnt vmcnt(30)
	v_fmac_f32_e32 v130, v124, v180
	v_add_f32_e32 v97, v97, v98
	v_mul_f32_e32 v98, v116, v171
	v_add_f32_e32 v129, v129, v130
	s_waitcnt vmcnt(29) lgkmcnt(0)
	v_mul_f32_e32 v130, v125, v181
	v_fma_f32 v98, v115, v172, -v98
	s_waitcnt vmcnt(28)
	v_fmac_f32_e32 v130, v126, v182
	v_add_f32_e32 v97, v97, v98
	v_mul_f32_e32 v98, v118, v173
	v_add_f32_e32 v133, v129, v130
	ds_read2_b64 v[129:132], v96 offset0:83 offset1:84
	v_fma_f32 v98, v117, v174, -v98
	v_add_f32_e32 v97, v97, v98
	v_mul_f32_e32 v98, v120, v175
	s_waitcnt vmcnt(25)
	v_mul_f32_e32 v134, v127, v185
	v_fma_f32 v98, v119, v176, -v98
	s_waitcnt vmcnt(24)
	v_fmac_f32_e32 v134, v128, v186
	v_add_f32_e32 v97, v97, v98
	v_mul_f32_e32 v98, v122, v177
	v_add_f32_e32 v137, v133, v134
	ds_read2_b64 v[133:136], v96 offset0:85 offset1:86
	v_fma_f32 v98, v121, v178, -v98
	s_waitcnt vmcnt(23) lgkmcnt(1)
	v_mul_f32_e32 v138, v129, v187
	v_add_f32_e32 v97, v97, v98
	v_mul_f32_e32 v98, v124, v179
	s_waitcnt vmcnt(22)
	v_fmac_f32_e32 v138, v130, v188
	v_fma_f32 v98, v123, v180, -v98
	v_add_f32_e32 v137, v137, v138
	s_waitcnt vmcnt(20)
	v_mul_f32_e32 v138, v131, v190
	v_add_f32_e32 v97, v97, v98
	v_mul_f32_e32 v98, v126, v181
	v_fmac_f32_e32 v138, v132, v189
	v_fma_f32 v98, v125, v182, -v98
	v_add_f32_e32 v137, v137, v138
	s_waitcnt vmcnt(18) lgkmcnt(0)
	v_mul_f32_e32 v138, v133, v192
	v_add_f32_e32 v97, v97, v98
	v_mul_f32_e32 v98, v128, v185
	v_fmac_f32_e32 v138, v134, v191
	v_fma_f32 v98, v127, v186, -v98
	v_add_f32_e32 v141, v137, v138
	ds_read2_b64 v[137:140], v96 offset0:87 offset1:88
	v_add_f32_e32 v97, v97, v98
	v_mul_f32_e32 v98, v130, v187
	v_fma_f32 v98, v129, v188, -v98
	s_waitcnt vmcnt(17)
	v_mul_f32_e32 v142, v135, v193
	v_add_f32_e32 v97, v97, v98
	v_mul_f32_e32 v98, v132, v190
	s_waitcnt vmcnt(16)
	v_fmac_f32_e32 v142, v136, v194
	v_fma_f32 v98, v131, v189, -v98
	v_add_f32_e32 v145, v141, v142
	ds_read2_b64 v[141:144], v96 offset0:89 offset1:90
	v_add_f32_e32 v97, v97, v98
	v_mul_f32_e32 v98, v134, v192
	s_waitcnt vmcnt(14) lgkmcnt(1)
	v_mul_f32_e32 v146, v137, v196
	v_fma_f32 v98, v133, v191, -v98
	v_fmac_f32_e32 v146, v138, v195
	v_add_f32_e32 v97, v97, v98
	v_mul_f32_e32 v98, v136, v193
	v_add_f32_e32 v145, v145, v146
	s_waitcnt vmcnt(12)
	v_mul_f32_e32 v146, v139, v198
	v_fma_f32 v98, v135, v194, -v98
	v_fmac_f32_e32 v146, v140, v197
	v_add_f32_e32 v97, v97, v98
	v_mul_f32_e32 v98, v138, v196
	v_add_f32_e32 v145, v145, v146
	s_waitcnt vmcnt(10) lgkmcnt(0)
	v_mul_f32_e32 v146, v141, v200
	v_fma_f32 v98, v137, v195, -v98
	v_fmac_f32_e32 v146, v142, v199
	v_add_f32_e32 v97, v97, v98
	v_mul_f32_e32 v98, v140, v198
	v_add_f32_e32 v149, v145, v146
	ds_read2_b64 v[145:148], v96 offset0:91 offset1:92
	v_fma_f32 v98, v139, v197, -v98
	v_add_f32_e32 v97, v97, v98
	v_mul_f32_e32 v98, v142, v200
	s_waitcnt vmcnt(8)
	v_mul_f32_e32 v150, v143, v202
	v_fma_f32 v98, v141, v199, -v98
	v_fmac_f32_e32 v150, v144, v201
	v_add_f32_e32 v97, v97, v98
	v_mul_f32_e32 v98, v144, v202
	v_add_f32_e32 v211, v149, v150
	ds_read2_b64 v[149:152], v96 offset0:93 offset1:94
	v_fma_f32 v98, v143, v201, -v98
	v_add_f32_e32 v97, v97, v98
	s_waitcnt vmcnt(6) lgkmcnt(1)
	v_mul_f32_e32 v98, v146, v204
	v_mul_f32_e32 v96, v145, v204
	v_fma_f32 v98, v145, v203, -v98
	v_fmac_f32_e32 v96, v146, v203
	v_add_f32_e32 v97, v97, v98
	s_waitcnt vmcnt(4)
	v_mul_f32_e32 v98, v148, v206
	v_add_f32_e32 v96, v211, v96
	v_mul_f32_e32 v211, v147, v206
	v_fma_f32 v98, v147, v205, -v98
	v_fmac_f32_e32 v211, v148, v205
	v_add_f32_e32 v97, v97, v98
	s_waitcnt vmcnt(2) lgkmcnt(0)
	v_mul_f32_e32 v98, v150, v208
	v_add_f32_e32 v96, v96, v211
	v_mul_f32_e32 v211, v149, v208
	v_fma_f32 v98, v149, v207, -v98
	v_fmac_f32_e32 v211, v150, v207
	v_add_f32_e32 v97, v97, v98
	s_waitcnt vmcnt(0)
	v_mul_f32_e32 v98, v152, v210
	v_add_f32_e32 v96, v96, v211
	v_mul_f32_e32 v211, v151, v210
	v_fma_f32 v98, v151, v209, -v98
	v_fmac_f32_e32 v211, v152, v209
	v_add_f32_e32 v97, v97, v98
	v_add_f32_e32 v96, v96, v211
	v_sub_f32_e32 v97, v183, v97
	v_sub_f32_e32 v96, v184, v96
	buffer_store_dword v97, off, s[0:3], 0 offset:144
	buffer_store_dword v96, off, s[0:3], 0 offset:148
	s_and_saveexec_b64 s[4:5], vcc
	s_cbranch_execz .LBB110_261
; %bb.260:
	buffer_load_dword v96, off, s[0:3], 0 offset:136
	buffer_load_dword v97, off, s[0:3], 0 offset:140
	v_mov_b32_e32 v98, 0
	buffer_store_dword v98, off, s[0:3], 0 offset:136
	buffer_store_dword v98, off, s[0:3], 0 offset:140
	s_waitcnt vmcnt(2)
	ds_write_b64 v95, v[96:97]
.LBB110_261:
	s_or_b64 exec, exec, s[4:5]
	s_waitcnt lgkmcnt(0)
	; wave barrier
	buffer_load_dword v155, off, s[0:3], 0 offset:148
	buffer_load_dword v156, off, s[0:3], 0 offset:156
	;; [unrolled: 1-line block ×60, first 2 shown]
	v_mov_b32_e32 v96, 0
	ds_read_b128 v[97:100], v96 offset:528
	ds_read_b128 v[101:104], v96 offset:544
	;; [unrolled: 1-line block ×5, first 2 shown]
	v_cmp_lt_u32_e32 vcc, 16, v0
	s_waitcnt vmcnt(59) lgkmcnt(4)
	v_mul_f32_e32 v117, v97, v155
	s_waitcnt vmcnt(58)
	v_mul_f32_e32 v118, v99, v156
	s_waitcnt vmcnt(57) lgkmcnt(3)
	v_mul_f32_e32 v119, v101, v157
	s_waitcnt vmcnt(56)
	v_mul_f32_e32 v120, v103, v158
	;; [unrolled: 4-line block ×3, first 2 shown]
	s_waitcnt vmcnt(53) lgkmcnt(1)
	v_mul_f32_e32 v123, v109, v161
	s_waitcnt vmcnt(52)
	v_fmac_f32_e32 v117, v98, v162
	s_waitcnt vmcnt(51)
	v_fmac_f32_e32 v118, v100, v163
	v_add_f32_e32 v117, 0, v117
	s_waitcnt vmcnt(50)
	v_fmac_f32_e32 v119, v102, v164
	v_add_f32_e32 v117, v117, v118
	;; [unrolled: 3-line block ×6, first 2 shown]
	s_waitcnt vmcnt(45)
	v_mul_f32_e32 v118, v111, v169
	v_add_f32_e32 v117, v117, v123
	s_waitcnt vmcnt(44)
	v_fmac_f32_e32 v118, v112, v170
	v_mul_f32_e32 v98, v98, v155
	v_add_f32_e32 v121, v117, v118
	ds_read_b128 v[117:120], v96 offset:608
	v_fma_f32 v97, v97, v162, -v98
	v_mul_f32_e32 v98, v100, v156
	s_waitcnt vmcnt(43) lgkmcnt(1)
	v_mul_f32_e32 v122, v113, v171
	v_add_f32_e32 v97, 0, v97
	v_fma_f32 v98, v99, v163, -v98
	s_waitcnt vmcnt(42)
	v_fmac_f32_e32 v122, v114, v172
	v_add_f32_e32 v97, v97, v98
	v_mul_f32_e32 v98, v102, v157
	v_add_f32_e32 v121, v121, v122
	s_waitcnt vmcnt(41)
	v_mul_f32_e32 v122, v115, v173
	v_fma_f32 v98, v101, v164, -v98
	s_waitcnt vmcnt(40)
	v_fmac_f32_e32 v122, v116, v174
	v_add_f32_e32 v97, v97, v98
	v_mul_f32_e32 v98, v104, v158
	v_add_f32_e32 v121, v121, v122
	s_waitcnt vmcnt(39) lgkmcnt(0)
	v_mul_f32_e32 v122, v117, v175
	v_fma_f32 v98, v103, v165, -v98
	s_waitcnt vmcnt(38)
	v_fmac_f32_e32 v122, v118, v176
	v_add_f32_e32 v97, v97, v98
	v_mul_f32_e32 v98, v106, v159
	v_add_f32_e32 v125, v121, v122
	ds_read_b128 v[121:124], v96 offset:624
	v_fma_f32 v98, v105, v166, -v98
	v_add_f32_e32 v97, v97, v98
	v_mul_f32_e32 v98, v108, v160
	s_waitcnt vmcnt(37)
	v_mul_f32_e32 v126, v119, v177
	v_fma_f32 v98, v107, v167, -v98
	s_waitcnt vmcnt(36)
	v_fmac_f32_e32 v126, v120, v178
	v_add_f32_e32 v97, v97, v98
	v_mul_f32_e32 v98, v110, v161
	v_add_f32_e32 v129, v125, v126
	ds_read_b128 v[125:128], v96 offset:640
	v_fma_f32 v98, v109, v168, -v98
	s_waitcnt vmcnt(34) lgkmcnt(1)
	v_mul_f32_e32 v130, v121, v180
	v_add_f32_e32 v97, v97, v98
	v_mul_f32_e32 v98, v112, v169
	v_fmac_f32_e32 v130, v122, v179
	v_fma_f32 v98, v111, v170, -v98
	v_add_f32_e32 v129, v129, v130
	s_waitcnt vmcnt(31)
	v_mul_f32_e32 v130, v123, v183
	v_add_f32_e32 v97, v97, v98
	v_mul_f32_e32 v98, v114, v171
	s_waitcnt vmcnt(30)
	v_fmac_f32_e32 v130, v124, v184
	v_fma_f32 v98, v113, v172, -v98
	v_add_f32_e32 v129, v129, v130
	s_waitcnt vmcnt(28) lgkmcnt(0)
	v_mul_f32_e32 v130, v125, v186
	v_add_f32_e32 v97, v97, v98
	v_mul_f32_e32 v98, v116, v173
	v_fmac_f32_e32 v130, v126, v185
	v_fma_f32 v98, v115, v174, -v98
	v_add_f32_e32 v133, v129, v130
	ds_read_b128 v[129:132], v96 offset:656
	v_add_f32_e32 v97, v97, v98
	v_mul_f32_e32 v98, v118, v175
	v_fma_f32 v98, v117, v176, -v98
	s_waitcnt vmcnt(26)
	v_mul_f32_e32 v134, v127, v188
	v_add_f32_e32 v97, v97, v98
	v_mul_f32_e32 v98, v120, v177
	v_fmac_f32_e32 v134, v128, v187
	v_fma_f32 v98, v119, v178, -v98
	v_add_f32_e32 v137, v133, v134
	ds_read_b128 v[133:136], v96 offset:672
	v_add_f32_e32 v97, v97, v98
	v_mul_f32_e32 v98, v122, v180
	s_waitcnt vmcnt(24) lgkmcnt(1)
	v_mul_f32_e32 v138, v129, v190
	v_fma_f32 v98, v121, v179, -v98
	v_fmac_f32_e32 v138, v130, v189
	v_add_f32_e32 v97, v97, v98
	v_mul_f32_e32 v98, v124, v183
	v_add_f32_e32 v137, v137, v138
	s_waitcnt vmcnt(22)
	v_mul_f32_e32 v138, v131, v192
	v_fma_f32 v98, v123, v184, -v98
	v_fmac_f32_e32 v138, v132, v191
	v_add_f32_e32 v97, v97, v98
	v_mul_f32_e32 v98, v126, v186
	v_add_f32_e32 v137, v137, v138
	s_waitcnt vmcnt(20) lgkmcnt(0)
	v_mul_f32_e32 v138, v133, v194
	v_fma_f32 v98, v125, v185, -v98
	v_fmac_f32_e32 v138, v134, v193
	v_add_f32_e32 v97, v97, v98
	v_mul_f32_e32 v98, v128, v188
	v_add_f32_e32 v141, v137, v138
	ds_read_b128 v[137:140], v96 offset:688
	v_fma_f32 v98, v127, v187, -v98
	v_add_f32_e32 v97, v97, v98
	v_mul_f32_e32 v98, v130, v190
	s_waitcnt vmcnt(18)
	v_mul_f32_e32 v142, v135, v196
	v_fma_f32 v98, v129, v189, -v98
	v_fmac_f32_e32 v142, v136, v195
	v_add_f32_e32 v97, v97, v98
	v_mul_f32_e32 v98, v132, v192
	v_add_f32_e32 v145, v141, v142
	ds_read_b128 v[141:144], v96 offset:704
	v_fma_f32 v98, v131, v191, -v98
	s_waitcnt vmcnt(16) lgkmcnt(1)
	v_mul_f32_e32 v146, v137, v198
	v_add_f32_e32 v97, v97, v98
	v_mul_f32_e32 v98, v134, v194
	v_fmac_f32_e32 v146, v138, v197
	v_fma_f32 v98, v133, v193, -v98
	v_add_f32_e32 v145, v145, v146
	s_waitcnt vmcnt(14)
	v_mul_f32_e32 v146, v139, v200
	v_add_f32_e32 v97, v97, v98
	v_mul_f32_e32 v98, v136, v196
	v_fmac_f32_e32 v146, v140, v199
	v_fma_f32 v98, v135, v195, -v98
	v_add_f32_e32 v145, v145, v146
	s_waitcnt vmcnt(12) lgkmcnt(0)
	v_mul_f32_e32 v146, v141, v202
	v_add_f32_e32 v97, v97, v98
	v_mul_f32_e32 v98, v138, v198
	v_fmac_f32_e32 v146, v142, v201
	v_fma_f32 v98, v137, v197, -v98
	v_add_f32_e32 v149, v145, v146
	ds_read_b128 v[145:148], v96 offset:720
	v_add_f32_e32 v97, v97, v98
	v_mul_f32_e32 v98, v140, v200
	v_fma_f32 v98, v139, v199, -v98
	v_add_f32_e32 v97, v97, v98
	v_mul_f32_e32 v98, v142, v202
	s_waitcnt vmcnt(10)
	v_mul_f32_e32 v150, v143, v204
	v_fma_f32 v98, v141, v201, -v98
	v_fmac_f32_e32 v150, v144, v203
	v_add_f32_e32 v97, v97, v98
	v_mul_f32_e32 v98, v144, v204
	v_add_f32_e32 v153, v149, v150
	ds_read_b128 v[149:152], v96 offset:736
	s_waitcnt vmcnt(8) lgkmcnt(1)
	v_mul_f32_e32 v154, v145, v206
	v_fma_f32 v98, v143, v203, -v98
	v_fmac_f32_e32 v154, v146, v205
	v_add_f32_e32 v97, v97, v98
	v_mul_f32_e32 v98, v146, v206
	v_add_f32_e32 v153, v153, v154
	s_waitcnt vmcnt(6)
	v_mul_f32_e32 v154, v147, v208
	v_fma_f32 v98, v145, v205, -v98
	v_fmac_f32_e32 v154, v148, v207
	v_add_f32_e32 v97, v97, v98
	v_mul_f32_e32 v98, v148, v208
	v_add_f32_e32 v215, v153, v154
	ds_read_b64 v[153:154], v96 offset:752
	v_fma_f32 v98, v147, v207, -v98
	v_add_f32_e32 v97, v97, v98
	s_waitcnt vmcnt(4) lgkmcnt(1)
	v_mul_f32_e32 v98, v150, v210
	v_mul_f32_e32 v216, v149, v210
	v_fma_f32 v98, v149, v209, -v98
	v_fmac_f32_e32 v216, v150, v209
	v_add_f32_e32 v97, v97, v98
	s_waitcnt vmcnt(2)
	v_mul_f32_e32 v98, v152, v212
	v_add_f32_e32 v215, v215, v216
	v_mul_f32_e32 v216, v151, v212
	v_fma_f32 v98, v151, v211, -v98
	v_fmac_f32_e32 v216, v152, v211
	v_add_f32_e32 v97, v97, v98
	s_waitcnt vmcnt(0) lgkmcnt(0)
	v_mul_f32_e32 v98, v154, v214
	v_add_f32_e32 v215, v215, v216
	v_mul_f32_e32 v216, v153, v214
	v_fma_f32 v98, v153, v213, -v98
	v_fmac_f32_e32 v216, v154, v213
	v_add_f32_e32 v97, v97, v98
	v_add_f32_e32 v215, v215, v216
	v_sub_f32_e32 v97, v181, v97
	v_sub_f32_e32 v98, v182, v215
	buffer_store_dword v97, off, s[0:3], 0 offset:136
	buffer_store_dword v98, off, s[0:3], 0 offset:140
	s_and_saveexec_b64 s[4:5], vcc
	s_cbranch_execz .LBB110_263
; %bb.262:
	buffer_load_dword v97, off, s[0:3], 0 offset:128
	buffer_load_dword v98, off, s[0:3], 0 offset:132
	s_waitcnt vmcnt(0)
	ds_write_b64 v95, v[97:98]
	buffer_store_dword v96, off, s[0:3], 0 offset:128
	buffer_store_dword v96, off, s[0:3], 0 offset:132
.LBB110_263:
	s_or_b64 exec, exec, s[4:5]
	s_waitcnt lgkmcnt(0)
	; wave barrier
	buffer_load_dword v157, off, s[0:3], 0 offset:140
	buffer_load_dword v158, off, s[0:3], 0 offset:148
	;; [unrolled: 1-line block ×32, first 2 shown]
	ds_read2_b64 v[97:100], v96 offset0:65 offset1:66
	ds_read2_b64 v[101:104], v96 offset0:67 offset1:68
	;; [unrolled: 1-line block ×4, first 2 shown]
	buffer_load_dword v189, off, s[0:3], 0 offset:260
	buffer_load_dword v190, off, s[0:3], 0 offset:256
	buffer_load_dword v191, off, s[0:3], 0 offset:264
	buffer_load_dword v192, off, s[0:3], 0 offset:268
	buffer_load_dword v193, off, s[0:3], 0 offset:272
	buffer_load_dword v194, off, s[0:3], 0 offset:276
	buffer_load_dword v195, off, s[0:3], 0 offset:280
	buffer_load_dword v196, off, s[0:3], 0 offset:284
	buffer_load_dword v197, off, s[0:3], 0 offset:288
	buffer_load_dword v198, off, s[0:3], 0 offset:292
	buffer_load_dword v199, off, s[0:3], 0 offset:296
	buffer_load_dword v200, off, s[0:3], 0 offset:300
	buffer_load_dword v201, off, s[0:3], 0 offset:304
	buffer_load_dword v202, off, s[0:3], 0 offset:308
	buffer_load_dword v203, off, s[0:3], 0 offset:312
	buffer_load_dword v204, off, s[0:3], 0 offset:316
	buffer_load_dword v205, off, s[0:3], 0 offset:320
	buffer_load_dword v206, off, s[0:3], 0 offset:324
	buffer_load_dword v207, off, s[0:3], 0 offset:328
	buffer_load_dword v208, off, s[0:3], 0 offset:332
	buffer_load_dword v209, off, s[0:3], 0 offset:336
	buffer_load_dword v210, off, s[0:3], 0 offset:340
	buffer_load_dword v211, off, s[0:3], 0 offset:344
	buffer_load_dword v212, off, s[0:3], 0 offset:348
	buffer_load_dword v213, off, s[0:3], 0 offset:352
	buffer_load_dword v214, off, s[0:3], 0 offset:356
	buffer_load_dword v215, off, s[0:3], 0 offset:360
	buffer_load_dword v216, off, s[0:3], 0 offset:364
	buffer_load_dword v217, off, s[0:3], 0 offset:368
	buffer_load_dword v218, off, s[0:3], 0 offset:372
	v_cmp_lt_u32_e32 vcc, 15, v0
	s_waitcnt vmcnt(61) lgkmcnt(3)
	v_mul_f32_e32 v113, v97, v157
	s_waitcnt vmcnt(60)
	v_mul_f32_e32 v114, v99, v158
	s_waitcnt vmcnt(59) lgkmcnt(2)
	v_mul_f32_e32 v115, v101, v159
	s_waitcnt vmcnt(58)
	v_mul_f32_e32 v116, v103, v160
	;; [unrolled: 4-line block ×3, first 2 shown]
	s_waitcnt vmcnt(55) lgkmcnt(0)
	v_mul_f32_e32 v119, v109, v163
	s_waitcnt vmcnt(54)
	v_fmac_f32_e32 v113, v98, v164
	s_waitcnt vmcnt(53)
	v_fmac_f32_e32 v114, v100, v165
	v_add_f32_e32 v113, 0, v113
	s_waitcnt vmcnt(52)
	v_fmac_f32_e32 v115, v102, v166
	v_add_f32_e32 v113, v113, v114
	s_waitcnt vmcnt(51)
	v_fmac_f32_e32 v116, v104, v167
	v_add_f32_e32 v113, v113, v115
	s_waitcnt vmcnt(50)
	v_fmac_f32_e32 v117, v106, v168
	v_add_f32_e32 v113, v113, v116
	s_waitcnt vmcnt(49)
	v_fmac_f32_e32 v118, v108, v169
	v_add_f32_e32 v113, v113, v117
	s_waitcnt vmcnt(48)
	v_fmac_f32_e32 v119, v110, v170
	v_add_f32_e32 v113, v113, v118
	v_add_f32_e32 v117, v113, v119
	ds_read2_b64 v[113:116], v96 offset0:73 offset1:74
	s_waitcnt vmcnt(47)
	v_mul_f32_e32 v118, v111, v171
	s_waitcnt vmcnt(46)
	v_fmac_f32_e32 v118, v112, v172
	v_mul_f32_e32 v98, v98, v157
	v_add_f32_e32 v121, v117, v118
	ds_read2_b64 v[117:120], v96 offset0:75 offset1:76
	v_fma_f32 v97, v97, v164, -v98
	v_mul_f32_e32 v98, v100, v158
	s_waitcnt vmcnt(45) lgkmcnt(1)
	v_mul_f32_e32 v122, v113, v173
	v_add_f32_e32 v97, 0, v97
	v_fma_f32 v98, v99, v165, -v98
	s_waitcnt vmcnt(44)
	v_fmac_f32_e32 v122, v114, v174
	v_add_f32_e32 v97, v97, v98
	v_mul_f32_e32 v98, v102, v159
	v_add_f32_e32 v121, v121, v122
	s_waitcnt vmcnt(43)
	v_mul_f32_e32 v122, v115, v175
	v_fma_f32 v98, v101, v166, -v98
	s_waitcnt vmcnt(42)
	v_fmac_f32_e32 v122, v116, v176
	v_add_f32_e32 v97, v97, v98
	v_mul_f32_e32 v98, v104, v160
	v_add_f32_e32 v121, v121, v122
	s_waitcnt vmcnt(41) lgkmcnt(0)
	v_mul_f32_e32 v122, v117, v177
	v_fma_f32 v98, v103, v167, -v98
	s_waitcnt vmcnt(40)
	v_fmac_f32_e32 v122, v118, v178
	v_add_f32_e32 v97, v97, v98
	v_mul_f32_e32 v98, v106, v161
	v_add_f32_e32 v125, v121, v122
	ds_read2_b64 v[121:124], v96 offset0:77 offset1:78
	v_fma_f32 v98, v105, v168, -v98
	v_add_f32_e32 v97, v97, v98
	v_mul_f32_e32 v98, v108, v162
	s_waitcnt vmcnt(39)
	v_mul_f32_e32 v126, v119, v179
	v_fma_f32 v98, v107, v169, -v98
	s_waitcnt vmcnt(38)
	v_fmac_f32_e32 v126, v120, v180
	v_add_f32_e32 v97, v97, v98
	v_mul_f32_e32 v98, v110, v163
	v_add_f32_e32 v129, v125, v126
	ds_read2_b64 v[125:128], v96 offset0:79 offset1:80
	v_fma_f32 v98, v109, v170, -v98
	s_waitcnt vmcnt(35) lgkmcnt(1)
	v_mul_f32_e32 v130, v121, v183
	v_add_f32_e32 v97, v97, v98
	v_mul_f32_e32 v98, v112, v171
	s_waitcnt vmcnt(34)
	v_fmac_f32_e32 v130, v122, v184
	v_fma_f32 v98, v111, v172, -v98
	v_add_f32_e32 v129, v129, v130
	s_waitcnt vmcnt(32)
	v_mul_f32_e32 v130, v123, v186
	v_add_f32_e32 v97, v97, v98
	v_mul_f32_e32 v98, v114, v173
	v_fmac_f32_e32 v130, v124, v185
	v_fma_f32 v98, v113, v174, -v98
	v_add_f32_e32 v129, v129, v130
	s_waitcnt vmcnt(30) lgkmcnt(0)
	v_mul_f32_e32 v130, v125, v188
	v_add_f32_e32 v97, v97, v98
	v_mul_f32_e32 v98, v116, v175
	v_fmac_f32_e32 v130, v126, v187
	v_fma_f32 v98, v115, v176, -v98
	v_add_f32_e32 v133, v129, v130
	ds_read2_b64 v[129:132], v96 offset0:81 offset1:82
	v_add_f32_e32 v97, v97, v98
	v_mul_f32_e32 v98, v118, v177
	v_fma_f32 v98, v117, v178, -v98
	s_waitcnt vmcnt(29)
	v_mul_f32_e32 v134, v127, v189
	v_add_f32_e32 v97, v97, v98
	v_mul_f32_e32 v98, v120, v179
	s_waitcnt vmcnt(28)
	v_fmac_f32_e32 v134, v128, v190
	v_fma_f32 v98, v119, v180, -v98
	v_add_f32_e32 v137, v133, v134
	ds_read2_b64 v[133:136], v96 offset0:83 offset1:84
	v_add_f32_e32 v97, v97, v98
	v_mul_f32_e32 v98, v122, v183
	s_waitcnt vmcnt(26) lgkmcnt(1)
	v_mul_f32_e32 v138, v129, v192
	v_fma_f32 v98, v121, v184, -v98
	v_fmac_f32_e32 v138, v130, v191
	v_add_f32_e32 v97, v97, v98
	v_mul_f32_e32 v98, v124, v186
	v_add_f32_e32 v137, v137, v138
	s_waitcnt vmcnt(24)
	v_mul_f32_e32 v138, v131, v194
	v_fma_f32 v98, v123, v185, -v98
	v_fmac_f32_e32 v138, v132, v193
	v_add_f32_e32 v97, v97, v98
	v_mul_f32_e32 v98, v126, v188
	v_add_f32_e32 v137, v137, v138
	s_waitcnt vmcnt(22) lgkmcnt(0)
	v_mul_f32_e32 v138, v133, v196
	v_fma_f32 v98, v125, v187, -v98
	v_fmac_f32_e32 v138, v134, v195
	v_add_f32_e32 v97, v97, v98
	v_mul_f32_e32 v98, v128, v189
	v_add_f32_e32 v141, v137, v138
	ds_read2_b64 v[137:140], v96 offset0:85 offset1:86
	v_fma_f32 v98, v127, v190, -v98
	v_add_f32_e32 v97, v97, v98
	v_mul_f32_e32 v98, v130, v192
	s_waitcnt vmcnt(20)
	v_mul_f32_e32 v142, v135, v198
	v_fma_f32 v98, v129, v191, -v98
	v_fmac_f32_e32 v142, v136, v197
	v_add_f32_e32 v97, v97, v98
	v_mul_f32_e32 v98, v132, v194
	v_add_f32_e32 v145, v141, v142
	ds_read2_b64 v[141:144], v96 offset0:87 offset1:88
	v_fma_f32 v98, v131, v193, -v98
	s_waitcnt vmcnt(18) lgkmcnt(1)
	v_mul_f32_e32 v146, v137, v200
	v_add_f32_e32 v97, v97, v98
	v_mul_f32_e32 v98, v134, v196
	v_fmac_f32_e32 v146, v138, v199
	v_fma_f32 v98, v133, v195, -v98
	v_add_f32_e32 v145, v145, v146
	s_waitcnt vmcnt(16)
	v_mul_f32_e32 v146, v139, v202
	v_add_f32_e32 v97, v97, v98
	v_mul_f32_e32 v98, v136, v198
	v_fmac_f32_e32 v146, v140, v201
	v_fma_f32 v98, v135, v197, -v98
	v_add_f32_e32 v145, v145, v146
	s_waitcnt vmcnt(14) lgkmcnt(0)
	v_mul_f32_e32 v146, v141, v204
	v_add_f32_e32 v97, v97, v98
	v_mul_f32_e32 v98, v138, v200
	v_fmac_f32_e32 v146, v142, v203
	v_fma_f32 v98, v137, v199, -v98
	v_add_f32_e32 v149, v145, v146
	ds_read2_b64 v[145:148], v96 offset0:89 offset1:90
	v_add_f32_e32 v97, v97, v98
	v_mul_f32_e32 v98, v140, v202
	v_fma_f32 v98, v139, v201, -v98
	v_add_f32_e32 v97, v97, v98
	v_mul_f32_e32 v98, v142, v204
	s_waitcnt vmcnt(12)
	v_mul_f32_e32 v150, v143, v206
	v_fma_f32 v98, v141, v203, -v98
	v_fmac_f32_e32 v150, v144, v205
	v_add_f32_e32 v97, v97, v98
	v_mul_f32_e32 v98, v144, v206
	v_add_f32_e32 v153, v149, v150
	ds_read2_b64 v[149:152], v96 offset0:91 offset1:92
	s_waitcnt vmcnt(10) lgkmcnt(1)
	v_mul_f32_e32 v154, v145, v208
	v_fma_f32 v98, v143, v205, -v98
	v_fmac_f32_e32 v154, v146, v207
	v_add_f32_e32 v97, v97, v98
	v_mul_f32_e32 v98, v146, v208
	v_add_f32_e32 v153, v153, v154
	s_waitcnt vmcnt(8)
	v_mul_f32_e32 v154, v147, v210
	v_fma_f32 v98, v145, v207, -v98
	v_fmac_f32_e32 v154, v148, v209
	v_add_f32_e32 v97, v97, v98
	v_mul_f32_e32 v98, v148, v210
	v_add_f32_e32 v219, v153, v154
	ds_read2_b64 v[153:156], v96 offset0:93 offset1:94
	v_fma_f32 v98, v147, v209, -v98
	v_add_f32_e32 v97, v97, v98
	s_waitcnt vmcnt(6) lgkmcnt(1)
	v_mul_f32_e32 v98, v150, v212
	v_mul_f32_e32 v220, v149, v212
	v_fma_f32 v98, v149, v211, -v98
	v_fmac_f32_e32 v220, v150, v211
	v_add_f32_e32 v97, v97, v98
	s_waitcnt vmcnt(4)
	v_mul_f32_e32 v98, v152, v214
	v_add_f32_e32 v96, v219, v220
	v_mul_f32_e32 v219, v151, v214
	v_fma_f32 v98, v151, v213, -v98
	v_fmac_f32_e32 v219, v152, v213
	v_add_f32_e32 v97, v97, v98
	s_waitcnt vmcnt(2) lgkmcnt(0)
	v_mul_f32_e32 v98, v154, v216
	v_add_f32_e32 v96, v96, v219
	v_mul_f32_e32 v219, v153, v216
	v_fma_f32 v98, v153, v215, -v98
	v_fmac_f32_e32 v219, v154, v215
	v_add_f32_e32 v97, v97, v98
	s_waitcnt vmcnt(0)
	v_mul_f32_e32 v98, v156, v218
	v_add_f32_e32 v96, v96, v219
	v_mul_f32_e32 v219, v155, v218
	v_fma_f32 v98, v155, v217, -v98
	v_fmac_f32_e32 v219, v156, v217
	v_add_f32_e32 v97, v97, v98
	v_add_f32_e32 v96, v96, v219
	v_sub_f32_e32 v97, v181, v97
	v_sub_f32_e32 v96, v182, v96
	buffer_store_dword v97, off, s[0:3], 0 offset:128
	buffer_store_dword v96, off, s[0:3], 0 offset:132
	s_and_saveexec_b64 s[4:5], vcc
	s_cbranch_execz .LBB110_265
; %bb.264:
	buffer_load_dword v96, off, s[0:3], 0 offset:120
	buffer_load_dword v97, off, s[0:3], 0 offset:124
	v_mov_b32_e32 v98, 0
	buffer_store_dword v98, off, s[0:3], 0 offset:120
	buffer_store_dword v98, off, s[0:3], 0 offset:124
	s_waitcnt vmcnt(2)
	ds_write_b64 v95, v[96:97]
.LBB110_265:
	s_or_b64 exec, exec, s[4:5]
	s_waitcnt lgkmcnt(0)
	; wave barrier
	buffer_load_dword v159, off, s[0:3], 0 offset:132
	buffer_load_dword v160, off, s[0:3], 0 offset:140
	;; [unrolled: 1-line block ×56, first 2 shown]
	v_mov_b32_e32 v96, 0
	ds_read_b128 v[97:100], v96 offset:512
	buffer_load_dword v215, off, s[0:3], 0 offset:344
	buffer_load_dword v216, off, s[0:3], 0 offset:348
	;; [unrolled: 1-line block ×4, first 2 shown]
	ds_read_b128 v[101:104], v96 offset:528
	ds_read_b128 v[105:108], v96 offset:544
	;; [unrolled: 1-line block ×3, first 2 shown]
	v_cmp_lt_u32_e32 vcc, 14, v0
	s_waitcnt vmcnt(59) lgkmcnt(3)
	v_mul_f32_e32 v113, v97, v159
	s_waitcnt vmcnt(58)
	v_mul_f32_e32 v114, v99, v160
	s_waitcnt vmcnt(57) lgkmcnt(2)
	v_mul_f32_e32 v115, v101, v161
	s_waitcnt vmcnt(56)
	v_mul_f32_e32 v116, v103, v162
	;; [unrolled: 4-line block ×4, first 2 shown]
	s_waitcnt vmcnt(51)
	v_fmac_f32_e32 v113, v98, v167
	s_waitcnt vmcnt(50)
	v_fmac_f32_e32 v114, v100, v168
	v_add_f32_e32 v113, 0, v113
	s_waitcnt vmcnt(49)
	v_fmac_f32_e32 v115, v102, v169
	v_add_f32_e32 v113, v113, v114
	;; [unrolled: 3-line block ×6, first 2 shown]
	v_add_f32_e32 v117, v113, v119
	ds_read_b128 v[113:116], v96 offset:576
	buffer_load_dword v219, off, s[0:3], 0 offset:364
	buffer_load_dword v220, off, s[0:3], 0 offset:360
	;; [unrolled: 1-line block ×4, first 2 shown]
	s_waitcnt vmcnt(48)
	v_fmac_f32_e32 v120, v112, v174
	v_add_f32_e32 v121, v117, v120
	ds_read_b128 v[117:120], v96 offset:592
	s_waitcnt vmcnt(47) lgkmcnt(1)
	v_mul_f32_e32 v122, v113, v175
	v_mul_f32_e32 v98, v98, v159
	s_waitcnt vmcnt(46)
	v_fmac_f32_e32 v122, v114, v176
	v_fma_f32 v97, v97, v167, -v98
	v_mul_f32_e32 v98, v100, v160
	v_add_f32_e32 v121, v121, v122
	s_waitcnt vmcnt(45)
	v_mul_f32_e32 v122, v115, v177
	v_add_f32_e32 v97, 0, v97
	v_fma_f32 v98, v99, v168, -v98
	s_waitcnt vmcnt(44)
	v_fmac_f32_e32 v122, v116, v178
	v_add_f32_e32 v97, v97, v98
	v_mul_f32_e32 v98, v102, v161
	v_add_f32_e32 v121, v121, v122
	s_waitcnt vmcnt(42) lgkmcnt(0)
	v_mul_f32_e32 v122, v117, v180
	v_fma_f32 v98, v101, v169, -v98
	v_fmac_f32_e32 v122, v118, v179
	v_add_f32_e32 v97, v97, v98
	v_mul_f32_e32 v98, v104, v162
	v_add_f32_e32 v125, v121, v122
	ds_read_b128 v[121:124], v96 offset:608
	v_fma_f32 v98, v103, v170, -v98
	v_add_f32_e32 v97, v97, v98
	v_mul_f32_e32 v98, v106, v163
	s_waitcnt vmcnt(39)
	v_mul_f32_e32 v126, v119, v183
	v_fma_f32 v98, v105, v171, -v98
	s_waitcnt vmcnt(38)
	v_fmac_f32_e32 v126, v120, v184
	v_add_f32_e32 v97, v97, v98
	v_mul_f32_e32 v98, v108, v164
	v_add_f32_e32 v129, v125, v126
	ds_read_b128 v[125:128], v96 offset:624
	v_fma_f32 v98, v107, v172, -v98
	s_waitcnt vmcnt(36) lgkmcnt(1)
	v_mul_f32_e32 v130, v121, v186
	v_add_f32_e32 v97, v97, v98
	v_mul_f32_e32 v98, v110, v165
	v_fmac_f32_e32 v130, v122, v185
	v_fma_f32 v98, v109, v173, -v98
	v_add_f32_e32 v129, v129, v130
	s_waitcnt vmcnt(34)
	v_mul_f32_e32 v130, v123, v188
	v_add_f32_e32 v97, v97, v98
	v_mul_f32_e32 v98, v112, v166
	v_fmac_f32_e32 v130, v124, v187
	v_fma_f32 v98, v111, v174, -v98
	v_add_f32_e32 v129, v129, v130
	s_waitcnt vmcnt(32) lgkmcnt(0)
	v_mul_f32_e32 v130, v125, v190
	v_add_f32_e32 v97, v97, v98
	v_mul_f32_e32 v98, v114, v175
	v_fmac_f32_e32 v130, v126, v189
	v_fma_f32 v98, v113, v176, -v98
	v_add_f32_e32 v133, v129, v130
	ds_read_b128 v[129:132], v96 offset:640
	v_add_f32_e32 v97, v97, v98
	v_mul_f32_e32 v98, v116, v177
	v_fma_f32 v98, v115, v178, -v98
	s_waitcnt vmcnt(30)
	v_mul_f32_e32 v134, v127, v192
	v_add_f32_e32 v97, v97, v98
	v_mul_f32_e32 v98, v118, v180
	v_fmac_f32_e32 v134, v128, v191
	v_fma_f32 v98, v117, v179, -v98
	v_add_f32_e32 v137, v133, v134
	ds_read_b128 v[133:136], v96 offset:656
	v_add_f32_e32 v97, v97, v98
	v_mul_f32_e32 v98, v120, v183
	s_waitcnt vmcnt(28) lgkmcnt(1)
	v_mul_f32_e32 v138, v129, v194
	v_fma_f32 v98, v119, v184, -v98
	v_fmac_f32_e32 v138, v130, v193
	v_add_f32_e32 v97, v97, v98
	v_mul_f32_e32 v98, v122, v186
	v_add_f32_e32 v137, v137, v138
	s_waitcnt vmcnt(26)
	v_mul_f32_e32 v138, v131, v196
	v_fma_f32 v98, v121, v185, -v98
	v_fmac_f32_e32 v138, v132, v195
	v_add_f32_e32 v97, v97, v98
	v_mul_f32_e32 v98, v124, v188
	v_add_f32_e32 v137, v137, v138
	s_waitcnt vmcnt(24) lgkmcnt(0)
	v_mul_f32_e32 v138, v133, v198
	v_fma_f32 v98, v123, v187, -v98
	v_fmac_f32_e32 v138, v134, v197
	v_add_f32_e32 v97, v97, v98
	v_mul_f32_e32 v98, v126, v190
	v_add_f32_e32 v141, v137, v138
	ds_read_b128 v[137:140], v96 offset:672
	v_fma_f32 v98, v125, v189, -v98
	v_add_f32_e32 v97, v97, v98
	v_mul_f32_e32 v98, v128, v192
	s_waitcnt vmcnt(22)
	v_mul_f32_e32 v142, v135, v200
	v_fma_f32 v98, v127, v191, -v98
	v_fmac_f32_e32 v142, v136, v199
	v_add_f32_e32 v97, v97, v98
	v_mul_f32_e32 v98, v130, v194
	v_add_f32_e32 v145, v141, v142
	ds_read_b128 v[141:144], v96 offset:688
	v_fma_f32 v98, v129, v193, -v98
	s_waitcnt vmcnt(20) lgkmcnt(1)
	v_mul_f32_e32 v146, v137, v202
	v_add_f32_e32 v97, v97, v98
	v_mul_f32_e32 v98, v132, v196
	v_fmac_f32_e32 v146, v138, v201
	v_fma_f32 v98, v131, v195, -v98
	v_add_f32_e32 v145, v145, v146
	s_waitcnt vmcnt(18)
	v_mul_f32_e32 v146, v139, v204
	v_add_f32_e32 v97, v97, v98
	v_mul_f32_e32 v98, v134, v198
	v_fmac_f32_e32 v146, v140, v203
	v_fma_f32 v98, v133, v197, -v98
	v_add_f32_e32 v145, v145, v146
	s_waitcnt vmcnt(16) lgkmcnt(0)
	v_mul_f32_e32 v146, v141, v206
	v_add_f32_e32 v97, v97, v98
	v_mul_f32_e32 v98, v136, v200
	v_fmac_f32_e32 v146, v142, v205
	v_fma_f32 v98, v135, v199, -v98
	v_add_f32_e32 v149, v145, v146
	ds_read_b128 v[145:148], v96 offset:704
	v_add_f32_e32 v97, v97, v98
	v_mul_f32_e32 v98, v138, v202
	v_fma_f32 v98, v137, v201, -v98
	s_waitcnt vmcnt(14)
	v_mul_f32_e32 v150, v143, v208
	v_add_f32_e32 v97, v97, v98
	v_mul_f32_e32 v98, v140, v204
	v_fmac_f32_e32 v150, v144, v207
	v_fma_f32 v98, v139, v203, -v98
	v_add_f32_e32 v153, v149, v150
	ds_read_b128 v[149:152], v96 offset:720
	v_add_f32_e32 v97, v97, v98
	v_mul_f32_e32 v98, v142, v206
	s_waitcnt vmcnt(12) lgkmcnt(1)
	v_mul_f32_e32 v154, v145, v210
	v_fma_f32 v98, v141, v205, -v98
	v_fmac_f32_e32 v154, v146, v209
	v_add_f32_e32 v97, v97, v98
	v_mul_f32_e32 v98, v144, v208
	v_add_f32_e32 v153, v153, v154
	s_waitcnt vmcnt(10)
	v_mul_f32_e32 v154, v147, v212
	v_fma_f32 v98, v143, v207, -v98
	v_fmac_f32_e32 v154, v148, v211
	v_add_f32_e32 v97, v97, v98
	v_mul_f32_e32 v98, v146, v210
	v_add_f32_e32 v153, v153, v154
	s_waitcnt vmcnt(8) lgkmcnt(0)
	v_mul_f32_e32 v154, v149, v214
	v_fma_f32 v98, v145, v209, -v98
	v_fmac_f32_e32 v154, v150, v213
	v_add_f32_e32 v97, v97, v98
	v_mul_f32_e32 v98, v148, v212
	v_add_f32_e32 v157, v153, v154
	ds_read_b128 v[153:156], v96 offset:736
	v_fma_f32 v98, v147, v211, -v98
	v_add_f32_e32 v97, v97, v98
	v_mul_f32_e32 v98, v150, v214
	s_waitcnt vmcnt(6)
	v_mul_f32_e32 v158, v151, v216
	v_fma_f32 v98, v149, v213, -v98
	v_fmac_f32_e32 v158, v152, v215
	v_add_f32_e32 v97, v97, v98
	v_mul_f32_e32 v98, v152, v216
	v_add_f32_e32 v223, v157, v158
	ds_read_b64 v[157:158], v96 offset:752
	v_fma_f32 v98, v151, v215, -v98
	v_add_f32_e32 v97, v97, v98
	s_waitcnt vmcnt(4) lgkmcnt(1)
	v_mul_f32_e32 v98, v154, v218
	v_mul_f32_e32 v224, v153, v218
	v_fma_f32 v98, v153, v217, -v98
	v_fmac_f32_e32 v224, v154, v217
	v_add_f32_e32 v97, v97, v98
	s_waitcnt vmcnt(3)
	v_mul_f32_e32 v98, v156, v219
	v_add_f32_e32 v223, v223, v224
	v_mul_f32_e32 v224, v155, v219
	s_waitcnt vmcnt(2)
	v_fma_f32 v98, v155, v220, -v98
	v_fmac_f32_e32 v224, v156, v220
	v_add_f32_e32 v97, v97, v98
	s_waitcnt vmcnt(0) lgkmcnt(0)
	v_mul_f32_e32 v98, v158, v222
	v_add_f32_e32 v223, v223, v224
	v_mul_f32_e32 v224, v157, v222
	v_fma_f32 v98, v157, v221, -v98
	v_fmac_f32_e32 v224, v158, v221
	v_add_f32_e32 v97, v97, v98
	v_add_f32_e32 v223, v223, v224
	v_sub_f32_e32 v97, v181, v97
	v_sub_f32_e32 v98, v182, v223
	buffer_store_dword v97, off, s[0:3], 0 offset:120
	buffer_store_dword v98, off, s[0:3], 0 offset:124
	s_and_saveexec_b64 s[4:5], vcc
	s_cbranch_execz .LBB110_267
; %bb.266:
	buffer_load_dword v97, off, s[0:3], 0 offset:112
	buffer_load_dword v98, off, s[0:3], 0 offset:116
	s_waitcnt vmcnt(0)
	ds_write_b64 v95, v[97:98]
	buffer_store_dword v96, off, s[0:3], 0 offset:112
	buffer_store_dword v96, off, s[0:3], 0 offset:116
.LBB110_267:
	s_or_b64 exec, exec, s[4:5]
	s_waitcnt lgkmcnt(0)
	; wave barrier
	buffer_load_dword v161, off, s[0:3], 0 offset:124
	buffer_load_dword v162, off, s[0:3], 0 offset:132
	;; [unrolled: 1-line block ×26, first 2 shown]
	ds_read2_b64 v[97:100], v96 offset0:63 offset1:64
	ds_read2_b64 v[101:104], v96 offset0:65 offset1:66
	;; [unrolled: 1-line block ×4, first 2 shown]
	buffer_load_dword v187, off, s[0:3], 0 offset:220
	buffer_load_dword v188, off, s[0:3], 0 offset:216
	;; [unrolled: 1-line block ×34, first 2 shown]
	v_cmp_lt_u32_e32 vcc, 13, v0
	s_waitcnt vmcnt(59) lgkmcnt(3)
	v_mul_f32_e32 v113, v97, v161
	s_waitcnt vmcnt(58)
	v_mul_f32_e32 v114, v99, v162
	s_waitcnt vmcnt(57) lgkmcnt(2)
	v_mul_f32_e32 v115, v101, v163
	s_waitcnt vmcnt(56)
	v_mul_f32_e32 v116, v103, v164
	;; [unrolled: 4-line block ×4, first 2 shown]
	s_waitcnt vmcnt(51)
	v_fmac_f32_e32 v113, v98, v169
	s_waitcnt vmcnt(50)
	v_fmac_f32_e32 v114, v100, v170
	v_add_f32_e32 v113, 0, v113
	s_waitcnt vmcnt(49)
	v_fmac_f32_e32 v115, v102, v171
	v_add_f32_e32 v113, v113, v114
	;; [unrolled: 3-line block ×7, first 2 shown]
	v_add_f32_e32 v121, v113, v120
	ds_read2_b64 v[113:116], v96 offset0:71 offset1:72
	buffer_load_dword v221, off, s[0:3], 0 offset:356
	buffer_load_dword v222, off, s[0:3], 0 offset:352
	;; [unrolled: 1-line block ×4, first 2 shown]
	ds_read2_b64 v[117:120], v96 offset0:73 offset1:74
	buffer_load_dword v225, off, s[0:3], 0 offset:368
	buffer_load_dword v226, off, s[0:3], 0 offset:372
	v_mul_f32_e32 v98, v98, v161
	s_waitcnt vmcnt(49) lgkmcnt(1)
	v_mul_f32_e32 v122, v113, v177
	s_waitcnt vmcnt(48)
	v_fmac_f32_e32 v122, v114, v178
	v_fma_f32 v97, v97, v169, -v98
	v_mul_f32_e32 v98, v100, v162
	v_add_f32_e32 v121, v121, v122
	s_waitcnt vmcnt(46)
	v_mul_f32_e32 v122, v115, v180
	v_add_f32_e32 v97, 0, v97
	v_fma_f32 v98, v99, v170, -v98
	v_fmac_f32_e32 v122, v116, v179
	v_add_f32_e32 v97, v97, v98
	v_mul_f32_e32 v98, v102, v163
	v_add_f32_e32 v121, v121, v122
	s_waitcnt vmcnt(43) lgkmcnt(0)
	v_mul_f32_e32 v122, v117, v183
	v_fma_f32 v98, v101, v171, -v98
	s_waitcnt vmcnt(42)
	v_fmac_f32_e32 v122, v118, v184
	v_add_f32_e32 v97, v97, v98
	v_mul_f32_e32 v98, v104, v164
	v_add_f32_e32 v125, v121, v122
	ds_read2_b64 v[121:124], v96 offset0:75 offset1:76
	v_fma_f32 v98, v103, v172, -v98
	v_add_f32_e32 v97, v97, v98
	v_mul_f32_e32 v98, v106, v165
	s_waitcnt vmcnt(40)
	v_mul_f32_e32 v126, v119, v186
	v_fma_f32 v98, v105, v173, -v98
	v_fmac_f32_e32 v126, v120, v185
	v_add_f32_e32 v97, v97, v98
	v_mul_f32_e32 v98, v108, v166
	v_add_f32_e32 v129, v125, v126
	ds_read2_b64 v[125:128], v96 offset0:77 offset1:78
	v_fma_f32 v98, v107, v174, -v98
	s_waitcnt vmcnt(39) lgkmcnt(1)
	v_mul_f32_e32 v130, v121, v187
	v_add_f32_e32 v97, v97, v98
	v_mul_f32_e32 v98, v110, v167
	s_waitcnt vmcnt(38)
	v_fmac_f32_e32 v130, v122, v188
	v_fma_f32 v98, v109, v175, -v98
	v_add_f32_e32 v129, v129, v130
	s_waitcnt vmcnt(36)
	v_mul_f32_e32 v130, v123, v190
	v_add_f32_e32 v97, v97, v98
	v_mul_f32_e32 v98, v112, v168
	v_fmac_f32_e32 v130, v124, v189
	v_fma_f32 v98, v111, v176, -v98
	v_add_f32_e32 v129, v129, v130
	s_waitcnt vmcnt(34) lgkmcnt(0)
	v_mul_f32_e32 v130, v125, v192
	v_add_f32_e32 v97, v97, v98
	v_mul_f32_e32 v98, v114, v177
	v_fmac_f32_e32 v130, v126, v191
	v_fma_f32 v98, v113, v178, -v98
	v_add_f32_e32 v133, v129, v130
	ds_read2_b64 v[129:132], v96 offset0:79 offset1:80
	v_add_f32_e32 v97, v97, v98
	v_mul_f32_e32 v98, v116, v180
	v_fma_f32 v98, v115, v179, -v98
	s_waitcnt vmcnt(32)
	v_mul_f32_e32 v134, v127, v194
	v_add_f32_e32 v97, v97, v98
	v_mul_f32_e32 v98, v118, v183
	v_fmac_f32_e32 v134, v128, v193
	v_fma_f32 v98, v117, v184, -v98
	v_add_f32_e32 v137, v133, v134
	ds_read2_b64 v[133:136], v96 offset0:81 offset1:82
	v_add_f32_e32 v97, v97, v98
	v_mul_f32_e32 v98, v120, v186
	s_waitcnt vmcnt(30) lgkmcnt(1)
	v_mul_f32_e32 v138, v129, v196
	v_fma_f32 v98, v119, v185, -v98
	v_fmac_f32_e32 v138, v130, v195
	v_add_f32_e32 v97, v97, v98
	v_mul_f32_e32 v98, v122, v187
	v_add_f32_e32 v137, v137, v138
	s_waitcnt vmcnt(28)
	v_mul_f32_e32 v138, v131, v198
	v_fma_f32 v98, v121, v188, -v98
	v_fmac_f32_e32 v138, v132, v197
	v_add_f32_e32 v97, v97, v98
	v_mul_f32_e32 v98, v124, v190
	v_add_f32_e32 v137, v137, v138
	s_waitcnt vmcnt(26) lgkmcnt(0)
	v_mul_f32_e32 v138, v133, v200
	v_fma_f32 v98, v123, v189, -v98
	v_fmac_f32_e32 v138, v134, v199
	v_add_f32_e32 v97, v97, v98
	v_mul_f32_e32 v98, v126, v192
	v_add_f32_e32 v141, v137, v138
	ds_read2_b64 v[137:140], v96 offset0:83 offset1:84
	v_fma_f32 v98, v125, v191, -v98
	v_add_f32_e32 v97, v97, v98
	v_mul_f32_e32 v98, v128, v194
	s_waitcnt vmcnt(24)
	v_mul_f32_e32 v142, v135, v202
	v_fma_f32 v98, v127, v193, -v98
	v_fmac_f32_e32 v142, v136, v201
	v_add_f32_e32 v97, v97, v98
	v_mul_f32_e32 v98, v130, v196
	v_add_f32_e32 v145, v141, v142
	ds_read2_b64 v[141:144], v96 offset0:85 offset1:86
	v_fma_f32 v98, v129, v195, -v98
	s_waitcnt vmcnt(22) lgkmcnt(1)
	v_mul_f32_e32 v146, v137, v204
	v_add_f32_e32 v97, v97, v98
	v_mul_f32_e32 v98, v132, v198
	v_fmac_f32_e32 v146, v138, v203
	v_fma_f32 v98, v131, v197, -v98
	v_add_f32_e32 v145, v145, v146
	s_waitcnt vmcnt(20)
	v_mul_f32_e32 v146, v139, v206
	v_add_f32_e32 v97, v97, v98
	v_mul_f32_e32 v98, v134, v200
	v_fmac_f32_e32 v146, v140, v205
	v_fma_f32 v98, v133, v199, -v98
	v_add_f32_e32 v145, v145, v146
	s_waitcnt vmcnt(18) lgkmcnt(0)
	v_mul_f32_e32 v146, v141, v208
	v_add_f32_e32 v97, v97, v98
	v_mul_f32_e32 v98, v136, v202
	v_fmac_f32_e32 v146, v142, v207
	v_fma_f32 v98, v135, v201, -v98
	v_add_f32_e32 v149, v145, v146
	ds_read2_b64 v[145:148], v96 offset0:87 offset1:88
	v_add_f32_e32 v97, v97, v98
	v_mul_f32_e32 v98, v138, v204
	v_fma_f32 v98, v137, v203, -v98
	s_waitcnt vmcnt(16)
	v_mul_f32_e32 v150, v143, v210
	v_add_f32_e32 v97, v97, v98
	v_mul_f32_e32 v98, v140, v206
	v_fmac_f32_e32 v150, v144, v209
	v_fma_f32 v98, v139, v205, -v98
	v_add_f32_e32 v153, v149, v150
	ds_read2_b64 v[149:152], v96 offset0:89 offset1:90
	v_add_f32_e32 v97, v97, v98
	v_mul_f32_e32 v98, v142, v208
	s_waitcnt vmcnt(14) lgkmcnt(1)
	v_mul_f32_e32 v154, v145, v212
	v_fma_f32 v98, v141, v207, -v98
	v_fmac_f32_e32 v154, v146, v211
	v_add_f32_e32 v97, v97, v98
	v_mul_f32_e32 v98, v144, v210
	v_add_f32_e32 v153, v153, v154
	s_waitcnt vmcnt(12)
	v_mul_f32_e32 v154, v147, v214
	v_fma_f32 v98, v143, v209, -v98
	v_fmac_f32_e32 v154, v148, v213
	v_add_f32_e32 v97, v97, v98
	v_mul_f32_e32 v98, v146, v212
	v_add_f32_e32 v153, v153, v154
	s_waitcnt vmcnt(10) lgkmcnt(0)
	v_mul_f32_e32 v154, v149, v216
	v_fma_f32 v98, v145, v211, -v98
	v_fmac_f32_e32 v154, v150, v215
	v_add_f32_e32 v97, v97, v98
	v_mul_f32_e32 v98, v148, v214
	v_add_f32_e32 v157, v153, v154
	ds_read2_b64 v[153:156], v96 offset0:91 offset1:92
	v_fma_f32 v98, v147, v213, -v98
	v_add_f32_e32 v97, v97, v98
	v_mul_f32_e32 v98, v150, v216
	s_waitcnt vmcnt(8)
	v_mul_f32_e32 v158, v151, v218
	v_fma_f32 v98, v149, v215, -v98
	v_fmac_f32_e32 v158, v152, v217
	v_add_f32_e32 v97, v97, v98
	v_mul_f32_e32 v98, v152, v218
	v_add_f32_e32 v227, v157, v158
	ds_read2_b64 v[157:160], v96 offset0:93 offset1:94
	v_fma_f32 v98, v151, v217, -v98
	v_add_f32_e32 v97, v97, v98
	s_waitcnt vmcnt(6) lgkmcnt(1)
	v_mul_f32_e32 v98, v154, v220
	v_mul_f32_e32 v96, v153, v220
	v_fma_f32 v98, v153, v219, -v98
	v_fmac_f32_e32 v96, v154, v219
	v_add_f32_e32 v97, v97, v98
	s_waitcnt vmcnt(5)
	v_mul_f32_e32 v98, v156, v221
	v_add_f32_e32 v96, v227, v96
	v_mul_f32_e32 v227, v155, v221
	s_waitcnt vmcnt(4)
	v_fma_f32 v98, v155, v222, -v98
	v_fmac_f32_e32 v227, v156, v222
	v_add_f32_e32 v97, v97, v98
	s_waitcnt vmcnt(2) lgkmcnt(0)
	v_mul_f32_e32 v98, v158, v224
	v_add_f32_e32 v96, v96, v227
	v_mul_f32_e32 v227, v157, v224
	v_fma_f32 v98, v157, v223, -v98
	v_fmac_f32_e32 v227, v158, v223
	v_add_f32_e32 v97, v97, v98
	s_waitcnt vmcnt(0)
	v_mul_f32_e32 v98, v160, v226
	v_add_f32_e32 v96, v96, v227
	v_mul_f32_e32 v227, v159, v226
	v_fma_f32 v98, v159, v225, -v98
	v_fmac_f32_e32 v227, v160, v225
	v_add_f32_e32 v97, v97, v98
	v_add_f32_e32 v96, v96, v227
	v_sub_f32_e32 v97, v181, v97
	v_sub_f32_e32 v96, v182, v96
	buffer_store_dword v97, off, s[0:3], 0 offset:112
	buffer_store_dword v96, off, s[0:3], 0 offset:116
	s_and_saveexec_b64 s[4:5], vcc
	s_cbranch_execz .LBB110_269
; %bb.268:
	buffer_load_dword v96, off, s[0:3], 0 offset:104
	buffer_load_dword v97, off, s[0:3], 0 offset:108
	v_mov_b32_e32 v98, 0
	buffer_store_dword v98, off, s[0:3], 0 offset:104
	buffer_store_dword v98, off, s[0:3], 0 offset:108
	s_waitcnt vmcnt(2)
	ds_write_b64 v95, v[96:97]
.LBB110_269:
	s_or_b64 exec, exec, s[4:5]
	s_waitcnt lgkmcnt(0)
	; wave barrier
	buffer_load_dword v163, off, s[0:3], 0 offset:116
	buffer_load_dword v164, off, s[0:3], 0 offset:124
	;; [unrolled: 1-line block ×58, first 2 shown]
	v_mov_b32_e32 v96, 0
	ds_read_b128 v[97:100], v96 offset:496
	ds_read_b128 v[101:104], v96 offset:512
	;; [unrolled: 1-line block ×5, first 2 shown]
	buffer_load_dword v221, off, s[0:3], 0 offset:336
	buffer_load_dword v222, off, s[0:3], 0 offset:340
	v_cmp_lt_u32_e32 vcc, 12, v0
	s_waitcnt vmcnt(59) lgkmcnt(4)
	v_mul_f32_e32 v117, v97, v163
	s_waitcnt vmcnt(58)
	v_mul_f32_e32 v118, v99, v164
	s_waitcnt vmcnt(57) lgkmcnt(3)
	v_mul_f32_e32 v119, v101, v165
	s_waitcnt vmcnt(56)
	v_mul_f32_e32 v120, v103, v166
	;; [unrolled: 4-line block ×4, first 2 shown]
	s_waitcnt vmcnt(51)
	v_fmac_f32_e32 v117, v98, v171
	s_waitcnt vmcnt(50)
	v_fmac_f32_e32 v118, v100, v172
	v_add_f32_e32 v117, 0, v117
	s_waitcnt vmcnt(49)
	v_fmac_f32_e32 v119, v102, v173
	v_add_f32_e32 v117, v117, v118
	;; [unrolled: 3-line block ×7, first 2 shown]
	v_add_f32_e32 v121, v117, v124
	ds_read_b128 v[117:120], v96 offset:576
	buffer_load_dword v223, off, s[0:3], 0 offset:348
	buffer_load_dword v224, off, s[0:3], 0 offset:344
	buffer_load_dword v225, off, s[0:3], 0 offset:352
	buffer_load_dword v226, off, s[0:3], 0 offset:356
	buffer_load_dword v227, off, s[0:3], 0 offset:364
	buffer_load_dword v228, off, s[0:3], 0 offset:360
	buffer_load_dword v229, off, s[0:3], 0 offset:368
	buffer_load_dword v230, off, s[0:3], 0 offset:372
	s_waitcnt vmcnt(51) lgkmcnt(1)
	v_mul_f32_e32 v122, v113, v179
	s_waitcnt vmcnt(50)
	v_fmac_f32_e32 v122, v114, v180
	v_mul_f32_e32 v98, v98, v163
	v_add_f32_e32 v121, v121, v122
	s_waitcnt vmcnt(49)
	v_mul_f32_e32 v122, v115, v181
	v_fma_f32 v97, v97, v171, -v98
	v_mul_f32_e32 v98, v100, v164
	s_waitcnt vmcnt(46)
	v_fmac_f32_e32 v122, v116, v184
	v_add_f32_e32 v97, 0, v97
	v_fma_f32 v98, v99, v172, -v98
	v_add_f32_e32 v121, v121, v122
	s_waitcnt vmcnt(44) lgkmcnt(0)
	v_mul_f32_e32 v122, v117, v186
	v_add_f32_e32 v97, v97, v98
	v_mul_f32_e32 v98, v102, v165
	v_fmac_f32_e32 v122, v118, v185
	v_fma_f32 v98, v101, v173, -v98
	v_add_f32_e32 v125, v121, v122
	ds_read_b128 v[121:124], v96 offset:592
	v_add_f32_e32 v97, v97, v98
	v_mul_f32_e32 v98, v104, v166
	v_fma_f32 v98, v103, v174, -v98
	s_waitcnt vmcnt(42)
	v_mul_f32_e32 v126, v119, v188
	v_add_f32_e32 v97, v97, v98
	v_mul_f32_e32 v98, v106, v167
	v_fmac_f32_e32 v126, v120, v187
	v_fma_f32 v98, v105, v175, -v98
	v_add_f32_e32 v129, v125, v126
	ds_read_b128 v[125:128], v96 offset:608
	v_add_f32_e32 v97, v97, v98
	v_mul_f32_e32 v98, v108, v168
	s_waitcnt vmcnt(40) lgkmcnt(1)
	v_mul_f32_e32 v130, v121, v190
	v_fma_f32 v98, v107, v176, -v98
	v_fmac_f32_e32 v130, v122, v189
	v_add_f32_e32 v97, v97, v98
	v_mul_f32_e32 v98, v110, v169
	v_add_f32_e32 v129, v129, v130
	s_waitcnt vmcnt(38)
	v_mul_f32_e32 v130, v123, v192
	v_fma_f32 v98, v109, v177, -v98
	v_fmac_f32_e32 v130, v124, v191
	v_add_f32_e32 v97, v97, v98
	v_mul_f32_e32 v98, v112, v170
	v_add_f32_e32 v129, v129, v130
	s_waitcnt vmcnt(36) lgkmcnt(0)
	v_mul_f32_e32 v130, v125, v194
	v_fma_f32 v98, v111, v178, -v98
	v_fmac_f32_e32 v130, v126, v193
	v_add_f32_e32 v97, v97, v98
	v_mul_f32_e32 v98, v114, v179
	v_add_f32_e32 v133, v129, v130
	ds_read_b128 v[129:132], v96 offset:624
	v_fma_f32 v98, v113, v180, -v98
	v_add_f32_e32 v97, v97, v98
	v_mul_f32_e32 v98, v116, v181
	s_waitcnt vmcnt(34)
	v_mul_f32_e32 v134, v127, v196
	v_fma_f32 v98, v115, v184, -v98
	v_fmac_f32_e32 v134, v128, v195
	v_add_f32_e32 v97, v97, v98
	v_mul_f32_e32 v98, v118, v186
	v_add_f32_e32 v137, v133, v134
	ds_read_b128 v[133:136], v96 offset:640
	v_fma_f32 v98, v117, v185, -v98
	s_waitcnt vmcnt(32) lgkmcnt(1)
	v_mul_f32_e32 v138, v129, v198
	v_add_f32_e32 v97, v97, v98
	v_mul_f32_e32 v98, v120, v188
	v_fmac_f32_e32 v138, v130, v197
	v_fma_f32 v98, v119, v187, -v98
	v_add_f32_e32 v137, v137, v138
	s_waitcnt vmcnt(30)
	v_mul_f32_e32 v138, v131, v200
	v_add_f32_e32 v97, v97, v98
	v_mul_f32_e32 v98, v122, v190
	v_fmac_f32_e32 v138, v132, v199
	v_fma_f32 v98, v121, v189, -v98
	v_add_f32_e32 v137, v137, v138
	s_waitcnt vmcnt(28) lgkmcnt(0)
	v_mul_f32_e32 v138, v133, v202
	v_add_f32_e32 v97, v97, v98
	v_mul_f32_e32 v98, v124, v192
	v_fmac_f32_e32 v138, v134, v201
	v_fma_f32 v98, v123, v191, -v98
	v_add_f32_e32 v141, v137, v138
	ds_read_b128 v[137:140], v96 offset:656
	v_add_f32_e32 v97, v97, v98
	v_mul_f32_e32 v98, v126, v194
	v_fma_f32 v98, v125, v193, -v98
	s_waitcnt vmcnt(26)
	v_mul_f32_e32 v142, v135, v204
	v_add_f32_e32 v97, v97, v98
	v_mul_f32_e32 v98, v128, v196
	v_fmac_f32_e32 v142, v136, v203
	v_fma_f32 v98, v127, v195, -v98
	v_add_f32_e32 v145, v141, v142
	ds_read_b128 v[141:144], v96 offset:672
	v_add_f32_e32 v97, v97, v98
	v_mul_f32_e32 v98, v130, v198
	s_waitcnt vmcnt(24) lgkmcnt(1)
	v_mul_f32_e32 v146, v137, v206
	v_fma_f32 v98, v129, v197, -v98
	v_fmac_f32_e32 v146, v138, v205
	v_add_f32_e32 v97, v97, v98
	v_mul_f32_e32 v98, v132, v200
	v_add_f32_e32 v145, v145, v146
	s_waitcnt vmcnt(22)
	v_mul_f32_e32 v146, v139, v208
	v_fma_f32 v98, v131, v199, -v98
	v_fmac_f32_e32 v146, v140, v207
	v_add_f32_e32 v97, v97, v98
	v_mul_f32_e32 v98, v134, v202
	v_add_f32_e32 v145, v145, v146
	s_waitcnt vmcnt(20) lgkmcnt(0)
	v_mul_f32_e32 v146, v141, v210
	v_fma_f32 v98, v133, v201, -v98
	v_fmac_f32_e32 v146, v142, v209
	v_add_f32_e32 v97, v97, v98
	v_mul_f32_e32 v98, v136, v204
	v_add_f32_e32 v149, v145, v146
	ds_read_b128 v[145:148], v96 offset:688
	v_fma_f32 v98, v135, v203, -v98
	v_add_f32_e32 v97, v97, v98
	v_mul_f32_e32 v98, v138, v206
	s_waitcnt vmcnt(18)
	v_mul_f32_e32 v150, v143, v212
	v_fma_f32 v98, v137, v205, -v98
	v_fmac_f32_e32 v150, v144, v211
	v_add_f32_e32 v97, v97, v98
	v_mul_f32_e32 v98, v140, v208
	v_add_f32_e32 v153, v149, v150
	ds_read_b128 v[149:152], v96 offset:704
	v_fma_f32 v98, v139, v207, -v98
	s_waitcnt vmcnt(16) lgkmcnt(1)
	v_mul_f32_e32 v154, v145, v214
	v_add_f32_e32 v97, v97, v98
	v_mul_f32_e32 v98, v142, v210
	v_fmac_f32_e32 v154, v146, v213
	v_fma_f32 v98, v141, v209, -v98
	v_add_f32_e32 v153, v153, v154
	s_waitcnt vmcnt(14)
	v_mul_f32_e32 v154, v147, v216
	v_add_f32_e32 v97, v97, v98
	v_mul_f32_e32 v98, v144, v212
	v_fmac_f32_e32 v154, v148, v215
	v_fma_f32 v98, v143, v211, -v98
	v_add_f32_e32 v153, v153, v154
	s_waitcnt vmcnt(12) lgkmcnt(0)
	v_mul_f32_e32 v154, v149, v218
	v_add_f32_e32 v97, v97, v98
	v_mul_f32_e32 v98, v146, v214
	v_fmac_f32_e32 v154, v150, v217
	v_fma_f32 v98, v145, v213, -v98
	v_add_f32_e32 v157, v153, v154
	ds_read_b128 v[153:156], v96 offset:720
	v_add_f32_e32 v97, v97, v98
	v_mul_f32_e32 v98, v148, v216
	v_fma_f32 v98, v147, v215, -v98
	v_add_f32_e32 v97, v97, v98
	v_mul_f32_e32 v98, v150, v218
	s_waitcnt vmcnt(10)
	v_mul_f32_e32 v158, v151, v220
	v_fma_f32 v98, v149, v217, -v98
	v_fmac_f32_e32 v158, v152, v219
	v_add_f32_e32 v97, v97, v98
	v_mul_f32_e32 v98, v152, v220
	v_add_f32_e32 v161, v157, v158
	ds_read_b128 v[157:160], v96 offset:736
	s_waitcnt vmcnt(8) lgkmcnt(1)
	v_mul_f32_e32 v162, v153, v222
	v_fma_f32 v98, v151, v219, -v98
	v_fmac_f32_e32 v162, v154, v221
	v_add_f32_e32 v97, v97, v98
	v_mul_f32_e32 v98, v154, v222
	v_add_f32_e32 v161, v161, v162
	s_waitcnt vmcnt(7)
	v_mul_f32_e32 v162, v155, v223
	v_fma_f32 v98, v153, v221, -v98
	s_waitcnt vmcnt(6)
	v_fmac_f32_e32 v162, v156, v224
	v_add_f32_e32 v97, v97, v98
	v_mul_f32_e32 v98, v156, v223
	v_add_f32_e32 v231, v161, v162
	ds_read_b64 v[161:162], v96 offset:752
	v_fma_f32 v98, v155, v224, -v98
	v_add_f32_e32 v97, v97, v98
	s_waitcnt vmcnt(4) lgkmcnt(1)
	v_mul_f32_e32 v98, v158, v226
	v_mul_f32_e32 v232, v157, v226
	v_fma_f32 v98, v157, v225, -v98
	v_fmac_f32_e32 v232, v158, v225
	v_add_f32_e32 v97, v97, v98
	s_waitcnt vmcnt(3)
	v_mul_f32_e32 v98, v160, v227
	v_add_f32_e32 v231, v231, v232
	v_mul_f32_e32 v232, v159, v227
	s_waitcnt vmcnt(2)
	v_fma_f32 v98, v159, v228, -v98
	v_fmac_f32_e32 v232, v160, v228
	v_add_f32_e32 v97, v97, v98
	s_waitcnt vmcnt(0) lgkmcnt(0)
	v_mul_f32_e32 v98, v162, v230
	v_add_f32_e32 v231, v231, v232
	v_mul_f32_e32 v232, v161, v230
	v_fma_f32 v98, v161, v229, -v98
	v_fmac_f32_e32 v232, v162, v229
	v_add_f32_e32 v97, v97, v98
	v_add_f32_e32 v231, v231, v232
	v_sub_f32_e32 v97, v182, v97
	v_sub_f32_e32 v98, v183, v231
	buffer_store_dword v97, off, s[0:3], 0 offset:104
	buffer_store_dword v98, off, s[0:3], 0 offset:108
	s_and_saveexec_b64 s[4:5], vcc
	s_cbranch_execz .LBB110_271
; %bb.270:
	buffer_load_dword v97, off, s[0:3], 0 offset:96
	buffer_load_dword v98, off, s[0:3], 0 offset:100
	s_waitcnt vmcnt(0)
	ds_write_b64 v95, v[97:98]
	buffer_store_dword v96, off, s[0:3], 0 offset:96
	buffer_store_dword v96, off, s[0:3], 0 offset:100
.LBB110_271:
	s_or_b64 exec, exec, s[4:5]
	s_waitcnt lgkmcnt(0)
	; wave barrier
	buffer_load_dword v165, off, s[0:3], 0 offset:108
	buffer_load_dword v166, off, s[0:3], 0 offset:116
	;; [unrolled: 1-line block ×24, first 2 shown]
	ds_read2_b64 v[97:100], v96 offset0:61 offset1:62
	ds_read2_b64 v[101:104], v96 offset0:63 offset1:64
	;; [unrolled: 1-line block ×6, first 2 shown]
	buffer_load_dword v189, off, s[0:3], 0 offset:196
	buffer_load_dword v190, off, s[0:3], 0 offset:192
	;; [unrolled: 1-line block ×46, first 2 shown]
	v_cmp_lt_u32_e32 vcc, 11, v0
	s_waitcnt vmcnt(62) lgkmcnt(5)
	v_mul_f32_e32 v121, v97, v165
	v_mul_f32_e32 v122, v99, v166
	s_waitcnt lgkmcnt(4)
	v_mul_f32_e32 v123, v101, v167
	v_mul_f32_e32 v124, v103, v168
	s_waitcnt lgkmcnt(3)
	;; [unrolled: 3-line block ×3, first 2 shown]
	v_mul_f32_e32 v127, v109, v171
	v_mul_f32_e32 v128, v111, v172
	s_waitcnt vmcnt(61)
	v_fmac_f32_e32 v121, v98, v173
	s_waitcnt vmcnt(60)
	v_fmac_f32_e32 v122, v100, v174
	v_add_f32_e32 v121, 0, v121
	s_waitcnt vmcnt(59)
	v_fmac_f32_e32 v123, v102, v175
	v_add_f32_e32 v121, v121, v122
	;; [unrolled: 3-line block ×7, first 2 shown]
	s_waitcnt vmcnt(53) lgkmcnt(1)
	v_mul_f32_e32 v122, v113, v181
	v_add_f32_e32 v121, v121, v128
	s_waitcnt vmcnt(52)
	v_fmac_f32_e32 v122, v114, v182
	v_mul_f32_e32 v98, v98, v165
	v_add_f32_e32 v121, v121, v122
	s_waitcnt vmcnt(51)
	v_mul_f32_e32 v122, v115, v183
	v_fma_f32 v97, v97, v173, -v98
	v_mul_f32_e32 v98, v100, v166
	s_waitcnt vmcnt(50)
	v_fmac_f32_e32 v122, v116, v184
	v_add_f32_e32 v97, 0, v97
	v_fma_f32 v98, v99, v174, -v98
	v_add_f32_e32 v121, v121, v122
	s_waitcnt vmcnt(47) lgkmcnt(0)
	v_mul_f32_e32 v122, v117, v187
	v_add_f32_e32 v97, v97, v98
	v_mul_f32_e32 v98, v102, v167
	s_waitcnt vmcnt(46)
	v_fmac_f32_e32 v122, v118, v188
	v_fma_f32 v98, v101, v175, -v98
	v_add_f32_e32 v125, v121, v122
	ds_read2_b64 v[121:124], v96 offset0:73 offset1:74
	v_add_f32_e32 v97, v97, v98
	v_mul_f32_e32 v98, v104, v168
	v_fma_f32 v98, v103, v176, -v98
	s_waitcnt vmcnt(45)
	v_mul_f32_e32 v126, v119, v189
	v_add_f32_e32 v97, v97, v98
	v_mul_f32_e32 v98, v106, v169
	s_waitcnt vmcnt(44)
	v_fmac_f32_e32 v126, v120, v190
	v_fma_f32 v98, v105, v177, -v98
	v_add_f32_e32 v129, v125, v126
	ds_read2_b64 v[125:128], v96 offset0:75 offset1:76
	v_add_f32_e32 v97, v97, v98
	v_mul_f32_e32 v98, v108, v170
	s_waitcnt vmcnt(42) lgkmcnt(1)
	v_mul_f32_e32 v130, v121, v192
	v_fma_f32 v98, v107, v178, -v98
	v_fmac_f32_e32 v130, v122, v191
	v_add_f32_e32 v97, v97, v98
	v_mul_f32_e32 v98, v110, v171
	v_add_f32_e32 v129, v129, v130
	s_waitcnt vmcnt(40)
	v_mul_f32_e32 v130, v123, v194
	v_fma_f32 v98, v109, v179, -v98
	v_fmac_f32_e32 v130, v124, v193
	v_add_f32_e32 v97, v97, v98
	v_mul_f32_e32 v98, v112, v172
	v_add_f32_e32 v129, v129, v130
	s_waitcnt vmcnt(38) lgkmcnt(0)
	v_mul_f32_e32 v130, v125, v196
	v_fma_f32 v98, v111, v180, -v98
	v_fmac_f32_e32 v130, v126, v195
	v_add_f32_e32 v97, v97, v98
	v_mul_f32_e32 v98, v114, v181
	v_add_f32_e32 v133, v129, v130
	ds_read2_b64 v[129:132], v96 offset0:77 offset1:78
	v_fma_f32 v98, v113, v182, -v98
	v_add_f32_e32 v97, v97, v98
	v_mul_f32_e32 v98, v116, v183
	s_waitcnt vmcnt(36)
	v_mul_f32_e32 v134, v127, v198
	v_fma_f32 v98, v115, v184, -v98
	v_fmac_f32_e32 v134, v128, v197
	v_add_f32_e32 v97, v97, v98
	v_mul_f32_e32 v98, v118, v187
	v_add_f32_e32 v137, v133, v134
	ds_read2_b64 v[133:136], v96 offset0:79 offset1:80
	v_fma_f32 v98, v117, v188, -v98
	s_waitcnt vmcnt(34) lgkmcnt(1)
	v_mul_f32_e32 v138, v129, v200
	v_add_f32_e32 v97, v97, v98
	v_mul_f32_e32 v98, v120, v189
	v_fmac_f32_e32 v138, v130, v199
	v_fma_f32 v98, v119, v190, -v98
	v_add_f32_e32 v137, v137, v138
	s_waitcnt vmcnt(32)
	v_mul_f32_e32 v138, v131, v202
	v_add_f32_e32 v97, v97, v98
	v_mul_f32_e32 v98, v122, v192
	v_fmac_f32_e32 v138, v132, v201
	v_fma_f32 v98, v121, v191, -v98
	v_add_f32_e32 v137, v137, v138
	s_waitcnt vmcnt(30) lgkmcnt(0)
	v_mul_f32_e32 v138, v133, v204
	v_add_f32_e32 v97, v97, v98
	v_mul_f32_e32 v98, v124, v194
	v_fmac_f32_e32 v138, v134, v203
	v_fma_f32 v98, v123, v193, -v98
	v_add_f32_e32 v141, v137, v138
	ds_read2_b64 v[137:140], v96 offset0:81 offset1:82
	v_add_f32_e32 v97, v97, v98
	v_mul_f32_e32 v98, v126, v196
	v_fma_f32 v98, v125, v195, -v98
	s_waitcnt vmcnt(28)
	v_mul_f32_e32 v142, v135, v206
	v_add_f32_e32 v97, v97, v98
	v_mul_f32_e32 v98, v128, v198
	v_fmac_f32_e32 v142, v136, v205
	v_fma_f32 v98, v127, v197, -v98
	v_add_f32_e32 v145, v141, v142
	ds_read2_b64 v[141:144], v96 offset0:83 offset1:84
	v_add_f32_e32 v97, v97, v98
	v_mul_f32_e32 v98, v130, v200
	s_waitcnt vmcnt(26) lgkmcnt(1)
	v_mul_f32_e32 v146, v137, v208
	v_fma_f32 v98, v129, v199, -v98
	v_fmac_f32_e32 v146, v138, v207
	v_add_f32_e32 v97, v97, v98
	v_mul_f32_e32 v98, v132, v202
	v_add_f32_e32 v145, v145, v146
	s_waitcnt vmcnt(24)
	v_mul_f32_e32 v146, v139, v210
	v_fma_f32 v98, v131, v201, -v98
	v_fmac_f32_e32 v146, v140, v209
	v_add_f32_e32 v97, v97, v98
	v_mul_f32_e32 v98, v134, v204
	v_add_f32_e32 v145, v145, v146
	s_waitcnt vmcnt(22) lgkmcnt(0)
	v_mul_f32_e32 v146, v141, v212
	v_fma_f32 v98, v133, v203, -v98
	v_fmac_f32_e32 v146, v142, v211
	v_add_f32_e32 v97, v97, v98
	v_mul_f32_e32 v98, v136, v206
	v_add_f32_e32 v149, v145, v146
	ds_read2_b64 v[145:148], v96 offset0:85 offset1:86
	v_fma_f32 v98, v135, v205, -v98
	v_add_f32_e32 v97, v97, v98
	v_mul_f32_e32 v98, v138, v208
	s_waitcnt vmcnt(20)
	v_mul_f32_e32 v150, v143, v214
	v_fma_f32 v98, v137, v207, -v98
	v_fmac_f32_e32 v150, v144, v213
	v_add_f32_e32 v97, v97, v98
	v_mul_f32_e32 v98, v140, v210
	v_add_f32_e32 v153, v149, v150
	ds_read2_b64 v[149:152], v96 offset0:87 offset1:88
	v_fma_f32 v98, v139, v209, -v98
	s_waitcnt vmcnt(18) lgkmcnt(1)
	v_mul_f32_e32 v154, v145, v216
	v_add_f32_e32 v97, v97, v98
	v_mul_f32_e32 v98, v142, v212
	v_fmac_f32_e32 v154, v146, v215
	v_fma_f32 v98, v141, v211, -v98
	v_add_f32_e32 v153, v153, v154
	s_waitcnt vmcnt(16)
	v_mul_f32_e32 v154, v147, v218
	v_add_f32_e32 v97, v97, v98
	v_mul_f32_e32 v98, v144, v214
	v_fmac_f32_e32 v154, v148, v217
	v_fma_f32 v98, v143, v213, -v98
	v_add_f32_e32 v153, v153, v154
	s_waitcnt vmcnt(14) lgkmcnt(0)
	v_mul_f32_e32 v154, v149, v220
	v_add_f32_e32 v97, v97, v98
	v_mul_f32_e32 v98, v146, v216
	v_fmac_f32_e32 v154, v150, v219
	v_fma_f32 v98, v145, v215, -v98
	v_add_f32_e32 v157, v153, v154
	ds_read2_b64 v[153:156], v96 offset0:89 offset1:90
	v_add_f32_e32 v97, v97, v98
	v_mul_f32_e32 v98, v148, v218
	v_fma_f32 v98, v147, v217, -v98
	v_add_f32_e32 v97, v97, v98
	v_mul_f32_e32 v98, v150, v220
	s_waitcnt vmcnt(12)
	v_mul_f32_e32 v158, v151, v222
	v_fma_f32 v98, v149, v219, -v98
	v_fmac_f32_e32 v158, v152, v221
	v_add_f32_e32 v97, v97, v98
	v_mul_f32_e32 v98, v152, v222
	v_add_f32_e32 v161, v157, v158
	ds_read2_b64 v[157:160], v96 offset0:91 offset1:92
	s_waitcnt vmcnt(10) lgkmcnt(1)
	v_mul_f32_e32 v162, v153, v224
	v_fma_f32 v98, v151, v221, -v98
	v_fmac_f32_e32 v162, v154, v223
	v_add_f32_e32 v97, v97, v98
	v_mul_f32_e32 v98, v154, v224
	v_add_f32_e32 v161, v161, v162
	s_waitcnt vmcnt(9)
	v_mul_f32_e32 v162, v155, v225
	v_fma_f32 v98, v153, v223, -v98
	s_waitcnt vmcnt(8)
	v_fmac_f32_e32 v162, v156, v226
	v_add_f32_e32 v97, v97, v98
	v_mul_f32_e32 v98, v156, v225
	v_add_f32_e32 v235, v161, v162
	ds_read2_b64 v[161:164], v96 offset0:93 offset1:94
	v_fma_f32 v98, v155, v226, -v98
	v_add_f32_e32 v97, v97, v98
	s_waitcnt vmcnt(6) lgkmcnt(1)
	v_mul_f32_e32 v98, v158, v228
	v_mul_f32_e32 v236, v157, v228
	v_fma_f32 v98, v157, v227, -v98
	v_fmac_f32_e32 v236, v158, v227
	v_add_f32_e32 v97, v97, v98
	s_waitcnt vmcnt(4)
	v_mul_f32_e32 v98, v160, v230
	v_add_f32_e32 v96, v235, v236
	v_mul_f32_e32 v235, v159, v230
	v_fma_f32 v98, v159, v229, -v98
	v_fmac_f32_e32 v235, v160, v229
	v_add_f32_e32 v97, v97, v98
	s_waitcnt vmcnt(3) lgkmcnt(0)
	v_mul_f32_e32 v98, v162, v231
	v_add_f32_e32 v96, v96, v235
	v_mul_f32_e32 v235, v161, v231
	s_waitcnt vmcnt(2)
	v_fma_f32 v98, v161, v232, -v98
	v_fmac_f32_e32 v235, v162, v232
	v_add_f32_e32 v97, v97, v98
	s_waitcnt vmcnt(0)
	v_mul_f32_e32 v98, v164, v234
	v_add_f32_e32 v96, v96, v235
	v_mul_f32_e32 v235, v163, v234
	v_fma_f32 v98, v163, v233, -v98
	v_fmac_f32_e32 v235, v164, v233
	v_add_f32_e32 v97, v97, v98
	v_add_f32_e32 v96, v96, v235
	v_sub_f32_e32 v97, v185, v97
	v_sub_f32_e32 v96, v186, v96
	buffer_store_dword v97, off, s[0:3], 0 offset:96
	buffer_store_dword v96, off, s[0:3], 0 offset:100
	s_and_saveexec_b64 s[4:5], vcc
	s_cbranch_execz .LBB110_273
; %bb.272:
	buffer_load_dword v96, off, s[0:3], 0 offset:88
	buffer_load_dword v97, off, s[0:3], 0 offset:92
	v_mov_b32_e32 v98, 0
	buffer_store_dword v98, off, s[0:3], 0 offset:88
	buffer_store_dword v98, off, s[0:3], 0 offset:92
	s_waitcnt vmcnt(2)
	ds_write_b64 v95, v[96:97]
.LBB110_273:
	s_or_b64 exec, exec, s[4:5]
	s_waitcnt lgkmcnt(0)
	; wave barrier
	buffer_load_dword v167, off, s[0:3], 0 offset:100
	buffer_load_dword v168, off, s[0:3], 0 offset:108
	;; [unrolled: 1-line block ×56, first 2 shown]
	v_mov_b32_e32 v96, 0
	ds_read_b128 v[97:100], v96 offset:480
	ds_read_b128 v[101:104], v96 offset:496
	;; [unrolled: 1-line block ×6, first 2 shown]
	buffer_load_dword v223, off, s[0:3], 0 offset:312
	buffer_load_dword v224, off, s[0:3], 0 offset:316
	buffer_load_dword v225, off, s[0:3], 0 offset:320
	buffer_load_dword v226, off, s[0:3], 0 offset:324
	buffer_load_dword v227, off, s[0:3], 0 offset:332
	buffer_load_dword v228, off, s[0:3], 0 offset:328
	buffer_load_dword v229, off, s[0:3], 0 offset:336
	buffer_load_dword v230, off, s[0:3], 0 offset:340
	buffer_load_dword v231, off, s[0:3], 0 offset:344
	buffer_load_dword v232, off, s[0:3], 0 offset:348
	buffer_load_dword v233, off, s[0:3], 0 offset:352
	buffer_load_dword v234, off, s[0:3], 0 offset:356
	v_cmp_lt_u32_e32 vcc, 10, v0
	s_waitcnt vmcnt(62) lgkmcnt(5)
	v_mul_f32_e32 v121, v97, v167
	v_mul_f32_e32 v122, v99, v168
	s_waitcnt lgkmcnt(4)
	v_mul_f32_e32 v123, v101, v169
	v_mul_f32_e32 v124, v103, v170
	s_waitcnt lgkmcnt(3)
	v_mul_f32_e32 v125, v105, v171
	v_mul_f32_e32 v126, v107, v172
	s_waitcnt vmcnt(61) lgkmcnt(2)
	v_mul_f32_e32 v127, v109, v173
	s_waitcnt vmcnt(60)
	v_mul_f32_e32 v128, v111, v174
	s_waitcnt vmcnt(59) lgkmcnt(1)
	v_mul_f32_e32 v129, v113, v175
	s_waitcnt vmcnt(58)
	v_fmac_f32_e32 v121, v98, v176
	s_waitcnt vmcnt(57)
	v_fmac_f32_e32 v122, v100, v177
	v_add_f32_e32 v121, 0, v121
	s_waitcnt vmcnt(56)
	v_fmac_f32_e32 v123, v102, v178
	v_add_f32_e32 v121, v121, v122
	;; [unrolled: 3-line block ×7, first 2 shown]
	v_add_f32_e32 v121, v121, v128
	s_waitcnt vmcnt(50)
	v_fmac_f32_e32 v129, v114, v184
	s_waitcnt vmcnt(49)
	v_mul_f32_e32 v122, v115, v185
	v_add_f32_e32 v121, v121, v129
	s_waitcnt vmcnt(48)
	v_fmac_f32_e32 v122, v116, v186
	v_add_f32_e32 v121, v121, v122
	s_waitcnt vmcnt(47) lgkmcnt(0)
	v_mul_f32_e32 v122, v117, v187
	s_waitcnt vmcnt(44)
	v_fmac_f32_e32 v122, v118, v190
	v_add_f32_e32 v125, v121, v122
	ds_read_b128 v[121:124], v96 offset:576
	buffer_load_dword v235, off, s[0:3], 0 offset:364
	buffer_load_dword v236, off, s[0:3], 0 offset:360
	;; [unrolled: 1-line block ×4, first 2 shown]
	v_mul_f32_e32 v98, v98, v167
	v_fma_f32 v97, v97, v176, -v98
	v_mul_f32_e32 v98, v100, v168
	v_add_f32_e32 v97, 0, v97
	v_fma_f32 v98, v99, v177, -v98
	v_add_f32_e32 v97, v97, v98
	v_mul_f32_e32 v98, v102, v169
	v_fma_f32 v98, v101, v178, -v98
	s_waitcnt vmcnt(46)
	v_mul_f32_e32 v126, v119, v192
	v_add_f32_e32 v97, v97, v98
	v_mul_f32_e32 v98, v104, v170
	v_fmac_f32_e32 v126, v120, v191
	v_fma_f32 v98, v103, v179, -v98
	v_add_f32_e32 v129, v125, v126
	ds_read_b128 v[125:128], v96 offset:592
	v_add_f32_e32 v97, v97, v98
	v_mul_f32_e32 v98, v106, v171
	s_waitcnt vmcnt(44) lgkmcnt(1)
	v_mul_f32_e32 v130, v121, v194
	v_fma_f32 v98, v105, v180, -v98
	v_fmac_f32_e32 v130, v122, v193
	v_add_f32_e32 v97, v97, v98
	v_mul_f32_e32 v98, v108, v172
	v_add_f32_e32 v129, v129, v130
	s_waitcnt vmcnt(42)
	v_mul_f32_e32 v130, v123, v196
	v_fma_f32 v98, v107, v181, -v98
	v_fmac_f32_e32 v130, v124, v195
	v_add_f32_e32 v97, v97, v98
	v_mul_f32_e32 v98, v110, v173
	v_add_f32_e32 v129, v129, v130
	s_waitcnt vmcnt(40) lgkmcnt(0)
	v_mul_f32_e32 v130, v125, v198
	v_fma_f32 v98, v109, v182, -v98
	v_fmac_f32_e32 v130, v126, v197
	v_add_f32_e32 v97, v97, v98
	v_mul_f32_e32 v98, v112, v174
	v_add_f32_e32 v133, v129, v130
	ds_read_b128 v[129:132], v96 offset:608
	v_fma_f32 v98, v111, v183, -v98
	v_add_f32_e32 v97, v97, v98
	v_mul_f32_e32 v98, v114, v175
	s_waitcnt vmcnt(38)
	v_mul_f32_e32 v134, v127, v200
	v_fma_f32 v98, v113, v184, -v98
	v_fmac_f32_e32 v134, v128, v199
	v_add_f32_e32 v97, v97, v98
	v_mul_f32_e32 v98, v116, v185
	v_add_f32_e32 v137, v133, v134
	ds_read_b128 v[133:136], v96 offset:624
	v_fma_f32 v98, v115, v186, -v98
	s_waitcnt vmcnt(36) lgkmcnt(1)
	v_mul_f32_e32 v138, v129, v202
	v_add_f32_e32 v97, v97, v98
	v_mul_f32_e32 v98, v118, v187
	v_fmac_f32_e32 v138, v130, v201
	v_fma_f32 v98, v117, v190, -v98
	v_add_f32_e32 v137, v137, v138
	s_waitcnt vmcnt(34)
	v_mul_f32_e32 v138, v131, v204
	v_add_f32_e32 v97, v97, v98
	v_mul_f32_e32 v98, v120, v192
	v_fmac_f32_e32 v138, v132, v203
	v_fma_f32 v98, v119, v191, -v98
	v_add_f32_e32 v137, v137, v138
	s_waitcnt vmcnt(32) lgkmcnt(0)
	v_mul_f32_e32 v138, v133, v206
	v_add_f32_e32 v97, v97, v98
	v_mul_f32_e32 v98, v122, v194
	v_fmac_f32_e32 v138, v134, v205
	v_fma_f32 v98, v121, v193, -v98
	v_add_f32_e32 v141, v137, v138
	ds_read_b128 v[137:140], v96 offset:640
	v_add_f32_e32 v97, v97, v98
	v_mul_f32_e32 v98, v124, v196
	v_fma_f32 v98, v123, v195, -v98
	s_waitcnt vmcnt(30)
	v_mul_f32_e32 v142, v135, v208
	v_add_f32_e32 v97, v97, v98
	v_mul_f32_e32 v98, v126, v198
	v_fmac_f32_e32 v142, v136, v207
	v_fma_f32 v98, v125, v197, -v98
	v_add_f32_e32 v145, v141, v142
	ds_read_b128 v[141:144], v96 offset:656
	v_add_f32_e32 v97, v97, v98
	v_mul_f32_e32 v98, v128, v200
	s_waitcnt vmcnt(28) lgkmcnt(1)
	v_mul_f32_e32 v146, v137, v210
	v_fma_f32 v98, v127, v199, -v98
	v_fmac_f32_e32 v146, v138, v209
	v_add_f32_e32 v97, v97, v98
	v_mul_f32_e32 v98, v130, v202
	v_add_f32_e32 v145, v145, v146
	s_waitcnt vmcnt(26)
	v_mul_f32_e32 v146, v139, v212
	v_fma_f32 v98, v129, v201, -v98
	v_fmac_f32_e32 v146, v140, v211
	v_add_f32_e32 v97, v97, v98
	v_mul_f32_e32 v98, v132, v204
	v_add_f32_e32 v145, v145, v146
	s_waitcnt vmcnt(24) lgkmcnt(0)
	v_mul_f32_e32 v146, v141, v214
	v_fma_f32 v98, v131, v203, -v98
	v_fmac_f32_e32 v146, v142, v213
	v_add_f32_e32 v97, v97, v98
	v_mul_f32_e32 v98, v134, v206
	v_add_f32_e32 v149, v145, v146
	ds_read_b128 v[145:148], v96 offset:672
	v_fma_f32 v98, v133, v205, -v98
	v_add_f32_e32 v97, v97, v98
	v_mul_f32_e32 v98, v136, v208
	s_waitcnt vmcnt(22)
	v_mul_f32_e32 v150, v143, v216
	v_fma_f32 v98, v135, v207, -v98
	v_fmac_f32_e32 v150, v144, v215
	v_add_f32_e32 v97, v97, v98
	v_mul_f32_e32 v98, v138, v210
	v_add_f32_e32 v153, v149, v150
	ds_read_b128 v[149:152], v96 offset:688
	v_fma_f32 v98, v137, v209, -v98
	s_waitcnt vmcnt(20) lgkmcnt(1)
	v_mul_f32_e32 v154, v145, v218
	v_add_f32_e32 v97, v97, v98
	v_mul_f32_e32 v98, v140, v212
	v_fmac_f32_e32 v154, v146, v217
	v_fma_f32 v98, v139, v211, -v98
	v_add_f32_e32 v153, v153, v154
	s_waitcnt vmcnt(18)
	v_mul_f32_e32 v154, v147, v220
	v_add_f32_e32 v97, v97, v98
	v_mul_f32_e32 v98, v142, v214
	v_fmac_f32_e32 v154, v148, v219
	v_fma_f32 v98, v141, v213, -v98
	v_add_f32_e32 v153, v153, v154
	s_waitcnt vmcnt(16) lgkmcnt(0)
	v_mul_f32_e32 v154, v149, v222
	v_add_f32_e32 v97, v97, v98
	v_mul_f32_e32 v98, v144, v216
	v_fmac_f32_e32 v154, v150, v221
	v_fma_f32 v98, v143, v215, -v98
	v_add_f32_e32 v157, v153, v154
	ds_read_b128 v[153:156], v96 offset:704
	v_add_f32_e32 v97, v97, v98
	v_mul_f32_e32 v98, v146, v218
	v_fma_f32 v98, v145, v217, -v98
	s_waitcnt vmcnt(14)
	v_mul_f32_e32 v158, v151, v224
	v_add_f32_e32 v97, v97, v98
	v_mul_f32_e32 v98, v148, v220
	v_fmac_f32_e32 v158, v152, v223
	v_fma_f32 v98, v147, v219, -v98
	v_add_f32_e32 v161, v157, v158
	ds_read_b128 v[157:160], v96 offset:720
	v_add_f32_e32 v97, v97, v98
	v_mul_f32_e32 v98, v150, v222
	s_waitcnt vmcnt(12) lgkmcnt(1)
	v_mul_f32_e32 v162, v153, v226
	v_fma_f32 v98, v149, v221, -v98
	v_fmac_f32_e32 v162, v154, v225
	v_add_f32_e32 v97, v97, v98
	v_mul_f32_e32 v98, v152, v224
	v_add_f32_e32 v161, v161, v162
	s_waitcnt vmcnt(11)
	v_mul_f32_e32 v162, v155, v227
	v_fma_f32 v98, v151, v223, -v98
	s_waitcnt vmcnt(10)
	v_fmac_f32_e32 v162, v156, v228
	v_add_f32_e32 v97, v97, v98
	v_mul_f32_e32 v98, v154, v226
	v_add_f32_e32 v161, v161, v162
	s_waitcnt vmcnt(8) lgkmcnt(0)
	v_mul_f32_e32 v162, v157, v230
	v_fma_f32 v98, v153, v225, -v98
	v_fmac_f32_e32 v162, v158, v229
	v_add_f32_e32 v97, v97, v98
	v_mul_f32_e32 v98, v156, v227
	v_add_f32_e32 v165, v161, v162
	ds_read_b128 v[161:164], v96 offset:736
	v_fma_f32 v98, v155, v228, -v98
	v_add_f32_e32 v97, v97, v98
	v_mul_f32_e32 v98, v158, v230
	s_waitcnt vmcnt(6)
	v_mul_f32_e32 v166, v159, v232
	v_fma_f32 v98, v157, v229, -v98
	v_fmac_f32_e32 v166, v160, v231
	v_add_f32_e32 v97, v97, v98
	v_mul_f32_e32 v98, v160, v232
	v_add_f32_e32 v239, v165, v166
	ds_read_b64 v[165:166], v96 offset:752
	v_fma_f32 v98, v159, v231, -v98
	v_add_f32_e32 v97, v97, v98
	s_waitcnt vmcnt(4) lgkmcnt(1)
	v_mul_f32_e32 v98, v162, v234
	v_mul_f32_e32 v240, v161, v234
	v_fma_f32 v98, v161, v233, -v98
	v_fmac_f32_e32 v240, v162, v233
	v_add_f32_e32 v97, v97, v98
	s_waitcnt vmcnt(3)
	v_mul_f32_e32 v98, v164, v235
	v_add_f32_e32 v239, v239, v240
	v_mul_f32_e32 v240, v163, v235
	s_waitcnt vmcnt(2)
	v_fma_f32 v98, v163, v236, -v98
	v_fmac_f32_e32 v240, v164, v236
	v_add_f32_e32 v97, v97, v98
	s_waitcnt vmcnt(0) lgkmcnt(0)
	v_mul_f32_e32 v98, v166, v238
	v_add_f32_e32 v239, v239, v240
	v_mul_f32_e32 v240, v165, v238
	v_fma_f32 v98, v165, v237, -v98
	v_fmac_f32_e32 v240, v166, v237
	v_add_f32_e32 v97, v97, v98
	v_add_f32_e32 v239, v239, v240
	v_sub_f32_e32 v97, v188, v97
	v_sub_f32_e32 v98, v189, v239
	buffer_store_dword v97, off, s[0:3], 0 offset:88
	buffer_store_dword v98, off, s[0:3], 0 offset:92
	s_and_saveexec_b64 s[4:5], vcc
	s_cbranch_execz .LBB110_275
; %bb.274:
	buffer_load_dword v97, off, s[0:3], 0 offset:80
	buffer_load_dword v98, off, s[0:3], 0 offset:84
	s_waitcnt vmcnt(0)
	ds_write_b64 v95, v[97:98]
	buffer_store_dword v96, off, s[0:3], 0 offset:80
	buffer_store_dword v96, off, s[0:3], 0 offset:84
.LBB110_275:
	s_or_b64 exec, exec, s[4:5]
	s_waitcnt lgkmcnt(0)
	; wave barrier
	buffer_load_dword v169, off, s[0:3], 0 offset:92
	buffer_load_dword v170, off, s[0:3], 0 offset:100
	buffer_load_dword v171, off, s[0:3], 0 offset:108
	buffer_load_dword v172, off, s[0:3], 0 offset:116
	buffer_load_dword v173, off, s[0:3], 0 offset:124
	buffer_load_dword v174, off, s[0:3], 0 offset:132
	buffer_load_dword v175, off, s[0:3], 0 offset:140
	buffer_load_dword v176, off, s[0:3], 0 offset:148
	buffer_load_dword v177, off, s[0:3], 0 offset:156
	buffer_load_dword v178, off, s[0:3], 0 offset:88
	buffer_load_dword v179, off, s[0:3], 0 offset:96
	buffer_load_dword v180, off, s[0:3], 0 offset:104
	buffer_load_dword v181, off, s[0:3], 0 offset:112
	buffer_load_dword v182, off, s[0:3], 0 offset:120
	buffer_load_dword v183, off, s[0:3], 0 offset:128
	buffer_load_dword v184, off, s[0:3], 0 offset:136
	buffer_load_dword v185, off, s[0:3], 0 offset:144
	buffer_load_dword v186, off, s[0:3], 0 offset:152
	buffer_load_dword v187, off, s[0:3], 0 offset:164
	buffer_load_dword v188, off, s[0:3], 0 offset:160
	buffer_load_dword v189, off, s[0:3], 0 offset:172
	buffer_load_dword v190, off, s[0:3], 0 offset:168
	buffer_load_dword v191, off, s[0:3], 0 offset:80
	buffer_load_dword v192, off, s[0:3], 0 offset:84
	buffer_load_dword v193, off, s[0:3], 0 offset:176
	buffer_load_dword v194, off, s[0:3], 0 offset:180
	ds_read2_b64 v[97:100], v96 offset0:59 offset1:60
	ds_read2_b64 v[101:104], v96 offset0:61 offset1:62
	;; [unrolled: 1-line block ×6, first 2 shown]
	buffer_load_dword v195, off, s[0:3], 0 offset:184
	buffer_load_dword v196, off, s[0:3], 0 offset:188
	;; [unrolled: 1-line block ×42, first 2 shown]
	v_cmp_lt_u32_e32 vcc, 9, v0
	s_waitcnt vmcnt(62) lgkmcnt(5)
	v_mul_f32_e32 v121, v97, v169
	v_mul_f32_e32 v122, v99, v170
	s_waitcnt lgkmcnt(4)
	v_mul_f32_e32 v123, v101, v171
	v_mul_f32_e32 v124, v103, v172
	s_waitcnt lgkmcnt(3)
	v_mul_f32_e32 v125, v105, v173
	v_mul_f32_e32 v126, v107, v174
	s_waitcnt vmcnt(61) lgkmcnt(2)
	v_mul_f32_e32 v127, v109, v175
	s_waitcnt vmcnt(60)
	v_mul_f32_e32 v128, v111, v176
	s_waitcnt vmcnt(59) lgkmcnt(1)
	v_mul_f32_e32 v129, v113, v177
	s_waitcnt vmcnt(58)
	v_fmac_f32_e32 v121, v98, v178
	s_waitcnt vmcnt(57)
	v_fmac_f32_e32 v122, v100, v179
	v_add_f32_e32 v121, 0, v121
	s_waitcnt vmcnt(56)
	v_fmac_f32_e32 v123, v102, v180
	v_add_f32_e32 v121, v121, v122
	;; [unrolled: 3-line block ×8, first 2 shown]
	s_waitcnt vmcnt(49)
	v_mul_f32_e32 v122, v115, v187
	v_add_f32_e32 v121, v121, v129
	s_waitcnt vmcnt(48)
	v_fmac_f32_e32 v122, v116, v188
	v_add_f32_e32 v121, v121, v122
	s_waitcnt vmcnt(47) lgkmcnt(0)
	v_mul_f32_e32 v122, v117, v189
	s_waitcnt vmcnt(46)
	v_fmac_f32_e32 v122, v118, v190
	v_add_f32_e32 v121, v121, v122
	s_waitcnt vmcnt(42)
	v_mul_f32_e32 v122, v119, v194
	v_fmac_f32_e32 v122, v120, v193
	v_add_f32_e32 v129, v121, v122
	ds_read2_b64 v[121:124], v96 offset0:71 offset1:72
	buffer_load_dword v237, off, s[0:3], 0 offset:356
	buffer_load_dword v238, off, s[0:3], 0 offset:352
	;; [unrolled: 1-line block ×4, first 2 shown]
	ds_read2_b64 v[125:128], v96 offset0:73 offset1:74
	buffer_load_dword v241, off, s[0:3], 0 offset:368
	buffer_load_dword v242, off, s[0:3], 0 offset:372
	v_mul_f32_e32 v98, v98, v169
	v_fma_f32 v97, v97, v178, -v98
	v_mul_f32_e32 v98, v100, v170
	v_add_f32_e32 v97, 0, v97
	v_fma_f32 v98, v99, v179, -v98
	v_add_f32_e32 v97, v97, v98
	v_mul_f32_e32 v98, v102, v171
	v_fma_f32 v98, v101, v180, -v98
	v_add_f32_e32 v97, v97, v98
	v_mul_f32_e32 v98, v104, v172
	v_fma_f32 v98, v103, v181, -v98
	v_add_f32_e32 v97, v97, v98
	v_mul_f32_e32 v98, v106, v173
	s_waitcnt vmcnt(46) lgkmcnt(1)
	v_mul_f32_e32 v130, v121, v196
	v_fma_f32 v98, v105, v182, -v98
	v_fmac_f32_e32 v130, v122, v195
	v_add_f32_e32 v97, v97, v98
	v_mul_f32_e32 v98, v108, v174
	v_add_f32_e32 v129, v129, v130
	s_waitcnt vmcnt(44)
	v_mul_f32_e32 v130, v123, v198
	v_fma_f32 v98, v107, v183, -v98
	v_fmac_f32_e32 v130, v124, v197
	v_add_f32_e32 v97, v97, v98
	v_mul_f32_e32 v98, v110, v175
	v_add_f32_e32 v129, v129, v130
	s_waitcnt vmcnt(42) lgkmcnt(0)
	v_mul_f32_e32 v130, v125, v200
	v_fma_f32 v98, v109, v184, -v98
	v_fmac_f32_e32 v130, v126, v199
	v_add_f32_e32 v97, v97, v98
	v_mul_f32_e32 v98, v112, v176
	v_add_f32_e32 v133, v129, v130
	ds_read2_b64 v[129:132], v96 offset0:75 offset1:76
	v_fma_f32 v98, v111, v185, -v98
	v_add_f32_e32 v97, v97, v98
	v_mul_f32_e32 v98, v114, v177
	s_waitcnt vmcnt(40)
	v_mul_f32_e32 v134, v127, v202
	v_fma_f32 v98, v113, v186, -v98
	v_fmac_f32_e32 v134, v128, v201
	v_add_f32_e32 v97, v97, v98
	v_mul_f32_e32 v98, v116, v187
	v_add_f32_e32 v137, v133, v134
	ds_read2_b64 v[133:136], v96 offset0:77 offset1:78
	v_fma_f32 v98, v115, v188, -v98
	s_waitcnt vmcnt(38) lgkmcnt(1)
	v_mul_f32_e32 v138, v129, v204
	v_add_f32_e32 v97, v97, v98
	v_mul_f32_e32 v98, v118, v189
	v_fmac_f32_e32 v138, v130, v203
	v_fma_f32 v98, v117, v190, -v98
	v_add_f32_e32 v137, v137, v138
	s_waitcnt vmcnt(36)
	v_mul_f32_e32 v138, v131, v206
	v_add_f32_e32 v97, v97, v98
	v_mul_f32_e32 v98, v120, v194
	v_fmac_f32_e32 v138, v132, v205
	v_fma_f32 v98, v119, v193, -v98
	v_add_f32_e32 v137, v137, v138
	s_waitcnt vmcnt(34) lgkmcnt(0)
	v_mul_f32_e32 v138, v133, v208
	v_add_f32_e32 v97, v97, v98
	v_mul_f32_e32 v98, v122, v196
	v_fmac_f32_e32 v138, v134, v207
	v_fma_f32 v98, v121, v195, -v98
	v_add_f32_e32 v141, v137, v138
	ds_read2_b64 v[137:140], v96 offset0:79 offset1:80
	v_add_f32_e32 v97, v97, v98
	v_mul_f32_e32 v98, v124, v198
	v_fma_f32 v98, v123, v197, -v98
	s_waitcnt vmcnt(32)
	v_mul_f32_e32 v142, v135, v210
	v_add_f32_e32 v97, v97, v98
	v_mul_f32_e32 v98, v126, v200
	v_fmac_f32_e32 v142, v136, v209
	v_fma_f32 v98, v125, v199, -v98
	v_add_f32_e32 v145, v141, v142
	ds_read2_b64 v[141:144], v96 offset0:81 offset1:82
	v_add_f32_e32 v97, v97, v98
	v_mul_f32_e32 v98, v128, v202
	s_waitcnt vmcnt(30) lgkmcnt(1)
	v_mul_f32_e32 v146, v137, v212
	v_fma_f32 v98, v127, v201, -v98
	v_fmac_f32_e32 v146, v138, v211
	v_add_f32_e32 v97, v97, v98
	v_mul_f32_e32 v98, v130, v204
	v_add_f32_e32 v145, v145, v146
	s_waitcnt vmcnt(28)
	v_mul_f32_e32 v146, v139, v214
	v_fma_f32 v98, v129, v203, -v98
	v_fmac_f32_e32 v146, v140, v213
	v_add_f32_e32 v97, v97, v98
	v_mul_f32_e32 v98, v132, v206
	v_add_f32_e32 v145, v145, v146
	s_waitcnt vmcnt(26) lgkmcnt(0)
	v_mul_f32_e32 v146, v141, v216
	v_fma_f32 v98, v131, v205, -v98
	v_fmac_f32_e32 v146, v142, v215
	v_add_f32_e32 v97, v97, v98
	v_mul_f32_e32 v98, v134, v208
	v_add_f32_e32 v149, v145, v146
	ds_read2_b64 v[145:148], v96 offset0:83 offset1:84
	v_fma_f32 v98, v133, v207, -v98
	v_add_f32_e32 v97, v97, v98
	v_mul_f32_e32 v98, v136, v210
	s_waitcnt vmcnt(24)
	v_mul_f32_e32 v150, v143, v218
	v_fma_f32 v98, v135, v209, -v98
	v_fmac_f32_e32 v150, v144, v217
	v_add_f32_e32 v97, v97, v98
	v_mul_f32_e32 v98, v138, v212
	v_add_f32_e32 v153, v149, v150
	ds_read2_b64 v[149:152], v96 offset0:85 offset1:86
	v_fma_f32 v98, v137, v211, -v98
	s_waitcnt vmcnt(22) lgkmcnt(1)
	v_mul_f32_e32 v154, v145, v220
	v_add_f32_e32 v97, v97, v98
	v_mul_f32_e32 v98, v140, v214
	v_fmac_f32_e32 v154, v146, v219
	v_fma_f32 v98, v139, v213, -v98
	v_add_f32_e32 v153, v153, v154
	s_waitcnt vmcnt(20)
	v_mul_f32_e32 v154, v147, v222
	v_add_f32_e32 v97, v97, v98
	v_mul_f32_e32 v98, v142, v216
	v_fmac_f32_e32 v154, v148, v221
	v_fma_f32 v98, v141, v215, -v98
	v_add_f32_e32 v153, v153, v154
	s_waitcnt vmcnt(18) lgkmcnt(0)
	v_mul_f32_e32 v154, v149, v224
	v_add_f32_e32 v97, v97, v98
	v_mul_f32_e32 v98, v144, v218
	v_fmac_f32_e32 v154, v150, v223
	v_fma_f32 v98, v143, v217, -v98
	v_add_f32_e32 v157, v153, v154
	ds_read2_b64 v[153:156], v96 offset0:87 offset1:88
	v_add_f32_e32 v97, v97, v98
	v_mul_f32_e32 v98, v146, v220
	v_fma_f32 v98, v145, v219, -v98
	s_waitcnt vmcnt(16)
	v_mul_f32_e32 v158, v151, v226
	v_add_f32_e32 v97, v97, v98
	v_mul_f32_e32 v98, v148, v222
	v_fmac_f32_e32 v158, v152, v225
	v_fma_f32 v98, v147, v221, -v98
	v_add_f32_e32 v161, v157, v158
	ds_read2_b64 v[157:160], v96 offset0:89 offset1:90
	v_add_f32_e32 v97, v97, v98
	v_mul_f32_e32 v98, v150, v224
	s_waitcnt vmcnt(14) lgkmcnt(1)
	v_mul_f32_e32 v162, v153, v228
	v_fma_f32 v98, v149, v223, -v98
	v_fmac_f32_e32 v162, v154, v227
	v_add_f32_e32 v97, v97, v98
	v_mul_f32_e32 v98, v152, v226
	v_add_f32_e32 v161, v161, v162
	s_waitcnt vmcnt(13)
	v_mul_f32_e32 v162, v155, v229
	v_fma_f32 v98, v151, v225, -v98
	s_waitcnt vmcnt(12)
	v_fmac_f32_e32 v162, v156, v230
	v_add_f32_e32 v97, v97, v98
	v_mul_f32_e32 v98, v154, v228
	v_add_f32_e32 v161, v161, v162
	s_waitcnt vmcnt(10) lgkmcnt(0)
	v_mul_f32_e32 v162, v157, v232
	v_fma_f32 v98, v153, v227, -v98
	v_fmac_f32_e32 v162, v158, v231
	v_add_f32_e32 v97, v97, v98
	v_mul_f32_e32 v98, v156, v229
	v_add_f32_e32 v165, v161, v162
	ds_read2_b64 v[161:164], v96 offset0:91 offset1:92
	v_fma_f32 v98, v155, v230, -v98
	v_add_f32_e32 v97, v97, v98
	v_mul_f32_e32 v98, v158, v232
	s_waitcnt vmcnt(8)
	v_mul_f32_e32 v166, v159, v234
	v_fma_f32 v98, v157, v231, -v98
	v_fmac_f32_e32 v166, v160, v233
	v_add_f32_e32 v97, v97, v98
	v_mul_f32_e32 v98, v160, v234
	v_add_f32_e32 v243, v165, v166
	ds_read2_b64 v[165:168], v96 offset0:93 offset1:94
	v_fma_f32 v98, v159, v233, -v98
	v_add_f32_e32 v97, v97, v98
	s_waitcnt vmcnt(6) lgkmcnt(1)
	v_mul_f32_e32 v98, v162, v236
	v_mul_f32_e32 v96, v161, v236
	v_fma_f32 v98, v161, v235, -v98
	v_fmac_f32_e32 v96, v162, v235
	v_add_f32_e32 v97, v97, v98
	s_waitcnt vmcnt(5)
	v_mul_f32_e32 v98, v164, v237
	v_add_f32_e32 v96, v243, v96
	v_mul_f32_e32 v243, v163, v237
	s_waitcnt vmcnt(4)
	v_fma_f32 v98, v163, v238, -v98
	v_fmac_f32_e32 v243, v164, v238
	v_add_f32_e32 v97, v97, v98
	s_waitcnt vmcnt(2) lgkmcnt(0)
	v_mul_f32_e32 v98, v166, v240
	v_add_f32_e32 v96, v96, v243
	v_mul_f32_e32 v243, v165, v240
	v_fma_f32 v98, v165, v239, -v98
	v_fmac_f32_e32 v243, v166, v239
	v_add_f32_e32 v97, v97, v98
	s_waitcnt vmcnt(0)
	v_mul_f32_e32 v98, v168, v242
	v_add_f32_e32 v96, v96, v243
	v_mul_f32_e32 v243, v167, v242
	v_fma_f32 v98, v167, v241, -v98
	v_fmac_f32_e32 v243, v168, v241
	v_add_f32_e32 v97, v97, v98
	v_add_f32_e32 v96, v96, v243
	v_sub_f32_e32 v97, v191, v97
	v_sub_f32_e32 v96, v192, v96
	buffer_store_dword v97, off, s[0:3], 0 offset:80
	buffer_store_dword v96, off, s[0:3], 0 offset:84
	s_and_saveexec_b64 s[4:5], vcc
	s_cbranch_execz .LBB110_277
; %bb.276:
	buffer_load_dword v96, off, s[0:3], 0 offset:72
	buffer_load_dword v97, off, s[0:3], 0 offset:76
	v_mov_b32_e32 v98, 0
	buffer_store_dword v98, off, s[0:3], 0 offset:72
	buffer_store_dword v98, off, s[0:3], 0 offset:76
	s_waitcnt vmcnt(2)
	ds_write_b64 v95, v[96:97]
.LBB110_277:
	s_or_b64 exec, exec, s[4:5]
	s_waitcnt lgkmcnt(0)
	; wave barrier
	buffer_load_dword v171, off, s[0:3], 0 offset:84
	buffer_load_dword v172, off, s[0:3], 0 offset:92
	;; [unrolled: 1-line block ×52, first 2 shown]
	v_mov_b32_e32 v96, 0
	ds_read_b128 v[97:100], v96 offset:464
	ds_read_b128 v[101:104], v96 offset:480
	;; [unrolled: 1-line block ×6, first 2 shown]
	buffer_load_dword v223, off, s[0:3], 0 offset:284
	buffer_load_dword v224, off, s[0:3], 0 offset:280
	;; [unrolled: 1-line block ×14, first 2 shown]
	v_cmp_lt_u32_e32 vcc, 8, v0
	s_waitcnt vmcnt(62) lgkmcnt(5)
	v_mul_f32_e32 v121, v97, v171
	v_mul_f32_e32 v122, v99, v172
	s_waitcnt lgkmcnt(4)
	v_mul_f32_e32 v123, v101, v173
	v_mul_f32_e32 v124, v103, v174
	s_waitcnt vmcnt(61) lgkmcnt(3)
	v_mul_f32_e32 v125, v105, v175
	s_waitcnt vmcnt(60)
	v_mul_f32_e32 v126, v107, v176
	s_waitcnt vmcnt(59) lgkmcnt(2)
	v_mul_f32_e32 v127, v109, v177
	s_waitcnt vmcnt(58)
	;; [unrolled: 4-line block ×3, first 2 shown]
	v_fmac_f32_e32 v121, v98, v180
	s_waitcnt vmcnt(55)
	v_fmac_f32_e32 v122, v100, v181
	v_add_f32_e32 v121, 0, v121
	s_waitcnt vmcnt(54)
	v_fmac_f32_e32 v123, v102, v182
	v_add_f32_e32 v121, v121, v122
	;; [unrolled: 3-line block ×8, first 2 shown]
	s_waitcnt vmcnt(47)
	v_mul_f32_e32 v122, v115, v189
	v_add_f32_e32 v121, v121, v129
	s_waitcnt vmcnt(46)
	v_fmac_f32_e32 v122, v116, v190
	v_add_f32_e32 v121, v121, v122
	s_waitcnt vmcnt(45) lgkmcnt(0)
	v_mul_f32_e32 v122, v117, v191
	s_waitcnt vmcnt(44)
	v_fmac_f32_e32 v122, v118, v192
	v_add_f32_e32 v125, v121, v122
	ds_read_b128 v[121:124], v96 offset:560
	buffer_load_dword v237, off, s[0:3], 0 offset:336
	buffer_load_dword v238, off, s[0:3], 0 offset:340
	s_waitcnt vmcnt(43)
	v_mul_f32_e32 v126, v119, v195
	s_waitcnt vmcnt(42)
	v_fmac_f32_e32 v126, v120, v196
	v_add_f32_e32 v129, v125, v126
	ds_read_b128 v[125:128], v96 offset:576
	buffer_load_dword v239, off, s[0:3], 0 offset:348
	buffer_load_dword v240, off, s[0:3], 0 offset:344
	;; [unrolled: 1-line block ×8, first 2 shown]
	v_mul_f32_e32 v98, v98, v171
	v_fma_f32 v97, v97, v180, -v98
	v_mul_f32_e32 v98, v100, v172
	v_add_f32_e32 v97, 0, v97
	v_fma_f32 v98, v99, v181, -v98
	v_add_f32_e32 v97, v97, v98
	v_mul_f32_e32 v98, v102, v173
	v_fma_f32 v98, v101, v182, -v98
	v_add_f32_e32 v97, v97, v98
	v_mul_f32_e32 v98, v104, v174
	v_fma_f32 v98, v103, v183, -v98
	s_waitcnt vmcnt(48) lgkmcnt(1)
	v_mul_f32_e32 v130, v121, v198
	v_add_f32_e32 v97, v97, v98
	v_mul_f32_e32 v98, v106, v175
	v_fmac_f32_e32 v130, v122, v197
	v_fma_f32 v98, v105, v184, -v98
	v_add_f32_e32 v129, v129, v130
	s_waitcnt vmcnt(46)
	v_mul_f32_e32 v130, v123, v200
	v_add_f32_e32 v97, v97, v98
	v_mul_f32_e32 v98, v108, v176
	v_fmac_f32_e32 v130, v124, v199
	v_fma_f32 v98, v107, v185, -v98
	v_add_f32_e32 v129, v129, v130
	s_waitcnt vmcnt(44) lgkmcnt(0)
	v_mul_f32_e32 v130, v125, v202
	v_add_f32_e32 v97, v97, v98
	v_mul_f32_e32 v98, v110, v177
	v_fmac_f32_e32 v130, v126, v201
	v_fma_f32 v98, v109, v186, -v98
	v_add_f32_e32 v133, v129, v130
	ds_read_b128 v[129:132], v96 offset:592
	v_add_f32_e32 v97, v97, v98
	v_mul_f32_e32 v98, v112, v178
	v_fma_f32 v98, v111, v187, -v98
	s_waitcnt vmcnt(42)
	v_mul_f32_e32 v134, v127, v204
	v_add_f32_e32 v97, v97, v98
	v_mul_f32_e32 v98, v114, v179
	v_fmac_f32_e32 v134, v128, v203
	v_fma_f32 v98, v113, v188, -v98
	v_add_f32_e32 v137, v133, v134
	ds_read_b128 v[133:136], v96 offset:608
	v_add_f32_e32 v97, v97, v98
	v_mul_f32_e32 v98, v116, v189
	s_waitcnt vmcnt(40) lgkmcnt(1)
	v_mul_f32_e32 v138, v129, v206
	v_fma_f32 v98, v115, v190, -v98
	v_fmac_f32_e32 v138, v130, v205
	v_add_f32_e32 v97, v97, v98
	v_mul_f32_e32 v98, v118, v191
	v_add_f32_e32 v137, v137, v138
	s_waitcnt vmcnt(38)
	v_mul_f32_e32 v138, v131, v208
	v_fma_f32 v98, v117, v192, -v98
	v_fmac_f32_e32 v138, v132, v207
	v_add_f32_e32 v97, v97, v98
	v_mul_f32_e32 v98, v120, v195
	v_add_f32_e32 v137, v137, v138
	s_waitcnt vmcnt(36) lgkmcnt(0)
	v_mul_f32_e32 v138, v133, v210
	v_fma_f32 v98, v119, v196, -v98
	v_fmac_f32_e32 v138, v134, v209
	v_add_f32_e32 v97, v97, v98
	v_mul_f32_e32 v98, v122, v198
	v_add_f32_e32 v141, v137, v138
	ds_read_b128 v[137:140], v96 offset:624
	v_fma_f32 v98, v121, v197, -v98
	v_add_f32_e32 v97, v97, v98
	v_mul_f32_e32 v98, v124, v200
	s_waitcnt vmcnt(34)
	v_mul_f32_e32 v142, v135, v212
	v_fma_f32 v98, v123, v199, -v98
	v_fmac_f32_e32 v142, v136, v211
	v_add_f32_e32 v97, v97, v98
	v_mul_f32_e32 v98, v126, v202
	v_add_f32_e32 v145, v141, v142
	ds_read_b128 v[141:144], v96 offset:640
	v_fma_f32 v98, v125, v201, -v98
	s_waitcnt vmcnt(32) lgkmcnt(1)
	v_mul_f32_e32 v146, v137, v214
	v_add_f32_e32 v97, v97, v98
	v_mul_f32_e32 v98, v128, v204
	v_fmac_f32_e32 v146, v138, v213
	v_fma_f32 v98, v127, v203, -v98
	v_add_f32_e32 v145, v145, v146
	s_waitcnt vmcnt(30)
	v_mul_f32_e32 v146, v139, v216
	v_add_f32_e32 v97, v97, v98
	v_mul_f32_e32 v98, v130, v206
	v_fmac_f32_e32 v146, v140, v215
	v_fma_f32 v98, v129, v205, -v98
	v_add_f32_e32 v145, v145, v146
	s_waitcnt vmcnt(28) lgkmcnt(0)
	v_mul_f32_e32 v146, v141, v218
	v_add_f32_e32 v97, v97, v98
	v_mul_f32_e32 v98, v132, v208
	v_fmac_f32_e32 v146, v142, v217
	v_fma_f32 v98, v131, v207, -v98
	v_add_f32_e32 v149, v145, v146
	ds_read_b128 v[145:148], v96 offset:656
	v_add_f32_e32 v97, v97, v98
	v_mul_f32_e32 v98, v134, v210
	v_fma_f32 v98, v133, v209, -v98
	s_waitcnt vmcnt(26)
	v_mul_f32_e32 v150, v143, v220
	v_add_f32_e32 v97, v97, v98
	v_mul_f32_e32 v98, v136, v212
	v_fmac_f32_e32 v150, v144, v219
	v_fma_f32 v98, v135, v211, -v98
	v_add_f32_e32 v153, v149, v150
	ds_read_b128 v[149:152], v96 offset:672
	v_add_f32_e32 v97, v97, v98
	v_mul_f32_e32 v98, v138, v214
	s_waitcnt vmcnt(24) lgkmcnt(1)
	v_mul_f32_e32 v154, v145, v222
	v_fma_f32 v98, v137, v213, -v98
	v_fmac_f32_e32 v154, v146, v221
	v_add_f32_e32 v97, v97, v98
	v_mul_f32_e32 v98, v140, v216
	v_add_f32_e32 v153, v153, v154
	s_waitcnt vmcnt(23)
	v_mul_f32_e32 v154, v147, v223
	v_fma_f32 v98, v139, v215, -v98
	s_waitcnt vmcnt(22)
	v_fmac_f32_e32 v154, v148, v224
	v_add_f32_e32 v97, v97, v98
	v_mul_f32_e32 v98, v142, v218
	v_add_f32_e32 v153, v153, v154
	s_waitcnt vmcnt(20) lgkmcnt(0)
	v_mul_f32_e32 v154, v149, v226
	v_fma_f32 v98, v141, v217, -v98
	v_fmac_f32_e32 v154, v150, v225
	v_add_f32_e32 v97, v97, v98
	v_mul_f32_e32 v98, v144, v220
	v_add_f32_e32 v157, v153, v154
	ds_read_b128 v[153:156], v96 offset:688
	v_fma_f32 v98, v143, v219, -v98
	v_add_f32_e32 v97, v97, v98
	v_mul_f32_e32 v98, v146, v222
	s_waitcnt vmcnt(18)
	v_mul_f32_e32 v158, v151, v228
	v_fma_f32 v98, v145, v221, -v98
	v_fmac_f32_e32 v158, v152, v227
	v_add_f32_e32 v97, v97, v98
	v_mul_f32_e32 v98, v148, v223
	v_add_f32_e32 v161, v157, v158
	ds_read_b128 v[157:160], v96 offset:704
	v_fma_f32 v98, v147, v224, -v98
	s_waitcnt vmcnt(16) lgkmcnt(1)
	v_mul_f32_e32 v162, v153, v230
	v_add_f32_e32 v97, v97, v98
	v_mul_f32_e32 v98, v150, v226
	v_fmac_f32_e32 v162, v154, v229
	v_fma_f32 v98, v149, v225, -v98
	v_add_f32_e32 v161, v161, v162
	s_waitcnt vmcnt(15)
	v_mul_f32_e32 v162, v155, v231
	v_add_f32_e32 v97, v97, v98
	v_mul_f32_e32 v98, v152, v228
	s_waitcnt vmcnt(14)
	v_fmac_f32_e32 v162, v156, v232
	v_fma_f32 v98, v151, v227, -v98
	v_add_f32_e32 v161, v161, v162
	s_waitcnt vmcnt(12) lgkmcnt(0)
	v_mul_f32_e32 v162, v157, v234
	v_add_f32_e32 v97, v97, v98
	v_mul_f32_e32 v98, v154, v230
	v_fmac_f32_e32 v162, v158, v233
	v_fma_f32 v98, v153, v229, -v98
	v_add_f32_e32 v165, v161, v162
	ds_read_b128 v[161:164], v96 offset:720
	v_add_f32_e32 v97, v97, v98
	v_mul_f32_e32 v98, v156, v231
	v_fma_f32 v98, v155, v232, -v98
	v_add_f32_e32 v97, v97, v98
	v_mul_f32_e32 v98, v158, v234
	s_waitcnt vmcnt(10)
	v_mul_f32_e32 v166, v159, v236
	v_fma_f32 v98, v157, v233, -v98
	v_fmac_f32_e32 v166, v160, v235
	v_add_f32_e32 v97, v97, v98
	v_mul_f32_e32 v98, v160, v236
	v_add_f32_e32 v169, v165, v166
	ds_read_b128 v[165:168], v96 offset:736
	s_waitcnt vmcnt(8) lgkmcnt(1)
	v_mul_f32_e32 v170, v161, v238
	v_fma_f32 v98, v159, v235, -v98
	v_fmac_f32_e32 v170, v162, v237
	v_add_f32_e32 v97, v97, v98
	v_mul_f32_e32 v98, v162, v238
	v_add_f32_e32 v169, v169, v170
	s_waitcnt vmcnt(7)
	v_mul_f32_e32 v170, v163, v239
	v_fma_f32 v98, v161, v237, -v98
	s_waitcnt vmcnt(6)
	v_fmac_f32_e32 v170, v164, v240
	v_add_f32_e32 v97, v97, v98
	v_mul_f32_e32 v98, v164, v239
	v_add_f32_e32 v247, v169, v170
	ds_read_b64 v[169:170], v96 offset:752
	v_fma_f32 v98, v163, v240, -v98
	v_add_f32_e32 v97, v97, v98
	s_waitcnt vmcnt(4) lgkmcnt(1)
	v_mul_f32_e32 v98, v166, v242
	v_mul_f32_e32 v248, v165, v242
	v_fma_f32 v98, v165, v241, -v98
	v_fmac_f32_e32 v248, v166, v241
	v_add_f32_e32 v97, v97, v98
	s_waitcnt vmcnt(3)
	v_mul_f32_e32 v98, v168, v243
	v_add_f32_e32 v247, v247, v248
	v_mul_f32_e32 v248, v167, v243
	s_waitcnt vmcnt(2)
	v_fma_f32 v98, v167, v244, -v98
	v_fmac_f32_e32 v248, v168, v244
	v_add_f32_e32 v97, v97, v98
	s_waitcnt vmcnt(0) lgkmcnt(0)
	v_mul_f32_e32 v98, v170, v246
	v_add_f32_e32 v247, v247, v248
	v_mul_f32_e32 v248, v169, v246
	v_fma_f32 v98, v169, v245, -v98
	v_fmac_f32_e32 v248, v170, v245
	v_add_f32_e32 v97, v97, v98
	v_add_f32_e32 v247, v247, v248
	v_sub_f32_e32 v97, v193, v97
	v_sub_f32_e32 v98, v194, v247
	buffer_store_dword v97, off, s[0:3], 0 offset:72
	buffer_store_dword v98, off, s[0:3], 0 offset:76
	s_and_saveexec_b64 s[4:5], vcc
	s_cbranch_execz .LBB110_279
; %bb.278:
	buffer_load_dword v97, off, s[0:3], 0 offset:64
	buffer_load_dword v98, off, s[0:3], 0 offset:68
	s_waitcnt vmcnt(0)
	ds_write_b64 v95, v[97:98]
	buffer_store_dword v96, off, s[0:3], 0 offset:64
	buffer_store_dword v96, off, s[0:3], 0 offset:68
.LBB110_279:
	s_or_b64 exec, exec, s[4:5]
	s_waitcnt lgkmcnt(0)
	; wave barrier
	buffer_load_dword v173, off, s[0:3], 0 offset:76
	buffer_load_dword v174, off, s[0:3], 0 offset:84
	;; [unrolled: 1-line block ×26, first 2 shown]
	ds_read2_b64 v[97:100], v96 offset0:57 offset1:58
	ds_read2_b64 v[101:104], v96 offset0:59 offset1:60
	;; [unrolled: 1-line block ×4, first 2 shown]
	buffer_load_dword v199, off, s[0:3], 0 offset:172
	ds_read2_b64 v[113:116], v96 offset0:65 offset1:66
	ds_read2_b64 v[117:120], v96 offset0:67 offset1:68
	buffer_load_dword v200, off, s[0:3], 0 offset:168
	buffer_load_dword v201, off, s[0:3], 0 offset:176
	;; [unrolled: 1-line block ×37, first 2 shown]
	v_cmp_lt_u32_e32 vcc, 7, v0
	s_waitcnt vmcnt(62) lgkmcnt(5)
	v_mul_f32_e32 v121, v97, v173
	v_mul_f32_e32 v122, v99, v174
	s_waitcnt vmcnt(61) lgkmcnt(4)
	v_mul_f32_e32 v123, v101, v175
	s_waitcnt vmcnt(60)
	v_mul_f32_e32 v124, v103, v176
	s_waitcnt vmcnt(59) lgkmcnt(3)
	v_mul_f32_e32 v125, v105, v177
	s_waitcnt vmcnt(58)
	;; [unrolled: 4-line block ×4, first 2 shown]
	v_mul_f32_e32 v130, v115, v182
	s_waitcnt vmcnt(53)
	v_fmac_f32_e32 v121, v98, v183
	s_waitcnt vmcnt(52)
	v_fmac_f32_e32 v122, v100, v184
	v_add_f32_e32 v121, 0, v121
	s_waitcnt vmcnt(51)
	v_fmac_f32_e32 v123, v102, v185
	v_add_f32_e32 v121, v121, v122
	s_waitcnt vmcnt(50)
	v_fmac_f32_e32 v124, v104, v186
	v_add_f32_e32 v121, v121, v123
	s_waitcnt vmcnt(49)
	v_fmac_f32_e32 v125, v106, v187
	v_add_f32_e32 v121, v121, v124
	s_waitcnt vmcnt(48)
	v_fmac_f32_e32 v126, v108, v188
	v_add_f32_e32 v121, v121, v125
	s_waitcnt vmcnt(47)
	v_fmac_f32_e32 v127, v110, v189
	v_add_f32_e32 v121, v121, v126
	s_waitcnt vmcnt(46)
	v_fmac_f32_e32 v128, v112, v190
	v_add_f32_e32 v121, v121, v127
	s_waitcnt vmcnt(45)
	v_fmac_f32_e32 v129, v114, v191
	v_add_f32_e32 v121, v121, v128
	s_waitcnt vmcnt(44)
	v_fmac_f32_e32 v130, v116, v192
	v_add_f32_e32 v121, v121, v129
	s_waitcnt vmcnt(43) lgkmcnt(0)
	v_mul_f32_e32 v122, v117, v193
	v_add_f32_e32 v121, v121, v130
	s_waitcnt vmcnt(42)
	v_fmac_f32_e32 v122, v118, v194
	v_add_f32_e32 v125, v121, v122
	s_waitcnt vmcnt(41)
	v_mul_f32_e32 v126, v119, v195
	ds_read2_b64 v[121:124], v96 offset0:69 offset1:70
	buffer_load_dword v237, off, s[0:3], 0 offset:320
	buffer_load_dword v238, off, s[0:3], 0 offset:324
	s_waitcnt vmcnt(42)
	v_fmac_f32_e32 v126, v120, v196
	v_add_f32_e32 v129, v125, v126
	ds_read2_b64 v[125:128], v96 offset0:71 offset1:72
	buffer_load_dword v239, off, s[0:3], 0 offset:328
	buffer_load_dword v240, off, s[0:3], 0 offset:332
	;; [unrolled: 1-line block ×12, first 2 shown]
	v_mul_f32_e32 v98, v98, v173
	v_fma_f32 v97, v97, v183, -v98
	v_mul_f32_e32 v98, v100, v174
	v_add_f32_e32 v97, 0, v97
	v_fma_f32 v98, v99, v184, -v98
	v_add_f32_e32 v97, v97, v98
	v_mul_f32_e32 v98, v102, v175
	v_fma_f32 v98, v101, v185, -v98
	v_add_f32_e32 v97, v97, v98
	v_mul_f32_e32 v98, v104, v176
	v_fma_f32 v98, v103, v186, -v98
	s_waitcnt vmcnt(51) lgkmcnt(1)
	v_mul_f32_e32 v130, v121, v199
	v_add_f32_e32 v97, v97, v98
	v_mul_f32_e32 v98, v106, v177
	s_waitcnt vmcnt(50)
	v_fmac_f32_e32 v130, v122, v200
	v_fma_f32 v98, v105, v187, -v98
	v_add_f32_e32 v129, v129, v130
	s_waitcnt vmcnt(48)
	v_mul_f32_e32 v130, v123, v202
	v_add_f32_e32 v97, v97, v98
	v_mul_f32_e32 v98, v108, v178
	v_fmac_f32_e32 v130, v124, v201
	v_fma_f32 v98, v107, v188, -v98
	v_add_f32_e32 v129, v129, v130
	s_waitcnt vmcnt(46) lgkmcnt(0)
	v_mul_f32_e32 v130, v125, v204
	v_add_f32_e32 v97, v97, v98
	v_mul_f32_e32 v98, v110, v179
	v_fmac_f32_e32 v130, v126, v203
	v_fma_f32 v98, v109, v189, -v98
	v_add_f32_e32 v133, v129, v130
	ds_read2_b64 v[129:132], v96 offset0:73 offset1:74
	v_add_f32_e32 v97, v97, v98
	v_mul_f32_e32 v98, v112, v180
	v_fma_f32 v98, v111, v190, -v98
	s_waitcnt vmcnt(44)
	v_mul_f32_e32 v134, v127, v206
	v_add_f32_e32 v97, v97, v98
	v_mul_f32_e32 v98, v114, v181
	v_fmac_f32_e32 v134, v128, v205
	v_fma_f32 v98, v113, v191, -v98
	v_add_f32_e32 v137, v133, v134
	ds_read2_b64 v[133:136], v96 offset0:75 offset1:76
	v_add_f32_e32 v97, v97, v98
	v_mul_f32_e32 v98, v116, v182
	s_waitcnt vmcnt(42) lgkmcnt(1)
	v_mul_f32_e32 v138, v129, v208
	v_fma_f32 v98, v115, v192, -v98
	v_fmac_f32_e32 v138, v130, v207
	v_add_f32_e32 v97, v97, v98
	v_mul_f32_e32 v98, v118, v193
	v_add_f32_e32 v137, v137, v138
	s_waitcnt vmcnt(40)
	v_mul_f32_e32 v138, v131, v210
	v_fma_f32 v98, v117, v194, -v98
	v_fmac_f32_e32 v138, v132, v209
	v_add_f32_e32 v97, v97, v98
	v_mul_f32_e32 v98, v120, v195
	v_add_f32_e32 v137, v137, v138
	s_waitcnt vmcnt(38) lgkmcnt(0)
	v_mul_f32_e32 v138, v133, v212
	v_fma_f32 v98, v119, v196, -v98
	v_fmac_f32_e32 v138, v134, v211
	v_add_f32_e32 v97, v97, v98
	v_mul_f32_e32 v98, v122, v199
	v_add_f32_e32 v141, v137, v138
	ds_read2_b64 v[137:140], v96 offset0:77 offset1:78
	v_fma_f32 v98, v121, v200, -v98
	v_add_f32_e32 v97, v97, v98
	v_mul_f32_e32 v98, v124, v202
	s_waitcnt vmcnt(36)
	v_mul_f32_e32 v142, v135, v214
	v_fma_f32 v98, v123, v201, -v98
	v_fmac_f32_e32 v142, v136, v213
	v_add_f32_e32 v97, v97, v98
	v_mul_f32_e32 v98, v126, v204
	v_add_f32_e32 v145, v141, v142
	ds_read2_b64 v[141:144], v96 offset0:79 offset1:80
	v_fma_f32 v98, v125, v203, -v98
	s_waitcnt vmcnt(34) lgkmcnt(1)
	v_mul_f32_e32 v146, v137, v216
	v_add_f32_e32 v97, v97, v98
	v_mul_f32_e32 v98, v128, v206
	v_fmac_f32_e32 v146, v138, v215
	v_fma_f32 v98, v127, v205, -v98
	v_add_f32_e32 v145, v145, v146
	s_waitcnt vmcnt(32)
	v_mul_f32_e32 v146, v139, v218
	v_add_f32_e32 v97, v97, v98
	v_mul_f32_e32 v98, v130, v208
	v_fmac_f32_e32 v146, v140, v217
	v_fma_f32 v98, v129, v207, -v98
	v_add_f32_e32 v145, v145, v146
	s_waitcnt vmcnt(30) lgkmcnt(0)
	v_mul_f32_e32 v146, v141, v220
	v_add_f32_e32 v97, v97, v98
	v_mul_f32_e32 v98, v132, v210
	v_fmac_f32_e32 v146, v142, v219
	v_fma_f32 v98, v131, v209, -v98
	v_add_f32_e32 v149, v145, v146
	ds_read2_b64 v[145:148], v96 offset0:81 offset1:82
	v_add_f32_e32 v97, v97, v98
	v_mul_f32_e32 v98, v134, v212
	v_fma_f32 v98, v133, v211, -v98
	s_waitcnt vmcnt(28)
	v_mul_f32_e32 v150, v143, v222
	v_add_f32_e32 v97, v97, v98
	v_mul_f32_e32 v98, v136, v214
	v_fmac_f32_e32 v150, v144, v221
	v_fma_f32 v98, v135, v213, -v98
	v_add_f32_e32 v153, v149, v150
	ds_read2_b64 v[149:152], v96 offset0:83 offset1:84
	v_add_f32_e32 v97, v97, v98
	v_mul_f32_e32 v98, v138, v216
	s_waitcnt vmcnt(26) lgkmcnt(1)
	v_mul_f32_e32 v154, v145, v224
	v_fma_f32 v98, v137, v215, -v98
	v_fmac_f32_e32 v154, v146, v223
	v_add_f32_e32 v97, v97, v98
	v_mul_f32_e32 v98, v140, v218
	v_add_f32_e32 v153, v153, v154
	s_waitcnt vmcnt(25)
	v_mul_f32_e32 v154, v147, v225
	v_fma_f32 v98, v139, v217, -v98
	s_waitcnt vmcnt(24)
	v_fmac_f32_e32 v154, v148, v226
	v_add_f32_e32 v97, v97, v98
	v_mul_f32_e32 v98, v142, v220
	v_add_f32_e32 v153, v153, v154
	s_waitcnt vmcnt(22) lgkmcnt(0)
	v_mul_f32_e32 v154, v149, v228
	v_fma_f32 v98, v141, v219, -v98
	v_fmac_f32_e32 v154, v150, v227
	v_add_f32_e32 v97, v97, v98
	v_mul_f32_e32 v98, v144, v222
	v_add_f32_e32 v157, v153, v154
	ds_read2_b64 v[153:156], v96 offset0:85 offset1:86
	v_fma_f32 v98, v143, v221, -v98
	v_add_f32_e32 v97, v97, v98
	v_mul_f32_e32 v98, v146, v224
	s_waitcnt vmcnt(20)
	v_mul_f32_e32 v158, v151, v230
	v_fma_f32 v98, v145, v223, -v98
	v_fmac_f32_e32 v158, v152, v229
	v_add_f32_e32 v97, v97, v98
	v_mul_f32_e32 v98, v148, v225
	v_add_f32_e32 v161, v157, v158
	ds_read2_b64 v[157:160], v96 offset0:87 offset1:88
	v_fma_f32 v98, v147, v226, -v98
	s_waitcnt vmcnt(18) lgkmcnt(1)
	v_mul_f32_e32 v162, v153, v232
	v_add_f32_e32 v97, v97, v98
	v_mul_f32_e32 v98, v150, v228
	v_fmac_f32_e32 v162, v154, v231
	v_fma_f32 v98, v149, v227, -v98
	v_add_f32_e32 v161, v161, v162
	s_waitcnt vmcnt(17)
	v_mul_f32_e32 v162, v155, v233
	v_add_f32_e32 v97, v97, v98
	v_mul_f32_e32 v98, v152, v230
	s_waitcnt vmcnt(16)
	v_fmac_f32_e32 v162, v156, v234
	v_fma_f32 v98, v151, v229, -v98
	v_add_f32_e32 v161, v161, v162
	s_waitcnt vmcnt(14) lgkmcnt(0)
	v_mul_f32_e32 v162, v157, v236
	v_add_f32_e32 v97, v97, v98
	v_mul_f32_e32 v98, v154, v232
	v_fmac_f32_e32 v162, v158, v235
	v_fma_f32 v98, v153, v231, -v98
	v_add_f32_e32 v165, v161, v162
	ds_read2_b64 v[161:164], v96 offset0:89 offset1:90
	v_add_f32_e32 v97, v97, v98
	v_mul_f32_e32 v98, v156, v233
	v_fma_f32 v98, v155, v234, -v98
	v_add_f32_e32 v97, v97, v98
	v_mul_f32_e32 v98, v158, v236
	s_waitcnt vmcnt(12)
	v_mul_f32_e32 v166, v159, v238
	v_fma_f32 v98, v157, v235, -v98
	v_fmac_f32_e32 v166, v160, v237
	v_add_f32_e32 v97, v97, v98
	v_mul_f32_e32 v98, v160, v238
	v_add_f32_e32 v169, v165, v166
	ds_read2_b64 v[165:168], v96 offset0:91 offset1:92
	s_waitcnt vmcnt(10) lgkmcnt(1)
	v_mul_f32_e32 v170, v161, v240
	v_fma_f32 v98, v159, v237, -v98
	v_fmac_f32_e32 v170, v162, v239
	v_add_f32_e32 v97, v97, v98
	v_mul_f32_e32 v98, v162, v240
	v_add_f32_e32 v169, v169, v170
	s_waitcnt vmcnt(9)
	v_mul_f32_e32 v170, v163, v241
	v_fma_f32 v98, v161, v239, -v98
	s_waitcnt vmcnt(8)
	v_fmac_f32_e32 v170, v164, v242
	v_add_f32_e32 v97, v97, v98
	v_mul_f32_e32 v98, v164, v241
	v_add_f32_e32 v251, v169, v170
	ds_read2_b64 v[169:172], v96 offset0:93 offset1:94
	v_fma_f32 v98, v163, v242, -v98
	v_add_f32_e32 v97, v97, v98
	s_waitcnt vmcnt(6) lgkmcnt(1)
	v_mul_f32_e32 v98, v166, v244
	v_mul_f32_e32 v252, v165, v244
	v_fma_f32 v98, v165, v243, -v98
	v_fmac_f32_e32 v252, v166, v243
	v_add_f32_e32 v97, v97, v98
	s_waitcnt vmcnt(4)
	v_mul_f32_e32 v98, v168, v246
	v_add_f32_e32 v96, v251, v252
	v_mul_f32_e32 v251, v167, v246
	v_fma_f32 v98, v167, v245, -v98
	v_fmac_f32_e32 v251, v168, v245
	v_add_f32_e32 v97, v97, v98
	s_waitcnt vmcnt(3) lgkmcnt(0)
	v_mul_f32_e32 v98, v170, v247
	v_add_f32_e32 v96, v96, v251
	v_mul_f32_e32 v251, v169, v247
	s_waitcnt vmcnt(2)
	v_fma_f32 v98, v169, v248, -v98
	v_fmac_f32_e32 v251, v170, v248
	v_add_f32_e32 v97, v97, v98
	s_waitcnt vmcnt(0)
	v_mul_f32_e32 v98, v172, v250
	v_add_f32_e32 v96, v96, v251
	v_mul_f32_e32 v251, v171, v250
	v_fma_f32 v98, v171, v249, -v98
	v_fmac_f32_e32 v251, v172, v249
	v_add_f32_e32 v97, v97, v98
	v_add_f32_e32 v96, v96, v251
	v_sub_f32_e32 v97, v197, v97
	v_sub_f32_e32 v96, v198, v96
	buffer_store_dword v97, off, s[0:3], 0 offset:64
	buffer_store_dword v96, off, s[0:3], 0 offset:68
	s_and_saveexec_b64 s[4:5], vcc
	s_cbranch_execz .LBB110_281
; %bb.280:
	buffer_load_dword v96, off, s[0:3], 0 offset:56
	buffer_load_dword v97, off, s[0:3], 0 offset:60
	v_mov_b32_e32 v98, 0
	buffer_store_dword v98, off, s[0:3], 0 offset:56
	buffer_store_dword v98, off, s[0:3], 0 offset:60
	s_waitcnt vmcnt(2)
	ds_write_b64 v95, v[96:97]
.LBB110_281:
	s_or_b64 exec, exec, s[4:5]
	s_waitcnt lgkmcnt(0)
	; wave barrier
	buffer_load_dword v175, off, s[0:3], 0 offset:68
	buffer_load_dword v176, off, s[0:3], 0 offset:76
	;; [unrolled: 1-line block ×50, first 2 shown]
	v_mov_b32_e32 v96, 0
	ds_read_b128 v[97:100], v96 offset:448
	ds_read_b128 v[101:104], v96 offset:464
	;; [unrolled: 1-line block ×6, first 2 shown]
	buffer_load_dword v225, off, s[0:3], 0 offset:256
	buffer_load_dword v226, off, s[0:3], 0 offset:260
	;; [unrolled: 1-line block ×8, first 2 shown]
	v_cmp_lt_u32_e32 vcc, 6, v0
	s_waitcnt vmcnt(57) lgkmcnt(5)
	v_mul_f32_e32 v121, v97, v175
	s_waitcnt vmcnt(56)
	v_mul_f32_e32 v122, v99, v176
	s_waitcnt vmcnt(55) lgkmcnt(4)
	v_mul_f32_e32 v123, v101, v177
	s_waitcnt vmcnt(54)
	v_mul_f32_e32 v124, v103, v178
	;; [unrolled: 4-line block ×5, first 2 shown]
	s_waitcnt vmcnt(47) lgkmcnt(0)
	v_mul_f32_e32 v131, v117, v185
	s_waitcnt vmcnt(46)
	v_fmac_f32_e32 v123, v102, v186
	s_waitcnt vmcnt(45)
	v_fmac_f32_e32 v122, v100, v187
	;; [unrolled: 2-line block ×3, first 2 shown]
	v_add_f32_e32 v121, 0, v121
	v_add_f32_e32 v121, v121, v122
	;; [unrolled: 1-line block ×3, first 2 shown]
	s_waitcnt vmcnt(40)
	v_fmac_f32_e32 v124, v104, v192
	v_fmac_f32_e32 v125, v106, v191
	v_add_f32_e32 v121, v121, v124
	v_fmac_f32_e32 v126, v108, v190
	v_add_f32_e32 v121, v121, v125
	;; [unrolled: 2-line block ×3, first 2 shown]
	s_waitcnt vmcnt(36)
	v_fmac_f32_e32 v128, v112, v196
	v_add_f32_e32 v121, v121, v127
	v_fmac_f32_e32 v129, v114, v195
	v_add_f32_e32 v121, v121, v128
	;; [unrolled: 2-line block ×3, first 2 shown]
	v_add_f32_e32 v121, v121, v130
	v_fmac_f32_e32 v131, v118, v193
	v_add_f32_e32 v125, v121, v131
	ds_read_b128 v[121:124], v96 offset:544
	buffer_load_dword v233, off, s[0:3], 0 offset:288
	buffer_load_dword v234, off, s[0:3], 0 offset:292
	;; [unrolled: 1-line block ×6, first 2 shown]
	s_waitcnt vmcnt(41)
	v_mul_f32_e32 v126, v119, v197
	s_waitcnt vmcnt(34)
	v_fmac_f32_e32 v126, v120, v204
	v_add_f32_e32 v129, v125, v126
	ds_read_b128 v[125:128], v96 offset:560
	buffer_load_dword v239, off, s[0:3], 0 offset:312
	buffer_load_dword v240, off, s[0:3], 0 offset:316
	;; [unrolled: 1-line block ×16, first 2 shown]
	s_waitcnt lgkmcnt(1)
	v_mul_f32_e32 v130, v121, v199
	v_fmac_f32_e32 v130, v122, v198
	v_add_f32_e32 v129, v129, v130
	v_mul_f32_e32 v130, v123, v201
	v_fmac_f32_e32 v130, v124, v200
	v_add_f32_e32 v129, v129, v130
	s_waitcnt lgkmcnt(0)
	v_mul_f32_e32 v130, v125, v203
	v_fmac_f32_e32 v130, v126, v202
	v_add_f32_e32 v133, v129, v130
	ds_read_b128 v[129:132], v96 offset:576
	s_waitcnt vmcnt(46)
	v_mul_f32_e32 v134, v127, v208
	v_fmac_f32_e32 v134, v128, v207
	v_add_f32_e32 v137, v133, v134
	ds_read_b128 v[133:136], v96 offset:592
	s_waitcnt vmcnt(44) lgkmcnt(1)
	v_mul_f32_e32 v138, v129, v210
	v_fmac_f32_e32 v138, v130, v209
	v_add_f32_e32 v137, v137, v138
	s_waitcnt vmcnt(42)
	v_mul_f32_e32 v138, v131, v212
	v_fmac_f32_e32 v138, v132, v211
	v_add_f32_e32 v137, v137, v138
	s_waitcnt vmcnt(40) lgkmcnt(0)
	v_mul_f32_e32 v138, v133, v214
	v_fmac_f32_e32 v138, v134, v213
	v_add_f32_e32 v141, v137, v138
	ds_read_b128 v[137:140], v96 offset:608
	s_waitcnt vmcnt(38)
	v_mul_f32_e32 v142, v135, v216
	v_fmac_f32_e32 v142, v136, v215
	v_add_f32_e32 v145, v141, v142
	ds_read_b128 v[141:144], v96 offset:624
	s_waitcnt vmcnt(36) lgkmcnt(1)
	v_mul_f32_e32 v146, v137, v218
	v_fmac_f32_e32 v146, v138, v217
	v_add_f32_e32 v145, v145, v146
	s_waitcnt vmcnt(34)
	v_mul_f32_e32 v146, v139, v220
	v_fmac_f32_e32 v146, v140, v219
	v_add_f32_e32 v145, v145, v146
	s_waitcnt vmcnt(32) lgkmcnt(0)
	v_mul_f32_e32 v146, v141, v222
	v_fmac_f32_e32 v146, v142, v221
	v_add_f32_e32 v149, v145, v146
	ds_read_b128 v[145:148], v96 offset:640
	s_waitcnt vmcnt(30)
	v_mul_f32_e32 v150, v143, v224
	v_fmac_f32_e32 v150, v144, v223
	v_add_f32_e32 v153, v149, v150
	ds_read_b128 v[149:152], v96 offset:656
	s_waitcnt vmcnt(28) lgkmcnt(1)
	v_mul_f32_e32 v154, v145, v226
	v_fmac_f32_e32 v154, v146, v225
	v_add_f32_e32 v153, v153, v154
	s_waitcnt vmcnt(27)
	v_mul_f32_e32 v154, v147, v227
	s_waitcnt vmcnt(24)
	v_fmac_f32_e32 v154, v148, v230
	v_add_f32_e32 v153, v153, v154
	s_waitcnt lgkmcnt(0)
	v_mul_f32_e32 v154, v149, v229
	v_fmac_f32_e32 v154, v150, v228
	v_add_f32_e32 v157, v153, v154
	ds_read_b128 v[153:156], v96 offset:672
	s_waitcnt vmcnt(22)
	v_mul_f32_e32 v158, v151, v232
	v_fmac_f32_e32 v158, v152, v231
	v_add_f32_e32 v161, v157, v158
	ds_read_b128 v[157:160], v96 offset:688
	s_waitcnt vmcnt(20) lgkmcnt(1)
	v_mul_f32_e32 v162, v153, v234
	v_fmac_f32_e32 v162, v154, v233
	v_add_f32_e32 v161, v161, v162
	s_waitcnt vmcnt(19)
	v_mul_f32_e32 v162, v155, v235
	s_waitcnt vmcnt(16)
	v_fmac_f32_e32 v162, v156, v238
	v_add_f32_e32 v161, v161, v162
	s_waitcnt lgkmcnt(0)
	;; [unrolled: 19-line block ×3, first 2 shown]
	v_mul_f32_e32 v170, v165, v245
	v_fmac_f32_e32 v170, v166, v244
	v_add_f32_e32 v173, v169, v170
	ds_read_b128 v[169:172], v96 offset:736
	s_waitcnt vmcnt(6)
	v_mul_f32_e32 v174, v167, v248
	v_fmac_f32_e32 v174, v168, v247
	v_add_f32_e32 v255, v173, v174
	ds_read_b64 v[173:174], v96 offset:752
	s_waitcnt vmcnt(4) lgkmcnt(1)
	v_mul_f32_e32 v3, v169, v250
	v_fmac_f32_e32 v3, v170, v249
	s_waitcnt vmcnt(3)
	v_mul_f32_e32 v4, v171, v251
	v_add_f32_e32 v3, v255, v3
	s_waitcnt vmcnt(0)
	v_fmac_f32_e32 v4, v172, v254
	v_add_f32_e32 v3, v3, v4
	s_waitcnt lgkmcnt(0)
	v_mul_f32_e32 v4, v173, v253
	v_fmac_f32_e32 v4, v174, v252
	v_add_f32_e32 v3, v3, v4
	v_mul_f32_e32 v4, v98, v175
	v_fma_f32 v4, v97, v188, -v4
	v_mul_f32_e32 v97, v100, v176
	v_add_f32_e32 v4, 0, v4
	v_fma_f32 v97, v99, v187, -v97
	v_add_f32_e32 v4, v4, v97
	v_mul_f32_e32 v97, v102, v177
	v_fma_f32 v97, v101, v186, -v97
	v_add_f32_e32 v4, v4, v97
	v_mul_f32_e32 v97, v104, v178
	;; [unrolled: 3-line block ×37, first 2 shown]
	v_fma_f32 v97, v173, v252, -v97
	v_add_f32_e32 v4, v4, v97
	v_sub_f32_e32 v4, v205, v4
	v_sub_f32_e32 v3, v206, v3
	buffer_store_dword v4, off, s[0:3], 0 offset:56
	buffer_store_dword v3, off, s[0:3], 0 offset:60
	s_and_saveexec_b64 s[4:5], vcc
	s_cbranch_execz .LBB110_283
; %bb.282:
	buffer_load_dword v97, off, s[0:3], 0 offset:48
	buffer_load_dword v98, off, s[0:3], 0 offset:52
	s_waitcnt vmcnt(0)
	ds_write_b64 v95, v[97:98]
	buffer_store_dword v96, off, s[0:3], 0 offset:48
	buffer_store_dword v96, off, s[0:3], 0 offset:52
.LBB110_283:
	s_or_b64 exec, exec, s[4:5]
	s_waitcnt lgkmcnt(0)
	; wave barrier
	buffer_load_dword v3, off, s[0:3], 0 offset:60
	buffer_load_dword v4, off, s[0:3], 0 offset:68
	;; [unrolled: 1-line block ×32, first 2 shown]
	ds_read2_b64 v[97:100], v96 offset0:55 offset1:56
	ds_read2_b64 v[101:104], v96 offset0:57 offset1:58
	;; [unrolled: 1-line block ×6, first 2 shown]
	buffer_load_dword v207, off, s[0:3], 0 offset:176
	buffer_load_dword v208, off, s[0:3], 0 offset:180
	;; [unrolled: 1-line block ×26, first 2 shown]
	v_cmp_lt_u32_e32 vcc, 5, v0
	s_waitcnt vmcnt(57) lgkmcnt(5)
	v_mul_f32_e32 v121, v97, v3
	s_waitcnt vmcnt(56)
	v_mul_f32_e32 v122, v99, v4
	s_waitcnt vmcnt(55) lgkmcnt(4)
	v_mul_f32_e32 v123, v101, v177
	s_waitcnt vmcnt(54)
	v_mul_f32_e32 v124, v103, v178
	;; [unrolled: 4-line block ×5, first 2 shown]
	s_waitcnt vmcnt(47) lgkmcnt(0)
	v_mul_f32_e32 v131, v117, v185
	s_waitcnt vmcnt(46)
	v_fmac_f32_e32 v123, v102, v186
	s_waitcnt vmcnt(45)
	v_fmac_f32_e32 v122, v100, v187
	;; [unrolled: 2-line block ×3, first 2 shown]
	v_add_f32_e32 v121, 0, v121
	v_add_f32_e32 v121, v121, v122
	;; [unrolled: 1-line block ×3, first 2 shown]
	s_waitcnt vmcnt(40)
	v_fmac_f32_e32 v124, v104, v192
	v_fmac_f32_e32 v125, v106, v191
	v_add_f32_e32 v121, v121, v124
	v_fmac_f32_e32 v126, v108, v190
	v_add_f32_e32 v121, v121, v125
	;; [unrolled: 2-line block ×3, first 2 shown]
	s_waitcnt vmcnt(36)
	v_fmac_f32_e32 v128, v112, v196
	v_add_f32_e32 v121, v121, v127
	v_fmac_f32_e32 v129, v114, v195
	v_add_f32_e32 v121, v121, v128
	;; [unrolled: 2-line block ×4, first 2 shown]
	v_add_f32_e32 v125, v121, v131
	ds_read2_b64 v[121:124], v96 offset0:67 offset1:68
	buffer_load_dword v233, off, s[0:3], 0 offset:280
	buffer_load_dword v234, off, s[0:3], 0 offset:284
	buffer_load_dword v235, off, s[0:3], 0 offset:292
	buffer_load_dword v236, off, s[0:3], 0 offset:296
	buffer_load_dword v237, off, s[0:3], 0 offset:300
	buffer_load_dword v238, off, s[0:3], 0 offset:288
	s_waitcnt vmcnt(41)
	v_mul_f32_e32 v126, v119, v197
	s_waitcnt vmcnt(35)
	v_fmac_f32_e32 v126, v120, v203
	v_add_f32_e32 v129, v125, v126
	ds_read2_b64 v[125:128], v96 offset0:69 offset1:70
	buffer_load_dword v239, off, s[0:3], 0 offset:304
	buffer_load_dword v240, off, s[0:3], 0 offset:308
	;; [unrolled: 1-line block ×10, first 2 shown]
	s_waitcnt vmcnt(44) lgkmcnt(1)
	v_mul_f32_e32 v130, v121, v204
	v_fmac_f32_e32 v130, v122, v202
	v_add_f32_e32 v129, v129, v130
	v_mul_f32_e32 v130, v123, v199
	v_fmac_f32_e32 v130, v124, v198
	v_add_f32_e32 v129, v129, v130
	s_waitcnt lgkmcnt(0)
	v_mul_f32_e32 v130, v125, v201
	buffer_load_dword v249, off, s[0:3], 0 offset:344
	buffer_load_dword v250, off, s[0:3], 0 offset:348
	buffer_load_dword v251, off, s[0:3], 0 offset:356
	buffer_load_dword v252, off, s[0:3], 0 offset:360
	buffer_load_dword v253, off, s[0:3], 0 offset:364
	buffer_load_dword v254, off, s[0:3], 0 offset:352
	v_fmac_f32_e32 v130, v126, v200
	s_waitcnt vmcnt(46)
	v_mul_f32_e32 v134, v127, v208
	v_add_f32_e32 v133, v129, v130
	v_fmac_f32_e32 v134, v128, v207
	ds_read2_b64 v[129:132], v96 offset0:71 offset1:72
	v_add_f32_e32 v137, v133, v134
	ds_read2_b64 v[133:136], v96 offset0:73 offset1:74
	buffer_load_dword v255, off, s[0:3], 0 offset:368
	buffer_load_dword v5, off, s[0:3], 0 offset:372
	v_mul_f32_e32 v3, v98, v3
	v_fma_f32 v3, v97, v188, -v3
	v_mul_f32_e32 v4, v100, v4
	v_add_f32_e32 v3, 0, v3
	v_fma_f32 v4, v99, v187, -v4
	v_add_f32_e32 v3, v3, v4
	v_mul_f32_e32 v4, v102, v177
	v_fma_f32 v4, v101, v186, -v4
	v_add_f32_e32 v3, v3, v4
	v_mul_f32_e32 v4, v104, v178
	;; [unrolled: 3-line block ×7, first 2 shown]
	s_waitcnt vmcnt(46) lgkmcnt(1)
	v_mul_f32_e32 v6, v129, v210
	v_fma_f32 v4, v113, v195, -v4
	v_fmac_f32_e32 v6, v130, v209
	v_add_f32_e32 v3, v3, v4
	v_mul_f32_e32 v4, v116, v184
	v_add_f32_e32 v6, v137, v6
	s_waitcnt vmcnt(44)
	v_mul_f32_e32 v137, v131, v212
	v_fma_f32 v4, v115, v194, -v4
	v_fmac_f32_e32 v137, v132, v211
	v_add_f32_e32 v3, v3, v4
	v_mul_f32_e32 v4, v118, v185
	v_add_f32_e32 v6, v6, v137
	s_waitcnt vmcnt(42) lgkmcnt(0)
	v_mul_f32_e32 v137, v133, v214
	v_fma_f32 v4, v117, v193, -v4
	v_fmac_f32_e32 v137, v134, v213
	v_add_f32_e32 v3, v3, v4
	v_mul_f32_e32 v4, v120, v197
	v_add_f32_e32 v6, v6, v137
	ds_read2_b64 v[137:140], v96 offset0:75 offset1:76
	v_fma_f32 v4, v119, v203, -v4
	v_add_f32_e32 v3, v3, v4
	v_mul_f32_e32 v4, v122, v204
	s_waitcnt vmcnt(40)
	v_mul_f32_e32 v141, v135, v216
	v_fma_f32 v4, v121, v202, -v4
	v_fmac_f32_e32 v141, v136, v215
	v_add_f32_e32 v3, v3, v4
	v_mul_f32_e32 v4, v124, v199
	v_add_f32_e32 v6, v6, v141
	ds_read2_b64 v[141:144], v96 offset0:77 offset1:78
	v_fma_f32 v4, v123, v198, -v4
	s_waitcnt vmcnt(38) lgkmcnt(1)
	v_mul_f32_e32 v145, v137, v218
	v_add_f32_e32 v3, v3, v4
	v_mul_f32_e32 v4, v126, v201
	v_fmac_f32_e32 v145, v138, v217
	v_fma_f32 v4, v125, v200, -v4
	v_add_f32_e32 v6, v6, v145
	s_waitcnt vmcnt(36)
	v_mul_f32_e32 v145, v139, v220
	v_add_f32_e32 v3, v3, v4
	v_mul_f32_e32 v4, v128, v208
	v_fmac_f32_e32 v145, v140, v219
	v_fma_f32 v4, v127, v207, -v4
	v_add_f32_e32 v6, v6, v145
	s_waitcnt vmcnt(34) lgkmcnt(0)
	v_mul_f32_e32 v145, v141, v222
	v_add_f32_e32 v3, v3, v4
	v_mul_f32_e32 v4, v130, v210
	v_fmac_f32_e32 v145, v142, v221
	v_fma_f32 v4, v129, v209, -v4
	v_add_f32_e32 v6, v6, v145
	ds_read2_b64 v[145:148], v96 offset0:79 offset1:80
	v_add_f32_e32 v3, v3, v4
	v_mul_f32_e32 v4, v132, v212
	v_fma_f32 v4, v131, v211, -v4
	s_waitcnt vmcnt(32)
	v_mul_f32_e32 v149, v143, v224
	v_add_f32_e32 v3, v3, v4
	v_mul_f32_e32 v4, v134, v214
	v_fmac_f32_e32 v149, v144, v223
	v_fma_f32 v4, v133, v213, -v4
	v_add_f32_e32 v6, v6, v149
	ds_read2_b64 v[149:152], v96 offset0:81 offset1:82
	v_add_f32_e32 v3, v3, v4
	v_mul_f32_e32 v4, v136, v216
	s_waitcnt vmcnt(30) lgkmcnt(1)
	v_mul_f32_e32 v153, v145, v226
	v_fma_f32 v4, v135, v215, -v4
	v_fmac_f32_e32 v153, v146, v225
	v_add_f32_e32 v3, v3, v4
	v_mul_f32_e32 v4, v138, v218
	v_add_f32_e32 v6, v6, v153
	s_waitcnt vmcnt(29)
	v_mul_f32_e32 v153, v147, v227
	v_fma_f32 v4, v137, v217, -v4
	s_waitcnt vmcnt(26)
	v_fmac_f32_e32 v153, v148, v230
	v_add_f32_e32 v3, v3, v4
	v_mul_f32_e32 v4, v140, v220
	v_add_f32_e32 v6, v6, v153
	s_waitcnt lgkmcnt(0)
	v_mul_f32_e32 v153, v149, v229
	v_fma_f32 v4, v139, v219, -v4
	v_fmac_f32_e32 v153, v150, v228
	v_add_f32_e32 v3, v3, v4
	v_mul_f32_e32 v4, v142, v222
	v_add_f32_e32 v6, v6, v153
	ds_read2_b64 v[153:156], v96 offset0:83 offset1:84
	v_fma_f32 v4, v141, v221, -v4
	v_add_f32_e32 v3, v3, v4
	v_mul_f32_e32 v4, v144, v224
	s_waitcnt vmcnt(24)
	v_mul_f32_e32 v157, v151, v232
	v_fma_f32 v4, v143, v223, -v4
	v_fmac_f32_e32 v157, v152, v231
	v_add_f32_e32 v3, v3, v4
	v_mul_f32_e32 v4, v146, v226
	v_add_f32_e32 v6, v6, v157
	ds_read2_b64 v[157:160], v96 offset0:85 offset1:86
	v_fma_f32 v4, v145, v225, -v4
	s_waitcnt vmcnt(22) lgkmcnt(1)
	v_mul_f32_e32 v161, v153, v234
	v_add_f32_e32 v3, v3, v4
	v_mul_f32_e32 v4, v148, v227
	v_fmac_f32_e32 v161, v154, v233
	v_fma_f32 v4, v147, v230, -v4
	v_add_f32_e32 v6, v6, v161
	s_waitcnt vmcnt(21)
	v_mul_f32_e32 v161, v155, v235
	v_add_f32_e32 v3, v3, v4
	v_mul_f32_e32 v4, v150, v229
	s_waitcnt vmcnt(18)
	v_fmac_f32_e32 v161, v156, v238
	v_fma_f32 v4, v149, v228, -v4
	v_add_f32_e32 v6, v6, v161
	s_waitcnt lgkmcnt(0)
	v_mul_f32_e32 v161, v157, v237
	v_add_f32_e32 v3, v3, v4
	v_mul_f32_e32 v4, v152, v232
	v_fmac_f32_e32 v161, v158, v236
	v_fma_f32 v4, v151, v231, -v4
	v_add_f32_e32 v6, v6, v161
	ds_read2_b64 v[161:164], v96 offset0:87 offset1:88
	v_add_f32_e32 v3, v3, v4
	v_mul_f32_e32 v4, v154, v234
	v_fma_f32 v4, v153, v233, -v4
	s_waitcnt vmcnt(16)
	v_mul_f32_e32 v165, v159, v240
	v_add_f32_e32 v3, v3, v4
	v_mul_f32_e32 v4, v156, v235
	v_fmac_f32_e32 v165, v160, v239
	v_fma_f32 v4, v155, v238, -v4
	v_add_f32_e32 v6, v6, v165
	ds_read2_b64 v[165:168], v96 offset0:89 offset1:90
	v_add_f32_e32 v3, v3, v4
	v_mul_f32_e32 v4, v158, v237
	s_waitcnt vmcnt(14) lgkmcnt(1)
	v_mul_f32_e32 v169, v161, v242
	v_fma_f32 v4, v157, v236, -v4
	v_fmac_f32_e32 v169, v162, v241
	v_add_f32_e32 v3, v3, v4
	v_mul_f32_e32 v4, v160, v240
	v_add_f32_e32 v6, v6, v169
	s_waitcnt vmcnt(13)
	v_mul_f32_e32 v169, v163, v243
	v_fma_f32 v4, v159, v239, -v4
	s_waitcnt vmcnt(10)
	v_fmac_f32_e32 v169, v164, v246
	v_add_f32_e32 v3, v3, v4
	v_mul_f32_e32 v4, v162, v242
	v_add_f32_e32 v6, v6, v169
	s_waitcnt lgkmcnt(0)
	v_mul_f32_e32 v169, v165, v245
	v_fma_f32 v4, v161, v241, -v4
	v_fmac_f32_e32 v169, v166, v244
	v_add_f32_e32 v3, v3, v4
	v_mul_f32_e32 v4, v164, v243
	v_add_f32_e32 v6, v6, v169
	ds_read2_b64 v[169:172], v96 offset0:91 offset1:92
	v_fma_f32 v4, v163, v246, -v4
	v_add_f32_e32 v3, v3, v4
	v_mul_f32_e32 v4, v166, v245
	s_waitcnt vmcnt(8)
	v_mul_f32_e32 v173, v167, v248
	v_fma_f32 v4, v165, v244, -v4
	v_fmac_f32_e32 v173, v168, v247
	v_add_f32_e32 v3, v3, v4
	v_mul_f32_e32 v4, v168, v248
	v_add_f32_e32 v6, v6, v173
	ds_read2_b64 v[173:176], v96 offset0:93 offset1:94
	v_fma_f32 v4, v167, v247, -v4
	v_add_f32_e32 v3, v3, v4
	s_waitcnt vmcnt(6) lgkmcnt(1)
	v_mul_f32_e32 v4, v170, v250
	v_mul_f32_e32 v96, v169, v250
	v_fma_f32 v4, v169, v249, -v4
	v_fmac_f32_e32 v96, v170, v249
	v_add_f32_e32 v3, v3, v4
	s_waitcnt vmcnt(5)
	v_mul_f32_e32 v4, v172, v251
	v_add_f32_e32 v6, v6, v96
	v_mul_f32_e32 v96, v171, v251
	s_waitcnt vmcnt(2)
	v_fma_f32 v4, v171, v254, -v4
	v_fmac_f32_e32 v96, v172, v254
	v_add_f32_e32 v3, v3, v4
	s_waitcnt lgkmcnt(0)
	v_mul_f32_e32 v4, v174, v253
	v_add_f32_e32 v6, v6, v96
	v_mul_f32_e32 v96, v173, v253
	v_fma_f32 v4, v173, v252, -v4
	v_fmac_f32_e32 v96, v174, v252
	v_add_f32_e32 v3, v3, v4
	s_waitcnt vmcnt(0)
	v_mul_f32_e32 v4, v176, v5
	v_add_f32_e32 v6, v6, v96
	v_mul_f32_e32 v96, v175, v5
	v_fma_f32 v4, v175, v255, -v4
	v_fmac_f32_e32 v96, v176, v255
	v_add_f32_e32 v3, v3, v4
	v_add_f32_e32 v6, v6, v96
	v_sub_f32_e32 v3, v205, v3
	v_sub_f32_e32 v4, v206, v6
	buffer_store_dword v3, off, s[0:3], 0 offset:48
	buffer_store_dword v4, off, s[0:3], 0 offset:52
	s_and_saveexec_b64 s[4:5], vcc
	s_cbranch_execz .LBB110_285
; %bb.284:
	buffer_load_dword v96, off, s[0:3], 0 offset:40
	buffer_load_dword v97, off, s[0:3], 0 offset:44
	v_mov_b32_e32 v3, 0
	buffer_store_dword v3, off, s[0:3], 0 offset:40
	buffer_store_dword v3, off, s[0:3], 0 offset:44
	s_waitcnt vmcnt(2)
	ds_write_b64 v95, v[96:97]
.LBB110_285:
	s_or_b64 exec, exec, s[4:5]
	s_waitcnt lgkmcnt(0)
	; wave barrier
	buffer_load_dword v105, off, s[0:3], 0 offset:52
	buffer_load_dword v104, off, s[0:3], 0 offset:60
	;; [unrolled: 1-line block ×50, first 2 shown]
	v_mov_b32_e32 v96, 0
	ds_read_b128 v[106:109], v96 offset:432
	ds_read_b128 v[110:113], v96 offset:448
	;; [unrolled: 1-line block ×6, first 2 shown]
	buffer_load_dword v225, off, s[0:3], 0 offset:240
	buffer_load_dword v226, off, s[0:3], 0 offset:244
	;; [unrolled: 1-line block ×6, first 2 shown]
	v_cmp_lt_u32_e32 vcc, 4, v0
	s_waitcnt vmcnt(55) lgkmcnt(5)
	v_mul_f32_e32 v130, v106, v105
	s_waitcnt vmcnt(54)
	v_mul_f32_e32 v131, v108, v104
	s_waitcnt vmcnt(53) lgkmcnt(4)
	v_mul_f32_e32 v132, v110, v103
	s_waitcnt vmcnt(52)
	v_mul_f32_e32 v133, v112, v102
	;; [unrolled: 4-line block ×5, first 2 shown]
	s_waitcnt vmcnt(45) lgkmcnt(0)
	v_mul_f32_e32 v140, v126, v6
	s_waitcnt vmcnt(44)
	v_fmac_f32_e32 v132, v111, v188
	s_waitcnt vmcnt(43)
	v_fmac_f32_e32 v131, v109, v189
	;; [unrolled: 2-line block ×3, first 2 shown]
	v_add_f32_e32 v130, 0, v130
	v_add_f32_e32 v130, v130, v131
	;; [unrolled: 1-line block ×3, first 2 shown]
	s_waitcnt vmcnt(38)
	v_fmac_f32_e32 v133, v113, v194
	v_fmac_f32_e32 v134, v115, v193
	v_add_f32_e32 v130, v130, v133
	v_fmac_f32_e32 v135, v117, v192
	v_add_f32_e32 v130, v130, v134
	;; [unrolled: 2-line block ×3, first 2 shown]
	s_waitcnt vmcnt(34)
	v_fmac_f32_e32 v137, v121, v198
	v_add_f32_e32 v130, v130, v136
	v_fmac_f32_e32 v138, v123, v197
	v_add_f32_e32 v130, v130, v137
	;; [unrolled: 2-line block ×4, first 2 shown]
	v_add_f32_e32 v134, v130, v140
	ds_read_b128 v[130:133], v96 offset:528
	buffer_load_dword v231, off, s[0:3], 0 offset:264
	buffer_load_dword v232, off, s[0:3], 0 offset:268
	s_waitcnt vmcnt(35)
	v_mul_f32_e32 v135, v128, v199
	s_waitcnt vmcnt(29)
	v_fmac_f32_e32 v135, v129, v205
	v_add_f32_e32 v138, v134, v135
	ds_read_b128 v[134:137], v96 offset:544
	buffer_load_dword v233, off, s[0:3], 0 offset:272
	buffer_load_dword v234, off, s[0:3], 0 offset:276
	;; [unrolled: 1-line block ×14, first 2 shown]
	s_waitcnt vmcnt(42) lgkmcnt(1)
	v_mul_f32_e32 v139, v130, v206
	v_fmac_f32_e32 v139, v131, v204
	buffer_load_dword v247, off, s[0:3], 0 offset:328
	buffer_load_dword v248, off, s[0:3], 0 offset:332
	v_add_f32_e32 v138, v138, v139
	v_mul_f32_e32 v139, v132, v201
	v_fmac_f32_e32 v139, v133, v200
	v_add_f32_e32 v138, v138, v139
	s_waitcnt lgkmcnt(0)
	v_mul_f32_e32 v139, v134, v203
	v_fmac_f32_e32 v139, v135, v202
	v_add_f32_e32 v142, v138, v139
	ds_read_b128 v[138:141], v96 offset:560
	buffer_load_dword v249, off, s[0:3], 0 offset:336
	buffer_load_dword v250, off, s[0:3], 0 offset:340
	;; [unrolled: 1-line block ×6, first 2 shown]
	s_waitcnt vmcnt(46)
	v_mul_f32_e32 v143, v136, v208
	v_fmac_f32_e32 v143, v137, v207
	v_add_f32_e32 v146, v142, v143
	ds_read_b128 v[142:145], v96 offset:576
	buffer_load_dword v255, off, s[0:3], 0 offset:364
	buffer_load_dword v7, off, s[0:3], 0 offset:368
	;; [unrolled: 1-line block ×4, first 2 shown]
	s_waitcnt vmcnt(48) lgkmcnt(1)
	v_mul_f32_e32 v147, v138, v210
	v_fmac_f32_e32 v147, v139, v209
	v_add_f32_e32 v10, v146, v147
	s_waitcnt vmcnt(46)
	v_mul_f32_e32 v146, v140, v212
	v_fmac_f32_e32 v146, v141, v211
	v_add_f32_e32 v10, v10, v146
	s_waitcnt vmcnt(44) lgkmcnt(0)
	v_mul_f32_e32 v146, v142, v214
	v_fmac_f32_e32 v146, v143, v213
	v_add_f32_e32 v10, v10, v146
	ds_read_b128 v[146:149], v96 offset:592
	s_waitcnt vmcnt(42)
	v_mul_f32_e32 v150, v144, v216
	v_fmac_f32_e32 v150, v145, v215
	v_add_f32_e32 v10, v10, v150
	ds_read_b128 v[150:153], v96 offset:608
	s_waitcnt vmcnt(40) lgkmcnt(1)
	v_mul_f32_e32 v154, v146, v218
	v_fmac_f32_e32 v154, v147, v217
	v_add_f32_e32 v10, v10, v154
	s_waitcnt vmcnt(38)
	v_mul_f32_e32 v154, v148, v220
	v_fmac_f32_e32 v154, v149, v219
	v_add_f32_e32 v10, v10, v154
	s_waitcnt vmcnt(36) lgkmcnt(0)
	v_mul_f32_e32 v154, v150, v222
	v_fmac_f32_e32 v154, v151, v221
	v_add_f32_e32 v10, v10, v154
	ds_read_b128 v[154:157], v96 offset:624
	s_waitcnt vmcnt(34)
	v_mul_f32_e32 v158, v152, v224
	v_fmac_f32_e32 v158, v153, v223
	v_add_f32_e32 v10, v10, v158
	ds_read_b128 v[158:161], v96 offset:640
	s_waitcnt vmcnt(32) lgkmcnt(1)
	v_mul_f32_e32 v162, v154, v226
	v_fmac_f32_e32 v162, v155, v225
	v_add_f32_e32 v10, v10, v162
	s_waitcnt vmcnt(31)
	v_mul_f32_e32 v162, v156, v227
	s_waitcnt vmcnt(28)
	v_fmac_f32_e32 v162, v157, v230
	v_add_f32_e32 v10, v10, v162
	s_waitcnt lgkmcnt(0)
	v_mul_f32_e32 v162, v158, v229
	v_fmac_f32_e32 v162, v159, v228
	v_add_f32_e32 v10, v10, v162
	ds_read_b128 v[162:165], v96 offset:656
	v_mul_f32_e32 v12, v109, v104
	v_fma_f32 v12, v108, v189, -v12
	v_mul_f32_e32 v3, v121, v3
	v_fma_f32 v3, v120, v198, -v3
	;; [unrolled: 2-line block ×3, first 2 shown]
	s_waitcnt vmcnt(26)
	v_mul_f32_e32 v166, v160, v232
	v_fmac_f32_e32 v166, v161, v231
	v_add_f32_e32 v10, v10, v166
	ds_read_b128 v[166:169], v96 offset:672
	s_waitcnt vmcnt(24) lgkmcnt(1)
	v_mul_f32_e32 v170, v162, v234
	v_fmac_f32_e32 v170, v163, v233
	v_add_f32_e32 v10, v10, v170
	s_waitcnt vmcnt(23)
	v_mul_f32_e32 v170, v164, v235
	s_waitcnt vmcnt(20)
	v_fmac_f32_e32 v170, v165, v238
	v_add_f32_e32 v10, v10, v170
	s_waitcnt lgkmcnt(0)
	v_mul_f32_e32 v170, v166, v237
	v_fmac_f32_e32 v170, v167, v236
	v_add_f32_e32 v10, v10, v170
	ds_read_b128 v[170:173], v96 offset:688
	s_waitcnt vmcnt(18)
	v_mul_f32_e32 v174, v168, v240
	v_fmac_f32_e32 v174, v169, v239
	v_add_f32_e32 v10, v10, v174
	ds_read_b128 v[174:177], v96 offset:704
	s_waitcnt vmcnt(16) lgkmcnt(1)
	v_mul_f32_e32 v178, v170, v242
	v_fmac_f32_e32 v178, v171, v241
	v_add_f32_e32 v10, v10, v178
	s_waitcnt vmcnt(15)
	v_mul_f32_e32 v178, v172, v243
	s_waitcnt vmcnt(12)
	v_fmac_f32_e32 v178, v173, v246
	v_add_f32_e32 v10, v10, v178
	s_waitcnt lgkmcnt(0)
	v_mul_f32_e32 v178, v174, v245
	v_fmac_f32_e32 v178, v175, v244
	v_add_f32_e32 v10, v10, v178
	ds_read_b128 v[178:181], v96 offset:720
	s_waitcnt vmcnt(10)
	v_mul_f32_e32 v182, v176, v248
	v_fmac_f32_e32 v182, v177, v247
	v_add_f32_e32 v10, v10, v182
	ds_read_b128 v[182:185], v96 offset:736
	s_waitcnt vmcnt(8) lgkmcnt(1)
	v_mul_f32_e32 v186, v178, v250
	v_fmac_f32_e32 v186, v179, v249
	v_add_f32_e32 v10, v10, v186
	s_waitcnt vmcnt(7)
	v_mul_f32_e32 v186, v180, v251
	s_waitcnt vmcnt(4)
	v_fmac_f32_e32 v186, v181, v254
	v_add_f32_e32 v10, v10, v186
	ds_read_b64 v[186:187], v96 offset:752
	s_waitcnt lgkmcnt(1)
	v_mul_f32_e32 v11, v182, v253
	v_fmac_f32_e32 v11, v183, v252
	v_add_f32_e32 v10, v10, v11
	s_waitcnt vmcnt(3)
	v_mul_f32_e32 v11, v184, v255
	s_waitcnt vmcnt(0)
	v_fmac_f32_e32 v11, v185, v9
	v_add_f32_e32 v10, v10, v11
	s_waitcnt lgkmcnt(0)
	v_mul_f32_e32 v11, v186, v8
	v_fmac_f32_e32 v11, v187, v7
	v_add_f32_e32 v10, v10, v11
	v_mul_f32_e32 v11, v107, v105
	v_fma_f32 v11, v106, v190, -v11
	v_add_f32_e32 v11, 0, v11
	v_add_f32_e32 v11, v11, v12
	v_mul_f32_e32 v12, v111, v103
	v_fma_f32 v12, v110, v188, -v12
	v_add_f32_e32 v11, v11, v12
	v_mul_f32_e32 v12, v113, v102
	v_fma_f32 v12, v112, v194, -v12
	;; [unrolled: 3-line block ×5, first 2 shown]
	v_add_f32_e32 v11, v11, v12
	v_add_f32_e32 v3, v11, v3
	;; [unrolled: 1-line block ×3, first 2 shown]
	v_mul_f32_e32 v4, v125, v5
	v_fma_f32 v4, v124, v196, -v4
	v_add_f32_e32 v3, v3, v4
	v_mul_f32_e32 v4, v127, v6
	v_fma_f32 v4, v126, v195, -v4
	v_add_f32_e32 v3, v3, v4
	v_mul_f32_e32 v4, v129, v199
	v_fma_f32 v4, v128, v205, -v4
	v_add_f32_e32 v3, v3, v4
	v_mul_f32_e32 v4, v131, v206
	v_fma_f32 v4, v130, v204, -v4
	v_add_f32_e32 v3, v3, v4
	v_mul_f32_e32 v4, v133, v201
	v_fma_f32 v4, v132, v200, -v4
	v_add_f32_e32 v3, v3, v4
	v_mul_f32_e32 v4, v135, v203
	v_fma_f32 v4, v134, v202, -v4
	v_add_f32_e32 v3, v3, v4
	v_mul_f32_e32 v4, v137, v208
	v_fma_f32 v4, v136, v207, -v4
	v_add_f32_e32 v3, v3, v4
	v_mul_f32_e32 v4, v139, v210
	v_fma_f32 v4, v138, v209, -v4
	v_add_f32_e32 v3, v3, v4
	v_mul_f32_e32 v4, v141, v212
	v_fma_f32 v4, v140, v211, -v4
	v_add_f32_e32 v3, v3, v4
	v_mul_f32_e32 v4, v143, v214
	v_fma_f32 v4, v142, v213, -v4
	v_add_f32_e32 v3, v3, v4
	v_mul_f32_e32 v4, v145, v216
	v_fma_f32 v4, v144, v215, -v4
	v_add_f32_e32 v3, v3, v4
	v_mul_f32_e32 v4, v147, v218
	v_fma_f32 v4, v146, v217, -v4
	v_add_f32_e32 v3, v3, v4
	v_mul_f32_e32 v4, v149, v220
	v_fma_f32 v4, v148, v219, -v4
	v_add_f32_e32 v3, v3, v4
	v_mul_f32_e32 v4, v151, v222
	v_fma_f32 v4, v150, v221, -v4
	v_add_f32_e32 v3, v3, v4
	v_mul_f32_e32 v4, v153, v224
	v_fma_f32 v4, v152, v223, -v4
	v_add_f32_e32 v3, v3, v4
	v_mul_f32_e32 v4, v155, v226
	v_fma_f32 v4, v154, v225, -v4
	v_add_f32_e32 v3, v3, v4
	v_mul_f32_e32 v4, v157, v227
	v_fma_f32 v4, v156, v230, -v4
	v_add_f32_e32 v3, v3, v4
	v_mul_f32_e32 v4, v159, v229
	v_fma_f32 v4, v158, v228, -v4
	v_add_f32_e32 v3, v3, v4
	v_mul_f32_e32 v4, v161, v232
	v_fma_f32 v4, v160, v231, -v4
	v_add_f32_e32 v3, v3, v4
	v_mul_f32_e32 v4, v163, v234
	v_fma_f32 v4, v162, v233, -v4
	v_add_f32_e32 v3, v3, v4
	v_mul_f32_e32 v4, v165, v235
	v_fma_f32 v4, v164, v238, -v4
	v_add_f32_e32 v3, v3, v4
	v_mul_f32_e32 v4, v167, v237
	v_fma_f32 v4, v166, v236, -v4
	v_add_f32_e32 v3, v3, v4
	v_mul_f32_e32 v4, v169, v240
	v_fma_f32 v4, v168, v239, -v4
	v_add_f32_e32 v3, v3, v4
	v_mul_f32_e32 v4, v171, v242
	v_fma_f32 v4, v170, v241, -v4
	v_add_f32_e32 v3, v3, v4
	v_mul_f32_e32 v4, v173, v243
	v_fma_f32 v4, v172, v246, -v4
	v_add_f32_e32 v3, v3, v4
	v_mul_f32_e32 v4, v175, v245
	v_fma_f32 v4, v174, v244, -v4
	v_add_f32_e32 v3, v3, v4
	v_mul_f32_e32 v4, v177, v248
	v_fma_f32 v4, v176, v247, -v4
	v_add_f32_e32 v3, v3, v4
	v_mul_f32_e32 v4, v179, v250
	v_fma_f32 v4, v178, v249, -v4
	v_add_f32_e32 v3, v3, v4
	v_mul_f32_e32 v4, v181, v251
	v_fma_f32 v4, v180, v254, -v4
	v_add_f32_e32 v3, v3, v4
	v_mul_f32_e32 v4, v183, v253
	v_fma_f32 v4, v182, v252, -v4
	v_add_f32_e32 v3, v3, v4
	v_mul_f32_e32 v4, v185, v255
	v_fma_f32 v4, v184, v9, -v4
	v_add_f32_e32 v3, v3, v4
	v_mul_f32_e32 v4, v187, v8
	v_fma_f32 v4, v186, v7, -v4
	v_add_f32_e32 v3, v3, v4
	v_sub_f32_e32 v3, v97, v3
	v_sub_f32_e32 v4, v98, v10
	buffer_store_dword v3, off, s[0:3], 0 offset:40
	buffer_store_dword v4, off, s[0:3], 0 offset:44
	s_and_saveexec_b64 s[4:5], vcc
	s_cbranch_execz .LBB110_287
; %bb.286:
	buffer_load_dword v97, off, s[0:3], 0 offset:32
	buffer_load_dword v98, off, s[0:3], 0 offset:36
	s_waitcnt vmcnt(0)
	ds_write_b64 v95, v[97:98]
	buffer_store_dword v96, off, s[0:3], 0 offset:32
	buffer_store_dword v96, off, s[0:3], 0 offset:36
.LBB110_287:
	s_or_b64 exec, exec, s[4:5]
	s_waitcnt lgkmcnt(0)
	; wave barrier
	buffer_load_dword v3, off, s[0:3], 0 offset:44
	buffer_load_dword v4, off, s[0:3], 0 offset:52
	;; [unrolled: 1-line block ×32, first 2 shown]
	ds_read2_b64 v[97:100], v96 offset0:53 offset1:54
	ds_read2_b64 v[101:104], v96 offset0:55 offset1:56
	;; [unrolled: 1-line block ×6, first 2 shown]
	buffer_load_dword v203, off, s[0:3], 0 offset:160
	buffer_load_dword v204, off, s[0:3], 0 offset:164
	;; [unrolled: 1-line block ×18, first 2 shown]
	v_cmp_lt_u32_e32 vcc, 3, v0
	s_waitcnt vmcnt(49) lgkmcnt(5)
	v_mul_f32_e32 v121, v97, v3
	s_waitcnt vmcnt(48)
	v_mul_f32_e32 v122, v99, v4
	s_waitcnt vmcnt(47) lgkmcnt(4)
	v_mul_f32_e32 v123, v101, v5
	s_waitcnt vmcnt(46)
	v_mul_f32_e32 v124, v103, v6
	;; [unrolled: 4-line block ×6, first 2 shown]
	s_waitcnt vmcnt(37)
	v_fmac_f32_e32 v123, v102, v183
	s_waitcnt vmcnt(36)
	v_fmac_f32_e32 v122, v100, v184
	;; [unrolled: 2-line block ×3, first 2 shown]
	v_add_f32_e32 v121, 0, v121
	v_add_f32_e32 v121, v121, v122
	;; [unrolled: 1-line block ×3, first 2 shown]
	s_waitcnt vmcnt(31)
	v_fmac_f32_e32 v124, v104, v189
	v_fmac_f32_e32 v125, v106, v188
	v_add_f32_e32 v121, v121, v124
	v_fmac_f32_e32 v126, v108, v187
	v_add_f32_e32 v121, v121, v125
	;; [unrolled: 2-line block ×3, first 2 shown]
	s_waitcnt vmcnt(27)
	v_fmac_f32_e32 v128, v112, v193
	v_add_f32_e32 v121, v121, v127
	v_fmac_f32_e32 v129, v114, v192
	v_add_f32_e32 v121, v121, v128
	;; [unrolled: 2-line block ×3, first 2 shown]
	v_add_f32_e32 v125, v121, v130
	ds_read2_b64 v[121:124], v96 offset0:65 offset1:66
	buffer_load_dword v221, off, s[0:3], 0 offset:232
	buffer_load_dword v222, off, s[0:3], 0 offset:236
	;; [unrolled: 1-line block ×6, first 2 shown]
	v_fmac_f32_e32 v131, v118, v190
	s_waitcnt vmcnt(27)
	v_fmac_f32_e32 v132, v120, v199
	v_add_f32_e32 v125, v125, v131
	v_add_f32_e32 v129, v125, v132
	ds_read2_b64 v[125:128], v96 offset0:67 offset1:68
	buffer_load_dword v227, off, s[0:3], 0 offset:256
	buffer_load_dword v228, off, s[0:3], 0 offset:260
	buffer_load_dword v229, off, s[0:3], 0 offset:264
	buffer_load_dword v230, off, s[0:3], 0 offset:268
	buffer_load_dword v231, off, s[0:3], 0 offset:276
	buffer_load_dword v232, off, s[0:3], 0 offset:280
	buffer_load_dword v233, off, s[0:3], 0 offset:284
	buffer_load_dword v234, off, s[0:3], 0 offset:272
	buffer_load_dword v235, off, s[0:3], 0 offset:288
	buffer_load_dword v236, off, s[0:3], 0 offset:292
	s_waitcnt vmcnt(36) lgkmcnt(1)
	v_mul_f32_e32 v130, v121, v200
	buffer_load_dword v237, off, s[0:3], 0 offset:296
	buffer_load_dword v238, off, s[0:3], 0 offset:300
	;; [unrolled: 1-line block ×6, first 2 shown]
	v_fmac_f32_e32 v130, v122, v198
	v_add_f32_e32 v129, v129, v130
	v_mul_f32_e32 v130, v123, v195
	v_fmac_f32_e32 v130, v124, v194
	v_add_f32_e32 v129, v129, v130
	s_waitcnt lgkmcnt(0)
	v_mul_f32_e32 v130, v125, v197
	v_fmac_f32_e32 v130, v126, v196
	v_add_f32_e32 v133, v129, v130
	ds_read2_b64 v[129:132], v96 offset0:69 offset1:70
	buffer_load_dword v243, off, s[0:3], 0 offset:320
	buffer_load_dword v244, off, s[0:3], 0 offset:324
	s_waitcnt vmcnt(40)
	v_mul_f32_e32 v134, v127, v204
	v_fmac_f32_e32 v134, v128, v203
	v_add_f32_e32 v137, v133, v134
	ds_read2_b64 v[133:136], v96 offset0:71 offset1:72
	buffer_load_dword v245, off, s[0:3], 0 offset:328
	buffer_load_dword v246, off, s[0:3], 0 offset:332
	;; [unrolled: 1-line block ×12, first 2 shown]
	v_mul_f32_e32 v3, v98, v3
	v_fma_f32 v3, v97, v185, -v3
	v_mul_f32_e32 v4, v100, v4
	v_add_f32_e32 v3, 0, v3
	v_fma_f32 v4, v99, v184, -v4
	v_add_f32_e32 v3, v3, v4
	v_mul_f32_e32 v4, v102, v5
	v_fma_f32 v4, v101, v183, -v4
	v_add_f32_e32 v3, v3, v4
	v_mul_f32_e32 v4, v104, v6
	;; [unrolled: 3-line block ×6, first 2 shown]
	v_fma_f32 v4, v111, v193, -v4
	s_waitcnt vmcnt(50) lgkmcnt(1)
	v_mul_f32_e32 v138, v129, v206
	v_add_f32_e32 v3, v3, v4
	v_mul_f32_e32 v4, v114, v11
	v_fmac_f32_e32 v138, v130, v205
	v_fma_f32 v4, v113, v192, -v4
	v_add_f32_e32 v137, v137, v138
	s_waitcnt vmcnt(48)
	v_mul_f32_e32 v138, v131, v208
	v_add_f32_e32 v3, v3, v4
	v_mul_f32_e32 v4, v116, v12
	v_fmac_f32_e32 v138, v132, v207
	v_fma_f32 v4, v115, v191, -v4
	v_add_f32_e32 v14, v137, v138
	s_waitcnt vmcnt(46) lgkmcnt(0)
	v_mul_f32_e32 v137, v133, v210
	v_add_f32_e32 v3, v3, v4
	v_mul_f32_e32 v4, v118, v181
	v_fmac_f32_e32 v137, v134, v209
	v_fma_f32 v4, v117, v190, -v4
	v_add_f32_e32 v14, v14, v137
	ds_read2_b64 v[137:140], v96 offset0:73 offset1:74
	v_add_f32_e32 v3, v3, v4
	v_mul_f32_e32 v4, v120, v182
	v_fma_f32 v4, v119, v199, -v4
	s_waitcnt vmcnt(44)
	v_mul_f32_e32 v141, v135, v212
	v_add_f32_e32 v3, v3, v4
	v_mul_f32_e32 v4, v122, v200
	v_fmac_f32_e32 v141, v136, v211
	v_fma_f32 v4, v121, v198, -v4
	v_add_f32_e32 v14, v14, v141
	ds_read2_b64 v[141:144], v96 offset0:75 offset1:76
	v_add_f32_e32 v3, v3, v4
	v_mul_f32_e32 v4, v124, v195
	s_waitcnt vmcnt(42) lgkmcnt(1)
	v_mul_f32_e32 v145, v137, v214
	v_fma_f32 v4, v123, v194, -v4
	v_fmac_f32_e32 v145, v138, v213
	v_add_f32_e32 v3, v3, v4
	v_mul_f32_e32 v4, v126, v197
	v_add_f32_e32 v14, v14, v145
	s_waitcnt vmcnt(40)
	v_mul_f32_e32 v145, v139, v216
	v_fma_f32 v4, v125, v196, -v4
	v_fmac_f32_e32 v145, v140, v215
	v_add_f32_e32 v3, v3, v4
	v_mul_f32_e32 v4, v128, v204
	v_add_f32_e32 v14, v14, v145
	s_waitcnt vmcnt(38) lgkmcnt(0)
	v_mul_f32_e32 v145, v141, v218
	v_fma_f32 v4, v127, v203, -v4
	v_fmac_f32_e32 v145, v142, v217
	v_add_f32_e32 v3, v3, v4
	v_mul_f32_e32 v4, v130, v206
	v_add_f32_e32 v14, v14, v145
	ds_read2_b64 v[145:148], v96 offset0:77 offset1:78
	v_fma_f32 v4, v129, v205, -v4
	v_add_f32_e32 v3, v3, v4
	v_mul_f32_e32 v4, v132, v208
	s_waitcnt vmcnt(36)
	v_mul_f32_e32 v149, v143, v220
	v_fma_f32 v4, v131, v207, -v4
	v_fmac_f32_e32 v149, v144, v219
	v_add_f32_e32 v3, v3, v4
	v_mul_f32_e32 v4, v134, v210
	v_add_f32_e32 v14, v14, v149
	ds_read2_b64 v[149:152], v96 offset0:79 offset1:80
	v_fma_f32 v4, v133, v209, -v4
	s_waitcnt vmcnt(34) lgkmcnt(1)
	v_mul_f32_e32 v153, v145, v222
	v_add_f32_e32 v3, v3, v4
	v_mul_f32_e32 v4, v136, v212
	v_fmac_f32_e32 v153, v146, v221
	v_fma_f32 v4, v135, v211, -v4
	v_add_f32_e32 v14, v14, v153
	s_waitcnt vmcnt(33)
	v_mul_f32_e32 v153, v147, v223
	v_add_f32_e32 v3, v3, v4
	v_mul_f32_e32 v4, v138, v214
	s_waitcnt vmcnt(30)
	v_fmac_f32_e32 v153, v148, v226
	v_fma_f32 v4, v137, v213, -v4
	v_add_f32_e32 v14, v14, v153
	s_waitcnt lgkmcnt(0)
	v_mul_f32_e32 v153, v149, v225
	v_add_f32_e32 v3, v3, v4
	v_mul_f32_e32 v4, v140, v216
	v_fmac_f32_e32 v153, v150, v224
	v_fma_f32 v4, v139, v215, -v4
	v_add_f32_e32 v14, v14, v153
	ds_read2_b64 v[153:156], v96 offset0:81 offset1:82
	v_add_f32_e32 v3, v3, v4
	v_mul_f32_e32 v4, v142, v218
	v_fma_f32 v4, v141, v217, -v4
	s_waitcnt vmcnt(28)
	v_mul_f32_e32 v157, v151, v228
	v_add_f32_e32 v3, v3, v4
	v_mul_f32_e32 v4, v144, v220
	v_fmac_f32_e32 v157, v152, v227
	v_fma_f32 v4, v143, v219, -v4
	v_add_f32_e32 v14, v14, v157
	ds_read2_b64 v[157:160], v96 offset0:83 offset1:84
	v_add_f32_e32 v3, v3, v4
	v_mul_f32_e32 v4, v146, v222
	s_waitcnt vmcnt(26) lgkmcnt(1)
	v_mul_f32_e32 v161, v153, v230
	v_fma_f32 v4, v145, v221, -v4
	v_fmac_f32_e32 v161, v154, v229
	v_add_f32_e32 v3, v3, v4
	v_mul_f32_e32 v4, v148, v223
	v_add_f32_e32 v14, v14, v161
	s_waitcnt vmcnt(25)
	v_mul_f32_e32 v161, v155, v231
	v_fma_f32 v4, v147, v226, -v4
	s_waitcnt vmcnt(22)
	v_fmac_f32_e32 v161, v156, v234
	v_add_f32_e32 v3, v3, v4
	v_mul_f32_e32 v4, v150, v225
	v_add_f32_e32 v14, v14, v161
	s_waitcnt lgkmcnt(0)
	v_mul_f32_e32 v161, v157, v233
	v_fma_f32 v4, v149, v224, -v4
	v_fmac_f32_e32 v161, v158, v232
	v_add_f32_e32 v3, v3, v4
	v_mul_f32_e32 v4, v152, v228
	v_add_f32_e32 v14, v14, v161
	ds_read2_b64 v[161:164], v96 offset0:85 offset1:86
	v_fma_f32 v4, v151, v227, -v4
	v_add_f32_e32 v3, v3, v4
	v_mul_f32_e32 v4, v154, v230
	s_waitcnt vmcnt(20)
	v_mul_f32_e32 v165, v159, v236
	v_fma_f32 v4, v153, v229, -v4
	v_fmac_f32_e32 v165, v160, v235
	v_add_f32_e32 v3, v3, v4
	v_mul_f32_e32 v4, v156, v231
	v_add_f32_e32 v14, v14, v165
	ds_read2_b64 v[165:168], v96 offset0:87 offset1:88
	v_fma_f32 v4, v155, v234, -v4
	s_waitcnt vmcnt(18) lgkmcnt(1)
	v_mul_f32_e32 v169, v161, v238
	v_add_f32_e32 v3, v3, v4
	v_mul_f32_e32 v4, v158, v233
	v_fmac_f32_e32 v169, v162, v237
	v_fma_f32 v4, v157, v232, -v4
	v_add_f32_e32 v14, v14, v169
	s_waitcnt vmcnt(17)
	v_mul_f32_e32 v169, v163, v239
	v_add_f32_e32 v3, v3, v4
	v_mul_f32_e32 v4, v160, v236
	s_waitcnt vmcnt(14)
	v_fmac_f32_e32 v169, v164, v242
	v_fma_f32 v4, v159, v235, -v4
	v_add_f32_e32 v14, v14, v169
	s_waitcnt lgkmcnt(0)
	v_mul_f32_e32 v169, v165, v241
	v_add_f32_e32 v3, v3, v4
	v_mul_f32_e32 v4, v162, v238
	v_fmac_f32_e32 v169, v166, v240
	v_fma_f32 v4, v161, v237, -v4
	v_add_f32_e32 v14, v14, v169
	ds_read2_b64 v[169:172], v96 offset0:89 offset1:90
	v_add_f32_e32 v3, v3, v4
	v_mul_f32_e32 v4, v164, v239
	v_fma_f32 v4, v163, v242, -v4
	v_add_f32_e32 v3, v3, v4
	v_mul_f32_e32 v4, v166, v241
	s_waitcnt vmcnt(12)
	v_mul_f32_e32 v173, v167, v244
	v_fma_f32 v4, v165, v240, -v4
	v_fmac_f32_e32 v173, v168, v243
	v_add_f32_e32 v3, v3, v4
	v_mul_f32_e32 v4, v168, v244
	v_add_f32_e32 v14, v14, v173
	ds_read2_b64 v[173:176], v96 offset0:91 offset1:92
	s_waitcnt vmcnt(10) lgkmcnt(1)
	v_mul_f32_e32 v177, v169, v246
	v_fma_f32 v4, v167, v243, -v4
	v_fmac_f32_e32 v177, v170, v245
	v_add_f32_e32 v3, v3, v4
	v_mul_f32_e32 v4, v170, v246
	v_add_f32_e32 v14, v14, v177
	s_waitcnt vmcnt(9)
	v_mul_f32_e32 v177, v171, v247
	v_fma_f32 v4, v169, v245, -v4
	s_waitcnt vmcnt(6)
	v_fmac_f32_e32 v177, v172, v250
	v_add_f32_e32 v3, v3, v4
	v_mul_f32_e32 v4, v172, v247
	v_add_f32_e32 v14, v14, v177
	ds_read2_b64 v[177:180], v96 offset0:93 offset1:94
	v_fma_f32 v4, v171, v250, -v4
	v_add_f32_e32 v3, v3, v4
	s_waitcnt lgkmcnt(1)
	v_mul_f32_e32 v4, v174, v249
	v_mul_f32_e32 v15, v173, v249
	v_fma_f32 v4, v173, v248, -v4
	v_fmac_f32_e32 v15, v174, v248
	v_add_f32_e32 v3, v3, v4
	s_waitcnt vmcnt(4)
	v_mul_f32_e32 v4, v176, v252
	v_add_f32_e32 v14, v14, v15
	v_mul_f32_e32 v15, v175, v252
	v_fma_f32 v4, v175, v251, -v4
	v_fmac_f32_e32 v15, v176, v251
	v_add_f32_e32 v3, v3, v4
	s_waitcnt vmcnt(3) lgkmcnt(0)
	v_mul_f32_e32 v4, v178, v253
	v_add_f32_e32 v14, v14, v15
	v_mul_f32_e32 v15, v177, v253
	s_waitcnt vmcnt(0)
	v_fma_f32 v4, v177, v13, -v4
	v_fmac_f32_e32 v15, v178, v13
	v_add_f32_e32 v3, v3, v4
	v_mul_f32_e32 v4, v180, v255
	v_add_f32_e32 v14, v14, v15
	v_mul_f32_e32 v15, v179, v255
	v_fma_f32 v4, v179, v254, -v4
	v_fmac_f32_e32 v15, v180, v254
	v_add_f32_e32 v3, v3, v4
	v_add_f32_e32 v14, v14, v15
	v_sub_f32_e32 v3, v201, v3
	v_sub_f32_e32 v4, v202, v14
	buffer_store_dword v3, off, s[0:3], 0 offset:32
	buffer_store_dword v4, off, s[0:3], 0 offset:36
	s_and_saveexec_b64 s[4:5], vcc
	s_cbranch_execz .LBB110_289
; %bb.288:
	buffer_load_dword v96, off, s[0:3], 0 offset:24
	buffer_load_dword v97, off, s[0:3], 0 offset:28
	v_mov_b32_e32 v3, 0
	buffer_store_dword v3, off, s[0:3], 0 offset:24
	buffer_store_dword v3, off, s[0:3], 0 offset:28
	s_waitcnt vmcnt(2)
	ds_write_b64 v95, v[96:97]
.LBB110_289:
	s_or_b64 exec, exec, s[4:5]
	s_waitcnt lgkmcnt(0)
	; wave barrier
	buffer_load_dword v105, off, s[0:3], 0 offset:36
	buffer_load_dword v104, off, s[0:3], 0 offset:44
	buffer_load_dword v103, off, s[0:3], 0 offset:52
	buffer_load_dword v102, off, s[0:3], 0 offset:60
	buffer_load_dword v101, off, s[0:3], 0 offset:68
	buffer_load_dword v100, off, s[0:3], 0 offset:76
	buffer_load_dword v99, off, s[0:3], 0 offset:84
	buffer_load_dword v106, off, s[0:3], 0 offset:92
	buffer_load_dword v107, off, s[0:3], 0 offset:100
	buffer_load_dword v108, off, s[0:3], 0 offset:108
	buffer_load_dword v109, off, s[0:3], 0 offset:116
	buffer_load_dword v110, off, s[0:3], 0 offset:124
	buffer_load_dword v3, off, s[0:3], 0 offset:48
	buffer_load_dword v4, off, s[0:3], 0 offset:40
	buffer_load_dword v5, off, s[0:3], 0 offset:32
	buffer_load_dword v6, off, s[0:3], 0 offset:80
	buffer_load_dword v7, off, s[0:3], 0 offset:72
	buffer_load_dword v8, off, s[0:3], 0 offset:64
	buffer_load_dword v9, off, s[0:3], 0 offset:56
	buffer_load_dword v10, off, s[0:3], 0 offset:112
	buffer_load_dword v11, off, s[0:3], 0 offset:104
	buffer_load_dword v12, off, s[0:3], 0 offset:96
	buffer_load_dword v13, off, s[0:3], 0 offset:88
	buffer_load_dword v14, off, s[0:3], 0 offset:144
	buffer_load_dword v15, off, s[0:3], 0 offset:148
	buffer_load_dword v16, off, s[0:3], 0 offset:136
	buffer_load_dword v197, off, s[0:3], 0 offset:128
	buffer_load_dword v198, off, s[0:3], 0 offset:120
	buffer_load_dword v199, off, s[0:3], 0 offset:132
	buffer_load_dword v200, off, s[0:3], 0 offset:140
	buffer_load_dword v97, off, s[0:3], 0 offset:24
	buffer_load_dword v98, off, s[0:3], 0 offset:28
	buffer_load_dword v201, off, s[0:3], 0 offset:152
	buffer_load_dword v202, off, s[0:3], 0 offset:156
	buffer_load_dword v203, off, s[0:3], 0 offset:160
	buffer_load_dword v204, off, s[0:3], 0 offset:164
	buffer_load_dword v205, off, s[0:3], 0 offset:168
	buffer_load_dword v206, off, s[0:3], 0 offset:172
	buffer_load_dword v207, off, s[0:3], 0 offset:176
	buffer_load_dword v208, off, s[0:3], 0 offset:180
	buffer_load_dword v209, off, s[0:3], 0 offset:184
	buffer_load_dword v210, off, s[0:3], 0 offset:188
	buffer_load_dword v211, off, s[0:3], 0 offset:192
	buffer_load_dword v212, off, s[0:3], 0 offset:196
	buffer_load_dword v213, off, s[0:3], 0 offset:200
	buffer_load_dword v214, off, s[0:3], 0 offset:204
	buffer_load_dword v215, off, s[0:3], 0 offset:208
	buffer_load_dword v216, off, s[0:3], 0 offset:212
	v_mov_b32_e32 v96, 0
	ds_read_b128 v[111:114], v96 offset:416
	ds_read_b128 v[115:118], v96 offset:432
	;; [unrolled: 1-line block ×6, first 2 shown]
	buffer_load_dword v217, off, s[0:3], 0 offset:216
	buffer_load_dword v218, off, s[0:3], 0 offset:220
	v_cmp_lt_u32_e32 vcc, 2, v0
	s_waitcnt vmcnt(49) lgkmcnt(5)
	v_mul_f32_e32 v135, v111, v105
	s_waitcnt vmcnt(48)
	v_mul_f32_e32 v136, v113, v104
	s_waitcnt vmcnt(47) lgkmcnt(4)
	v_mul_f32_e32 v137, v115, v103
	s_waitcnt vmcnt(46)
	v_mul_f32_e32 v138, v117, v102
	;; [unrolled: 4-line block ×6, first 2 shown]
	s_waitcnt vmcnt(37)
	v_fmac_f32_e32 v137, v116, v3
	s_waitcnt vmcnt(36)
	v_fmac_f32_e32 v136, v114, v4
	;; [unrolled: 2-line block ×3, first 2 shown]
	v_add_f32_e32 v135, 0, v135
	v_add_f32_e32 v135, v135, v136
	;; [unrolled: 1-line block ×3, first 2 shown]
	s_waitcnt vmcnt(31)
	v_fmac_f32_e32 v138, v118, v9
	v_fmac_f32_e32 v139, v120, v8
	v_add_f32_e32 v135, v135, v138
	v_fmac_f32_e32 v140, v122, v7
	v_add_f32_e32 v135, v135, v139
	;; [unrolled: 2-line block ×3, first 2 shown]
	s_waitcnt vmcnt(27)
	v_fmac_f32_e32 v142, v126, v13
	v_add_f32_e32 v135, v135, v141
	v_fmac_f32_e32 v143, v128, v12
	v_add_f32_e32 v135, v135, v142
	;; [unrolled: 2-line block ×4, first 2 shown]
	v_add_f32_e32 v139, v135, v145
	ds_read_b128 v[135:138], v96 offset:512
	buffer_load_dword v219, off, s[0:3], 0 offset:224
	buffer_load_dword v220, off, s[0:3], 0 offset:228
	;; [unrolled: 1-line block ×6, first 2 shown]
	s_waitcnt vmcnt(28)
	v_fmac_f32_e32 v146, v134, v198
	v_add_f32_e32 v143, v139, v146
	ds_read_b128 v[139:142], v96 offset:528
	buffer_load_dword v225, off, s[0:3], 0 offset:248
	buffer_load_dword v226, off, s[0:3], 0 offset:252
	;; [unrolled: 1-line block ×8, first 2 shown]
	s_waitcnt vmcnt(35) lgkmcnt(1)
	v_mul_f32_e32 v144, v135, v199
	buffer_load_dword v233, off, s[0:3], 0 offset:280
	buffer_load_dword v234, off, s[0:3], 0 offset:284
	v_fmac_f32_e32 v144, v136, v197
	v_add_f32_e32 v143, v143, v144
	s_waitcnt vmcnt(36)
	v_mul_f32_e32 v144, v137, v200
	v_fmac_f32_e32 v144, v138, v16
	v_add_f32_e32 v143, v143, v144
	s_waitcnt lgkmcnt(0)
	v_mul_f32_e32 v144, v139, v15
	v_fmac_f32_e32 v144, v140, v14
	v_add_f32_e32 v147, v143, v144
	ds_read_b128 v[143:146], v96 offset:544
	buffer_load_dword v235, off, s[0:3], 0 offset:288
	buffer_load_dword v236, off, s[0:3], 0 offset:292
	;; [unrolled: 1-line block ×6, first 2 shown]
	s_waitcnt vmcnt(38)
	v_mul_f32_e32 v148, v141, v202
	v_fmac_f32_e32 v148, v142, v201
	v_add_f32_e32 v151, v147, v148
	ds_read_b128 v[147:150], v96 offset:560
	buffer_load_dword v241, off, s[0:3], 0 offset:312
	buffer_load_dword v242, off, s[0:3], 0 offset:316
	;; [unrolled: 1-line block ×16, first 2 shown]
	s_waitcnt vmcnt(52) lgkmcnt(1)
	v_mul_f32_e32 v152, v143, v204
	v_fmac_f32_e32 v152, v144, v203
	v_add_f32_e32 v151, v151, v152
	s_waitcnt vmcnt(50)
	v_mul_f32_e32 v152, v145, v206
	v_fmac_f32_e32 v152, v146, v205
	v_add_f32_e32 v151, v151, v152
	s_waitcnt vmcnt(48) lgkmcnt(0)
	v_mul_f32_e32 v152, v147, v208
	v_fmac_f32_e32 v152, v148, v207
	v_add_f32_e32 v155, v151, v152
	ds_read_b128 v[151:154], v96 offset:576
	s_waitcnt vmcnt(46)
	v_mul_f32_e32 v18, v149, v210
	v_fmac_f32_e32 v18, v150, v209
	v_add_f32_e32 v18, v155, v18
	ds_read_b128 v[155:158], v96 offset:592
	s_waitcnt vmcnt(44) lgkmcnt(1)
	v_mul_f32_e32 v159, v151, v212
	v_fmac_f32_e32 v159, v152, v211
	v_add_f32_e32 v18, v18, v159
	s_waitcnt vmcnt(42)
	v_mul_f32_e32 v159, v153, v214
	v_fmac_f32_e32 v159, v154, v213
	v_add_f32_e32 v18, v18, v159
	s_waitcnt vmcnt(40) lgkmcnt(0)
	v_mul_f32_e32 v159, v155, v216
	v_fmac_f32_e32 v159, v156, v215
	v_add_f32_e32 v18, v18, v159
	ds_read_b128 v[159:162], v96 offset:608
	s_waitcnt vmcnt(38)
	v_mul_f32_e32 v163, v157, v218
	v_fmac_f32_e32 v163, v158, v217
	v_add_f32_e32 v18, v18, v163
	ds_read_b128 v[163:166], v96 offset:624
	s_waitcnt vmcnt(36) lgkmcnt(1)
	v_mul_f32_e32 v167, v159, v220
	v_fmac_f32_e32 v167, v160, v219
	v_add_f32_e32 v18, v18, v167
	s_waitcnt vmcnt(35)
	v_mul_f32_e32 v167, v161, v221
	s_waitcnt vmcnt(32)
	v_fmac_f32_e32 v167, v162, v224
	v_add_f32_e32 v18, v18, v167
	s_waitcnt lgkmcnt(0)
	v_mul_f32_e32 v167, v163, v223
	v_fmac_f32_e32 v167, v164, v222
	v_add_f32_e32 v18, v18, v167
	ds_read_b128 v[167:170], v96 offset:640
	s_waitcnt vmcnt(30)
	v_mul_f32_e32 v171, v165, v226
	v_fmac_f32_e32 v171, v166, v225
	v_add_f32_e32 v18, v18, v171
	ds_read_b128 v[171:174], v96 offset:656
	s_waitcnt vmcnt(28) lgkmcnt(1)
	v_mul_f32_e32 v175, v167, v228
	v_fmac_f32_e32 v175, v168, v227
	v_add_f32_e32 v18, v18, v175
	s_waitcnt vmcnt(27)
	v_mul_f32_e32 v175, v169, v229
	s_waitcnt vmcnt(24)
	v_fmac_f32_e32 v175, v170, v232
	v_add_f32_e32 v18, v18, v175
	s_waitcnt lgkmcnt(0)
	;; [unrolled: 19-line block ×4, first 2 shown]
	v_mul_f32_e32 v191, v187, v247
	v_fmac_f32_e32 v191, v188, v246
	v_add_f32_e32 v18, v18, v191
	ds_read_b128 v[191:194], v96 offset:736
	s_waitcnt vmcnt(6)
	v_mul_f32_e32 v195, v189, v250
	v_fmac_f32_e32 v195, v190, v249
	v_add_f32_e32 v18, v18, v195
	ds_read_b64 v[195:196], v96 offset:752
	s_waitcnt vmcnt(4) lgkmcnt(1)
	v_mul_f32_e32 v19, v191, v252
	v_fmac_f32_e32 v19, v192, v251
	v_add_f32_e32 v18, v18, v19
	s_waitcnt vmcnt(3)
	v_mul_f32_e32 v19, v193, v253
	s_waitcnt vmcnt(0)
	v_fmac_f32_e32 v19, v194, v17
	v_add_f32_e32 v18, v18, v19
	s_waitcnt lgkmcnt(0)
	v_mul_f32_e32 v19, v195, v255
	v_fmac_f32_e32 v19, v196, v254
	v_add_f32_e32 v18, v18, v19
	v_mul_f32_e32 v19, v112, v105
	v_fma_f32 v5, v111, v5, -v19
	v_mul_f32_e32 v19, v114, v104
	v_add_f32_e32 v5, 0, v5
	v_fma_f32 v4, v113, v4, -v19
	v_add_f32_e32 v4, v5, v4
	v_mul_f32_e32 v5, v116, v103
	v_fma_f32 v3, v115, v3, -v5
	v_add_f32_e32 v3, v4, v3
	v_mul_f32_e32 v4, v118, v102
	v_fma_f32 v4, v117, v9, -v4
	v_add_f32_e32 v3, v3, v4
	v_mul_f32_e32 v4, v120, v101
	v_fma_f32 v4, v119, v8, -v4
	v_add_f32_e32 v3, v3, v4
	v_mul_f32_e32 v4, v122, v100
	v_fma_f32 v4, v121, v7, -v4
	v_add_f32_e32 v3, v3, v4
	v_mul_f32_e32 v4, v124, v99
	v_fma_f32 v4, v123, v6, -v4
	v_add_f32_e32 v3, v3, v4
	v_mul_f32_e32 v4, v126, v106
	v_fma_f32 v4, v125, v13, -v4
	v_add_f32_e32 v3, v3, v4
	v_mul_f32_e32 v4, v128, v107
	v_fma_f32 v4, v127, v12, -v4
	v_add_f32_e32 v3, v3, v4
	v_mul_f32_e32 v4, v130, v108
	v_fma_f32 v4, v129, v11, -v4
	v_add_f32_e32 v3, v3, v4
	v_mul_f32_e32 v4, v132, v109
	v_fma_f32 v4, v131, v10, -v4
	v_add_f32_e32 v3, v3, v4
	v_mul_f32_e32 v4, v134, v110
	v_fma_f32 v4, v133, v198, -v4
	v_add_f32_e32 v3, v3, v4
	v_mul_f32_e32 v4, v136, v199
	v_fma_f32 v4, v135, v197, -v4
	v_add_f32_e32 v3, v3, v4
	v_mul_f32_e32 v4, v138, v200
	v_fma_f32 v4, v137, v16, -v4
	v_add_f32_e32 v3, v3, v4
	v_mul_f32_e32 v4, v140, v15
	v_fma_f32 v4, v139, v14, -v4
	v_add_f32_e32 v3, v3, v4
	v_mul_f32_e32 v4, v142, v202
	v_fma_f32 v4, v141, v201, -v4
	v_add_f32_e32 v3, v3, v4
	v_mul_f32_e32 v4, v144, v204
	v_fma_f32 v4, v143, v203, -v4
	v_add_f32_e32 v3, v3, v4
	v_mul_f32_e32 v4, v146, v206
	v_fma_f32 v4, v145, v205, -v4
	v_add_f32_e32 v3, v3, v4
	v_mul_f32_e32 v4, v148, v208
	v_fma_f32 v4, v147, v207, -v4
	v_add_f32_e32 v3, v3, v4
	v_mul_f32_e32 v4, v150, v210
	v_fma_f32 v4, v149, v209, -v4
	v_add_f32_e32 v3, v3, v4
	v_mul_f32_e32 v4, v152, v212
	v_fma_f32 v4, v151, v211, -v4
	v_add_f32_e32 v3, v3, v4
	v_mul_f32_e32 v4, v154, v214
	v_fma_f32 v4, v153, v213, -v4
	v_add_f32_e32 v3, v3, v4
	v_mul_f32_e32 v4, v156, v216
	v_fma_f32 v4, v155, v215, -v4
	v_add_f32_e32 v3, v3, v4
	v_mul_f32_e32 v4, v158, v218
	v_fma_f32 v4, v157, v217, -v4
	v_add_f32_e32 v3, v3, v4
	v_mul_f32_e32 v4, v160, v220
	v_fma_f32 v4, v159, v219, -v4
	v_add_f32_e32 v3, v3, v4
	v_mul_f32_e32 v4, v162, v221
	v_fma_f32 v4, v161, v224, -v4
	v_add_f32_e32 v3, v3, v4
	v_mul_f32_e32 v4, v164, v223
	v_fma_f32 v4, v163, v222, -v4
	v_add_f32_e32 v3, v3, v4
	v_mul_f32_e32 v4, v166, v226
	v_fma_f32 v4, v165, v225, -v4
	v_add_f32_e32 v3, v3, v4
	v_mul_f32_e32 v4, v168, v228
	v_fma_f32 v4, v167, v227, -v4
	v_add_f32_e32 v3, v3, v4
	v_mul_f32_e32 v4, v170, v229
	v_fma_f32 v4, v169, v232, -v4
	v_add_f32_e32 v3, v3, v4
	v_mul_f32_e32 v4, v172, v231
	v_fma_f32 v4, v171, v230, -v4
	v_add_f32_e32 v3, v3, v4
	v_mul_f32_e32 v4, v174, v234
	v_fma_f32 v4, v173, v233, -v4
	v_add_f32_e32 v3, v3, v4
	v_mul_f32_e32 v4, v176, v236
	v_fma_f32 v4, v175, v235, -v4
	v_add_f32_e32 v3, v3, v4
	v_mul_f32_e32 v4, v178, v237
	v_fma_f32 v4, v177, v240, -v4
	v_add_f32_e32 v3, v3, v4
	v_mul_f32_e32 v4, v180, v239
	v_fma_f32 v4, v179, v238, -v4
	v_add_f32_e32 v3, v3, v4
	v_mul_f32_e32 v4, v182, v242
	v_fma_f32 v4, v181, v241, -v4
	v_add_f32_e32 v3, v3, v4
	v_mul_f32_e32 v4, v184, v244
	v_fma_f32 v4, v183, v243, -v4
	v_add_f32_e32 v3, v3, v4
	v_mul_f32_e32 v4, v186, v245
	v_fma_f32 v4, v185, v248, -v4
	v_add_f32_e32 v3, v3, v4
	v_mul_f32_e32 v4, v188, v247
	v_fma_f32 v4, v187, v246, -v4
	v_add_f32_e32 v3, v3, v4
	v_mul_f32_e32 v4, v190, v250
	v_fma_f32 v4, v189, v249, -v4
	v_add_f32_e32 v3, v3, v4
	v_mul_f32_e32 v4, v192, v252
	v_fma_f32 v4, v191, v251, -v4
	v_add_f32_e32 v3, v3, v4
	v_mul_f32_e32 v4, v194, v253
	v_fma_f32 v4, v193, v17, -v4
	v_add_f32_e32 v3, v3, v4
	v_mul_f32_e32 v4, v196, v255
	v_fma_f32 v4, v195, v254, -v4
	v_add_f32_e32 v3, v3, v4
	v_sub_f32_e32 v3, v97, v3
	v_sub_f32_e32 v4, v98, v18
	buffer_store_dword v3, off, s[0:3], 0 offset:24
	buffer_store_dword v4, off, s[0:3], 0 offset:28
	s_and_saveexec_b64 s[4:5], vcc
	s_cbranch_execz .LBB110_291
; %bb.290:
	buffer_load_dword v97, off, s[0:3], 0 offset:16
	buffer_load_dword v98, off, s[0:3], 0 offset:20
	s_waitcnt vmcnt(0)
	ds_write_b64 v95, v[97:98]
	buffer_store_dword v96, off, s[0:3], 0 offset:16
	buffer_store_dword v96, off, s[0:3], 0 offset:20
.LBB110_291:
	s_or_b64 exec, exec, s[4:5]
	s_waitcnt lgkmcnt(0)
	; wave barrier
	buffer_load_dword v105, off, s[0:3], 0 offset:28
	buffer_load_dword v104, off, s[0:3], 0 offset:36
	;; [unrolled: 1-line block ×32, first 2 shown]
	ds_read2_b64 v[111:114], v96 offset0:51 offset1:52
	ds_read2_b64 v[115:118], v96 offset0:53 offset1:54
	;; [unrolled: 1-line block ×4, first 2 shown]
	buffer_load_dword v199, off, s[0:3], 0 offset:144
	buffer_load_dword v200, off, s[0:3], 0 offset:148
	ds_read2_b64 v[127:130], v96 offset0:59 offset1:60
	ds_read2_b64 v[131:134], v96 offset0:61 offset1:62
	;; [unrolled: 1-line block ×3, first 2 shown]
	buffer_load_dword v201, off, s[0:3], 0 offset:152
	buffer_load_dword v202, off, s[0:3], 0 offset:156
	;; [unrolled: 1-line block ×16, first 2 shown]
	v_cmp_lt_u32_e32 vcc, 1, v0
	s_waitcnt vmcnt(49) lgkmcnt(6)
	v_mul_f32_e32 v139, v111, v105
	s_waitcnt vmcnt(48)
	v_mul_f32_e32 v140, v113, v104
	s_waitcnt vmcnt(47) lgkmcnt(5)
	v_mul_f32_e32 v141, v115, v103
	s_waitcnt vmcnt(46)
	v_mul_f32_e32 v142, v117, v102
	;; [unrolled: 4-line block ×6, first 2 shown]
	s_waitcnt vmcnt(37)
	v_fmac_f32_e32 v141, v116, v3
	s_waitcnt vmcnt(36)
	v_fmac_f32_e32 v140, v114, v4
	;; [unrolled: 2-line block ×3, first 2 shown]
	v_add_f32_e32 v139, 0, v139
	v_add_f32_e32 v139, v139, v140
	;; [unrolled: 1-line block ×3, first 2 shown]
	s_waitcnt vmcnt(31)
	v_fmac_f32_e32 v142, v118, v9
	v_fmac_f32_e32 v143, v120, v8
	v_add_f32_e32 v139, v139, v142
	v_fmac_f32_e32 v144, v122, v7
	v_add_f32_e32 v139, v139, v143
	;; [unrolled: 2-line block ×3, first 2 shown]
	s_waitcnt vmcnt(27)
	v_fmac_f32_e32 v146, v126, v13
	v_add_f32_e32 v139, v139, v145
	v_fmac_f32_e32 v147, v128, v12
	v_add_f32_e32 v139, v139, v146
	;; [unrolled: 2-line block ×4, first 2 shown]
	s_waitcnt vmcnt(23)
	v_fmac_f32_e32 v150, v134, v17
	v_add_f32_e32 v139, v139, v149
	v_add_f32_e32 v143, v139, v150
	ds_read2_b64 v[139:142], v96 offset0:65 offset1:66
	buffer_load_dword v217, off, s[0:3], 0 offset:216
	buffer_load_dword v218, off, s[0:3], 0 offset:220
	;; [unrolled: 1-line block ×14, first 2 shown]
	s_waitcnt vmcnt(36) lgkmcnt(1)
	v_mul_f32_e32 v144, v135, v18
	buffer_load_dword v231, off, s[0:3], 0 offset:272
	buffer_load_dword v232, off, s[0:3], 0 offset:276
	v_fmac_f32_e32 v144, v136, v16
	v_add_f32_e32 v143, v143, v144
	s_waitcnt vmcnt(37)
	v_mul_f32_e32 v144, v137, v19
	v_fmac_f32_e32 v144, v138, v15
	v_add_f32_e32 v143, v143, v144
	s_waitcnt vmcnt(36) lgkmcnt(0)
	v_mul_f32_e32 v144, v139, v20
	v_fmac_f32_e32 v144, v140, v14
	v_add_f32_e32 v147, v143, v144
	ds_read2_b64 v[143:146], v96 offset0:67 offset1:68
	buffer_load_dword v233, off, s[0:3], 0 offset:280
	buffer_load_dword v234, off, s[0:3], 0 offset:284
	;; [unrolled: 1-line block ×6, first 2 shown]
	s_waitcnt vmcnt(38)
	v_mul_f32_e32 v148, v141, v200
	v_fmac_f32_e32 v148, v142, v199
	v_add_f32_e32 v151, v147, v148
	ds_read2_b64 v[147:150], v96 offset0:69 offset1:70
	buffer_load_dword v239, off, s[0:3], 0 offset:304
	buffer_load_dword v240, off, s[0:3], 0 offset:308
	;; [unrolled: 1-line block ×10, first 2 shown]
	s_waitcnt vmcnt(46) lgkmcnt(1)
	v_mul_f32_e32 v152, v143, v202
	v_fmac_f32_e32 v152, v144, v201
	v_add_f32_e32 v151, v151, v152
	s_waitcnt vmcnt(44)
	v_mul_f32_e32 v152, v145, v204
	v_fmac_f32_e32 v152, v146, v203
	v_add_f32_e32 v151, v151, v152
	s_waitcnt vmcnt(42) lgkmcnt(0)
	v_mul_f32_e32 v152, v147, v206
	buffer_load_dword v249, off, s[0:3], 0 offset:344
	buffer_load_dword v250, off, s[0:3], 0 offset:348
	;; [unrolled: 1-line block ×6, first 2 shown]
	v_fmac_f32_e32 v152, v148, v205
	s_waitcnt vmcnt(46)
	v_mul_f32_e32 v156, v149, v208
	v_add_f32_e32 v155, v151, v152
	v_fmac_f32_e32 v156, v150, v207
	ds_read2_b64 v[151:154], v96 offset0:71 offset1:72
	v_add_f32_e32 v159, v155, v156
	ds_read2_b64 v[155:158], v96 offset0:73 offset1:74
	buffer_load_dword v255, off, s[0:3], 0 offset:368
	buffer_load_dword v21, off, s[0:3], 0 offset:372
	s_waitcnt vmcnt(46) lgkmcnt(1)
	v_mul_f32_e32 v22, v151, v210
	v_fmac_f32_e32 v22, v152, v209
	v_add_f32_e32 v22, v159, v22
	s_waitcnt vmcnt(44)
	v_mul_f32_e32 v159, v153, v212
	v_fmac_f32_e32 v159, v154, v211
	v_add_f32_e32 v22, v22, v159
	s_waitcnt vmcnt(42) lgkmcnt(0)
	v_mul_f32_e32 v159, v155, v214
	v_fmac_f32_e32 v159, v156, v213
	v_add_f32_e32 v22, v22, v159
	ds_read2_b64 v[159:162], v96 offset0:75 offset1:76
	s_waitcnt vmcnt(40)
	v_mul_f32_e32 v163, v157, v216
	v_fmac_f32_e32 v163, v158, v215
	v_add_f32_e32 v22, v22, v163
	ds_read2_b64 v[163:166], v96 offset0:77 offset1:78
	s_waitcnt vmcnt(38) lgkmcnt(1)
	v_mul_f32_e32 v167, v159, v218
	v_fmac_f32_e32 v167, v160, v217
	v_add_f32_e32 v22, v22, v167
	s_waitcnt vmcnt(37)
	v_mul_f32_e32 v167, v161, v219
	s_waitcnt vmcnt(34)
	v_fmac_f32_e32 v167, v162, v222
	v_add_f32_e32 v22, v22, v167
	s_waitcnt lgkmcnt(0)
	v_mul_f32_e32 v167, v163, v221
	v_fmac_f32_e32 v167, v164, v220
	v_add_f32_e32 v22, v22, v167
	ds_read2_b64 v[167:170], v96 offset0:79 offset1:80
	s_waitcnt vmcnt(32)
	v_mul_f32_e32 v171, v165, v224
	v_fmac_f32_e32 v171, v166, v223
	v_add_f32_e32 v22, v22, v171
	ds_read2_b64 v[171:174], v96 offset0:81 offset1:82
	s_waitcnt vmcnt(30) lgkmcnt(1)
	v_mul_f32_e32 v175, v167, v226
	v_fmac_f32_e32 v175, v168, v225
	v_add_f32_e32 v22, v22, v175
	s_waitcnt vmcnt(29)
	v_mul_f32_e32 v175, v169, v227
	s_waitcnt vmcnt(26)
	v_fmac_f32_e32 v175, v170, v230
	v_add_f32_e32 v22, v22, v175
	s_waitcnt lgkmcnt(0)
	;; [unrolled: 19-line block ×5, first 2 shown]
	v_mul_f32_e32 v96, v195, v253
	v_fmac_f32_e32 v96, v196, v252
	v_add_f32_e32 v22, v22, v96
	s_waitcnt vmcnt(0)
	v_mul_f32_e32 v96, v197, v21
	v_fmac_f32_e32 v96, v198, v255
	v_add_f32_e32 v22, v22, v96
	v_mul_f32_e32 v96, v112, v105
	v_fma_f32 v5, v111, v5, -v96
	v_mul_f32_e32 v96, v114, v104
	v_add_f32_e32 v5, 0, v5
	v_fma_f32 v4, v113, v4, -v96
	v_add_f32_e32 v4, v5, v4
	v_mul_f32_e32 v5, v116, v103
	v_fma_f32 v3, v115, v3, -v5
	v_add_f32_e32 v3, v4, v3
	v_mul_f32_e32 v4, v118, v102
	v_fma_f32 v4, v117, v9, -v4
	v_add_f32_e32 v3, v3, v4
	v_mul_f32_e32 v4, v120, v101
	v_fma_f32 v4, v119, v8, -v4
	v_add_f32_e32 v3, v3, v4
	v_mul_f32_e32 v4, v122, v100
	v_fma_f32 v4, v121, v7, -v4
	v_add_f32_e32 v3, v3, v4
	v_mul_f32_e32 v4, v124, v99
	v_fma_f32 v4, v123, v6, -v4
	v_add_f32_e32 v3, v3, v4
	v_mul_f32_e32 v4, v126, v106
	v_fma_f32 v4, v125, v13, -v4
	v_add_f32_e32 v3, v3, v4
	v_mul_f32_e32 v4, v128, v107
	v_fma_f32 v4, v127, v12, -v4
	v_add_f32_e32 v3, v3, v4
	v_mul_f32_e32 v4, v130, v108
	v_fma_f32 v4, v129, v11, -v4
	v_add_f32_e32 v3, v3, v4
	v_mul_f32_e32 v4, v132, v109
	v_fma_f32 v4, v131, v10, -v4
	v_add_f32_e32 v3, v3, v4
	v_mul_f32_e32 v4, v134, v110
	v_fma_f32 v4, v133, v17, -v4
	v_add_f32_e32 v3, v3, v4
	v_mul_f32_e32 v4, v136, v18
	v_fma_f32 v4, v135, v16, -v4
	v_add_f32_e32 v3, v3, v4
	v_mul_f32_e32 v4, v138, v19
	v_fma_f32 v4, v137, v15, -v4
	v_add_f32_e32 v3, v3, v4
	v_mul_f32_e32 v4, v140, v20
	v_fma_f32 v4, v139, v14, -v4
	v_add_f32_e32 v3, v3, v4
	v_mul_f32_e32 v4, v142, v200
	v_fma_f32 v4, v141, v199, -v4
	v_add_f32_e32 v3, v3, v4
	v_mul_f32_e32 v4, v144, v202
	v_fma_f32 v4, v143, v201, -v4
	v_add_f32_e32 v3, v3, v4
	v_mul_f32_e32 v4, v146, v204
	v_fma_f32 v4, v145, v203, -v4
	v_add_f32_e32 v3, v3, v4
	v_mul_f32_e32 v4, v148, v206
	v_fma_f32 v4, v147, v205, -v4
	v_add_f32_e32 v3, v3, v4
	v_mul_f32_e32 v4, v150, v208
	v_fma_f32 v4, v149, v207, -v4
	v_add_f32_e32 v3, v3, v4
	v_mul_f32_e32 v4, v152, v210
	v_fma_f32 v4, v151, v209, -v4
	v_add_f32_e32 v3, v3, v4
	v_mul_f32_e32 v4, v154, v212
	v_fma_f32 v4, v153, v211, -v4
	v_add_f32_e32 v3, v3, v4
	v_mul_f32_e32 v4, v156, v214
	v_fma_f32 v4, v155, v213, -v4
	v_add_f32_e32 v3, v3, v4
	v_mul_f32_e32 v4, v158, v216
	v_fma_f32 v4, v157, v215, -v4
	v_add_f32_e32 v3, v3, v4
	v_mul_f32_e32 v4, v160, v218
	v_fma_f32 v4, v159, v217, -v4
	v_add_f32_e32 v3, v3, v4
	v_mul_f32_e32 v4, v162, v219
	v_fma_f32 v4, v161, v222, -v4
	v_add_f32_e32 v3, v3, v4
	v_mul_f32_e32 v4, v164, v221
	v_fma_f32 v4, v163, v220, -v4
	v_add_f32_e32 v3, v3, v4
	v_mul_f32_e32 v4, v166, v224
	v_fma_f32 v4, v165, v223, -v4
	v_add_f32_e32 v3, v3, v4
	v_mul_f32_e32 v4, v168, v226
	v_fma_f32 v4, v167, v225, -v4
	v_add_f32_e32 v3, v3, v4
	v_mul_f32_e32 v4, v170, v227
	v_fma_f32 v4, v169, v230, -v4
	v_add_f32_e32 v3, v3, v4
	v_mul_f32_e32 v4, v172, v229
	v_fma_f32 v4, v171, v228, -v4
	v_add_f32_e32 v3, v3, v4
	v_mul_f32_e32 v4, v174, v232
	v_fma_f32 v4, v173, v231, -v4
	v_add_f32_e32 v3, v3, v4
	v_mul_f32_e32 v4, v176, v234
	v_fma_f32 v4, v175, v233, -v4
	v_add_f32_e32 v3, v3, v4
	v_mul_f32_e32 v4, v178, v235
	v_fma_f32 v4, v177, v238, -v4
	v_add_f32_e32 v3, v3, v4
	v_mul_f32_e32 v4, v180, v237
	v_fma_f32 v4, v179, v236, -v4
	v_add_f32_e32 v3, v3, v4
	v_mul_f32_e32 v4, v182, v240
	v_fma_f32 v4, v181, v239, -v4
	v_add_f32_e32 v3, v3, v4
	v_mul_f32_e32 v4, v184, v242
	v_fma_f32 v4, v183, v241, -v4
	v_add_f32_e32 v3, v3, v4
	v_mul_f32_e32 v4, v186, v243
	v_fma_f32 v4, v185, v246, -v4
	v_add_f32_e32 v3, v3, v4
	v_mul_f32_e32 v4, v188, v245
	v_fma_f32 v4, v187, v244, -v4
	v_add_f32_e32 v3, v3, v4
	v_mul_f32_e32 v4, v190, v248
	v_fma_f32 v4, v189, v247, -v4
	v_add_f32_e32 v3, v3, v4
	v_mul_f32_e32 v4, v192, v250
	v_fma_f32 v4, v191, v249, -v4
	v_add_f32_e32 v3, v3, v4
	v_mul_f32_e32 v4, v194, v251
	v_fma_f32 v4, v193, v254, -v4
	v_add_f32_e32 v3, v3, v4
	v_mul_f32_e32 v4, v196, v253
	v_fma_f32 v4, v195, v252, -v4
	v_add_f32_e32 v3, v3, v4
	v_mul_f32_e32 v4, v198, v21
	v_fma_f32 v4, v197, v255, -v4
	v_add_f32_e32 v3, v3, v4
	v_sub_f32_e32 v3, v97, v3
	v_sub_f32_e32 v4, v98, v22
	buffer_store_dword v3, off, s[0:3], 0 offset:16
	buffer_store_dword v4, off, s[0:3], 0 offset:20
	s_and_saveexec_b64 s[4:5], vcc
	s_cbranch_execz .LBB110_293
; %bb.292:
	buffer_load_dword v96, off, s[0:3], 0 offset:8
	buffer_load_dword v97, off, s[0:3], 0 offset:12
	v_mov_b32_e32 v3, 0
	buffer_store_dword v3, off, s[0:3], 0 offset:8
	buffer_store_dword v3, off, s[0:3], 0 offset:12
	s_waitcnt vmcnt(2)
	ds_write_b64 v95, v[96:97]
.LBB110_293:
	s_or_b64 exec, exec, s[4:5]
	s_waitcnt lgkmcnt(0)
	; wave barrier
	buffer_load_dword v3, off, s[0:3], 0 offset:20
	buffer_load_dword v4, off, s[0:3], 0 offset:28
	;; [unrolled: 1-line block ×48, first 2 shown]
	v_mov_b32_e32 v96, 0
	ds_read_b128 v[99:102], v96 offset:400
	ds_read_b128 v[103:106], v96 offset:416
	;; [unrolled: 1-line block ×7, first 2 shown]
	v_cmp_ne_u32_e32 vcc, 0, v0
	s_waitcnt vmcnt(47) lgkmcnt(6)
	v_mul_f32_e32 v127, v99, v3
	s_waitcnt vmcnt(46)
	v_mul_f32_e32 v128, v101, v4
	s_waitcnt vmcnt(45) lgkmcnt(5)
	v_mul_f32_e32 v129, v103, v5
	s_waitcnt vmcnt(44)
	v_mul_f32_e32 v130, v105, v6
	;; [unrolled: 4-line block ×6, first 2 shown]
	s_waitcnt vmcnt(35)
	v_fmac_f32_e32 v129, v104, v15
	s_waitcnt vmcnt(34)
	v_fmac_f32_e32 v128, v102, v16
	;; [unrolled: 2-line block ×3, first 2 shown]
	v_add_f32_e32 v127, 0, v127
	v_add_f32_e32 v127, v127, v128
	;; [unrolled: 1-line block ×3, first 2 shown]
	s_waitcnt vmcnt(29)
	v_fmac_f32_e32 v130, v106, v21
	v_fmac_f32_e32 v131, v108, v20
	v_add_f32_e32 v127, v127, v130
	v_fmac_f32_e32 v132, v110, v19
	v_add_f32_e32 v127, v127, v131
	;; [unrolled: 2-line block ×3, first 2 shown]
	s_waitcnt vmcnt(25)
	v_fmac_f32_e32 v134, v114, v191
	v_add_f32_e32 v127, v127, v133
	v_fmac_f32_e32 v135, v116, v190
	v_add_f32_e32 v127, v127, v134
	;; [unrolled: 2-line block ×4, first 2 shown]
	s_waitcnt vmcnt(21)
	v_fmac_f32_e32 v138, v122, v195
	v_add_f32_e32 v127, v127, v137
	v_add_f32_e32 v131, v127, v138
	ds_read_b128 v[127:130], v96 offset:512
	buffer_load_dword v215, off, s[0:3], 0 offset:200
	buffer_load_dword v216, off, s[0:3], 0 offset:204
	;; [unrolled: 1-line block ×10, first 2 shown]
	s_waitcnt vmcnt(30) lgkmcnt(1)
	v_mul_f32_e32 v132, v123, v196
	v_fmac_f32_e32 v132, v124, v194
	buffer_load_dword v225, off, s[0:3], 0 offset:240
	buffer_load_dword v226, off, s[0:3], 0 offset:244
	;; [unrolled: 1-line block ×6, first 2 shown]
	v_add_f32_e32 v131, v131, v132
	s_waitcnt vmcnt(35)
	v_mul_f32_e32 v132, v125, v197
	v_fmac_f32_e32 v132, v126, v193
	v_add_f32_e32 v131, v131, v132
	s_waitcnt vmcnt(34) lgkmcnt(0)
	v_mul_f32_e32 v132, v127, v198
	v_fmac_f32_e32 v132, v128, v192
	v_add_f32_e32 v135, v131, v132
	ds_read_b128 v[131:134], v96 offset:528
	buffer_load_dword v231, off, s[0:3], 0 offset:264
	buffer_load_dword v232, off, s[0:3], 0 offset:268
	s_waitcnt vmcnt(32)
	v_mul_f32_e32 v136, v129, v200
	v_fmac_f32_e32 v136, v130, v199
	v_add_f32_e32 v139, v135, v136
	ds_read_b128 v[135:138], v96 offset:544
	buffer_load_dword v233, off, s[0:3], 0 offset:272
	buffer_load_dword v234, off, s[0:3], 0 offset:276
	;; [unrolled: 1-line block ×14, first 2 shown]
	s_waitcnt vmcnt(44) lgkmcnt(1)
	v_mul_f32_e32 v140, v131, v202
	v_fmac_f32_e32 v140, v132, v201
	buffer_load_dword v247, off, s[0:3], 0 offset:328
	buffer_load_dword v248, off, s[0:3], 0 offset:332
	v_add_f32_e32 v139, v139, v140
	s_waitcnt vmcnt(44)
	v_mul_f32_e32 v140, v133, v204
	v_fmac_f32_e32 v140, v134, v203
	v_add_f32_e32 v139, v139, v140
	s_waitcnt vmcnt(42) lgkmcnt(0)
	v_mul_f32_e32 v140, v135, v206
	v_fmac_f32_e32 v140, v136, v205
	v_mul_f32_e32 v3, v100, v3
	v_add_f32_e32 v143, v139, v140
	ds_read_b128 v[139:142], v96 offset:560
	buffer_load_dword v249, off, s[0:3], 0 offset:336
	buffer_load_dword v250, off, s[0:3], 0 offset:340
	buffer_load_dword v251, off, s[0:3], 0 offset:348
	buffer_load_dword v252, off, s[0:3], 0 offset:352
	buffer_load_dword v253, off, s[0:3], 0 offset:356
	buffer_load_dword v254, off, s[0:3], 0 offset:344
	v_fma_f32 v3, v99, v17, -v3
	v_mul_f32_e32 v4, v102, v4
	v_add_f32_e32 v3, 0, v3
	v_fma_f32 v4, v101, v16, -v4
	v_add_f32_e32 v3, v3, v4
	v_mul_f32_e32 v4, v104, v5
	s_waitcnt vmcnt(46)
	v_mul_f32_e32 v144, v137, v208
	v_fma_f32 v4, v103, v15, -v4
	v_fmac_f32_e32 v144, v138, v207
	v_add_f32_e32 v3, v3, v4
	v_mul_f32_e32 v4, v106, v6
	v_add_f32_e32 v147, v143, v144
	ds_read_b128 v[143:146], v96 offset:576
	buffer_load_dword v255, off, s[0:3], 0 offset:364
	buffer_load_dword v23, off, s[0:3], 0 offset:368
	;; [unrolled: 1-line block ×4, first 2 shown]
	v_fma_f32 v4, v105, v21, -v4
	v_add_f32_e32 v3, v3, v4
	v_mul_f32_e32 v4, v108, v7
	v_fma_f32 v4, v107, v20, -v4
	v_add_f32_e32 v3, v3, v4
	v_mul_f32_e32 v4, v110, v8
	;; [unrolled: 3-line block ×8, first 2 shown]
	v_fma_f32 v4, v121, v195, -v4
	s_waitcnt vmcnt(48) lgkmcnt(1)
	v_mul_f32_e32 v148, v139, v210
	v_add_f32_e32 v3, v3, v4
	v_mul_f32_e32 v4, v124, v196
	v_fmac_f32_e32 v148, v140, v209
	v_fma_f32 v4, v123, v194, -v4
	v_add_f32_e32 v26, v147, v148
	s_waitcnt vmcnt(46)
	v_mul_f32_e32 v147, v141, v212
	v_add_f32_e32 v3, v3, v4
	v_mul_f32_e32 v4, v126, v197
	v_fmac_f32_e32 v147, v142, v211
	v_fma_f32 v4, v125, v193, -v4
	v_add_f32_e32 v26, v26, v147
	s_waitcnt vmcnt(44) lgkmcnt(0)
	v_mul_f32_e32 v147, v143, v214
	v_add_f32_e32 v3, v3, v4
	v_mul_f32_e32 v4, v128, v198
	v_fmac_f32_e32 v147, v144, v213
	v_fma_f32 v4, v127, v192, -v4
	v_add_f32_e32 v26, v26, v147
	ds_read_b128 v[147:150], v96 offset:592
	v_add_f32_e32 v3, v3, v4
	v_mul_f32_e32 v4, v130, v200
	v_fma_f32 v4, v129, v199, -v4
	s_waitcnt vmcnt(42)
	v_mul_f32_e32 v151, v145, v216
	v_add_f32_e32 v3, v3, v4
	v_mul_f32_e32 v4, v132, v202
	v_fmac_f32_e32 v151, v146, v215
	v_fma_f32 v4, v131, v201, -v4
	v_add_f32_e32 v26, v26, v151
	ds_read_b128 v[151:154], v96 offset:608
	v_add_f32_e32 v3, v3, v4
	v_mul_f32_e32 v4, v134, v204
	s_waitcnt vmcnt(40) lgkmcnt(1)
	v_mul_f32_e32 v155, v147, v218
	v_fma_f32 v4, v133, v203, -v4
	v_fmac_f32_e32 v155, v148, v217
	v_add_f32_e32 v3, v3, v4
	v_mul_f32_e32 v4, v136, v206
	v_add_f32_e32 v26, v26, v155
	s_waitcnt vmcnt(39)
	v_mul_f32_e32 v155, v149, v219
	v_fma_f32 v4, v135, v205, -v4
	s_waitcnt vmcnt(36)
	v_fmac_f32_e32 v155, v150, v222
	v_add_f32_e32 v3, v3, v4
	v_mul_f32_e32 v4, v138, v208
	v_add_f32_e32 v26, v26, v155
	s_waitcnt lgkmcnt(0)
	v_mul_f32_e32 v155, v151, v221
	v_fma_f32 v4, v137, v207, -v4
	v_fmac_f32_e32 v155, v152, v220
	v_add_f32_e32 v3, v3, v4
	v_mul_f32_e32 v4, v140, v210
	v_add_f32_e32 v26, v26, v155
	ds_read_b128 v[155:158], v96 offset:624
	v_fma_f32 v4, v139, v209, -v4
	v_add_f32_e32 v3, v3, v4
	v_mul_f32_e32 v4, v142, v212
	s_waitcnt vmcnt(34)
	v_mul_f32_e32 v159, v153, v224
	v_fma_f32 v4, v141, v211, -v4
	v_fmac_f32_e32 v159, v154, v223
	v_add_f32_e32 v3, v3, v4
	v_mul_f32_e32 v4, v144, v214
	v_add_f32_e32 v26, v26, v159
	ds_read_b128 v[159:162], v96 offset:640
	v_fma_f32 v4, v143, v213, -v4
	s_waitcnt vmcnt(32) lgkmcnt(1)
	v_mul_f32_e32 v163, v155, v226
	v_add_f32_e32 v3, v3, v4
	v_mul_f32_e32 v4, v146, v216
	v_fmac_f32_e32 v163, v156, v225
	v_fma_f32 v4, v145, v215, -v4
	v_add_f32_e32 v26, v26, v163
	s_waitcnt vmcnt(31)
	v_mul_f32_e32 v163, v157, v227
	v_add_f32_e32 v3, v3, v4
	v_mul_f32_e32 v4, v148, v218
	s_waitcnt vmcnt(28)
	v_fmac_f32_e32 v163, v158, v230
	v_fma_f32 v4, v147, v217, -v4
	v_add_f32_e32 v26, v26, v163
	s_waitcnt lgkmcnt(0)
	v_mul_f32_e32 v163, v159, v229
	v_add_f32_e32 v3, v3, v4
	v_mul_f32_e32 v4, v150, v219
	v_fmac_f32_e32 v163, v160, v228
	v_fma_f32 v4, v149, v222, -v4
	v_add_f32_e32 v26, v26, v163
	ds_read_b128 v[163:166], v96 offset:656
	v_add_f32_e32 v3, v3, v4
	v_mul_f32_e32 v4, v152, v221
	v_fma_f32 v4, v151, v220, -v4
	s_waitcnt vmcnt(26)
	v_mul_f32_e32 v167, v161, v232
	v_add_f32_e32 v3, v3, v4
	v_mul_f32_e32 v4, v154, v224
	v_fmac_f32_e32 v167, v162, v231
	v_fma_f32 v4, v153, v223, -v4
	v_add_f32_e32 v26, v26, v167
	ds_read_b128 v[167:170], v96 offset:672
	v_add_f32_e32 v3, v3, v4
	v_mul_f32_e32 v4, v156, v226
	s_waitcnt vmcnt(24) lgkmcnt(1)
	v_mul_f32_e32 v171, v163, v234
	v_fma_f32 v4, v155, v225, -v4
	v_fmac_f32_e32 v171, v164, v233
	v_add_f32_e32 v3, v3, v4
	v_mul_f32_e32 v4, v158, v227
	v_add_f32_e32 v26, v26, v171
	s_waitcnt vmcnt(23)
	v_mul_f32_e32 v171, v165, v235
	v_fma_f32 v4, v157, v230, -v4
	s_waitcnt vmcnt(20)
	v_fmac_f32_e32 v171, v166, v238
	v_add_f32_e32 v3, v3, v4
	v_mul_f32_e32 v4, v160, v229
	v_add_f32_e32 v26, v26, v171
	s_waitcnt lgkmcnt(0)
	v_mul_f32_e32 v171, v167, v237
	v_fma_f32 v4, v159, v228, -v4
	v_fmac_f32_e32 v171, v168, v236
	v_add_f32_e32 v3, v3, v4
	v_mul_f32_e32 v4, v162, v232
	v_add_f32_e32 v26, v26, v171
	ds_read_b128 v[171:174], v96 offset:688
	v_fma_f32 v4, v161, v231, -v4
	v_add_f32_e32 v3, v3, v4
	v_mul_f32_e32 v4, v164, v234
	s_waitcnt vmcnt(18)
	v_mul_f32_e32 v175, v169, v240
	v_fma_f32 v4, v163, v233, -v4
	v_fmac_f32_e32 v175, v170, v239
	v_add_f32_e32 v3, v3, v4
	v_mul_f32_e32 v4, v166, v235
	v_add_f32_e32 v26, v26, v175
	ds_read_b128 v[175:178], v96 offset:704
	v_fma_f32 v4, v165, v238, -v4
	s_waitcnt vmcnt(16) lgkmcnt(1)
	v_mul_f32_e32 v179, v171, v242
	v_add_f32_e32 v3, v3, v4
	v_mul_f32_e32 v4, v168, v237
	v_fmac_f32_e32 v179, v172, v241
	v_fma_f32 v4, v167, v236, -v4
	v_add_f32_e32 v26, v26, v179
	s_waitcnt vmcnt(15)
	v_mul_f32_e32 v179, v173, v243
	v_add_f32_e32 v3, v3, v4
	v_mul_f32_e32 v4, v170, v240
	s_waitcnt vmcnt(12)
	v_fmac_f32_e32 v179, v174, v246
	v_fma_f32 v4, v169, v239, -v4
	v_add_f32_e32 v26, v26, v179
	s_waitcnt lgkmcnt(0)
	v_mul_f32_e32 v179, v175, v245
	v_add_f32_e32 v3, v3, v4
	v_mul_f32_e32 v4, v172, v242
	v_fmac_f32_e32 v179, v176, v244
	v_fma_f32 v4, v171, v241, -v4
	v_add_f32_e32 v26, v26, v179
	ds_read_b128 v[179:182], v96 offset:720
	v_add_f32_e32 v3, v3, v4
	v_mul_f32_e32 v4, v174, v243
	v_fma_f32 v4, v173, v246, -v4
	v_add_f32_e32 v3, v3, v4
	v_mul_f32_e32 v4, v176, v245
	s_waitcnt vmcnt(10)
	v_mul_f32_e32 v183, v177, v248
	v_fma_f32 v4, v175, v244, -v4
	v_fmac_f32_e32 v183, v178, v247
	v_add_f32_e32 v3, v3, v4
	v_mul_f32_e32 v4, v178, v248
	v_add_f32_e32 v26, v26, v183
	ds_read_b128 v[183:186], v96 offset:736
	s_waitcnt vmcnt(8) lgkmcnt(1)
	v_mul_f32_e32 v187, v179, v250
	v_fma_f32 v4, v177, v247, -v4
	v_fmac_f32_e32 v187, v180, v249
	v_add_f32_e32 v3, v3, v4
	v_mul_f32_e32 v4, v180, v250
	v_add_f32_e32 v26, v26, v187
	s_waitcnt vmcnt(7)
	v_mul_f32_e32 v187, v181, v251
	v_fma_f32 v4, v179, v249, -v4
	s_waitcnt vmcnt(4)
	v_fmac_f32_e32 v187, v182, v254
	v_add_f32_e32 v3, v3, v4
	v_mul_f32_e32 v4, v182, v251
	v_add_f32_e32 v26, v26, v187
	ds_read_b64 v[187:188], v96 offset:752
	v_fma_f32 v4, v181, v254, -v4
	v_add_f32_e32 v3, v3, v4
	s_waitcnt lgkmcnt(1)
	v_mul_f32_e32 v4, v184, v253
	v_mul_f32_e32 v27, v183, v253
	v_fma_f32 v4, v183, v252, -v4
	v_fmac_f32_e32 v27, v184, v252
	v_add_f32_e32 v3, v3, v4
	s_waitcnt vmcnt(3)
	v_mul_f32_e32 v4, v186, v255
	v_add_f32_e32 v26, v26, v27
	v_mul_f32_e32 v27, v185, v255
	s_waitcnt vmcnt(0)
	v_fma_f32 v4, v185, v25, -v4
	v_fmac_f32_e32 v27, v186, v25
	v_add_f32_e32 v3, v3, v4
	s_waitcnt lgkmcnt(0)
	v_mul_f32_e32 v4, v188, v24
	v_add_f32_e32 v26, v26, v27
	v_mul_f32_e32 v27, v187, v24
	v_fma_f32 v4, v187, v23, -v4
	v_fmac_f32_e32 v27, v188, v23
	v_add_f32_e32 v3, v3, v4
	v_add_f32_e32 v26, v26, v27
	v_sub_f32_e32 v3, v97, v3
	v_sub_f32_e32 v4, v98, v26
	buffer_store_dword v3, off, s[0:3], 0 offset:8
	buffer_store_dword v4, off, s[0:3], 0 offset:12
	s_and_saveexec_b64 s[4:5], vcc
	s_cbranch_execz .LBB110_295
; %bb.294:
	buffer_load_dword v97, off, s[0:3], 0
	buffer_load_dword v98, off, s[0:3], 0 offset:4
	s_waitcnt vmcnt(0)
	ds_write_b64 v95, v[97:98]
	buffer_store_dword v96, off, s[0:3], 0
	buffer_store_dword v96, off, s[0:3], 0 offset:4
.LBB110_295:
	s_or_b64 exec, exec, s[4:5]
	s_waitcnt lgkmcnt(0)
	; wave barrier
	buffer_load_dword v103, off, s[0:3], 0 offset:12
	buffer_load_dword v102, off, s[0:3], 0 offset:20
	;; [unrolled: 1-line block ×31, first 2 shown]
	buffer_load_dword v0, off, s[0:3], 0
	buffer_load_dword v95, off, s[0:3], 0 offset:4
	ds_read2_b64 v[104:107], v96 offset0:49 offset1:50
	ds_read2_b64 v[108:111], v96 offset0:51 offset1:52
	;; [unrolled: 1-line block ×6, first 2 shown]
	buffer_load_dword v27, off, s[0:3], 0 offset:128
	buffer_load_dword v28, off, s[0:3], 0 offset:140
	;; [unrolled: 1-line block ×7, first 2 shown]
	ds_read2_b64 v[128:131], v96 offset0:61 offset1:62
	ds_read2_b64 v[132:135], v96 offset0:63 offset1:64
	buffer_load_dword v201, off, s[0:3], 0 offset:160
	buffer_load_dword v202, off, s[0:3], 0 offset:164
	buffer_load_dword v203, off, s[0:3], 0 offset:168
	buffer_load_dword v204, off, s[0:3], 0 offset:172
	buffer_load_dword v205, off, s[0:3], 0 offset:176
	buffer_load_dword v206, off, s[0:3], 0 offset:180
	buffer_load_dword v207, off, s[0:3], 0 offset:184
	buffer_load_dword v208, off, s[0:3], 0 offset:188
	buffer_load_dword v209, off, s[0:3], 0 offset:192
	buffer_load_dword v210, off, s[0:3], 0 offset:196
	buffer_load_dword v211, off, s[0:3], 0 offset:200
	buffer_load_dword v212, off, s[0:3], 0 offset:204
	buffer_load_dword v213, off, s[0:3], 0 offset:212
	buffer_load_dword v214, off, s[0:3], 0 offset:216
	buffer_load_dword v215, off, s[0:3], 0 offset:220
	buffer_load_dword v216, off, s[0:3], 0 offset:208
	buffer_load_dword v217, off, s[0:3], 0 offset:224
	buffer_load_dword v218, off, s[0:3], 0 offset:228
	s_and_b64 vcc, exec, s[14:15]
	s_waitcnt vmcnt(57) lgkmcnt(7)
	v_mul_f32_e32 v136, v104, v103
	s_waitcnt vmcnt(56)
	v_mul_f32_e32 v137, v106, v102
	s_waitcnt vmcnt(55) lgkmcnt(6)
	v_mul_f32_e32 v138, v108, v101
	s_waitcnt vmcnt(54)
	v_mul_f32_e32 v139, v110, v100
	;; [unrolled: 4-line block ×6, first 2 shown]
	s_waitcnt vmcnt(45)
	v_fmac_f32_e32 v138, v109, v8
	s_waitcnt vmcnt(44)
	v_fmac_f32_e32 v137, v107, v9
	;; [unrolled: 2-line block ×3, first 2 shown]
	v_add_f32_e32 v136, 0, v136
	v_add_f32_e32 v136, v136, v137
	;; [unrolled: 1-line block ×3, first 2 shown]
	s_waitcnt vmcnt(39)
	v_fmac_f32_e32 v139, v111, v14
	v_fmac_f32_e32 v140, v113, v13
	v_add_f32_e32 v136, v136, v139
	v_fmac_f32_e32 v141, v115, v12
	v_add_f32_e32 v136, v136, v140
	;; [unrolled: 2-line block ×3, first 2 shown]
	s_waitcnt vmcnt(35)
	v_fmac_f32_e32 v143, v119, v18
	v_add_f32_e32 v136, v136, v142
	v_fmac_f32_e32 v144, v121, v17
	v_add_f32_e32 v136, v136, v143
	;; [unrolled: 2-line block ×4, first 2 shown]
	s_waitcnt vmcnt(31)
	v_fmac_f32_e32 v147, v127, v22
	v_add_f32_e32 v136, v136, v146
	s_waitcnt vmcnt(30) lgkmcnt(1)
	v_mul_f32_e32 v137, v128, v23
	v_add_f32_e32 v136, v136, v147
	v_fmac_f32_e32 v137, v129, v21
	v_add_f32_e32 v136, v136, v137
	s_waitcnt vmcnt(29)
	v_mul_f32_e32 v137, v130, v24
	v_fmac_f32_e32 v137, v131, v20
	v_add_f32_e32 v136, v136, v137
	s_waitcnt vmcnt(28) lgkmcnt(0)
	v_mul_f32_e32 v137, v132, v25
	v_fmac_f32_e32 v137, v133, v19
	v_add_f32_e32 v140, v136, v137
	ds_read2_b64 v[136:139], v96 offset0:65 offset1:66
	buffer_load_dword v219, off, s[0:3], 0 offset:232
	buffer_load_dword v220, off, s[0:3], 0 offset:236
	buffer_load_dword v221, off, s[0:3], 0 offset:244
	buffer_load_dword v222, off, s[0:3], 0 offset:248
	buffer_load_dword v223, off, s[0:3], 0 offset:252
	buffer_load_dword v224, off, s[0:3], 0 offset:240
	s_waitcnt vmcnt(33)
	v_mul_f32_e32 v141, v134, v26
	s_waitcnt vmcnt(30)
	v_fmac_f32_e32 v141, v135, v27
	v_add_f32_e32 v144, v140, v141
	ds_read2_b64 v[140:143], v96 offset0:67 offset1:68
	buffer_load_dword v225, off, s[0:3], 0 offset:256
	buffer_load_dword v226, off, s[0:3], 0 offset:260
	;; [unrolled: 1-line block ×10, first 2 shown]
	s_waitcnt vmcnt(39) lgkmcnt(1)
	v_mul_f32_e32 v145, v136, v28
	buffer_load_dword v235, off, s[0:3], 0 offset:296
	buffer_load_dword v236, off, s[0:3], 0 offset:300
	;; [unrolled: 1-line block ×6, first 2 shown]
	s_waitcnt vmcnt(40)
	v_fmac_f32_e32 v145, v137, v200
	v_add_f32_e32 v144, v144, v145
	v_mul_f32_e32 v145, v138, v197
	v_fmac_f32_e32 v145, v139, v196
	v_add_f32_e32 v144, v144, v145
	s_waitcnt lgkmcnt(0)
	v_mul_f32_e32 v145, v140, v199
	v_fmac_f32_e32 v145, v141, v198
	v_add_f32_e32 v148, v144, v145
	ds_read2_b64 v[144:147], v96 offset0:69 offset1:70
	buffer_load_dword v241, off, s[0:3], 0 offset:320
	buffer_load_dword v242, off, s[0:3], 0 offset:324
	s_waitcnt vmcnt(40)
	v_mul_f32_e32 v149, v142, v202
	v_fmac_f32_e32 v149, v143, v201
	v_add_f32_e32 v152, v148, v149
	ds_read2_b64 v[148:151], v96 offset0:71 offset1:72
	buffer_load_dword v243, off, s[0:3], 0 offset:328
	buffer_load_dword v244, off, s[0:3], 0 offset:332
	;; [unrolled: 1-line block ×12, first 2 shown]
	s_waitcnt vmcnt(50) lgkmcnt(1)
	v_mul_f32_e32 v153, v144, v204
	v_fmac_f32_e32 v153, v145, v203
	v_add_f32_e32 v152, v152, v153
	s_waitcnt vmcnt(48)
	v_mul_f32_e32 v153, v146, v206
	v_fmac_f32_e32 v153, v147, v205
	v_add_f32_e32 v152, v152, v153
	s_waitcnt vmcnt(46) lgkmcnt(0)
	v_mul_f32_e32 v153, v148, v208
	v_fmac_f32_e32 v153, v149, v207
	v_add_f32_e32 v156, v152, v153
	ds_read2_b64 v[152:155], v96 offset0:73 offset1:74
	s_waitcnt vmcnt(44)
	v_mul_f32_e32 v157, v150, v210
	v_fmac_f32_e32 v157, v151, v209
	v_add_f32_e32 v160, v156, v157
	ds_read2_b64 v[156:159], v96 offset0:75 offset1:76
	s_waitcnt vmcnt(42) lgkmcnt(1)
	v_mul_f32_e32 v161, v152, v212
	v_fmac_f32_e32 v161, v153, v211
	v_add_f32_e32 v160, v160, v161
	s_waitcnt vmcnt(41)
	v_mul_f32_e32 v161, v154, v213
	s_waitcnt vmcnt(38)
	v_fmac_f32_e32 v161, v155, v216
	v_add_f32_e32 v160, v160, v161
	s_waitcnt lgkmcnt(0)
	v_mul_f32_e32 v161, v156, v215
	v_fmac_f32_e32 v161, v157, v214
	v_add_f32_e32 v164, v160, v161
	ds_read2_b64 v[160:163], v96 offset0:77 offset1:78
	s_waitcnt vmcnt(36)
	v_mul_f32_e32 v165, v158, v218
	v_fmac_f32_e32 v165, v159, v217
	v_add_f32_e32 v168, v164, v165
	ds_read2_b64 v[164:167], v96 offset0:79 offset1:80
	v_mul_f32_e32 v3, v119, v3
	v_fma_f32 v3, v118, v18, -v3
	v_mul_f32_e32 v4, v121, v4
	v_fma_f32 v4, v120, v17, -v4
	s_waitcnt vmcnt(34) lgkmcnt(1)
	v_mul_f32_e32 v169, v160, v220
	v_fmac_f32_e32 v169, v161, v219
	v_add_f32_e32 v168, v168, v169
	s_waitcnt vmcnt(33)
	v_mul_f32_e32 v169, v162, v221
	s_waitcnt vmcnt(30)
	v_fmac_f32_e32 v169, v163, v224
	v_add_f32_e32 v168, v168, v169
	s_waitcnt lgkmcnt(0)
	v_mul_f32_e32 v169, v164, v223
	v_fmac_f32_e32 v169, v165, v222
	v_add_f32_e32 v172, v168, v169
	ds_read2_b64 v[168:171], v96 offset0:81 offset1:82
	s_waitcnt vmcnt(28)
	v_mul_f32_e32 v173, v166, v226
	v_fmac_f32_e32 v173, v167, v225
	v_add_f32_e32 v176, v172, v173
	ds_read2_b64 v[172:175], v96 offset0:83 offset1:84
	s_waitcnt vmcnt(26) lgkmcnt(1)
	v_mul_f32_e32 v177, v168, v228
	v_fmac_f32_e32 v177, v169, v227
	v_add_f32_e32 v176, v176, v177
	s_waitcnt vmcnt(25)
	v_mul_f32_e32 v177, v170, v229
	s_waitcnt vmcnt(22)
	v_fmac_f32_e32 v177, v171, v232
	v_add_f32_e32 v176, v176, v177
	s_waitcnt lgkmcnt(0)
	v_mul_f32_e32 v177, v172, v231
	v_fmac_f32_e32 v177, v173, v230
	v_add_f32_e32 v180, v176, v177
	ds_read2_b64 v[176:179], v96 offset0:85 offset1:86
	s_waitcnt vmcnt(20)
	v_mul_f32_e32 v181, v174, v234
	v_fmac_f32_e32 v181, v175, v233
	v_add_f32_e32 v184, v180, v181
	ds_read2_b64 v[180:183], v96 offset0:87 offset1:88
	;; [unrolled: 19-line block ×3, first 2 shown]
	s_waitcnt vmcnt(10) lgkmcnt(1)
	v_mul_f32_e32 v193, v184, v244
	v_fmac_f32_e32 v193, v185, v243
	v_add_f32_e32 v192, v192, v193
	s_waitcnt vmcnt(9)
	v_mul_f32_e32 v193, v186, v245
	s_waitcnt vmcnt(6)
	v_fmac_f32_e32 v193, v187, v248
	v_add_f32_e32 v255, v192, v193
	ds_read2_b64 v[192:195], v96 offset0:93 offset1:94
	s_waitcnt lgkmcnt(1)
	v_mul_f32_e32 v29, v188, v247
	v_fmac_f32_e32 v29, v189, v246
	s_waitcnt vmcnt(4)
	v_mul_f32_e32 v30, v190, v250
	v_add_f32_e32 v29, v255, v29
	v_fmac_f32_e32 v30, v191, v249
	v_add_f32_e32 v29, v29, v30
	s_waitcnt vmcnt(3) lgkmcnt(0)
	v_mul_f32_e32 v30, v192, v251
	s_waitcnt vmcnt(0)
	v_fmac_f32_e32 v30, v193, v254
	v_add_f32_e32 v29, v29, v30
	v_mul_f32_e32 v30, v194, v253
	v_fmac_f32_e32 v30, v195, v252
	v_add_f32_e32 v29, v29, v30
	v_mul_f32_e32 v30, v105, v103
	v_fma_f32 v10, v104, v10, -v30
	v_mul_f32_e32 v30, v107, v102
	v_add_f32_e32 v10, 0, v10
	v_fma_f32 v9, v106, v9, -v30
	v_add_f32_e32 v9, v10, v9
	v_mul_f32_e32 v10, v109, v101
	v_fma_f32 v8, v108, v8, -v10
	v_add_f32_e32 v8, v9, v8
	v_mul_f32_e32 v9, v111, v100
	;; [unrolled: 3-line block ×5, first 2 shown]
	v_fma_f32 v9, v116, v11, -v9
	v_add_f32_e32 v8, v8, v9
	v_add_f32_e32 v3, v8, v3
	;; [unrolled: 1-line block ×3, first 2 shown]
	v_mul_f32_e32 v4, v123, v5
	v_fma_f32 v4, v122, v16, -v4
	v_add_f32_e32 v3, v3, v4
	v_mul_f32_e32 v4, v125, v6
	v_fma_f32 v4, v124, v15, -v4
	v_add_f32_e32 v3, v3, v4
	;; [unrolled: 3-line block ×37, first 2 shown]
	v_sub_f32_e32 v0, v0, v3
	v_sub_f32_e32 v3, v95, v29
	buffer_store_dword v0, off, s[0:3], 0
	buffer_store_dword v3, off, s[0:3], 0 offset:4
	s_cbranch_vccz .LBB110_388
; %bb.296:
	v_mov_b32_e32 v0, 0
	global_load_dword v95, v0, s[12:13] offset:180
	s_waitcnt vmcnt(0)
	v_add_u32_e32 v95, -1, v95
	v_cmp_ne_u32_e32 vcc, 45, v95
	s_cbranch_vccz .LBB110_298
; %bb.297:
	v_lshlrev_b32_e32 v3, 3, v95
	buffer_load_dword v4, v3, s[0:3], 0 offen
	buffer_load_dword v5, v3, s[0:3], 0 offen offset:4
	buffer_load_dword v6, off, s[0:3], 0 offset:360
	buffer_load_dword v7, off, s[0:3], 0 offset:364
	s_waitcnt vmcnt(3)
	buffer_store_dword v4, off, s[0:3], 0 offset:360
	s_waitcnt vmcnt(3)
	buffer_store_dword v5, off, s[0:3], 0 offset:364
	s_waitcnt vmcnt(3)
	buffer_store_dword v6, v3, s[0:3], 0 offen
	s_waitcnt vmcnt(3)
	buffer_store_dword v7, v3, s[0:3], 0 offen offset:4
.LBB110_298:
	global_load_dword v0, v0, s[12:13] offset:176
	s_waitcnt vmcnt(0)
	v_add_u32_e32 v0, -1, v0
	v_cmp_eq_u32_e32 vcc, 44, v0
	s_cbranch_vccnz .LBB110_300
; %bb.299:
	v_lshlrev_b32_e32 v0, 3, v0
	buffer_load_dword v3, v0, s[0:3], 0 offen
	buffer_load_dword v4, v0, s[0:3], 0 offen offset:4
	buffer_load_dword v5, off, s[0:3], 0 offset:356
	buffer_load_dword v6, off, s[0:3], 0 offset:352
	s_waitcnt vmcnt(3)
	buffer_store_dword v3, off, s[0:3], 0 offset:352
	s_waitcnt vmcnt(3)
	buffer_store_dword v4, off, s[0:3], 0 offset:356
	s_waitcnt vmcnt(3)
	buffer_store_dword v5, v0, s[0:3], 0 offen offset:4
	s_waitcnt vmcnt(3)
	buffer_store_dword v6, v0, s[0:3], 0 offen
.LBB110_300:
	v_mov_b32_e32 v0, 0
	global_load_dword v3, v0, s[12:13] offset:172
	s_waitcnt vmcnt(0)
	v_add_u32_e32 v95, -1, v3
	v_cmp_eq_u32_e32 vcc, 43, v95
	s_cbranch_vccnz .LBB110_302
; %bb.301:
	v_lshlrev_b32_e32 v3, 3, v95
	buffer_load_dword v4, v3, s[0:3], 0 offen
	buffer_load_dword v5, v3, s[0:3], 0 offen offset:4
	buffer_load_dword v6, off, s[0:3], 0 offset:344
	buffer_load_dword v7, off, s[0:3], 0 offset:348
	s_waitcnt vmcnt(3)
	buffer_store_dword v4, off, s[0:3], 0 offset:344
	s_waitcnt vmcnt(3)
	buffer_store_dword v5, off, s[0:3], 0 offset:348
	s_waitcnt vmcnt(3)
	buffer_store_dword v6, v3, s[0:3], 0 offen
	s_waitcnt vmcnt(3)
	buffer_store_dword v7, v3, s[0:3], 0 offen offset:4
.LBB110_302:
	global_load_dword v0, v0, s[12:13] offset:168
	s_waitcnt vmcnt(0)
	v_add_u32_e32 v0, -1, v0
	v_cmp_eq_u32_e32 vcc, 42, v0
	s_cbranch_vccnz .LBB110_304
; %bb.303:
	v_lshlrev_b32_e32 v0, 3, v0
	buffer_load_dword v3, v0, s[0:3], 0 offen
	buffer_load_dword v4, v0, s[0:3], 0 offen offset:4
	buffer_load_dword v5, off, s[0:3], 0 offset:340
	buffer_load_dword v6, off, s[0:3], 0 offset:336
	s_waitcnt vmcnt(3)
	buffer_store_dword v3, off, s[0:3], 0 offset:336
	s_waitcnt vmcnt(3)
	buffer_store_dword v4, off, s[0:3], 0 offset:340
	s_waitcnt vmcnt(3)
	buffer_store_dword v5, v0, s[0:3], 0 offen offset:4
	s_waitcnt vmcnt(3)
	buffer_store_dword v6, v0, s[0:3], 0 offen
.LBB110_304:
	v_mov_b32_e32 v0, 0
	global_load_dword v3, v0, s[12:13] offset:164
	s_waitcnt vmcnt(0)
	v_add_u32_e32 v95, -1, v3
	v_cmp_eq_u32_e32 vcc, 41, v95
	s_cbranch_vccnz .LBB110_306
; %bb.305:
	v_lshlrev_b32_e32 v3, 3, v95
	buffer_load_dword v4, v3, s[0:3], 0 offen
	buffer_load_dword v5, v3, s[0:3], 0 offen offset:4
	buffer_load_dword v6, off, s[0:3], 0 offset:328
	buffer_load_dword v7, off, s[0:3], 0 offset:332
	s_waitcnt vmcnt(3)
	buffer_store_dword v4, off, s[0:3], 0 offset:328
	s_waitcnt vmcnt(3)
	buffer_store_dword v5, off, s[0:3], 0 offset:332
	s_waitcnt vmcnt(3)
	buffer_store_dword v6, v3, s[0:3], 0 offen
	s_waitcnt vmcnt(3)
	buffer_store_dword v7, v3, s[0:3], 0 offen offset:4
.LBB110_306:
	global_load_dword v0, v0, s[12:13] offset:160
	s_waitcnt vmcnt(0)
	v_add_u32_e32 v0, -1, v0
	v_cmp_eq_u32_e32 vcc, 40, v0
	s_cbranch_vccnz .LBB110_308
; %bb.307:
	v_lshlrev_b32_e32 v0, 3, v0
	buffer_load_dword v3, v0, s[0:3], 0 offen
	buffer_load_dword v4, v0, s[0:3], 0 offen offset:4
	buffer_load_dword v5, off, s[0:3], 0 offset:324
	buffer_load_dword v6, off, s[0:3], 0 offset:320
	s_waitcnt vmcnt(3)
	buffer_store_dword v3, off, s[0:3], 0 offset:320
	s_waitcnt vmcnt(3)
	buffer_store_dword v4, off, s[0:3], 0 offset:324
	s_waitcnt vmcnt(3)
	buffer_store_dword v5, v0, s[0:3], 0 offen offset:4
	s_waitcnt vmcnt(3)
	buffer_store_dword v6, v0, s[0:3], 0 offen
.LBB110_308:
	v_mov_b32_e32 v0, 0
	global_load_dword v3, v0, s[12:13] offset:156
	s_waitcnt vmcnt(0)
	v_add_u32_e32 v95, -1, v3
	v_cmp_eq_u32_e32 vcc, 39, v95
	s_cbranch_vccnz .LBB110_310
; %bb.309:
	v_lshlrev_b32_e32 v3, 3, v95
	buffer_load_dword v4, v3, s[0:3], 0 offen
	buffer_load_dword v5, v3, s[0:3], 0 offen offset:4
	buffer_load_dword v6, off, s[0:3], 0 offset:312
	buffer_load_dword v7, off, s[0:3], 0 offset:316
	s_waitcnt vmcnt(3)
	buffer_store_dword v4, off, s[0:3], 0 offset:312
	s_waitcnt vmcnt(3)
	buffer_store_dword v5, off, s[0:3], 0 offset:316
	s_waitcnt vmcnt(3)
	buffer_store_dword v6, v3, s[0:3], 0 offen
	s_waitcnt vmcnt(3)
	buffer_store_dword v7, v3, s[0:3], 0 offen offset:4
.LBB110_310:
	global_load_dword v0, v0, s[12:13] offset:152
	s_waitcnt vmcnt(0)
	v_add_u32_e32 v0, -1, v0
	v_cmp_eq_u32_e32 vcc, 38, v0
	s_cbranch_vccnz .LBB110_312
; %bb.311:
	v_lshlrev_b32_e32 v0, 3, v0
	buffer_load_dword v3, v0, s[0:3], 0 offen
	buffer_load_dword v4, v0, s[0:3], 0 offen offset:4
	buffer_load_dword v5, off, s[0:3], 0 offset:308
	buffer_load_dword v6, off, s[0:3], 0 offset:304
	s_waitcnt vmcnt(3)
	buffer_store_dword v3, off, s[0:3], 0 offset:304
	s_waitcnt vmcnt(3)
	buffer_store_dword v4, off, s[0:3], 0 offset:308
	s_waitcnt vmcnt(3)
	buffer_store_dword v5, v0, s[0:3], 0 offen offset:4
	s_waitcnt vmcnt(3)
	buffer_store_dword v6, v0, s[0:3], 0 offen
.LBB110_312:
	v_mov_b32_e32 v0, 0
	global_load_dword v3, v0, s[12:13] offset:148
	s_waitcnt vmcnt(0)
	v_add_u32_e32 v95, -1, v3
	v_cmp_eq_u32_e32 vcc, 37, v95
	s_cbranch_vccnz .LBB110_314
; %bb.313:
	v_lshlrev_b32_e32 v3, 3, v95
	buffer_load_dword v4, v3, s[0:3], 0 offen
	buffer_load_dword v5, v3, s[0:3], 0 offen offset:4
	buffer_load_dword v6, off, s[0:3], 0 offset:296
	buffer_load_dword v7, off, s[0:3], 0 offset:300
	s_waitcnt vmcnt(3)
	buffer_store_dword v4, off, s[0:3], 0 offset:296
	s_waitcnt vmcnt(3)
	buffer_store_dword v5, off, s[0:3], 0 offset:300
	s_waitcnt vmcnt(3)
	buffer_store_dword v6, v3, s[0:3], 0 offen
	s_waitcnt vmcnt(3)
	buffer_store_dword v7, v3, s[0:3], 0 offen offset:4
.LBB110_314:
	global_load_dword v0, v0, s[12:13] offset:144
	s_waitcnt vmcnt(0)
	v_add_u32_e32 v0, -1, v0
	v_cmp_eq_u32_e32 vcc, 36, v0
	s_cbranch_vccnz .LBB110_316
; %bb.315:
	v_lshlrev_b32_e32 v0, 3, v0
	buffer_load_dword v3, v0, s[0:3], 0 offen
	buffer_load_dword v4, v0, s[0:3], 0 offen offset:4
	buffer_load_dword v5, off, s[0:3], 0 offset:292
	buffer_load_dword v6, off, s[0:3], 0 offset:288
	s_waitcnt vmcnt(3)
	buffer_store_dword v3, off, s[0:3], 0 offset:288
	s_waitcnt vmcnt(3)
	buffer_store_dword v4, off, s[0:3], 0 offset:292
	s_waitcnt vmcnt(3)
	buffer_store_dword v5, v0, s[0:3], 0 offen offset:4
	s_waitcnt vmcnt(3)
	buffer_store_dword v6, v0, s[0:3], 0 offen
.LBB110_316:
	v_mov_b32_e32 v0, 0
	global_load_dword v3, v0, s[12:13] offset:140
	s_waitcnt vmcnt(0)
	v_add_u32_e32 v95, -1, v3
	v_cmp_eq_u32_e32 vcc, 35, v95
	s_cbranch_vccnz .LBB110_318
; %bb.317:
	v_lshlrev_b32_e32 v3, 3, v95
	buffer_load_dword v4, v3, s[0:3], 0 offen
	buffer_load_dword v5, v3, s[0:3], 0 offen offset:4
	buffer_load_dword v6, off, s[0:3], 0 offset:280
	buffer_load_dword v7, off, s[0:3], 0 offset:284
	s_waitcnt vmcnt(3)
	buffer_store_dword v4, off, s[0:3], 0 offset:280
	s_waitcnt vmcnt(3)
	buffer_store_dword v5, off, s[0:3], 0 offset:284
	s_waitcnt vmcnt(3)
	buffer_store_dword v6, v3, s[0:3], 0 offen
	s_waitcnt vmcnt(3)
	buffer_store_dword v7, v3, s[0:3], 0 offen offset:4
.LBB110_318:
	global_load_dword v0, v0, s[12:13] offset:136
	s_waitcnt vmcnt(0)
	v_add_u32_e32 v0, -1, v0
	v_cmp_eq_u32_e32 vcc, 34, v0
	s_cbranch_vccnz .LBB110_320
; %bb.319:
	v_lshlrev_b32_e32 v0, 3, v0
	buffer_load_dword v3, v0, s[0:3], 0 offen
	buffer_load_dword v4, v0, s[0:3], 0 offen offset:4
	buffer_load_dword v5, off, s[0:3], 0 offset:276
	buffer_load_dword v6, off, s[0:3], 0 offset:272
	s_waitcnt vmcnt(3)
	buffer_store_dword v3, off, s[0:3], 0 offset:272
	s_waitcnt vmcnt(3)
	buffer_store_dword v4, off, s[0:3], 0 offset:276
	s_waitcnt vmcnt(3)
	buffer_store_dword v5, v0, s[0:3], 0 offen offset:4
	s_waitcnt vmcnt(3)
	buffer_store_dword v6, v0, s[0:3], 0 offen
.LBB110_320:
	v_mov_b32_e32 v0, 0
	global_load_dword v3, v0, s[12:13] offset:132
	s_waitcnt vmcnt(0)
	v_add_u32_e32 v95, -1, v3
	v_cmp_eq_u32_e32 vcc, 33, v95
	s_cbranch_vccnz .LBB110_322
; %bb.321:
	v_lshlrev_b32_e32 v3, 3, v95
	buffer_load_dword v4, v3, s[0:3], 0 offen
	buffer_load_dword v5, v3, s[0:3], 0 offen offset:4
	buffer_load_dword v6, off, s[0:3], 0 offset:264
	buffer_load_dword v7, off, s[0:3], 0 offset:268
	s_waitcnt vmcnt(3)
	buffer_store_dword v4, off, s[0:3], 0 offset:264
	s_waitcnt vmcnt(3)
	buffer_store_dword v5, off, s[0:3], 0 offset:268
	s_waitcnt vmcnt(3)
	buffer_store_dword v6, v3, s[0:3], 0 offen
	s_waitcnt vmcnt(3)
	buffer_store_dword v7, v3, s[0:3], 0 offen offset:4
.LBB110_322:
	global_load_dword v0, v0, s[12:13] offset:128
	s_waitcnt vmcnt(0)
	v_add_u32_e32 v0, -1, v0
	v_cmp_eq_u32_e32 vcc, 32, v0
	s_cbranch_vccnz .LBB110_324
; %bb.323:
	v_lshlrev_b32_e32 v0, 3, v0
	buffer_load_dword v3, v0, s[0:3], 0 offen
	buffer_load_dword v4, v0, s[0:3], 0 offen offset:4
	buffer_load_dword v5, off, s[0:3], 0 offset:260
	buffer_load_dword v6, off, s[0:3], 0 offset:256
	s_waitcnt vmcnt(3)
	buffer_store_dword v3, off, s[0:3], 0 offset:256
	s_waitcnt vmcnt(3)
	buffer_store_dword v4, off, s[0:3], 0 offset:260
	s_waitcnt vmcnt(3)
	buffer_store_dword v5, v0, s[0:3], 0 offen offset:4
	s_waitcnt vmcnt(3)
	buffer_store_dword v6, v0, s[0:3], 0 offen
.LBB110_324:
	v_mov_b32_e32 v0, 0
	global_load_dword v3, v0, s[12:13] offset:124
	s_waitcnt vmcnt(0)
	v_add_u32_e32 v95, -1, v3
	v_cmp_eq_u32_e32 vcc, 31, v95
	s_cbranch_vccnz .LBB110_326
; %bb.325:
	v_lshlrev_b32_e32 v3, 3, v95
	buffer_load_dword v4, v3, s[0:3], 0 offen
	buffer_load_dword v5, v3, s[0:3], 0 offen offset:4
	buffer_load_dword v6, off, s[0:3], 0 offset:248
	buffer_load_dword v7, off, s[0:3], 0 offset:252
	s_waitcnt vmcnt(3)
	buffer_store_dword v4, off, s[0:3], 0 offset:248
	s_waitcnt vmcnt(3)
	buffer_store_dword v5, off, s[0:3], 0 offset:252
	s_waitcnt vmcnt(3)
	buffer_store_dword v6, v3, s[0:3], 0 offen
	s_waitcnt vmcnt(3)
	buffer_store_dword v7, v3, s[0:3], 0 offen offset:4
.LBB110_326:
	global_load_dword v0, v0, s[12:13] offset:120
	s_waitcnt vmcnt(0)
	v_add_u32_e32 v0, -1, v0
	v_cmp_eq_u32_e32 vcc, 30, v0
	s_cbranch_vccnz .LBB110_328
; %bb.327:
	v_lshlrev_b32_e32 v0, 3, v0
	buffer_load_dword v3, v0, s[0:3], 0 offen
	buffer_load_dword v4, v0, s[0:3], 0 offen offset:4
	buffer_load_dword v5, off, s[0:3], 0 offset:244
	buffer_load_dword v6, off, s[0:3], 0 offset:240
	s_waitcnt vmcnt(3)
	buffer_store_dword v3, off, s[0:3], 0 offset:240
	s_waitcnt vmcnt(3)
	buffer_store_dword v4, off, s[0:3], 0 offset:244
	s_waitcnt vmcnt(3)
	buffer_store_dword v5, v0, s[0:3], 0 offen offset:4
	s_waitcnt vmcnt(3)
	buffer_store_dword v6, v0, s[0:3], 0 offen
.LBB110_328:
	v_mov_b32_e32 v0, 0
	global_load_dword v3, v0, s[12:13] offset:116
	s_waitcnt vmcnt(0)
	v_add_u32_e32 v95, -1, v3
	v_cmp_eq_u32_e32 vcc, 29, v95
	s_cbranch_vccnz .LBB110_330
; %bb.329:
	v_lshlrev_b32_e32 v3, 3, v95
	buffer_load_dword v4, v3, s[0:3], 0 offen
	buffer_load_dword v5, v3, s[0:3], 0 offen offset:4
	buffer_load_dword v6, off, s[0:3], 0 offset:232
	buffer_load_dword v7, off, s[0:3], 0 offset:236
	s_waitcnt vmcnt(3)
	buffer_store_dword v4, off, s[0:3], 0 offset:232
	s_waitcnt vmcnt(3)
	buffer_store_dword v5, off, s[0:3], 0 offset:236
	s_waitcnt vmcnt(3)
	buffer_store_dword v6, v3, s[0:3], 0 offen
	s_waitcnt vmcnt(3)
	buffer_store_dword v7, v3, s[0:3], 0 offen offset:4
.LBB110_330:
	global_load_dword v0, v0, s[12:13] offset:112
	s_waitcnt vmcnt(0)
	v_add_u32_e32 v0, -1, v0
	v_cmp_eq_u32_e32 vcc, 28, v0
	s_cbranch_vccnz .LBB110_332
; %bb.331:
	v_lshlrev_b32_e32 v0, 3, v0
	buffer_load_dword v3, v0, s[0:3], 0 offen
	buffer_load_dword v4, v0, s[0:3], 0 offen offset:4
	buffer_load_dword v5, off, s[0:3], 0 offset:228
	buffer_load_dword v6, off, s[0:3], 0 offset:224
	s_waitcnt vmcnt(3)
	buffer_store_dword v3, off, s[0:3], 0 offset:224
	s_waitcnt vmcnt(3)
	buffer_store_dword v4, off, s[0:3], 0 offset:228
	s_waitcnt vmcnt(3)
	buffer_store_dword v5, v0, s[0:3], 0 offen offset:4
	s_waitcnt vmcnt(3)
	buffer_store_dword v6, v0, s[0:3], 0 offen
.LBB110_332:
	v_mov_b32_e32 v0, 0
	global_load_dword v3, v0, s[12:13] offset:108
	s_waitcnt vmcnt(0)
	v_add_u32_e32 v95, -1, v3
	v_cmp_eq_u32_e32 vcc, 27, v95
	s_cbranch_vccnz .LBB110_334
; %bb.333:
	v_lshlrev_b32_e32 v3, 3, v95
	buffer_load_dword v4, v3, s[0:3], 0 offen
	buffer_load_dword v5, v3, s[0:3], 0 offen offset:4
	buffer_load_dword v6, off, s[0:3], 0 offset:216
	buffer_load_dword v7, off, s[0:3], 0 offset:220
	s_waitcnt vmcnt(3)
	buffer_store_dword v4, off, s[0:3], 0 offset:216
	s_waitcnt vmcnt(3)
	buffer_store_dword v5, off, s[0:3], 0 offset:220
	s_waitcnt vmcnt(3)
	buffer_store_dword v6, v3, s[0:3], 0 offen
	s_waitcnt vmcnt(3)
	buffer_store_dword v7, v3, s[0:3], 0 offen offset:4
.LBB110_334:
	global_load_dword v0, v0, s[12:13] offset:104
	s_waitcnt vmcnt(0)
	v_add_u32_e32 v0, -1, v0
	v_cmp_eq_u32_e32 vcc, 26, v0
	s_cbranch_vccnz .LBB110_336
; %bb.335:
	v_lshlrev_b32_e32 v0, 3, v0
	buffer_load_dword v3, v0, s[0:3], 0 offen
	buffer_load_dword v4, v0, s[0:3], 0 offen offset:4
	buffer_load_dword v5, off, s[0:3], 0 offset:212
	buffer_load_dword v6, off, s[0:3], 0 offset:208
	s_waitcnt vmcnt(3)
	buffer_store_dword v3, off, s[0:3], 0 offset:208
	s_waitcnt vmcnt(3)
	buffer_store_dword v4, off, s[0:3], 0 offset:212
	s_waitcnt vmcnt(3)
	buffer_store_dword v5, v0, s[0:3], 0 offen offset:4
	s_waitcnt vmcnt(3)
	buffer_store_dword v6, v0, s[0:3], 0 offen
.LBB110_336:
	v_mov_b32_e32 v0, 0
	global_load_dword v3, v0, s[12:13] offset:100
	s_waitcnt vmcnt(0)
	v_add_u32_e32 v95, -1, v3
	v_cmp_eq_u32_e32 vcc, 25, v95
	s_cbranch_vccnz .LBB110_338
; %bb.337:
	v_lshlrev_b32_e32 v3, 3, v95
	buffer_load_dword v4, v3, s[0:3], 0 offen
	buffer_load_dword v5, v3, s[0:3], 0 offen offset:4
	buffer_load_dword v6, off, s[0:3], 0 offset:200
	buffer_load_dword v7, off, s[0:3], 0 offset:204
	s_waitcnt vmcnt(3)
	buffer_store_dword v4, off, s[0:3], 0 offset:200
	s_waitcnt vmcnt(3)
	buffer_store_dword v5, off, s[0:3], 0 offset:204
	s_waitcnt vmcnt(3)
	buffer_store_dword v6, v3, s[0:3], 0 offen
	s_waitcnt vmcnt(3)
	buffer_store_dword v7, v3, s[0:3], 0 offen offset:4
.LBB110_338:
	global_load_dword v0, v0, s[12:13] offset:96
	s_waitcnt vmcnt(0)
	v_add_u32_e32 v0, -1, v0
	v_cmp_eq_u32_e32 vcc, 24, v0
	s_cbranch_vccnz .LBB110_340
; %bb.339:
	v_lshlrev_b32_e32 v0, 3, v0
	buffer_load_dword v3, v0, s[0:3], 0 offen
	buffer_load_dword v4, v0, s[0:3], 0 offen offset:4
	buffer_load_dword v5, off, s[0:3], 0 offset:196
	buffer_load_dword v6, off, s[0:3], 0 offset:192
	s_waitcnt vmcnt(3)
	buffer_store_dword v3, off, s[0:3], 0 offset:192
	s_waitcnt vmcnt(3)
	buffer_store_dword v4, off, s[0:3], 0 offset:196
	s_waitcnt vmcnt(3)
	buffer_store_dword v5, v0, s[0:3], 0 offen offset:4
	s_waitcnt vmcnt(3)
	buffer_store_dword v6, v0, s[0:3], 0 offen
.LBB110_340:
	v_mov_b32_e32 v0, 0
	global_load_dword v3, v0, s[12:13] offset:92
	s_waitcnt vmcnt(0)
	v_add_u32_e32 v95, -1, v3
	v_cmp_eq_u32_e32 vcc, 23, v95
	s_cbranch_vccnz .LBB110_342
; %bb.341:
	v_lshlrev_b32_e32 v3, 3, v95
	buffer_load_dword v4, v3, s[0:3], 0 offen
	buffer_load_dword v5, v3, s[0:3], 0 offen offset:4
	buffer_load_dword v6, off, s[0:3], 0 offset:184
	buffer_load_dword v7, off, s[0:3], 0 offset:188
	s_waitcnt vmcnt(3)
	buffer_store_dword v4, off, s[0:3], 0 offset:184
	s_waitcnt vmcnt(3)
	buffer_store_dword v5, off, s[0:3], 0 offset:188
	s_waitcnt vmcnt(3)
	buffer_store_dword v6, v3, s[0:3], 0 offen
	s_waitcnt vmcnt(3)
	buffer_store_dword v7, v3, s[0:3], 0 offen offset:4
.LBB110_342:
	global_load_dword v0, v0, s[12:13] offset:88
	s_waitcnt vmcnt(0)
	v_add_u32_e32 v0, -1, v0
	v_cmp_eq_u32_e32 vcc, 22, v0
	s_cbranch_vccnz .LBB110_344
; %bb.343:
	v_lshlrev_b32_e32 v0, 3, v0
	buffer_load_dword v3, v0, s[0:3], 0 offen
	buffer_load_dword v4, v0, s[0:3], 0 offen offset:4
	buffer_load_dword v5, off, s[0:3], 0 offset:180
	buffer_load_dword v6, off, s[0:3], 0 offset:176
	s_waitcnt vmcnt(3)
	buffer_store_dword v3, off, s[0:3], 0 offset:176
	s_waitcnt vmcnt(3)
	buffer_store_dword v4, off, s[0:3], 0 offset:180
	s_waitcnt vmcnt(3)
	buffer_store_dword v5, v0, s[0:3], 0 offen offset:4
	s_waitcnt vmcnt(3)
	buffer_store_dword v6, v0, s[0:3], 0 offen
.LBB110_344:
	v_mov_b32_e32 v0, 0
	global_load_dword v3, v0, s[12:13] offset:84
	s_waitcnt vmcnt(0)
	v_add_u32_e32 v95, -1, v3
	v_cmp_eq_u32_e32 vcc, 21, v95
	s_cbranch_vccnz .LBB110_346
; %bb.345:
	v_lshlrev_b32_e32 v3, 3, v95
	buffer_load_dword v4, v3, s[0:3], 0 offen
	buffer_load_dword v5, v3, s[0:3], 0 offen offset:4
	buffer_load_dword v6, off, s[0:3], 0 offset:168
	buffer_load_dword v7, off, s[0:3], 0 offset:172
	s_waitcnt vmcnt(3)
	buffer_store_dword v4, off, s[0:3], 0 offset:168
	s_waitcnt vmcnt(3)
	buffer_store_dword v5, off, s[0:3], 0 offset:172
	s_waitcnt vmcnt(3)
	buffer_store_dword v6, v3, s[0:3], 0 offen
	s_waitcnt vmcnt(3)
	buffer_store_dword v7, v3, s[0:3], 0 offen offset:4
.LBB110_346:
	global_load_dword v0, v0, s[12:13] offset:80
	s_waitcnt vmcnt(0)
	v_add_u32_e32 v0, -1, v0
	v_cmp_eq_u32_e32 vcc, 20, v0
	s_cbranch_vccnz .LBB110_348
; %bb.347:
	v_lshlrev_b32_e32 v0, 3, v0
	buffer_load_dword v3, v0, s[0:3], 0 offen
	buffer_load_dword v4, v0, s[0:3], 0 offen offset:4
	buffer_load_dword v5, off, s[0:3], 0 offset:164
	buffer_load_dword v6, off, s[0:3], 0 offset:160
	s_waitcnt vmcnt(3)
	buffer_store_dword v3, off, s[0:3], 0 offset:160
	s_waitcnt vmcnt(3)
	buffer_store_dword v4, off, s[0:3], 0 offset:164
	s_waitcnt vmcnt(3)
	buffer_store_dword v5, v0, s[0:3], 0 offen offset:4
	s_waitcnt vmcnt(3)
	buffer_store_dword v6, v0, s[0:3], 0 offen
.LBB110_348:
	v_mov_b32_e32 v0, 0
	global_load_dword v3, v0, s[12:13] offset:76
	s_waitcnt vmcnt(0)
	v_add_u32_e32 v95, -1, v3
	v_cmp_eq_u32_e32 vcc, 19, v95
	s_cbranch_vccnz .LBB110_350
; %bb.349:
	v_lshlrev_b32_e32 v3, 3, v95
	buffer_load_dword v4, v3, s[0:3], 0 offen
	buffer_load_dword v5, v3, s[0:3], 0 offen offset:4
	buffer_load_dword v6, off, s[0:3], 0 offset:152
	buffer_load_dword v7, off, s[0:3], 0 offset:156
	s_waitcnt vmcnt(3)
	buffer_store_dword v4, off, s[0:3], 0 offset:152
	s_waitcnt vmcnt(3)
	buffer_store_dword v5, off, s[0:3], 0 offset:156
	s_waitcnt vmcnt(3)
	buffer_store_dword v6, v3, s[0:3], 0 offen
	s_waitcnt vmcnt(3)
	buffer_store_dword v7, v3, s[0:3], 0 offen offset:4
.LBB110_350:
	global_load_dword v0, v0, s[12:13] offset:72
	s_waitcnt vmcnt(0)
	v_add_u32_e32 v0, -1, v0
	v_cmp_eq_u32_e32 vcc, 18, v0
	s_cbranch_vccnz .LBB110_352
; %bb.351:
	v_lshlrev_b32_e32 v0, 3, v0
	buffer_load_dword v3, v0, s[0:3], 0 offen
	buffer_load_dword v4, v0, s[0:3], 0 offen offset:4
	buffer_load_dword v5, off, s[0:3], 0 offset:148
	buffer_load_dword v6, off, s[0:3], 0 offset:144
	s_waitcnt vmcnt(3)
	buffer_store_dword v3, off, s[0:3], 0 offset:144
	s_waitcnt vmcnt(3)
	buffer_store_dword v4, off, s[0:3], 0 offset:148
	s_waitcnt vmcnt(3)
	buffer_store_dword v5, v0, s[0:3], 0 offen offset:4
	s_waitcnt vmcnt(3)
	buffer_store_dword v6, v0, s[0:3], 0 offen
.LBB110_352:
	v_mov_b32_e32 v0, 0
	global_load_dword v3, v0, s[12:13] offset:68
	s_waitcnt vmcnt(0)
	v_add_u32_e32 v95, -1, v3
	v_cmp_eq_u32_e32 vcc, 17, v95
	s_cbranch_vccnz .LBB110_354
; %bb.353:
	v_lshlrev_b32_e32 v3, 3, v95
	buffer_load_dword v4, v3, s[0:3], 0 offen
	buffer_load_dword v5, v3, s[0:3], 0 offen offset:4
	buffer_load_dword v6, off, s[0:3], 0 offset:136
	buffer_load_dword v7, off, s[0:3], 0 offset:140
	s_waitcnt vmcnt(3)
	buffer_store_dword v4, off, s[0:3], 0 offset:136
	s_waitcnt vmcnt(3)
	buffer_store_dword v5, off, s[0:3], 0 offset:140
	s_waitcnt vmcnt(3)
	buffer_store_dword v6, v3, s[0:3], 0 offen
	s_waitcnt vmcnt(3)
	buffer_store_dword v7, v3, s[0:3], 0 offen offset:4
.LBB110_354:
	global_load_dword v0, v0, s[12:13] offset:64
	s_waitcnt vmcnt(0)
	v_add_u32_e32 v0, -1, v0
	v_cmp_eq_u32_e32 vcc, 16, v0
	s_cbranch_vccnz .LBB110_356
; %bb.355:
	v_lshlrev_b32_e32 v0, 3, v0
	buffer_load_dword v3, v0, s[0:3], 0 offen
	buffer_load_dword v4, v0, s[0:3], 0 offen offset:4
	buffer_load_dword v5, off, s[0:3], 0 offset:132
	buffer_load_dword v6, off, s[0:3], 0 offset:128
	s_waitcnt vmcnt(3)
	buffer_store_dword v3, off, s[0:3], 0 offset:128
	s_waitcnt vmcnt(3)
	buffer_store_dword v4, off, s[0:3], 0 offset:132
	s_waitcnt vmcnt(3)
	buffer_store_dword v5, v0, s[0:3], 0 offen offset:4
	s_waitcnt vmcnt(3)
	buffer_store_dword v6, v0, s[0:3], 0 offen
.LBB110_356:
	v_mov_b32_e32 v0, 0
	global_load_dword v3, v0, s[12:13] offset:60
	s_waitcnt vmcnt(0)
	v_add_u32_e32 v95, -1, v3
	v_cmp_eq_u32_e32 vcc, 15, v95
	s_cbranch_vccnz .LBB110_358
; %bb.357:
	v_lshlrev_b32_e32 v3, 3, v95
	buffer_load_dword v4, v3, s[0:3], 0 offen
	buffer_load_dword v5, v3, s[0:3], 0 offen offset:4
	buffer_load_dword v6, off, s[0:3], 0 offset:120
	buffer_load_dword v7, off, s[0:3], 0 offset:124
	s_waitcnt vmcnt(3)
	buffer_store_dword v4, off, s[0:3], 0 offset:120
	s_waitcnt vmcnt(3)
	buffer_store_dword v5, off, s[0:3], 0 offset:124
	s_waitcnt vmcnt(3)
	buffer_store_dword v6, v3, s[0:3], 0 offen
	s_waitcnt vmcnt(3)
	buffer_store_dword v7, v3, s[0:3], 0 offen offset:4
.LBB110_358:
	global_load_dword v0, v0, s[12:13] offset:56
	s_waitcnt vmcnt(0)
	v_add_u32_e32 v0, -1, v0
	v_cmp_eq_u32_e32 vcc, 14, v0
	s_cbranch_vccnz .LBB110_360
; %bb.359:
	v_lshlrev_b32_e32 v0, 3, v0
	buffer_load_dword v3, v0, s[0:3], 0 offen
	buffer_load_dword v4, v0, s[0:3], 0 offen offset:4
	buffer_load_dword v5, off, s[0:3], 0 offset:116
	buffer_load_dword v6, off, s[0:3], 0 offset:112
	s_waitcnt vmcnt(3)
	buffer_store_dword v3, off, s[0:3], 0 offset:112
	s_waitcnt vmcnt(3)
	buffer_store_dword v4, off, s[0:3], 0 offset:116
	s_waitcnt vmcnt(3)
	buffer_store_dword v5, v0, s[0:3], 0 offen offset:4
	s_waitcnt vmcnt(3)
	buffer_store_dword v6, v0, s[0:3], 0 offen
.LBB110_360:
	v_mov_b32_e32 v0, 0
	global_load_dword v3, v0, s[12:13] offset:52
	s_waitcnt vmcnt(0)
	v_add_u32_e32 v95, -1, v3
	v_cmp_eq_u32_e32 vcc, 13, v95
	s_cbranch_vccnz .LBB110_362
; %bb.361:
	v_lshlrev_b32_e32 v3, 3, v95
	buffer_load_dword v4, v3, s[0:3], 0 offen
	buffer_load_dword v5, v3, s[0:3], 0 offen offset:4
	buffer_load_dword v6, off, s[0:3], 0 offset:104
	buffer_load_dword v7, off, s[0:3], 0 offset:108
	s_waitcnt vmcnt(3)
	buffer_store_dword v4, off, s[0:3], 0 offset:104
	s_waitcnt vmcnt(3)
	buffer_store_dword v5, off, s[0:3], 0 offset:108
	s_waitcnt vmcnt(3)
	buffer_store_dword v6, v3, s[0:3], 0 offen
	s_waitcnt vmcnt(3)
	buffer_store_dword v7, v3, s[0:3], 0 offen offset:4
.LBB110_362:
	global_load_dword v0, v0, s[12:13] offset:48
	s_waitcnt vmcnt(0)
	v_add_u32_e32 v0, -1, v0
	v_cmp_eq_u32_e32 vcc, 12, v0
	s_cbranch_vccnz .LBB110_364
; %bb.363:
	v_lshlrev_b32_e32 v0, 3, v0
	buffer_load_dword v3, v0, s[0:3], 0 offen
	buffer_load_dword v4, v0, s[0:3], 0 offen offset:4
	buffer_load_dword v5, off, s[0:3], 0 offset:100
	buffer_load_dword v6, off, s[0:3], 0 offset:96
	s_waitcnt vmcnt(3)
	buffer_store_dword v3, off, s[0:3], 0 offset:96
	s_waitcnt vmcnt(3)
	buffer_store_dword v4, off, s[0:3], 0 offset:100
	s_waitcnt vmcnt(3)
	buffer_store_dword v5, v0, s[0:3], 0 offen offset:4
	s_waitcnt vmcnt(3)
	buffer_store_dword v6, v0, s[0:3], 0 offen
.LBB110_364:
	v_mov_b32_e32 v0, 0
	global_load_dword v3, v0, s[12:13] offset:44
	s_waitcnt vmcnt(0)
	v_add_u32_e32 v95, -1, v3
	v_cmp_eq_u32_e32 vcc, 11, v95
	s_cbranch_vccnz .LBB110_366
; %bb.365:
	v_lshlrev_b32_e32 v3, 3, v95
	buffer_load_dword v4, v3, s[0:3], 0 offen
	buffer_load_dword v5, v3, s[0:3], 0 offen offset:4
	buffer_load_dword v6, off, s[0:3], 0 offset:88
	buffer_load_dword v7, off, s[0:3], 0 offset:92
	s_waitcnt vmcnt(3)
	buffer_store_dword v4, off, s[0:3], 0 offset:88
	s_waitcnt vmcnt(3)
	buffer_store_dword v5, off, s[0:3], 0 offset:92
	s_waitcnt vmcnt(3)
	buffer_store_dword v6, v3, s[0:3], 0 offen
	s_waitcnt vmcnt(3)
	buffer_store_dword v7, v3, s[0:3], 0 offen offset:4
.LBB110_366:
	global_load_dword v0, v0, s[12:13] offset:40
	s_waitcnt vmcnt(0)
	v_add_u32_e32 v0, -1, v0
	v_cmp_eq_u32_e32 vcc, 10, v0
	s_cbranch_vccnz .LBB110_368
; %bb.367:
	v_lshlrev_b32_e32 v0, 3, v0
	buffer_load_dword v3, v0, s[0:3], 0 offen
	buffer_load_dword v4, v0, s[0:3], 0 offen offset:4
	buffer_load_dword v5, off, s[0:3], 0 offset:84
	buffer_load_dword v6, off, s[0:3], 0 offset:80
	s_waitcnt vmcnt(3)
	buffer_store_dword v3, off, s[0:3], 0 offset:80
	s_waitcnt vmcnt(3)
	buffer_store_dword v4, off, s[0:3], 0 offset:84
	s_waitcnt vmcnt(3)
	buffer_store_dword v5, v0, s[0:3], 0 offen offset:4
	s_waitcnt vmcnt(3)
	buffer_store_dword v6, v0, s[0:3], 0 offen
.LBB110_368:
	v_mov_b32_e32 v0, 0
	global_load_dword v3, v0, s[12:13] offset:36
	s_waitcnt vmcnt(0)
	v_add_u32_e32 v95, -1, v3
	v_cmp_eq_u32_e32 vcc, 9, v95
	s_cbranch_vccnz .LBB110_370
; %bb.369:
	v_lshlrev_b32_e32 v3, 3, v95
	buffer_load_dword v4, v3, s[0:3], 0 offen
	buffer_load_dword v5, v3, s[0:3], 0 offen offset:4
	buffer_load_dword v6, off, s[0:3], 0 offset:72
	buffer_load_dword v7, off, s[0:3], 0 offset:76
	s_waitcnt vmcnt(3)
	buffer_store_dword v4, off, s[0:3], 0 offset:72
	s_waitcnt vmcnt(3)
	buffer_store_dword v5, off, s[0:3], 0 offset:76
	s_waitcnt vmcnt(3)
	buffer_store_dword v6, v3, s[0:3], 0 offen
	s_waitcnt vmcnt(3)
	buffer_store_dword v7, v3, s[0:3], 0 offen offset:4
.LBB110_370:
	global_load_dword v0, v0, s[12:13] offset:32
	s_waitcnt vmcnt(0)
	v_add_u32_e32 v0, -1, v0
	v_cmp_eq_u32_e32 vcc, 8, v0
	s_cbranch_vccnz .LBB110_372
; %bb.371:
	v_lshlrev_b32_e32 v0, 3, v0
	buffer_load_dword v3, v0, s[0:3], 0 offen
	buffer_load_dword v4, v0, s[0:3], 0 offen offset:4
	buffer_load_dword v5, off, s[0:3], 0 offset:68
	buffer_load_dword v6, off, s[0:3], 0 offset:64
	s_waitcnt vmcnt(3)
	buffer_store_dword v3, off, s[0:3], 0 offset:64
	s_waitcnt vmcnt(3)
	buffer_store_dword v4, off, s[0:3], 0 offset:68
	s_waitcnt vmcnt(3)
	buffer_store_dword v5, v0, s[0:3], 0 offen offset:4
	s_waitcnt vmcnt(3)
	buffer_store_dword v6, v0, s[0:3], 0 offen
.LBB110_372:
	v_mov_b32_e32 v0, 0
	global_load_dword v3, v0, s[12:13] offset:28
	s_waitcnt vmcnt(0)
	v_add_u32_e32 v95, -1, v3
	v_cmp_eq_u32_e32 vcc, 7, v95
	s_cbranch_vccnz .LBB110_374
; %bb.373:
	v_lshlrev_b32_e32 v3, 3, v95
	buffer_load_dword v4, v3, s[0:3], 0 offen
	buffer_load_dword v5, v3, s[0:3], 0 offen offset:4
	buffer_load_dword v6, off, s[0:3], 0 offset:56
	buffer_load_dword v7, off, s[0:3], 0 offset:60
	s_waitcnt vmcnt(3)
	buffer_store_dword v4, off, s[0:3], 0 offset:56
	s_waitcnt vmcnt(3)
	buffer_store_dword v5, off, s[0:3], 0 offset:60
	s_waitcnt vmcnt(3)
	buffer_store_dword v6, v3, s[0:3], 0 offen
	s_waitcnt vmcnt(3)
	buffer_store_dword v7, v3, s[0:3], 0 offen offset:4
.LBB110_374:
	global_load_dword v0, v0, s[12:13] offset:24
	s_waitcnt vmcnt(0)
	v_add_u32_e32 v0, -1, v0
	v_cmp_eq_u32_e32 vcc, 6, v0
	s_cbranch_vccnz .LBB110_376
; %bb.375:
	v_lshlrev_b32_e32 v0, 3, v0
	buffer_load_dword v3, v0, s[0:3], 0 offen
	buffer_load_dword v4, v0, s[0:3], 0 offen offset:4
	buffer_load_dword v5, off, s[0:3], 0 offset:52
	buffer_load_dword v6, off, s[0:3], 0 offset:48
	s_waitcnt vmcnt(3)
	buffer_store_dword v3, off, s[0:3], 0 offset:48
	s_waitcnt vmcnt(3)
	buffer_store_dword v4, off, s[0:3], 0 offset:52
	s_waitcnt vmcnt(3)
	buffer_store_dword v5, v0, s[0:3], 0 offen offset:4
	s_waitcnt vmcnt(3)
	buffer_store_dword v6, v0, s[0:3], 0 offen
.LBB110_376:
	v_mov_b32_e32 v0, 0
	global_load_dword v3, v0, s[12:13] offset:20
	s_waitcnt vmcnt(0)
	v_add_u32_e32 v95, -1, v3
	v_cmp_eq_u32_e32 vcc, 5, v95
	s_cbranch_vccnz .LBB110_378
; %bb.377:
	v_lshlrev_b32_e32 v3, 3, v95
	buffer_load_dword v4, v3, s[0:3], 0 offen
	buffer_load_dword v5, v3, s[0:3], 0 offen offset:4
	buffer_load_dword v6, off, s[0:3], 0 offset:40
	buffer_load_dword v7, off, s[0:3], 0 offset:44
	s_waitcnt vmcnt(3)
	buffer_store_dword v4, off, s[0:3], 0 offset:40
	s_waitcnt vmcnt(3)
	buffer_store_dword v5, off, s[0:3], 0 offset:44
	s_waitcnt vmcnt(3)
	buffer_store_dword v6, v3, s[0:3], 0 offen
	s_waitcnt vmcnt(3)
	buffer_store_dword v7, v3, s[0:3], 0 offen offset:4
.LBB110_378:
	global_load_dword v0, v0, s[12:13] offset:16
	s_waitcnt vmcnt(0)
	v_add_u32_e32 v0, -1, v0
	v_cmp_eq_u32_e32 vcc, 4, v0
	s_cbranch_vccnz .LBB110_380
; %bb.379:
	v_lshlrev_b32_e32 v0, 3, v0
	buffer_load_dword v3, v0, s[0:3], 0 offen
	buffer_load_dword v4, v0, s[0:3], 0 offen offset:4
	buffer_load_dword v5, off, s[0:3], 0 offset:36
	buffer_load_dword v6, off, s[0:3], 0 offset:32
	s_waitcnt vmcnt(3)
	buffer_store_dword v3, off, s[0:3], 0 offset:32
	s_waitcnt vmcnt(3)
	buffer_store_dword v4, off, s[0:3], 0 offset:36
	s_waitcnt vmcnt(3)
	buffer_store_dword v5, v0, s[0:3], 0 offen offset:4
	s_waitcnt vmcnt(3)
	buffer_store_dword v6, v0, s[0:3], 0 offen
.LBB110_380:
	v_mov_b32_e32 v0, 0
	global_load_dword v3, v0, s[12:13] offset:12
	s_waitcnt vmcnt(0)
	v_add_u32_e32 v95, -1, v3
	v_cmp_eq_u32_e32 vcc, 3, v95
	s_cbranch_vccnz .LBB110_382
; %bb.381:
	v_lshlrev_b32_e32 v3, 3, v95
	buffer_load_dword v4, v3, s[0:3], 0 offen
	buffer_load_dword v5, v3, s[0:3], 0 offen offset:4
	buffer_load_dword v6, off, s[0:3], 0 offset:24
	buffer_load_dword v7, off, s[0:3], 0 offset:28
	s_waitcnt vmcnt(3)
	buffer_store_dword v4, off, s[0:3], 0 offset:24
	s_waitcnt vmcnt(3)
	buffer_store_dword v5, off, s[0:3], 0 offset:28
	s_waitcnt vmcnt(3)
	buffer_store_dword v6, v3, s[0:3], 0 offen
	s_waitcnt vmcnt(3)
	buffer_store_dword v7, v3, s[0:3], 0 offen offset:4
.LBB110_382:
	global_load_dword v0, v0, s[12:13] offset:8
	s_waitcnt vmcnt(0)
	v_add_u32_e32 v0, -1, v0
	v_cmp_eq_u32_e32 vcc, 2, v0
	s_cbranch_vccnz .LBB110_384
; %bb.383:
	v_lshlrev_b32_e32 v0, 3, v0
	buffer_load_dword v3, v0, s[0:3], 0 offen
	buffer_load_dword v4, v0, s[0:3], 0 offen offset:4
	buffer_load_dword v5, off, s[0:3], 0 offset:20
	buffer_load_dword v6, off, s[0:3], 0 offset:16
	s_waitcnt vmcnt(3)
	buffer_store_dword v3, off, s[0:3], 0 offset:16
	s_waitcnt vmcnt(3)
	buffer_store_dword v4, off, s[0:3], 0 offset:20
	s_waitcnt vmcnt(3)
	buffer_store_dword v5, v0, s[0:3], 0 offen offset:4
	s_waitcnt vmcnt(3)
	buffer_store_dword v6, v0, s[0:3], 0 offen
.LBB110_384:
	v_mov_b32_e32 v0, 0
	global_load_dword v3, v0, s[12:13] offset:4
	s_waitcnt vmcnt(0)
	v_add_u32_e32 v95, -1, v3
	v_cmp_eq_u32_e32 vcc, 1, v95
	s_cbranch_vccnz .LBB110_386
; %bb.385:
	v_lshlrev_b32_e32 v3, 3, v95
	buffer_load_dword v4, v3, s[0:3], 0 offen
	buffer_load_dword v5, v3, s[0:3], 0 offen offset:4
	buffer_load_dword v6, off, s[0:3], 0 offset:8
	buffer_load_dword v7, off, s[0:3], 0 offset:12
	s_waitcnt vmcnt(3)
	buffer_store_dword v4, off, s[0:3], 0 offset:8
	s_waitcnt vmcnt(3)
	buffer_store_dword v5, off, s[0:3], 0 offset:12
	s_waitcnt vmcnt(3)
	buffer_store_dword v6, v3, s[0:3], 0 offen
	s_waitcnt vmcnt(3)
	buffer_store_dword v7, v3, s[0:3], 0 offen offset:4
.LBB110_386:
	global_load_dword v0, v0, s[12:13]
	s_waitcnt vmcnt(0)
	v_add_u32_e32 v0, -1, v0
	v_cmp_eq_u32_e32 vcc, 0, v0
	s_cbranch_vccnz .LBB110_388
; %bb.387:
	v_lshlrev_b32_e32 v0, 3, v0
	buffer_load_dword v3, v0, s[0:3], 0 offen
	buffer_load_dword v4, v0, s[0:3], 0 offen offset:4
	buffer_load_dword v5, off, s[0:3], 0 offset:4
	buffer_load_dword v6, off, s[0:3], 0
	s_waitcnt vmcnt(3)
	buffer_store_dword v3, off, s[0:3], 0
	s_waitcnt vmcnt(3)
	buffer_store_dword v4, off, s[0:3], 0 offset:4
	s_waitcnt vmcnt(3)
	buffer_store_dword v5, v0, s[0:3], 0 offen offset:4
	s_waitcnt vmcnt(3)
	buffer_store_dword v6, v0, s[0:3], 0 offen
.LBB110_388:
	buffer_load_dword v95, off, s[0:3], 0
	buffer_load_dword v96, off, s[0:3], 0 offset:4
	s_waitcnt vmcnt(0)
	flat_store_dwordx2 v[1:2], v[95:96]
	buffer_load_dword v0, off, s[0:3], 0 offset:8
	s_nop 0
	buffer_load_dword v1, off, s[0:3], 0 offset:12
	buffer_load_dword v2, off, s[0:3], 0 offset:376 ; 4-byte Folded Reload
	buffer_load_dword v3, off, s[0:3], 0 offset:380 ; 4-byte Folded Reload
	s_waitcnt vmcnt(0)
	flat_store_dwordx2 v[2:3], v[0:1]
	buffer_load_dword v0, off, s[0:3], 0 offset:16
	s_nop 0
	buffer_load_dword v1, off, s[0:3], 0 offset:20
	buffer_load_dword v2, off, s[0:3], 0 offset:384 ; 4-byte Folded Reload
	buffer_load_dword v3, off, s[0:3], 0 offset:388 ; 4-byte Folded Reload
	;; [unrolled: 7-line block ×14, first 2 shown]
	s_waitcnt vmcnt(0)
	flat_store_dwordx2 v[2:3], v[0:1]
	buffer_load_dword v0, off, s[0:3], 0 offset:120
	s_nop 0
	buffer_load_dword v1, off, s[0:3], 0 offset:124
	s_waitcnt vmcnt(0)
	flat_store_dwordx2 v[31:32], v[0:1]
	buffer_load_dword v0, off, s[0:3], 0 offset:128
	s_nop 0
	buffer_load_dword v1, off, s[0:3], 0 offset:132
	;; [unrolled: 5-line block ×32, first 2 shown]
	s_waitcnt vmcnt(0)
	flat_store_dwordx2 v[93:94], v[0:1]
	s_endpgm
	.section	.rodata,"a",@progbits
	.p2align	6, 0x0
	.amdhsa_kernel _ZN9rocsolver6v33100L18getri_kernel_smallILi47E19rocblas_complex_numIfEPKPS3_EEvT1_iilPiilS8_bb
		.amdhsa_group_segment_fixed_size 760
		.amdhsa_private_segment_fixed_size 496
		.amdhsa_kernarg_size 60
		.amdhsa_user_sgpr_count 6
		.amdhsa_user_sgpr_private_segment_buffer 1
		.amdhsa_user_sgpr_dispatch_ptr 0
		.amdhsa_user_sgpr_queue_ptr 0
		.amdhsa_user_sgpr_kernarg_segment_ptr 1
		.amdhsa_user_sgpr_dispatch_id 0
		.amdhsa_user_sgpr_flat_scratch_init 0
		.amdhsa_user_sgpr_private_segment_size 0
		.amdhsa_uses_dynamic_stack 0
		.amdhsa_system_sgpr_private_segment_wavefront_offset 1
		.amdhsa_system_sgpr_workgroup_id_x 1
		.amdhsa_system_sgpr_workgroup_id_y 0
		.amdhsa_system_sgpr_workgroup_id_z 0
		.amdhsa_system_sgpr_workgroup_info 0
		.amdhsa_system_vgpr_workitem_id 0
		.amdhsa_next_free_vgpr 256
		.amdhsa_next_free_sgpr 21
		.amdhsa_reserve_vcc 1
		.amdhsa_reserve_flat_scratch 0
		.amdhsa_float_round_mode_32 0
		.amdhsa_float_round_mode_16_64 0
		.amdhsa_float_denorm_mode_32 3
		.amdhsa_float_denorm_mode_16_64 3
		.amdhsa_dx10_clamp 1
		.amdhsa_ieee_mode 1
		.amdhsa_fp16_overflow 0
		.amdhsa_exception_fp_ieee_invalid_op 0
		.amdhsa_exception_fp_denorm_src 0
		.amdhsa_exception_fp_ieee_div_zero 0
		.amdhsa_exception_fp_ieee_overflow 0
		.amdhsa_exception_fp_ieee_underflow 0
		.amdhsa_exception_fp_ieee_inexact 0
		.amdhsa_exception_int_div_zero 0
	.end_amdhsa_kernel
	.section	.text._ZN9rocsolver6v33100L18getri_kernel_smallILi47E19rocblas_complex_numIfEPKPS3_EEvT1_iilPiilS8_bb,"axG",@progbits,_ZN9rocsolver6v33100L18getri_kernel_smallILi47E19rocblas_complex_numIfEPKPS3_EEvT1_iilPiilS8_bb,comdat
.Lfunc_end110:
	.size	_ZN9rocsolver6v33100L18getri_kernel_smallILi47E19rocblas_complex_numIfEPKPS3_EEvT1_iilPiilS8_bb, .Lfunc_end110-_ZN9rocsolver6v33100L18getri_kernel_smallILi47E19rocblas_complex_numIfEPKPS3_EEvT1_iilPiilS8_bb
                                        ; -- End function
	.set _ZN9rocsolver6v33100L18getri_kernel_smallILi47E19rocblas_complex_numIfEPKPS3_EEvT1_iilPiilS8_bb.num_vgpr, 256
	.set _ZN9rocsolver6v33100L18getri_kernel_smallILi47E19rocblas_complex_numIfEPKPS3_EEvT1_iilPiilS8_bb.num_agpr, 0
	.set _ZN9rocsolver6v33100L18getri_kernel_smallILi47E19rocblas_complex_numIfEPKPS3_EEvT1_iilPiilS8_bb.numbered_sgpr, 21
	.set _ZN9rocsolver6v33100L18getri_kernel_smallILi47E19rocblas_complex_numIfEPKPS3_EEvT1_iilPiilS8_bb.num_named_barrier, 0
	.set _ZN9rocsolver6v33100L18getri_kernel_smallILi47E19rocblas_complex_numIfEPKPS3_EEvT1_iilPiilS8_bb.private_seg_size, 496
	.set _ZN9rocsolver6v33100L18getri_kernel_smallILi47E19rocblas_complex_numIfEPKPS3_EEvT1_iilPiilS8_bb.uses_vcc, 1
	.set _ZN9rocsolver6v33100L18getri_kernel_smallILi47E19rocblas_complex_numIfEPKPS3_EEvT1_iilPiilS8_bb.uses_flat_scratch, 0
	.set _ZN9rocsolver6v33100L18getri_kernel_smallILi47E19rocblas_complex_numIfEPKPS3_EEvT1_iilPiilS8_bb.has_dyn_sized_stack, 0
	.set _ZN9rocsolver6v33100L18getri_kernel_smallILi47E19rocblas_complex_numIfEPKPS3_EEvT1_iilPiilS8_bb.has_recursion, 0
	.set _ZN9rocsolver6v33100L18getri_kernel_smallILi47E19rocblas_complex_numIfEPKPS3_EEvT1_iilPiilS8_bb.has_indirect_call, 0
	.section	.AMDGPU.csdata,"",@progbits
; Kernel info:
; codeLenInByte = 84328
; TotalNumSgprs: 25
; NumVgprs: 256
; ScratchSize: 496
; MemoryBound: 0
; FloatMode: 240
; IeeeMode: 1
; LDSByteSize: 760 bytes/workgroup (compile time only)
; SGPRBlocks: 3
; VGPRBlocks: 63
; NumSGPRsForWavesPerEU: 25
; NumVGPRsForWavesPerEU: 256
; Occupancy: 1
; WaveLimiterHint : 1
; COMPUTE_PGM_RSRC2:SCRATCH_EN: 1
; COMPUTE_PGM_RSRC2:USER_SGPR: 6
; COMPUTE_PGM_RSRC2:TRAP_HANDLER: 0
; COMPUTE_PGM_RSRC2:TGID_X_EN: 1
; COMPUTE_PGM_RSRC2:TGID_Y_EN: 0
; COMPUTE_PGM_RSRC2:TGID_Z_EN: 0
; COMPUTE_PGM_RSRC2:TIDIG_COMP_CNT: 0
	.section	.text._ZN9rocsolver6v33100L18getri_kernel_smallILi48E19rocblas_complex_numIfEPKPS3_EEvT1_iilPiilS8_bb,"axG",@progbits,_ZN9rocsolver6v33100L18getri_kernel_smallILi48E19rocblas_complex_numIfEPKPS3_EEvT1_iilPiilS8_bb,comdat
	.globl	_ZN9rocsolver6v33100L18getri_kernel_smallILi48E19rocblas_complex_numIfEPKPS3_EEvT1_iilPiilS8_bb ; -- Begin function _ZN9rocsolver6v33100L18getri_kernel_smallILi48E19rocblas_complex_numIfEPKPS3_EEvT1_iilPiilS8_bb
	.p2align	8
	.type	_ZN9rocsolver6v33100L18getri_kernel_smallILi48E19rocblas_complex_numIfEPKPS3_EEvT1_iilPiilS8_bb,@function
_ZN9rocsolver6v33100L18getri_kernel_smallILi48E19rocblas_complex_numIfEPKPS3_EEvT1_iilPiilS8_bb: ; @_ZN9rocsolver6v33100L18getri_kernel_smallILi48E19rocblas_complex_numIfEPKPS3_EEvT1_iilPiilS8_bb
; %bb.0:
	s_add_u32 s0, s0, s7
	s_addc_u32 s1, s1, 0
	v_cmp_gt_u32_e32 vcc, 48, v0
	s_and_saveexec_b64 s[8:9], vcc
	s_cbranch_execz .LBB111_206
; %bb.1:
	s_load_dword s18, s[4:5], 0x38
	s_load_dwordx2 s[12:13], s[4:5], 0x0
	s_load_dwordx4 s[8:11], s[4:5], 0x28
	s_waitcnt lgkmcnt(0)
	s_bitcmp1_b32 s18, 8
	s_cselect_b64 s[14:15], -1, 0
	s_ashr_i32 s7, s6, 31
	s_lshl_b64 s[16:17], s[6:7], 3
	s_add_u32 s12, s12, s16
	s_addc_u32 s13, s13, s17
	s_load_dwordx2 s[16:17], s[12:13], 0x0
	s_bfe_u32 s12, s18, 0x10008
	s_cmp_eq_u32 s12, 0
                                        ; implicit-def: $sgpr12_sgpr13
	s_cbranch_scc1 .LBB111_3
; %bb.2:
	s_load_dword s12, s[4:5], 0x20
	s_load_dwordx2 s[18:19], s[4:5], 0x18
	s_mul_i32 s13, s8, s7
	s_mul_hi_u32 s20, s8, s6
	s_add_i32 s20, s20, s13
	s_mul_i32 s9, s9, s6
	s_add_i32 s9, s20, s9
	s_mul_i32 s8, s8, s6
	s_waitcnt lgkmcnt(0)
	s_ashr_i32 s13, s12, 31
	s_lshl_b64 s[8:9], s[8:9], 2
	s_add_u32 s18, s18, s8
	s_addc_u32 s19, s19, s9
	s_lshl_b64 s[8:9], s[12:13], 2
	s_add_u32 s12, s18, s8
	s_addc_u32 s13, s19, s9
.LBB111_3:
	s_load_dwordx2 s[8:9], s[4:5], 0x8
	s_load_dword s18, s[4:5], 0x38
	v_lshlrev_b32_e32 v99, 3, v0
	s_waitcnt lgkmcnt(0)
	s_ashr_i32 s5, s8, 31
	s_mov_b32 s4, s8
	s_lshl_b64 s[4:5], s[4:5], 3
	s_add_u32 s4, s16, s4
	s_addc_u32 s5, s17, s5
	v_mov_b32_e32 v2, s5
	v_add_co_u32_e32 v1, vcc, s4, v99
	v_addc_co_u32_e32 v2, vcc, 0, v2, vcc
	flat_load_dwordx2 v[5:6], v[1:2]
	s_mov_b32 s16, s9
	s_ashr_i32 s17, s9, 31
	s_lshl_b64 s[16:17], s[16:17], 3
	v_mov_b32_e32 v4, s17
	v_add_co_u32_e32 v3, vcc, s16, v1
	v_addc_co_u32_e32 v4, vcc, v2, v4, vcc
	s_add_i32 s8, s9, s9
	v_add_u32_e32 v9, s8, v0
	v_ashrrev_i32_e32 v10, 31, v9
	v_mov_b32_e32 v11, s5
	v_add_u32_e32 v12, s9, v9
	v_ashrrev_i32_e32 v13, 31, v12
	v_mov_b32_e32 v14, s5
	v_mov_b32_e32 v15, s5
	v_mov_b32_e32 v17, s5
	v_mov_b32_e32 v20, s5
	v_mov_b32_e32 v21, s5
	v_mov_b32_e32 v23, s5
	v_mov_b32_e32 v26, s5
	v_mov_b32_e32 v27, s5
	v_mov_b32_e32 v29, s5
	v_mov_b32_e32 v32, s5
	v_mov_b32_e32 v33, s5
	v_mov_b32_e32 v35, s5
	v_mov_b32_e32 v38, s5
	v_mov_b32_e32 v39, s5
	v_mov_b32_e32 v41, s5
	v_mov_b32_e32 v44, s5
	v_mov_b32_e32 v45, s5
	v_mov_b32_e32 v47, s5
	v_mov_b32_e32 v50, s5
	v_mov_b32_e32 v51, s5
	v_mov_b32_e32 v53, s5
	v_mov_b32_e32 v56, s5
	v_mov_b32_e32 v57, s5
	v_mov_b32_e32 v59, s5
	v_mov_b32_e32 v62, s5
	v_mov_b32_e32 v63, s5
	v_mov_b32_e32 v65, s5
	v_mov_b32_e32 v68, s5
	v_mov_b32_e32 v69, s5
	v_mov_b32_e32 v71, s5
	v_mov_b32_e32 v74, s5
	v_mov_b32_e32 v75, s5
	v_mov_b32_e32 v77, s5
	v_mov_b32_e32 v80, s5
	v_mov_b32_e32 v81, s5
	v_mov_b32_e32 v83, s5
	v_mov_b32_e32 v86, s5
	v_mov_b32_e32 v87, s5
	v_mov_b32_e32 v89, s5
	v_mov_b32_e32 v92, s5
	v_mov_b32_e32 v93, s5
	v_mov_b32_e32 v95, s5
	v_mov_b32_e32 v98, s5
	v_mov_b32_e32 v100, s5
	s_bitcmp0_b32 s18, 0
	s_waitcnt vmcnt(0) lgkmcnt(0)
	buffer_store_dword v6, off, s[0:3], 0 offset:4
	buffer_store_dword v5, off, s[0:3], 0
	buffer_store_dword v3, off, s[0:3], 0 offset:384 ; 4-byte Folded Spill
	s_nop 0
	buffer_store_dword v4, off, s[0:3], 0 offset:388 ; 4-byte Folded Spill
	v_lshlrev_b64 v[5:6], 3, v[9:10]
	flat_load_dwordx2 v[7:8], v[3:4]
	v_add_co_u32_e32 v3, vcc, s4, v5
	v_addc_co_u32_e32 v4, vcc, v11, v6, vcc
	s_waitcnt vmcnt(0) lgkmcnt(0)
	buffer_store_dword v8, off, s[0:3], 0 offset:12
	buffer_store_dword v7, off, s[0:3], 0 offset:8
	buffer_store_dword v3, off, s[0:3], 0 offset:392 ; 4-byte Folded Spill
	s_nop 0
	buffer_store_dword v4, off, s[0:3], 0 offset:396 ; 4-byte Folded Spill
	v_lshlrev_b64 v[7:8], 3, v[12:13]
	flat_load_dwordx2 v[10:11], v[3:4]
	v_add_co_u32_e32 v3, vcc, s4, v7
	v_addc_co_u32_e32 v4, vcc, v14, v8, vcc
	s_waitcnt vmcnt(0) lgkmcnt(0)
	buffer_store_dword v11, off, s[0:3], 0 offset:20
	buffer_store_dword v10, off, s[0:3], 0 offset:16
	buffer_store_dword v3, off, s[0:3], 0 offset:400 ; 4-byte Folded Spill
	s_nop 0
	buffer_store_dword v4, off, s[0:3], 0 offset:404 ; 4-byte Folded Spill
	v_add_u32_e32 v11, s9, v12
	v_ashrrev_i32_e32 v12, 31, v11
	v_lshlrev_b64 v[9:10], 3, v[11:12]
	flat_load_dwordx2 v[13:14], v[3:4]
	v_add_co_u32_e32 v3, vcc, s4, v9
	v_addc_co_u32_e32 v4, vcc, v15, v10, vcc
	v_add_u32_e32 v15, s9, v11
	v_ashrrev_i32_e32 v16, 31, v15
	v_lshlrev_b64 v[11:12], 3, v[15:16]
	v_add_u32_e32 v18, s9, v15
	v_ashrrev_i32_e32 v19, 31, v18
	s_waitcnt vmcnt(0) lgkmcnt(0)
	buffer_store_dword v14, off, s[0:3], 0 offset:28
	buffer_store_dword v13, off, s[0:3], 0 offset:24
	buffer_store_dword v3, off, s[0:3], 0 offset:408 ; 4-byte Folded Spill
	s_nop 0
	buffer_store_dword v4, off, s[0:3], 0 offset:412 ; 4-byte Folded Spill
	flat_load_dwordx2 v[13:14], v[3:4]
	v_add_co_u32_e32 v3, vcc, s4, v11
	v_addc_co_u32_e32 v4, vcc, v17, v12, vcc
	s_waitcnt vmcnt(0) lgkmcnt(0)
	buffer_store_dword v14, off, s[0:3], 0 offset:36
	buffer_store_dword v13, off, s[0:3], 0 offset:32
	buffer_store_dword v3, off, s[0:3], 0 offset:416 ; 4-byte Folded Spill
	s_nop 0
	buffer_store_dword v4, off, s[0:3], 0 offset:420 ; 4-byte Folded Spill
	v_lshlrev_b64 v[13:14], 3, v[18:19]
	flat_load_dwordx2 v[16:17], v[3:4]
	v_add_co_u32_e32 v3, vcc, s4, v13
	v_addc_co_u32_e32 v4, vcc, v20, v14, vcc
	s_waitcnt vmcnt(0) lgkmcnt(0)
	buffer_store_dword v17, off, s[0:3], 0 offset:44
	buffer_store_dword v16, off, s[0:3], 0 offset:40
	buffer_store_dword v3, off, s[0:3], 0 offset:424 ; 4-byte Folded Spill
	s_nop 0
	buffer_store_dword v4, off, s[0:3], 0 offset:428 ; 4-byte Folded Spill
	v_add_u32_e32 v17, s9, v18
	v_ashrrev_i32_e32 v18, 31, v17
	v_lshlrev_b64 v[15:16], 3, v[17:18]
	flat_load_dwordx2 v[19:20], v[3:4]
	v_add_co_u32_e32 v3, vcc, s4, v15
	v_addc_co_u32_e32 v4, vcc, v21, v16, vcc
	v_add_u32_e32 v21, s9, v17
	v_ashrrev_i32_e32 v22, 31, v21
	v_lshlrev_b64 v[17:18], 3, v[21:22]
	v_add_u32_e32 v24, s9, v21
	v_ashrrev_i32_e32 v25, 31, v24
	s_waitcnt vmcnt(0) lgkmcnt(0)
	buffer_store_dword v20, off, s[0:3], 0 offset:52
	buffer_store_dword v19, off, s[0:3], 0 offset:48
	buffer_store_dword v3, off, s[0:3], 0 offset:432 ; 4-byte Folded Spill
	s_nop 0
	buffer_store_dword v4, off, s[0:3], 0 offset:436 ; 4-byte Folded Spill
	;; [unrolled: 36-line block ×5, first 2 shown]
	flat_load_dwordx2 v[37:38], v[3:4]
	v_add_co_u32_e32 v3, vcc, s4, v35
	v_addc_co_u32_e32 v4, vcc, v41, v36, vcc
	s_waitcnt vmcnt(0) lgkmcnt(0)
	buffer_store_dword v38, off, s[0:3], 0 offset:132
	buffer_store_dword v37, off, s[0:3], 0 offset:128
	buffer_store_dword v3, off, s[0:3], 0 offset:512 ; 4-byte Folded Spill
	s_nop 0
	buffer_store_dword v4, off, s[0:3], 0 offset:516 ; 4-byte Folded Spill
	v_lshlrev_b64 v[37:38], 3, v[42:43]
	v_add_co_u32_e32 v37, vcc, s4, v37
	v_addc_co_u32_e32 v38, vcc, v44, v38, vcc
	flat_load_dwordx2 v[40:41], v[3:4]
	s_waitcnt vmcnt(0) lgkmcnt(0)
	buffer_store_dword v41, off, s[0:3], 0 offset:140
	buffer_store_dword v40, off, s[0:3], 0 offset:136
	flat_load_dwordx2 v[43:44], v[37:38]
	v_add_u32_e32 v41, s9, v42
	v_ashrrev_i32_e32 v42, 31, v41
	v_lshlrev_b64 v[39:40], 3, v[41:42]
	s_waitcnt vmcnt(0) lgkmcnt(0)
	buffer_store_dword v44, off, s[0:3], 0 offset:148
	buffer_store_dword v43, off, s[0:3], 0 offset:144
	v_add_co_u32_e32 v39, vcc, s4, v39
	v_addc_co_u32_e32 v40, vcc, v45, v40, vcc
	flat_load_dwordx2 v[43:44], v[39:40]
	v_add_u32_e32 v45, s9, v41
	v_ashrrev_i32_e32 v46, 31, v45
	v_lshlrev_b64 v[41:42], 3, v[45:46]
	v_add_u32_e32 v48, s9, v45
	v_add_co_u32_e32 v41, vcc, s4, v41
	v_addc_co_u32_e32 v42, vcc, v47, v42, vcc
	v_ashrrev_i32_e32 v49, 31, v48
	s_waitcnt vmcnt(0) lgkmcnt(0)
	buffer_store_dword v44, off, s[0:3], 0 offset:156
	buffer_store_dword v43, off, s[0:3], 0 offset:152
	flat_load_dwordx2 v[46:47], v[41:42]
	v_lshlrev_b64 v[43:44], 3, v[48:49]
	s_waitcnt vmcnt(0) lgkmcnt(0)
	buffer_store_dword v47, off, s[0:3], 0 offset:164
	buffer_store_dword v46, off, s[0:3], 0 offset:160
	v_add_co_u32_e32 v43, vcc, s4, v43
	v_addc_co_u32_e32 v44, vcc, v50, v44, vcc
	flat_load_dwordx2 v[49:50], v[43:44]
	v_add_u32_e32 v47, s9, v48
	v_ashrrev_i32_e32 v48, 31, v47
	v_lshlrev_b64 v[45:46], 3, v[47:48]
	s_waitcnt vmcnt(0) lgkmcnt(0)
	buffer_store_dword v50, off, s[0:3], 0 offset:172
	buffer_store_dword v49, off, s[0:3], 0 offset:168
	v_add_co_u32_e32 v45, vcc, s4, v45
	v_addc_co_u32_e32 v46, vcc, v51, v46, vcc
	flat_load_dwordx2 v[49:50], v[45:46]
	v_add_u32_e32 v51, s9, v47
	v_ashrrev_i32_e32 v52, 31, v51
	v_lshlrev_b64 v[47:48], 3, v[51:52]
	v_add_u32_e32 v54, s9, v51
	v_add_co_u32_e32 v47, vcc, s4, v47
	v_addc_co_u32_e32 v48, vcc, v53, v48, vcc
	v_ashrrev_i32_e32 v55, 31, v54
	s_waitcnt vmcnt(0) lgkmcnt(0)
	buffer_store_dword v50, off, s[0:3], 0 offset:180
	buffer_store_dword v49, off, s[0:3], 0 offset:176
	flat_load_dwordx2 v[52:53], v[47:48]
	v_lshlrev_b64 v[49:50], 3, v[54:55]
	s_waitcnt vmcnt(0) lgkmcnt(0)
	buffer_store_dword v53, off, s[0:3], 0 offset:188
	buffer_store_dword v52, off, s[0:3], 0 offset:184
	v_add_co_u32_e32 v49, vcc, s4, v49
	v_addc_co_u32_e32 v50, vcc, v56, v50, vcc
	;; [unrolled: 27-line block ×8, first 2 shown]
	flat_load_dwordx2 v[91:92], v[85:86]
	v_add_u32_e32 v89, s9, v90
	v_ashrrev_i32_e32 v90, 31, v89
	v_lshlrev_b64 v[87:88], 3, v[89:90]
	s_waitcnt vmcnt(0) lgkmcnt(0)
	buffer_store_dword v92, off, s[0:3], 0 offset:340
	buffer_store_dword v91, off, s[0:3], 0 offset:336
	v_add_co_u32_e32 v87, vcc, s4, v87
	v_addc_co_u32_e32 v88, vcc, v93, v88, vcc
	flat_load_dwordx2 v[91:92], v[87:88]
	v_add_u32_e32 v93, s9, v89
	v_ashrrev_i32_e32 v94, 31, v93
	v_lshlrev_b64 v[89:90], 3, v[93:94]
	v_add_u32_e32 v96, s9, v93
	v_add_co_u32_e32 v89, vcc, s4, v89
	v_addc_co_u32_e32 v90, vcc, v95, v90, vcc
	s_waitcnt vmcnt(0) lgkmcnt(0)
	buffer_store_dword v92, off, s[0:3], 0 offset:348
	buffer_store_dword v91, off, s[0:3], 0 offset:344
	flat_load_dwordx2 v[94:95], v[89:90]
	v_ashrrev_i32_e32 v97, 31, v96
	v_lshlrev_b64 v[91:92], 3, v[96:97]
	s_waitcnt vmcnt(0) lgkmcnt(0)
	buffer_store_dword v95, off, s[0:3], 0 offset:356
	buffer_store_dword v94, off, s[0:3], 0 offset:352
	v_add_co_u32_e32 v91, vcc, s4, v91
	v_addc_co_u32_e32 v92, vcc, v98, v92, vcc
	flat_load_dwordx2 v[97:98], v[91:92]
	v_add_u32_e32 v95, s9, v96
	v_ashrrev_i32_e32 v96, 31, v95
	v_lshlrev_b64 v[93:94], 3, v[95:96]
	s_waitcnt vmcnt(0) lgkmcnt(0)
	buffer_store_dword v98, off, s[0:3], 0 offset:364
	buffer_store_dword v97, off, s[0:3], 0 offset:360
	v_add_co_u32_e32 v93, vcc, s4, v93
	v_addc_co_u32_e32 v94, vcc, v100, v94, vcc
	flat_load_dwordx2 v[97:98], v[93:94]
	v_add_u32_e32 v95, s9, v95
	v_ashrrev_i32_e32 v96, 31, v95
	v_lshlrev_b64 v[95:96], 3, v[95:96]
	s_waitcnt vmcnt(0) lgkmcnt(0)
	buffer_store_dword v98, off, s[0:3], 0 offset:372
	buffer_store_dword v97, off, s[0:3], 0 offset:368
	v_add_co_u32_e32 v95, vcc, s4, v95
	v_addc_co_u32_e32 v96, vcc, v100, v96, vcc
	flat_load_dwordx2 v[97:98], v[95:96]
	s_mov_b64 s[8:9], -1
	s_waitcnt vmcnt(0) lgkmcnt(0)
	buffer_store_dword v98, off, s[0:3], 0 offset:380
	buffer_store_dword v97, off, s[0:3], 0 offset:376
	s_cbranch_scc1 .LBB111_204
; %bb.4:
	v_cmp_eq_u32_e64 s[4:5], 0, v0
	s_and_saveexec_b64 s[8:9], s[4:5]
; %bb.5:
	v_mov_b32_e32 v97, 0
	ds_write_b32 v97, v97 offset:768
; %bb.6:
	s_or_b64 exec, exec, s[8:9]
	v_mov_b32_e32 v97, 0
	v_lshl_add_u32 v101, v0, 3, v97
	s_waitcnt lgkmcnt(0)
	; wave barrier
	buffer_load_dword v97, v101, s[0:3], 0 offen
	buffer_load_dword v98, v101, s[0:3], 0 offen offset:4
	s_waitcnt vmcnt(1)
	v_cmp_eq_f32_e32 vcc, 0, v97
	s_waitcnt vmcnt(0)
	v_cmp_eq_f32_e64 s[8:9], 0, v98
	s_and_b64 s[8:9], vcc, s[8:9]
	s_and_saveexec_b64 s[16:17], s[8:9]
	s_cbranch_execz .LBB111_10
; %bb.7:
	v_mov_b32_e32 v97, 0
	ds_read_b32 v100, v97 offset:768
	v_add_u32_e32 v98, 1, v0
	s_waitcnt lgkmcnt(0)
	v_readfirstlane_b32 s8, v100
	s_cmp_eq_u32 s8, 0
	s_cselect_b64 s[18:19], -1, 0
	v_cmp_gt_i32_e32 vcc, s8, v98
	s_or_b64 s[18:19], s[18:19], vcc
	s_and_b64 exec, exec, s[18:19]
	s_cbranch_execz .LBB111_10
; %bb.8:
	s_mov_b64 s[18:19], 0
	v_mov_b32_e32 v100, s8
.LBB111_9:                              ; =>This Inner Loop Header: Depth=1
	ds_cmpst_rtn_b32 v100, v97, v100, v98 offset:768
	s_waitcnt lgkmcnt(0)
	v_cmp_ne_u32_e32 vcc, 0, v100
	v_cmp_le_i32_e64 s[8:9], v100, v98
	s_and_b64 s[8:9], vcc, s[8:9]
	s_and_b64 s[8:9], exec, s[8:9]
	s_or_b64 s[18:19], s[8:9], s[18:19]
	s_andn2_b64 exec, exec, s[18:19]
	s_cbranch_execnz .LBB111_9
.LBB111_10:
	s_or_b64 exec, exec, s[16:17]
	v_mov_b32_e32 v98, 0
	; wave barrier
	ds_read_b32 v97, v98 offset:768
	s_and_saveexec_b64 s[8:9], s[4:5]
	s_cbranch_execz .LBB111_12
; %bb.11:
	s_lshl_b64 s[16:17], s[6:7], 2
	s_add_u32 s16, s10, s16
	s_addc_u32 s17, s11, s17
	s_waitcnt lgkmcnt(0)
	global_store_dword v98, v97, s[16:17]
.LBB111_12:
	s_or_b64 exec, exec, s[8:9]
	s_waitcnt lgkmcnt(0)
	v_cmp_ne_u32_e32 vcc, 0, v97
	s_mov_b64 s[8:9], 0
	s_cbranch_vccnz .LBB111_204
; %bb.13:
	buffer_load_dword v98, v101, s[0:3], 0 offen
	buffer_load_dword v100, v101, s[0:3], 0 offen offset:4
                                        ; implicit-def: $vgpr103
                                        ; implicit-def: $vgpr102
                                        ; implicit-def: $vgpr97
	s_waitcnt vmcnt(0)
	v_cmp_ngt_f32_e64 s[8:9], |v98|, |v100|
	s_and_saveexec_b64 s[16:17], s[8:9]
	s_xor_b64 s[8:9], exec, s[16:17]
	s_cbranch_execz .LBB111_15
; %bb.14:
	v_div_scale_f32 v97, s[16:17], v100, v100, v98
	v_div_scale_f32 v102, vcc, v98, v100, v98
	v_rcp_f32_e32 v103, v97
	v_fma_f32 v104, -v97, v103, 1.0
	v_fmac_f32_e32 v103, v104, v103
	v_mul_f32_e32 v104, v102, v103
	v_fma_f32 v105, -v97, v104, v102
	v_fmac_f32_e32 v104, v105, v103
	v_fma_f32 v97, -v97, v104, v102
	v_div_fmas_f32 v97, v97, v103, v104
	v_div_fixup_f32 v97, v97, v100, v98
	v_fmac_f32_e32 v100, v98, v97
	v_div_scale_f32 v98, s[16:17], v100, v100, 1.0
	v_div_scale_f32 v102, vcc, 1.0, v100, 1.0
	v_rcp_f32_e32 v103, v98
	v_fma_f32 v104, -v98, v103, 1.0
	v_fmac_f32_e32 v103, v104, v103
	v_mul_f32_e32 v104, v102, v103
	v_fma_f32 v105, -v98, v104, v102
	v_fmac_f32_e32 v104, v105, v103
	v_fma_f32 v98, -v98, v104, v102
	v_div_fmas_f32 v98, v98, v103, v104
	v_div_fixup_f32 v98, v98, v100, 1.0
	v_mul_f32_e32 v103, v97, v98
	v_xor_b32_e32 v102, 0x80000000, v98
	v_xor_b32_e32 v97, 0x80000000, v103
                                        ; implicit-def: $vgpr98
                                        ; implicit-def: $vgpr100
.LBB111_15:
	s_andn2_saveexec_b64 s[8:9], s[8:9]
	s_cbranch_execz .LBB111_17
; %bb.16:
	v_div_scale_f32 v97, s[16:17], v98, v98, v100
	v_div_scale_f32 v102, vcc, v100, v98, v100
	v_rcp_f32_e32 v103, v97
	v_fma_f32 v104, -v97, v103, 1.0
	v_fmac_f32_e32 v103, v104, v103
	v_mul_f32_e32 v104, v102, v103
	v_fma_f32 v105, -v97, v104, v102
	v_fmac_f32_e32 v104, v105, v103
	v_fma_f32 v97, -v97, v104, v102
	v_div_fmas_f32 v97, v97, v103, v104
	v_div_fixup_f32 v102, v97, v98, v100
	v_fmac_f32_e32 v98, v100, v102
	v_div_scale_f32 v97, s[16:17], v98, v98, 1.0
	v_div_scale_f32 v100, vcc, 1.0, v98, 1.0
	v_rcp_f32_e32 v103, v97
	v_fma_f32 v104, -v97, v103, 1.0
	v_fmac_f32_e32 v103, v104, v103
	v_mul_f32_e32 v104, v100, v103
	v_fma_f32 v105, -v97, v104, v100
	v_fmac_f32_e32 v104, v105, v103
	v_fma_f32 v97, -v97, v104, v100
	v_div_fmas_f32 v97, v97, v103, v104
	v_div_fixup_f32 v103, v97, v98, 1.0
	v_xor_b32_e32 v97, 0x80000000, v103
	v_mul_f32_e64 v102, v102, -v103
.LBB111_17:
	s_or_b64 exec, exec, s[8:9]
	buffer_store_dword v103, v101, s[0:3], 0 offen
	buffer_store_dword v102, v101, s[0:3], 0 offen offset:4
	buffer_load_dword v104, off, s[0:3], 0 offset:12
	s_nop 0
	buffer_load_dword v103, off, s[0:3], 0 offset:8
	v_xor_b32_e32 v98, 0x80000000, v102
	v_add_u32_e32 v100, 0x180, v99
	s_waitcnt vmcnt(0)
	ds_write2_b64 v99, v[97:98], v[103:104] offset1:48
	s_waitcnt lgkmcnt(0)
	; wave barrier
	s_and_saveexec_b64 s[8:9], s[4:5]
	s_cbranch_execz .LBB111_19
; %bb.18:
	buffer_load_dword v104, v101, s[0:3], 0 offen offset:4
	buffer_load_dword v105, v101, s[0:3], 0 offen
	ds_read_b64 v[97:98], v100
	v_mov_b32_e32 v102, 0
	ds_read_b64 v[102:103], v102 offset:8
	s_waitcnt vmcnt(1) lgkmcnt(1)
	v_mul_f32_e32 v106, v98, v104
	v_mul_f32_e32 v104, v97, v104
	s_waitcnt vmcnt(0)
	v_fmac_f32_e32 v104, v98, v105
	v_fma_f32 v97, v97, v105, -v106
	v_add_f32_e32 v98, 0, v104
	v_add_f32_e32 v97, 0, v97
	s_waitcnt lgkmcnt(0)
	v_mul_f32_e32 v104, v98, v103
	v_mul_f32_e32 v103, v97, v103
	v_fma_f32 v97, v97, v102, -v104
	v_fmac_f32_e32 v103, v98, v102
	buffer_store_dword v97, off, s[0:3], 0 offset:8
	buffer_store_dword v103, off, s[0:3], 0 offset:12
.LBB111_19:
	s_or_b64 exec, exec, s[8:9]
	; wave barrier
	buffer_load_dword v97, off, s[0:3], 0 offset:16
	buffer_load_dword v98, off, s[0:3], 0 offset:20
	v_cmp_gt_u32_e32 vcc, 2, v0
	s_waitcnt vmcnt(0)
	ds_write_b64 v100, v[97:98]
	s_waitcnt lgkmcnt(0)
	; wave barrier
	s_and_saveexec_b64 s[8:9], vcc
	s_cbranch_execz .LBB111_23
; %bb.20:
	buffer_load_dword v102, v101, s[0:3], 0 offen offset:4
	buffer_load_dword v103, v101, s[0:3], 0 offen
	ds_read_b64 v[97:98], v100
	s_waitcnt vmcnt(1) lgkmcnt(0)
	v_mul_f32_e32 v101, v98, v102
	v_mul_f32_e32 v102, v97, v102
	s_waitcnt vmcnt(0)
	v_fma_f32 v97, v97, v103, -v101
	v_fmac_f32_e32 v102, v98, v103
	v_add_f32_e32 v98, 0, v97
	v_add_f32_e32 v97, 0, v102
	s_and_saveexec_b64 s[16:17], s[4:5]
	s_cbranch_execz .LBB111_22
; %bb.21:
	buffer_load_dword v103, off, s[0:3], 0 offset:12
	buffer_load_dword v104, off, s[0:3], 0 offset:8
	v_mov_b32_e32 v101, 0
	ds_read_b64 v[101:102], v101 offset:392
	s_waitcnt vmcnt(1) lgkmcnt(0)
	v_mul_f32_e32 v105, v101, v103
	v_mul_f32_e32 v103, v102, v103
	s_waitcnt vmcnt(0)
	v_fmac_f32_e32 v105, v102, v104
	v_fma_f32 v101, v101, v104, -v103
	v_add_f32_e32 v97, v97, v105
	v_add_f32_e32 v98, v98, v101
.LBB111_22:
	s_or_b64 exec, exec, s[16:17]
	v_mov_b32_e32 v101, 0
	ds_read_b64 v[101:102], v101 offset:16
	s_waitcnt lgkmcnt(0)
	v_mul_f32_e32 v103, v97, v102
	v_mul_f32_e32 v102, v98, v102
	v_fma_f32 v98, v98, v101, -v103
	v_fmac_f32_e32 v102, v97, v101
	buffer_store_dword v98, off, s[0:3], 0 offset:16
	buffer_store_dword v102, off, s[0:3], 0 offset:20
.LBB111_23:
	s_or_b64 exec, exec, s[8:9]
	; wave barrier
	buffer_load_dword v97, off, s[0:3], 0 offset:24
	buffer_load_dword v98, off, s[0:3], 0 offset:28
	v_cmp_gt_u32_e32 vcc, 3, v0
	s_waitcnt vmcnt(0)
	ds_write_b64 v100, v[97:98]
	v_add_u32_e32 v97, -1, v0
	s_waitcnt lgkmcnt(0)
	; wave barrier
	s_and_saveexec_b64 s[4:5], vcc
	s_cbranch_execz .LBB111_27
; %bb.24:
	v_add_u32_e32 v101, -1, v0
	v_add_u32_e32 v102, 0x180, v99
	v_mov_b32_e32 v103, v99
	v_mov_b32_e32 v98, 0
	s_mov_b64 s[8:9], 0
	v_mov_b32_e32 v104, 0
.LBB111_25:                             ; =>This Inner Loop Header: Depth=1
	buffer_load_dword v107, v103, s[0:3], 0 offen offset:4
	buffer_load_dword v108, v103, s[0:3], 0 offen
	ds_read_b64 v[105:106], v102
	v_add_u32_e32 v101, 1, v101
	v_cmp_lt_u32_e32 vcc, 1, v101
	v_add_u32_e32 v102, 8, v102
	v_add_u32_e32 v103, 8, v103
	s_or_b64 s[8:9], vcc, s[8:9]
	s_waitcnt vmcnt(1) lgkmcnt(0)
	v_mul_f32_e32 v109, v106, v107
	v_mul_f32_e32 v107, v105, v107
	s_waitcnt vmcnt(0)
	v_fma_f32 v105, v105, v108, -v109
	v_fmac_f32_e32 v107, v106, v108
	v_add_f32_e32 v104, v104, v105
	v_add_f32_e32 v98, v98, v107
	s_andn2_b64 exec, exec, s[8:9]
	s_cbranch_execnz .LBB111_25
; %bb.26:
	s_or_b64 exec, exec, s[8:9]
	v_mov_b32_e32 v101, 0
	ds_read_b64 v[101:102], v101 offset:24
	s_waitcnt lgkmcnt(0)
	v_mul_f32_e32 v103, v98, v102
	v_mul_f32_e32 v102, v104, v102
	v_fma_f32 v103, v104, v101, -v103
	v_fmac_f32_e32 v102, v98, v101
	buffer_store_dword v103, off, s[0:3], 0 offset:24
	buffer_store_dword v102, off, s[0:3], 0 offset:28
.LBB111_27:
	s_or_b64 exec, exec, s[4:5]
	; wave barrier
	buffer_load_dword v101, off, s[0:3], 0 offset:32
	buffer_load_dword v102, off, s[0:3], 0 offset:36
	v_cmp_gt_u32_e32 vcc, 4, v0
	s_waitcnt vmcnt(0)
	ds_write_b64 v100, v[101:102]
	s_waitcnt lgkmcnt(0)
	; wave barrier
	s_and_saveexec_b64 s[4:5], vcc
	s_cbranch_execz .LBB111_31
; %bb.28:
	v_add_u32_e32 v101, -1, v0
	v_add_u32_e32 v102, 0x180, v99
	v_mov_b32_e32 v103, v99
	v_mov_b32_e32 v98, 0
	s_mov_b64 s[8:9], 0
	v_mov_b32_e32 v104, 0
.LBB111_29:                             ; =>This Inner Loop Header: Depth=1
	buffer_load_dword v107, v103, s[0:3], 0 offen offset:4
	buffer_load_dword v108, v103, s[0:3], 0 offen
	ds_read_b64 v[105:106], v102
	v_add_u32_e32 v101, 1, v101
	v_cmp_lt_u32_e32 vcc, 2, v101
	v_add_u32_e32 v102, 8, v102
	v_add_u32_e32 v103, 8, v103
	s_or_b64 s[8:9], vcc, s[8:9]
	s_waitcnt vmcnt(1) lgkmcnt(0)
	v_mul_f32_e32 v109, v106, v107
	v_mul_f32_e32 v107, v105, v107
	s_waitcnt vmcnt(0)
	v_fma_f32 v105, v105, v108, -v109
	v_fmac_f32_e32 v107, v106, v108
	v_add_f32_e32 v104, v104, v105
	v_add_f32_e32 v98, v98, v107
	s_andn2_b64 exec, exec, s[8:9]
	s_cbranch_execnz .LBB111_29
; %bb.30:
	s_or_b64 exec, exec, s[8:9]
	v_mov_b32_e32 v101, 0
	ds_read_b64 v[101:102], v101 offset:32
	s_waitcnt lgkmcnt(0)
	v_mul_f32_e32 v103, v98, v102
	v_mul_f32_e32 v102, v104, v102
	v_fma_f32 v103, v104, v101, -v103
	v_fmac_f32_e32 v102, v98, v101
	buffer_store_dword v103, off, s[0:3], 0 offset:32
	buffer_store_dword v102, off, s[0:3], 0 offset:36
.LBB111_31:
	s_or_b64 exec, exec, s[4:5]
	; wave barrier
	buffer_load_dword v101, off, s[0:3], 0 offset:40
	buffer_load_dword v102, off, s[0:3], 0 offset:44
	v_cmp_gt_u32_e32 vcc, 5, v0
	s_waitcnt vmcnt(0)
	ds_write_b64 v100, v[101:102]
	;; [unrolled: 49-line block ×19, first 2 shown]
	s_waitcnt lgkmcnt(0)
	; wave barrier
	s_and_saveexec_b64 s[4:5], vcc
	s_cbranch_execz .LBB111_103
; %bb.100:
	v_add_u32_e32 v101, -1, v0
	v_add_u32_e32 v102, 0x180, v99
	v_mov_b32_e32 v103, v99
	v_mov_b32_e32 v98, 0
	s_mov_b64 s[8:9], 0
	v_mov_b32_e32 v104, 0
.LBB111_101:                            ; =>This Inner Loop Header: Depth=1
	buffer_load_dword v107, v103, s[0:3], 0 offen offset:4
	buffer_load_dword v108, v103, s[0:3], 0 offen
	ds_read_b64 v[105:106], v102
	v_add_u32_e32 v101, 1, v101
	v_cmp_lt_u32_e32 vcc, 20, v101
	v_add_u32_e32 v102, 8, v102
	v_add_u32_e32 v103, 8, v103
	s_or_b64 s[8:9], vcc, s[8:9]
	s_waitcnt vmcnt(1) lgkmcnt(0)
	v_mul_f32_e32 v109, v106, v107
	v_mul_f32_e32 v107, v105, v107
	s_waitcnt vmcnt(0)
	v_fma_f32 v105, v105, v108, -v109
	v_fmac_f32_e32 v107, v106, v108
	v_add_f32_e32 v104, v104, v105
	v_add_f32_e32 v98, v98, v107
	s_andn2_b64 exec, exec, s[8:9]
	s_cbranch_execnz .LBB111_101
; %bb.102:
	s_or_b64 exec, exec, s[8:9]
	v_mov_b32_e32 v101, 0
	ds_read_b64 v[101:102], v101 offset:176
	s_waitcnt lgkmcnt(0)
	v_mul_f32_e32 v103, v98, v102
	v_mul_f32_e32 v102, v104, v102
	v_fma_f32 v103, v104, v101, -v103
	v_fmac_f32_e32 v102, v98, v101
	buffer_store_dword v103, off, s[0:3], 0 offset:176
	buffer_store_dword v102, off, s[0:3], 0 offset:180
.LBB111_103:
	s_or_b64 exec, exec, s[4:5]
	; wave barrier
	buffer_load_dword v101, off, s[0:3], 0 offset:184
	buffer_load_dword v102, off, s[0:3], 0 offset:188
	v_cmp_gt_u32_e32 vcc, 23, v0
	s_waitcnt vmcnt(0)
	ds_write_b64 v100, v[101:102]
	s_waitcnt lgkmcnt(0)
	; wave barrier
	s_and_saveexec_b64 s[4:5], vcc
	s_cbranch_execz .LBB111_107
; %bb.104:
	v_add_u32_e32 v101, -1, v0
	v_add_u32_e32 v102, 0x180, v99
	v_mov_b32_e32 v103, v99
	v_mov_b32_e32 v98, 0
	s_mov_b64 s[8:9], 0
	v_mov_b32_e32 v104, 0
.LBB111_105:                            ; =>This Inner Loop Header: Depth=1
	buffer_load_dword v107, v103, s[0:3], 0 offen offset:4
	buffer_load_dword v108, v103, s[0:3], 0 offen
	ds_read_b64 v[105:106], v102
	v_add_u32_e32 v101, 1, v101
	v_cmp_lt_u32_e32 vcc, 21, v101
	v_add_u32_e32 v102, 8, v102
	v_add_u32_e32 v103, 8, v103
	s_or_b64 s[8:9], vcc, s[8:9]
	s_waitcnt vmcnt(1) lgkmcnt(0)
	v_mul_f32_e32 v109, v106, v107
	v_mul_f32_e32 v107, v105, v107
	s_waitcnt vmcnt(0)
	v_fma_f32 v105, v105, v108, -v109
	v_fmac_f32_e32 v107, v106, v108
	v_add_f32_e32 v104, v104, v105
	v_add_f32_e32 v98, v98, v107
	s_andn2_b64 exec, exec, s[8:9]
	s_cbranch_execnz .LBB111_105
; %bb.106:
	s_or_b64 exec, exec, s[8:9]
	v_mov_b32_e32 v101, 0
	ds_read_b64 v[101:102], v101 offset:184
	s_waitcnt lgkmcnt(0)
	v_mul_f32_e32 v103, v98, v102
	v_mul_f32_e32 v102, v104, v102
	v_fma_f32 v103, v104, v101, -v103
	v_fmac_f32_e32 v102, v98, v101
	buffer_store_dword v103, off, s[0:3], 0 offset:184
	buffer_store_dword v102, off, s[0:3], 0 offset:188
.LBB111_107:
	s_or_b64 exec, exec, s[4:5]
	; wave barrier
	buffer_load_dword v101, off, s[0:3], 0 offset:192
	buffer_load_dword v102, off, s[0:3], 0 offset:196
	v_cmp_gt_u32_e32 vcc, 24, v0
	s_waitcnt vmcnt(0)
	ds_write_b64 v100, v[101:102]
	;; [unrolled: 49-line block ×24, first 2 shown]
	s_waitcnt lgkmcnt(0)
	; wave barrier
	s_and_saveexec_b64 s[4:5], vcc
	s_cbranch_execz .LBB111_199
; %bb.196:
	v_add_u32_e32 v101, -1, v0
	v_add_u32_e32 v102, 0x180, v99
	v_mov_b32_e32 v103, v99
	v_mov_b32_e32 v98, 0
	s_mov_b64 s[8:9], 0
	v_mov_b32_e32 v104, 0
.LBB111_197:                            ; =>This Inner Loop Header: Depth=1
	buffer_load_dword v107, v103, s[0:3], 0 offen offset:4
	buffer_load_dword v108, v103, s[0:3], 0 offen
	ds_read_b64 v[105:106], v102
	v_add_u32_e32 v101, 1, v101
	v_cmp_lt_u32_e32 vcc, 44, v101
	v_add_u32_e32 v102, 8, v102
	v_add_u32_e32 v103, 8, v103
	s_or_b64 s[8:9], vcc, s[8:9]
	s_waitcnt vmcnt(1) lgkmcnt(0)
	v_mul_f32_e32 v109, v106, v107
	v_mul_f32_e32 v107, v105, v107
	s_waitcnt vmcnt(0)
	v_fma_f32 v105, v105, v108, -v109
	v_fmac_f32_e32 v107, v106, v108
	v_add_f32_e32 v104, v104, v105
	v_add_f32_e32 v98, v98, v107
	s_andn2_b64 exec, exec, s[8:9]
	s_cbranch_execnz .LBB111_197
; %bb.198:
	s_or_b64 exec, exec, s[8:9]
	v_mov_b32_e32 v101, 0
	ds_read_b64 v[101:102], v101 offset:368
	s_waitcnt lgkmcnt(0)
	v_mul_f32_e32 v103, v98, v102
	v_mul_f32_e32 v102, v104, v102
	v_fma_f32 v103, v104, v101, -v103
	v_fmac_f32_e32 v102, v98, v101
	buffer_store_dword v103, off, s[0:3], 0 offset:368
	buffer_store_dword v102, off, s[0:3], 0 offset:372
.LBB111_199:
	s_or_b64 exec, exec, s[4:5]
	; wave barrier
	buffer_load_dword v101, off, s[0:3], 0 offset:376
	buffer_load_dword v102, off, s[0:3], 0 offset:380
	v_cmp_ne_u32_e32 vcc, 47, v0
	s_waitcnt vmcnt(0)
	ds_write_b64 v100, v[101:102]
	s_waitcnt lgkmcnt(0)
	; wave barrier
	s_and_saveexec_b64 s[4:5], vcc
	s_cbranch_execz .LBB111_203
; %bb.200:
	v_add_u32_e32 v100, 0x180, v99
	v_mov_b32_e32 v98, 0
	s_mov_b64 s[8:9], 0
	v_mov_b32_e32 v101, 0
.LBB111_201:                            ; =>This Inner Loop Header: Depth=1
	buffer_load_dword v104, v99, s[0:3], 0 offen offset:4
	buffer_load_dword v105, v99, s[0:3], 0 offen
	ds_read_b64 v[102:103], v100
	v_add_u32_e32 v97, 1, v97
	v_cmp_lt_u32_e32 vcc, 45, v97
	v_add_u32_e32 v100, 8, v100
	v_add_u32_e32 v99, 8, v99
	s_or_b64 s[8:9], vcc, s[8:9]
	s_waitcnt vmcnt(1) lgkmcnt(0)
	v_mul_f32_e32 v106, v103, v104
	v_mul_f32_e32 v104, v102, v104
	s_waitcnt vmcnt(0)
	v_fma_f32 v102, v102, v105, -v106
	v_fmac_f32_e32 v104, v103, v105
	v_add_f32_e32 v101, v101, v102
	v_add_f32_e32 v98, v98, v104
	s_andn2_b64 exec, exec, s[8:9]
	s_cbranch_execnz .LBB111_201
; %bb.202:
	s_or_b64 exec, exec, s[8:9]
	v_mov_b32_e32 v97, 0
	ds_read_b64 v[99:100], v97 offset:376
	s_waitcnt lgkmcnt(0)
	v_mul_f32_e32 v97, v98, v100
	v_mul_f32_e32 v100, v101, v100
	v_fma_f32 v97, v101, v99, -v97
	v_fmac_f32_e32 v100, v98, v99
	buffer_store_dword v97, off, s[0:3], 0 offset:376
	buffer_store_dword v100, off, s[0:3], 0 offset:380
.LBB111_203:
	s_or_b64 exec, exec, s[4:5]
	s_mov_b64 s[8:9], -1
	; wave barrier
.LBB111_204:
	s_and_b64 vcc, exec, s[8:9]
	s_cbranch_vccz .LBB111_206
; %bb.205:
	s_lshl_b64 s[4:5], s[6:7], 2
	s_add_u32 s4, s10, s4
	s_addc_u32 s5, s11, s5
	v_mov_b32_e32 v97, 0
	global_load_dword v97, v97, s[4:5]
	s_waitcnt vmcnt(0)
	v_cmp_ne_u32_e32 vcc, 0, v97
	s_cbranch_vccz .LBB111_207
.LBB111_206:
	s_endpgm
.LBB111_207:
	v_mov_b32_e32 v97, 0x180
	v_lshl_add_u32 v97, v0, 3, v97
	v_cmp_eq_u32_e32 vcc, 47, v0
	s_and_saveexec_b64 s[4:5], vcc
	s_cbranch_execz .LBB111_209
; %bb.208:
	buffer_load_dword v98, off, s[0:3], 0 offset:368
	buffer_load_dword v99, off, s[0:3], 0 offset:372
	v_mov_b32_e32 v100, 0
	buffer_store_dword v100, off, s[0:3], 0 offset:368
	buffer_store_dword v100, off, s[0:3], 0 offset:372
	s_waitcnt vmcnt(2)
	ds_write_b64 v97, v[98:99]
.LBB111_209:
	s_or_b64 exec, exec, s[4:5]
	s_waitcnt lgkmcnt(0)
	; wave barrier
	buffer_load_dword v101, off, s[0:3], 0 offset:380
	buffer_load_dword v102, off, s[0:3], 0 offset:376
	;; [unrolled: 1-line block ×4, first 2 shown]
	v_mov_b32_e32 v98, 0
	ds_read_b64 v[99:100], v98 offset:760
	v_cmp_lt_u32_e32 vcc, 45, v0
	s_waitcnt vmcnt(3) lgkmcnt(0)
	v_mul_f32_e32 v105, v99, v101
	v_mul_f32_e32 v101, v100, v101
	s_waitcnt vmcnt(2)
	v_fma_f32 v99, v99, v102, -v101
	v_fmac_f32_e32 v105, v100, v102
	v_add_f32_e32 v99, 0, v99
	v_add_f32_e32 v100, 0, v105
	s_waitcnt vmcnt(1)
	v_sub_f32_e32 v99, v103, v99
	s_waitcnt vmcnt(0)
	v_sub_f32_e32 v100, v104, v100
	buffer_store_dword v99, off, s[0:3], 0 offset:368
	buffer_store_dword v100, off, s[0:3], 0 offset:372
	s_and_saveexec_b64 s[4:5], vcc
	s_cbranch_execz .LBB111_211
; %bb.210:
	buffer_load_dword v99, off, s[0:3], 0 offset:360
	buffer_load_dword v100, off, s[0:3], 0 offset:364
	s_waitcnt vmcnt(0)
	ds_write_b64 v97, v[99:100]
	buffer_store_dword v98, off, s[0:3], 0 offset:360
	buffer_store_dword v98, off, s[0:3], 0 offset:364
.LBB111_211:
	s_or_b64 exec, exec, s[4:5]
	s_waitcnt lgkmcnt(0)
	; wave barrier
	buffer_load_dword v102, off, s[0:3], 0 offset:372
	buffer_load_dword v103, off, s[0:3], 0 offset:380
	;; [unrolled: 1-line block ×6, first 2 shown]
	ds_read_b128 v[98:101], v98 offset:752
	v_cmp_lt_u32_e32 vcc, 44, v0
	s_waitcnt vmcnt(5) lgkmcnt(0)
	v_mul_f32_e32 v108, v98, v102
	v_mul_f32_e32 v102, v99, v102
	s_waitcnt vmcnt(4)
	v_mul_f32_e32 v109, v100, v103
	v_mul_f32_e32 v103, v101, v103
	s_waitcnt vmcnt(3)
	v_fma_f32 v98, v98, v104, -v102
	v_fmac_f32_e32 v108, v99, v104
	s_waitcnt vmcnt(2)
	v_fma_f32 v99, v100, v105, -v103
	v_add_f32_e32 v98, 0, v98
	v_fmac_f32_e32 v109, v101, v105
	v_add_f32_e32 v100, 0, v108
	v_add_f32_e32 v98, v98, v99
	;; [unrolled: 1-line block ×3, first 2 shown]
	s_waitcnt vmcnt(1)
	v_sub_f32_e32 v98, v106, v98
	s_waitcnt vmcnt(0)
	v_sub_f32_e32 v99, v107, v100
	buffer_store_dword v98, off, s[0:3], 0 offset:360
	buffer_store_dword v99, off, s[0:3], 0 offset:364
	s_and_saveexec_b64 s[4:5], vcc
	s_cbranch_execz .LBB111_213
; %bb.212:
	buffer_load_dword v98, off, s[0:3], 0 offset:352
	buffer_load_dword v99, off, s[0:3], 0 offset:356
	v_mov_b32_e32 v100, 0
	buffer_store_dword v100, off, s[0:3], 0 offset:352
	buffer_store_dword v100, off, s[0:3], 0 offset:356
	s_waitcnt vmcnt(2)
	ds_write_b64 v97, v[98:99]
.LBB111_213:
	s_or_b64 exec, exec, s[4:5]
	s_waitcnt lgkmcnt(0)
	; wave barrier
	buffer_load_dword v105, off, s[0:3], 0 offset:364
	buffer_load_dword v106, off, s[0:3], 0 offset:372
	;; [unrolled: 1-line block ×8, first 2 shown]
	v_mov_b32_e32 v98, 0
	ds_read2_b64 v[99:102], v98 offset0:93 offset1:94
	ds_read_b64 v[103:104], v98 offset:760
	v_cmp_lt_u32_e32 vcc, 43, v0
	s_waitcnt vmcnt(7) lgkmcnt(1)
	v_mul_f32_e32 v113, v99, v105
	v_mul_f32_e32 v105, v100, v105
	s_waitcnt vmcnt(6)
	v_mul_f32_e32 v114, v101, v106
	v_mul_f32_e32 v106, v102, v106
	s_waitcnt vmcnt(4)
	v_fma_f32 v99, v99, v108, -v105
	s_waitcnt lgkmcnt(0)
	v_mul_f32_e32 v115, v103, v107
	v_mul_f32_e32 v107, v104, v107
	v_fmac_f32_e32 v113, v100, v108
	s_waitcnt vmcnt(3)
	v_fma_f32 v100, v101, v109, -v106
	v_add_f32_e32 v99, 0, v99
	v_fmac_f32_e32 v114, v102, v109
	s_waitcnt vmcnt(2)
	v_fma_f32 v101, v103, v110, -v107
	v_add_f32_e32 v102, 0, v113
	v_add_f32_e32 v99, v99, v100
	v_fmac_f32_e32 v115, v104, v110
	v_add_f32_e32 v102, v102, v114
	v_add_f32_e32 v99, v99, v101
	;; [unrolled: 1-line block ×3, first 2 shown]
	s_waitcnt vmcnt(1)
	v_sub_f32_e32 v99, v111, v99
	s_waitcnt vmcnt(0)
	v_sub_f32_e32 v100, v112, v100
	buffer_store_dword v99, off, s[0:3], 0 offset:352
	buffer_store_dword v100, off, s[0:3], 0 offset:356
	s_and_saveexec_b64 s[4:5], vcc
	s_cbranch_execz .LBB111_215
; %bb.214:
	buffer_load_dword v99, off, s[0:3], 0 offset:344
	buffer_load_dword v100, off, s[0:3], 0 offset:348
	s_waitcnt vmcnt(0)
	ds_write_b64 v97, v[99:100]
	buffer_store_dword v98, off, s[0:3], 0 offset:344
	buffer_store_dword v98, off, s[0:3], 0 offset:348
.LBB111_215:
	s_or_b64 exec, exec, s[4:5]
	s_waitcnt lgkmcnt(0)
	; wave barrier
	buffer_load_dword v107, off, s[0:3], 0 offset:356
	buffer_load_dword v108, off, s[0:3], 0 offset:364
	;; [unrolled: 1-line block ×10, first 2 shown]
	ds_read_b128 v[99:102], v98 offset:736
	ds_read_b128 v[103:106], v98 offset:752
	v_cmp_lt_u32_e32 vcc, 42, v0
	s_waitcnt vmcnt(9) lgkmcnt(1)
	v_mul_f32_e32 v98, v99, v107
	v_mul_f32_e32 v107, v100, v107
	s_waitcnt vmcnt(8)
	v_mul_f32_e32 v117, v101, v108
	v_mul_f32_e32 v108, v102, v108
	s_waitcnt vmcnt(5)
	v_fma_f32 v99, v99, v111, -v107
	s_waitcnt lgkmcnt(0)
	v_mul_f32_e32 v118, v103, v109
	v_mul_f32_e32 v109, v104, v109
	v_fmac_f32_e32 v98, v100, v111
	s_waitcnt vmcnt(4)
	v_fma_f32 v100, v101, v112, -v108
	v_add_f32_e32 v99, 0, v99
	v_mul_f32_e32 v119, v105, v110
	v_mul_f32_e32 v110, v106, v110
	v_fmac_f32_e32 v117, v102, v112
	s_waitcnt vmcnt(3)
	v_fma_f32 v101, v103, v113, -v109
	v_add_f32_e32 v98, 0, v98
	v_add_f32_e32 v99, v99, v100
	v_fmac_f32_e32 v118, v104, v113
	s_waitcnt vmcnt(2)
	v_fma_f32 v102, v105, v114, -v110
	v_add_f32_e32 v98, v98, v117
	v_add_f32_e32 v99, v99, v101
	v_fmac_f32_e32 v119, v106, v114
	v_add_f32_e32 v98, v98, v118
	v_add_f32_e32 v99, v99, v102
	;; [unrolled: 1-line block ×3, first 2 shown]
	s_waitcnt vmcnt(1)
	v_sub_f32_e32 v99, v115, v99
	s_waitcnt vmcnt(0)
	v_sub_f32_e32 v98, v116, v98
	buffer_store_dword v99, off, s[0:3], 0 offset:344
	buffer_store_dword v98, off, s[0:3], 0 offset:348
	s_and_saveexec_b64 s[4:5], vcc
	s_cbranch_execz .LBB111_217
; %bb.216:
	buffer_load_dword v98, off, s[0:3], 0 offset:336
	buffer_load_dword v99, off, s[0:3], 0 offset:340
	v_mov_b32_e32 v100, 0
	buffer_store_dword v100, off, s[0:3], 0 offset:336
	buffer_store_dword v100, off, s[0:3], 0 offset:340
	s_waitcnt vmcnt(2)
	ds_write_b64 v97, v[98:99]
.LBB111_217:
	s_or_b64 exec, exec, s[4:5]
	s_waitcnt lgkmcnt(0)
	; wave barrier
	buffer_load_dword v109, off, s[0:3], 0 offset:348
	buffer_load_dword v110, off, s[0:3], 0 offset:356
	;; [unrolled: 1-line block ×12, first 2 shown]
	v_mov_b32_e32 v98, 0
	ds_read2_b64 v[99:102], v98 offset0:91 offset1:92
	ds_read2_b64 v[103:106], v98 offset0:93 offset1:94
	ds_read_b64 v[107:108], v98 offset:760
	v_cmp_lt_u32_e32 vcc, 41, v0
	s_waitcnt vmcnt(11) lgkmcnt(2)
	v_mul_f32_e32 v121, v99, v109
	v_mul_f32_e32 v109, v100, v109
	s_waitcnt vmcnt(10)
	v_mul_f32_e32 v122, v101, v110
	v_mul_f32_e32 v110, v102, v110
	s_waitcnt vmcnt(9) lgkmcnt(1)
	v_mul_f32_e32 v123, v103, v111
	s_waitcnt vmcnt(6)
	v_fma_f32 v99, v99, v114, -v109
	v_mul_f32_e32 v111, v104, v111
	v_fmac_f32_e32 v121, v100, v114
	s_waitcnt vmcnt(5)
	v_fma_f32 v100, v101, v115, -v110
	v_add_f32_e32 v99, 0, v99
	v_mul_f32_e32 v124, v105, v112
	v_mul_f32_e32 v112, v106, v112
	v_fmac_f32_e32 v122, v102, v115
	s_waitcnt vmcnt(4)
	v_fmac_f32_e32 v123, v104, v116
	v_fma_f32 v101, v103, v116, -v111
	v_add_f32_e32 v104, 0, v121
	v_add_f32_e32 v99, v99, v100
	s_waitcnt lgkmcnt(0)
	v_mul_f32_e32 v125, v107, v113
	v_mul_f32_e32 v113, v108, v113
	s_waitcnt vmcnt(3)
	v_fma_f32 v102, v105, v117, -v112
	v_add_f32_e32 v104, v104, v122
	v_add_f32_e32 v99, v99, v101
	v_fmac_f32_e32 v124, v106, v117
	s_waitcnt vmcnt(2)
	v_fma_f32 v103, v107, v118, -v113
	v_add_f32_e32 v100, v104, v123
	v_add_f32_e32 v99, v99, v102
	v_fmac_f32_e32 v125, v108, v118
	v_add_f32_e32 v100, v100, v124
	v_add_f32_e32 v99, v99, v103
	;; [unrolled: 1-line block ×3, first 2 shown]
	s_waitcnt vmcnt(1)
	v_sub_f32_e32 v99, v119, v99
	s_waitcnt vmcnt(0)
	v_sub_f32_e32 v100, v120, v100
	buffer_store_dword v99, off, s[0:3], 0 offset:336
	buffer_store_dword v100, off, s[0:3], 0 offset:340
	s_and_saveexec_b64 s[4:5], vcc
	s_cbranch_execz .LBB111_219
; %bb.218:
	buffer_load_dword v99, off, s[0:3], 0 offset:328
	buffer_load_dword v100, off, s[0:3], 0 offset:332
	s_waitcnt vmcnt(0)
	ds_write_b64 v97, v[99:100]
	buffer_store_dword v98, off, s[0:3], 0 offset:328
	buffer_store_dword v98, off, s[0:3], 0 offset:332
.LBB111_219:
	s_or_b64 exec, exec, s[4:5]
	s_waitcnt lgkmcnt(0)
	; wave barrier
	ds_read_b128 v[99:102], v98 offset:720
	ds_read_b128 v[103:106], v98 offset:736
	;; [unrolled: 1-line block ×3, first 2 shown]
	buffer_load_dword v98, off, s[0:3], 0 offset:328
	buffer_load_dword v111, off, s[0:3], 0 offset:332
	;; [unrolled: 1-line block ×14, first 2 shown]
	v_cmp_lt_u32_e32 vcc, 40, v0
	s_waitcnt vmcnt(10) lgkmcnt(2)
	v_mul_f32_e32 v124, v99, v113
	v_fmac_f32_e32 v124, v100, v112
	v_mul_f32_e32 v100, v100, v113
	v_fma_f32 v99, v99, v112, -v100
	s_waitcnt vmcnt(8)
	v_mul_f32_e32 v100, v102, v115
	v_mul_f32_e32 v125, v101, v115
	v_add_f32_e32 v99, 0, v99
	v_fma_f32 v100, v101, v114, -v100
	v_add_f32_e32 v124, 0, v124
	v_fmac_f32_e32 v125, v102, v114
	v_add_f32_e32 v99, v99, v100
	s_waitcnt vmcnt(6) lgkmcnt(1)
	v_mul_f32_e32 v100, v104, v117
	v_add_f32_e32 v124, v124, v125
	v_mul_f32_e32 v125, v103, v117
	v_fma_f32 v100, v103, v116, -v100
	v_fmac_f32_e32 v125, v104, v116
	v_add_f32_e32 v99, v99, v100
	s_waitcnt vmcnt(4)
	v_mul_f32_e32 v100, v106, v119
	v_add_f32_e32 v124, v124, v125
	v_mul_f32_e32 v125, v105, v119
	v_fma_f32 v100, v105, v118, -v100
	v_fmac_f32_e32 v125, v106, v118
	v_add_f32_e32 v99, v99, v100
	s_waitcnt vmcnt(2) lgkmcnt(0)
	v_mul_f32_e32 v100, v108, v121
	v_add_f32_e32 v124, v124, v125
	v_mul_f32_e32 v125, v107, v121
	v_fma_f32 v100, v107, v120, -v100
	v_fmac_f32_e32 v125, v108, v120
	v_add_f32_e32 v99, v99, v100
	s_waitcnt vmcnt(0)
	v_mul_f32_e32 v100, v110, v123
	v_add_f32_e32 v124, v124, v125
	v_mul_f32_e32 v125, v109, v123
	v_fma_f32 v100, v109, v122, -v100
	v_fmac_f32_e32 v125, v110, v122
	v_add_f32_e32 v99, v99, v100
	v_add_f32_e32 v124, v124, v125
	v_sub_f32_e32 v98, v98, v99
	v_sub_f32_e32 v99, v111, v124
	buffer_store_dword v98, off, s[0:3], 0 offset:328
	buffer_store_dword v99, off, s[0:3], 0 offset:332
	s_and_saveexec_b64 s[4:5], vcc
	s_cbranch_execz .LBB111_221
; %bb.220:
	buffer_load_dword v98, off, s[0:3], 0 offset:320
	buffer_load_dword v99, off, s[0:3], 0 offset:324
	v_mov_b32_e32 v100, 0
	buffer_store_dword v100, off, s[0:3], 0 offset:320
	buffer_store_dword v100, off, s[0:3], 0 offset:324
	s_waitcnt vmcnt(2)
	ds_write_b64 v97, v[98:99]
.LBB111_221:
	s_or_b64 exec, exec, s[4:5]
	s_waitcnt lgkmcnt(0)
	; wave barrier
	buffer_load_dword v113, off, s[0:3], 0 offset:332
	buffer_load_dword v114, off, s[0:3], 0 offset:340
	buffer_load_dword v115, off, s[0:3], 0 offset:348
	buffer_load_dword v116, off, s[0:3], 0 offset:356
	buffer_load_dword v117, off, s[0:3], 0 offset:364
	buffer_load_dword v118, off, s[0:3], 0 offset:372
	buffer_load_dword v119, off, s[0:3], 0 offset:380
	buffer_load_dword v120, off, s[0:3], 0 offset:328
	buffer_load_dword v121, off, s[0:3], 0 offset:336
	buffer_load_dword v122, off, s[0:3], 0 offset:344
	buffer_load_dword v123, off, s[0:3], 0 offset:352
	buffer_load_dword v124, off, s[0:3], 0 offset:360
	buffer_load_dword v125, off, s[0:3], 0 offset:368
	buffer_load_dword v126, off, s[0:3], 0 offset:376
	buffer_load_dword v127, off, s[0:3], 0 offset:320
	buffer_load_dword v128, off, s[0:3], 0 offset:324
	v_mov_b32_e32 v98, 0
	ds_read2_b64 v[99:102], v98 offset0:89 offset1:90
	ds_read2_b64 v[103:106], v98 offset0:91 offset1:92
	;; [unrolled: 1-line block ×3, first 2 shown]
	ds_read_b64 v[111:112], v98 offset:760
	v_cmp_lt_u32_e32 vcc, 39, v0
	s_waitcnt vmcnt(15) lgkmcnt(3)
	v_mul_f32_e32 v129, v99, v113
	v_mul_f32_e32 v113, v100, v113
	s_waitcnt vmcnt(14)
	v_mul_f32_e32 v130, v101, v114
	v_mul_f32_e32 v114, v102, v114
	s_waitcnt vmcnt(13) lgkmcnt(2)
	v_mul_f32_e32 v131, v103, v115
	s_waitcnt vmcnt(12)
	v_mul_f32_e32 v132, v105, v116
	v_mul_f32_e32 v115, v104, v115
	s_waitcnt vmcnt(8)
	v_fma_f32 v99, v99, v120, -v113
	v_fmac_f32_e32 v129, v100, v120
	s_waitcnt vmcnt(7)
	v_fma_f32 v100, v101, v121, -v114
	v_add_f32_e32 v99, 0, v99
	v_mul_f32_e32 v116, v106, v116
	v_fmac_f32_e32 v130, v102, v121
	s_waitcnt vmcnt(5)
	v_fmac_f32_e32 v132, v106, v123
	v_fma_f32 v101, v103, v122, -v115
	v_add_f32_e32 v106, 0, v129
	v_add_f32_e32 v99, v99, v100
	s_waitcnt lgkmcnt(1)
	v_mul_f32_e32 v133, v107, v117
	v_mul_f32_e32 v117, v108, v117
	v_fmac_f32_e32 v131, v104, v122
	v_fma_f32 v102, v105, v123, -v116
	v_add_f32_e32 v106, v106, v130
	v_add_f32_e32 v99, v99, v101
	v_mul_f32_e32 v134, v109, v118
	v_mul_f32_e32 v118, v110, v118
	s_waitcnt vmcnt(4)
	v_fma_f32 v103, v107, v124, -v117
	v_add_f32_e32 v100, v106, v131
	v_add_f32_e32 v99, v99, v102
	s_waitcnt lgkmcnt(0)
	v_mul_f32_e32 v135, v111, v119
	v_mul_f32_e32 v119, v112, v119
	v_fmac_f32_e32 v133, v108, v124
	s_waitcnt vmcnt(3)
	v_fma_f32 v104, v109, v125, -v118
	v_add_f32_e32 v100, v100, v132
	v_add_f32_e32 v99, v99, v103
	v_fmac_f32_e32 v134, v110, v125
	s_waitcnt vmcnt(2)
	v_fma_f32 v105, v111, v126, -v119
	v_add_f32_e32 v100, v100, v133
	v_add_f32_e32 v99, v99, v104
	v_fmac_f32_e32 v135, v112, v126
	v_add_f32_e32 v100, v100, v134
	v_add_f32_e32 v99, v99, v105
	;; [unrolled: 1-line block ×3, first 2 shown]
	s_waitcnt vmcnt(1)
	v_sub_f32_e32 v99, v127, v99
	s_waitcnt vmcnt(0)
	v_sub_f32_e32 v100, v128, v100
	buffer_store_dword v99, off, s[0:3], 0 offset:320
	buffer_store_dword v100, off, s[0:3], 0 offset:324
	s_and_saveexec_b64 s[4:5], vcc
	s_cbranch_execz .LBB111_223
; %bb.222:
	buffer_load_dword v99, off, s[0:3], 0 offset:312
	buffer_load_dword v100, off, s[0:3], 0 offset:316
	s_waitcnt vmcnt(0)
	ds_write_b64 v97, v[99:100]
	buffer_store_dword v98, off, s[0:3], 0 offset:312
	buffer_store_dword v98, off, s[0:3], 0 offset:316
.LBB111_223:
	s_or_b64 exec, exec, s[4:5]
	s_waitcnt lgkmcnt(0)
	; wave barrier
	buffer_load_dword v115, off, s[0:3], 0 offset:324
	buffer_load_dword v116, off, s[0:3], 0 offset:332
	;; [unrolled: 1-line block ×18, first 2 shown]
	ds_read_b128 v[99:102], v98 offset:704
	ds_read_b128 v[103:106], v98 offset:720
	;; [unrolled: 1-line block ×4, first 2 shown]
	v_cmp_lt_u32_e32 vcc, 38, v0
	s_waitcnt vmcnt(17) lgkmcnt(3)
	v_mul_f32_e32 v98, v99, v115
	v_mul_f32_e32 v115, v100, v115
	s_waitcnt vmcnt(16)
	v_mul_f32_e32 v133, v101, v116
	v_mul_f32_e32 v116, v102, v116
	s_waitcnt vmcnt(15) lgkmcnt(2)
	v_mul_f32_e32 v134, v103, v117
	v_mul_f32_e32 v117, v104, v117
	s_waitcnt vmcnt(14)
	v_mul_f32_e32 v135, v105, v118
	v_mul_f32_e32 v118, v106, v118
	s_waitcnt vmcnt(9)
	v_fma_f32 v99, v99, v123, -v115
	v_fmac_f32_e32 v98, v100, v123
	s_waitcnt vmcnt(8)
	v_fma_f32 v100, v101, v124, -v116
	v_add_f32_e32 v99, 0, v99
	v_fmac_f32_e32 v133, v102, v124
	s_waitcnt vmcnt(7)
	v_fma_f32 v101, v103, v125, -v117
	v_add_f32_e32 v98, 0, v98
	v_add_f32_e32 v99, v99, v100
	s_waitcnt lgkmcnt(1)
	v_mul_f32_e32 v136, v107, v119
	v_mul_f32_e32 v119, v108, v119
	v_fmac_f32_e32 v134, v104, v125
	s_waitcnt vmcnt(6)
	v_fma_f32 v102, v105, v126, -v118
	v_add_f32_e32 v98, v98, v133
	v_add_f32_e32 v99, v99, v101
	v_mul_f32_e32 v137, v109, v120
	v_mul_f32_e32 v120, v110, v120
	v_fmac_f32_e32 v135, v106, v126
	s_waitcnt vmcnt(5)
	v_fma_f32 v103, v107, v127, -v119
	v_add_f32_e32 v98, v98, v134
	v_add_f32_e32 v99, v99, v102
	s_waitcnt lgkmcnt(0)
	v_mul_f32_e32 v138, v111, v121
	v_mul_f32_e32 v121, v112, v121
	v_fmac_f32_e32 v136, v108, v127
	s_waitcnt vmcnt(4)
	v_fma_f32 v104, v109, v128, -v120
	v_add_f32_e32 v98, v98, v135
	v_add_f32_e32 v99, v99, v103
	v_mul_f32_e32 v139, v113, v122
	v_mul_f32_e32 v122, v114, v122
	v_fmac_f32_e32 v137, v110, v128
	s_waitcnt vmcnt(3)
	v_fma_f32 v105, v111, v129, -v121
	v_add_f32_e32 v98, v98, v136
	v_add_f32_e32 v99, v99, v104
	v_fmac_f32_e32 v138, v112, v129
	s_waitcnt vmcnt(2)
	v_fma_f32 v106, v113, v130, -v122
	v_add_f32_e32 v98, v98, v137
	v_add_f32_e32 v99, v99, v105
	v_fmac_f32_e32 v139, v114, v130
	v_add_f32_e32 v98, v98, v138
	v_add_f32_e32 v99, v99, v106
	;; [unrolled: 1-line block ×3, first 2 shown]
	s_waitcnt vmcnt(1)
	v_sub_f32_e32 v99, v131, v99
	s_waitcnt vmcnt(0)
	v_sub_f32_e32 v98, v132, v98
	buffer_store_dword v99, off, s[0:3], 0 offset:312
	buffer_store_dword v98, off, s[0:3], 0 offset:316
	s_and_saveexec_b64 s[4:5], vcc
	s_cbranch_execz .LBB111_225
; %bb.224:
	buffer_load_dword v98, off, s[0:3], 0 offset:304
	buffer_load_dword v99, off, s[0:3], 0 offset:308
	v_mov_b32_e32 v100, 0
	buffer_store_dword v100, off, s[0:3], 0 offset:304
	buffer_store_dword v100, off, s[0:3], 0 offset:308
	s_waitcnt vmcnt(2)
	ds_write_b64 v97, v[98:99]
.LBB111_225:
	s_or_b64 exec, exec, s[4:5]
	s_waitcnt lgkmcnt(0)
	; wave barrier
	buffer_load_dword v117, off, s[0:3], 0 offset:316
	buffer_load_dword v118, off, s[0:3], 0 offset:324
	;; [unrolled: 1-line block ×20, first 2 shown]
	v_mov_b32_e32 v98, 0
	ds_read2_b64 v[99:102], v98 offset0:87 offset1:88
	ds_read2_b64 v[103:106], v98 offset0:89 offset1:90
	;; [unrolled: 1-line block ×4, first 2 shown]
	ds_read_b64 v[115:116], v98 offset:760
	v_cmp_lt_u32_e32 vcc, 37, v0
	s_waitcnt vmcnt(19) lgkmcnt(4)
	v_mul_f32_e32 v137, v99, v117
	v_mul_f32_e32 v117, v100, v117
	s_waitcnt vmcnt(18)
	v_mul_f32_e32 v138, v101, v118
	v_mul_f32_e32 v118, v102, v118
	s_waitcnt vmcnt(17) lgkmcnt(3)
	v_mul_f32_e32 v139, v103, v119
	s_waitcnt vmcnt(15) lgkmcnt(2)
	v_mul_f32_e32 v141, v107, v121
	v_mul_f32_e32 v119, v104, v119
	;; [unrolled: 1-line block ×4, first 2 shown]
	s_waitcnt vmcnt(10)
	v_fma_f32 v99, v99, v126, -v117
	v_fmac_f32_e32 v137, v100, v126
	s_waitcnt vmcnt(9)
	v_fma_f32 v100, v101, v127, -v118
	v_add_f32_e32 v99, 0, v99
	v_mul_f32_e32 v121, v108, v121
	v_fmac_f32_e32 v138, v102, v127
	s_waitcnt vmcnt(6)
	v_fmac_f32_e32 v141, v108, v130
	v_fma_f32 v101, v103, v128, -v119
	v_add_f32_e32 v108, 0, v137
	v_add_f32_e32 v99, v99, v100
	v_fmac_f32_e32 v139, v104, v128
	v_fma_f32 v102, v105, v129, -v120
	v_add_f32_e32 v108, v108, v138
	v_add_f32_e32 v99, v99, v101
	v_mul_f32_e32 v142, v109, v122
	v_mul_f32_e32 v122, v110, v122
	v_fmac_f32_e32 v140, v106, v129
	v_fma_f32 v103, v107, v130, -v121
	v_add_f32_e32 v100, v108, v139
	v_add_f32_e32 v99, v99, v102
	s_waitcnt lgkmcnt(1)
	v_mul_f32_e32 v143, v111, v123
	v_mul_f32_e32 v123, v112, v123
	s_waitcnt vmcnt(5)
	v_fma_f32 v104, v109, v131, -v122
	v_add_f32_e32 v100, v100, v140
	v_add_f32_e32 v99, v99, v103
	v_mul_f32_e32 v144, v113, v124
	v_mul_f32_e32 v124, v114, v124
	v_fmac_f32_e32 v142, v110, v131
	s_waitcnt vmcnt(4)
	v_fma_f32 v105, v111, v132, -v123
	v_add_f32_e32 v100, v100, v141
	v_add_f32_e32 v99, v99, v104
	s_waitcnt lgkmcnt(0)
	v_mul_f32_e32 v145, v115, v125
	v_mul_f32_e32 v125, v116, v125
	v_fmac_f32_e32 v143, v112, v132
	s_waitcnt vmcnt(3)
	v_fma_f32 v106, v113, v133, -v124
	v_add_f32_e32 v100, v100, v142
	v_add_f32_e32 v99, v99, v105
	v_fmac_f32_e32 v144, v114, v133
	s_waitcnt vmcnt(2)
	v_fma_f32 v107, v115, v134, -v125
	v_add_f32_e32 v100, v100, v143
	v_add_f32_e32 v99, v99, v106
	v_fmac_f32_e32 v145, v116, v134
	v_add_f32_e32 v100, v100, v144
	v_add_f32_e32 v99, v99, v107
	;; [unrolled: 1-line block ×3, first 2 shown]
	s_waitcnt vmcnt(1)
	v_sub_f32_e32 v99, v135, v99
	s_waitcnt vmcnt(0)
	v_sub_f32_e32 v100, v136, v100
	buffer_store_dword v99, off, s[0:3], 0 offset:304
	buffer_store_dword v100, off, s[0:3], 0 offset:308
	s_and_saveexec_b64 s[4:5], vcc
	s_cbranch_execz .LBB111_227
; %bb.226:
	buffer_load_dword v99, off, s[0:3], 0 offset:296
	buffer_load_dword v100, off, s[0:3], 0 offset:300
	s_waitcnt vmcnt(0)
	ds_write_b64 v97, v[99:100]
	buffer_store_dword v98, off, s[0:3], 0 offset:296
	buffer_store_dword v98, off, s[0:3], 0 offset:300
.LBB111_227:
	s_or_b64 exec, exec, s[4:5]
	s_waitcnt lgkmcnt(0)
	; wave barrier
	buffer_load_dword v119, off, s[0:3], 0 offset:308
	buffer_load_dword v120, off, s[0:3], 0 offset:316
	;; [unrolled: 1-line block ×22, first 2 shown]
	ds_read_b128 v[99:102], v98 offset:688
	ds_read_b128 v[103:106], v98 offset:704
	;; [unrolled: 1-line block ×5, first 2 shown]
	v_cmp_lt_u32_e32 vcc, 36, v0
	s_waitcnt vmcnt(21) lgkmcnt(4)
	v_mul_f32_e32 v98, v99, v119
	v_mul_f32_e32 v119, v100, v119
	s_waitcnt vmcnt(20)
	v_mul_f32_e32 v141, v101, v120
	v_mul_f32_e32 v120, v102, v120
	s_waitcnt vmcnt(19) lgkmcnt(3)
	v_mul_f32_e32 v142, v103, v121
	v_mul_f32_e32 v121, v104, v121
	s_waitcnt vmcnt(18)
	v_mul_f32_e32 v143, v105, v122
	v_mul_f32_e32 v122, v106, v122
	s_waitcnt vmcnt(17) lgkmcnt(2)
	v_mul_f32_e32 v144, v107, v123
	v_mul_f32_e32 v123, v108, v123
	s_waitcnt vmcnt(11)
	v_fma_f32 v99, v99, v129, -v119
	v_fmac_f32_e32 v98, v100, v129
	s_waitcnt vmcnt(10)
	v_fma_f32 v100, v101, v130, -v120
	v_add_f32_e32 v99, 0, v99
	v_fmac_f32_e32 v141, v102, v130
	s_waitcnt vmcnt(9)
	v_fma_f32 v101, v103, v131, -v121
	v_add_f32_e32 v98, 0, v98
	v_add_f32_e32 v99, v99, v100
	v_fmac_f32_e32 v142, v104, v131
	s_waitcnt vmcnt(8)
	v_fma_f32 v102, v105, v132, -v122
	v_add_f32_e32 v98, v98, v141
	v_add_f32_e32 v99, v99, v101
	v_mul_f32_e32 v145, v109, v124
	v_mul_f32_e32 v124, v110, v124
	v_fmac_f32_e32 v143, v106, v132
	s_waitcnt vmcnt(7)
	v_fma_f32 v103, v107, v133, -v123
	v_add_f32_e32 v98, v98, v142
	v_add_f32_e32 v99, v99, v102
	s_waitcnt lgkmcnt(1)
	v_mul_f32_e32 v146, v111, v125
	v_mul_f32_e32 v125, v112, v125
	v_fmac_f32_e32 v144, v108, v133
	s_waitcnt vmcnt(6)
	v_fma_f32 v104, v109, v134, -v124
	v_add_f32_e32 v98, v98, v143
	v_add_f32_e32 v99, v99, v103
	v_mul_f32_e32 v147, v113, v126
	v_mul_f32_e32 v126, v114, v126
	v_fmac_f32_e32 v145, v110, v134
	s_waitcnt vmcnt(5)
	v_fma_f32 v105, v111, v135, -v125
	v_add_f32_e32 v98, v98, v144
	v_add_f32_e32 v99, v99, v104
	s_waitcnt lgkmcnt(0)
	v_mul_f32_e32 v148, v115, v127
	v_mul_f32_e32 v127, v116, v127
	v_fmac_f32_e32 v146, v112, v135
	s_waitcnt vmcnt(4)
	v_fma_f32 v106, v113, v136, -v126
	v_add_f32_e32 v98, v98, v145
	v_add_f32_e32 v99, v99, v105
	v_mul_f32_e32 v149, v117, v128
	v_mul_f32_e32 v128, v118, v128
	v_fmac_f32_e32 v147, v114, v136
	s_waitcnt vmcnt(3)
	v_fma_f32 v107, v115, v137, -v127
	v_add_f32_e32 v98, v98, v146
	v_add_f32_e32 v99, v99, v106
	v_fmac_f32_e32 v148, v116, v137
	s_waitcnt vmcnt(2)
	v_fma_f32 v108, v117, v138, -v128
	v_add_f32_e32 v98, v98, v147
	v_add_f32_e32 v99, v99, v107
	v_fmac_f32_e32 v149, v118, v138
	v_add_f32_e32 v98, v98, v148
	v_add_f32_e32 v99, v99, v108
	v_add_f32_e32 v98, v98, v149
	s_waitcnt vmcnt(1)
	v_sub_f32_e32 v99, v139, v99
	s_waitcnt vmcnt(0)
	v_sub_f32_e32 v98, v140, v98
	buffer_store_dword v99, off, s[0:3], 0 offset:296
	buffer_store_dword v98, off, s[0:3], 0 offset:300
	s_and_saveexec_b64 s[4:5], vcc
	s_cbranch_execz .LBB111_229
; %bb.228:
	buffer_load_dword v98, off, s[0:3], 0 offset:288
	buffer_load_dword v99, off, s[0:3], 0 offset:292
	v_mov_b32_e32 v100, 0
	buffer_store_dword v100, off, s[0:3], 0 offset:288
	buffer_store_dword v100, off, s[0:3], 0 offset:292
	s_waitcnt vmcnt(2)
	ds_write_b64 v97, v[98:99]
.LBB111_229:
	s_or_b64 exec, exec, s[4:5]
	s_waitcnt lgkmcnt(0)
	; wave barrier
	buffer_load_dword v121, off, s[0:3], 0 offset:300
	buffer_load_dword v122, off, s[0:3], 0 offset:308
	;; [unrolled: 1-line block ×24, first 2 shown]
	v_mov_b32_e32 v98, 0
	ds_read2_b64 v[99:102], v98 offset0:85 offset1:86
	ds_read2_b64 v[103:106], v98 offset0:87 offset1:88
	;; [unrolled: 1-line block ×5, first 2 shown]
	ds_read_b64 v[119:120], v98 offset:760
	v_cmp_lt_u32_e32 vcc, 35, v0
	s_waitcnt vmcnt(23) lgkmcnt(5)
	v_mul_f32_e32 v145, v99, v121
	v_mul_f32_e32 v121, v100, v121
	s_waitcnt vmcnt(22)
	v_mul_f32_e32 v146, v101, v122
	v_mul_f32_e32 v122, v102, v122
	s_waitcnt vmcnt(21) lgkmcnt(4)
	v_mul_f32_e32 v147, v103, v123
	v_mul_f32_e32 v123, v104, v123
	s_waitcnt vmcnt(20)
	v_mul_f32_e32 v148, v105, v124
	s_waitcnt vmcnt(19) lgkmcnt(3)
	v_mul_f32_e32 v149, v107, v125
	v_mul_f32_e32 v124, v106, v124
	;; [unrolled: 1-line block ×3, first 2 shown]
	s_waitcnt vmcnt(18)
	v_mul_f32_e32 v150, v109, v126
	s_waitcnt vmcnt(12)
	v_fma_f32 v99, v99, v132, -v121
	v_fmac_f32_e32 v145, v100, v132
	s_waitcnt vmcnt(11)
	v_fma_f32 v100, v101, v133, -v122
	v_add_f32_e32 v99, 0, v99
	s_waitcnt vmcnt(10)
	v_fma_f32 v101, v103, v134, -v123
	v_add_f32_e32 v99, v99, v100
	v_fmac_f32_e32 v146, v102, v133
	s_waitcnt vmcnt(8)
	v_fmac_f32_e32 v149, v108, v136
	v_fma_f32 v102, v105, v135, -v124
	v_add_f32_e32 v108, 0, v145
	v_add_f32_e32 v99, v99, v101
	v_mul_f32_e32 v126, v110, v126
	v_fmac_f32_e32 v147, v104, v134
	v_fma_f32 v103, v107, v136, -v125
	v_add_f32_e32 v108, v108, v146
	v_add_f32_e32 v99, v99, v102
	s_waitcnt lgkmcnt(2)
	v_mul_f32_e32 v151, v111, v127
	v_mul_f32_e32 v127, v112, v127
	v_fmac_f32_e32 v148, v106, v135
	s_waitcnt vmcnt(7)
	v_fma_f32 v104, v109, v137, -v126
	v_add_f32_e32 v100, v108, v147
	v_add_f32_e32 v99, v99, v103
	v_mul_f32_e32 v152, v113, v128
	v_mul_f32_e32 v128, v114, v128
	s_waitcnt vmcnt(6)
	v_fma_f32 v105, v111, v138, -v127
	v_add_f32_e32 v100, v100, v148
	v_add_f32_e32 v99, v99, v104
	s_waitcnt lgkmcnt(1)
	v_mul_f32_e32 v153, v115, v129
	v_mul_f32_e32 v129, v116, v129
	v_fmac_f32_e32 v150, v110, v137
	s_waitcnt vmcnt(5)
	v_fma_f32 v106, v113, v139, -v128
	v_add_f32_e32 v100, v100, v149
	v_add_f32_e32 v99, v99, v105
	v_fmac_f32_e32 v151, v112, v138
	s_waitcnt vmcnt(4)
	v_fma_f32 v107, v115, v140, -v129
	v_add_f32_e32 v100, v100, v150
	v_add_f32_e32 v99, v99, v106
	v_mul_f32_e32 v101, v118, v130
	v_fmac_f32_e32 v152, v114, v139
	v_add_f32_e32 v100, v100, v151
	v_add_f32_e32 v99, v99, v107
	s_waitcnt vmcnt(3)
	v_fma_f32 v101, v117, v141, -v101
	v_mul_f32_e32 v154, v117, v130
	v_fmac_f32_e32 v153, v116, v140
	v_add_f32_e32 v100, v100, v152
	v_add_f32_e32 v99, v99, v101
	s_waitcnt lgkmcnt(0)
	v_mul_f32_e32 v101, v120, v131
	v_mul_f32_e32 v155, v119, v131
	v_fmac_f32_e32 v154, v118, v141
	v_add_f32_e32 v100, v100, v153
	s_waitcnt vmcnt(2)
	v_fma_f32 v101, v119, v142, -v101
	v_fmac_f32_e32 v155, v120, v142
	v_add_f32_e32 v100, v100, v154
	v_add_f32_e32 v99, v99, v101
	;; [unrolled: 1-line block ×3, first 2 shown]
	s_waitcnt vmcnt(1)
	v_sub_f32_e32 v99, v143, v99
	s_waitcnt vmcnt(0)
	v_sub_f32_e32 v100, v144, v100
	buffer_store_dword v99, off, s[0:3], 0 offset:288
	buffer_store_dword v100, off, s[0:3], 0 offset:292
	s_and_saveexec_b64 s[4:5], vcc
	s_cbranch_execz .LBB111_231
; %bb.230:
	buffer_load_dword v99, off, s[0:3], 0 offset:280
	buffer_load_dword v100, off, s[0:3], 0 offset:284
	s_waitcnt vmcnt(0)
	ds_write_b64 v97, v[99:100]
	buffer_store_dword v98, off, s[0:3], 0 offset:280
	buffer_store_dword v98, off, s[0:3], 0 offset:284
.LBB111_231:
	s_or_b64 exec, exec, s[4:5]
	s_waitcnt lgkmcnt(0)
	; wave barrier
	buffer_load_dword v123, off, s[0:3], 0 offset:292
	buffer_load_dword v124, off, s[0:3], 0 offset:300
	;; [unrolled: 1-line block ×26, first 2 shown]
	ds_read_b128 v[99:102], v98 offset:672
	ds_read_b128 v[103:106], v98 offset:688
	;; [unrolled: 1-line block ×6, first 2 shown]
	v_cmp_lt_u32_e32 vcc, 34, v0
	s_waitcnt vmcnt(25) lgkmcnt(5)
	v_mul_f32_e32 v98, v99, v123
	v_mul_f32_e32 v123, v100, v123
	s_waitcnt vmcnt(24)
	v_mul_f32_e32 v149, v101, v124
	v_mul_f32_e32 v124, v102, v124
	s_waitcnt vmcnt(23) lgkmcnt(4)
	v_mul_f32_e32 v150, v103, v125
	v_mul_f32_e32 v125, v104, v125
	s_waitcnt vmcnt(22)
	v_mul_f32_e32 v151, v105, v126
	v_mul_f32_e32 v126, v106, v126
	;; [unrolled: 6-line block ×3, first 2 shown]
	s_waitcnt vmcnt(13)
	v_fma_f32 v99, v99, v135, -v123
	v_fmac_f32_e32 v98, v100, v135
	s_waitcnt vmcnt(12)
	v_fma_f32 v100, v101, v136, -v124
	v_add_f32_e32 v99, 0, v99
	s_waitcnt vmcnt(11)
	v_fma_f32 v101, v103, v137, -v125
	v_add_f32_e32 v99, v99, v100
	v_fmac_f32_e32 v149, v102, v136
	s_waitcnt vmcnt(10)
	v_fma_f32 v102, v105, v138, -v126
	v_add_f32_e32 v99, v99, v101
	s_waitcnt vmcnt(9)
	v_fma_f32 v103, v107, v139, -v127
	v_add_f32_e32 v99, v99, v102
	s_waitcnt lgkmcnt(2)
	v_mul_f32_e32 v154, v111, v129
	v_mul_f32_e32 v129, v112, v129
	v_fmac_f32_e32 v150, v104, v137
	s_waitcnt vmcnt(8)
	v_fma_f32 v104, v109, v140, -v128
	v_add_f32_e32 v98, 0, v98
	v_add_f32_e32 v99, v99, v103
	v_mul_f32_e32 v155, v113, v130
	v_mul_f32_e32 v130, v114, v130
	s_waitcnt vmcnt(7)
	v_fma_f32 v105, v111, v141, -v129
	v_add_f32_e32 v98, v98, v149
	v_add_f32_e32 v99, v99, v104
	v_fmac_f32_e32 v151, v106, v138
	s_waitcnt vmcnt(6)
	v_fma_f32 v106, v113, v142, -v130
	v_add_f32_e32 v98, v98, v150
	v_add_f32_e32 v99, v99, v105
	s_waitcnt lgkmcnt(1)
	v_mul_f32_e32 v100, v116, v131
	v_fmac_f32_e32 v152, v108, v139
	v_add_f32_e32 v98, v98, v151
	v_add_f32_e32 v99, v99, v106
	s_waitcnt vmcnt(5)
	v_fma_f32 v100, v115, v143, -v100
	v_fmac_f32_e32 v153, v110, v140
	v_add_f32_e32 v98, v98, v152
	v_add_f32_e32 v99, v99, v100
	v_mul_f32_e32 v100, v118, v132
	v_fmac_f32_e32 v154, v112, v141
	v_add_f32_e32 v98, v98, v153
	s_waitcnt vmcnt(4)
	v_fma_f32 v100, v117, v144, -v100
	v_mul_f32_e32 v156, v115, v131
	v_fmac_f32_e32 v155, v114, v142
	v_add_f32_e32 v98, v98, v154
	v_add_f32_e32 v99, v99, v100
	s_waitcnt lgkmcnt(0)
	v_mul_f32_e32 v100, v120, v133
	v_mul_f32_e32 v157, v117, v132
	v_fmac_f32_e32 v156, v116, v143
	v_add_f32_e32 v98, v98, v155
	s_waitcnt vmcnt(3)
	v_fma_f32 v100, v119, v145, -v100
	v_mul_f32_e32 v158, v119, v133
	v_fmac_f32_e32 v157, v118, v144
	v_add_f32_e32 v98, v98, v156
	v_add_f32_e32 v99, v99, v100
	v_mul_f32_e32 v100, v122, v134
	v_mul_f32_e32 v159, v121, v134
	v_fmac_f32_e32 v158, v120, v145
	v_add_f32_e32 v98, v98, v157
	s_waitcnt vmcnt(2)
	v_fma_f32 v100, v121, v146, -v100
	v_fmac_f32_e32 v159, v122, v146
	v_add_f32_e32 v98, v98, v158
	v_add_f32_e32 v99, v99, v100
	;; [unrolled: 1-line block ×3, first 2 shown]
	s_waitcnt vmcnt(1)
	v_sub_f32_e32 v99, v147, v99
	s_waitcnt vmcnt(0)
	v_sub_f32_e32 v98, v148, v98
	buffer_store_dword v99, off, s[0:3], 0 offset:280
	buffer_store_dword v98, off, s[0:3], 0 offset:284
	s_and_saveexec_b64 s[4:5], vcc
	s_cbranch_execz .LBB111_233
; %bb.232:
	buffer_load_dword v98, off, s[0:3], 0 offset:272
	buffer_load_dword v99, off, s[0:3], 0 offset:276
	v_mov_b32_e32 v100, 0
	buffer_store_dword v100, off, s[0:3], 0 offset:272
	buffer_store_dword v100, off, s[0:3], 0 offset:276
	s_waitcnt vmcnt(2)
	ds_write_b64 v97, v[98:99]
.LBB111_233:
	s_or_b64 exec, exec, s[4:5]
	s_waitcnt lgkmcnt(0)
	; wave barrier
	buffer_load_dword v125, off, s[0:3], 0 offset:284
	buffer_load_dword v126, off, s[0:3], 0 offset:292
	buffer_load_dword v127, off, s[0:3], 0 offset:300
	buffer_load_dword v128, off, s[0:3], 0 offset:308
	buffer_load_dword v129, off, s[0:3], 0 offset:316
	buffer_load_dword v130, off, s[0:3], 0 offset:324
	buffer_load_dword v131, off, s[0:3], 0 offset:332
	buffer_load_dword v132, off, s[0:3], 0 offset:340
	buffer_load_dword v133, off, s[0:3], 0 offset:348
	buffer_load_dword v134, off, s[0:3], 0 offset:356
	buffer_load_dword v135, off, s[0:3], 0 offset:364
	buffer_load_dword v136, off, s[0:3], 0 offset:372
	buffer_load_dword v137, off, s[0:3], 0 offset:380
	buffer_load_dword v138, off, s[0:3], 0 offset:280
	buffer_load_dword v139, off, s[0:3], 0 offset:288
	buffer_load_dword v140, off, s[0:3], 0 offset:296
	buffer_load_dword v141, off, s[0:3], 0 offset:304
	buffer_load_dword v142, off, s[0:3], 0 offset:312
	buffer_load_dword v143, off, s[0:3], 0 offset:320
	buffer_load_dword v144, off, s[0:3], 0 offset:328
	buffer_load_dword v145, off, s[0:3], 0 offset:336
	buffer_load_dword v146, off, s[0:3], 0 offset:344
	buffer_load_dword v147, off, s[0:3], 0 offset:352
	buffer_load_dword v148, off, s[0:3], 0 offset:360
	buffer_load_dword v149, off, s[0:3], 0 offset:368
	buffer_load_dword v150, off, s[0:3], 0 offset:376
	buffer_load_dword v151, off, s[0:3], 0 offset:272
	buffer_load_dword v152, off, s[0:3], 0 offset:276
	v_mov_b32_e32 v98, 0
	ds_read2_b64 v[99:102], v98 offset0:83 offset1:84
	ds_read2_b64 v[103:106], v98 offset0:85 offset1:86
	;; [unrolled: 1-line block ×6, first 2 shown]
	ds_read_b64 v[123:124], v98 offset:760
	v_cmp_lt_u32_e32 vcc, 33, v0
	s_waitcnt vmcnt(27) lgkmcnt(6)
	v_mul_f32_e32 v153, v99, v125
	v_mul_f32_e32 v125, v100, v125
	s_waitcnt vmcnt(26)
	v_mul_f32_e32 v154, v101, v126
	v_mul_f32_e32 v126, v102, v126
	s_waitcnt vmcnt(25) lgkmcnt(5)
	v_mul_f32_e32 v155, v103, v127
	v_mul_f32_e32 v127, v104, v127
	s_waitcnt vmcnt(24)
	v_mul_f32_e32 v156, v105, v128
	v_mul_f32_e32 v128, v106, v128
	;; [unrolled: 6-line block ×3, first 2 shown]
	s_waitcnt vmcnt(21) lgkmcnt(3)
	v_mul_f32_e32 v159, v111, v131
	s_waitcnt vmcnt(14)
	v_fma_f32 v99, v99, v138, -v125
	v_fmac_f32_e32 v153, v100, v138
	s_waitcnt vmcnt(13)
	v_fma_f32 v100, v101, v139, -v126
	v_add_f32_e32 v99, 0, v99
	s_waitcnt vmcnt(12)
	v_fma_f32 v101, v103, v140, -v127
	v_add_f32_e32 v99, v99, v100
	v_fmac_f32_e32 v154, v102, v139
	s_waitcnt vmcnt(11)
	v_fma_f32 v102, v105, v141, -v128
	v_add_f32_e32 v99, v99, v101
	s_waitcnt vmcnt(10)
	v_fma_f32 v103, v107, v142, -v129
	v_add_f32_e32 v99, v99, v102
	v_fmac_f32_e32 v155, v104, v140
	s_waitcnt vmcnt(9)
	v_fma_f32 v104, v109, v143, -v130
	v_add_f32_e32 v99, v99, v103
	v_mul_f32_e32 v101, v112, v131
	v_add_f32_e32 v99, v99, v104
	s_waitcnt vmcnt(8)
	v_fma_f32 v101, v111, v144, -v101
	v_add_f32_e32 v99, v99, v101
	v_mul_f32_e32 v101, v114, v132
	v_add_f32_e32 v105, 0, v153
	s_waitcnt vmcnt(7)
	v_fma_f32 v101, v113, v145, -v101
	v_add_f32_e32 v105, v105, v154
	v_add_f32_e32 v99, v99, v101
	s_waitcnt lgkmcnt(2)
	v_mul_f32_e32 v101, v116, v133
	v_fmac_f32_e32 v156, v106, v141
	v_add_f32_e32 v100, v105, v155
	s_waitcnt vmcnt(6)
	v_fma_f32 v101, v115, v146, -v101
	v_fmac_f32_e32 v157, v108, v142
	v_add_f32_e32 v100, v100, v156
	v_add_f32_e32 v99, v99, v101
	v_mul_f32_e32 v101, v118, v134
	v_fmac_f32_e32 v158, v110, v143
	v_add_f32_e32 v100, v100, v157
	s_waitcnt vmcnt(5)
	v_fma_f32 v101, v117, v147, -v101
	v_mul_f32_e32 v160, v113, v132
	v_fmac_f32_e32 v159, v112, v144
	v_add_f32_e32 v100, v100, v158
	v_add_f32_e32 v99, v99, v101
	s_waitcnt lgkmcnt(1)
	v_mul_f32_e32 v101, v120, v135
	v_mul_f32_e32 v161, v115, v133
	v_fmac_f32_e32 v160, v114, v145
	v_add_f32_e32 v100, v100, v159
	s_waitcnt vmcnt(4)
	v_fma_f32 v101, v119, v148, -v101
	v_mul_f32_e32 v162, v117, v134
	v_fmac_f32_e32 v161, v116, v146
	v_add_f32_e32 v100, v100, v160
	v_add_f32_e32 v99, v99, v101
	v_mul_f32_e32 v101, v122, v136
	v_mul_f32_e32 v163, v119, v135
	v_fmac_f32_e32 v162, v118, v147
	v_add_f32_e32 v100, v100, v161
	s_waitcnt vmcnt(3)
	v_fma_f32 v101, v121, v149, -v101
	v_mul_f32_e32 v164, v121, v136
	v_fmac_f32_e32 v163, v120, v148
	v_add_f32_e32 v100, v100, v162
	v_add_f32_e32 v99, v99, v101
	s_waitcnt lgkmcnt(0)
	v_mul_f32_e32 v101, v124, v137
	v_mul_f32_e32 v165, v123, v137
	v_fmac_f32_e32 v164, v122, v149
	v_add_f32_e32 v100, v100, v163
	s_waitcnt vmcnt(2)
	v_fma_f32 v101, v123, v150, -v101
	v_fmac_f32_e32 v165, v124, v150
	v_add_f32_e32 v100, v100, v164
	v_add_f32_e32 v99, v99, v101
	;; [unrolled: 1-line block ×3, first 2 shown]
	s_waitcnt vmcnt(1)
	v_sub_f32_e32 v99, v151, v99
	s_waitcnt vmcnt(0)
	v_sub_f32_e32 v100, v152, v100
	buffer_store_dword v99, off, s[0:3], 0 offset:272
	buffer_store_dword v100, off, s[0:3], 0 offset:276
	s_and_saveexec_b64 s[4:5], vcc
	s_cbranch_execz .LBB111_235
; %bb.234:
	buffer_load_dword v99, off, s[0:3], 0 offset:264
	buffer_load_dword v100, off, s[0:3], 0 offset:268
	s_waitcnt vmcnt(0)
	ds_write_b64 v97, v[99:100]
	buffer_store_dword v98, off, s[0:3], 0 offset:264
	buffer_store_dword v98, off, s[0:3], 0 offset:268
.LBB111_235:
	s_or_b64 exec, exec, s[4:5]
	s_waitcnt lgkmcnt(0)
	; wave barrier
	buffer_load_dword v127, off, s[0:3], 0 offset:276
	buffer_load_dword v128, off, s[0:3], 0 offset:284
	;; [unrolled: 1-line block ×30, first 2 shown]
	ds_read_b128 v[99:102], v98 offset:656
	ds_read_b128 v[103:106], v98 offset:672
	;; [unrolled: 1-line block ×7, first 2 shown]
	v_cmp_lt_u32_e32 vcc, 32, v0
	s_waitcnt vmcnt(29) lgkmcnt(6)
	v_mul_f32_e32 v98, v99, v127
	v_mul_f32_e32 v127, v100, v127
	s_waitcnt vmcnt(28)
	v_mul_f32_e32 v157, v101, v128
	v_mul_f32_e32 v128, v102, v128
	s_waitcnt vmcnt(27) lgkmcnt(5)
	v_mul_f32_e32 v158, v103, v129
	v_mul_f32_e32 v129, v104, v129
	s_waitcnt vmcnt(26)
	v_mul_f32_e32 v159, v105, v130
	v_mul_f32_e32 v130, v106, v130
	s_waitcnt vmcnt(25) lgkmcnt(4)
	v_mul_f32_e32 v160, v107, v131
	v_mul_f32_e32 v131, v108, v131
	s_waitcnt vmcnt(24)
	v_mul_f32_e32 v161, v109, v132
	s_waitcnt vmcnt(23) lgkmcnt(3)
	v_mul_f32_e32 v162, v111, v133
	s_waitcnt vmcnt(22)
	v_mul_f32_e32 v163, v113, v134
	s_waitcnt vmcnt(21) lgkmcnt(2)
	v_mul_f32_e32 v164, v115, v135
	s_waitcnt vmcnt(15)
	v_fma_f32 v99, v99, v141, -v127
	v_fmac_f32_e32 v98, v100, v141
	s_waitcnt vmcnt(14)
	v_fma_f32 v100, v101, v142, -v128
	v_add_f32_e32 v99, 0, v99
	s_waitcnt vmcnt(13)
	v_fma_f32 v101, v103, v143, -v129
	v_add_f32_e32 v99, v99, v100
	v_fmac_f32_e32 v157, v102, v142
	s_waitcnt vmcnt(12)
	v_fma_f32 v102, v105, v144, -v130
	v_add_f32_e32 v99, v99, v101
	s_waitcnt vmcnt(11)
	v_fma_f32 v103, v107, v145, -v131
	v_add_f32_e32 v99, v99, v102
	v_mul_f32_e32 v100, v110, v132
	v_add_f32_e32 v99, v99, v103
	s_waitcnt vmcnt(10)
	v_fma_f32 v100, v109, v146, -v100
	v_add_f32_e32 v99, v99, v100
	v_mul_f32_e32 v100, v112, v133
	s_waitcnt vmcnt(9)
	v_fma_f32 v100, v111, v147, -v100
	v_add_f32_e32 v99, v99, v100
	v_mul_f32_e32 v100, v114, v134
	s_waitcnt vmcnt(8)
	v_fma_f32 v100, v113, v148, -v100
	v_add_f32_e32 v98, 0, v98
	v_add_f32_e32 v99, v99, v100
	v_mul_f32_e32 v100, v116, v135
	v_fmac_f32_e32 v158, v104, v143
	v_add_f32_e32 v98, v98, v157
	s_waitcnt vmcnt(7)
	v_fma_f32 v100, v115, v149, -v100
	v_fmac_f32_e32 v159, v106, v144
	v_add_f32_e32 v98, v98, v158
	v_add_f32_e32 v99, v99, v100
	v_mul_f32_e32 v100, v118, v136
	v_fmac_f32_e32 v160, v108, v145
	v_add_f32_e32 v98, v98, v159
	s_waitcnt vmcnt(6)
	v_fma_f32 v100, v117, v150, -v100
	v_fmac_f32_e32 v161, v110, v146
	v_add_f32_e32 v98, v98, v160
	v_add_f32_e32 v99, v99, v100
	s_waitcnt lgkmcnt(1)
	v_mul_f32_e32 v100, v120, v137
	v_fmac_f32_e32 v162, v112, v147
	v_add_f32_e32 v98, v98, v161
	s_waitcnt vmcnt(5)
	v_fma_f32 v100, v119, v151, -v100
	v_fmac_f32_e32 v163, v114, v148
	v_add_f32_e32 v98, v98, v162
	v_add_f32_e32 v99, v99, v100
	v_mul_f32_e32 v100, v122, v138
	v_mul_f32_e32 v165, v117, v136
	v_fmac_f32_e32 v164, v116, v149
	v_add_f32_e32 v98, v98, v163
	s_waitcnt vmcnt(4)
	v_fma_f32 v100, v121, v152, -v100
	v_mul_f32_e32 v166, v119, v137
	v_fmac_f32_e32 v165, v118, v150
	v_add_f32_e32 v98, v98, v164
	v_add_f32_e32 v99, v99, v100
	s_waitcnt lgkmcnt(0)
	v_mul_f32_e32 v100, v124, v139
	v_mul_f32_e32 v167, v121, v138
	v_fmac_f32_e32 v166, v120, v151
	v_add_f32_e32 v98, v98, v165
	s_waitcnt vmcnt(3)
	v_fma_f32 v100, v123, v153, -v100
	v_mul_f32_e32 v168, v123, v139
	v_fmac_f32_e32 v167, v122, v152
	v_add_f32_e32 v98, v98, v166
	v_add_f32_e32 v99, v99, v100
	v_mul_f32_e32 v100, v126, v140
	v_mul_f32_e32 v169, v125, v140
	v_fmac_f32_e32 v168, v124, v153
	v_add_f32_e32 v98, v98, v167
	s_waitcnt vmcnt(2)
	v_fma_f32 v100, v125, v154, -v100
	v_fmac_f32_e32 v169, v126, v154
	v_add_f32_e32 v98, v98, v168
	v_add_f32_e32 v99, v99, v100
	;; [unrolled: 1-line block ×3, first 2 shown]
	s_waitcnt vmcnt(1)
	v_sub_f32_e32 v99, v155, v99
	s_waitcnt vmcnt(0)
	v_sub_f32_e32 v98, v156, v98
	buffer_store_dword v99, off, s[0:3], 0 offset:264
	buffer_store_dword v98, off, s[0:3], 0 offset:268
	s_and_saveexec_b64 s[4:5], vcc
	s_cbranch_execz .LBB111_237
; %bb.236:
	buffer_load_dword v98, off, s[0:3], 0 offset:256
	buffer_load_dword v99, off, s[0:3], 0 offset:260
	v_mov_b32_e32 v100, 0
	buffer_store_dword v100, off, s[0:3], 0 offset:256
	buffer_store_dword v100, off, s[0:3], 0 offset:260
	s_waitcnt vmcnt(2)
	ds_write_b64 v97, v[98:99]
.LBB111_237:
	s_or_b64 exec, exec, s[4:5]
	s_waitcnt lgkmcnt(0)
	; wave barrier
	buffer_load_dword v129, off, s[0:3], 0 offset:268
	buffer_load_dword v130, off, s[0:3], 0 offset:276
	;; [unrolled: 1-line block ×32, first 2 shown]
	v_mov_b32_e32 v98, 0
	ds_read2_b64 v[99:102], v98 offset0:81 offset1:82
	ds_read2_b64 v[103:106], v98 offset0:83 offset1:84
	;; [unrolled: 1-line block ×7, first 2 shown]
	ds_read_b64 v[127:128], v98 offset:760
	v_cmp_lt_u32_e32 vcc, 31, v0
	s_waitcnt vmcnt(31) lgkmcnt(7)
	v_mul_f32_e32 v161, v99, v129
	v_mul_f32_e32 v129, v100, v129
	s_waitcnt vmcnt(30)
	v_mul_f32_e32 v162, v101, v130
	v_mul_f32_e32 v130, v102, v130
	s_waitcnt vmcnt(29) lgkmcnt(6)
	v_mul_f32_e32 v163, v103, v131
	v_mul_f32_e32 v131, v104, v131
	s_waitcnt vmcnt(28)
	v_mul_f32_e32 v164, v105, v132
	s_waitcnt vmcnt(27) lgkmcnt(5)
	v_mul_f32_e32 v165, v107, v133
	s_waitcnt vmcnt(26)
	v_mul_f32_e32 v166, v109, v134
	s_waitcnt vmcnt(25) lgkmcnt(4)
	;; [unrolled: 4-line block ×4, first 2 shown]
	v_mul_f32_e32 v171, v119, v139
	s_waitcnt vmcnt(20)
	v_mul_f32_e32 v172, v121, v140
	s_waitcnt vmcnt(16)
	v_fma_f32 v99, v99, v144, -v129
	v_fmac_f32_e32 v161, v100, v144
	s_waitcnt vmcnt(15)
	v_fma_f32 v100, v101, v145, -v130
	v_add_f32_e32 v99, 0, v99
	s_waitcnt vmcnt(14)
	v_fma_f32 v101, v103, v146, -v131
	v_add_f32_e32 v99, v99, v100
	v_add_f32_e32 v99, v99, v101
	v_mul_f32_e32 v101, v106, v132
	s_waitcnt vmcnt(13)
	v_fma_f32 v101, v105, v147, -v101
	v_add_f32_e32 v99, v99, v101
	v_mul_f32_e32 v101, v108, v133
	s_waitcnt vmcnt(12)
	v_fma_f32 v101, v107, v148, -v101
	v_add_f32_e32 v99, v99, v101
	v_mul_f32_e32 v101, v110, v134
	s_waitcnt vmcnt(11)
	v_fma_f32 v101, v109, v149, -v101
	v_add_f32_e32 v99, v99, v101
	v_mul_f32_e32 v101, v112, v135
	s_waitcnt vmcnt(10)
	v_fma_f32 v101, v111, v150, -v101
	v_add_f32_e32 v99, v99, v101
	v_mul_f32_e32 v101, v114, v136
	s_waitcnt vmcnt(9)
	v_fma_f32 v101, v113, v151, -v101
	v_add_f32_e32 v99, v99, v101
	v_mul_f32_e32 v101, v116, v137
	v_fmac_f32_e32 v162, v102, v145
	v_add_f32_e32 v102, 0, v161
	s_waitcnt vmcnt(8)
	v_fma_f32 v101, v115, v152, -v101
	v_fmac_f32_e32 v163, v104, v146
	v_add_f32_e32 v102, v102, v162
	v_add_f32_e32 v99, v99, v101
	v_mul_f32_e32 v101, v118, v138
	v_fmac_f32_e32 v164, v106, v147
	v_add_f32_e32 v100, v102, v163
	s_waitcnt vmcnt(7)
	v_fma_f32 v101, v117, v153, -v101
	v_fmac_f32_e32 v165, v108, v148
	v_add_f32_e32 v100, v100, v164
	;; [unrolled: 8-line block ×4, first 2 shown]
	v_add_f32_e32 v99, v99, v101
	s_waitcnt lgkmcnt(1)
	v_mul_f32_e32 v101, v124, v141
	v_fmac_f32_e32 v170, v118, v153
	v_add_f32_e32 v100, v100, v169
	s_waitcnt vmcnt(4)
	v_fma_f32 v101, v123, v156, -v101
	v_fmac_f32_e32 v171, v120, v154
	v_add_f32_e32 v100, v100, v170
	v_add_f32_e32 v99, v99, v101
	v_mul_f32_e32 v101, v126, v142
	v_mul_f32_e32 v173, v123, v141
	v_fmac_f32_e32 v172, v122, v155
	v_add_f32_e32 v100, v100, v171
	s_waitcnt vmcnt(3)
	v_fma_f32 v101, v125, v157, -v101
	v_mul_f32_e32 v174, v125, v142
	v_fmac_f32_e32 v173, v124, v156
	v_add_f32_e32 v100, v100, v172
	v_add_f32_e32 v99, v99, v101
	s_waitcnt lgkmcnt(0)
	v_mul_f32_e32 v101, v128, v143
	v_mul_f32_e32 v175, v127, v143
	v_fmac_f32_e32 v174, v126, v157
	v_add_f32_e32 v100, v100, v173
	s_waitcnt vmcnt(2)
	v_fma_f32 v101, v127, v158, -v101
	v_fmac_f32_e32 v175, v128, v158
	v_add_f32_e32 v100, v100, v174
	v_add_f32_e32 v99, v99, v101
	;; [unrolled: 1-line block ×3, first 2 shown]
	s_waitcnt vmcnt(1)
	v_sub_f32_e32 v99, v159, v99
	s_waitcnt vmcnt(0)
	v_sub_f32_e32 v100, v160, v100
	buffer_store_dword v99, off, s[0:3], 0 offset:256
	buffer_store_dword v100, off, s[0:3], 0 offset:260
	s_and_saveexec_b64 s[4:5], vcc
	s_cbranch_execz .LBB111_239
; %bb.238:
	buffer_load_dword v99, off, s[0:3], 0 offset:248
	buffer_load_dword v100, off, s[0:3], 0 offset:252
	s_waitcnt vmcnt(0)
	ds_write_b64 v97, v[99:100]
	buffer_store_dword v98, off, s[0:3], 0 offset:248
	buffer_store_dword v98, off, s[0:3], 0 offset:252
.LBB111_239:
	s_or_b64 exec, exec, s[4:5]
	s_waitcnt lgkmcnt(0)
	; wave barrier
	buffer_load_dword v131, off, s[0:3], 0 offset:260
	buffer_load_dword v132, off, s[0:3], 0 offset:268
	;; [unrolled: 1-line block ×34, first 2 shown]
	ds_read_b128 v[99:102], v98 offset:640
	ds_read_b128 v[103:106], v98 offset:656
	;; [unrolled: 1-line block ×8, first 2 shown]
	v_cmp_lt_u32_e32 vcc, 30, v0
	s_waitcnt vmcnt(33) lgkmcnt(7)
	v_mul_f32_e32 v98, v99, v131
	v_mul_f32_e32 v131, v100, v131
	s_waitcnt vmcnt(32)
	v_mul_f32_e32 v165, v101, v132
	v_mul_f32_e32 v132, v102, v132
	s_waitcnt vmcnt(31) lgkmcnt(6)
	v_mul_f32_e32 v166, v103, v133
	s_waitcnt vmcnt(30)
	v_mul_f32_e32 v167, v105, v134
	s_waitcnt vmcnt(29) lgkmcnt(5)
	v_mul_f32_e32 v168, v107, v135
	s_waitcnt vmcnt(28)
	;; [unrolled: 4-line block ×6, first 2 shown]
	v_mul_f32_e32 v177, v125, v144
	s_waitcnt vmcnt(17)
	v_fma_f32 v99, v99, v147, -v131
	v_fmac_f32_e32 v98, v100, v147
	s_waitcnt vmcnt(16)
	v_fma_f32 v100, v101, v148, -v132
	v_add_f32_e32 v99, 0, v99
	v_add_f32_e32 v99, v99, v100
	v_mul_f32_e32 v100, v104, v133
	s_waitcnt vmcnt(15)
	v_fma_f32 v100, v103, v149, -v100
	v_add_f32_e32 v99, v99, v100
	v_mul_f32_e32 v100, v106, v134
	s_waitcnt vmcnt(14)
	v_fma_f32 v100, v105, v150, -v100
	;; [unrolled: 4-line block ×7, first 2 shown]
	v_fmac_f32_e32 v165, v102, v148
	v_add_f32_e32 v98, 0, v98
	v_add_f32_e32 v99, v99, v100
	v_mul_f32_e32 v100, v118, v140
	v_fmac_f32_e32 v166, v104, v149
	v_add_f32_e32 v98, v98, v165
	s_waitcnt vmcnt(8)
	v_fma_f32 v100, v117, v156, -v100
	v_fmac_f32_e32 v167, v106, v150
	v_add_f32_e32 v98, v98, v166
	v_add_f32_e32 v99, v99, v100
	v_mul_f32_e32 v100, v120, v141
	v_fmac_f32_e32 v168, v108, v151
	v_add_f32_e32 v98, v98, v167
	s_waitcnt vmcnt(7)
	v_fma_f32 v100, v119, v157, -v100
	;; [unrolled: 8-line block ×5, first 2 shown]
	v_fmac_f32_e32 v175, v122, v158
	v_add_f32_e32 v98, v98, v174
	v_add_f32_e32 v99, v99, v100
	s_waitcnt lgkmcnt(0)
	v_mul_f32_e32 v100, v128, v145
	v_fmac_f32_e32 v176, v124, v159
	v_add_f32_e32 v98, v98, v175
	s_waitcnt vmcnt(3)
	v_fma_f32 v100, v127, v161, -v100
	v_mul_f32_e32 v178, v127, v145
	v_fmac_f32_e32 v177, v126, v160
	v_add_f32_e32 v98, v98, v176
	v_add_f32_e32 v99, v99, v100
	v_mul_f32_e32 v100, v130, v146
	v_mul_f32_e32 v179, v129, v146
	v_fmac_f32_e32 v178, v128, v161
	v_add_f32_e32 v98, v98, v177
	s_waitcnt vmcnt(2)
	v_fma_f32 v100, v129, v162, -v100
	v_fmac_f32_e32 v179, v130, v162
	v_add_f32_e32 v98, v98, v178
	v_add_f32_e32 v99, v99, v100
	;; [unrolled: 1-line block ×3, first 2 shown]
	s_waitcnt vmcnt(1)
	v_sub_f32_e32 v99, v163, v99
	s_waitcnt vmcnt(0)
	v_sub_f32_e32 v98, v164, v98
	buffer_store_dword v99, off, s[0:3], 0 offset:248
	buffer_store_dword v98, off, s[0:3], 0 offset:252
	s_and_saveexec_b64 s[4:5], vcc
	s_cbranch_execz .LBB111_241
; %bb.240:
	buffer_load_dword v98, off, s[0:3], 0 offset:240
	buffer_load_dword v99, off, s[0:3], 0 offset:244
	v_mov_b32_e32 v100, 0
	buffer_store_dword v100, off, s[0:3], 0 offset:240
	buffer_store_dword v100, off, s[0:3], 0 offset:244
	s_waitcnt vmcnt(2)
	ds_write_b64 v97, v[98:99]
.LBB111_241:
	s_or_b64 exec, exec, s[4:5]
	s_waitcnt lgkmcnt(0)
	; wave barrier
	buffer_load_dword v133, off, s[0:3], 0 offset:252
	buffer_load_dword v134, off, s[0:3], 0 offset:260
	;; [unrolled: 1-line block ×36, first 2 shown]
	v_mov_b32_e32 v98, 0
	ds_read2_b64 v[99:102], v98 offset0:79 offset1:80
	ds_read2_b64 v[103:106], v98 offset0:81 offset1:82
	;; [unrolled: 1-line block ×8, first 2 shown]
	ds_read_b64 v[131:132], v98 offset:760
	v_cmp_lt_u32_e32 vcc, 29, v0
	s_waitcnt vmcnt(35) lgkmcnt(8)
	v_mul_f32_e32 v169, v99, v133
	s_waitcnt vmcnt(34)
	v_mul_f32_e32 v170, v101, v134
	s_waitcnt vmcnt(33) lgkmcnt(7)
	v_mul_f32_e32 v171, v103, v135
	s_waitcnt vmcnt(32)
	v_mul_f32_e32 v172, v105, v136
	;; [unrolled: 4-line block ×8, first 2 shown]
	s_waitcnt vmcnt(19) lgkmcnt(0)
	v_mul_f32_e32 v185, v131, v149
	s_waitcnt vmcnt(18)
	v_fmac_f32_e32 v169, v100, v150
	v_mul_f32_e32 v100, v100, v133
	v_fma_f32 v99, v99, v150, -v100
	v_mul_f32_e32 v100, v102, v134
	v_add_f32_e32 v99, 0, v99
	s_waitcnt vmcnt(17)
	v_fma_f32 v100, v101, v151, -v100
	v_add_f32_e32 v99, v99, v100
	v_mul_f32_e32 v100, v104, v135
	s_waitcnt vmcnt(16)
	v_fma_f32 v100, v103, v152, -v100
	v_add_f32_e32 v99, v99, v100
	v_mul_f32_e32 v100, v106, v136
	;; [unrolled: 4-line block ×8, first 2 shown]
	v_fmac_f32_e32 v170, v102, v151
	v_add_f32_e32 v169, 0, v169
	s_waitcnt vmcnt(9)
	v_fma_f32 v100, v117, v159, -v100
	v_fmac_f32_e32 v171, v104, v152
	v_add_f32_e32 v169, v169, v170
	v_add_f32_e32 v99, v99, v100
	v_mul_f32_e32 v100, v120, v143
	v_fmac_f32_e32 v172, v106, v153
	v_add_f32_e32 v169, v169, v171
	s_waitcnt vmcnt(8)
	v_fma_f32 v100, v119, v160, -v100
	v_fmac_f32_e32 v173, v108, v154
	v_add_f32_e32 v169, v169, v172
	v_add_f32_e32 v99, v99, v100
	v_mul_f32_e32 v100, v122, v144
	;; [unrolled: 8-line block ×7, first 2 shown]
	v_fmac_f32_e32 v184, v130, v165
	v_add_f32_e32 v169, v169, v183
	s_waitcnt vmcnt(2)
	v_fma_f32 v100, v131, v166, -v100
	v_fmac_f32_e32 v185, v132, v166
	v_add_f32_e32 v169, v169, v184
	v_add_f32_e32 v99, v99, v100
	;; [unrolled: 1-line block ×3, first 2 shown]
	s_waitcnt vmcnt(1)
	v_sub_f32_e32 v99, v167, v99
	s_waitcnt vmcnt(0)
	v_sub_f32_e32 v100, v168, v169
	buffer_store_dword v99, off, s[0:3], 0 offset:240
	buffer_store_dword v100, off, s[0:3], 0 offset:244
	s_and_saveexec_b64 s[4:5], vcc
	s_cbranch_execz .LBB111_243
; %bb.242:
	buffer_load_dword v99, off, s[0:3], 0 offset:232
	buffer_load_dword v100, off, s[0:3], 0 offset:236
	s_waitcnt vmcnt(0)
	ds_write_b64 v97, v[99:100]
	buffer_store_dword v98, off, s[0:3], 0 offset:232
	buffer_store_dword v98, off, s[0:3], 0 offset:236
.LBB111_243:
	s_or_b64 exec, exec, s[4:5]
	s_waitcnt lgkmcnt(0)
	; wave barrier
	buffer_load_dword v135, off, s[0:3], 0 offset:244
	buffer_load_dword v136, off, s[0:3], 0 offset:252
	;; [unrolled: 1-line block ×38, first 2 shown]
	ds_read_b128 v[99:102], v98 offset:624
	ds_read_b128 v[103:106], v98 offset:640
	ds_read_b128 v[107:110], v98 offset:656
	ds_read_b128 v[111:114], v98 offset:672
	ds_read_b128 v[115:118], v98 offset:688
	ds_read_b128 v[119:122], v98 offset:704
	ds_read_b128 v[123:126], v98 offset:720
	ds_read_b128 v[127:130], v98 offset:736
	ds_read_b128 v[131:134], v98 offset:752
	v_cmp_lt_u32_e32 vcc, 28, v0
	s_waitcnt vmcnt(37) lgkmcnt(8)
	v_mul_f32_e32 v98, v99, v135
	s_waitcnt vmcnt(36)
	v_mul_f32_e32 v173, v101, v136
	s_waitcnt vmcnt(35) lgkmcnt(7)
	v_mul_f32_e32 v174, v103, v137
	s_waitcnt vmcnt(34)
	v_mul_f32_e32 v175, v105, v138
	;; [unrolled: 4-line block ×8, first 2 shown]
	s_waitcnt vmcnt(21) lgkmcnt(0)
	v_mul_f32_e32 v188, v131, v151
	s_waitcnt vmcnt(20)
	v_fmac_f32_e32 v98, v100, v152
	v_mul_f32_e32 v100, v100, v135
	v_fma_f32 v99, v99, v152, -v100
	v_mul_f32_e32 v100, v102, v136
	v_add_f32_e32 v99, 0, v99
	s_waitcnt vmcnt(19)
	v_fma_f32 v100, v101, v153, -v100
	v_add_f32_e32 v99, v99, v100
	v_mul_f32_e32 v100, v104, v137
	s_waitcnt vmcnt(18)
	v_fma_f32 v100, v103, v154, -v100
	v_add_f32_e32 v99, v99, v100
	v_mul_f32_e32 v100, v106, v138
	;; [unrolled: 4-line block ×8, first 2 shown]
	s_waitcnt vmcnt(11)
	v_fma_f32 v100, v117, v161, -v100
	v_fmac_f32_e32 v173, v102, v153
	v_add_f32_e32 v98, 0, v98
	v_add_f32_e32 v99, v99, v100
	v_mul_f32_e32 v100, v120, v145
	v_fmac_f32_e32 v174, v104, v154
	v_add_f32_e32 v98, v98, v173
	s_waitcnt vmcnt(10)
	v_fma_f32 v100, v119, v162, -v100
	v_fmac_f32_e32 v175, v106, v155
	v_add_f32_e32 v98, v98, v174
	v_add_f32_e32 v99, v99, v100
	v_mul_f32_e32 v100, v122, v146
	v_fmac_f32_e32 v176, v108, v156
	v_add_f32_e32 v98, v98, v175
	;; [unrolled: 8-line block ×7, first 2 shown]
	s_waitcnt vmcnt(4)
	v_fma_f32 v100, v131, v168, -v100
	v_fmac_f32_e32 v187, v130, v167
	v_add_f32_e32 v98, v98, v186
	v_add_f32_e32 v99, v99, v100
	s_waitcnt vmcnt(3)
	v_mul_f32_e32 v100, v134, v169
	v_add_f32_e32 v98, v98, v187
	v_fmac_f32_e32 v188, v132, v168
	v_mul_f32_e32 v173, v133, v169
	s_waitcnt vmcnt(2)
	v_fma_f32 v100, v133, v170, -v100
	v_add_f32_e32 v98, v98, v188
	v_fmac_f32_e32 v173, v134, v170
	v_add_f32_e32 v99, v99, v100
	v_add_f32_e32 v98, v98, v173
	s_waitcnt vmcnt(1)
	v_sub_f32_e32 v99, v171, v99
	s_waitcnt vmcnt(0)
	v_sub_f32_e32 v98, v172, v98
	buffer_store_dword v99, off, s[0:3], 0 offset:232
	buffer_store_dword v98, off, s[0:3], 0 offset:236
	s_and_saveexec_b64 s[4:5], vcc
	s_cbranch_execz .LBB111_245
; %bb.244:
	buffer_load_dword v98, off, s[0:3], 0 offset:224
	buffer_load_dword v99, off, s[0:3], 0 offset:228
	v_mov_b32_e32 v100, 0
	buffer_store_dword v100, off, s[0:3], 0 offset:224
	buffer_store_dword v100, off, s[0:3], 0 offset:228
	s_waitcnt vmcnt(2)
	ds_write_b64 v97, v[98:99]
.LBB111_245:
	s_or_b64 exec, exec, s[4:5]
	s_waitcnt lgkmcnt(0)
	; wave barrier
	buffer_load_dword v137, off, s[0:3], 0 offset:236
	buffer_load_dword v138, off, s[0:3], 0 offset:244
	;; [unrolled: 1-line block ×40, first 2 shown]
	v_mov_b32_e32 v98, 0
	ds_read2_b64 v[99:102], v98 offset0:77 offset1:78
	ds_read2_b64 v[103:106], v98 offset0:79 offset1:80
	;; [unrolled: 1-line block ×9, first 2 shown]
	v_cmp_lt_u32_e32 vcc, 27, v0
	s_waitcnt vmcnt(39) lgkmcnt(8)
	v_mul_f32_e32 v135, v99, v137
	s_waitcnt vmcnt(38)
	v_mul_f32_e32 v136, v101, v138
	s_waitcnt vmcnt(37) lgkmcnt(7)
	v_mul_f32_e32 v177, v103, v139
	s_waitcnt vmcnt(36)
	v_mul_f32_e32 v178, v105, v140
	;; [unrolled: 4-line block ×7, first 2 shown]
	s_waitcnt vmcnt(25) lgkmcnt(1)
	v_mul_f32_e32 v189, v127, v151
	s_waitcnt vmcnt(24)
	v_fmac_f32_e32 v135, v100, v152
	v_mul_f32_e32 v100, v100, v137
	v_fma_f32 v99, v99, v152, -v100
	v_mul_f32_e32 v100, v102, v138
	v_add_f32_e32 v99, 0, v99
	s_waitcnt vmcnt(23)
	v_fma_f32 v100, v101, v153, -v100
	v_add_f32_e32 v99, v99, v100
	v_mul_f32_e32 v100, v104, v139
	s_waitcnt vmcnt(22)
	v_fma_f32 v100, v103, v154, -v100
	v_add_f32_e32 v99, v99, v100
	v_mul_f32_e32 v100, v106, v140
	;; [unrolled: 4-line block ×6, first 2 shown]
	s_waitcnt vmcnt(17)
	v_fma_f32 v100, v113, v159, -v100
	v_fmac_f32_e32 v136, v102, v153
	v_add_f32_e32 v135, 0, v135
	v_add_f32_e32 v99, v99, v100
	v_mul_f32_e32 v100, v116, v145
	v_fmac_f32_e32 v177, v104, v154
	v_add_f32_e32 v135, v135, v136
	s_waitcnt vmcnt(16)
	v_fma_f32 v100, v115, v160, -v100
	v_fmac_f32_e32 v178, v106, v155
	v_add_f32_e32 v135, v135, v177
	v_add_f32_e32 v99, v99, v100
	v_mul_f32_e32 v100, v118, v146
	v_fmac_f32_e32 v179, v108, v156
	v_add_f32_e32 v135, v135, v178
	;; [unrolled: 8-line block ×6, first 2 shown]
	s_waitcnt vmcnt(11)
	v_fma_f32 v100, v125, v165, -v100
	v_fmac_f32_e32 v188, v126, v165
	v_add_f32_e32 v135, v135, v187
	v_add_f32_e32 v99, v99, v100
	v_mul_f32_e32 v100, v128, v151
	s_waitcnt vmcnt(10)
	v_fmac_f32_e32 v189, v128, v166
	v_add_f32_e32 v135, v135, v188
	s_waitcnt vmcnt(9)
	v_mul_f32_e32 v136, v129, v167
	v_fma_f32 v100, v127, v166, -v100
	v_add_f32_e32 v135, v135, v189
	s_waitcnt vmcnt(8)
	v_fmac_f32_e32 v136, v130, v168
	v_add_f32_e32 v99, v99, v100
	v_mul_f32_e32 v100, v130, v167
	v_add_f32_e32 v177, v135, v136
	ds_read_b64 v[135:136], v98 offset:760
	v_fma_f32 v100, v129, v168, -v100
	v_add_f32_e32 v99, v99, v100
	s_waitcnt vmcnt(7) lgkmcnt(1)
	v_mul_f32_e32 v100, v132, v169
	v_mul_f32_e32 v178, v131, v169
	s_waitcnt vmcnt(6)
	v_fma_f32 v100, v131, v170, -v100
	v_fmac_f32_e32 v178, v132, v170
	v_add_f32_e32 v99, v99, v100
	s_waitcnt vmcnt(5)
	v_mul_f32_e32 v100, v134, v171
	v_add_f32_e32 v177, v177, v178
	v_mul_f32_e32 v178, v133, v171
	s_waitcnt vmcnt(4)
	v_fma_f32 v100, v133, v172, -v100
	v_fmac_f32_e32 v178, v134, v172
	v_add_f32_e32 v99, v99, v100
	s_waitcnt vmcnt(3) lgkmcnt(0)
	v_mul_f32_e32 v100, v136, v173
	v_add_f32_e32 v177, v177, v178
	v_mul_f32_e32 v178, v135, v173
	s_waitcnt vmcnt(2)
	v_fma_f32 v100, v135, v174, -v100
	v_fmac_f32_e32 v178, v136, v174
	v_add_f32_e32 v99, v99, v100
	v_add_f32_e32 v177, v177, v178
	s_waitcnt vmcnt(1)
	v_sub_f32_e32 v99, v175, v99
	s_waitcnt vmcnt(0)
	v_sub_f32_e32 v100, v176, v177
	buffer_store_dword v99, off, s[0:3], 0 offset:224
	buffer_store_dword v100, off, s[0:3], 0 offset:228
	s_and_saveexec_b64 s[4:5], vcc
	s_cbranch_execz .LBB111_247
; %bb.246:
	buffer_load_dword v99, off, s[0:3], 0 offset:216
	buffer_load_dword v100, off, s[0:3], 0 offset:220
	s_waitcnt vmcnt(0)
	ds_write_b64 v97, v[99:100]
	buffer_store_dword v98, off, s[0:3], 0 offset:216
	buffer_store_dword v98, off, s[0:3], 0 offset:220
.LBB111_247:
	s_or_b64 exec, exec, s[4:5]
	s_waitcnt lgkmcnt(0)
	; wave barrier
	buffer_load_dword v139, off, s[0:3], 0 offset:228
	buffer_load_dword v140, off, s[0:3], 0 offset:236
	;; [unrolled: 1-line block ×42, first 2 shown]
	ds_read_b128 v[99:102], v98 offset:608
	ds_read_b128 v[103:106], v98 offset:624
	;; [unrolled: 1-line block ×8, first 2 shown]
	v_cmp_lt_u32_e32 vcc, 26, v0
	s_waitcnt vmcnt(41) lgkmcnt(7)
	v_mul_f32_e32 v131, v99, v139
	s_waitcnt vmcnt(40)
	v_mul_f32_e32 v132, v101, v140
	s_waitcnt vmcnt(39) lgkmcnt(6)
	v_mul_f32_e32 v133, v103, v141
	s_waitcnt vmcnt(38)
	v_mul_f32_e32 v134, v105, v142
	s_waitcnt vmcnt(37) lgkmcnt(5)
	v_mul_f32_e32 v135, v107, v143
	s_waitcnt vmcnt(36)
	v_mul_f32_e32 v136, v109, v144
	s_waitcnt vmcnt(35) lgkmcnt(4)
	v_mul_f32_e32 v137, v111, v145
	s_waitcnt vmcnt(34)
	v_mul_f32_e32 v138, v113, v146
	s_waitcnt vmcnt(33) lgkmcnt(3)
	v_mul_f32_e32 v181, v115, v147
	s_waitcnt vmcnt(32)
	v_mul_f32_e32 v182, v117, v148
	s_waitcnt vmcnt(31) lgkmcnt(2)
	v_mul_f32_e32 v183, v119, v149
	s_waitcnt vmcnt(30)
	v_mul_f32_e32 v184, v121, v150
	s_waitcnt vmcnt(29) lgkmcnt(1)
	v_mul_f32_e32 v185, v123, v151
	s_waitcnt vmcnt(28)
	v_mul_f32_e32 v186, v125, v152
	s_waitcnt vmcnt(27) lgkmcnt(0)
	v_mul_f32_e32 v187, v127, v153
	s_waitcnt vmcnt(26)
	v_fmac_f32_e32 v131, v100, v154
	v_mul_f32_e32 v100, v100, v139
	v_fma_f32 v99, v99, v154, -v100
	v_mul_f32_e32 v100, v102, v140
	v_add_f32_e32 v99, 0, v99
	s_waitcnt vmcnt(25)
	v_fma_f32 v100, v101, v155, -v100
	v_add_f32_e32 v99, v99, v100
	v_mul_f32_e32 v100, v104, v141
	s_waitcnt vmcnt(24)
	v_fma_f32 v100, v103, v156, -v100
	v_add_f32_e32 v99, v99, v100
	v_mul_f32_e32 v100, v106, v142
	;; [unrolled: 4-line block ×5, first 2 shown]
	v_fmac_f32_e32 v132, v102, v155
	v_add_f32_e32 v131, 0, v131
	s_waitcnt vmcnt(20)
	v_fma_f32 v100, v111, v160, -v100
	v_fmac_f32_e32 v133, v104, v156
	v_add_f32_e32 v131, v131, v132
	v_add_f32_e32 v99, v99, v100
	v_mul_f32_e32 v100, v114, v146
	v_fmac_f32_e32 v134, v106, v157
	v_add_f32_e32 v131, v131, v133
	s_waitcnt vmcnt(19)
	v_fma_f32 v100, v113, v161, -v100
	v_fmac_f32_e32 v135, v108, v158
	v_add_f32_e32 v131, v131, v134
	v_add_f32_e32 v99, v99, v100
	v_mul_f32_e32 v100, v116, v147
	;; [unrolled: 8-line block ×5, first 2 shown]
	s_waitcnt vmcnt(15)
	v_fmac_f32_e32 v184, v122, v165
	v_add_f32_e32 v131, v131, v183
	v_fma_f32 v100, v121, v165, -v100
	s_waitcnt vmcnt(14)
	v_fmac_f32_e32 v185, v124, v166
	v_add_f32_e32 v131, v131, v184
	v_add_f32_e32 v99, v99, v100
	v_mul_f32_e32 v100, v124, v151
	s_waitcnt vmcnt(13)
	v_fmac_f32_e32 v186, v126, v167
	v_add_f32_e32 v131, v131, v185
	v_fma_f32 v100, v123, v166, -v100
	s_waitcnt vmcnt(12)
	v_fmac_f32_e32 v187, v128, v168
	v_add_f32_e32 v131, v131, v186
	v_add_f32_e32 v99, v99, v100
	v_mul_f32_e32 v100, v126, v152
	v_add_f32_e32 v135, v131, v187
	ds_read_b128 v[131:134], v98 offset:736
	v_fma_f32 v100, v125, v167, -v100
	v_add_f32_e32 v99, v99, v100
	v_mul_f32_e32 v100, v128, v153
	s_waitcnt vmcnt(11)
	v_mul_f32_e32 v136, v129, v169
	v_fma_f32 v100, v127, v168, -v100
	s_waitcnt vmcnt(10)
	v_fmac_f32_e32 v136, v130, v170
	v_add_f32_e32 v99, v99, v100
	v_mul_f32_e32 v100, v130, v169
	v_add_f32_e32 v181, v135, v136
	ds_read_b128 v[135:138], v98 offset:752
	v_fma_f32 v100, v129, v170, -v100
	v_add_f32_e32 v99, v99, v100
	s_waitcnt vmcnt(9) lgkmcnt(1)
	v_mul_f32_e32 v100, v132, v171
	v_mul_f32_e32 v98, v131, v171
	s_waitcnt vmcnt(8)
	v_fma_f32 v100, v131, v172, -v100
	v_fmac_f32_e32 v98, v132, v172
	v_add_f32_e32 v99, v99, v100
	s_waitcnt vmcnt(7)
	v_mul_f32_e32 v100, v134, v173
	v_add_f32_e32 v98, v181, v98
	v_mul_f32_e32 v181, v133, v173
	s_waitcnt vmcnt(6)
	v_fma_f32 v100, v133, v174, -v100
	v_fmac_f32_e32 v181, v134, v174
	v_add_f32_e32 v99, v99, v100
	s_waitcnt vmcnt(5) lgkmcnt(0)
	v_mul_f32_e32 v100, v136, v175
	v_add_f32_e32 v98, v98, v181
	v_mul_f32_e32 v181, v135, v175
	s_waitcnt vmcnt(4)
	v_fma_f32 v100, v135, v176, -v100
	v_fmac_f32_e32 v181, v136, v176
	v_add_f32_e32 v99, v99, v100
	s_waitcnt vmcnt(3)
	v_mul_f32_e32 v100, v138, v177
	v_add_f32_e32 v98, v98, v181
	v_mul_f32_e32 v181, v137, v177
	s_waitcnt vmcnt(2)
	v_fma_f32 v100, v137, v178, -v100
	v_fmac_f32_e32 v181, v138, v178
	v_add_f32_e32 v99, v99, v100
	v_add_f32_e32 v98, v98, v181
	s_waitcnt vmcnt(1)
	v_sub_f32_e32 v99, v179, v99
	s_waitcnt vmcnt(0)
	v_sub_f32_e32 v98, v180, v98
	buffer_store_dword v99, off, s[0:3], 0 offset:216
	buffer_store_dword v98, off, s[0:3], 0 offset:220
	s_and_saveexec_b64 s[4:5], vcc
	s_cbranch_execz .LBB111_249
; %bb.248:
	buffer_load_dword v98, off, s[0:3], 0 offset:208
	buffer_load_dword v99, off, s[0:3], 0 offset:212
	v_mov_b32_e32 v100, 0
	buffer_store_dword v100, off, s[0:3], 0 offset:208
	buffer_store_dword v100, off, s[0:3], 0 offset:212
	s_waitcnt vmcnt(2)
	ds_write_b64 v97, v[98:99]
.LBB111_249:
	s_or_b64 exec, exec, s[4:5]
	s_waitcnt lgkmcnt(0)
	; wave barrier
	buffer_load_dword v141, off, s[0:3], 0 offset:220
	buffer_load_dword v142, off, s[0:3], 0 offset:228
	;; [unrolled: 1-line block ×44, first 2 shown]
	v_mov_b32_e32 v98, 0
	ds_read2_b64 v[99:102], v98 offset0:75 offset1:76
	ds_read2_b64 v[103:106], v98 offset0:77 offset1:78
	;; [unrolled: 1-line block ×8, first 2 shown]
	v_cmp_lt_u32_e32 vcc, 25, v0
	s_waitcnt vmcnt(43) lgkmcnt(7)
	v_mul_f32_e32 v131, v99, v141
	s_waitcnt vmcnt(42)
	v_mul_f32_e32 v132, v101, v142
	s_waitcnt vmcnt(41) lgkmcnt(6)
	v_mul_f32_e32 v133, v103, v143
	s_waitcnt vmcnt(40)
	v_mul_f32_e32 v134, v105, v144
	;; [unrolled: 4-line block ×7, first 2 shown]
	s_waitcnt vmcnt(29)
	v_fmac_f32_e32 v131, v100, v155
	v_mul_f32_e32 v100, v100, v141
	v_fma_f32 v99, v99, v155, -v100
	v_mul_f32_e32 v100, v102, v142
	v_add_f32_e32 v99, 0, v99
	s_waitcnt vmcnt(28)
	v_fma_f32 v100, v101, v156, -v100
	v_add_f32_e32 v99, v99, v100
	v_mul_f32_e32 v100, v104, v143
	s_waitcnt vmcnt(27)
	v_fma_f32 v100, v103, v157, -v100
	v_add_f32_e32 v99, v99, v100
	v_mul_f32_e32 v100, v106, v144
	;; [unrolled: 4-line block ×4, first 2 shown]
	s_waitcnt vmcnt(24)
	v_fma_f32 v100, v109, v160, -v100
	v_fmac_f32_e32 v132, v102, v156
	v_add_f32_e32 v131, 0, v131
	v_add_f32_e32 v99, v99, v100
	v_mul_f32_e32 v100, v112, v147
	v_fmac_f32_e32 v133, v104, v157
	v_add_f32_e32 v131, v131, v132
	s_waitcnt vmcnt(23)
	v_fma_f32 v100, v111, v161, -v100
	v_fmac_f32_e32 v134, v106, v158
	v_add_f32_e32 v131, v131, v133
	v_add_f32_e32 v99, v99, v100
	v_mul_f32_e32 v100, v114, v148
	v_fmac_f32_e32 v135, v108, v159
	v_add_f32_e32 v131, v131, v134
	;; [unrolled: 8-line block ×4, first 2 shown]
	s_waitcnt vmcnt(20)
	v_fma_f32 v100, v117, v164, -v100
	v_fmac_f32_e32 v140, v118, v164
	v_add_f32_e32 v131, v131, v139
	v_add_f32_e32 v99, v99, v100
	v_mul_f32_e32 v100, v120, v151
	s_waitcnt vmcnt(19)
	v_fmac_f32_e32 v185, v120, v165
	v_add_f32_e32 v131, v131, v140
	v_fma_f32 v100, v119, v165, -v100
	s_waitcnt vmcnt(18)
	v_fmac_f32_e32 v186, v122, v166
	v_add_f32_e32 v131, v131, v185
	v_add_f32_e32 v99, v99, v100
	v_mul_f32_e32 v100, v122, v152
	s_waitcnt vmcnt(17)
	v_fmac_f32_e32 v187, v124, v167
	v_add_f32_e32 v131, v131, v186
	v_fma_f32 v100, v121, v166, -v100
	v_add_f32_e32 v131, v131, v187
	s_waitcnt vmcnt(16)
	v_fmac_f32_e32 v188, v126, v168
	s_waitcnt vmcnt(15) lgkmcnt(0)
	v_mul_f32_e32 v132, v127, v169
	v_add_f32_e32 v99, v99, v100
	v_mul_f32_e32 v100, v124, v153
	v_add_f32_e32 v131, v131, v188
	s_waitcnt vmcnt(14)
	v_fmac_f32_e32 v132, v128, v170
	v_fma_f32 v100, v123, v167, -v100
	v_add_f32_e32 v135, v131, v132
	ds_read2_b64 v[131:134], v98 offset0:91 offset1:92
	v_add_f32_e32 v99, v99, v100
	v_mul_f32_e32 v100, v126, v154
	v_fma_f32 v100, v125, v168, -v100
	v_add_f32_e32 v99, v99, v100
	v_mul_f32_e32 v100, v128, v169
	s_waitcnt vmcnt(13)
	v_mul_f32_e32 v136, v129, v171
	v_fma_f32 v100, v127, v170, -v100
	s_waitcnt vmcnt(12)
	v_fmac_f32_e32 v136, v130, v172
	v_add_f32_e32 v99, v99, v100
	v_mul_f32_e32 v100, v130, v171
	v_add_f32_e32 v139, v135, v136
	ds_read2_b64 v[135:138], v98 offset0:93 offset1:94
	s_waitcnt vmcnt(11) lgkmcnt(1)
	v_mul_f32_e32 v140, v131, v173
	v_fma_f32 v100, v129, v172, -v100
	s_waitcnt vmcnt(10)
	v_fmac_f32_e32 v140, v132, v174
	v_add_f32_e32 v99, v99, v100
	v_mul_f32_e32 v100, v132, v173
	v_add_f32_e32 v139, v139, v140
	s_waitcnt vmcnt(9)
	v_mul_f32_e32 v140, v133, v175
	v_fma_f32 v100, v131, v174, -v100
	s_waitcnt vmcnt(8)
	v_fmac_f32_e32 v140, v134, v176
	v_add_f32_e32 v99, v99, v100
	v_mul_f32_e32 v100, v134, v175
	v_add_f32_e32 v185, v139, v140
	ds_read_b64 v[139:140], v98 offset:760
	v_fma_f32 v100, v133, v176, -v100
	v_add_f32_e32 v99, v99, v100
	s_waitcnt vmcnt(7) lgkmcnt(1)
	v_mul_f32_e32 v100, v136, v177
	v_mul_f32_e32 v186, v135, v177
	s_waitcnt vmcnt(6)
	v_fma_f32 v100, v135, v178, -v100
	v_fmac_f32_e32 v186, v136, v178
	v_add_f32_e32 v99, v99, v100
	s_waitcnt vmcnt(5)
	v_mul_f32_e32 v100, v138, v179
	v_add_f32_e32 v185, v185, v186
	v_mul_f32_e32 v186, v137, v179
	s_waitcnt vmcnt(4)
	v_fma_f32 v100, v137, v180, -v100
	v_fmac_f32_e32 v186, v138, v180
	v_add_f32_e32 v99, v99, v100
	s_waitcnt vmcnt(3) lgkmcnt(0)
	v_mul_f32_e32 v100, v140, v181
	v_add_f32_e32 v185, v185, v186
	v_mul_f32_e32 v186, v139, v181
	s_waitcnt vmcnt(2)
	v_fma_f32 v100, v139, v182, -v100
	v_fmac_f32_e32 v186, v140, v182
	v_add_f32_e32 v99, v99, v100
	v_add_f32_e32 v185, v185, v186
	s_waitcnt vmcnt(1)
	v_sub_f32_e32 v99, v183, v99
	s_waitcnt vmcnt(0)
	v_sub_f32_e32 v100, v184, v185
	buffer_store_dword v99, off, s[0:3], 0 offset:208
	buffer_store_dword v100, off, s[0:3], 0 offset:212
	s_and_saveexec_b64 s[4:5], vcc
	s_cbranch_execz .LBB111_251
; %bb.250:
	buffer_load_dword v99, off, s[0:3], 0 offset:200
	buffer_load_dword v100, off, s[0:3], 0 offset:204
	s_waitcnt vmcnt(0)
	ds_write_b64 v97, v[99:100]
	buffer_store_dword v98, off, s[0:3], 0 offset:200
	buffer_store_dword v98, off, s[0:3], 0 offset:204
.LBB111_251:
	s_or_b64 exec, exec, s[4:5]
	s_waitcnt lgkmcnt(0)
	; wave barrier
	buffer_load_dword v143, off, s[0:3], 0 offset:212
	buffer_load_dword v144, off, s[0:3], 0 offset:220
	;; [unrolled: 1-line block ×46, first 2 shown]
	ds_read_b128 v[99:102], v98 offset:592
	ds_read_b128 v[103:106], v98 offset:608
	;; [unrolled: 1-line block ×8, first 2 shown]
	v_cmp_lt_u32_e32 vcc, 24, v0
	s_waitcnt vmcnt(45) lgkmcnt(7)
	v_mul_f32_e32 v131, v99, v143
	s_waitcnt vmcnt(44)
	v_mul_f32_e32 v132, v101, v144
	s_waitcnt vmcnt(43) lgkmcnt(6)
	v_mul_f32_e32 v133, v103, v145
	s_waitcnt vmcnt(42)
	v_mul_f32_e32 v134, v105, v146
	s_waitcnt vmcnt(41) lgkmcnt(5)
	v_mul_f32_e32 v135, v107, v147
	s_waitcnt vmcnt(40)
	v_mul_f32_e32 v136, v109, v148
	s_waitcnt vmcnt(39) lgkmcnt(4)
	v_mul_f32_e32 v137, v111, v149
	s_waitcnt vmcnt(38)
	v_mul_f32_e32 v138, v113, v150
	s_waitcnt vmcnt(37) lgkmcnt(3)
	v_mul_f32_e32 v139, v115, v151
	s_waitcnt vmcnt(36)
	v_mul_f32_e32 v140, v117, v152
	s_waitcnt vmcnt(35) lgkmcnt(2)
	v_mul_f32_e32 v141, v119, v153
	s_waitcnt vmcnt(34)
	v_mul_f32_e32 v142, v121, v154
	s_waitcnt vmcnt(33) lgkmcnt(1)
	v_mul_f32_e32 v189, v123, v155
	s_waitcnt vmcnt(32)
	v_fmac_f32_e32 v131, v100, v156
	v_mul_f32_e32 v100, v100, v143
	v_fma_f32 v99, v99, v156, -v100
	v_mul_f32_e32 v100, v102, v144
	v_add_f32_e32 v99, 0, v99
	s_waitcnt vmcnt(31)
	v_fma_f32 v100, v101, v157, -v100
	v_add_f32_e32 v99, v99, v100
	v_mul_f32_e32 v100, v104, v145
	s_waitcnt vmcnt(30)
	v_fma_f32 v100, v103, v158, -v100
	v_add_f32_e32 v99, v99, v100
	v_mul_f32_e32 v100, v106, v146
	;; [unrolled: 4-line block ×4, first 2 shown]
	v_fmac_f32_e32 v132, v102, v157
	v_add_f32_e32 v131, 0, v131
	s_waitcnt vmcnt(27)
	v_fma_f32 v100, v109, v161, -v100
	v_fmac_f32_e32 v133, v104, v158
	v_add_f32_e32 v131, v131, v132
	v_add_f32_e32 v99, v99, v100
	v_mul_f32_e32 v100, v112, v149
	v_fmac_f32_e32 v134, v106, v159
	v_add_f32_e32 v131, v131, v133
	s_waitcnt vmcnt(26)
	v_fma_f32 v100, v111, v162, -v100
	v_fmac_f32_e32 v135, v108, v160
	v_add_f32_e32 v131, v131, v134
	v_add_f32_e32 v99, v99, v100
	v_mul_f32_e32 v100, v114, v150
	;; [unrolled: 8-line block ×4, first 2 shown]
	s_waitcnt vmcnt(23)
	v_fmac_f32_e32 v140, v118, v165
	v_add_f32_e32 v131, v131, v139
	v_fma_f32 v100, v117, v165, -v100
	s_waitcnt vmcnt(22)
	v_fmac_f32_e32 v141, v120, v166
	v_add_f32_e32 v131, v131, v140
	v_add_f32_e32 v99, v99, v100
	v_mul_f32_e32 v100, v120, v153
	s_waitcnt vmcnt(21)
	v_fmac_f32_e32 v142, v122, v167
	v_add_f32_e32 v131, v131, v141
	v_fma_f32 v100, v119, v166, -v100
	s_waitcnt vmcnt(20)
	v_fmac_f32_e32 v189, v124, v168
	v_add_f32_e32 v131, v131, v142
	s_waitcnt vmcnt(19)
	v_mul_f32_e32 v132, v125, v169
	v_add_f32_e32 v99, v99, v100
	v_mul_f32_e32 v100, v122, v154
	v_add_f32_e32 v131, v131, v189
	s_waitcnt vmcnt(18)
	v_fmac_f32_e32 v132, v126, v170
	v_fma_f32 v100, v121, v167, -v100
	v_add_f32_e32 v131, v131, v132
	s_waitcnt vmcnt(17) lgkmcnt(0)
	v_mul_f32_e32 v132, v127, v171
	v_add_f32_e32 v99, v99, v100
	v_mul_f32_e32 v100, v124, v155
	s_waitcnt vmcnt(16)
	v_fmac_f32_e32 v132, v128, v172
	v_fma_f32 v100, v123, v168, -v100
	v_add_f32_e32 v135, v131, v132
	ds_read_b128 v[131:134], v98 offset:720
	v_add_f32_e32 v99, v99, v100
	v_mul_f32_e32 v100, v126, v169
	v_fma_f32 v100, v125, v170, -v100
	v_add_f32_e32 v99, v99, v100
	v_mul_f32_e32 v100, v128, v171
	s_waitcnt vmcnt(15)
	v_mul_f32_e32 v136, v129, v173
	v_fma_f32 v100, v127, v172, -v100
	s_waitcnt vmcnt(14)
	v_fmac_f32_e32 v136, v130, v174
	v_add_f32_e32 v99, v99, v100
	v_mul_f32_e32 v100, v130, v173
	v_add_f32_e32 v139, v135, v136
	ds_read_b128 v[135:138], v98 offset:736
	s_waitcnt vmcnt(13) lgkmcnt(1)
	v_mul_f32_e32 v140, v131, v175
	v_fma_f32 v100, v129, v174, -v100
	s_waitcnt vmcnt(12)
	v_fmac_f32_e32 v140, v132, v176
	v_add_f32_e32 v99, v99, v100
	v_mul_f32_e32 v100, v132, v175
	v_add_f32_e32 v139, v139, v140
	s_waitcnt vmcnt(11)
	v_mul_f32_e32 v140, v133, v177
	v_fma_f32 v100, v131, v176, -v100
	s_waitcnt vmcnt(10)
	v_fmac_f32_e32 v140, v134, v178
	v_add_f32_e32 v99, v99, v100
	v_mul_f32_e32 v100, v134, v177
	v_add_f32_e32 v189, v139, v140
	ds_read_b128 v[139:142], v98 offset:752
	v_fma_f32 v100, v133, v178, -v100
	v_add_f32_e32 v99, v99, v100
	s_waitcnt vmcnt(9) lgkmcnt(1)
	v_mul_f32_e32 v100, v136, v179
	v_mul_f32_e32 v190, v135, v179
	s_waitcnt vmcnt(8)
	v_fma_f32 v100, v135, v180, -v100
	v_fmac_f32_e32 v190, v136, v180
	v_add_f32_e32 v99, v99, v100
	s_waitcnt vmcnt(7)
	v_mul_f32_e32 v100, v138, v181
	v_add_f32_e32 v98, v189, v190
	v_mul_f32_e32 v189, v137, v181
	s_waitcnt vmcnt(6)
	v_fma_f32 v100, v137, v182, -v100
	v_fmac_f32_e32 v189, v138, v182
	v_add_f32_e32 v99, v99, v100
	s_waitcnt vmcnt(5) lgkmcnt(0)
	v_mul_f32_e32 v100, v140, v183
	v_add_f32_e32 v98, v98, v189
	v_mul_f32_e32 v189, v139, v183
	s_waitcnt vmcnt(4)
	v_fma_f32 v100, v139, v184, -v100
	v_fmac_f32_e32 v189, v140, v184
	v_add_f32_e32 v99, v99, v100
	s_waitcnt vmcnt(3)
	v_mul_f32_e32 v100, v142, v185
	v_add_f32_e32 v98, v98, v189
	v_mul_f32_e32 v189, v141, v185
	s_waitcnt vmcnt(2)
	v_fma_f32 v100, v141, v186, -v100
	v_fmac_f32_e32 v189, v142, v186
	v_add_f32_e32 v99, v99, v100
	v_add_f32_e32 v98, v98, v189
	s_waitcnt vmcnt(1)
	v_sub_f32_e32 v99, v187, v99
	s_waitcnt vmcnt(0)
	v_sub_f32_e32 v98, v188, v98
	buffer_store_dword v99, off, s[0:3], 0 offset:200
	buffer_store_dword v98, off, s[0:3], 0 offset:204
	s_and_saveexec_b64 s[4:5], vcc
	s_cbranch_execz .LBB111_253
; %bb.252:
	buffer_load_dword v98, off, s[0:3], 0 offset:192
	buffer_load_dword v99, off, s[0:3], 0 offset:196
	v_mov_b32_e32 v100, 0
	buffer_store_dword v100, off, s[0:3], 0 offset:192
	buffer_store_dword v100, off, s[0:3], 0 offset:196
	s_waitcnt vmcnt(2)
	ds_write_b64 v97, v[98:99]
.LBB111_253:
	s_or_b64 exec, exec, s[4:5]
	s_waitcnt lgkmcnt(0)
	; wave barrier
	buffer_load_dword v145, off, s[0:3], 0 offset:204
	buffer_load_dword v146, off, s[0:3], 0 offset:212
	;; [unrolled: 1-line block ×48, first 2 shown]
	v_mov_b32_e32 v98, 0
	ds_read2_b64 v[99:102], v98 offset0:73 offset1:74
	ds_read2_b64 v[103:106], v98 offset0:75 offset1:76
	;; [unrolled: 1-line block ×7, first 2 shown]
	v_cmp_lt_u32_e32 vcc, 23, v0
	s_waitcnt vmcnt(47) lgkmcnt(6)
	v_mul_f32_e32 v127, v99, v145
	s_waitcnt vmcnt(46)
	v_mul_f32_e32 v128, v101, v146
	s_waitcnt vmcnt(45) lgkmcnt(5)
	v_mul_f32_e32 v129, v103, v147
	s_waitcnt vmcnt(44)
	v_mul_f32_e32 v130, v105, v148
	;; [unrolled: 4-line block ×6, first 2 shown]
	s_waitcnt vmcnt(35)
	v_fmac_f32_e32 v127, v100, v157
	v_mul_f32_e32 v100, v100, v145
	v_fma_f32 v99, v99, v157, -v100
	v_mul_f32_e32 v100, v102, v146
	v_add_f32_e32 v99, 0, v99
	s_waitcnt vmcnt(34)
	v_fma_f32 v100, v101, v158, -v100
	v_add_f32_e32 v99, v99, v100
	v_mul_f32_e32 v100, v104, v147
	s_waitcnt vmcnt(33)
	v_fma_f32 v100, v103, v159, -v100
	v_fmac_f32_e32 v128, v102, v158
	v_add_f32_e32 v127, 0, v127
	v_add_f32_e32 v99, v99, v100
	v_mul_f32_e32 v100, v106, v148
	v_fmac_f32_e32 v129, v104, v159
	v_add_f32_e32 v127, v127, v128
	s_waitcnt vmcnt(32)
	v_fma_f32 v100, v105, v160, -v100
	v_fmac_f32_e32 v130, v106, v160
	v_add_f32_e32 v127, v127, v129
	v_add_f32_e32 v99, v99, v100
	v_mul_f32_e32 v100, v108, v149
	s_waitcnt vmcnt(31)
	v_fmac_f32_e32 v131, v108, v161
	v_add_f32_e32 v127, v127, v130
	v_fma_f32 v100, v107, v161, -v100
	s_waitcnt vmcnt(30)
	v_fmac_f32_e32 v132, v110, v162
	v_add_f32_e32 v127, v127, v131
	v_add_f32_e32 v99, v99, v100
	v_mul_f32_e32 v100, v110, v150
	s_waitcnt vmcnt(29)
	v_fmac_f32_e32 v133, v112, v163
	v_add_f32_e32 v127, v127, v132
	v_fma_f32 v100, v109, v162, -v100
	s_waitcnt vmcnt(28)
	;; [unrolled: 9-line block ×4, first 2 shown]
	v_fmac_f32_e32 v138, v122, v168
	v_add_f32_e32 v127, v127, v137
	v_add_f32_e32 v99, v99, v100
	v_mul_f32_e32 v100, v116, v153
	v_add_f32_e32 v131, v127, v138
	ds_read2_b64 v[127:130], v98 offset0:87 offset1:88
	v_fma_f32 v100, v115, v165, -v100
	s_waitcnt vmcnt(23) lgkmcnt(1)
	v_mul_f32_e32 v132, v123, v169
	v_add_f32_e32 v99, v99, v100
	v_mul_f32_e32 v100, v118, v154
	s_waitcnt vmcnt(22)
	v_fmac_f32_e32 v132, v124, v170
	v_fma_f32 v100, v117, v166, -v100
	v_add_f32_e32 v131, v131, v132
	s_waitcnt vmcnt(21)
	v_mul_f32_e32 v132, v125, v171
	v_add_f32_e32 v99, v99, v100
	v_mul_f32_e32 v100, v120, v155
	s_waitcnt vmcnt(20)
	v_fmac_f32_e32 v132, v126, v172
	v_fma_f32 v100, v119, v167, -v100
	v_add_f32_e32 v131, v131, v132
	s_waitcnt vmcnt(19) lgkmcnt(0)
	v_mul_f32_e32 v132, v127, v173
	v_add_f32_e32 v99, v99, v100
	v_mul_f32_e32 v100, v122, v156
	s_waitcnt vmcnt(18)
	v_fmac_f32_e32 v132, v128, v174
	v_fma_f32 v100, v121, v168, -v100
	v_add_f32_e32 v135, v131, v132
	ds_read2_b64 v[131:134], v98 offset0:89 offset1:90
	v_add_f32_e32 v99, v99, v100
	v_mul_f32_e32 v100, v124, v169
	v_fma_f32 v100, v123, v170, -v100
	s_waitcnt vmcnt(17)
	v_mul_f32_e32 v136, v129, v175
	v_add_f32_e32 v99, v99, v100
	v_mul_f32_e32 v100, v126, v171
	s_waitcnt vmcnt(16)
	v_fmac_f32_e32 v136, v130, v176
	v_fma_f32 v100, v125, v172, -v100
	v_add_f32_e32 v139, v135, v136
	ds_read2_b64 v[135:138], v98 offset0:91 offset1:92
	v_add_f32_e32 v99, v99, v100
	v_mul_f32_e32 v100, v128, v173
	s_waitcnt vmcnt(15) lgkmcnt(1)
	v_mul_f32_e32 v140, v131, v177
	v_fma_f32 v100, v127, v174, -v100
	s_waitcnt vmcnt(14)
	v_fmac_f32_e32 v140, v132, v178
	v_add_f32_e32 v99, v99, v100
	v_mul_f32_e32 v100, v130, v175
	v_add_f32_e32 v139, v139, v140
	s_waitcnt vmcnt(13)
	v_mul_f32_e32 v140, v133, v179
	v_fma_f32 v100, v129, v176, -v100
	s_waitcnt vmcnt(12)
	v_fmac_f32_e32 v140, v134, v180
	v_add_f32_e32 v99, v99, v100
	v_mul_f32_e32 v100, v132, v177
	v_add_f32_e32 v139, v139, v140
	s_waitcnt vmcnt(11) lgkmcnt(0)
	v_mul_f32_e32 v140, v135, v181
	v_fma_f32 v100, v131, v178, -v100
	s_waitcnt vmcnt(10)
	v_fmac_f32_e32 v140, v136, v182
	v_add_f32_e32 v99, v99, v100
	v_mul_f32_e32 v100, v134, v179
	v_add_f32_e32 v143, v139, v140
	ds_read2_b64 v[139:142], v98 offset0:93 offset1:94
	v_fma_f32 v100, v133, v180, -v100
	v_add_f32_e32 v99, v99, v100
	v_mul_f32_e32 v100, v136, v181
	s_waitcnt vmcnt(9)
	v_mul_f32_e32 v144, v137, v183
	v_fma_f32 v100, v135, v182, -v100
	s_waitcnt vmcnt(8)
	v_fmac_f32_e32 v144, v138, v184
	v_add_f32_e32 v99, v99, v100
	v_mul_f32_e32 v100, v138, v183
	v_add_f32_e32 v193, v143, v144
	ds_read_b64 v[143:144], v98 offset:760
	v_fma_f32 v100, v137, v184, -v100
	v_add_f32_e32 v99, v99, v100
	s_waitcnt vmcnt(6) lgkmcnt(1)
	v_mul_f32_e32 v100, v140, v186
	v_mul_f32_e32 v194, v139, v186
	v_fma_f32 v100, v139, v185, -v100
	v_fmac_f32_e32 v194, v140, v185
	v_add_f32_e32 v99, v99, v100
	s_waitcnt vmcnt(3)
	v_mul_f32_e32 v100, v142, v189
	v_add_f32_e32 v193, v193, v194
	v_mul_f32_e32 v194, v141, v189
	s_waitcnt vmcnt(2)
	v_fma_f32 v100, v141, v190, -v100
	v_fmac_f32_e32 v194, v142, v190
	v_add_f32_e32 v99, v99, v100
	s_waitcnt vmcnt(0) lgkmcnt(0)
	v_mul_f32_e32 v100, v144, v192
	v_add_f32_e32 v193, v193, v194
	v_mul_f32_e32 v194, v143, v192
	v_fma_f32 v100, v143, v191, -v100
	v_fmac_f32_e32 v194, v144, v191
	v_add_f32_e32 v99, v99, v100
	v_add_f32_e32 v193, v193, v194
	v_sub_f32_e32 v99, v187, v99
	v_sub_f32_e32 v100, v188, v193
	buffer_store_dword v99, off, s[0:3], 0 offset:192
	buffer_store_dword v100, off, s[0:3], 0 offset:196
	s_and_saveexec_b64 s[4:5], vcc
	s_cbranch_execz .LBB111_255
; %bb.254:
	buffer_load_dword v99, off, s[0:3], 0 offset:184
	buffer_load_dword v100, off, s[0:3], 0 offset:188
	s_waitcnt vmcnt(0)
	ds_write_b64 v97, v[99:100]
	buffer_store_dword v98, off, s[0:3], 0 offset:184
	buffer_store_dword v98, off, s[0:3], 0 offset:188
.LBB111_255:
	s_or_b64 exec, exec, s[4:5]
	s_waitcnt lgkmcnt(0)
	; wave barrier
	buffer_load_dword v147, off, s[0:3], 0 offset:196
	buffer_load_dword v148, off, s[0:3], 0 offset:204
	;; [unrolled: 1-line block ×48, first 2 shown]
	ds_read_b128 v[99:102], v98 offset:576
	ds_read_b128 v[103:106], v98 offset:592
	buffer_load_dword v195, off, s[0:3], 0 offset:376
	buffer_load_dword v196, off, s[0:3], 0 offset:380
	ds_read_b128 v[107:110], v98 offset:608
	ds_read_b128 v[111:114], v98 offset:624
	;; [unrolled: 1-line block ×5, first 2 shown]
	v_cmp_lt_u32_e32 vcc, 22, v0
	s_waitcnt vmcnt(49) lgkmcnt(6)
	v_mul_f32_e32 v127, v99, v147
	s_waitcnt vmcnt(48)
	v_mul_f32_e32 v128, v101, v148
	s_waitcnt vmcnt(47) lgkmcnt(5)
	v_mul_f32_e32 v129, v103, v149
	s_waitcnt vmcnt(46)
	v_mul_f32_e32 v130, v105, v150
	;; [unrolled: 4-line block ×6, first 2 shown]
	s_waitcnt vmcnt(37)
	v_fmac_f32_e32 v127, v100, v159
	v_mul_f32_e32 v100, v100, v147
	v_fma_f32 v99, v99, v159, -v100
	v_mul_f32_e32 v100, v102, v148
	v_add_f32_e32 v99, 0, v99
	s_waitcnt vmcnt(36)
	v_fma_f32 v100, v101, v160, -v100
	v_add_f32_e32 v99, v99, v100
	v_mul_f32_e32 v100, v104, v149
	s_waitcnt vmcnt(35)
	v_fma_f32 v100, v103, v161, -v100
	v_fmac_f32_e32 v128, v102, v160
	v_add_f32_e32 v127, 0, v127
	v_add_f32_e32 v99, v99, v100
	v_mul_f32_e32 v100, v106, v150
	v_fmac_f32_e32 v129, v104, v161
	v_add_f32_e32 v127, v127, v128
	s_waitcnt vmcnt(34)
	v_fma_f32 v100, v105, v162, -v100
	v_fmac_f32_e32 v130, v106, v162
	v_add_f32_e32 v127, v127, v129
	v_add_f32_e32 v99, v99, v100
	v_mul_f32_e32 v100, v108, v151
	s_waitcnt vmcnt(33)
	v_fmac_f32_e32 v131, v108, v163
	v_add_f32_e32 v127, v127, v130
	v_fma_f32 v100, v107, v163, -v100
	s_waitcnt vmcnt(32)
	v_fmac_f32_e32 v132, v110, v164
	v_add_f32_e32 v127, v127, v131
	v_add_f32_e32 v99, v99, v100
	v_mul_f32_e32 v100, v110, v152
	s_waitcnt vmcnt(31)
	v_fmac_f32_e32 v133, v112, v165
	v_add_f32_e32 v127, v127, v132
	v_fma_f32 v100, v109, v164, -v100
	s_waitcnt vmcnt(30)
	;; [unrolled: 9-line block ×3, first 2 shown]
	v_fmac_f32_e32 v136, v118, v168
	v_add_f32_e32 v127, v127, v135
	v_add_f32_e32 v99, v99, v100
	v_mul_f32_e32 v100, v114, v154
	s_waitcnt vmcnt(27)
	v_fmac_f32_e32 v137, v120, v169
	v_add_f32_e32 v127, v127, v136
	v_fma_f32 v100, v113, v166, -v100
	v_add_f32_e32 v127, v127, v137
	s_waitcnt vmcnt(26)
	v_fmac_f32_e32 v138, v122, v170
	v_add_f32_e32 v99, v99, v100
	v_mul_f32_e32 v100, v116, v155
	v_add_f32_e32 v131, v127, v138
	ds_read_b128 v[127:130], v98 offset:688
	v_fma_f32 v100, v115, v167, -v100
	s_waitcnt vmcnt(25) lgkmcnt(1)
	v_mul_f32_e32 v132, v123, v171
	v_add_f32_e32 v99, v99, v100
	v_mul_f32_e32 v100, v118, v156
	s_waitcnt vmcnt(24)
	v_fmac_f32_e32 v132, v124, v172
	v_fma_f32 v100, v117, v168, -v100
	v_add_f32_e32 v131, v131, v132
	s_waitcnt vmcnt(23)
	v_mul_f32_e32 v132, v125, v173
	v_add_f32_e32 v99, v99, v100
	v_mul_f32_e32 v100, v120, v157
	s_waitcnt vmcnt(22)
	v_fmac_f32_e32 v132, v126, v174
	v_fma_f32 v100, v119, v169, -v100
	v_add_f32_e32 v131, v131, v132
	s_waitcnt vmcnt(21) lgkmcnt(0)
	v_mul_f32_e32 v132, v127, v175
	v_add_f32_e32 v99, v99, v100
	v_mul_f32_e32 v100, v122, v158
	s_waitcnt vmcnt(20)
	v_fmac_f32_e32 v132, v128, v176
	v_fma_f32 v100, v121, v170, -v100
	v_add_f32_e32 v135, v131, v132
	ds_read_b128 v[131:134], v98 offset:704
	v_add_f32_e32 v99, v99, v100
	v_mul_f32_e32 v100, v124, v171
	v_fma_f32 v100, v123, v172, -v100
	s_waitcnt vmcnt(19)
	v_mul_f32_e32 v136, v129, v177
	v_add_f32_e32 v99, v99, v100
	v_mul_f32_e32 v100, v126, v173
	s_waitcnt vmcnt(18)
	v_fmac_f32_e32 v136, v130, v178
	v_fma_f32 v100, v125, v174, -v100
	v_add_f32_e32 v139, v135, v136
	ds_read_b128 v[135:138], v98 offset:720
	v_add_f32_e32 v99, v99, v100
	v_mul_f32_e32 v100, v128, v175
	s_waitcnt vmcnt(17) lgkmcnt(1)
	v_mul_f32_e32 v140, v131, v179
	v_fma_f32 v100, v127, v176, -v100
	s_waitcnt vmcnt(16)
	v_fmac_f32_e32 v140, v132, v180
	v_add_f32_e32 v99, v99, v100
	v_mul_f32_e32 v100, v130, v177
	v_add_f32_e32 v139, v139, v140
	s_waitcnt vmcnt(15)
	v_mul_f32_e32 v140, v133, v181
	v_fma_f32 v100, v129, v178, -v100
	s_waitcnt vmcnt(14)
	v_fmac_f32_e32 v140, v134, v182
	v_add_f32_e32 v99, v99, v100
	v_mul_f32_e32 v100, v132, v179
	v_add_f32_e32 v139, v139, v140
	s_waitcnt vmcnt(13) lgkmcnt(0)
	v_mul_f32_e32 v140, v135, v183
	v_fma_f32 v100, v131, v180, -v100
	s_waitcnt vmcnt(12)
	v_fmac_f32_e32 v140, v136, v184
	v_add_f32_e32 v99, v99, v100
	v_mul_f32_e32 v100, v134, v181
	v_add_f32_e32 v143, v139, v140
	ds_read_b128 v[139:142], v98 offset:736
	v_fma_f32 v100, v133, v182, -v100
	v_add_f32_e32 v99, v99, v100
	v_mul_f32_e32 v100, v136, v183
	s_waitcnt vmcnt(11)
	v_mul_f32_e32 v144, v137, v185
	v_fma_f32 v100, v135, v184, -v100
	s_waitcnt vmcnt(10)
	v_fmac_f32_e32 v144, v138, v186
	v_add_f32_e32 v99, v99, v100
	v_mul_f32_e32 v100, v138, v185
	v_add_f32_e32 v197, v143, v144
	ds_read_b128 v[143:146], v98 offset:752
	v_fma_f32 v100, v137, v186, -v100
	v_add_f32_e32 v99, v99, v100
	s_waitcnt vmcnt(7) lgkmcnt(1)
	v_mul_f32_e32 v100, v140, v189
	v_mul_f32_e32 v98, v139, v189
	s_waitcnt vmcnt(6)
	v_fma_f32 v100, v139, v190, -v100
	v_fmac_f32_e32 v98, v140, v190
	v_add_f32_e32 v99, v99, v100
	s_waitcnt vmcnt(4)
	v_mul_f32_e32 v100, v142, v192
	v_add_f32_e32 v98, v197, v98
	v_mul_f32_e32 v197, v141, v192
	v_fma_f32 v100, v141, v191, -v100
	v_fmac_f32_e32 v197, v142, v191
	v_add_f32_e32 v99, v99, v100
	s_waitcnt vmcnt(2) lgkmcnt(0)
	v_mul_f32_e32 v100, v144, v194
	v_add_f32_e32 v98, v98, v197
	v_mul_f32_e32 v197, v143, v194
	v_fma_f32 v100, v143, v193, -v100
	v_fmac_f32_e32 v197, v144, v193
	v_add_f32_e32 v99, v99, v100
	s_waitcnt vmcnt(0)
	v_mul_f32_e32 v100, v146, v196
	v_add_f32_e32 v98, v98, v197
	v_mul_f32_e32 v197, v145, v196
	v_fma_f32 v100, v145, v195, -v100
	v_fmac_f32_e32 v197, v146, v195
	v_add_f32_e32 v99, v99, v100
	v_add_f32_e32 v98, v98, v197
	v_sub_f32_e32 v99, v187, v99
	v_sub_f32_e32 v98, v188, v98
	buffer_store_dword v99, off, s[0:3], 0 offset:184
	buffer_store_dword v98, off, s[0:3], 0 offset:188
	s_and_saveexec_b64 s[4:5], vcc
	s_cbranch_execz .LBB111_257
; %bb.256:
	buffer_load_dword v98, off, s[0:3], 0 offset:176
	buffer_load_dword v99, off, s[0:3], 0 offset:180
	v_mov_b32_e32 v100, 0
	buffer_store_dword v100, off, s[0:3], 0 offset:176
	buffer_store_dword v100, off, s[0:3], 0 offset:180
	s_waitcnt vmcnt(2)
	ds_write_b64 v97, v[98:99]
.LBB111_257:
	s_or_b64 exec, exec, s[4:5]
	s_waitcnt lgkmcnt(0)
	; wave barrier
	buffer_load_dword v149, off, s[0:3], 0 offset:188
	buffer_load_dword v150, off, s[0:3], 0 offset:196
	;; [unrolled: 1-line block ×52, first 2 shown]
	v_mov_b32_e32 v98, 0
	ds_read2_b64 v[99:102], v98 offset0:71 offset1:72
	ds_read2_b64 v[103:106], v98 offset0:73 offset1:74
	;; [unrolled: 1-line block ×6, first 2 shown]
	v_cmp_lt_u32_e32 vcc, 21, v0
	s_waitcnt vmcnt(51) lgkmcnt(5)
	v_mul_f32_e32 v123, v99, v149
	s_waitcnt vmcnt(50)
	v_mul_f32_e32 v124, v101, v150
	s_waitcnt vmcnt(49) lgkmcnt(4)
	v_mul_f32_e32 v125, v103, v151
	s_waitcnt vmcnt(48)
	v_mul_f32_e32 v126, v105, v152
	;; [unrolled: 4-line block ×5, first 2 shown]
	s_waitcnt vmcnt(41) lgkmcnt(0)
	v_mul_f32_e32 v133, v119, v159
	s_waitcnt vmcnt(40)
	v_fmac_f32_e32 v123, v100, v160
	v_mul_f32_e32 v100, v100, v149
	s_waitcnt vmcnt(39)
	v_fmac_f32_e32 v124, v102, v161
	v_add_f32_e32 v123, 0, v123
	v_fma_f32 v99, v99, v160, -v100
	v_mul_f32_e32 v100, v102, v150
	s_waitcnt vmcnt(38)
	v_fmac_f32_e32 v125, v104, v162
	v_add_f32_e32 v123, v123, v124
	v_add_f32_e32 v99, 0, v99
	v_fma_f32 v100, v101, v161, -v100
	s_waitcnt vmcnt(37)
	v_fmac_f32_e32 v126, v106, v163
	v_add_f32_e32 v123, v123, v125
	v_add_f32_e32 v99, v99, v100
	v_mul_f32_e32 v100, v104, v151
	s_waitcnt vmcnt(36)
	v_fmac_f32_e32 v127, v108, v164
	v_add_f32_e32 v123, v123, v126
	v_fma_f32 v100, v103, v162, -v100
	s_waitcnt vmcnt(35)
	v_fmac_f32_e32 v128, v110, v165
	v_add_f32_e32 v123, v123, v127
	v_add_f32_e32 v99, v99, v100
	v_mul_f32_e32 v100, v106, v152
	s_waitcnt vmcnt(34)
	v_fmac_f32_e32 v129, v112, v166
	;; [unrolled: 9-line block ×3, first 2 shown]
	v_add_f32_e32 v123, v123, v130
	v_fma_f32 v100, v107, v164, -v100
	s_waitcnt vmcnt(31)
	v_fmac_f32_e32 v132, v118, v169
	v_add_f32_e32 v123, v123, v131
	v_add_f32_e32 v99, v99, v100
	v_mul_f32_e32 v100, v110, v154
	v_add_f32_e32 v123, v123, v132
	s_waitcnt vmcnt(30)
	v_fmac_f32_e32 v133, v120, v170
	v_fma_f32 v100, v109, v165, -v100
	v_add_f32_e32 v127, v123, v133
	ds_read2_b64 v[123:126], v98 offset0:83 offset1:84
	v_add_f32_e32 v99, v99, v100
	v_mul_f32_e32 v100, v112, v155
	v_fma_f32 v100, v111, v166, -v100
	s_waitcnt vmcnt(29)
	v_mul_f32_e32 v128, v121, v171
	v_add_f32_e32 v99, v99, v100
	v_mul_f32_e32 v100, v114, v156
	s_waitcnt vmcnt(28)
	v_fmac_f32_e32 v128, v122, v172
	v_fma_f32 v100, v113, v167, -v100
	v_add_f32_e32 v131, v127, v128
	ds_read2_b64 v[127:130], v98 offset0:85 offset1:86
	v_add_f32_e32 v99, v99, v100
	v_mul_f32_e32 v100, v116, v157
	s_waitcnt vmcnt(27) lgkmcnt(1)
	v_mul_f32_e32 v132, v123, v173
	v_fma_f32 v100, v115, v168, -v100
	s_waitcnt vmcnt(26)
	v_fmac_f32_e32 v132, v124, v174
	v_add_f32_e32 v99, v99, v100
	v_mul_f32_e32 v100, v118, v158
	v_add_f32_e32 v131, v131, v132
	s_waitcnt vmcnt(25)
	v_mul_f32_e32 v132, v125, v175
	v_fma_f32 v100, v117, v169, -v100
	s_waitcnt vmcnt(24)
	v_fmac_f32_e32 v132, v126, v176
	v_add_f32_e32 v99, v99, v100
	v_mul_f32_e32 v100, v120, v159
	v_add_f32_e32 v131, v131, v132
	s_waitcnt vmcnt(23) lgkmcnt(0)
	v_mul_f32_e32 v132, v127, v177
	v_fma_f32 v100, v119, v170, -v100
	s_waitcnt vmcnt(22)
	v_fmac_f32_e32 v132, v128, v178
	v_add_f32_e32 v99, v99, v100
	v_mul_f32_e32 v100, v122, v171
	v_add_f32_e32 v135, v131, v132
	ds_read2_b64 v[131:134], v98 offset0:87 offset1:88
	v_fma_f32 v100, v121, v172, -v100
	v_add_f32_e32 v99, v99, v100
	v_mul_f32_e32 v100, v124, v173
	s_waitcnt vmcnt(21)
	v_mul_f32_e32 v136, v129, v179
	v_fma_f32 v100, v123, v174, -v100
	s_waitcnt vmcnt(20)
	v_fmac_f32_e32 v136, v130, v180
	v_add_f32_e32 v99, v99, v100
	v_mul_f32_e32 v100, v126, v175
	v_add_f32_e32 v139, v135, v136
	ds_read2_b64 v[135:138], v98 offset0:89 offset1:90
	v_fma_f32 v100, v125, v176, -v100
	s_waitcnt vmcnt(19) lgkmcnt(1)
	v_mul_f32_e32 v140, v131, v181
	v_add_f32_e32 v99, v99, v100
	v_mul_f32_e32 v100, v128, v177
	s_waitcnt vmcnt(18)
	v_fmac_f32_e32 v140, v132, v182
	v_fma_f32 v100, v127, v178, -v100
	v_add_f32_e32 v139, v139, v140
	s_waitcnt vmcnt(17)
	v_mul_f32_e32 v140, v133, v183
	v_add_f32_e32 v99, v99, v100
	v_mul_f32_e32 v100, v130, v179
	s_waitcnt vmcnt(16)
	v_fmac_f32_e32 v140, v134, v184
	v_fma_f32 v100, v129, v180, -v100
	v_add_f32_e32 v139, v139, v140
	s_waitcnt vmcnt(14) lgkmcnt(0)
	v_mul_f32_e32 v140, v135, v186
	v_add_f32_e32 v99, v99, v100
	v_mul_f32_e32 v100, v132, v181
	v_fmac_f32_e32 v140, v136, v185
	v_fma_f32 v100, v131, v182, -v100
	v_add_f32_e32 v143, v139, v140
	ds_read2_b64 v[139:142], v98 offset0:91 offset1:92
	v_add_f32_e32 v99, v99, v100
	v_mul_f32_e32 v100, v134, v183
	v_fma_f32 v100, v133, v184, -v100
	v_add_f32_e32 v99, v99, v100
	v_mul_f32_e32 v100, v136, v186
	s_waitcnt vmcnt(11)
	v_mul_f32_e32 v144, v137, v189
	v_fma_f32 v100, v135, v185, -v100
	s_waitcnt vmcnt(10)
	v_fmac_f32_e32 v144, v138, v190
	v_add_f32_e32 v99, v99, v100
	v_mul_f32_e32 v100, v138, v189
	v_add_f32_e32 v147, v143, v144
	ds_read2_b64 v[143:146], v98 offset0:93 offset1:94
	s_waitcnt vmcnt(8) lgkmcnt(1)
	v_mul_f32_e32 v148, v139, v192
	v_fma_f32 v100, v137, v190, -v100
	v_fmac_f32_e32 v148, v140, v191
	v_add_f32_e32 v99, v99, v100
	v_mul_f32_e32 v100, v140, v192
	v_add_f32_e32 v147, v147, v148
	s_waitcnt vmcnt(6)
	v_mul_f32_e32 v148, v141, v194
	v_fma_f32 v100, v139, v191, -v100
	v_fmac_f32_e32 v148, v142, v193
	v_add_f32_e32 v99, v99, v100
	v_mul_f32_e32 v100, v142, v194
	v_add_f32_e32 v201, v147, v148
	ds_read_b64 v[147:148], v98 offset:760
	v_fma_f32 v100, v141, v193, -v100
	v_add_f32_e32 v99, v99, v100
	s_waitcnt vmcnt(4) lgkmcnt(1)
	v_mul_f32_e32 v100, v144, v196
	v_mul_f32_e32 v202, v143, v196
	v_fma_f32 v100, v143, v195, -v100
	v_fmac_f32_e32 v202, v144, v195
	v_add_f32_e32 v99, v99, v100
	s_waitcnt vmcnt(2)
	v_mul_f32_e32 v100, v146, v198
	v_add_f32_e32 v201, v201, v202
	v_mul_f32_e32 v202, v145, v198
	v_fma_f32 v100, v145, v197, -v100
	v_fmac_f32_e32 v202, v146, v197
	v_add_f32_e32 v99, v99, v100
	s_waitcnt vmcnt(0) lgkmcnt(0)
	v_mul_f32_e32 v100, v148, v200
	v_add_f32_e32 v201, v201, v202
	v_mul_f32_e32 v202, v147, v200
	v_fma_f32 v100, v147, v199, -v100
	v_fmac_f32_e32 v202, v148, v199
	v_add_f32_e32 v99, v99, v100
	v_add_f32_e32 v201, v201, v202
	v_sub_f32_e32 v99, v187, v99
	v_sub_f32_e32 v100, v188, v201
	buffer_store_dword v99, off, s[0:3], 0 offset:176
	buffer_store_dword v100, off, s[0:3], 0 offset:180
	s_and_saveexec_b64 s[4:5], vcc
	s_cbranch_execz .LBB111_259
; %bb.258:
	buffer_load_dword v99, off, s[0:3], 0 offset:168
	buffer_load_dword v100, off, s[0:3], 0 offset:172
	s_waitcnt vmcnt(0)
	ds_write_b64 v97, v[99:100]
	buffer_store_dword v98, off, s[0:3], 0 offset:168
	buffer_store_dword v98, off, s[0:3], 0 offset:172
.LBB111_259:
	s_or_b64 exec, exec, s[4:5]
	s_waitcnt lgkmcnt(0)
	; wave barrier
	buffer_load_dword v151, off, s[0:3], 0 offset:180
	buffer_load_dword v152, off, s[0:3], 0 offset:188
	;; [unrolled: 1-line block ×42, first 2 shown]
	ds_read_b128 v[99:102], v98 offset:560
	ds_read_b128 v[103:106], v98 offset:576
	;; [unrolled: 1-line block ×4, first 2 shown]
	buffer_load_dword v193, off, s[0:3], 0 offset:340
	buffer_load_dword v194, off, s[0:3], 0 offset:336
	;; [unrolled: 1-line block ×6, first 2 shown]
	ds_read_b128 v[115:118], v98 offset:624
	ds_read_b128 v[119:122], v98 offset:640
	buffer_load_dword v199, off, s[0:3], 0 offset:360
	buffer_load_dword v200, off, s[0:3], 0 offset:364
	buffer_load_dword v201, off, s[0:3], 0 offset:368
	buffer_load_dword v202, off, s[0:3], 0 offset:372
	buffer_load_dword v203, off, s[0:3], 0 offset:376
	buffer_load_dword v204, off, s[0:3], 0 offset:380
	v_cmp_lt_u32_e32 vcc, 20, v0
	s_waitcnt vmcnt(53) lgkmcnt(5)
	v_mul_f32_e32 v123, v99, v151
	s_waitcnt vmcnt(52)
	v_mul_f32_e32 v124, v101, v152
	s_waitcnt vmcnt(51) lgkmcnt(4)
	v_mul_f32_e32 v125, v103, v153
	s_waitcnt vmcnt(50)
	v_mul_f32_e32 v126, v105, v154
	;; [unrolled: 4-line block ×5, first 2 shown]
	s_waitcnt vmcnt(43)
	v_fmac_f32_e32 v123, v100, v161
	v_mul_f32_e32 v100, v100, v151
	s_waitcnt vmcnt(42)
	v_fmac_f32_e32 v124, v102, v162
	v_add_f32_e32 v123, 0, v123
	v_fma_f32 v99, v99, v161, -v100
	v_mul_f32_e32 v100, v102, v152
	s_waitcnt vmcnt(41)
	v_fmac_f32_e32 v125, v104, v163
	v_add_f32_e32 v123, v123, v124
	v_add_f32_e32 v99, 0, v99
	v_fma_f32 v100, v101, v162, -v100
	s_waitcnt vmcnt(40)
	v_fmac_f32_e32 v126, v106, v164
	v_add_f32_e32 v123, v123, v125
	v_add_f32_e32 v99, v99, v100
	v_mul_f32_e32 v100, v104, v153
	s_waitcnt vmcnt(39)
	v_fmac_f32_e32 v127, v108, v165
	v_add_f32_e32 v123, v123, v126
	v_fma_f32 v100, v103, v163, -v100
	s_waitcnt vmcnt(38)
	v_fmac_f32_e32 v128, v110, v166
	v_add_f32_e32 v123, v123, v127
	v_add_f32_e32 v99, v99, v100
	v_mul_f32_e32 v100, v106, v154
	s_waitcnt vmcnt(37)
	v_fmac_f32_e32 v129, v112, v167
	;; [unrolled: 9-line block ×3, first 2 shown]
	v_add_f32_e32 v123, v123, v130
	v_fma_f32 v100, v107, v165, -v100
	s_waitcnt vmcnt(34)
	v_fmac_f32_e32 v132, v118, v170
	v_add_f32_e32 v123, v123, v131
	s_waitcnt vmcnt(33) lgkmcnt(0)
	v_mul_f32_e32 v124, v119, v171
	v_add_f32_e32 v99, v99, v100
	v_mul_f32_e32 v100, v110, v156
	v_add_f32_e32 v123, v123, v132
	s_waitcnt vmcnt(32)
	v_fmac_f32_e32 v124, v120, v172
	v_fma_f32 v100, v109, v166, -v100
	v_add_f32_e32 v127, v123, v124
	ds_read_b128 v[123:126], v98 offset:656
	v_add_f32_e32 v99, v99, v100
	v_mul_f32_e32 v100, v112, v157
	v_fma_f32 v100, v111, v167, -v100
	s_waitcnt vmcnt(31)
	v_mul_f32_e32 v128, v121, v173
	v_add_f32_e32 v99, v99, v100
	v_mul_f32_e32 v100, v114, v158
	s_waitcnt vmcnt(30)
	v_fmac_f32_e32 v128, v122, v174
	v_fma_f32 v100, v113, v168, -v100
	v_add_f32_e32 v131, v127, v128
	ds_read_b128 v[127:130], v98 offset:672
	v_add_f32_e32 v99, v99, v100
	v_mul_f32_e32 v100, v116, v159
	s_waitcnt vmcnt(29) lgkmcnt(1)
	v_mul_f32_e32 v132, v123, v175
	v_fma_f32 v100, v115, v169, -v100
	s_waitcnt vmcnt(28)
	v_fmac_f32_e32 v132, v124, v176
	v_add_f32_e32 v99, v99, v100
	v_mul_f32_e32 v100, v118, v160
	v_add_f32_e32 v131, v131, v132
	s_waitcnt vmcnt(27)
	v_mul_f32_e32 v132, v125, v177
	v_fma_f32 v100, v117, v170, -v100
	s_waitcnt vmcnt(26)
	v_fmac_f32_e32 v132, v126, v178
	v_add_f32_e32 v99, v99, v100
	v_mul_f32_e32 v100, v120, v171
	v_add_f32_e32 v131, v131, v132
	s_waitcnt vmcnt(25) lgkmcnt(0)
	v_mul_f32_e32 v132, v127, v179
	v_fma_f32 v100, v119, v172, -v100
	s_waitcnt vmcnt(24)
	v_fmac_f32_e32 v132, v128, v180
	v_add_f32_e32 v99, v99, v100
	v_mul_f32_e32 v100, v122, v173
	v_add_f32_e32 v135, v131, v132
	ds_read_b128 v[131:134], v98 offset:688
	v_fma_f32 v100, v121, v174, -v100
	v_add_f32_e32 v99, v99, v100
	v_mul_f32_e32 v100, v124, v175
	s_waitcnt vmcnt(23)
	v_mul_f32_e32 v136, v129, v181
	v_fma_f32 v100, v123, v176, -v100
	s_waitcnt vmcnt(22)
	v_fmac_f32_e32 v136, v130, v182
	v_add_f32_e32 v99, v99, v100
	v_mul_f32_e32 v100, v126, v177
	v_add_f32_e32 v139, v135, v136
	ds_read_b128 v[135:138], v98 offset:704
	v_fma_f32 v100, v125, v178, -v100
	s_waitcnt vmcnt(21) lgkmcnt(1)
	v_mul_f32_e32 v140, v131, v183
	v_add_f32_e32 v99, v99, v100
	v_mul_f32_e32 v100, v128, v179
	s_waitcnt vmcnt(20)
	v_fmac_f32_e32 v140, v132, v184
	v_fma_f32 v100, v127, v180, -v100
	v_add_f32_e32 v139, v139, v140
	s_waitcnt vmcnt(18)
	v_mul_f32_e32 v140, v133, v186
	v_add_f32_e32 v99, v99, v100
	v_mul_f32_e32 v100, v130, v181
	v_fmac_f32_e32 v140, v134, v185
	v_fma_f32 v100, v129, v182, -v100
	v_add_f32_e32 v139, v139, v140
	s_waitcnt vmcnt(15) lgkmcnt(0)
	v_mul_f32_e32 v140, v135, v189
	v_add_f32_e32 v99, v99, v100
	v_mul_f32_e32 v100, v132, v183
	s_waitcnt vmcnt(14)
	v_fmac_f32_e32 v140, v136, v190
	v_fma_f32 v100, v131, v184, -v100
	v_add_f32_e32 v143, v139, v140
	ds_read_b128 v[139:142], v98 offset:720
	v_add_f32_e32 v99, v99, v100
	v_mul_f32_e32 v100, v134, v186
	v_fma_f32 v100, v133, v185, -v100
	v_add_f32_e32 v99, v99, v100
	v_mul_f32_e32 v100, v136, v189
	s_waitcnt vmcnt(12)
	v_mul_f32_e32 v144, v137, v192
	v_fma_f32 v100, v135, v190, -v100
	v_fmac_f32_e32 v144, v138, v191
	v_add_f32_e32 v99, v99, v100
	v_mul_f32_e32 v100, v138, v192
	v_add_f32_e32 v147, v143, v144
	ds_read_b128 v[143:146], v98 offset:736
	s_waitcnt vmcnt(11) lgkmcnt(1)
	v_mul_f32_e32 v148, v139, v193
	v_fma_f32 v100, v137, v191, -v100
	s_waitcnt vmcnt(10)
	v_fmac_f32_e32 v148, v140, v194
	v_add_f32_e32 v99, v99, v100
	v_mul_f32_e32 v100, v140, v193
	v_add_f32_e32 v147, v147, v148
	s_waitcnt vmcnt(8)
	v_mul_f32_e32 v148, v141, v196
	v_fma_f32 v100, v139, v194, -v100
	v_fmac_f32_e32 v148, v142, v195
	v_add_f32_e32 v99, v99, v100
	v_mul_f32_e32 v100, v142, v196
	v_add_f32_e32 v205, v147, v148
	ds_read_b128 v[147:150], v98 offset:752
	v_fma_f32 v100, v141, v195, -v100
	v_add_f32_e32 v99, v99, v100
	s_waitcnt vmcnt(6) lgkmcnt(1)
	v_mul_f32_e32 v100, v144, v198
	v_mul_f32_e32 v206, v143, v198
	v_fma_f32 v100, v143, v197, -v100
	v_fmac_f32_e32 v206, v144, v197
	v_add_f32_e32 v99, v99, v100
	s_waitcnt vmcnt(4)
	v_mul_f32_e32 v100, v146, v200
	v_add_f32_e32 v98, v205, v206
	v_mul_f32_e32 v205, v145, v200
	v_fma_f32 v100, v145, v199, -v100
	v_fmac_f32_e32 v205, v146, v199
	v_add_f32_e32 v99, v99, v100
	s_waitcnt vmcnt(2) lgkmcnt(0)
	v_mul_f32_e32 v100, v148, v202
	v_add_f32_e32 v98, v98, v205
	v_mul_f32_e32 v205, v147, v202
	v_fma_f32 v100, v147, v201, -v100
	v_fmac_f32_e32 v205, v148, v201
	v_add_f32_e32 v99, v99, v100
	s_waitcnt vmcnt(0)
	v_mul_f32_e32 v100, v150, v204
	v_add_f32_e32 v98, v98, v205
	v_mul_f32_e32 v205, v149, v204
	v_fma_f32 v100, v149, v203, -v100
	v_fmac_f32_e32 v205, v150, v203
	v_add_f32_e32 v99, v99, v100
	v_add_f32_e32 v98, v98, v205
	v_sub_f32_e32 v99, v187, v99
	v_sub_f32_e32 v98, v188, v98
	buffer_store_dword v99, off, s[0:3], 0 offset:168
	buffer_store_dword v98, off, s[0:3], 0 offset:172
	s_and_saveexec_b64 s[4:5], vcc
	s_cbranch_execz .LBB111_261
; %bb.260:
	buffer_load_dword v98, off, s[0:3], 0 offset:160
	buffer_load_dword v99, off, s[0:3], 0 offset:164
	v_mov_b32_e32 v100, 0
	buffer_store_dword v100, off, s[0:3], 0 offset:160
	buffer_store_dword v100, off, s[0:3], 0 offset:164
	s_waitcnt vmcnt(2)
	ds_write_b64 v97, v[98:99]
.LBB111_261:
	s_or_b64 exec, exec, s[4:5]
	s_waitcnt lgkmcnt(0)
	; wave barrier
	buffer_load_dword v153, off, s[0:3], 0 offset:172
	buffer_load_dword v154, off, s[0:3], 0 offset:180
	;; [unrolled: 1-line block ×56, first 2 shown]
	v_mov_b32_e32 v98, 0
	ds_read2_b64 v[99:102], v98 offset0:69 offset1:70
	ds_read2_b64 v[103:106], v98 offset0:71 offset1:72
	;; [unrolled: 1-line block ×6, first 2 shown]
	v_cmp_lt_u32_e32 vcc, 19, v0
	s_waitcnt vmcnt(55) lgkmcnt(5)
	v_mul_f32_e32 v123, v99, v153
	s_waitcnt vmcnt(54)
	v_mul_f32_e32 v124, v101, v154
	s_waitcnt vmcnt(53) lgkmcnt(4)
	v_mul_f32_e32 v125, v103, v155
	s_waitcnt vmcnt(52)
	v_mul_f32_e32 v126, v105, v156
	;; [unrolled: 4-line block ×4, first 2 shown]
	s_waitcnt vmcnt(47) lgkmcnt(1)
	v_mul_f32_e32 v131, v115, v161
	s_waitcnt vmcnt(46)
	v_fmac_f32_e32 v123, v100, v162
	s_waitcnt vmcnt(45)
	v_fmac_f32_e32 v124, v102, v163
	v_add_f32_e32 v123, 0, v123
	s_waitcnt vmcnt(44)
	v_fmac_f32_e32 v125, v104, v164
	v_add_f32_e32 v123, v123, v124
	;; [unrolled: 3-line block ×3, first 2 shown]
	v_mul_f32_e32 v100, v100, v153
	s_waitcnt vmcnt(42)
	v_fmac_f32_e32 v127, v108, v166
	v_add_f32_e32 v123, v123, v126
	v_fma_f32 v99, v99, v162, -v100
	v_mul_f32_e32 v100, v102, v154
	s_waitcnt vmcnt(41)
	v_fmac_f32_e32 v128, v110, v167
	v_add_f32_e32 v123, v123, v127
	v_add_f32_e32 v99, 0, v99
	v_fma_f32 v100, v101, v163, -v100
	s_waitcnt vmcnt(40)
	v_fmac_f32_e32 v129, v112, v168
	v_add_f32_e32 v123, v123, v128
	v_add_f32_e32 v99, v99, v100
	v_mul_f32_e32 v100, v104, v155
	s_waitcnt vmcnt(39)
	v_fmac_f32_e32 v130, v114, v169
	v_add_f32_e32 v123, v123, v129
	v_fma_f32 v100, v103, v164, -v100
	v_add_f32_e32 v123, v123, v130
	s_waitcnt vmcnt(38)
	v_fmac_f32_e32 v131, v116, v170
	s_waitcnt vmcnt(37)
	v_mul_f32_e32 v124, v117, v171
	v_add_f32_e32 v99, v99, v100
	v_mul_f32_e32 v100, v106, v156
	v_add_f32_e32 v123, v123, v131
	s_waitcnt vmcnt(36)
	v_fmac_f32_e32 v124, v118, v172
	v_fma_f32 v100, v105, v165, -v100
	v_add_f32_e32 v123, v123, v124
	s_waitcnt vmcnt(35) lgkmcnt(0)
	v_mul_f32_e32 v124, v119, v173
	v_add_f32_e32 v99, v99, v100
	v_mul_f32_e32 v100, v108, v157
	s_waitcnt vmcnt(34)
	v_fmac_f32_e32 v124, v120, v174
	v_fma_f32 v100, v107, v166, -v100
	v_add_f32_e32 v127, v123, v124
	ds_read2_b64 v[123:126], v98 offset0:81 offset1:82
	v_add_f32_e32 v99, v99, v100
	v_mul_f32_e32 v100, v110, v158
	v_fma_f32 v100, v109, v167, -v100
	s_waitcnt vmcnt(33)
	v_mul_f32_e32 v128, v121, v175
	v_add_f32_e32 v99, v99, v100
	v_mul_f32_e32 v100, v112, v159
	s_waitcnt vmcnt(32)
	v_fmac_f32_e32 v128, v122, v176
	v_fma_f32 v100, v111, v168, -v100
	v_add_f32_e32 v131, v127, v128
	ds_read2_b64 v[127:130], v98 offset0:83 offset1:84
	v_add_f32_e32 v99, v99, v100
	v_mul_f32_e32 v100, v114, v160
	s_waitcnt vmcnt(31) lgkmcnt(1)
	v_mul_f32_e32 v132, v123, v177
	v_fma_f32 v100, v113, v169, -v100
	s_waitcnt vmcnt(30)
	v_fmac_f32_e32 v132, v124, v178
	v_add_f32_e32 v99, v99, v100
	v_mul_f32_e32 v100, v116, v161
	v_add_f32_e32 v131, v131, v132
	s_waitcnt vmcnt(29)
	v_mul_f32_e32 v132, v125, v179
	v_fma_f32 v100, v115, v170, -v100
	s_waitcnt vmcnt(28)
	v_fmac_f32_e32 v132, v126, v180
	v_add_f32_e32 v99, v99, v100
	v_mul_f32_e32 v100, v118, v171
	v_add_f32_e32 v131, v131, v132
	s_waitcnt vmcnt(27) lgkmcnt(0)
	v_mul_f32_e32 v132, v127, v181
	v_fma_f32 v100, v117, v172, -v100
	s_waitcnt vmcnt(26)
	v_fmac_f32_e32 v132, v128, v182
	v_add_f32_e32 v99, v99, v100
	v_mul_f32_e32 v100, v120, v173
	v_add_f32_e32 v135, v131, v132
	ds_read2_b64 v[131:134], v98 offset0:85 offset1:86
	v_fma_f32 v100, v119, v174, -v100
	v_add_f32_e32 v99, v99, v100
	v_mul_f32_e32 v100, v122, v175
	s_waitcnt vmcnt(24)
	v_mul_f32_e32 v136, v129, v184
	v_fma_f32 v100, v121, v176, -v100
	v_fmac_f32_e32 v136, v130, v183
	v_add_f32_e32 v99, v99, v100
	v_mul_f32_e32 v100, v124, v177
	v_add_f32_e32 v139, v135, v136
	ds_read2_b64 v[135:138], v98 offset0:87 offset1:88
	v_fma_f32 v100, v123, v178, -v100
	s_waitcnt vmcnt(21) lgkmcnt(1)
	v_mul_f32_e32 v140, v131, v187
	v_add_f32_e32 v99, v99, v100
	v_mul_f32_e32 v100, v126, v179
	s_waitcnt vmcnt(20)
	v_fmac_f32_e32 v140, v132, v188
	v_fma_f32 v100, v125, v180, -v100
	v_add_f32_e32 v139, v139, v140
	s_waitcnt vmcnt(18)
	v_mul_f32_e32 v140, v133, v190
	v_add_f32_e32 v99, v99, v100
	v_mul_f32_e32 v100, v128, v181
	v_fmac_f32_e32 v140, v134, v189
	v_fma_f32 v100, v127, v182, -v100
	v_add_f32_e32 v139, v139, v140
	s_waitcnt vmcnt(16) lgkmcnt(0)
	v_mul_f32_e32 v140, v135, v192
	v_add_f32_e32 v99, v99, v100
	v_mul_f32_e32 v100, v130, v184
	v_fmac_f32_e32 v140, v136, v191
	v_fma_f32 v100, v129, v183, -v100
	v_add_f32_e32 v143, v139, v140
	ds_read2_b64 v[139:142], v98 offset0:89 offset1:90
	v_add_f32_e32 v99, v99, v100
	v_mul_f32_e32 v100, v132, v187
	v_fma_f32 v100, v131, v188, -v100
	s_waitcnt vmcnt(14)
	v_mul_f32_e32 v144, v137, v194
	v_add_f32_e32 v99, v99, v100
	v_mul_f32_e32 v100, v134, v190
	v_fmac_f32_e32 v144, v138, v193
	v_fma_f32 v100, v133, v189, -v100
	v_add_f32_e32 v147, v143, v144
	ds_read2_b64 v[143:146], v98 offset0:91 offset1:92
	v_add_f32_e32 v99, v99, v100
	v_mul_f32_e32 v100, v136, v192
	s_waitcnt vmcnt(12) lgkmcnt(1)
	v_mul_f32_e32 v148, v139, v196
	v_fma_f32 v100, v135, v191, -v100
	v_fmac_f32_e32 v148, v140, v195
	v_add_f32_e32 v99, v99, v100
	v_mul_f32_e32 v100, v138, v194
	v_add_f32_e32 v147, v147, v148
	s_waitcnt vmcnt(10)
	v_mul_f32_e32 v148, v141, v198
	v_fma_f32 v100, v137, v193, -v100
	v_fmac_f32_e32 v148, v142, v197
	v_add_f32_e32 v99, v99, v100
	v_mul_f32_e32 v100, v140, v196
	v_add_f32_e32 v147, v147, v148
	s_waitcnt vmcnt(8) lgkmcnt(0)
	v_mul_f32_e32 v148, v143, v200
	v_fma_f32 v100, v139, v195, -v100
	v_fmac_f32_e32 v148, v144, v199
	v_add_f32_e32 v99, v99, v100
	v_mul_f32_e32 v100, v142, v198
	v_add_f32_e32 v151, v147, v148
	ds_read2_b64 v[147:150], v98 offset0:93 offset1:94
	v_fma_f32 v100, v141, v197, -v100
	v_add_f32_e32 v99, v99, v100
	v_mul_f32_e32 v100, v144, v200
	s_waitcnt vmcnt(6)
	v_mul_f32_e32 v152, v145, v202
	v_fma_f32 v100, v143, v199, -v100
	v_fmac_f32_e32 v152, v146, v201
	v_add_f32_e32 v99, v99, v100
	v_mul_f32_e32 v100, v146, v202
	v_add_f32_e32 v209, v151, v152
	ds_read_b64 v[151:152], v98 offset:760
	v_fma_f32 v100, v145, v201, -v100
	v_add_f32_e32 v99, v99, v100
	s_waitcnt vmcnt(4) lgkmcnt(1)
	v_mul_f32_e32 v100, v148, v204
	v_mul_f32_e32 v210, v147, v204
	v_fma_f32 v100, v147, v203, -v100
	v_fmac_f32_e32 v210, v148, v203
	v_add_f32_e32 v99, v99, v100
	s_waitcnt vmcnt(2)
	v_mul_f32_e32 v100, v150, v206
	v_add_f32_e32 v209, v209, v210
	v_mul_f32_e32 v210, v149, v206
	v_fma_f32 v100, v149, v205, -v100
	v_fmac_f32_e32 v210, v150, v205
	v_add_f32_e32 v99, v99, v100
	s_waitcnt vmcnt(0) lgkmcnt(0)
	v_mul_f32_e32 v100, v152, v208
	v_add_f32_e32 v209, v209, v210
	v_mul_f32_e32 v210, v151, v208
	v_fma_f32 v100, v151, v207, -v100
	v_fmac_f32_e32 v210, v152, v207
	v_add_f32_e32 v99, v99, v100
	v_add_f32_e32 v209, v209, v210
	v_sub_f32_e32 v99, v185, v99
	v_sub_f32_e32 v100, v186, v209
	buffer_store_dword v99, off, s[0:3], 0 offset:160
	buffer_store_dword v100, off, s[0:3], 0 offset:164
	s_and_saveexec_b64 s[4:5], vcc
	s_cbranch_execz .LBB111_263
; %bb.262:
	buffer_load_dword v99, off, s[0:3], 0 offset:152
	buffer_load_dword v100, off, s[0:3], 0 offset:156
	s_waitcnt vmcnt(0)
	ds_write_b64 v97, v[99:100]
	buffer_store_dword v98, off, s[0:3], 0 offset:152
	buffer_store_dword v98, off, s[0:3], 0 offset:156
.LBB111_263:
	s_or_b64 exec, exec, s[4:5]
	s_waitcnt lgkmcnt(0)
	; wave barrier
	buffer_load_dword v155, off, s[0:3], 0 offset:164
	buffer_load_dword v156, off, s[0:3], 0 offset:172
	;; [unrolled: 1-line block ×34, first 2 shown]
	ds_read_b128 v[99:102], v98 offset:544
	ds_read_b128 v[103:106], v98 offset:560
	buffer_load_dword v189, off, s[0:3], 0 offset:292
	buffer_load_dword v190, off, s[0:3], 0 offset:288
	;; [unrolled: 1-line block ×6, first 2 shown]
	ds_read_b128 v[107:110], v98 offset:576
	ds_read_b128 v[111:114], v98 offset:592
	;; [unrolled: 1-line block ×4, first 2 shown]
	buffer_load_dword v195, off, s[0:3], 0 offset:316
	buffer_load_dword v196, off, s[0:3], 0 offset:312
	;; [unrolled: 1-line block ×18, first 2 shown]
	v_cmp_lt_u32_e32 vcc, 18, v0
	s_waitcnt vmcnt(57) lgkmcnt(5)
	v_mul_f32_e32 v123, v99, v155
	s_waitcnt vmcnt(56)
	v_mul_f32_e32 v124, v101, v156
	s_waitcnt vmcnt(55) lgkmcnt(4)
	v_mul_f32_e32 v125, v103, v157
	s_waitcnt vmcnt(54)
	v_mul_f32_e32 v126, v105, v158
	s_waitcnt vmcnt(53) lgkmcnt(3)
	v_mul_f32_e32 v127, v107, v159
	s_waitcnt vmcnt(52)
	v_mul_f32_e32 v128, v109, v160
	s_waitcnt vmcnt(51) lgkmcnt(2)
	v_mul_f32_e32 v129, v111, v161
	s_waitcnt vmcnt(50)
	v_mul_f32_e32 v130, v113, v162
	s_waitcnt vmcnt(49)
	v_fmac_f32_e32 v123, v100, v163
	s_waitcnt vmcnt(48)
	v_fmac_f32_e32 v124, v102, v164
	v_add_f32_e32 v123, 0, v123
	s_waitcnt vmcnt(47)
	v_fmac_f32_e32 v125, v104, v165
	v_add_f32_e32 v123, v123, v124
	;; [unrolled: 3-line block ×4, first 2 shown]
	v_mul_f32_e32 v100, v100, v155
	s_waitcnt vmcnt(44)
	v_fmac_f32_e32 v128, v110, v168
	v_add_f32_e32 v123, v123, v127
	v_fma_f32 v99, v99, v163, -v100
	v_mul_f32_e32 v100, v102, v156
	s_waitcnt vmcnt(43)
	v_fmac_f32_e32 v129, v112, v169
	v_add_f32_e32 v123, v123, v128
	v_add_f32_e32 v99, 0, v99
	v_fma_f32 v100, v101, v164, -v100
	s_waitcnt vmcnt(42)
	v_fmac_f32_e32 v130, v114, v170
	v_add_f32_e32 v123, v123, v129
	s_waitcnt vmcnt(41) lgkmcnt(1)
	v_mul_f32_e32 v124, v115, v171
	v_add_f32_e32 v99, v99, v100
	v_mul_f32_e32 v100, v104, v157
	v_add_f32_e32 v123, v123, v130
	s_waitcnt vmcnt(40)
	v_fmac_f32_e32 v124, v116, v172
	v_fma_f32 v100, v103, v165, -v100
	v_add_f32_e32 v123, v123, v124
	s_waitcnt vmcnt(39)
	v_mul_f32_e32 v124, v117, v173
	v_add_f32_e32 v99, v99, v100
	v_mul_f32_e32 v100, v106, v158
	s_waitcnt vmcnt(38)
	v_fmac_f32_e32 v124, v118, v174
	v_fma_f32 v100, v105, v166, -v100
	v_add_f32_e32 v123, v123, v124
	s_waitcnt vmcnt(37) lgkmcnt(0)
	v_mul_f32_e32 v124, v119, v175
	v_add_f32_e32 v99, v99, v100
	v_mul_f32_e32 v100, v108, v159
	s_waitcnt vmcnt(36)
	v_fmac_f32_e32 v124, v120, v176
	v_fma_f32 v100, v107, v167, -v100
	v_add_f32_e32 v127, v123, v124
	ds_read_b128 v[123:126], v98 offset:640
	v_add_f32_e32 v99, v99, v100
	v_mul_f32_e32 v100, v110, v160
	v_fma_f32 v100, v109, v168, -v100
	s_waitcnt vmcnt(35)
	v_mul_f32_e32 v128, v121, v177
	v_add_f32_e32 v99, v99, v100
	v_mul_f32_e32 v100, v112, v161
	s_waitcnt vmcnt(34)
	v_fmac_f32_e32 v128, v122, v178
	v_fma_f32 v100, v111, v169, -v100
	v_add_f32_e32 v131, v127, v128
	ds_read_b128 v[127:130], v98 offset:656
	v_add_f32_e32 v99, v99, v100
	v_mul_f32_e32 v100, v114, v162
	s_waitcnt vmcnt(33) lgkmcnt(1)
	v_mul_f32_e32 v132, v123, v179
	v_fma_f32 v100, v113, v170, -v100
	s_waitcnt vmcnt(32)
	v_fmac_f32_e32 v132, v124, v180
	v_add_f32_e32 v99, v99, v100
	v_mul_f32_e32 v100, v116, v171
	v_add_f32_e32 v131, v131, v132
	s_waitcnt vmcnt(31)
	v_mul_f32_e32 v132, v125, v181
	v_fma_f32 v100, v115, v172, -v100
	s_waitcnt vmcnt(30)
	v_fmac_f32_e32 v132, v126, v182
	v_add_f32_e32 v99, v99, v100
	v_mul_f32_e32 v100, v118, v173
	v_add_f32_e32 v131, v131, v132
	s_waitcnt vmcnt(29) lgkmcnt(0)
	v_mul_f32_e32 v132, v127, v183
	v_fma_f32 v100, v117, v174, -v100
	s_waitcnt vmcnt(28)
	v_fmac_f32_e32 v132, v128, v184
	v_add_f32_e32 v99, v99, v100
	v_mul_f32_e32 v100, v120, v175
	v_add_f32_e32 v135, v131, v132
	ds_read_b128 v[131:134], v98 offset:672
	v_fma_f32 v100, v119, v176, -v100
	v_add_f32_e32 v99, v99, v100
	v_mul_f32_e32 v100, v122, v177
	s_waitcnt vmcnt(25)
	v_mul_f32_e32 v136, v129, v187
	v_fma_f32 v100, v121, v178, -v100
	s_waitcnt vmcnt(24)
	v_fmac_f32_e32 v136, v130, v188
	v_add_f32_e32 v99, v99, v100
	v_mul_f32_e32 v100, v124, v179
	v_add_f32_e32 v139, v135, v136
	ds_read_b128 v[135:138], v98 offset:688
	v_fma_f32 v100, v123, v180, -v100
	s_waitcnt vmcnt(23) lgkmcnt(1)
	v_mul_f32_e32 v140, v131, v189
	v_add_f32_e32 v99, v99, v100
	v_mul_f32_e32 v100, v126, v181
	s_waitcnt vmcnt(22)
	v_fmac_f32_e32 v140, v132, v190
	v_fma_f32 v100, v125, v182, -v100
	v_add_f32_e32 v139, v139, v140
	s_waitcnt vmcnt(20)
	v_mul_f32_e32 v140, v133, v192
	v_add_f32_e32 v99, v99, v100
	v_mul_f32_e32 v100, v128, v183
	v_fmac_f32_e32 v140, v134, v191
	v_fma_f32 v100, v127, v184, -v100
	v_add_f32_e32 v139, v139, v140
	s_waitcnt vmcnt(18) lgkmcnt(0)
	v_mul_f32_e32 v140, v135, v194
	v_add_f32_e32 v99, v99, v100
	v_mul_f32_e32 v100, v130, v187
	v_fmac_f32_e32 v140, v136, v193
	v_fma_f32 v100, v129, v188, -v100
	v_add_f32_e32 v143, v139, v140
	ds_read_b128 v[139:142], v98 offset:704
	v_add_f32_e32 v99, v99, v100
	v_mul_f32_e32 v100, v132, v189
	v_fma_f32 v100, v131, v190, -v100
	s_waitcnt vmcnt(17)
	v_mul_f32_e32 v144, v137, v195
	v_add_f32_e32 v99, v99, v100
	v_mul_f32_e32 v100, v134, v192
	s_waitcnt vmcnt(16)
	v_fmac_f32_e32 v144, v138, v196
	v_fma_f32 v100, v133, v191, -v100
	v_add_f32_e32 v147, v143, v144
	ds_read_b128 v[143:146], v98 offset:720
	v_add_f32_e32 v99, v99, v100
	v_mul_f32_e32 v100, v136, v194
	s_waitcnt vmcnt(14) lgkmcnt(1)
	v_mul_f32_e32 v148, v139, v198
	v_fma_f32 v100, v135, v193, -v100
	v_fmac_f32_e32 v148, v140, v197
	v_add_f32_e32 v99, v99, v100
	v_mul_f32_e32 v100, v138, v195
	v_add_f32_e32 v147, v147, v148
	s_waitcnt vmcnt(12)
	v_mul_f32_e32 v148, v141, v200
	v_fma_f32 v100, v137, v196, -v100
	v_fmac_f32_e32 v148, v142, v199
	v_add_f32_e32 v99, v99, v100
	v_mul_f32_e32 v100, v140, v198
	v_add_f32_e32 v147, v147, v148
	s_waitcnt vmcnt(10) lgkmcnt(0)
	v_mul_f32_e32 v148, v143, v202
	v_fma_f32 v100, v139, v197, -v100
	v_fmac_f32_e32 v148, v144, v201
	v_add_f32_e32 v99, v99, v100
	v_mul_f32_e32 v100, v142, v200
	v_add_f32_e32 v151, v147, v148
	ds_read_b128 v[147:150], v98 offset:736
	v_fma_f32 v100, v141, v199, -v100
	v_add_f32_e32 v99, v99, v100
	v_mul_f32_e32 v100, v144, v202
	s_waitcnt vmcnt(8)
	v_mul_f32_e32 v152, v145, v204
	v_fma_f32 v100, v143, v201, -v100
	v_fmac_f32_e32 v152, v146, v203
	v_add_f32_e32 v99, v99, v100
	v_mul_f32_e32 v100, v146, v204
	v_add_f32_e32 v213, v151, v152
	ds_read_b128 v[151:154], v98 offset:752
	v_fma_f32 v100, v145, v203, -v100
	v_add_f32_e32 v99, v99, v100
	s_waitcnt vmcnt(6) lgkmcnt(1)
	v_mul_f32_e32 v100, v148, v206
	v_mul_f32_e32 v98, v147, v206
	v_fma_f32 v100, v147, v205, -v100
	v_fmac_f32_e32 v98, v148, v205
	v_add_f32_e32 v99, v99, v100
	s_waitcnt vmcnt(4)
	v_mul_f32_e32 v100, v150, v208
	v_add_f32_e32 v98, v213, v98
	v_mul_f32_e32 v213, v149, v208
	v_fma_f32 v100, v149, v207, -v100
	v_fmac_f32_e32 v213, v150, v207
	v_add_f32_e32 v99, v99, v100
	s_waitcnt vmcnt(2) lgkmcnt(0)
	v_mul_f32_e32 v100, v152, v210
	v_add_f32_e32 v98, v98, v213
	v_mul_f32_e32 v213, v151, v210
	v_fma_f32 v100, v151, v209, -v100
	v_fmac_f32_e32 v213, v152, v209
	v_add_f32_e32 v99, v99, v100
	s_waitcnt vmcnt(0)
	v_mul_f32_e32 v100, v154, v212
	v_add_f32_e32 v98, v98, v213
	v_mul_f32_e32 v213, v153, v212
	v_fma_f32 v100, v153, v211, -v100
	v_fmac_f32_e32 v213, v154, v211
	v_add_f32_e32 v99, v99, v100
	v_add_f32_e32 v98, v98, v213
	v_sub_f32_e32 v99, v185, v99
	v_sub_f32_e32 v98, v186, v98
	buffer_store_dword v99, off, s[0:3], 0 offset:152
	buffer_store_dword v98, off, s[0:3], 0 offset:156
	s_and_saveexec_b64 s[4:5], vcc
	s_cbranch_execz .LBB111_265
; %bb.264:
	buffer_load_dword v98, off, s[0:3], 0 offset:144
	buffer_load_dword v99, off, s[0:3], 0 offset:148
	v_mov_b32_e32 v100, 0
	buffer_store_dword v100, off, s[0:3], 0 offset:144
	buffer_store_dword v100, off, s[0:3], 0 offset:148
	s_waitcnt vmcnt(2)
	ds_write_b64 v97, v[98:99]
.LBB111_265:
	s_or_b64 exec, exec, s[4:5]
	s_waitcnt lgkmcnt(0)
	; wave barrier
	buffer_load_dword v157, off, s[0:3], 0 offset:156
	buffer_load_dword v158, off, s[0:3], 0 offset:164
	;; [unrolled: 1-line block ×60, first 2 shown]
	v_mov_b32_e32 v98, 0
	ds_read2_b64 v[99:102], v98 offset0:67 offset1:68
	ds_read2_b64 v[103:106], v98 offset0:69 offset1:70
	;; [unrolled: 1-line block ×5, first 2 shown]
	v_cmp_lt_u32_e32 vcc, 17, v0
	s_waitcnt vmcnt(59) lgkmcnt(4)
	v_mul_f32_e32 v119, v99, v157
	s_waitcnt vmcnt(58)
	v_mul_f32_e32 v120, v101, v158
	s_waitcnt vmcnt(57) lgkmcnt(3)
	v_mul_f32_e32 v121, v103, v159
	s_waitcnt vmcnt(56)
	v_mul_f32_e32 v122, v105, v160
	;; [unrolled: 4-line block ×3, first 2 shown]
	s_waitcnt vmcnt(53) lgkmcnt(1)
	v_mul_f32_e32 v125, v111, v163
	s_waitcnt vmcnt(52)
	v_fmac_f32_e32 v119, v100, v164
	s_waitcnt vmcnt(51)
	v_fmac_f32_e32 v120, v102, v165
	v_add_f32_e32 v119, 0, v119
	s_waitcnt vmcnt(50)
	v_fmac_f32_e32 v121, v104, v166
	v_add_f32_e32 v119, v119, v120
	;; [unrolled: 3-line block ×6, first 2 shown]
	s_waitcnt vmcnt(45)
	v_mul_f32_e32 v120, v113, v171
	v_add_f32_e32 v119, v119, v125
	s_waitcnt vmcnt(44)
	v_fmac_f32_e32 v120, v114, v172
	v_mul_f32_e32 v100, v100, v157
	v_add_f32_e32 v123, v119, v120
	ds_read2_b64 v[119:122], v98 offset0:77 offset1:78
	v_fma_f32 v99, v99, v164, -v100
	v_mul_f32_e32 v100, v102, v158
	s_waitcnt vmcnt(43) lgkmcnt(1)
	v_mul_f32_e32 v124, v115, v173
	v_add_f32_e32 v99, 0, v99
	v_fma_f32 v100, v101, v165, -v100
	s_waitcnt vmcnt(42)
	v_fmac_f32_e32 v124, v116, v174
	v_add_f32_e32 v99, v99, v100
	v_mul_f32_e32 v100, v104, v159
	v_add_f32_e32 v123, v123, v124
	s_waitcnt vmcnt(41)
	v_mul_f32_e32 v124, v117, v175
	v_fma_f32 v100, v103, v166, -v100
	s_waitcnt vmcnt(40)
	v_fmac_f32_e32 v124, v118, v176
	v_add_f32_e32 v99, v99, v100
	v_mul_f32_e32 v100, v106, v160
	v_add_f32_e32 v123, v123, v124
	s_waitcnt vmcnt(39) lgkmcnt(0)
	v_mul_f32_e32 v124, v119, v177
	v_fma_f32 v100, v105, v167, -v100
	s_waitcnt vmcnt(38)
	v_fmac_f32_e32 v124, v120, v178
	v_add_f32_e32 v99, v99, v100
	v_mul_f32_e32 v100, v108, v161
	v_add_f32_e32 v127, v123, v124
	ds_read2_b64 v[123:126], v98 offset0:79 offset1:80
	v_fma_f32 v100, v107, v168, -v100
	v_add_f32_e32 v99, v99, v100
	v_mul_f32_e32 v100, v110, v162
	s_waitcnt vmcnt(37)
	v_mul_f32_e32 v128, v121, v179
	v_fma_f32 v100, v109, v169, -v100
	s_waitcnt vmcnt(36)
	v_fmac_f32_e32 v128, v122, v180
	v_add_f32_e32 v99, v99, v100
	v_mul_f32_e32 v100, v112, v163
	v_add_f32_e32 v131, v127, v128
	ds_read2_b64 v[127:130], v98 offset0:81 offset1:82
	v_fma_f32 v100, v111, v170, -v100
	s_waitcnt vmcnt(34) lgkmcnt(1)
	v_mul_f32_e32 v132, v123, v182
	v_add_f32_e32 v99, v99, v100
	v_mul_f32_e32 v100, v114, v171
	v_fmac_f32_e32 v132, v124, v181
	v_fma_f32 v100, v113, v172, -v100
	v_add_f32_e32 v131, v131, v132
	s_waitcnt vmcnt(31)
	v_mul_f32_e32 v132, v125, v185
	v_add_f32_e32 v99, v99, v100
	v_mul_f32_e32 v100, v116, v173
	s_waitcnt vmcnt(30)
	v_fmac_f32_e32 v132, v126, v186
	v_fma_f32 v100, v115, v174, -v100
	v_add_f32_e32 v131, v131, v132
	s_waitcnt vmcnt(28) lgkmcnt(0)
	v_mul_f32_e32 v132, v127, v188
	v_add_f32_e32 v99, v99, v100
	v_mul_f32_e32 v100, v118, v175
	v_fmac_f32_e32 v132, v128, v187
	v_fma_f32 v100, v117, v176, -v100
	v_add_f32_e32 v135, v131, v132
	ds_read2_b64 v[131:134], v98 offset0:83 offset1:84
	v_add_f32_e32 v99, v99, v100
	v_mul_f32_e32 v100, v120, v177
	v_fma_f32 v100, v119, v178, -v100
	s_waitcnt vmcnt(26)
	v_mul_f32_e32 v136, v129, v190
	v_add_f32_e32 v99, v99, v100
	v_mul_f32_e32 v100, v122, v179
	v_fmac_f32_e32 v136, v130, v189
	v_fma_f32 v100, v121, v180, -v100
	v_add_f32_e32 v139, v135, v136
	ds_read2_b64 v[135:138], v98 offset0:85 offset1:86
	v_add_f32_e32 v99, v99, v100
	v_mul_f32_e32 v100, v124, v182
	s_waitcnt vmcnt(24) lgkmcnt(1)
	v_mul_f32_e32 v140, v131, v192
	v_fma_f32 v100, v123, v181, -v100
	v_fmac_f32_e32 v140, v132, v191
	v_add_f32_e32 v99, v99, v100
	v_mul_f32_e32 v100, v126, v185
	v_add_f32_e32 v139, v139, v140
	s_waitcnt vmcnt(22)
	v_mul_f32_e32 v140, v133, v194
	v_fma_f32 v100, v125, v186, -v100
	v_fmac_f32_e32 v140, v134, v193
	v_add_f32_e32 v99, v99, v100
	v_mul_f32_e32 v100, v128, v188
	v_add_f32_e32 v139, v139, v140
	s_waitcnt vmcnt(20) lgkmcnt(0)
	v_mul_f32_e32 v140, v135, v196
	v_fma_f32 v100, v127, v187, -v100
	v_fmac_f32_e32 v140, v136, v195
	v_add_f32_e32 v99, v99, v100
	v_mul_f32_e32 v100, v130, v190
	v_add_f32_e32 v143, v139, v140
	ds_read2_b64 v[139:142], v98 offset0:87 offset1:88
	v_fma_f32 v100, v129, v189, -v100
	v_add_f32_e32 v99, v99, v100
	v_mul_f32_e32 v100, v132, v192
	s_waitcnt vmcnt(18)
	v_mul_f32_e32 v144, v137, v198
	v_fma_f32 v100, v131, v191, -v100
	v_fmac_f32_e32 v144, v138, v197
	v_add_f32_e32 v99, v99, v100
	v_mul_f32_e32 v100, v134, v194
	v_add_f32_e32 v147, v143, v144
	ds_read2_b64 v[143:146], v98 offset0:89 offset1:90
	v_fma_f32 v100, v133, v193, -v100
	s_waitcnt vmcnt(16) lgkmcnt(1)
	v_mul_f32_e32 v148, v139, v200
	v_add_f32_e32 v99, v99, v100
	v_mul_f32_e32 v100, v136, v196
	v_fmac_f32_e32 v148, v140, v199
	v_fma_f32 v100, v135, v195, -v100
	v_add_f32_e32 v147, v147, v148
	s_waitcnt vmcnt(14)
	v_mul_f32_e32 v148, v141, v202
	v_add_f32_e32 v99, v99, v100
	v_mul_f32_e32 v100, v138, v198
	v_fmac_f32_e32 v148, v142, v201
	v_fma_f32 v100, v137, v197, -v100
	v_add_f32_e32 v147, v147, v148
	s_waitcnt vmcnt(12) lgkmcnt(0)
	v_mul_f32_e32 v148, v143, v204
	v_add_f32_e32 v99, v99, v100
	v_mul_f32_e32 v100, v140, v200
	v_fmac_f32_e32 v148, v144, v203
	v_fma_f32 v100, v139, v199, -v100
	v_add_f32_e32 v151, v147, v148
	ds_read2_b64 v[147:150], v98 offset0:91 offset1:92
	v_add_f32_e32 v99, v99, v100
	v_mul_f32_e32 v100, v142, v202
	v_fma_f32 v100, v141, v201, -v100
	v_add_f32_e32 v99, v99, v100
	v_mul_f32_e32 v100, v144, v204
	s_waitcnt vmcnt(10)
	v_mul_f32_e32 v152, v145, v206
	v_fma_f32 v100, v143, v203, -v100
	v_fmac_f32_e32 v152, v146, v205
	v_add_f32_e32 v99, v99, v100
	v_mul_f32_e32 v100, v146, v206
	v_add_f32_e32 v155, v151, v152
	ds_read2_b64 v[151:154], v98 offset0:93 offset1:94
	s_waitcnt vmcnt(8) lgkmcnt(1)
	v_mul_f32_e32 v156, v147, v208
	v_fma_f32 v100, v145, v205, -v100
	v_fmac_f32_e32 v156, v148, v207
	v_add_f32_e32 v99, v99, v100
	v_mul_f32_e32 v100, v148, v208
	v_add_f32_e32 v155, v155, v156
	s_waitcnt vmcnt(6)
	v_mul_f32_e32 v156, v149, v210
	v_fma_f32 v100, v147, v207, -v100
	v_fmac_f32_e32 v156, v150, v209
	v_add_f32_e32 v99, v99, v100
	v_mul_f32_e32 v100, v150, v210
	v_add_f32_e32 v217, v155, v156
	ds_read_b64 v[155:156], v98 offset:760
	v_fma_f32 v100, v149, v209, -v100
	v_add_f32_e32 v99, v99, v100
	s_waitcnt vmcnt(4) lgkmcnt(1)
	v_mul_f32_e32 v100, v152, v212
	v_mul_f32_e32 v218, v151, v212
	v_fma_f32 v100, v151, v211, -v100
	v_fmac_f32_e32 v218, v152, v211
	v_add_f32_e32 v99, v99, v100
	s_waitcnt vmcnt(2)
	v_mul_f32_e32 v100, v154, v214
	v_add_f32_e32 v217, v217, v218
	v_mul_f32_e32 v218, v153, v214
	v_fma_f32 v100, v153, v213, -v100
	v_fmac_f32_e32 v218, v154, v213
	v_add_f32_e32 v99, v99, v100
	s_waitcnt vmcnt(0) lgkmcnt(0)
	v_mul_f32_e32 v100, v156, v216
	v_add_f32_e32 v217, v217, v218
	v_mul_f32_e32 v218, v155, v216
	v_fma_f32 v100, v155, v215, -v100
	v_fmac_f32_e32 v218, v156, v215
	v_add_f32_e32 v99, v99, v100
	v_add_f32_e32 v217, v217, v218
	v_sub_f32_e32 v99, v183, v99
	v_sub_f32_e32 v100, v184, v217
	buffer_store_dword v99, off, s[0:3], 0 offset:144
	buffer_store_dword v100, off, s[0:3], 0 offset:148
	s_and_saveexec_b64 s[4:5], vcc
	s_cbranch_execz .LBB111_267
; %bb.266:
	buffer_load_dword v99, off, s[0:3], 0 offset:136
	buffer_load_dword v100, off, s[0:3], 0 offset:140
	s_waitcnt vmcnt(0)
	ds_write_b64 v97, v[99:100]
	buffer_store_dword v98, off, s[0:3], 0 offset:136
	buffer_store_dword v98, off, s[0:3], 0 offset:140
.LBB111_267:
	s_or_b64 exec, exec, s[4:5]
	s_waitcnt lgkmcnt(0)
	; wave barrier
	buffer_load_dword v159, off, s[0:3], 0 offset:148
	buffer_load_dword v160, off, s[0:3], 0 offset:156
	;; [unrolled: 1-line block ×32, first 2 shown]
	ds_read_b128 v[99:102], v98 offset:528
	ds_read_b128 v[103:106], v98 offset:544
	;; [unrolled: 1-line block ×4, first 2 shown]
	buffer_load_dword v191, off, s[0:3], 0 offset:268
	buffer_load_dword v192, off, s[0:3], 0 offset:264
	;; [unrolled: 1-line block ×30, first 2 shown]
	v_cmp_lt_u32_e32 vcc, 16, v0
	s_waitcnt vmcnt(61) lgkmcnt(3)
	v_mul_f32_e32 v115, v99, v159
	s_waitcnt vmcnt(60)
	v_mul_f32_e32 v116, v101, v160
	s_waitcnt vmcnt(59) lgkmcnt(2)
	v_mul_f32_e32 v117, v103, v161
	s_waitcnt vmcnt(58)
	v_mul_f32_e32 v118, v105, v162
	;; [unrolled: 4-line block ×3, first 2 shown]
	s_waitcnt vmcnt(55) lgkmcnt(0)
	v_mul_f32_e32 v121, v111, v165
	s_waitcnt vmcnt(54)
	v_fmac_f32_e32 v115, v100, v166
	s_waitcnt vmcnt(53)
	v_fmac_f32_e32 v116, v102, v167
	v_add_f32_e32 v115, 0, v115
	s_waitcnt vmcnt(52)
	v_fmac_f32_e32 v117, v104, v168
	v_add_f32_e32 v115, v115, v116
	s_waitcnt vmcnt(51)
	v_fmac_f32_e32 v118, v106, v169
	v_add_f32_e32 v115, v115, v117
	s_waitcnt vmcnt(50)
	v_fmac_f32_e32 v119, v108, v170
	v_add_f32_e32 v115, v115, v118
	s_waitcnt vmcnt(49)
	v_fmac_f32_e32 v120, v110, v171
	v_add_f32_e32 v115, v115, v119
	s_waitcnt vmcnt(48)
	v_fmac_f32_e32 v121, v112, v172
	v_add_f32_e32 v115, v115, v120
	v_add_f32_e32 v119, v115, v121
	ds_read_b128 v[115:118], v98 offset:592
	s_waitcnt vmcnt(47)
	v_mul_f32_e32 v120, v113, v173
	s_waitcnt vmcnt(46)
	v_fmac_f32_e32 v120, v114, v174
	v_mul_f32_e32 v100, v100, v159
	v_add_f32_e32 v123, v119, v120
	ds_read_b128 v[119:122], v98 offset:608
	v_fma_f32 v99, v99, v166, -v100
	v_mul_f32_e32 v100, v102, v160
	s_waitcnt vmcnt(45) lgkmcnt(1)
	v_mul_f32_e32 v124, v115, v175
	v_add_f32_e32 v99, 0, v99
	v_fma_f32 v100, v101, v167, -v100
	s_waitcnt vmcnt(44)
	v_fmac_f32_e32 v124, v116, v176
	v_add_f32_e32 v99, v99, v100
	v_mul_f32_e32 v100, v104, v161
	v_add_f32_e32 v123, v123, v124
	s_waitcnt vmcnt(43)
	v_mul_f32_e32 v124, v117, v177
	v_fma_f32 v100, v103, v168, -v100
	s_waitcnt vmcnt(42)
	v_fmac_f32_e32 v124, v118, v178
	v_add_f32_e32 v99, v99, v100
	v_mul_f32_e32 v100, v106, v162
	v_add_f32_e32 v123, v123, v124
	s_waitcnt vmcnt(41) lgkmcnt(0)
	v_mul_f32_e32 v124, v119, v179
	v_fma_f32 v100, v105, v169, -v100
	s_waitcnt vmcnt(40)
	v_fmac_f32_e32 v124, v120, v180
	v_add_f32_e32 v99, v99, v100
	v_mul_f32_e32 v100, v108, v163
	v_add_f32_e32 v127, v123, v124
	ds_read_b128 v[123:126], v98 offset:624
	v_fma_f32 v100, v107, v170, -v100
	v_add_f32_e32 v99, v99, v100
	v_mul_f32_e32 v100, v110, v164
	s_waitcnt vmcnt(39)
	v_mul_f32_e32 v128, v121, v181
	v_fma_f32 v100, v109, v171, -v100
	s_waitcnt vmcnt(38)
	v_fmac_f32_e32 v128, v122, v182
	v_add_f32_e32 v99, v99, v100
	v_mul_f32_e32 v100, v112, v165
	v_add_f32_e32 v131, v127, v128
	ds_read_b128 v[127:130], v98 offset:640
	v_fma_f32 v100, v111, v172, -v100
	s_waitcnt vmcnt(35) lgkmcnt(1)
	v_mul_f32_e32 v132, v123, v185
	v_add_f32_e32 v99, v99, v100
	v_mul_f32_e32 v100, v114, v173
	s_waitcnt vmcnt(34)
	v_fmac_f32_e32 v132, v124, v186
	v_fma_f32 v100, v113, v174, -v100
	v_add_f32_e32 v131, v131, v132
	s_waitcnt vmcnt(32)
	v_mul_f32_e32 v132, v125, v188
	v_add_f32_e32 v99, v99, v100
	v_mul_f32_e32 v100, v116, v175
	v_fmac_f32_e32 v132, v126, v187
	v_fma_f32 v100, v115, v176, -v100
	v_add_f32_e32 v131, v131, v132
	s_waitcnt vmcnt(30) lgkmcnt(0)
	v_mul_f32_e32 v132, v127, v190
	v_add_f32_e32 v99, v99, v100
	v_mul_f32_e32 v100, v118, v177
	v_fmac_f32_e32 v132, v128, v189
	v_fma_f32 v100, v117, v178, -v100
	v_add_f32_e32 v135, v131, v132
	ds_read_b128 v[131:134], v98 offset:656
	v_add_f32_e32 v99, v99, v100
	v_mul_f32_e32 v100, v120, v179
	v_fma_f32 v100, v119, v180, -v100
	s_waitcnt vmcnt(29)
	v_mul_f32_e32 v136, v129, v191
	v_add_f32_e32 v99, v99, v100
	v_mul_f32_e32 v100, v122, v181
	s_waitcnt vmcnt(28)
	v_fmac_f32_e32 v136, v130, v192
	v_fma_f32 v100, v121, v182, -v100
	v_add_f32_e32 v139, v135, v136
	ds_read_b128 v[135:138], v98 offset:672
	v_add_f32_e32 v99, v99, v100
	v_mul_f32_e32 v100, v124, v185
	s_waitcnt vmcnt(26) lgkmcnt(1)
	v_mul_f32_e32 v140, v131, v194
	v_fma_f32 v100, v123, v186, -v100
	v_fmac_f32_e32 v140, v132, v193
	v_add_f32_e32 v99, v99, v100
	v_mul_f32_e32 v100, v126, v188
	v_add_f32_e32 v139, v139, v140
	s_waitcnt vmcnt(24)
	v_mul_f32_e32 v140, v133, v196
	v_fma_f32 v100, v125, v187, -v100
	v_fmac_f32_e32 v140, v134, v195
	v_add_f32_e32 v99, v99, v100
	v_mul_f32_e32 v100, v128, v190
	v_add_f32_e32 v139, v139, v140
	s_waitcnt vmcnt(22) lgkmcnt(0)
	v_mul_f32_e32 v140, v135, v198
	v_fma_f32 v100, v127, v189, -v100
	v_fmac_f32_e32 v140, v136, v197
	v_add_f32_e32 v99, v99, v100
	v_mul_f32_e32 v100, v130, v191
	v_add_f32_e32 v143, v139, v140
	ds_read_b128 v[139:142], v98 offset:688
	v_fma_f32 v100, v129, v192, -v100
	v_add_f32_e32 v99, v99, v100
	v_mul_f32_e32 v100, v132, v194
	s_waitcnt vmcnt(20)
	v_mul_f32_e32 v144, v137, v200
	v_fma_f32 v100, v131, v193, -v100
	v_fmac_f32_e32 v144, v138, v199
	v_add_f32_e32 v99, v99, v100
	v_mul_f32_e32 v100, v134, v196
	v_add_f32_e32 v147, v143, v144
	ds_read_b128 v[143:146], v98 offset:704
	v_fma_f32 v100, v133, v195, -v100
	s_waitcnt vmcnt(18) lgkmcnt(1)
	v_mul_f32_e32 v148, v139, v202
	v_add_f32_e32 v99, v99, v100
	v_mul_f32_e32 v100, v136, v198
	v_fmac_f32_e32 v148, v140, v201
	v_fma_f32 v100, v135, v197, -v100
	v_add_f32_e32 v147, v147, v148
	s_waitcnt vmcnt(16)
	v_mul_f32_e32 v148, v141, v204
	v_add_f32_e32 v99, v99, v100
	v_mul_f32_e32 v100, v138, v200
	v_fmac_f32_e32 v148, v142, v203
	v_fma_f32 v100, v137, v199, -v100
	v_add_f32_e32 v147, v147, v148
	s_waitcnt vmcnt(14) lgkmcnt(0)
	v_mul_f32_e32 v148, v143, v206
	v_add_f32_e32 v99, v99, v100
	v_mul_f32_e32 v100, v140, v202
	v_fmac_f32_e32 v148, v144, v205
	v_fma_f32 v100, v139, v201, -v100
	v_add_f32_e32 v151, v147, v148
	ds_read_b128 v[147:150], v98 offset:720
	v_add_f32_e32 v99, v99, v100
	v_mul_f32_e32 v100, v142, v204
	v_fma_f32 v100, v141, v203, -v100
	v_add_f32_e32 v99, v99, v100
	v_mul_f32_e32 v100, v144, v206
	s_waitcnt vmcnt(12)
	v_mul_f32_e32 v152, v145, v208
	v_fma_f32 v100, v143, v205, -v100
	v_fmac_f32_e32 v152, v146, v207
	v_add_f32_e32 v99, v99, v100
	v_mul_f32_e32 v100, v146, v208
	v_add_f32_e32 v155, v151, v152
	ds_read_b128 v[151:154], v98 offset:736
	s_waitcnt vmcnt(10) lgkmcnt(1)
	v_mul_f32_e32 v156, v147, v210
	v_fma_f32 v100, v145, v207, -v100
	v_fmac_f32_e32 v156, v148, v209
	v_add_f32_e32 v99, v99, v100
	v_mul_f32_e32 v100, v148, v210
	v_add_f32_e32 v155, v155, v156
	s_waitcnt vmcnt(8)
	v_mul_f32_e32 v156, v149, v212
	v_fma_f32 v100, v147, v209, -v100
	v_fmac_f32_e32 v156, v150, v211
	v_add_f32_e32 v99, v99, v100
	v_mul_f32_e32 v100, v150, v212
	v_add_f32_e32 v221, v155, v156
	ds_read_b128 v[155:158], v98 offset:752
	v_fma_f32 v100, v149, v211, -v100
	v_add_f32_e32 v99, v99, v100
	s_waitcnt vmcnt(6) lgkmcnt(1)
	v_mul_f32_e32 v100, v152, v214
	v_mul_f32_e32 v222, v151, v214
	v_fma_f32 v100, v151, v213, -v100
	v_fmac_f32_e32 v222, v152, v213
	v_add_f32_e32 v99, v99, v100
	s_waitcnt vmcnt(4)
	v_mul_f32_e32 v100, v154, v216
	v_add_f32_e32 v98, v221, v222
	v_mul_f32_e32 v221, v153, v216
	v_fma_f32 v100, v153, v215, -v100
	v_fmac_f32_e32 v221, v154, v215
	v_add_f32_e32 v99, v99, v100
	s_waitcnt vmcnt(2) lgkmcnt(0)
	v_mul_f32_e32 v100, v156, v218
	v_add_f32_e32 v98, v98, v221
	v_mul_f32_e32 v221, v155, v218
	v_fma_f32 v100, v155, v217, -v100
	v_fmac_f32_e32 v221, v156, v217
	v_add_f32_e32 v99, v99, v100
	s_waitcnt vmcnt(0)
	v_mul_f32_e32 v100, v158, v220
	v_add_f32_e32 v98, v98, v221
	v_mul_f32_e32 v221, v157, v220
	v_fma_f32 v100, v157, v219, -v100
	v_fmac_f32_e32 v221, v158, v219
	v_add_f32_e32 v99, v99, v100
	v_add_f32_e32 v98, v98, v221
	v_sub_f32_e32 v99, v183, v99
	v_sub_f32_e32 v98, v184, v98
	buffer_store_dword v99, off, s[0:3], 0 offset:136
	buffer_store_dword v98, off, s[0:3], 0 offset:140
	s_and_saveexec_b64 s[4:5], vcc
	s_cbranch_execz .LBB111_269
; %bb.268:
	buffer_load_dword v98, off, s[0:3], 0 offset:128
	buffer_load_dword v99, off, s[0:3], 0 offset:132
	v_mov_b32_e32 v100, 0
	buffer_store_dword v100, off, s[0:3], 0 offset:128
	buffer_store_dword v100, off, s[0:3], 0 offset:132
	s_waitcnt vmcnt(2)
	ds_write_b64 v97, v[98:99]
.LBB111_269:
	s_or_b64 exec, exec, s[4:5]
	s_waitcnt lgkmcnt(0)
	; wave barrier
	buffer_load_dword v161, off, s[0:3], 0 offset:140
	buffer_load_dword v162, off, s[0:3], 0 offset:148
	;; [unrolled: 1-line block ×56, first 2 shown]
	v_mov_b32_e32 v98, 0
	ds_read2_b64 v[99:102], v98 offset0:65 offset1:66
	buffer_load_dword v217, off, s[0:3], 0 offset:352
	buffer_load_dword v218, off, s[0:3], 0 offset:356
	;; [unrolled: 1-line block ×4, first 2 shown]
	ds_read2_b64 v[103:106], v98 offset0:67 offset1:68
	ds_read2_b64 v[107:110], v98 offset0:69 offset1:70
	;; [unrolled: 1-line block ×3, first 2 shown]
	v_cmp_lt_u32_e32 vcc, 15, v0
	s_waitcnt vmcnt(59) lgkmcnt(3)
	v_mul_f32_e32 v115, v99, v161
	s_waitcnt vmcnt(58)
	v_mul_f32_e32 v116, v101, v162
	s_waitcnt vmcnt(57) lgkmcnt(2)
	v_mul_f32_e32 v117, v103, v163
	s_waitcnt vmcnt(56)
	v_mul_f32_e32 v118, v105, v164
	;; [unrolled: 4-line block ×4, first 2 shown]
	s_waitcnt vmcnt(51)
	v_fmac_f32_e32 v115, v100, v169
	s_waitcnt vmcnt(50)
	v_fmac_f32_e32 v116, v102, v170
	v_add_f32_e32 v115, 0, v115
	s_waitcnt vmcnt(49)
	v_fmac_f32_e32 v117, v104, v171
	v_add_f32_e32 v115, v115, v116
	;; [unrolled: 3-line block ×6, first 2 shown]
	v_add_f32_e32 v119, v115, v121
	ds_read2_b64 v[115:118], v98 offset0:73 offset1:74
	buffer_load_dword v221, off, s[0:3], 0 offset:372
	buffer_load_dword v222, off, s[0:3], 0 offset:368
	;; [unrolled: 1-line block ×4, first 2 shown]
	s_waitcnt vmcnt(48)
	v_fmac_f32_e32 v122, v114, v176
	v_add_f32_e32 v123, v119, v122
	ds_read2_b64 v[119:122], v98 offset0:75 offset1:76
	s_waitcnt vmcnt(47) lgkmcnt(1)
	v_mul_f32_e32 v124, v115, v177
	v_mul_f32_e32 v100, v100, v161
	s_waitcnt vmcnt(46)
	v_fmac_f32_e32 v124, v116, v178
	v_fma_f32 v99, v99, v169, -v100
	v_mul_f32_e32 v100, v102, v162
	v_add_f32_e32 v123, v123, v124
	s_waitcnt vmcnt(45)
	v_mul_f32_e32 v124, v117, v179
	v_add_f32_e32 v99, 0, v99
	v_fma_f32 v100, v101, v170, -v100
	s_waitcnt vmcnt(44)
	v_fmac_f32_e32 v124, v118, v180
	v_add_f32_e32 v99, v99, v100
	v_mul_f32_e32 v100, v104, v163
	v_add_f32_e32 v123, v123, v124
	s_waitcnt vmcnt(42) lgkmcnt(0)
	v_mul_f32_e32 v124, v119, v182
	v_fma_f32 v100, v103, v171, -v100
	v_fmac_f32_e32 v124, v120, v181
	v_add_f32_e32 v99, v99, v100
	v_mul_f32_e32 v100, v106, v164
	v_add_f32_e32 v127, v123, v124
	ds_read2_b64 v[123:126], v98 offset0:77 offset1:78
	v_fma_f32 v100, v105, v172, -v100
	v_add_f32_e32 v99, v99, v100
	v_mul_f32_e32 v100, v108, v165
	s_waitcnt vmcnt(39)
	v_mul_f32_e32 v128, v121, v185
	v_fma_f32 v100, v107, v173, -v100
	s_waitcnt vmcnt(38)
	v_fmac_f32_e32 v128, v122, v186
	v_add_f32_e32 v99, v99, v100
	v_mul_f32_e32 v100, v110, v166
	v_add_f32_e32 v131, v127, v128
	ds_read2_b64 v[127:130], v98 offset0:79 offset1:80
	v_fma_f32 v100, v109, v174, -v100
	s_waitcnt vmcnt(36) lgkmcnt(1)
	v_mul_f32_e32 v132, v123, v188
	v_add_f32_e32 v99, v99, v100
	v_mul_f32_e32 v100, v112, v167
	v_fmac_f32_e32 v132, v124, v187
	v_fma_f32 v100, v111, v175, -v100
	v_add_f32_e32 v131, v131, v132
	s_waitcnt vmcnt(34)
	v_mul_f32_e32 v132, v125, v190
	v_add_f32_e32 v99, v99, v100
	v_mul_f32_e32 v100, v114, v168
	v_fmac_f32_e32 v132, v126, v189
	v_fma_f32 v100, v113, v176, -v100
	v_add_f32_e32 v131, v131, v132
	s_waitcnt vmcnt(32) lgkmcnt(0)
	v_mul_f32_e32 v132, v127, v192
	v_add_f32_e32 v99, v99, v100
	v_mul_f32_e32 v100, v116, v177
	v_fmac_f32_e32 v132, v128, v191
	v_fma_f32 v100, v115, v178, -v100
	v_add_f32_e32 v135, v131, v132
	ds_read2_b64 v[131:134], v98 offset0:81 offset1:82
	v_add_f32_e32 v99, v99, v100
	v_mul_f32_e32 v100, v118, v179
	v_fma_f32 v100, v117, v180, -v100
	s_waitcnt vmcnt(30)
	v_mul_f32_e32 v136, v129, v194
	v_add_f32_e32 v99, v99, v100
	v_mul_f32_e32 v100, v120, v182
	v_fmac_f32_e32 v136, v130, v193
	v_fma_f32 v100, v119, v181, -v100
	v_add_f32_e32 v139, v135, v136
	ds_read2_b64 v[135:138], v98 offset0:83 offset1:84
	v_add_f32_e32 v99, v99, v100
	v_mul_f32_e32 v100, v122, v185
	s_waitcnt vmcnt(28) lgkmcnt(1)
	v_mul_f32_e32 v140, v131, v196
	v_fma_f32 v100, v121, v186, -v100
	v_fmac_f32_e32 v140, v132, v195
	v_add_f32_e32 v99, v99, v100
	v_mul_f32_e32 v100, v124, v188
	v_add_f32_e32 v139, v139, v140
	s_waitcnt vmcnt(26)
	v_mul_f32_e32 v140, v133, v198
	v_fma_f32 v100, v123, v187, -v100
	v_fmac_f32_e32 v140, v134, v197
	v_add_f32_e32 v99, v99, v100
	v_mul_f32_e32 v100, v126, v190
	v_add_f32_e32 v139, v139, v140
	s_waitcnt vmcnt(24) lgkmcnt(0)
	v_mul_f32_e32 v140, v135, v200
	v_fma_f32 v100, v125, v189, -v100
	v_fmac_f32_e32 v140, v136, v199
	v_add_f32_e32 v99, v99, v100
	v_mul_f32_e32 v100, v128, v192
	v_add_f32_e32 v143, v139, v140
	ds_read2_b64 v[139:142], v98 offset0:85 offset1:86
	v_fma_f32 v100, v127, v191, -v100
	v_add_f32_e32 v99, v99, v100
	v_mul_f32_e32 v100, v130, v194
	s_waitcnt vmcnt(22)
	v_mul_f32_e32 v144, v137, v202
	v_fma_f32 v100, v129, v193, -v100
	v_fmac_f32_e32 v144, v138, v201
	v_add_f32_e32 v99, v99, v100
	v_mul_f32_e32 v100, v132, v196
	v_add_f32_e32 v147, v143, v144
	ds_read2_b64 v[143:146], v98 offset0:87 offset1:88
	v_fma_f32 v100, v131, v195, -v100
	s_waitcnt vmcnt(20) lgkmcnt(1)
	v_mul_f32_e32 v148, v139, v204
	v_add_f32_e32 v99, v99, v100
	v_mul_f32_e32 v100, v134, v198
	v_fmac_f32_e32 v148, v140, v203
	v_fma_f32 v100, v133, v197, -v100
	v_add_f32_e32 v147, v147, v148
	s_waitcnt vmcnt(18)
	v_mul_f32_e32 v148, v141, v206
	v_add_f32_e32 v99, v99, v100
	v_mul_f32_e32 v100, v136, v200
	v_fmac_f32_e32 v148, v142, v205
	v_fma_f32 v100, v135, v199, -v100
	v_add_f32_e32 v147, v147, v148
	s_waitcnt vmcnt(16) lgkmcnt(0)
	v_mul_f32_e32 v148, v143, v208
	v_add_f32_e32 v99, v99, v100
	v_mul_f32_e32 v100, v138, v202
	v_fmac_f32_e32 v148, v144, v207
	v_fma_f32 v100, v137, v201, -v100
	v_add_f32_e32 v151, v147, v148
	ds_read2_b64 v[147:150], v98 offset0:89 offset1:90
	v_add_f32_e32 v99, v99, v100
	v_mul_f32_e32 v100, v140, v204
	v_fma_f32 v100, v139, v203, -v100
	s_waitcnt vmcnt(14)
	v_mul_f32_e32 v152, v145, v210
	v_add_f32_e32 v99, v99, v100
	v_mul_f32_e32 v100, v142, v206
	v_fmac_f32_e32 v152, v146, v209
	v_fma_f32 v100, v141, v205, -v100
	v_add_f32_e32 v155, v151, v152
	ds_read2_b64 v[151:154], v98 offset0:91 offset1:92
	v_add_f32_e32 v99, v99, v100
	v_mul_f32_e32 v100, v144, v208
	s_waitcnt vmcnt(12) lgkmcnt(1)
	v_mul_f32_e32 v156, v147, v212
	v_fma_f32 v100, v143, v207, -v100
	v_fmac_f32_e32 v156, v148, v211
	v_add_f32_e32 v99, v99, v100
	v_mul_f32_e32 v100, v146, v210
	v_add_f32_e32 v155, v155, v156
	s_waitcnt vmcnt(10)
	v_mul_f32_e32 v156, v149, v214
	v_fma_f32 v100, v145, v209, -v100
	v_fmac_f32_e32 v156, v150, v213
	v_add_f32_e32 v99, v99, v100
	v_mul_f32_e32 v100, v148, v212
	v_add_f32_e32 v155, v155, v156
	s_waitcnt vmcnt(8) lgkmcnt(0)
	v_mul_f32_e32 v156, v151, v216
	v_fma_f32 v100, v147, v211, -v100
	v_fmac_f32_e32 v156, v152, v215
	v_add_f32_e32 v99, v99, v100
	v_mul_f32_e32 v100, v150, v214
	v_add_f32_e32 v159, v155, v156
	ds_read2_b64 v[155:158], v98 offset0:93 offset1:94
	v_fma_f32 v100, v149, v213, -v100
	v_add_f32_e32 v99, v99, v100
	v_mul_f32_e32 v100, v152, v216
	s_waitcnt vmcnt(6)
	v_mul_f32_e32 v160, v153, v218
	v_fma_f32 v100, v151, v215, -v100
	v_fmac_f32_e32 v160, v154, v217
	v_add_f32_e32 v99, v99, v100
	v_mul_f32_e32 v100, v154, v218
	v_add_f32_e32 v225, v159, v160
	ds_read_b64 v[159:160], v98 offset:760
	v_fma_f32 v100, v153, v217, -v100
	v_add_f32_e32 v99, v99, v100
	s_waitcnt vmcnt(4) lgkmcnt(1)
	v_mul_f32_e32 v100, v156, v220
	v_mul_f32_e32 v226, v155, v220
	v_fma_f32 v100, v155, v219, -v100
	v_fmac_f32_e32 v226, v156, v219
	v_add_f32_e32 v99, v99, v100
	s_waitcnt vmcnt(3)
	v_mul_f32_e32 v100, v158, v221
	v_add_f32_e32 v225, v225, v226
	v_mul_f32_e32 v226, v157, v221
	s_waitcnt vmcnt(2)
	v_fma_f32 v100, v157, v222, -v100
	v_fmac_f32_e32 v226, v158, v222
	v_add_f32_e32 v99, v99, v100
	s_waitcnt vmcnt(0) lgkmcnt(0)
	v_mul_f32_e32 v100, v160, v224
	v_add_f32_e32 v225, v225, v226
	v_mul_f32_e32 v226, v159, v224
	v_fma_f32 v100, v159, v223, -v100
	v_fmac_f32_e32 v226, v160, v223
	v_add_f32_e32 v99, v99, v100
	v_add_f32_e32 v225, v225, v226
	v_sub_f32_e32 v99, v183, v99
	v_sub_f32_e32 v100, v184, v225
	buffer_store_dword v99, off, s[0:3], 0 offset:128
	buffer_store_dword v100, off, s[0:3], 0 offset:132
	s_and_saveexec_b64 s[4:5], vcc
	s_cbranch_execz .LBB111_271
; %bb.270:
	buffer_load_dword v99, off, s[0:3], 0 offset:120
	buffer_load_dword v100, off, s[0:3], 0 offset:124
	s_waitcnt vmcnt(0)
	ds_write_b64 v97, v[99:100]
	buffer_store_dword v98, off, s[0:3], 0 offset:120
	buffer_store_dword v98, off, s[0:3], 0 offset:124
.LBB111_271:
	s_or_b64 exec, exec, s[4:5]
	s_waitcnt lgkmcnt(0)
	; wave barrier
	buffer_load_dword v163, off, s[0:3], 0 offset:132
	buffer_load_dword v164, off, s[0:3], 0 offset:140
	;; [unrolled: 1-line block ×26, first 2 shown]
	ds_read_b128 v[99:102], v98 offset:512
	ds_read_b128 v[103:106], v98 offset:528
	;; [unrolled: 1-line block ×4, first 2 shown]
	buffer_load_dword v189, off, s[0:3], 0 offset:228
	buffer_load_dword v190, off, s[0:3], 0 offset:224
	;; [unrolled: 1-line block ×34, first 2 shown]
	v_cmp_lt_u32_e32 vcc, 14, v0
	s_waitcnt vmcnt(59) lgkmcnt(3)
	v_mul_f32_e32 v115, v99, v163
	s_waitcnt vmcnt(58)
	v_mul_f32_e32 v116, v101, v164
	s_waitcnt vmcnt(57) lgkmcnt(2)
	v_mul_f32_e32 v117, v103, v165
	s_waitcnt vmcnt(56)
	v_mul_f32_e32 v118, v105, v166
	;; [unrolled: 4-line block ×4, first 2 shown]
	s_waitcnt vmcnt(51)
	v_fmac_f32_e32 v115, v100, v171
	s_waitcnt vmcnt(50)
	v_fmac_f32_e32 v116, v102, v172
	v_add_f32_e32 v115, 0, v115
	s_waitcnt vmcnt(49)
	v_fmac_f32_e32 v117, v104, v173
	v_add_f32_e32 v115, v115, v116
	;; [unrolled: 3-line block ×7, first 2 shown]
	v_add_f32_e32 v123, v115, v122
	ds_read_b128 v[115:118], v98 offset:576
	buffer_load_dword v223, off, s[0:3], 0 offset:364
	buffer_load_dword v224, off, s[0:3], 0 offset:360
	;; [unrolled: 1-line block ×4, first 2 shown]
	ds_read_b128 v[119:122], v98 offset:592
	buffer_load_dword v227, off, s[0:3], 0 offset:376
	buffer_load_dword v228, off, s[0:3], 0 offset:380
	v_mul_f32_e32 v100, v100, v163
	s_waitcnt vmcnt(49) lgkmcnt(1)
	v_mul_f32_e32 v124, v115, v179
	s_waitcnt vmcnt(48)
	v_fmac_f32_e32 v124, v116, v180
	v_fma_f32 v99, v99, v171, -v100
	v_mul_f32_e32 v100, v102, v164
	v_add_f32_e32 v123, v123, v124
	s_waitcnt vmcnt(46)
	v_mul_f32_e32 v124, v117, v182
	v_add_f32_e32 v99, 0, v99
	v_fma_f32 v100, v101, v172, -v100
	v_fmac_f32_e32 v124, v118, v181
	v_add_f32_e32 v99, v99, v100
	v_mul_f32_e32 v100, v104, v165
	v_add_f32_e32 v123, v123, v124
	s_waitcnt vmcnt(43) lgkmcnt(0)
	v_mul_f32_e32 v124, v119, v185
	v_fma_f32 v100, v103, v173, -v100
	s_waitcnt vmcnt(42)
	v_fmac_f32_e32 v124, v120, v186
	v_add_f32_e32 v99, v99, v100
	v_mul_f32_e32 v100, v106, v166
	v_add_f32_e32 v127, v123, v124
	ds_read_b128 v[123:126], v98 offset:608
	v_fma_f32 v100, v105, v174, -v100
	v_add_f32_e32 v99, v99, v100
	v_mul_f32_e32 v100, v108, v167
	s_waitcnt vmcnt(40)
	v_mul_f32_e32 v128, v121, v188
	v_fma_f32 v100, v107, v175, -v100
	v_fmac_f32_e32 v128, v122, v187
	v_add_f32_e32 v99, v99, v100
	v_mul_f32_e32 v100, v110, v168
	v_add_f32_e32 v131, v127, v128
	ds_read_b128 v[127:130], v98 offset:624
	v_fma_f32 v100, v109, v176, -v100
	s_waitcnt vmcnt(39) lgkmcnt(1)
	v_mul_f32_e32 v132, v123, v189
	v_add_f32_e32 v99, v99, v100
	v_mul_f32_e32 v100, v112, v169
	s_waitcnt vmcnt(38)
	v_fmac_f32_e32 v132, v124, v190
	v_fma_f32 v100, v111, v177, -v100
	v_add_f32_e32 v131, v131, v132
	s_waitcnt vmcnt(36)
	v_mul_f32_e32 v132, v125, v192
	v_add_f32_e32 v99, v99, v100
	v_mul_f32_e32 v100, v114, v170
	v_fmac_f32_e32 v132, v126, v191
	v_fma_f32 v100, v113, v178, -v100
	v_add_f32_e32 v131, v131, v132
	s_waitcnt vmcnt(34) lgkmcnt(0)
	v_mul_f32_e32 v132, v127, v194
	v_add_f32_e32 v99, v99, v100
	v_mul_f32_e32 v100, v116, v179
	v_fmac_f32_e32 v132, v128, v193
	v_fma_f32 v100, v115, v180, -v100
	v_add_f32_e32 v135, v131, v132
	ds_read_b128 v[131:134], v98 offset:640
	v_add_f32_e32 v99, v99, v100
	v_mul_f32_e32 v100, v118, v182
	v_fma_f32 v100, v117, v181, -v100
	s_waitcnt vmcnt(32)
	v_mul_f32_e32 v136, v129, v196
	v_add_f32_e32 v99, v99, v100
	v_mul_f32_e32 v100, v120, v185
	v_fmac_f32_e32 v136, v130, v195
	v_fma_f32 v100, v119, v186, -v100
	v_add_f32_e32 v139, v135, v136
	ds_read_b128 v[135:138], v98 offset:656
	v_add_f32_e32 v99, v99, v100
	v_mul_f32_e32 v100, v122, v188
	s_waitcnt vmcnt(30) lgkmcnt(1)
	v_mul_f32_e32 v140, v131, v198
	v_fma_f32 v100, v121, v187, -v100
	v_fmac_f32_e32 v140, v132, v197
	v_add_f32_e32 v99, v99, v100
	v_mul_f32_e32 v100, v124, v189
	v_add_f32_e32 v139, v139, v140
	s_waitcnt vmcnt(28)
	v_mul_f32_e32 v140, v133, v200
	v_fma_f32 v100, v123, v190, -v100
	v_fmac_f32_e32 v140, v134, v199
	v_add_f32_e32 v99, v99, v100
	v_mul_f32_e32 v100, v126, v192
	v_add_f32_e32 v139, v139, v140
	s_waitcnt vmcnt(26) lgkmcnt(0)
	v_mul_f32_e32 v140, v135, v202
	v_fma_f32 v100, v125, v191, -v100
	v_fmac_f32_e32 v140, v136, v201
	v_add_f32_e32 v99, v99, v100
	v_mul_f32_e32 v100, v128, v194
	v_add_f32_e32 v143, v139, v140
	ds_read_b128 v[139:142], v98 offset:672
	v_fma_f32 v100, v127, v193, -v100
	v_add_f32_e32 v99, v99, v100
	v_mul_f32_e32 v100, v130, v196
	s_waitcnt vmcnt(24)
	v_mul_f32_e32 v144, v137, v204
	v_fma_f32 v100, v129, v195, -v100
	v_fmac_f32_e32 v144, v138, v203
	v_add_f32_e32 v99, v99, v100
	v_mul_f32_e32 v100, v132, v198
	v_add_f32_e32 v147, v143, v144
	ds_read_b128 v[143:146], v98 offset:688
	v_fma_f32 v100, v131, v197, -v100
	s_waitcnt vmcnt(22) lgkmcnt(1)
	v_mul_f32_e32 v148, v139, v206
	v_add_f32_e32 v99, v99, v100
	v_mul_f32_e32 v100, v134, v200
	v_fmac_f32_e32 v148, v140, v205
	v_fma_f32 v100, v133, v199, -v100
	v_add_f32_e32 v147, v147, v148
	s_waitcnt vmcnt(20)
	v_mul_f32_e32 v148, v141, v208
	v_add_f32_e32 v99, v99, v100
	v_mul_f32_e32 v100, v136, v202
	v_fmac_f32_e32 v148, v142, v207
	v_fma_f32 v100, v135, v201, -v100
	v_add_f32_e32 v147, v147, v148
	s_waitcnt vmcnt(18) lgkmcnt(0)
	v_mul_f32_e32 v148, v143, v210
	v_add_f32_e32 v99, v99, v100
	v_mul_f32_e32 v100, v138, v204
	v_fmac_f32_e32 v148, v144, v209
	v_fma_f32 v100, v137, v203, -v100
	v_add_f32_e32 v151, v147, v148
	ds_read_b128 v[147:150], v98 offset:704
	v_add_f32_e32 v99, v99, v100
	v_mul_f32_e32 v100, v140, v206
	v_fma_f32 v100, v139, v205, -v100
	s_waitcnt vmcnt(16)
	v_mul_f32_e32 v152, v145, v212
	v_add_f32_e32 v99, v99, v100
	v_mul_f32_e32 v100, v142, v208
	v_fmac_f32_e32 v152, v146, v211
	v_fma_f32 v100, v141, v207, -v100
	v_add_f32_e32 v155, v151, v152
	ds_read_b128 v[151:154], v98 offset:720
	v_add_f32_e32 v99, v99, v100
	v_mul_f32_e32 v100, v144, v210
	s_waitcnt vmcnt(14) lgkmcnt(1)
	v_mul_f32_e32 v156, v147, v214
	v_fma_f32 v100, v143, v209, -v100
	v_fmac_f32_e32 v156, v148, v213
	v_add_f32_e32 v99, v99, v100
	v_mul_f32_e32 v100, v146, v212
	v_add_f32_e32 v155, v155, v156
	s_waitcnt vmcnt(12)
	v_mul_f32_e32 v156, v149, v216
	v_fma_f32 v100, v145, v211, -v100
	v_fmac_f32_e32 v156, v150, v215
	v_add_f32_e32 v99, v99, v100
	v_mul_f32_e32 v100, v148, v214
	v_add_f32_e32 v155, v155, v156
	s_waitcnt vmcnt(10) lgkmcnt(0)
	v_mul_f32_e32 v156, v151, v218
	v_fma_f32 v100, v147, v213, -v100
	v_fmac_f32_e32 v156, v152, v217
	v_add_f32_e32 v99, v99, v100
	v_mul_f32_e32 v100, v150, v216
	v_add_f32_e32 v159, v155, v156
	ds_read_b128 v[155:158], v98 offset:736
	v_fma_f32 v100, v149, v215, -v100
	v_add_f32_e32 v99, v99, v100
	v_mul_f32_e32 v100, v152, v218
	s_waitcnt vmcnt(8)
	v_mul_f32_e32 v160, v153, v220
	v_fma_f32 v100, v151, v217, -v100
	v_fmac_f32_e32 v160, v154, v219
	v_add_f32_e32 v99, v99, v100
	v_mul_f32_e32 v100, v154, v220
	v_add_f32_e32 v229, v159, v160
	ds_read_b128 v[159:162], v98 offset:752
	v_fma_f32 v100, v153, v219, -v100
	v_add_f32_e32 v99, v99, v100
	s_waitcnt vmcnt(6) lgkmcnt(1)
	v_mul_f32_e32 v100, v156, v222
	v_mul_f32_e32 v98, v155, v222
	v_fma_f32 v100, v155, v221, -v100
	v_fmac_f32_e32 v98, v156, v221
	v_add_f32_e32 v99, v99, v100
	s_waitcnt vmcnt(5)
	v_mul_f32_e32 v100, v158, v223
	v_add_f32_e32 v98, v229, v98
	v_mul_f32_e32 v229, v157, v223
	s_waitcnt vmcnt(4)
	v_fma_f32 v100, v157, v224, -v100
	v_fmac_f32_e32 v229, v158, v224
	v_add_f32_e32 v99, v99, v100
	s_waitcnt vmcnt(2) lgkmcnt(0)
	v_mul_f32_e32 v100, v160, v226
	v_add_f32_e32 v98, v98, v229
	v_mul_f32_e32 v229, v159, v226
	v_fma_f32 v100, v159, v225, -v100
	v_fmac_f32_e32 v229, v160, v225
	v_add_f32_e32 v99, v99, v100
	s_waitcnt vmcnt(0)
	v_mul_f32_e32 v100, v162, v228
	v_add_f32_e32 v98, v98, v229
	v_mul_f32_e32 v229, v161, v228
	v_fma_f32 v100, v161, v227, -v100
	v_fmac_f32_e32 v229, v162, v227
	v_add_f32_e32 v99, v99, v100
	v_add_f32_e32 v98, v98, v229
	v_sub_f32_e32 v99, v183, v99
	v_sub_f32_e32 v98, v184, v98
	buffer_store_dword v99, off, s[0:3], 0 offset:120
	buffer_store_dword v98, off, s[0:3], 0 offset:124
	s_and_saveexec_b64 s[4:5], vcc
	s_cbranch_execz .LBB111_273
; %bb.272:
	buffer_load_dword v98, off, s[0:3], 0 offset:112
	buffer_load_dword v99, off, s[0:3], 0 offset:116
	v_mov_b32_e32 v100, 0
	buffer_store_dword v100, off, s[0:3], 0 offset:112
	buffer_store_dword v100, off, s[0:3], 0 offset:116
	s_waitcnt vmcnt(2)
	ds_write_b64 v97, v[98:99]
.LBB111_273:
	s_or_b64 exec, exec, s[4:5]
	s_waitcnt lgkmcnt(0)
	; wave barrier
	buffer_load_dword v165, off, s[0:3], 0 offset:124
	buffer_load_dword v166, off, s[0:3], 0 offset:132
	;; [unrolled: 1-line block ×58, first 2 shown]
	v_mov_b32_e32 v98, 0
	ds_read2_b64 v[99:102], v98 offset0:63 offset1:64
	ds_read2_b64 v[103:106], v98 offset0:65 offset1:66
	;; [unrolled: 1-line block ×5, first 2 shown]
	buffer_load_dword v223, off, s[0:3], 0 offset:344
	buffer_load_dword v224, off, s[0:3], 0 offset:348
	v_cmp_lt_u32_e32 vcc, 13, v0
	s_waitcnt vmcnt(59) lgkmcnt(4)
	v_mul_f32_e32 v119, v99, v165
	s_waitcnt vmcnt(58)
	v_mul_f32_e32 v120, v101, v166
	s_waitcnt vmcnt(57) lgkmcnt(3)
	v_mul_f32_e32 v121, v103, v167
	s_waitcnt vmcnt(56)
	v_mul_f32_e32 v122, v105, v168
	;; [unrolled: 4-line block ×4, first 2 shown]
	s_waitcnt vmcnt(51)
	v_fmac_f32_e32 v119, v100, v173
	s_waitcnt vmcnt(50)
	v_fmac_f32_e32 v120, v102, v174
	v_add_f32_e32 v119, 0, v119
	s_waitcnt vmcnt(49)
	v_fmac_f32_e32 v121, v104, v175
	v_add_f32_e32 v119, v119, v120
	;; [unrolled: 3-line block ×7, first 2 shown]
	v_add_f32_e32 v123, v119, v126
	ds_read2_b64 v[119:122], v98 offset0:73 offset1:74
	buffer_load_dword v225, off, s[0:3], 0 offset:356
	buffer_load_dword v226, off, s[0:3], 0 offset:352
	;; [unrolled: 1-line block ×8, first 2 shown]
	s_waitcnt vmcnt(51) lgkmcnt(1)
	v_mul_f32_e32 v124, v115, v181
	s_waitcnt vmcnt(50)
	v_fmac_f32_e32 v124, v116, v182
	v_mul_f32_e32 v100, v100, v165
	v_add_f32_e32 v123, v123, v124
	s_waitcnt vmcnt(49)
	v_mul_f32_e32 v124, v117, v183
	v_fma_f32 v99, v99, v173, -v100
	v_mul_f32_e32 v100, v102, v166
	s_waitcnt vmcnt(46)
	v_fmac_f32_e32 v124, v118, v186
	v_add_f32_e32 v99, 0, v99
	v_fma_f32 v100, v101, v174, -v100
	v_add_f32_e32 v123, v123, v124
	s_waitcnt vmcnt(44) lgkmcnt(0)
	v_mul_f32_e32 v124, v119, v188
	v_add_f32_e32 v99, v99, v100
	v_mul_f32_e32 v100, v104, v167
	v_fmac_f32_e32 v124, v120, v187
	v_fma_f32 v100, v103, v175, -v100
	v_add_f32_e32 v127, v123, v124
	ds_read2_b64 v[123:126], v98 offset0:75 offset1:76
	v_add_f32_e32 v99, v99, v100
	v_mul_f32_e32 v100, v106, v168
	v_fma_f32 v100, v105, v176, -v100
	s_waitcnt vmcnt(42)
	v_mul_f32_e32 v128, v121, v190
	v_add_f32_e32 v99, v99, v100
	v_mul_f32_e32 v100, v108, v169
	v_fmac_f32_e32 v128, v122, v189
	v_fma_f32 v100, v107, v177, -v100
	v_add_f32_e32 v131, v127, v128
	ds_read2_b64 v[127:130], v98 offset0:77 offset1:78
	v_add_f32_e32 v99, v99, v100
	v_mul_f32_e32 v100, v110, v170
	s_waitcnt vmcnt(40) lgkmcnt(1)
	v_mul_f32_e32 v132, v123, v192
	v_fma_f32 v100, v109, v178, -v100
	v_fmac_f32_e32 v132, v124, v191
	v_add_f32_e32 v99, v99, v100
	v_mul_f32_e32 v100, v112, v171
	v_add_f32_e32 v131, v131, v132
	s_waitcnt vmcnt(38)
	v_mul_f32_e32 v132, v125, v194
	v_fma_f32 v100, v111, v179, -v100
	v_fmac_f32_e32 v132, v126, v193
	v_add_f32_e32 v99, v99, v100
	v_mul_f32_e32 v100, v114, v172
	v_add_f32_e32 v131, v131, v132
	s_waitcnt vmcnt(36) lgkmcnt(0)
	v_mul_f32_e32 v132, v127, v196
	v_fma_f32 v100, v113, v180, -v100
	v_fmac_f32_e32 v132, v128, v195
	v_add_f32_e32 v99, v99, v100
	v_mul_f32_e32 v100, v116, v181
	v_add_f32_e32 v135, v131, v132
	ds_read2_b64 v[131:134], v98 offset0:79 offset1:80
	v_fma_f32 v100, v115, v182, -v100
	v_add_f32_e32 v99, v99, v100
	v_mul_f32_e32 v100, v118, v183
	s_waitcnt vmcnt(34)
	v_mul_f32_e32 v136, v129, v198
	v_fma_f32 v100, v117, v186, -v100
	v_fmac_f32_e32 v136, v130, v197
	v_add_f32_e32 v99, v99, v100
	v_mul_f32_e32 v100, v120, v188
	v_add_f32_e32 v139, v135, v136
	ds_read2_b64 v[135:138], v98 offset0:81 offset1:82
	v_fma_f32 v100, v119, v187, -v100
	s_waitcnt vmcnt(32) lgkmcnt(1)
	v_mul_f32_e32 v140, v131, v200
	v_add_f32_e32 v99, v99, v100
	v_mul_f32_e32 v100, v122, v190
	v_fmac_f32_e32 v140, v132, v199
	v_fma_f32 v100, v121, v189, -v100
	v_add_f32_e32 v139, v139, v140
	s_waitcnt vmcnt(30)
	v_mul_f32_e32 v140, v133, v202
	v_add_f32_e32 v99, v99, v100
	v_mul_f32_e32 v100, v124, v192
	v_fmac_f32_e32 v140, v134, v201
	v_fma_f32 v100, v123, v191, -v100
	v_add_f32_e32 v139, v139, v140
	s_waitcnt vmcnt(28) lgkmcnt(0)
	v_mul_f32_e32 v140, v135, v204
	v_add_f32_e32 v99, v99, v100
	v_mul_f32_e32 v100, v126, v194
	v_fmac_f32_e32 v140, v136, v203
	v_fma_f32 v100, v125, v193, -v100
	v_add_f32_e32 v143, v139, v140
	ds_read2_b64 v[139:142], v98 offset0:83 offset1:84
	v_add_f32_e32 v99, v99, v100
	v_mul_f32_e32 v100, v128, v196
	v_fma_f32 v100, v127, v195, -v100
	s_waitcnt vmcnt(26)
	v_mul_f32_e32 v144, v137, v206
	v_add_f32_e32 v99, v99, v100
	v_mul_f32_e32 v100, v130, v198
	v_fmac_f32_e32 v144, v138, v205
	v_fma_f32 v100, v129, v197, -v100
	v_add_f32_e32 v147, v143, v144
	ds_read2_b64 v[143:146], v98 offset0:85 offset1:86
	v_add_f32_e32 v99, v99, v100
	v_mul_f32_e32 v100, v132, v200
	s_waitcnt vmcnt(24) lgkmcnt(1)
	v_mul_f32_e32 v148, v139, v208
	v_fma_f32 v100, v131, v199, -v100
	v_fmac_f32_e32 v148, v140, v207
	v_add_f32_e32 v99, v99, v100
	v_mul_f32_e32 v100, v134, v202
	v_add_f32_e32 v147, v147, v148
	s_waitcnt vmcnt(22)
	v_mul_f32_e32 v148, v141, v210
	v_fma_f32 v100, v133, v201, -v100
	v_fmac_f32_e32 v148, v142, v209
	v_add_f32_e32 v99, v99, v100
	v_mul_f32_e32 v100, v136, v204
	v_add_f32_e32 v147, v147, v148
	s_waitcnt vmcnt(20) lgkmcnt(0)
	v_mul_f32_e32 v148, v143, v212
	v_fma_f32 v100, v135, v203, -v100
	v_fmac_f32_e32 v148, v144, v211
	v_add_f32_e32 v99, v99, v100
	v_mul_f32_e32 v100, v138, v206
	v_add_f32_e32 v151, v147, v148
	ds_read2_b64 v[147:150], v98 offset0:87 offset1:88
	v_fma_f32 v100, v137, v205, -v100
	v_add_f32_e32 v99, v99, v100
	v_mul_f32_e32 v100, v140, v208
	s_waitcnt vmcnt(18)
	v_mul_f32_e32 v152, v145, v214
	v_fma_f32 v100, v139, v207, -v100
	v_fmac_f32_e32 v152, v146, v213
	v_add_f32_e32 v99, v99, v100
	v_mul_f32_e32 v100, v142, v210
	v_add_f32_e32 v155, v151, v152
	ds_read2_b64 v[151:154], v98 offset0:89 offset1:90
	v_fma_f32 v100, v141, v209, -v100
	s_waitcnt vmcnt(16) lgkmcnt(1)
	v_mul_f32_e32 v156, v147, v216
	v_add_f32_e32 v99, v99, v100
	v_mul_f32_e32 v100, v144, v212
	v_fmac_f32_e32 v156, v148, v215
	v_fma_f32 v100, v143, v211, -v100
	v_add_f32_e32 v155, v155, v156
	s_waitcnt vmcnt(14)
	v_mul_f32_e32 v156, v149, v218
	v_add_f32_e32 v99, v99, v100
	v_mul_f32_e32 v100, v146, v214
	v_fmac_f32_e32 v156, v150, v217
	v_fma_f32 v100, v145, v213, -v100
	v_add_f32_e32 v155, v155, v156
	s_waitcnt vmcnt(12) lgkmcnt(0)
	v_mul_f32_e32 v156, v151, v220
	v_add_f32_e32 v99, v99, v100
	v_mul_f32_e32 v100, v148, v216
	v_fmac_f32_e32 v156, v152, v219
	v_fma_f32 v100, v147, v215, -v100
	v_add_f32_e32 v159, v155, v156
	ds_read2_b64 v[155:158], v98 offset0:91 offset1:92
	v_add_f32_e32 v99, v99, v100
	v_mul_f32_e32 v100, v150, v218
	v_fma_f32 v100, v149, v217, -v100
	v_add_f32_e32 v99, v99, v100
	v_mul_f32_e32 v100, v152, v220
	s_waitcnt vmcnt(10)
	v_mul_f32_e32 v160, v153, v222
	v_fma_f32 v100, v151, v219, -v100
	v_fmac_f32_e32 v160, v154, v221
	v_add_f32_e32 v99, v99, v100
	v_mul_f32_e32 v100, v154, v222
	v_add_f32_e32 v163, v159, v160
	ds_read2_b64 v[159:162], v98 offset0:93 offset1:94
	s_waitcnt vmcnt(8) lgkmcnt(1)
	v_mul_f32_e32 v164, v155, v224
	v_fma_f32 v100, v153, v221, -v100
	v_fmac_f32_e32 v164, v156, v223
	v_add_f32_e32 v99, v99, v100
	v_mul_f32_e32 v100, v156, v224
	v_add_f32_e32 v163, v163, v164
	s_waitcnt vmcnt(7)
	v_mul_f32_e32 v164, v157, v225
	v_fma_f32 v100, v155, v223, -v100
	s_waitcnt vmcnt(6)
	v_fmac_f32_e32 v164, v158, v226
	v_add_f32_e32 v99, v99, v100
	v_mul_f32_e32 v100, v158, v225
	v_add_f32_e32 v233, v163, v164
	ds_read_b64 v[163:164], v98 offset:760
	v_fma_f32 v100, v157, v226, -v100
	v_add_f32_e32 v99, v99, v100
	s_waitcnt vmcnt(4) lgkmcnt(1)
	v_mul_f32_e32 v100, v160, v228
	v_mul_f32_e32 v234, v159, v228
	v_fma_f32 v100, v159, v227, -v100
	v_fmac_f32_e32 v234, v160, v227
	v_add_f32_e32 v99, v99, v100
	s_waitcnt vmcnt(3)
	v_mul_f32_e32 v100, v162, v229
	v_add_f32_e32 v233, v233, v234
	v_mul_f32_e32 v234, v161, v229
	s_waitcnt vmcnt(2)
	v_fma_f32 v100, v161, v230, -v100
	v_fmac_f32_e32 v234, v162, v230
	v_add_f32_e32 v99, v99, v100
	s_waitcnt vmcnt(0) lgkmcnt(0)
	v_mul_f32_e32 v100, v164, v232
	v_add_f32_e32 v233, v233, v234
	v_mul_f32_e32 v234, v163, v232
	v_fma_f32 v100, v163, v231, -v100
	v_fmac_f32_e32 v234, v164, v231
	v_add_f32_e32 v99, v99, v100
	v_add_f32_e32 v233, v233, v234
	v_sub_f32_e32 v99, v184, v99
	v_sub_f32_e32 v100, v185, v233
	buffer_store_dword v99, off, s[0:3], 0 offset:112
	buffer_store_dword v100, off, s[0:3], 0 offset:116
	s_and_saveexec_b64 s[4:5], vcc
	s_cbranch_execz .LBB111_275
; %bb.274:
	buffer_load_dword v99, off, s[0:3], 0 offset:104
	buffer_load_dword v100, off, s[0:3], 0 offset:108
	s_waitcnt vmcnt(0)
	ds_write_b64 v97, v[99:100]
	buffer_store_dword v98, off, s[0:3], 0 offset:104
	buffer_store_dword v98, off, s[0:3], 0 offset:108
.LBB111_275:
	s_or_b64 exec, exec, s[4:5]
	s_waitcnt lgkmcnt(0)
	; wave barrier
	buffer_load_dword v167, off, s[0:3], 0 offset:116
	buffer_load_dword v168, off, s[0:3], 0 offset:124
	;; [unrolled: 1-line block ×24, first 2 shown]
	ds_read_b128 v[99:102], v98 offset:496
	ds_read_b128 v[103:106], v98 offset:512
	;; [unrolled: 1-line block ×6, first 2 shown]
	buffer_load_dword v191, off, s[0:3], 0 offset:204
	buffer_load_dword v192, off, s[0:3], 0 offset:200
	;; [unrolled: 1-line block ×46, first 2 shown]
	v_cmp_lt_u32_e32 vcc, 12, v0
	s_waitcnt vmcnt(62) lgkmcnt(5)
	v_mul_f32_e32 v123, v99, v167
	v_mul_f32_e32 v124, v101, v168
	s_waitcnt lgkmcnt(4)
	v_mul_f32_e32 v125, v103, v169
	v_mul_f32_e32 v126, v105, v170
	s_waitcnt lgkmcnt(3)
	;; [unrolled: 3-line block ×3, first 2 shown]
	v_mul_f32_e32 v129, v111, v173
	v_mul_f32_e32 v130, v113, v174
	s_waitcnt vmcnt(61)
	v_fmac_f32_e32 v123, v100, v175
	s_waitcnt vmcnt(60)
	v_fmac_f32_e32 v124, v102, v176
	v_add_f32_e32 v123, 0, v123
	s_waitcnt vmcnt(59)
	v_fmac_f32_e32 v125, v104, v177
	v_add_f32_e32 v123, v123, v124
	;; [unrolled: 3-line block ×7, first 2 shown]
	s_waitcnt vmcnt(53) lgkmcnt(1)
	v_mul_f32_e32 v124, v115, v183
	v_add_f32_e32 v123, v123, v130
	s_waitcnt vmcnt(52)
	v_fmac_f32_e32 v124, v116, v184
	v_mul_f32_e32 v100, v100, v167
	v_add_f32_e32 v123, v123, v124
	s_waitcnt vmcnt(51)
	v_mul_f32_e32 v124, v117, v185
	v_fma_f32 v99, v99, v175, -v100
	v_mul_f32_e32 v100, v102, v168
	s_waitcnt vmcnt(50)
	v_fmac_f32_e32 v124, v118, v186
	v_add_f32_e32 v99, 0, v99
	v_fma_f32 v100, v101, v176, -v100
	v_add_f32_e32 v123, v123, v124
	s_waitcnt vmcnt(47) lgkmcnt(0)
	v_mul_f32_e32 v124, v119, v189
	v_add_f32_e32 v99, v99, v100
	v_mul_f32_e32 v100, v104, v169
	s_waitcnt vmcnt(46)
	v_fmac_f32_e32 v124, v120, v190
	v_fma_f32 v100, v103, v177, -v100
	v_add_f32_e32 v127, v123, v124
	ds_read_b128 v[123:126], v98 offset:592
	v_add_f32_e32 v99, v99, v100
	v_mul_f32_e32 v100, v106, v170
	v_fma_f32 v100, v105, v178, -v100
	s_waitcnt vmcnt(45)
	v_mul_f32_e32 v128, v121, v191
	v_add_f32_e32 v99, v99, v100
	v_mul_f32_e32 v100, v108, v171
	s_waitcnt vmcnt(44)
	v_fmac_f32_e32 v128, v122, v192
	v_fma_f32 v100, v107, v179, -v100
	v_add_f32_e32 v131, v127, v128
	ds_read_b128 v[127:130], v98 offset:608
	v_add_f32_e32 v99, v99, v100
	v_mul_f32_e32 v100, v110, v172
	s_waitcnt vmcnt(42) lgkmcnt(1)
	v_mul_f32_e32 v132, v123, v194
	v_fma_f32 v100, v109, v180, -v100
	v_fmac_f32_e32 v132, v124, v193
	v_add_f32_e32 v99, v99, v100
	v_mul_f32_e32 v100, v112, v173
	v_add_f32_e32 v131, v131, v132
	s_waitcnt vmcnt(40)
	v_mul_f32_e32 v132, v125, v196
	v_fma_f32 v100, v111, v181, -v100
	v_fmac_f32_e32 v132, v126, v195
	v_add_f32_e32 v99, v99, v100
	v_mul_f32_e32 v100, v114, v174
	v_add_f32_e32 v131, v131, v132
	s_waitcnt vmcnt(38) lgkmcnt(0)
	v_mul_f32_e32 v132, v127, v198
	v_fma_f32 v100, v113, v182, -v100
	v_fmac_f32_e32 v132, v128, v197
	v_add_f32_e32 v99, v99, v100
	v_mul_f32_e32 v100, v116, v183
	v_add_f32_e32 v135, v131, v132
	ds_read_b128 v[131:134], v98 offset:624
	v_fma_f32 v100, v115, v184, -v100
	v_add_f32_e32 v99, v99, v100
	v_mul_f32_e32 v100, v118, v185
	s_waitcnt vmcnt(36)
	v_mul_f32_e32 v136, v129, v200
	v_fma_f32 v100, v117, v186, -v100
	v_fmac_f32_e32 v136, v130, v199
	v_add_f32_e32 v99, v99, v100
	v_mul_f32_e32 v100, v120, v189
	v_add_f32_e32 v139, v135, v136
	ds_read_b128 v[135:138], v98 offset:640
	v_fma_f32 v100, v119, v190, -v100
	s_waitcnt vmcnt(34) lgkmcnt(1)
	v_mul_f32_e32 v140, v131, v202
	v_add_f32_e32 v99, v99, v100
	v_mul_f32_e32 v100, v122, v191
	v_fmac_f32_e32 v140, v132, v201
	v_fma_f32 v100, v121, v192, -v100
	v_add_f32_e32 v139, v139, v140
	s_waitcnt vmcnt(32)
	v_mul_f32_e32 v140, v133, v204
	v_add_f32_e32 v99, v99, v100
	v_mul_f32_e32 v100, v124, v194
	v_fmac_f32_e32 v140, v134, v203
	v_fma_f32 v100, v123, v193, -v100
	v_add_f32_e32 v139, v139, v140
	s_waitcnt vmcnt(30) lgkmcnt(0)
	v_mul_f32_e32 v140, v135, v206
	v_add_f32_e32 v99, v99, v100
	v_mul_f32_e32 v100, v126, v196
	v_fmac_f32_e32 v140, v136, v205
	v_fma_f32 v100, v125, v195, -v100
	v_add_f32_e32 v143, v139, v140
	ds_read_b128 v[139:142], v98 offset:656
	v_add_f32_e32 v99, v99, v100
	v_mul_f32_e32 v100, v128, v198
	v_fma_f32 v100, v127, v197, -v100
	s_waitcnt vmcnt(28)
	v_mul_f32_e32 v144, v137, v208
	v_add_f32_e32 v99, v99, v100
	v_mul_f32_e32 v100, v130, v200
	v_fmac_f32_e32 v144, v138, v207
	v_fma_f32 v100, v129, v199, -v100
	v_add_f32_e32 v147, v143, v144
	ds_read_b128 v[143:146], v98 offset:672
	v_add_f32_e32 v99, v99, v100
	v_mul_f32_e32 v100, v132, v202
	s_waitcnt vmcnt(26) lgkmcnt(1)
	v_mul_f32_e32 v148, v139, v210
	v_fma_f32 v100, v131, v201, -v100
	v_fmac_f32_e32 v148, v140, v209
	v_add_f32_e32 v99, v99, v100
	v_mul_f32_e32 v100, v134, v204
	v_add_f32_e32 v147, v147, v148
	s_waitcnt vmcnt(24)
	v_mul_f32_e32 v148, v141, v212
	v_fma_f32 v100, v133, v203, -v100
	v_fmac_f32_e32 v148, v142, v211
	v_add_f32_e32 v99, v99, v100
	v_mul_f32_e32 v100, v136, v206
	v_add_f32_e32 v147, v147, v148
	s_waitcnt vmcnt(22) lgkmcnt(0)
	v_mul_f32_e32 v148, v143, v214
	v_fma_f32 v100, v135, v205, -v100
	v_fmac_f32_e32 v148, v144, v213
	v_add_f32_e32 v99, v99, v100
	v_mul_f32_e32 v100, v138, v208
	v_add_f32_e32 v151, v147, v148
	ds_read_b128 v[147:150], v98 offset:688
	v_fma_f32 v100, v137, v207, -v100
	v_add_f32_e32 v99, v99, v100
	v_mul_f32_e32 v100, v140, v210
	s_waitcnt vmcnt(20)
	v_mul_f32_e32 v152, v145, v216
	v_fma_f32 v100, v139, v209, -v100
	v_fmac_f32_e32 v152, v146, v215
	v_add_f32_e32 v99, v99, v100
	v_mul_f32_e32 v100, v142, v212
	v_add_f32_e32 v155, v151, v152
	ds_read_b128 v[151:154], v98 offset:704
	v_fma_f32 v100, v141, v211, -v100
	s_waitcnt vmcnt(18) lgkmcnt(1)
	v_mul_f32_e32 v156, v147, v218
	v_add_f32_e32 v99, v99, v100
	v_mul_f32_e32 v100, v144, v214
	v_fmac_f32_e32 v156, v148, v217
	v_fma_f32 v100, v143, v213, -v100
	v_add_f32_e32 v155, v155, v156
	s_waitcnt vmcnt(16)
	v_mul_f32_e32 v156, v149, v220
	v_add_f32_e32 v99, v99, v100
	v_mul_f32_e32 v100, v146, v216
	v_fmac_f32_e32 v156, v150, v219
	v_fma_f32 v100, v145, v215, -v100
	v_add_f32_e32 v155, v155, v156
	s_waitcnt vmcnt(14) lgkmcnt(0)
	v_mul_f32_e32 v156, v151, v222
	v_add_f32_e32 v99, v99, v100
	v_mul_f32_e32 v100, v148, v218
	v_fmac_f32_e32 v156, v152, v221
	v_fma_f32 v100, v147, v217, -v100
	v_add_f32_e32 v159, v155, v156
	ds_read_b128 v[155:158], v98 offset:720
	v_add_f32_e32 v99, v99, v100
	v_mul_f32_e32 v100, v150, v220
	v_fma_f32 v100, v149, v219, -v100
	v_add_f32_e32 v99, v99, v100
	v_mul_f32_e32 v100, v152, v222
	s_waitcnt vmcnt(12)
	v_mul_f32_e32 v160, v153, v224
	v_fma_f32 v100, v151, v221, -v100
	v_fmac_f32_e32 v160, v154, v223
	v_add_f32_e32 v99, v99, v100
	v_mul_f32_e32 v100, v154, v224
	v_add_f32_e32 v163, v159, v160
	ds_read_b128 v[159:162], v98 offset:736
	s_waitcnt vmcnt(10) lgkmcnt(1)
	v_mul_f32_e32 v164, v155, v226
	v_fma_f32 v100, v153, v223, -v100
	v_fmac_f32_e32 v164, v156, v225
	v_add_f32_e32 v99, v99, v100
	v_mul_f32_e32 v100, v156, v226
	v_add_f32_e32 v163, v163, v164
	s_waitcnt vmcnt(9)
	v_mul_f32_e32 v164, v157, v227
	v_fma_f32 v100, v155, v225, -v100
	s_waitcnt vmcnt(8)
	v_fmac_f32_e32 v164, v158, v228
	v_add_f32_e32 v99, v99, v100
	v_mul_f32_e32 v100, v158, v227
	v_add_f32_e32 v237, v163, v164
	ds_read_b128 v[163:166], v98 offset:752
	v_fma_f32 v100, v157, v228, -v100
	v_add_f32_e32 v99, v99, v100
	s_waitcnt vmcnt(6) lgkmcnt(1)
	v_mul_f32_e32 v100, v160, v230
	v_mul_f32_e32 v238, v159, v230
	v_fma_f32 v100, v159, v229, -v100
	v_fmac_f32_e32 v238, v160, v229
	v_add_f32_e32 v99, v99, v100
	s_waitcnt vmcnt(4)
	v_mul_f32_e32 v100, v162, v232
	v_add_f32_e32 v98, v237, v238
	v_mul_f32_e32 v237, v161, v232
	v_fma_f32 v100, v161, v231, -v100
	v_fmac_f32_e32 v237, v162, v231
	v_add_f32_e32 v99, v99, v100
	s_waitcnt vmcnt(3) lgkmcnt(0)
	v_mul_f32_e32 v100, v164, v233
	v_add_f32_e32 v98, v98, v237
	v_mul_f32_e32 v237, v163, v233
	s_waitcnt vmcnt(2)
	v_fma_f32 v100, v163, v234, -v100
	v_fmac_f32_e32 v237, v164, v234
	v_add_f32_e32 v99, v99, v100
	s_waitcnt vmcnt(0)
	v_mul_f32_e32 v100, v166, v236
	v_add_f32_e32 v98, v98, v237
	v_mul_f32_e32 v237, v165, v236
	v_fma_f32 v100, v165, v235, -v100
	v_fmac_f32_e32 v237, v166, v235
	v_add_f32_e32 v99, v99, v100
	v_add_f32_e32 v98, v98, v237
	v_sub_f32_e32 v99, v187, v99
	v_sub_f32_e32 v98, v188, v98
	buffer_store_dword v99, off, s[0:3], 0 offset:104
	buffer_store_dword v98, off, s[0:3], 0 offset:108
	s_and_saveexec_b64 s[4:5], vcc
	s_cbranch_execz .LBB111_277
; %bb.276:
	buffer_load_dword v98, off, s[0:3], 0 offset:96
	buffer_load_dword v99, off, s[0:3], 0 offset:100
	v_mov_b32_e32 v100, 0
	buffer_store_dword v100, off, s[0:3], 0 offset:96
	buffer_store_dword v100, off, s[0:3], 0 offset:100
	s_waitcnt vmcnt(2)
	ds_write_b64 v97, v[98:99]
.LBB111_277:
	s_or_b64 exec, exec, s[4:5]
	s_waitcnt lgkmcnt(0)
	; wave barrier
	buffer_load_dword v169, off, s[0:3], 0 offset:108
	buffer_load_dword v170, off, s[0:3], 0 offset:116
	;; [unrolled: 1-line block ×56, first 2 shown]
	v_mov_b32_e32 v98, 0
	ds_read2_b64 v[99:102], v98 offset0:61 offset1:62
	ds_read2_b64 v[103:106], v98 offset0:63 offset1:64
	;; [unrolled: 1-line block ×6, first 2 shown]
	buffer_load_dword v225, off, s[0:3], 0 offset:320
	buffer_load_dword v226, off, s[0:3], 0 offset:324
	;; [unrolled: 1-line block ×12, first 2 shown]
	v_cmp_lt_u32_e32 vcc, 11, v0
	s_waitcnt vmcnt(62) lgkmcnt(5)
	v_mul_f32_e32 v123, v99, v169
	v_mul_f32_e32 v124, v101, v170
	s_waitcnt lgkmcnt(4)
	v_mul_f32_e32 v125, v103, v171
	v_mul_f32_e32 v126, v105, v172
	s_waitcnt lgkmcnt(3)
	v_mul_f32_e32 v127, v107, v173
	v_mul_f32_e32 v128, v109, v174
	s_waitcnt vmcnt(61) lgkmcnt(2)
	v_mul_f32_e32 v129, v111, v175
	s_waitcnt vmcnt(60)
	v_mul_f32_e32 v130, v113, v176
	s_waitcnt vmcnt(59) lgkmcnt(1)
	v_mul_f32_e32 v131, v115, v177
	s_waitcnt vmcnt(58)
	v_fmac_f32_e32 v123, v100, v178
	s_waitcnt vmcnt(57)
	v_fmac_f32_e32 v124, v102, v179
	v_add_f32_e32 v123, 0, v123
	s_waitcnt vmcnt(56)
	v_fmac_f32_e32 v125, v104, v180
	v_add_f32_e32 v123, v123, v124
	;; [unrolled: 3-line block ×7, first 2 shown]
	v_add_f32_e32 v123, v123, v130
	s_waitcnt vmcnt(50)
	v_fmac_f32_e32 v131, v116, v186
	s_waitcnt vmcnt(49)
	v_mul_f32_e32 v124, v117, v187
	v_add_f32_e32 v123, v123, v131
	s_waitcnt vmcnt(48)
	v_fmac_f32_e32 v124, v118, v188
	v_add_f32_e32 v123, v123, v124
	s_waitcnt vmcnt(47) lgkmcnt(0)
	v_mul_f32_e32 v124, v119, v189
	s_waitcnt vmcnt(44)
	v_fmac_f32_e32 v124, v120, v192
	v_add_f32_e32 v127, v123, v124
	ds_read2_b64 v[123:126], v98 offset0:73 offset1:74
	buffer_load_dword v237, off, s[0:3], 0 offset:372
	buffer_load_dword v238, off, s[0:3], 0 offset:368
	;; [unrolled: 1-line block ×4, first 2 shown]
	v_mul_f32_e32 v100, v100, v169
	v_fma_f32 v99, v99, v178, -v100
	v_mul_f32_e32 v100, v102, v170
	v_add_f32_e32 v99, 0, v99
	v_fma_f32 v100, v101, v179, -v100
	v_add_f32_e32 v99, v99, v100
	v_mul_f32_e32 v100, v104, v171
	v_fma_f32 v100, v103, v180, -v100
	s_waitcnt vmcnt(46)
	v_mul_f32_e32 v128, v121, v194
	v_add_f32_e32 v99, v99, v100
	v_mul_f32_e32 v100, v106, v172
	v_fmac_f32_e32 v128, v122, v193
	v_fma_f32 v100, v105, v181, -v100
	v_add_f32_e32 v131, v127, v128
	ds_read2_b64 v[127:130], v98 offset0:75 offset1:76
	v_add_f32_e32 v99, v99, v100
	v_mul_f32_e32 v100, v108, v173
	s_waitcnt vmcnt(44) lgkmcnt(1)
	v_mul_f32_e32 v132, v123, v196
	v_fma_f32 v100, v107, v182, -v100
	v_fmac_f32_e32 v132, v124, v195
	v_add_f32_e32 v99, v99, v100
	v_mul_f32_e32 v100, v110, v174
	v_add_f32_e32 v131, v131, v132
	s_waitcnt vmcnt(42)
	v_mul_f32_e32 v132, v125, v198
	v_fma_f32 v100, v109, v183, -v100
	v_fmac_f32_e32 v132, v126, v197
	v_add_f32_e32 v99, v99, v100
	v_mul_f32_e32 v100, v112, v175
	v_add_f32_e32 v131, v131, v132
	s_waitcnt vmcnt(40) lgkmcnt(0)
	v_mul_f32_e32 v132, v127, v200
	v_fma_f32 v100, v111, v184, -v100
	v_fmac_f32_e32 v132, v128, v199
	v_add_f32_e32 v99, v99, v100
	v_mul_f32_e32 v100, v114, v176
	v_add_f32_e32 v135, v131, v132
	ds_read2_b64 v[131:134], v98 offset0:77 offset1:78
	v_fma_f32 v100, v113, v185, -v100
	v_add_f32_e32 v99, v99, v100
	v_mul_f32_e32 v100, v116, v177
	s_waitcnt vmcnt(38)
	v_mul_f32_e32 v136, v129, v202
	v_fma_f32 v100, v115, v186, -v100
	v_fmac_f32_e32 v136, v130, v201
	v_add_f32_e32 v99, v99, v100
	v_mul_f32_e32 v100, v118, v187
	v_add_f32_e32 v139, v135, v136
	ds_read2_b64 v[135:138], v98 offset0:79 offset1:80
	v_fma_f32 v100, v117, v188, -v100
	s_waitcnt vmcnt(36) lgkmcnt(1)
	v_mul_f32_e32 v140, v131, v204
	v_add_f32_e32 v99, v99, v100
	v_mul_f32_e32 v100, v120, v189
	v_fmac_f32_e32 v140, v132, v203
	v_fma_f32 v100, v119, v192, -v100
	v_add_f32_e32 v139, v139, v140
	s_waitcnt vmcnt(34)
	v_mul_f32_e32 v140, v133, v206
	v_add_f32_e32 v99, v99, v100
	v_mul_f32_e32 v100, v122, v194
	v_fmac_f32_e32 v140, v134, v205
	v_fma_f32 v100, v121, v193, -v100
	v_add_f32_e32 v139, v139, v140
	s_waitcnt vmcnt(32) lgkmcnt(0)
	v_mul_f32_e32 v140, v135, v208
	v_add_f32_e32 v99, v99, v100
	v_mul_f32_e32 v100, v124, v196
	v_fmac_f32_e32 v140, v136, v207
	v_fma_f32 v100, v123, v195, -v100
	v_add_f32_e32 v143, v139, v140
	ds_read2_b64 v[139:142], v98 offset0:81 offset1:82
	v_add_f32_e32 v99, v99, v100
	v_mul_f32_e32 v100, v126, v198
	v_fma_f32 v100, v125, v197, -v100
	s_waitcnt vmcnt(30)
	v_mul_f32_e32 v144, v137, v210
	v_add_f32_e32 v99, v99, v100
	v_mul_f32_e32 v100, v128, v200
	v_fmac_f32_e32 v144, v138, v209
	v_fma_f32 v100, v127, v199, -v100
	v_add_f32_e32 v147, v143, v144
	ds_read2_b64 v[143:146], v98 offset0:83 offset1:84
	v_add_f32_e32 v99, v99, v100
	v_mul_f32_e32 v100, v130, v202
	s_waitcnt vmcnt(28) lgkmcnt(1)
	v_mul_f32_e32 v148, v139, v212
	v_fma_f32 v100, v129, v201, -v100
	v_fmac_f32_e32 v148, v140, v211
	v_add_f32_e32 v99, v99, v100
	v_mul_f32_e32 v100, v132, v204
	v_add_f32_e32 v147, v147, v148
	s_waitcnt vmcnt(26)
	v_mul_f32_e32 v148, v141, v214
	v_fma_f32 v100, v131, v203, -v100
	v_fmac_f32_e32 v148, v142, v213
	v_add_f32_e32 v99, v99, v100
	v_mul_f32_e32 v100, v134, v206
	v_add_f32_e32 v147, v147, v148
	s_waitcnt vmcnt(24) lgkmcnt(0)
	v_mul_f32_e32 v148, v143, v216
	v_fma_f32 v100, v133, v205, -v100
	v_fmac_f32_e32 v148, v144, v215
	v_add_f32_e32 v99, v99, v100
	v_mul_f32_e32 v100, v136, v208
	v_add_f32_e32 v151, v147, v148
	ds_read2_b64 v[147:150], v98 offset0:85 offset1:86
	v_fma_f32 v100, v135, v207, -v100
	v_add_f32_e32 v99, v99, v100
	v_mul_f32_e32 v100, v138, v210
	s_waitcnt vmcnt(22)
	v_mul_f32_e32 v152, v145, v218
	v_fma_f32 v100, v137, v209, -v100
	v_fmac_f32_e32 v152, v146, v217
	v_add_f32_e32 v99, v99, v100
	v_mul_f32_e32 v100, v140, v212
	v_add_f32_e32 v155, v151, v152
	ds_read2_b64 v[151:154], v98 offset0:87 offset1:88
	v_fma_f32 v100, v139, v211, -v100
	s_waitcnt vmcnt(20) lgkmcnt(1)
	v_mul_f32_e32 v156, v147, v220
	v_add_f32_e32 v99, v99, v100
	v_mul_f32_e32 v100, v142, v214
	v_fmac_f32_e32 v156, v148, v219
	v_fma_f32 v100, v141, v213, -v100
	v_add_f32_e32 v155, v155, v156
	s_waitcnt vmcnt(18)
	v_mul_f32_e32 v156, v149, v222
	v_add_f32_e32 v99, v99, v100
	v_mul_f32_e32 v100, v144, v216
	v_fmac_f32_e32 v156, v150, v221
	v_fma_f32 v100, v143, v215, -v100
	v_add_f32_e32 v155, v155, v156
	s_waitcnt vmcnt(16) lgkmcnt(0)
	v_mul_f32_e32 v156, v151, v224
	v_add_f32_e32 v99, v99, v100
	v_mul_f32_e32 v100, v146, v218
	v_fmac_f32_e32 v156, v152, v223
	v_fma_f32 v100, v145, v217, -v100
	v_add_f32_e32 v159, v155, v156
	ds_read2_b64 v[155:158], v98 offset0:89 offset1:90
	v_add_f32_e32 v99, v99, v100
	v_mul_f32_e32 v100, v148, v220
	v_fma_f32 v100, v147, v219, -v100
	s_waitcnt vmcnt(14)
	v_mul_f32_e32 v160, v153, v226
	v_add_f32_e32 v99, v99, v100
	v_mul_f32_e32 v100, v150, v222
	v_fmac_f32_e32 v160, v154, v225
	v_fma_f32 v100, v149, v221, -v100
	v_add_f32_e32 v163, v159, v160
	ds_read2_b64 v[159:162], v98 offset0:91 offset1:92
	v_add_f32_e32 v99, v99, v100
	v_mul_f32_e32 v100, v152, v224
	s_waitcnt vmcnt(12) lgkmcnt(1)
	v_mul_f32_e32 v164, v155, v228
	v_fma_f32 v100, v151, v223, -v100
	v_fmac_f32_e32 v164, v156, v227
	v_add_f32_e32 v99, v99, v100
	v_mul_f32_e32 v100, v154, v226
	v_add_f32_e32 v163, v163, v164
	s_waitcnt vmcnt(11)
	v_mul_f32_e32 v164, v157, v229
	v_fma_f32 v100, v153, v225, -v100
	s_waitcnt vmcnt(10)
	v_fmac_f32_e32 v164, v158, v230
	v_add_f32_e32 v99, v99, v100
	v_mul_f32_e32 v100, v156, v228
	v_add_f32_e32 v163, v163, v164
	s_waitcnt vmcnt(8) lgkmcnt(0)
	v_mul_f32_e32 v164, v159, v232
	v_fma_f32 v100, v155, v227, -v100
	v_fmac_f32_e32 v164, v160, v231
	v_add_f32_e32 v99, v99, v100
	v_mul_f32_e32 v100, v158, v229
	v_add_f32_e32 v167, v163, v164
	ds_read2_b64 v[163:166], v98 offset0:93 offset1:94
	v_fma_f32 v100, v157, v230, -v100
	v_add_f32_e32 v99, v99, v100
	v_mul_f32_e32 v100, v160, v232
	s_waitcnt vmcnt(6)
	v_mul_f32_e32 v168, v161, v234
	v_fma_f32 v100, v159, v231, -v100
	v_fmac_f32_e32 v168, v162, v233
	v_add_f32_e32 v99, v99, v100
	v_mul_f32_e32 v100, v162, v234
	v_add_f32_e32 v241, v167, v168
	ds_read_b64 v[167:168], v98 offset:760
	v_fma_f32 v100, v161, v233, -v100
	v_add_f32_e32 v99, v99, v100
	s_waitcnt vmcnt(4) lgkmcnt(1)
	v_mul_f32_e32 v100, v164, v236
	v_mul_f32_e32 v242, v163, v236
	v_fma_f32 v100, v163, v235, -v100
	v_fmac_f32_e32 v242, v164, v235
	v_add_f32_e32 v99, v99, v100
	s_waitcnt vmcnt(3)
	v_mul_f32_e32 v100, v166, v237
	v_add_f32_e32 v241, v241, v242
	v_mul_f32_e32 v242, v165, v237
	s_waitcnt vmcnt(2)
	v_fma_f32 v100, v165, v238, -v100
	v_fmac_f32_e32 v242, v166, v238
	v_add_f32_e32 v99, v99, v100
	s_waitcnt vmcnt(0) lgkmcnt(0)
	v_mul_f32_e32 v100, v168, v240
	v_add_f32_e32 v241, v241, v242
	v_mul_f32_e32 v242, v167, v240
	v_fma_f32 v100, v167, v239, -v100
	v_fmac_f32_e32 v242, v168, v239
	v_add_f32_e32 v99, v99, v100
	v_add_f32_e32 v241, v241, v242
	v_sub_f32_e32 v99, v190, v99
	v_sub_f32_e32 v100, v191, v241
	buffer_store_dword v99, off, s[0:3], 0 offset:96
	buffer_store_dword v100, off, s[0:3], 0 offset:100
	s_and_saveexec_b64 s[4:5], vcc
	s_cbranch_execz .LBB111_279
; %bb.278:
	buffer_load_dword v99, off, s[0:3], 0 offset:88
	buffer_load_dword v100, off, s[0:3], 0 offset:92
	s_waitcnt vmcnt(0)
	ds_write_b64 v97, v[99:100]
	buffer_store_dword v98, off, s[0:3], 0 offset:88
	buffer_store_dword v98, off, s[0:3], 0 offset:92
.LBB111_279:
	s_or_b64 exec, exec, s[4:5]
	s_waitcnt lgkmcnt(0)
	; wave barrier
	buffer_load_dword v171, off, s[0:3], 0 offset:100
	buffer_load_dword v172, off, s[0:3], 0 offset:108
	;; [unrolled: 1-line block ×26, first 2 shown]
	ds_read_b128 v[99:102], v98 offset:480
	ds_read_b128 v[103:106], v98 offset:496
	;; [unrolled: 1-line block ×6, first 2 shown]
	buffer_load_dword v197, off, s[0:3], 0 offset:192
	buffer_load_dword v198, off, s[0:3], 0 offset:196
	;; [unrolled: 1-line block ×42, first 2 shown]
	v_cmp_lt_u32_e32 vcc, 10, v0
	s_waitcnt vmcnt(62) lgkmcnt(5)
	v_mul_f32_e32 v123, v99, v171
	v_mul_f32_e32 v124, v101, v172
	s_waitcnt lgkmcnt(4)
	v_mul_f32_e32 v125, v103, v173
	v_mul_f32_e32 v126, v105, v174
	s_waitcnt lgkmcnt(3)
	v_mul_f32_e32 v127, v107, v175
	v_mul_f32_e32 v128, v109, v176
	s_waitcnt vmcnt(61) lgkmcnt(2)
	v_mul_f32_e32 v129, v111, v177
	s_waitcnt vmcnt(60)
	v_mul_f32_e32 v130, v113, v178
	s_waitcnt vmcnt(59) lgkmcnt(1)
	v_mul_f32_e32 v131, v115, v179
	s_waitcnt vmcnt(58)
	v_fmac_f32_e32 v123, v100, v180
	s_waitcnt vmcnt(57)
	v_fmac_f32_e32 v124, v102, v181
	v_add_f32_e32 v123, 0, v123
	s_waitcnt vmcnt(56)
	v_fmac_f32_e32 v125, v104, v182
	v_add_f32_e32 v123, v123, v124
	;; [unrolled: 3-line block ×8, first 2 shown]
	s_waitcnt vmcnt(49)
	v_mul_f32_e32 v124, v117, v189
	v_add_f32_e32 v123, v123, v131
	s_waitcnt vmcnt(48)
	v_fmac_f32_e32 v124, v118, v190
	v_add_f32_e32 v123, v123, v124
	s_waitcnt vmcnt(47) lgkmcnt(0)
	v_mul_f32_e32 v124, v119, v191
	s_waitcnt vmcnt(46)
	v_fmac_f32_e32 v124, v120, v192
	v_add_f32_e32 v123, v123, v124
	s_waitcnt vmcnt(42)
	v_mul_f32_e32 v124, v121, v196
	v_fmac_f32_e32 v124, v122, v195
	v_add_f32_e32 v131, v123, v124
	ds_read_b128 v[123:126], v98 offset:576
	buffer_load_dword v239, off, s[0:3], 0 offset:364
	buffer_load_dword v240, off, s[0:3], 0 offset:360
	;; [unrolled: 1-line block ×4, first 2 shown]
	ds_read_b128 v[127:130], v98 offset:592
	buffer_load_dword v243, off, s[0:3], 0 offset:376
	buffer_load_dword v244, off, s[0:3], 0 offset:380
	v_mul_f32_e32 v100, v100, v171
	v_fma_f32 v99, v99, v180, -v100
	v_mul_f32_e32 v100, v102, v172
	v_add_f32_e32 v99, 0, v99
	v_fma_f32 v100, v101, v181, -v100
	v_add_f32_e32 v99, v99, v100
	v_mul_f32_e32 v100, v104, v173
	v_fma_f32 v100, v103, v182, -v100
	v_add_f32_e32 v99, v99, v100
	v_mul_f32_e32 v100, v106, v174
	;; [unrolled: 3-line block ×3, first 2 shown]
	s_waitcnt vmcnt(46) lgkmcnt(1)
	v_mul_f32_e32 v132, v123, v198
	v_fma_f32 v100, v107, v184, -v100
	v_fmac_f32_e32 v132, v124, v197
	v_add_f32_e32 v99, v99, v100
	v_mul_f32_e32 v100, v110, v176
	v_add_f32_e32 v131, v131, v132
	s_waitcnt vmcnt(44)
	v_mul_f32_e32 v132, v125, v200
	v_fma_f32 v100, v109, v185, -v100
	v_fmac_f32_e32 v132, v126, v199
	v_add_f32_e32 v99, v99, v100
	v_mul_f32_e32 v100, v112, v177
	v_add_f32_e32 v131, v131, v132
	s_waitcnt vmcnt(42) lgkmcnt(0)
	v_mul_f32_e32 v132, v127, v202
	v_fma_f32 v100, v111, v186, -v100
	v_fmac_f32_e32 v132, v128, v201
	v_add_f32_e32 v99, v99, v100
	v_mul_f32_e32 v100, v114, v178
	v_add_f32_e32 v135, v131, v132
	ds_read_b128 v[131:134], v98 offset:608
	v_fma_f32 v100, v113, v187, -v100
	v_add_f32_e32 v99, v99, v100
	v_mul_f32_e32 v100, v116, v179
	s_waitcnt vmcnt(40)
	v_mul_f32_e32 v136, v129, v204
	v_fma_f32 v100, v115, v188, -v100
	v_fmac_f32_e32 v136, v130, v203
	v_add_f32_e32 v99, v99, v100
	v_mul_f32_e32 v100, v118, v189
	v_add_f32_e32 v139, v135, v136
	ds_read_b128 v[135:138], v98 offset:624
	v_fma_f32 v100, v117, v190, -v100
	s_waitcnt vmcnt(38) lgkmcnt(1)
	v_mul_f32_e32 v140, v131, v206
	v_add_f32_e32 v99, v99, v100
	v_mul_f32_e32 v100, v120, v191
	v_fmac_f32_e32 v140, v132, v205
	v_fma_f32 v100, v119, v192, -v100
	v_add_f32_e32 v139, v139, v140
	s_waitcnt vmcnt(36)
	v_mul_f32_e32 v140, v133, v208
	v_add_f32_e32 v99, v99, v100
	v_mul_f32_e32 v100, v122, v196
	v_fmac_f32_e32 v140, v134, v207
	v_fma_f32 v100, v121, v195, -v100
	v_add_f32_e32 v139, v139, v140
	s_waitcnt vmcnt(34) lgkmcnt(0)
	v_mul_f32_e32 v140, v135, v210
	v_add_f32_e32 v99, v99, v100
	v_mul_f32_e32 v100, v124, v198
	v_fmac_f32_e32 v140, v136, v209
	v_fma_f32 v100, v123, v197, -v100
	v_add_f32_e32 v143, v139, v140
	ds_read_b128 v[139:142], v98 offset:640
	v_add_f32_e32 v99, v99, v100
	v_mul_f32_e32 v100, v126, v200
	v_fma_f32 v100, v125, v199, -v100
	s_waitcnt vmcnt(32)
	v_mul_f32_e32 v144, v137, v212
	v_add_f32_e32 v99, v99, v100
	v_mul_f32_e32 v100, v128, v202
	v_fmac_f32_e32 v144, v138, v211
	v_fma_f32 v100, v127, v201, -v100
	v_add_f32_e32 v147, v143, v144
	ds_read_b128 v[143:146], v98 offset:656
	v_add_f32_e32 v99, v99, v100
	v_mul_f32_e32 v100, v130, v204
	s_waitcnt vmcnt(30) lgkmcnt(1)
	v_mul_f32_e32 v148, v139, v214
	v_fma_f32 v100, v129, v203, -v100
	v_fmac_f32_e32 v148, v140, v213
	v_add_f32_e32 v99, v99, v100
	v_mul_f32_e32 v100, v132, v206
	v_add_f32_e32 v147, v147, v148
	s_waitcnt vmcnt(28)
	v_mul_f32_e32 v148, v141, v216
	v_fma_f32 v100, v131, v205, -v100
	v_fmac_f32_e32 v148, v142, v215
	v_add_f32_e32 v99, v99, v100
	v_mul_f32_e32 v100, v134, v208
	v_add_f32_e32 v147, v147, v148
	s_waitcnt vmcnt(26) lgkmcnt(0)
	v_mul_f32_e32 v148, v143, v218
	v_fma_f32 v100, v133, v207, -v100
	v_fmac_f32_e32 v148, v144, v217
	v_add_f32_e32 v99, v99, v100
	v_mul_f32_e32 v100, v136, v210
	v_add_f32_e32 v151, v147, v148
	ds_read_b128 v[147:150], v98 offset:672
	v_fma_f32 v100, v135, v209, -v100
	v_add_f32_e32 v99, v99, v100
	v_mul_f32_e32 v100, v138, v212
	s_waitcnt vmcnt(24)
	v_mul_f32_e32 v152, v145, v220
	v_fma_f32 v100, v137, v211, -v100
	v_fmac_f32_e32 v152, v146, v219
	v_add_f32_e32 v99, v99, v100
	v_mul_f32_e32 v100, v140, v214
	v_add_f32_e32 v155, v151, v152
	ds_read_b128 v[151:154], v98 offset:688
	v_fma_f32 v100, v139, v213, -v100
	s_waitcnt vmcnt(22) lgkmcnt(1)
	v_mul_f32_e32 v156, v147, v222
	v_add_f32_e32 v99, v99, v100
	v_mul_f32_e32 v100, v142, v216
	v_fmac_f32_e32 v156, v148, v221
	v_fma_f32 v100, v141, v215, -v100
	v_add_f32_e32 v155, v155, v156
	s_waitcnt vmcnt(20)
	v_mul_f32_e32 v156, v149, v224
	v_add_f32_e32 v99, v99, v100
	v_mul_f32_e32 v100, v144, v218
	v_fmac_f32_e32 v156, v150, v223
	v_fma_f32 v100, v143, v217, -v100
	v_add_f32_e32 v155, v155, v156
	s_waitcnt vmcnt(18) lgkmcnt(0)
	v_mul_f32_e32 v156, v151, v226
	v_add_f32_e32 v99, v99, v100
	v_mul_f32_e32 v100, v146, v220
	v_fmac_f32_e32 v156, v152, v225
	v_fma_f32 v100, v145, v219, -v100
	v_add_f32_e32 v159, v155, v156
	ds_read_b128 v[155:158], v98 offset:704
	v_add_f32_e32 v99, v99, v100
	v_mul_f32_e32 v100, v148, v222
	v_fma_f32 v100, v147, v221, -v100
	s_waitcnt vmcnt(16)
	v_mul_f32_e32 v160, v153, v228
	v_add_f32_e32 v99, v99, v100
	v_mul_f32_e32 v100, v150, v224
	v_fmac_f32_e32 v160, v154, v227
	v_fma_f32 v100, v149, v223, -v100
	v_add_f32_e32 v163, v159, v160
	ds_read_b128 v[159:162], v98 offset:720
	v_add_f32_e32 v99, v99, v100
	v_mul_f32_e32 v100, v152, v226
	s_waitcnt vmcnt(14) lgkmcnt(1)
	v_mul_f32_e32 v164, v155, v230
	v_fma_f32 v100, v151, v225, -v100
	v_fmac_f32_e32 v164, v156, v229
	v_add_f32_e32 v99, v99, v100
	v_mul_f32_e32 v100, v154, v228
	v_add_f32_e32 v163, v163, v164
	s_waitcnt vmcnt(13)
	v_mul_f32_e32 v164, v157, v231
	v_fma_f32 v100, v153, v227, -v100
	s_waitcnt vmcnt(12)
	v_fmac_f32_e32 v164, v158, v232
	v_add_f32_e32 v99, v99, v100
	v_mul_f32_e32 v100, v156, v230
	v_add_f32_e32 v163, v163, v164
	s_waitcnt vmcnt(10) lgkmcnt(0)
	v_mul_f32_e32 v164, v159, v234
	v_fma_f32 v100, v155, v229, -v100
	v_fmac_f32_e32 v164, v160, v233
	v_add_f32_e32 v99, v99, v100
	v_mul_f32_e32 v100, v158, v231
	v_add_f32_e32 v167, v163, v164
	ds_read_b128 v[163:166], v98 offset:736
	v_fma_f32 v100, v157, v232, -v100
	v_add_f32_e32 v99, v99, v100
	v_mul_f32_e32 v100, v160, v234
	s_waitcnt vmcnt(8)
	v_mul_f32_e32 v168, v161, v236
	v_fma_f32 v100, v159, v233, -v100
	v_fmac_f32_e32 v168, v162, v235
	v_add_f32_e32 v99, v99, v100
	v_mul_f32_e32 v100, v162, v236
	v_add_f32_e32 v245, v167, v168
	ds_read_b128 v[167:170], v98 offset:752
	v_fma_f32 v100, v161, v235, -v100
	v_add_f32_e32 v99, v99, v100
	s_waitcnt vmcnt(6) lgkmcnt(1)
	v_mul_f32_e32 v100, v164, v238
	v_mul_f32_e32 v98, v163, v238
	v_fma_f32 v100, v163, v237, -v100
	v_fmac_f32_e32 v98, v164, v237
	v_add_f32_e32 v99, v99, v100
	s_waitcnt vmcnt(5)
	v_mul_f32_e32 v100, v166, v239
	v_add_f32_e32 v98, v245, v98
	v_mul_f32_e32 v245, v165, v239
	s_waitcnt vmcnt(4)
	v_fma_f32 v100, v165, v240, -v100
	v_fmac_f32_e32 v245, v166, v240
	v_add_f32_e32 v99, v99, v100
	s_waitcnt vmcnt(2) lgkmcnt(0)
	v_mul_f32_e32 v100, v168, v242
	v_add_f32_e32 v98, v98, v245
	v_mul_f32_e32 v245, v167, v242
	v_fma_f32 v100, v167, v241, -v100
	v_fmac_f32_e32 v245, v168, v241
	v_add_f32_e32 v99, v99, v100
	s_waitcnt vmcnt(0)
	v_mul_f32_e32 v100, v170, v244
	v_add_f32_e32 v98, v98, v245
	v_mul_f32_e32 v245, v169, v244
	v_fma_f32 v100, v169, v243, -v100
	v_fmac_f32_e32 v245, v170, v243
	v_add_f32_e32 v99, v99, v100
	v_add_f32_e32 v98, v98, v245
	v_sub_f32_e32 v99, v193, v99
	v_sub_f32_e32 v98, v194, v98
	buffer_store_dword v99, off, s[0:3], 0 offset:88
	buffer_store_dword v98, off, s[0:3], 0 offset:92
	s_and_saveexec_b64 s[4:5], vcc
	s_cbranch_execz .LBB111_281
; %bb.280:
	buffer_load_dword v98, off, s[0:3], 0 offset:80
	buffer_load_dword v99, off, s[0:3], 0 offset:84
	v_mov_b32_e32 v100, 0
	buffer_store_dword v100, off, s[0:3], 0 offset:80
	buffer_store_dword v100, off, s[0:3], 0 offset:84
	s_waitcnt vmcnt(2)
	ds_write_b64 v97, v[98:99]
.LBB111_281:
	s_or_b64 exec, exec, s[4:5]
	s_waitcnt lgkmcnt(0)
	; wave barrier
	buffer_load_dword v173, off, s[0:3], 0 offset:92
	buffer_load_dword v174, off, s[0:3], 0 offset:100
	;; [unrolled: 1-line block ×52, first 2 shown]
	v_mov_b32_e32 v98, 0
	ds_read2_b64 v[99:102], v98 offset0:59 offset1:60
	ds_read2_b64 v[103:106], v98 offset0:61 offset1:62
	;; [unrolled: 1-line block ×6, first 2 shown]
	buffer_load_dword v225, off, s[0:3], 0 offset:292
	buffer_load_dword v226, off, s[0:3], 0 offset:288
	;; [unrolled: 1-line block ×14, first 2 shown]
	v_cmp_lt_u32_e32 vcc, 9, v0
	s_waitcnt vmcnt(62) lgkmcnt(5)
	v_mul_f32_e32 v123, v99, v173
	v_mul_f32_e32 v124, v101, v174
	s_waitcnt lgkmcnt(4)
	v_mul_f32_e32 v125, v103, v175
	v_mul_f32_e32 v126, v105, v176
	s_waitcnt vmcnt(61) lgkmcnt(3)
	v_mul_f32_e32 v127, v107, v177
	s_waitcnt vmcnt(60)
	v_mul_f32_e32 v128, v109, v178
	s_waitcnt vmcnt(59) lgkmcnt(2)
	v_mul_f32_e32 v129, v111, v179
	s_waitcnt vmcnt(58)
	;; [unrolled: 4-line block ×3, first 2 shown]
	v_fmac_f32_e32 v123, v100, v182
	s_waitcnt vmcnt(55)
	v_fmac_f32_e32 v124, v102, v183
	v_add_f32_e32 v123, 0, v123
	s_waitcnt vmcnt(54)
	v_fmac_f32_e32 v125, v104, v184
	v_add_f32_e32 v123, v123, v124
	s_waitcnt vmcnt(53)
	v_fmac_f32_e32 v126, v106, v185
	v_add_f32_e32 v123, v123, v125
	s_waitcnt vmcnt(52)
	v_fmac_f32_e32 v127, v108, v186
	v_add_f32_e32 v123, v123, v126
	s_waitcnt vmcnt(51)
	v_fmac_f32_e32 v128, v110, v187
	v_add_f32_e32 v123, v123, v127
	s_waitcnt vmcnt(50)
	v_fmac_f32_e32 v129, v112, v188
	v_add_f32_e32 v123, v123, v128
	s_waitcnt vmcnt(49)
	v_fmac_f32_e32 v130, v114, v189
	v_add_f32_e32 v123, v123, v129
	s_waitcnt vmcnt(48)
	v_fmac_f32_e32 v131, v116, v190
	v_add_f32_e32 v123, v123, v130
	s_waitcnt vmcnt(47)
	v_mul_f32_e32 v124, v117, v191
	v_add_f32_e32 v123, v123, v131
	s_waitcnt vmcnt(46)
	v_fmac_f32_e32 v124, v118, v192
	v_add_f32_e32 v123, v123, v124
	s_waitcnt vmcnt(45) lgkmcnt(0)
	v_mul_f32_e32 v124, v119, v193
	s_waitcnt vmcnt(44)
	v_fmac_f32_e32 v124, v120, v194
	v_add_f32_e32 v127, v123, v124
	ds_read2_b64 v[123:126], v98 offset0:71 offset1:72
	buffer_load_dword v239, off, s[0:3], 0 offset:344
	buffer_load_dword v240, off, s[0:3], 0 offset:348
	s_waitcnt vmcnt(43)
	v_mul_f32_e32 v128, v121, v197
	s_waitcnt vmcnt(42)
	v_fmac_f32_e32 v128, v122, v198
	v_add_f32_e32 v131, v127, v128
	ds_read2_b64 v[127:130], v98 offset0:73 offset1:74
	buffer_load_dword v241, off, s[0:3], 0 offset:356
	buffer_load_dword v242, off, s[0:3], 0 offset:352
	;; [unrolled: 1-line block ×8, first 2 shown]
	v_mul_f32_e32 v100, v100, v173
	v_fma_f32 v99, v99, v182, -v100
	v_mul_f32_e32 v100, v102, v174
	v_add_f32_e32 v99, 0, v99
	v_fma_f32 v100, v101, v183, -v100
	v_add_f32_e32 v99, v99, v100
	v_mul_f32_e32 v100, v104, v175
	v_fma_f32 v100, v103, v184, -v100
	v_add_f32_e32 v99, v99, v100
	v_mul_f32_e32 v100, v106, v176
	v_fma_f32 v100, v105, v185, -v100
	s_waitcnt vmcnt(48) lgkmcnt(1)
	v_mul_f32_e32 v132, v123, v200
	v_add_f32_e32 v99, v99, v100
	v_mul_f32_e32 v100, v108, v177
	v_fmac_f32_e32 v132, v124, v199
	v_fma_f32 v100, v107, v186, -v100
	v_add_f32_e32 v131, v131, v132
	s_waitcnt vmcnt(46)
	v_mul_f32_e32 v132, v125, v202
	v_add_f32_e32 v99, v99, v100
	v_mul_f32_e32 v100, v110, v178
	v_fmac_f32_e32 v132, v126, v201
	v_fma_f32 v100, v109, v187, -v100
	v_add_f32_e32 v131, v131, v132
	s_waitcnt vmcnt(44) lgkmcnt(0)
	v_mul_f32_e32 v132, v127, v204
	v_add_f32_e32 v99, v99, v100
	v_mul_f32_e32 v100, v112, v179
	v_fmac_f32_e32 v132, v128, v203
	v_fma_f32 v100, v111, v188, -v100
	v_add_f32_e32 v135, v131, v132
	ds_read2_b64 v[131:134], v98 offset0:75 offset1:76
	v_add_f32_e32 v99, v99, v100
	v_mul_f32_e32 v100, v114, v180
	v_fma_f32 v100, v113, v189, -v100
	s_waitcnt vmcnt(42)
	v_mul_f32_e32 v136, v129, v206
	v_add_f32_e32 v99, v99, v100
	v_mul_f32_e32 v100, v116, v181
	v_fmac_f32_e32 v136, v130, v205
	v_fma_f32 v100, v115, v190, -v100
	v_add_f32_e32 v139, v135, v136
	ds_read2_b64 v[135:138], v98 offset0:77 offset1:78
	v_add_f32_e32 v99, v99, v100
	v_mul_f32_e32 v100, v118, v191
	s_waitcnt vmcnt(40) lgkmcnt(1)
	v_mul_f32_e32 v140, v131, v208
	v_fma_f32 v100, v117, v192, -v100
	v_fmac_f32_e32 v140, v132, v207
	v_add_f32_e32 v99, v99, v100
	v_mul_f32_e32 v100, v120, v193
	v_add_f32_e32 v139, v139, v140
	s_waitcnt vmcnt(38)
	v_mul_f32_e32 v140, v133, v210
	v_fma_f32 v100, v119, v194, -v100
	v_fmac_f32_e32 v140, v134, v209
	v_add_f32_e32 v99, v99, v100
	v_mul_f32_e32 v100, v122, v197
	v_add_f32_e32 v139, v139, v140
	s_waitcnt vmcnt(36) lgkmcnt(0)
	v_mul_f32_e32 v140, v135, v212
	v_fma_f32 v100, v121, v198, -v100
	v_fmac_f32_e32 v140, v136, v211
	v_add_f32_e32 v99, v99, v100
	v_mul_f32_e32 v100, v124, v200
	v_add_f32_e32 v143, v139, v140
	ds_read2_b64 v[139:142], v98 offset0:79 offset1:80
	v_fma_f32 v100, v123, v199, -v100
	v_add_f32_e32 v99, v99, v100
	v_mul_f32_e32 v100, v126, v202
	s_waitcnt vmcnt(34)
	v_mul_f32_e32 v144, v137, v214
	v_fma_f32 v100, v125, v201, -v100
	v_fmac_f32_e32 v144, v138, v213
	v_add_f32_e32 v99, v99, v100
	v_mul_f32_e32 v100, v128, v204
	v_add_f32_e32 v147, v143, v144
	ds_read2_b64 v[143:146], v98 offset0:81 offset1:82
	v_fma_f32 v100, v127, v203, -v100
	s_waitcnt vmcnt(32) lgkmcnt(1)
	v_mul_f32_e32 v148, v139, v216
	v_add_f32_e32 v99, v99, v100
	v_mul_f32_e32 v100, v130, v206
	v_fmac_f32_e32 v148, v140, v215
	v_fma_f32 v100, v129, v205, -v100
	v_add_f32_e32 v147, v147, v148
	s_waitcnt vmcnt(30)
	v_mul_f32_e32 v148, v141, v218
	v_add_f32_e32 v99, v99, v100
	v_mul_f32_e32 v100, v132, v208
	v_fmac_f32_e32 v148, v142, v217
	v_fma_f32 v100, v131, v207, -v100
	v_add_f32_e32 v147, v147, v148
	s_waitcnt vmcnt(28) lgkmcnt(0)
	v_mul_f32_e32 v148, v143, v220
	v_add_f32_e32 v99, v99, v100
	v_mul_f32_e32 v100, v134, v210
	v_fmac_f32_e32 v148, v144, v219
	v_fma_f32 v100, v133, v209, -v100
	v_add_f32_e32 v151, v147, v148
	ds_read2_b64 v[147:150], v98 offset0:83 offset1:84
	v_add_f32_e32 v99, v99, v100
	v_mul_f32_e32 v100, v136, v212
	v_fma_f32 v100, v135, v211, -v100
	s_waitcnt vmcnt(26)
	v_mul_f32_e32 v152, v145, v222
	v_add_f32_e32 v99, v99, v100
	v_mul_f32_e32 v100, v138, v214
	v_fmac_f32_e32 v152, v146, v221
	v_fma_f32 v100, v137, v213, -v100
	v_add_f32_e32 v155, v151, v152
	ds_read2_b64 v[151:154], v98 offset0:85 offset1:86
	v_add_f32_e32 v99, v99, v100
	v_mul_f32_e32 v100, v140, v216
	s_waitcnt vmcnt(24) lgkmcnt(1)
	v_mul_f32_e32 v156, v147, v224
	v_fma_f32 v100, v139, v215, -v100
	v_fmac_f32_e32 v156, v148, v223
	v_add_f32_e32 v99, v99, v100
	v_mul_f32_e32 v100, v142, v218
	v_add_f32_e32 v155, v155, v156
	s_waitcnt vmcnt(23)
	v_mul_f32_e32 v156, v149, v225
	v_fma_f32 v100, v141, v217, -v100
	s_waitcnt vmcnt(22)
	v_fmac_f32_e32 v156, v150, v226
	v_add_f32_e32 v99, v99, v100
	v_mul_f32_e32 v100, v144, v220
	v_add_f32_e32 v155, v155, v156
	s_waitcnt vmcnt(20) lgkmcnt(0)
	v_mul_f32_e32 v156, v151, v228
	v_fma_f32 v100, v143, v219, -v100
	v_fmac_f32_e32 v156, v152, v227
	v_add_f32_e32 v99, v99, v100
	v_mul_f32_e32 v100, v146, v222
	v_add_f32_e32 v159, v155, v156
	ds_read2_b64 v[155:158], v98 offset0:87 offset1:88
	v_fma_f32 v100, v145, v221, -v100
	v_add_f32_e32 v99, v99, v100
	v_mul_f32_e32 v100, v148, v224
	s_waitcnt vmcnt(18)
	v_mul_f32_e32 v160, v153, v230
	v_fma_f32 v100, v147, v223, -v100
	v_fmac_f32_e32 v160, v154, v229
	v_add_f32_e32 v99, v99, v100
	v_mul_f32_e32 v100, v150, v225
	v_add_f32_e32 v163, v159, v160
	ds_read2_b64 v[159:162], v98 offset0:89 offset1:90
	v_fma_f32 v100, v149, v226, -v100
	s_waitcnt vmcnt(16) lgkmcnt(1)
	v_mul_f32_e32 v164, v155, v232
	v_add_f32_e32 v99, v99, v100
	v_mul_f32_e32 v100, v152, v228
	v_fmac_f32_e32 v164, v156, v231
	v_fma_f32 v100, v151, v227, -v100
	v_add_f32_e32 v163, v163, v164
	s_waitcnt vmcnt(15)
	v_mul_f32_e32 v164, v157, v233
	v_add_f32_e32 v99, v99, v100
	v_mul_f32_e32 v100, v154, v230
	s_waitcnt vmcnt(14)
	v_fmac_f32_e32 v164, v158, v234
	v_fma_f32 v100, v153, v229, -v100
	v_add_f32_e32 v163, v163, v164
	s_waitcnt vmcnt(12) lgkmcnt(0)
	v_mul_f32_e32 v164, v159, v236
	v_add_f32_e32 v99, v99, v100
	v_mul_f32_e32 v100, v156, v232
	v_fmac_f32_e32 v164, v160, v235
	v_fma_f32 v100, v155, v231, -v100
	v_add_f32_e32 v167, v163, v164
	ds_read2_b64 v[163:166], v98 offset0:91 offset1:92
	v_add_f32_e32 v99, v99, v100
	v_mul_f32_e32 v100, v158, v233
	v_fma_f32 v100, v157, v234, -v100
	v_add_f32_e32 v99, v99, v100
	v_mul_f32_e32 v100, v160, v236
	s_waitcnt vmcnt(10)
	v_mul_f32_e32 v168, v161, v238
	v_fma_f32 v100, v159, v235, -v100
	v_fmac_f32_e32 v168, v162, v237
	v_add_f32_e32 v99, v99, v100
	v_mul_f32_e32 v100, v162, v238
	v_add_f32_e32 v171, v167, v168
	ds_read2_b64 v[167:170], v98 offset0:93 offset1:94
	s_waitcnt vmcnt(8) lgkmcnt(1)
	v_mul_f32_e32 v172, v163, v240
	v_fma_f32 v100, v161, v237, -v100
	v_fmac_f32_e32 v172, v164, v239
	v_add_f32_e32 v99, v99, v100
	v_mul_f32_e32 v100, v164, v240
	v_add_f32_e32 v171, v171, v172
	s_waitcnt vmcnt(7)
	v_mul_f32_e32 v172, v165, v241
	v_fma_f32 v100, v163, v239, -v100
	s_waitcnt vmcnt(6)
	v_fmac_f32_e32 v172, v166, v242
	v_add_f32_e32 v99, v99, v100
	v_mul_f32_e32 v100, v166, v241
	v_add_f32_e32 v249, v171, v172
	ds_read_b64 v[171:172], v98 offset:760
	v_fma_f32 v100, v165, v242, -v100
	v_add_f32_e32 v99, v99, v100
	s_waitcnt vmcnt(4) lgkmcnt(1)
	v_mul_f32_e32 v100, v168, v244
	v_mul_f32_e32 v250, v167, v244
	v_fma_f32 v100, v167, v243, -v100
	v_fmac_f32_e32 v250, v168, v243
	v_add_f32_e32 v99, v99, v100
	s_waitcnt vmcnt(3)
	v_mul_f32_e32 v100, v170, v245
	v_add_f32_e32 v249, v249, v250
	v_mul_f32_e32 v250, v169, v245
	s_waitcnt vmcnt(2)
	v_fma_f32 v100, v169, v246, -v100
	v_fmac_f32_e32 v250, v170, v246
	v_add_f32_e32 v99, v99, v100
	s_waitcnt vmcnt(0) lgkmcnt(0)
	v_mul_f32_e32 v100, v172, v248
	v_add_f32_e32 v249, v249, v250
	v_mul_f32_e32 v250, v171, v248
	v_fma_f32 v100, v171, v247, -v100
	v_fmac_f32_e32 v250, v172, v247
	v_add_f32_e32 v99, v99, v100
	v_add_f32_e32 v249, v249, v250
	v_sub_f32_e32 v99, v195, v99
	v_sub_f32_e32 v100, v196, v249
	buffer_store_dword v99, off, s[0:3], 0 offset:80
	buffer_store_dword v100, off, s[0:3], 0 offset:84
	s_and_saveexec_b64 s[4:5], vcc
	s_cbranch_execz .LBB111_283
; %bb.282:
	buffer_load_dword v99, off, s[0:3], 0 offset:72
	buffer_load_dword v100, off, s[0:3], 0 offset:76
	s_waitcnt vmcnt(0)
	ds_write_b64 v97, v[99:100]
	buffer_store_dword v98, off, s[0:3], 0 offset:72
	buffer_store_dword v98, off, s[0:3], 0 offset:76
.LBB111_283:
	s_or_b64 exec, exec, s[4:5]
	s_waitcnt lgkmcnt(0)
	; wave barrier
	buffer_load_dword v175, off, s[0:3], 0 offset:84
	buffer_load_dword v176, off, s[0:3], 0 offset:92
	;; [unrolled: 1-line block ×26, first 2 shown]
	ds_read_b128 v[99:102], v98 offset:464
	ds_read_b128 v[103:106], v98 offset:480
	ds_read_b128 v[107:110], v98 offset:496
	ds_read_b128 v[111:114], v98 offset:512
	buffer_load_dword v201, off, s[0:3], 0 offset:180
	ds_read_b128 v[115:118], v98 offset:528
	ds_read_b128 v[119:122], v98 offset:544
	buffer_load_dword v202, off, s[0:3], 0 offset:176
	buffer_load_dword v203, off, s[0:3], 0 offset:184
	;; [unrolled: 1-line block ×37, first 2 shown]
	v_cmp_lt_u32_e32 vcc, 8, v0
	s_waitcnt vmcnt(62) lgkmcnt(5)
	v_mul_f32_e32 v123, v99, v175
	v_mul_f32_e32 v124, v101, v176
	s_waitcnt vmcnt(61) lgkmcnt(4)
	v_mul_f32_e32 v125, v103, v177
	s_waitcnt vmcnt(60)
	v_mul_f32_e32 v126, v105, v178
	s_waitcnt vmcnt(59) lgkmcnt(3)
	v_mul_f32_e32 v127, v107, v179
	s_waitcnt vmcnt(58)
	;; [unrolled: 4-line block ×4, first 2 shown]
	v_mul_f32_e32 v132, v117, v184
	s_waitcnt vmcnt(53)
	v_fmac_f32_e32 v123, v100, v185
	s_waitcnt vmcnt(52)
	v_fmac_f32_e32 v124, v102, v186
	v_add_f32_e32 v123, 0, v123
	s_waitcnt vmcnt(51)
	v_fmac_f32_e32 v125, v104, v187
	v_add_f32_e32 v123, v123, v124
	;; [unrolled: 3-line block ×9, first 2 shown]
	s_waitcnt vmcnt(43) lgkmcnt(0)
	v_mul_f32_e32 v124, v119, v195
	v_add_f32_e32 v123, v123, v132
	s_waitcnt vmcnt(42)
	v_fmac_f32_e32 v124, v120, v196
	v_add_f32_e32 v127, v123, v124
	s_waitcnt vmcnt(41)
	v_mul_f32_e32 v128, v121, v197
	ds_read_b128 v[123:126], v98 offset:560
	buffer_load_dword v239, off, s[0:3], 0 offset:328
	buffer_load_dword v240, off, s[0:3], 0 offset:332
	s_waitcnt vmcnt(42)
	v_fmac_f32_e32 v128, v122, v198
	v_add_f32_e32 v131, v127, v128
	ds_read_b128 v[127:130], v98 offset:576
	buffer_load_dword v241, off, s[0:3], 0 offset:336
	buffer_load_dword v242, off, s[0:3], 0 offset:340
	;; [unrolled: 1-line block ×12, first 2 shown]
	v_mul_f32_e32 v100, v100, v175
	v_fma_f32 v99, v99, v185, -v100
	v_mul_f32_e32 v100, v102, v176
	v_add_f32_e32 v99, 0, v99
	v_fma_f32 v100, v101, v186, -v100
	v_add_f32_e32 v99, v99, v100
	v_mul_f32_e32 v100, v104, v177
	v_fma_f32 v100, v103, v187, -v100
	v_add_f32_e32 v99, v99, v100
	v_mul_f32_e32 v100, v106, v178
	v_fma_f32 v100, v105, v188, -v100
	s_waitcnt vmcnt(51) lgkmcnt(1)
	v_mul_f32_e32 v132, v123, v201
	v_add_f32_e32 v99, v99, v100
	v_mul_f32_e32 v100, v108, v179
	s_waitcnt vmcnt(50)
	v_fmac_f32_e32 v132, v124, v202
	v_fma_f32 v100, v107, v189, -v100
	v_add_f32_e32 v131, v131, v132
	s_waitcnt vmcnt(48)
	v_mul_f32_e32 v132, v125, v204
	v_add_f32_e32 v99, v99, v100
	v_mul_f32_e32 v100, v110, v180
	v_fmac_f32_e32 v132, v126, v203
	v_fma_f32 v100, v109, v190, -v100
	v_add_f32_e32 v131, v131, v132
	s_waitcnt vmcnt(46) lgkmcnt(0)
	v_mul_f32_e32 v132, v127, v206
	v_add_f32_e32 v99, v99, v100
	v_mul_f32_e32 v100, v112, v181
	v_fmac_f32_e32 v132, v128, v205
	v_fma_f32 v100, v111, v191, -v100
	v_add_f32_e32 v135, v131, v132
	ds_read_b128 v[131:134], v98 offset:592
	v_add_f32_e32 v99, v99, v100
	v_mul_f32_e32 v100, v114, v182
	v_fma_f32 v100, v113, v192, -v100
	s_waitcnt vmcnt(44)
	v_mul_f32_e32 v136, v129, v208
	v_add_f32_e32 v99, v99, v100
	v_mul_f32_e32 v100, v116, v183
	v_fmac_f32_e32 v136, v130, v207
	v_fma_f32 v100, v115, v193, -v100
	v_add_f32_e32 v139, v135, v136
	ds_read_b128 v[135:138], v98 offset:608
	v_add_f32_e32 v99, v99, v100
	v_mul_f32_e32 v100, v118, v184
	s_waitcnt vmcnt(42) lgkmcnt(1)
	v_mul_f32_e32 v140, v131, v210
	v_fma_f32 v100, v117, v194, -v100
	v_fmac_f32_e32 v140, v132, v209
	v_add_f32_e32 v99, v99, v100
	v_mul_f32_e32 v100, v120, v195
	v_add_f32_e32 v139, v139, v140
	s_waitcnt vmcnt(40)
	v_mul_f32_e32 v140, v133, v212
	v_fma_f32 v100, v119, v196, -v100
	v_fmac_f32_e32 v140, v134, v211
	v_add_f32_e32 v99, v99, v100
	v_mul_f32_e32 v100, v122, v197
	v_add_f32_e32 v139, v139, v140
	s_waitcnt vmcnt(38) lgkmcnt(0)
	v_mul_f32_e32 v140, v135, v214
	v_fma_f32 v100, v121, v198, -v100
	v_fmac_f32_e32 v140, v136, v213
	v_add_f32_e32 v99, v99, v100
	v_mul_f32_e32 v100, v124, v201
	v_add_f32_e32 v143, v139, v140
	ds_read_b128 v[139:142], v98 offset:624
	v_fma_f32 v100, v123, v202, -v100
	v_add_f32_e32 v99, v99, v100
	v_mul_f32_e32 v100, v126, v204
	s_waitcnt vmcnt(36)
	v_mul_f32_e32 v144, v137, v216
	v_fma_f32 v100, v125, v203, -v100
	v_fmac_f32_e32 v144, v138, v215
	v_add_f32_e32 v99, v99, v100
	v_mul_f32_e32 v100, v128, v206
	v_add_f32_e32 v147, v143, v144
	ds_read_b128 v[143:146], v98 offset:640
	v_fma_f32 v100, v127, v205, -v100
	s_waitcnt vmcnt(34) lgkmcnt(1)
	v_mul_f32_e32 v148, v139, v218
	v_add_f32_e32 v99, v99, v100
	v_mul_f32_e32 v100, v130, v208
	v_fmac_f32_e32 v148, v140, v217
	v_fma_f32 v100, v129, v207, -v100
	v_add_f32_e32 v147, v147, v148
	s_waitcnt vmcnt(32)
	v_mul_f32_e32 v148, v141, v220
	v_add_f32_e32 v99, v99, v100
	v_mul_f32_e32 v100, v132, v210
	v_fmac_f32_e32 v148, v142, v219
	v_fma_f32 v100, v131, v209, -v100
	v_add_f32_e32 v147, v147, v148
	s_waitcnt vmcnt(30) lgkmcnt(0)
	v_mul_f32_e32 v148, v143, v222
	v_add_f32_e32 v99, v99, v100
	v_mul_f32_e32 v100, v134, v212
	v_fmac_f32_e32 v148, v144, v221
	v_fma_f32 v100, v133, v211, -v100
	v_add_f32_e32 v151, v147, v148
	ds_read_b128 v[147:150], v98 offset:656
	v_add_f32_e32 v99, v99, v100
	v_mul_f32_e32 v100, v136, v214
	v_fma_f32 v100, v135, v213, -v100
	s_waitcnt vmcnt(28)
	v_mul_f32_e32 v152, v145, v224
	v_add_f32_e32 v99, v99, v100
	v_mul_f32_e32 v100, v138, v216
	v_fmac_f32_e32 v152, v146, v223
	v_fma_f32 v100, v137, v215, -v100
	v_add_f32_e32 v155, v151, v152
	ds_read_b128 v[151:154], v98 offset:672
	v_add_f32_e32 v99, v99, v100
	v_mul_f32_e32 v100, v140, v218
	s_waitcnt vmcnt(26) lgkmcnt(1)
	v_mul_f32_e32 v156, v147, v226
	v_fma_f32 v100, v139, v217, -v100
	v_fmac_f32_e32 v156, v148, v225
	v_add_f32_e32 v99, v99, v100
	v_mul_f32_e32 v100, v142, v220
	v_add_f32_e32 v155, v155, v156
	s_waitcnt vmcnt(25)
	v_mul_f32_e32 v156, v149, v227
	v_fma_f32 v100, v141, v219, -v100
	s_waitcnt vmcnt(24)
	v_fmac_f32_e32 v156, v150, v228
	v_add_f32_e32 v99, v99, v100
	v_mul_f32_e32 v100, v144, v222
	v_add_f32_e32 v155, v155, v156
	s_waitcnt vmcnt(22) lgkmcnt(0)
	v_mul_f32_e32 v156, v151, v230
	v_fma_f32 v100, v143, v221, -v100
	v_fmac_f32_e32 v156, v152, v229
	v_add_f32_e32 v99, v99, v100
	v_mul_f32_e32 v100, v146, v224
	v_add_f32_e32 v159, v155, v156
	ds_read_b128 v[155:158], v98 offset:688
	v_fma_f32 v100, v145, v223, -v100
	v_add_f32_e32 v99, v99, v100
	v_mul_f32_e32 v100, v148, v226
	s_waitcnt vmcnt(20)
	v_mul_f32_e32 v160, v153, v232
	v_fma_f32 v100, v147, v225, -v100
	v_fmac_f32_e32 v160, v154, v231
	v_add_f32_e32 v99, v99, v100
	v_mul_f32_e32 v100, v150, v227
	v_add_f32_e32 v163, v159, v160
	ds_read_b128 v[159:162], v98 offset:704
	v_fma_f32 v100, v149, v228, -v100
	s_waitcnt vmcnt(18) lgkmcnt(1)
	v_mul_f32_e32 v164, v155, v234
	v_add_f32_e32 v99, v99, v100
	v_mul_f32_e32 v100, v152, v230
	v_fmac_f32_e32 v164, v156, v233
	v_fma_f32 v100, v151, v229, -v100
	v_add_f32_e32 v163, v163, v164
	s_waitcnt vmcnt(17)
	v_mul_f32_e32 v164, v157, v235
	v_add_f32_e32 v99, v99, v100
	v_mul_f32_e32 v100, v154, v232
	s_waitcnt vmcnt(16)
	v_fmac_f32_e32 v164, v158, v236
	v_fma_f32 v100, v153, v231, -v100
	v_add_f32_e32 v163, v163, v164
	s_waitcnt vmcnt(14) lgkmcnt(0)
	v_mul_f32_e32 v164, v159, v238
	v_add_f32_e32 v99, v99, v100
	v_mul_f32_e32 v100, v156, v234
	v_fmac_f32_e32 v164, v160, v237
	v_fma_f32 v100, v155, v233, -v100
	v_add_f32_e32 v167, v163, v164
	ds_read_b128 v[163:166], v98 offset:720
	v_add_f32_e32 v99, v99, v100
	v_mul_f32_e32 v100, v158, v235
	v_fma_f32 v100, v157, v236, -v100
	v_add_f32_e32 v99, v99, v100
	v_mul_f32_e32 v100, v160, v238
	s_waitcnt vmcnt(12)
	v_mul_f32_e32 v168, v161, v240
	v_fma_f32 v100, v159, v237, -v100
	v_fmac_f32_e32 v168, v162, v239
	v_add_f32_e32 v99, v99, v100
	v_mul_f32_e32 v100, v162, v240
	v_add_f32_e32 v171, v167, v168
	ds_read_b128 v[167:170], v98 offset:736
	s_waitcnt vmcnt(10) lgkmcnt(1)
	v_mul_f32_e32 v172, v163, v242
	v_fma_f32 v100, v161, v239, -v100
	v_fmac_f32_e32 v172, v164, v241
	v_add_f32_e32 v99, v99, v100
	v_mul_f32_e32 v100, v164, v242
	v_add_f32_e32 v171, v171, v172
	s_waitcnt vmcnt(9)
	v_mul_f32_e32 v172, v165, v243
	v_fma_f32 v100, v163, v241, -v100
	s_waitcnt vmcnt(8)
	v_fmac_f32_e32 v172, v166, v244
	v_add_f32_e32 v99, v99, v100
	v_mul_f32_e32 v100, v166, v243
	v_add_f32_e32 v253, v171, v172
	ds_read_b128 v[171:174], v98 offset:752
	v_fma_f32 v100, v165, v244, -v100
	v_add_f32_e32 v99, v99, v100
	s_waitcnt vmcnt(6) lgkmcnt(1)
	v_mul_f32_e32 v100, v168, v246
	v_mul_f32_e32 v254, v167, v246
	v_fma_f32 v100, v167, v245, -v100
	v_fmac_f32_e32 v254, v168, v245
	v_add_f32_e32 v99, v99, v100
	s_waitcnt vmcnt(4)
	v_mul_f32_e32 v100, v170, v248
	v_add_f32_e32 v98, v253, v254
	v_mul_f32_e32 v253, v169, v248
	v_fma_f32 v100, v169, v247, -v100
	v_fmac_f32_e32 v253, v170, v247
	v_add_f32_e32 v99, v99, v100
	s_waitcnt vmcnt(3) lgkmcnt(0)
	v_mul_f32_e32 v100, v172, v249
	v_add_f32_e32 v98, v98, v253
	v_mul_f32_e32 v253, v171, v249
	s_waitcnt vmcnt(2)
	v_fma_f32 v100, v171, v250, -v100
	v_fmac_f32_e32 v253, v172, v250
	v_add_f32_e32 v99, v99, v100
	s_waitcnt vmcnt(0)
	v_mul_f32_e32 v100, v174, v252
	v_add_f32_e32 v98, v98, v253
	v_mul_f32_e32 v253, v173, v252
	v_fma_f32 v100, v173, v251, -v100
	v_fmac_f32_e32 v253, v174, v251
	v_add_f32_e32 v99, v99, v100
	v_add_f32_e32 v98, v98, v253
	v_sub_f32_e32 v99, v199, v99
	v_sub_f32_e32 v98, v200, v98
	buffer_store_dword v99, off, s[0:3], 0 offset:72
	buffer_store_dword v98, off, s[0:3], 0 offset:76
	s_and_saveexec_b64 s[4:5], vcc
	s_cbranch_execz .LBB111_285
; %bb.284:
	buffer_load_dword v98, off, s[0:3], 0 offset:64
	buffer_load_dword v99, off, s[0:3], 0 offset:68
	v_mov_b32_e32 v100, 0
	buffer_store_dword v100, off, s[0:3], 0 offset:64
	buffer_store_dword v100, off, s[0:3], 0 offset:68
	s_waitcnt vmcnt(2)
	ds_write_b64 v97, v[98:99]
.LBB111_285:
	s_or_b64 exec, exec, s[4:5]
	s_waitcnt lgkmcnt(0)
	; wave barrier
	buffer_load_dword v177, off, s[0:3], 0 offset:76
	buffer_load_dword v178, off, s[0:3], 0 offset:84
	;; [unrolled: 1-line block ×50, first 2 shown]
	v_mov_b32_e32 v98, 0
	ds_read2_b64 v[99:102], v98 offset0:57 offset1:58
	ds_read2_b64 v[103:106], v98 offset0:59 offset1:60
	;; [unrolled: 1-line block ×6, first 2 shown]
	buffer_load_dword v227, off, s[0:3], 0 offset:264
	buffer_load_dword v228, off, s[0:3], 0 offset:268
	;; [unrolled: 1-line block ×8, first 2 shown]
	v_cmp_lt_u32_e32 vcc, 7, v0
	s_waitcnt vmcnt(57) lgkmcnt(5)
	v_mul_f32_e32 v123, v99, v177
	s_waitcnt vmcnt(56)
	v_mul_f32_e32 v124, v101, v178
	s_waitcnt vmcnt(55) lgkmcnt(4)
	v_mul_f32_e32 v125, v103, v179
	s_waitcnt vmcnt(54)
	v_mul_f32_e32 v126, v105, v180
	;; [unrolled: 4-line block ×5, first 2 shown]
	s_waitcnt vmcnt(47) lgkmcnt(0)
	v_mul_f32_e32 v133, v119, v187
	s_waitcnt vmcnt(46)
	v_fmac_f32_e32 v125, v104, v188
	s_waitcnt vmcnt(45)
	v_fmac_f32_e32 v124, v102, v189
	;; [unrolled: 2-line block ×3, first 2 shown]
	v_add_f32_e32 v123, 0, v123
	v_add_f32_e32 v123, v123, v124
	;; [unrolled: 1-line block ×3, first 2 shown]
	s_waitcnt vmcnt(40)
	v_fmac_f32_e32 v126, v106, v194
	v_fmac_f32_e32 v127, v108, v193
	v_add_f32_e32 v123, v123, v126
	v_fmac_f32_e32 v128, v110, v192
	v_add_f32_e32 v123, v123, v127
	;; [unrolled: 2-line block ×3, first 2 shown]
	s_waitcnt vmcnt(36)
	v_fmac_f32_e32 v130, v114, v198
	v_add_f32_e32 v123, v123, v129
	v_fmac_f32_e32 v131, v116, v197
	v_add_f32_e32 v123, v123, v130
	;; [unrolled: 2-line block ×3, first 2 shown]
	v_add_f32_e32 v123, v123, v132
	v_fmac_f32_e32 v133, v120, v195
	v_add_f32_e32 v127, v123, v133
	ds_read2_b64 v[123:126], v98 offset0:69 offset1:70
	buffer_load_dword v235, off, s[0:3], 0 offset:296
	buffer_load_dword v236, off, s[0:3], 0 offset:300
	;; [unrolled: 1-line block ×6, first 2 shown]
	s_waitcnt vmcnt(41)
	v_mul_f32_e32 v128, v121, v199
	s_waitcnt vmcnt(34)
	v_fmac_f32_e32 v128, v122, v206
	v_add_f32_e32 v131, v127, v128
	ds_read2_b64 v[127:130], v98 offset0:71 offset1:72
	buffer_load_dword v241, off, s[0:3], 0 offset:320
	buffer_load_dword v242, off, s[0:3], 0 offset:324
	;; [unrolled: 1-line block ×16, first 2 shown]
	s_waitcnt lgkmcnt(1)
	v_mul_f32_e32 v132, v123, v201
	v_fmac_f32_e32 v132, v124, v200
	v_add_f32_e32 v131, v131, v132
	v_mul_f32_e32 v132, v125, v203
	v_fmac_f32_e32 v132, v126, v202
	v_add_f32_e32 v131, v131, v132
	s_waitcnt lgkmcnt(0)
	v_mul_f32_e32 v132, v127, v205
	v_fmac_f32_e32 v132, v128, v204
	v_add_f32_e32 v135, v131, v132
	ds_read2_b64 v[131:134], v98 offset0:73 offset1:74
	s_waitcnt vmcnt(46)
	v_mul_f32_e32 v4, v129, v210
	v_fmac_f32_e32 v4, v130, v209
	v_add_f32_e32 v4, v135, v4
	ds_read2_b64 v[135:138], v98 offset0:75 offset1:76
	s_waitcnt vmcnt(44) lgkmcnt(1)
	v_mul_f32_e32 v139, v131, v212
	v_fmac_f32_e32 v139, v132, v211
	v_add_f32_e32 v4, v4, v139
	s_waitcnt vmcnt(42)
	v_mul_f32_e32 v139, v133, v214
	v_fmac_f32_e32 v139, v134, v213
	v_add_f32_e32 v4, v4, v139
	s_waitcnt vmcnt(40) lgkmcnt(0)
	v_mul_f32_e32 v139, v135, v216
	v_fmac_f32_e32 v139, v136, v215
	v_add_f32_e32 v4, v4, v139
	ds_read2_b64 v[139:142], v98 offset0:77 offset1:78
	s_waitcnt vmcnt(38)
	v_mul_f32_e32 v143, v137, v218
	v_fmac_f32_e32 v143, v138, v217
	v_add_f32_e32 v4, v4, v143
	ds_read2_b64 v[143:146], v98 offset0:79 offset1:80
	s_waitcnt vmcnt(36) lgkmcnt(1)
	v_mul_f32_e32 v147, v139, v220
	v_fmac_f32_e32 v147, v140, v219
	v_add_f32_e32 v4, v4, v147
	s_waitcnt vmcnt(34)
	v_mul_f32_e32 v147, v141, v222
	v_fmac_f32_e32 v147, v142, v221
	v_add_f32_e32 v4, v4, v147
	s_waitcnt vmcnt(32) lgkmcnt(0)
	v_mul_f32_e32 v147, v143, v224
	v_fmac_f32_e32 v147, v144, v223
	v_add_f32_e32 v4, v4, v147
	ds_read2_b64 v[147:150], v98 offset0:81 offset1:82
	s_waitcnt vmcnt(30)
	v_mul_f32_e32 v151, v145, v226
	v_fmac_f32_e32 v151, v146, v225
	v_add_f32_e32 v4, v4, v151
	ds_read2_b64 v[151:154], v98 offset0:83 offset1:84
	s_waitcnt vmcnt(28) lgkmcnt(1)
	v_mul_f32_e32 v155, v147, v228
	v_fmac_f32_e32 v155, v148, v227
	v_add_f32_e32 v4, v4, v155
	s_waitcnt vmcnt(27)
	v_mul_f32_e32 v155, v149, v229
	s_waitcnt vmcnt(24)
	v_fmac_f32_e32 v155, v150, v232
	v_add_f32_e32 v4, v4, v155
	s_waitcnt lgkmcnt(0)
	v_mul_f32_e32 v155, v151, v231
	v_fmac_f32_e32 v155, v152, v230
	v_add_f32_e32 v4, v4, v155
	ds_read2_b64 v[155:158], v98 offset0:85 offset1:86
	s_waitcnt vmcnt(22)
	v_mul_f32_e32 v159, v153, v234
	v_fmac_f32_e32 v159, v154, v233
	v_add_f32_e32 v4, v4, v159
	ds_read2_b64 v[159:162], v98 offset0:87 offset1:88
	v_mul_f32_e32 v6, v102, v178
	v_fma_f32 v6, v101, v189, -v6
	s_waitcnt vmcnt(20) lgkmcnt(1)
	v_mul_f32_e32 v163, v155, v236
	v_fmac_f32_e32 v163, v156, v235
	v_add_f32_e32 v4, v4, v163
	s_waitcnt vmcnt(19)
	v_mul_f32_e32 v163, v157, v237
	s_waitcnt vmcnt(16)
	v_fmac_f32_e32 v163, v158, v240
	v_add_f32_e32 v4, v4, v163
	s_waitcnt lgkmcnt(0)
	v_mul_f32_e32 v163, v159, v239
	v_fmac_f32_e32 v163, v160, v238
	v_add_f32_e32 v4, v4, v163
	ds_read2_b64 v[163:166], v98 offset0:89 offset1:90
	s_waitcnt vmcnt(14)
	v_mul_f32_e32 v167, v161, v242
	v_fmac_f32_e32 v167, v162, v241
	v_add_f32_e32 v4, v4, v167
	ds_read2_b64 v[167:170], v98 offset0:91 offset1:92
	s_waitcnt vmcnt(12) lgkmcnt(1)
	v_mul_f32_e32 v171, v163, v244
	v_fmac_f32_e32 v171, v164, v243
	v_add_f32_e32 v4, v4, v171
	s_waitcnt vmcnt(11)
	v_mul_f32_e32 v171, v165, v245
	s_waitcnt vmcnt(8)
	v_fmac_f32_e32 v171, v166, v248
	v_add_f32_e32 v4, v4, v171
	s_waitcnt lgkmcnt(0)
	v_mul_f32_e32 v171, v167, v247
	v_fmac_f32_e32 v171, v168, v246
	v_add_f32_e32 v4, v4, v171
	ds_read2_b64 v[171:174], v98 offset0:93 offset1:94
	s_waitcnt vmcnt(6)
	v_mul_f32_e32 v175, v169, v250
	v_fmac_f32_e32 v175, v170, v249
	v_add_f32_e32 v4, v4, v175
	ds_read_b64 v[175:176], v98 offset:760
	s_waitcnt vmcnt(4) lgkmcnt(1)
	v_mul_f32_e32 v5, v171, v252
	v_fmac_f32_e32 v5, v172, v251
	v_add_f32_e32 v4, v4, v5
	s_waitcnt vmcnt(3)
	v_mul_f32_e32 v5, v173, v253
	s_waitcnt vmcnt(0)
	v_fmac_f32_e32 v5, v174, v3
	v_add_f32_e32 v4, v4, v5
	s_waitcnt lgkmcnt(0)
	v_mul_f32_e32 v5, v175, v255
	v_fmac_f32_e32 v5, v176, v254
	v_add_f32_e32 v4, v4, v5
	v_mul_f32_e32 v5, v100, v177
	v_fma_f32 v5, v99, v190, -v5
	v_add_f32_e32 v5, 0, v5
	v_add_f32_e32 v5, v5, v6
	v_mul_f32_e32 v6, v104, v179
	v_fma_f32 v6, v103, v188, -v6
	v_add_f32_e32 v5, v5, v6
	v_mul_f32_e32 v6, v106, v180
	v_fma_f32 v6, v105, v194, -v6
	v_add_f32_e32 v5, v5, v6
	v_mul_f32_e32 v6, v108, v181
	v_fma_f32 v6, v107, v193, -v6
	v_add_f32_e32 v5, v5, v6
	v_mul_f32_e32 v6, v110, v182
	v_fma_f32 v6, v109, v192, -v6
	v_add_f32_e32 v5, v5, v6
	v_mul_f32_e32 v6, v112, v183
	v_fma_f32 v6, v111, v191, -v6
	v_add_f32_e32 v5, v5, v6
	v_mul_f32_e32 v6, v114, v184
	v_fma_f32 v6, v113, v198, -v6
	v_add_f32_e32 v5, v5, v6
	v_mul_f32_e32 v6, v116, v185
	v_fma_f32 v6, v115, v197, -v6
	v_add_f32_e32 v5, v5, v6
	v_mul_f32_e32 v6, v118, v186
	v_fma_f32 v6, v117, v196, -v6
	v_add_f32_e32 v5, v5, v6
	v_mul_f32_e32 v6, v120, v187
	v_fma_f32 v6, v119, v195, -v6
	v_add_f32_e32 v5, v5, v6
	v_mul_f32_e32 v6, v122, v199
	v_fma_f32 v6, v121, v206, -v6
	v_add_f32_e32 v5, v5, v6
	v_mul_f32_e32 v6, v124, v201
	v_fma_f32 v6, v123, v200, -v6
	v_add_f32_e32 v5, v5, v6
	v_mul_f32_e32 v6, v126, v203
	v_fma_f32 v6, v125, v202, -v6
	v_add_f32_e32 v5, v5, v6
	v_mul_f32_e32 v6, v128, v205
	v_fma_f32 v6, v127, v204, -v6
	v_add_f32_e32 v5, v5, v6
	v_mul_f32_e32 v6, v130, v210
	v_fma_f32 v6, v129, v209, -v6
	v_add_f32_e32 v5, v5, v6
	v_mul_f32_e32 v6, v132, v212
	v_fma_f32 v6, v131, v211, -v6
	v_add_f32_e32 v5, v5, v6
	v_mul_f32_e32 v6, v134, v214
	v_fma_f32 v6, v133, v213, -v6
	v_add_f32_e32 v5, v5, v6
	v_mul_f32_e32 v6, v136, v216
	v_fma_f32 v6, v135, v215, -v6
	v_add_f32_e32 v5, v5, v6
	v_mul_f32_e32 v6, v138, v218
	v_fma_f32 v6, v137, v217, -v6
	v_add_f32_e32 v5, v5, v6
	v_mul_f32_e32 v6, v140, v220
	v_fma_f32 v6, v139, v219, -v6
	v_add_f32_e32 v5, v5, v6
	v_mul_f32_e32 v6, v142, v222
	v_fma_f32 v6, v141, v221, -v6
	v_add_f32_e32 v5, v5, v6
	v_mul_f32_e32 v6, v144, v224
	v_fma_f32 v6, v143, v223, -v6
	v_add_f32_e32 v5, v5, v6
	v_mul_f32_e32 v6, v146, v226
	v_fma_f32 v6, v145, v225, -v6
	v_add_f32_e32 v5, v5, v6
	v_mul_f32_e32 v6, v148, v228
	v_fma_f32 v6, v147, v227, -v6
	v_add_f32_e32 v5, v5, v6
	v_mul_f32_e32 v6, v150, v229
	v_fma_f32 v6, v149, v232, -v6
	v_add_f32_e32 v5, v5, v6
	v_mul_f32_e32 v6, v152, v231
	v_fma_f32 v6, v151, v230, -v6
	v_add_f32_e32 v5, v5, v6
	v_mul_f32_e32 v6, v154, v234
	v_fma_f32 v6, v153, v233, -v6
	v_add_f32_e32 v5, v5, v6
	v_mul_f32_e32 v6, v156, v236
	v_fma_f32 v6, v155, v235, -v6
	v_add_f32_e32 v5, v5, v6
	v_mul_f32_e32 v6, v158, v237
	v_fma_f32 v6, v157, v240, -v6
	v_add_f32_e32 v5, v5, v6
	v_mul_f32_e32 v6, v160, v239
	v_fma_f32 v6, v159, v238, -v6
	v_add_f32_e32 v5, v5, v6
	v_mul_f32_e32 v6, v162, v242
	v_fma_f32 v6, v161, v241, -v6
	v_add_f32_e32 v5, v5, v6
	v_mul_f32_e32 v6, v164, v244
	v_fma_f32 v6, v163, v243, -v6
	v_add_f32_e32 v5, v5, v6
	v_mul_f32_e32 v6, v166, v245
	v_fma_f32 v6, v165, v248, -v6
	v_add_f32_e32 v5, v5, v6
	v_mul_f32_e32 v6, v168, v247
	v_fma_f32 v6, v167, v246, -v6
	v_add_f32_e32 v5, v5, v6
	v_mul_f32_e32 v6, v170, v250
	v_fma_f32 v6, v169, v249, -v6
	v_add_f32_e32 v5, v5, v6
	v_mul_f32_e32 v6, v172, v252
	v_fma_f32 v6, v171, v251, -v6
	v_add_f32_e32 v5, v5, v6
	v_mul_f32_e32 v6, v174, v253
	v_fma_f32 v3, v173, v3, -v6
	v_add_f32_e32 v3, v5, v3
	v_mul_f32_e32 v5, v176, v255
	v_fma_f32 v5, v175, v254, -v5
	v_add_f32_e32 v3, v3, v5
	v_sub_f32_e32 v3, v207, v3
	v_sub_f32_e32 v4, v208, v4
	buffer_store_dword v3, off, s[0:3], 0 offset:64
	buffer_store_dword v4, off, s[0:3], 0 offset:68
	s_and_saveexec_b64 s[4:5], vcc
	s_cbranch_execz .LBB111_287
; %bb.286:
	buffer_load_dword v99, off, s[0:3], 0 offset:56
	buffer_load_dword v100, off, s[0:3], 0 offset:60
	s_waitcnt vmcnt(0)
	ds_write_b64 v97, v[99:100]
	buffer_store_dword v98, off, s[0:3], 0 offset:56
	buffer_store_dword v98, off, s[0:3], 0 offset:60
.LBB111_287:
	s_or_b64 exec, exec, s[4:5]
	s_waitcnt lgkmcnt(0)
	; wave barrier
	buffer_load_dword v3, off, s[0:3], 0 offset:68
	buffer_load_dword v4, off, s[0:3], 0 offset:76
	;; [unrolled: 1-line block ×32, first 2 shown]
	ds_read_b128 v[99:102], v98 offset:448
	ds_read_b128 v[103:106], v98 offset:464
	;; [unrolled: 1-line block ×6, first 2 shown]
	buffer_load_dword v207, off, s[0:3], 0 offset:184
	buffer_load_dword v208, off, s[0:3], 0 offset:188
	;; [unrolled: 1-line block ×26, first 2 shown]
	v_cmp_lt_u32_e32 vcc, 6, v0
	s_waitcnt vmcnt(57) lgkmcnt(5)
	v_mul_f32_e32 v123, v99, v3
	s_waitcnt vmcnt(56)
	v_mul_f32_e32 v124, v101, v4
	s_waitcnt vmcnt(55) lgkmcnt(4)
	v_mul_f32_e32 v125, v103, v5
	s_waitcnt vmcnt(54)
	v_mul_f32_e32 v126, v105, v6
	;; [unrolled: 4-line block ×5, first 2 shown]
	s_waitcnt vmcnt(47) lgkmcnt(0)
	v_mul_f32_e32 v133, v119, v185
	s_waitcnt vmcnt(46)
	v_fmac_f32_e32 v125, v104, v186
	s_waitcnt vmcnt(45)
	v_fmac_f32_e32 v124, v102, v187
	;; [unrolled: 2-line block ×3, first 2 shown]
	v_add_f32_e32 v123, 0, v123
	v_add_f32_e32 v123, v123, v124
	;; [unrolled: 1-line block ×3, first 2 shown]
	s_waitcnt vmcnt(40)
	v_fmac_f32_e32 v126, v106, v192
	v_fmac_f32_e32 v127, v108, v191
	v_add_f32_e32 v123, v123, v126
	v_fmac_f32_e32 v128, v110, v190
	v_add_f32_e32 v123, v123, v127
	v_fmac_f32_e32 v129, v112, v189
	v_add_f32_e32 v123, v123, v128
	s_waitcnt vmcnt(36)
	v_fmac_f32_e32 v130, v114, v196
	v_add_f32_e32 v123, v123, v129
	v_fmac_f32_e32 v131, v116, v195
	v_add_f32_e32 v123, v123, v130
	;; [unrolled: 2-line block ×4, first 2 shown]
	v_add_f32_e32 v127, v123, v133
	ds_read_b128 v[123:126], v98 offset:544
	buffer_load_dword v233, off, s[0:3], 0 offset:288
	buffer_load_dword v234, off, s[0:3], 0 offset:292
	;; [unrolled: 1-line block ×6, first 2 shown]
	s_waitcnt vmcnt(41)
	v_mul_f32_e32 v128, v121, v197
	s_waitcnt vmcnt(35)
	v_fmac_f32_e32 v128, v122, v203
	v_add_f32_e32 v131, v127, v128
	ds_read_b128 v[127:130], v98 offset:560
	buffer_load_dword v239, off, s[0:3], 0 offset:312
	buffer_load_dword v240, off, s[0:3], 0 offset:316
	;; [unrolled: 1-line block ×10, first 2 shown]
	s_waitcnt vmcnt(44) lgkmcnt(1)
	v_mul_f32_e32 v132, v123, v204
	v_fmac_f32_e32 v132, v124, v202
	v_add_f32_e32 v131, v131, v132
	v_mul_f32_e32 v132, v125, v199
	v_fmac_f32_e32 v132, v126, v198
	v_add_f32_e32 v131, v131, v132
	s_waitcnt lgkmcnt(0)
	v_mul_f32_e32 v132, v127, v201
	buffer_load_dword v249, off, s[0:3], 0 offset:352
	buffer_load_dword v250, off, s[0:3], 0 offset:356
	;; [unrolled: 1-line block ×6, first 2 shown]
	v_fmac_f32_e32 v132, v128, v200
	s_waitcnt vmcnt(46)
	v_mul_f32_e32 v136, v129, v208
	v_add_f32_e32 v135, v131, v132
	v_fmac_f32_e32 v136, v130, v207
	ds_read_b128 v[131:134], v98 offset:576
	v_add_f32_e32 v139, v135, v136
	ds_read_b128 v[135:138], v98 offset:592
	buffer_load_dword v255, off, s[0:3], 0 offset:376
	buffer_load_dword v7, off, s[0:3], 0 offset:380
	v_mul_f32_e32 v3, v100, v3
	v_fma_f32 v3, v99, v188, -v3
	v_mul_f32_e32 v4, v102, v4
	v_add_f32_e32 v3, 0, v3
	v_fma_f32 v4, v101, v187, -v4
	v_add_f32_e32 v3, v3, v4
	v_mul_f32_e32 v4, v104, v5
	v_fma_f32 v4, v103, v186, -v4
	v_add_f32_e32 v3, v3, v4
	v_mul_f32_e32 v4, v106, v6
	v_fma_f32 v4, v105, v192, -v4
	v_add_f32_e32 v3, v3, v4
	v_mul_f32_e32 v4, v108, v179
	v_fma_f32 v4, v107, v191, -v4
	v_add_f32_e32 v3, v3, v4
	v_mul_f32_e32 v4, v110, v180
	v_fma_f32 v4, v109, v190, -v4
	v_add_f32_e32 v3, v3, v4
	v_mul_f32_e32 v4, v112, v181
	v_fma_f32 v4, v111, v189, -v4
	v_add_f32_e32 v3, v3, v4
	v_mul_f32_e32 v4, v114, v182
	v_fma_f32 v4, v113, v196, -v4
	v_add_f32_e32 v3, v3, v4
	v_mul_f32_e32 v4, v116, v183
	s_waitcnt vmcnt(46) lgkmcnt(1)
	v_mul_f32_e32 v8, v131, v210
	v_fma_f32 v4, v115, v195, -v4
	v_fmac_f32_e32 v8, v132, v209
	v_add_f32_e32 v3, v3, v4
	v_mul_f32_e32 v4, v118, v184
	v_add_f32_e32 v8, v139, v8
	s_waitcnt vmcnt(44)
	v_mul_f32_e32 v139, v133, v212
	v_fma_f32 v4, v117, v194, -v4
	v_fmac_f32_e32 v139, v134, v211
	v_add_f32_e32 v3, v3, v4
	v_mul_f32_e32 v4, v120, v185
	v_add_f32_e32 v8, v8, v139
	s_waitcnt vmcnt(42) lgkmcnt(0)
	v_mul_f32_e32 v139, v135, v214
	v_fma_f32 v4, v119, v193, -v4
	v_fmac_f32_e32 v139, v136, v213
	v_add_f32_e32 v3, v3, v4
	v_mul_f32_e32 v4, v122, v197
	v_add_f32_e32 v8, v8, v139
	ds_read_b128 v[139:142], v98 offset:608
	v_fma_f32 v4, v121, v203, -v4
	v_add_f32_e32 v3, v3, v4
	v_mul_f32_e32 v4, v124, v204
	s_waitcnt vmcnt(40)
	v_mul_f32_e32 v143, v137, v216
	v_fma_f32 v4, v123, v202, -v4
	v_fmac_f32_e32 v143, v138, v215
	v_add_f32_e32 v3, v3, v4
	v_mul_f32_e32 v4, v126, v199
	v_add_f32_e32 v8, v8, v143
	ds_read_b128 v[143:146], v98 offset:624
	v_fma_f32 v4, v125, v198, -v4
	s_waitcnt vmcnt(38) lgkmcnt(1)
	v_mul_f32_e32 v147, v139, v218
	v_add_f32_e32 v3, v3, v4
	v_mul_f32_e32 v4, v128, v201
	v_fmac_f32_e32 v147, v140, v217
	v_fma_f32 v4, v127, v200, -v4
	v_add_f32_e32 v8, v8, v147
	s_waitcnt vmcnt(36)
	v_mul_f32_e32 v147, v141, v220
	v_add_f32_e32 v3, v3, v4
	v_mul_f32_e32 v4, v130, v208
	v_fmac_f32_e32 v147, v142, v219
	v_fma_f32 v4, v129, v207, -v4
	v_add_f32_e32 v8, v8, v147
	s_waitcnt vmcnt(34) lgkmcnt(0)
	v_mul_f32_e32 v147, v143, v222
	v_add_f32_e32 v3, v3, v4
	v_mul_f32_e32 v4, v132, v210
	v_fmac_f32_e32 v147, v144, v221
	v_fma_f32 v4, v131, v209, -v4
	v_add_f32_e32 v8, v8, v147
	ds_read_b128 v[147:150], v98 offset:640
	v_add_f32_e32 v3, v3, v4
	v_mul_f32_e32 v4, v134, v212
	v_fma_f32 v4, v133, v211, -v4
	s_waitcnt vmcnt(32)
	v_mul_f32_e32 v151, v145, v224
	v_add_f32_e32 v3, v3, v4
	v_mul_f32_e32 v4, v136, v214
	v_fmac_f32_e32 v151, v146, v223
	v_fma_f32 v4, v135, v213, -v4
	v_add_f32_e32 v8, v8, v151
	ds_read_b128 v[151:154], v98 offset:656
	v_add_f32_e32 v3, v3, v4
	v_mul_f32_e32 v4, v138, v216
	s_waitcnt vmcnt(30) lgkmcnt(1)
	v_mul_f32_e32 v155, v147, v226
	v_fma_f32 v4, v137, v215, -v4
	v_fmac_f32_e32 v155, v148, v225
	v_add_f32_e32 v3, v3, v4
	v_mul_f32_e32 v4, v140, v218
	v_add_f32_e32 v8, v8, v155
	s_waitcnt vmcnt(29)
	v_mul_f32_e32 v155, v149, v227
	v_fma_f32 v4, v139, v217, -v4
	s_waitcnt vmcnt(26)
	v_fmac_f32_e32 v155, v150, v230
	v_add_f32_e32 v3, v3, v4
	v_mul_f32_e32 v4, v142, v220
	v_add_f32_e32 v8, v8, v155
	s_waitcnt lgkmcnt(0)
	v_mul_f32_e32 v155, v151, v229
	v_fma_f32 v4, v141, v219, -v4
	v_fmac_f32_e32 v155, v152, v228
	v_add_f32_e32 v3, v3, v4
	v_mul_f32_e32 v4, v144, v222
	v_add_f32_e32 v8, v8, v155
	ds_read_b128 v[155:158], v98 offset:672
	v_fma_f32 v4, v143, v221, -v4
	v_add_f32_e32 v3, v3, v4
	v_mul_f32_e32 v4, v146, v224
	s_waitcnt vmcnt(24)
	v_mul_f32_e32 v159, v153, v232
	v_fma_f32 v4, v145, v223, -v4
	v_fmac_f32_e32 v159, v154, v231
	v_add_f32_e32 v3, v3, v4
	v_mul_f32_e32 v4, v148, v226
	v_add_f32_e32 v8, v8, v159
	ds_read_b128 v[159:162], v98 offset:688
	v_fma_f32 v4, v147, v225, -v4
	s_waitcnt vmcnt(22) lgkmcnt(1)
	v_mul_f32_e32 v163, v155, v234
	v_add_f32_e32 v3, v3, v4
	v_mul_f32_e32 v4, v150, v227
	v_fmac_f32_e32 v163, v156, v233
	v_fma_f32 v4, v149, v230, -v4
	v_add_f32_e32 v8, v8, v163
	s_waitcnt vmcnt(21)
	v_mul_f32_e32 v163, v157, v235
	v_add_f32_e32 v3, v3, v4
	v_mul_f32_e32 v4, v152, v229
	s_waitcnt vmcnt(18)
	v_fmac_f32_e32 v163, v158, v238
	v_fma_f32 v4, v151, v228, -v4
	v_add_f32_e32 v8, v8, v163
	s_waitcnt lgkmcnt(0)
	v_mul_f32_e32 v163, v159, v237
	v_add_f32_e32 v3, v3, v4
	v_mul_f32_e32 v4, v154, v232
	v_fmac_f32_e32 v163, v160, v236
	v_fma_f32 v4, v153, v231, -v4
	v_add_f32_e32 v8, v8, v163
	ds_read_b128 v[163:166], v98 offset:704
	v_add_f32_e32 v3, v3, v4
	v_mul_f32_e32 v4, v156, v234
	v_fma_f32 v4, v155, v233, -v4
	s_waitcnt vmcnt(16)
	v_mul_f32_e32 v167, v161, v240
	v_add_f32_e32 v3, v3, v4
	v_mul_f32_e32 v4, v158, v235
	v_fmac_f32_e32 v167, v162, v239
	v_fma_f32 v4, v157, v238, -v4
	v_add_f32_e32 v8, v8, v167
	ds_read_b128 v[167:170], v98 offset:720
	v_add_f32_e32 v3, v3, v4
	v_mul_f32_e32 v4, v160, v237
	s_waitcnt vmcnt(14) lgkmcnt(1)
	v_mul_f32_e32 v171, v163, v242
	v_fma_f32 v4, v159, v236, -v4
	v_fmac_f32_e32 v171, v164, v241
	v_add_f32_e32 v3, v3, v4
	v_mul_f32_e32 v4, v162, v240
	v_add_f32_e32 v8, v8, v171
	s_waitcnt vmcnt(13)
	v_mul_f32_e32 v171, v165, v243
	v_fma_f32 v4, v161, v239, -v4
	s_waitcnt vmcnt(10)
	v_fmac_f32_e32 v171, v166, v246
	v_add_f32_e32 v3, v3, v4
	v_mul_f32_e32 v4, v164, v242
	v_add_f32_e32 v8, v8, v171
	s_waitcnt lgkmcnt(0)
	v_mul_f32_e32 v171, v167, v245
	v_fma_f32 v4, v163, v241, -v4
	v_fmac_f32_e32 v171, v168, v244
	v_add_f32_e32 v3, v3, v4
	v_mul_f32_e32 v4, v166, v243
	v_add_f32_e32 v8, v8, v171
	ds_read_b128 v[171:174], v98 offset:736
	v_fma_f32 v4, v165, v246, -v4
	v_add_f32_e32 v3, v3, v4
	v_mul_f32_e32 v4, v168, v245
	s_waitcnt vmcnt(8)
	v_mul_f32_e32 v175, v169, v248
	v_fma_f32 v4, v167, v244, -v4
	v_fmac_f32_e32 v175, v170, v247
	v_add_f32_e32 v3, v3, v4
	v_mul_f32_e32 v4, v170, v248
	v_add_f32_e32 v8, v8, v175
	ds_read_b128 v[175:178], v98 offset:752
	v_fma_f32 v4, v169, v247, -v4
	v_add_f32_e32 v3, v3, v4
	s_waitcnt vmcnt(6) lgkmcnt(1)
	v_mul_f32_e32 v4, v172, v250
	v_mul_f32_e32 v98, v171, v250
	v_fma_f32 v4, v171, v249, -v4
	v_fmac_f32_e32 v98, v172, v249
	v_add_f32_e32 v3, v3, v4
	s_waitcnt vmcnt(5)
	v_mul_f32_e32 v4, v174, v251
	v_add_f32_e32 v8, v8, v98
	v_mul_f32_e32 v98, v173, v251
	s_waitcnt vmcnt(2)
	v_fma_f32 v4, v173, v254, -v4
	v_fmac_f32_e32 v98, v174, v254
	v_add_f32_e32 v3, v3, v4
	s_waitcnt lgkmcnt(0)
	v_mul_f32_e32 v4, v176, v253
	v_add_f32_e32 v8, v8, v98
	v_mul_f32_e32 v98, v175, v253
	v_fma_f32 v4, v175, v252, -v4
	v_fmac_f32_e32 v98, v176, v252
	v_add_f32_e32 v3, v3, v4
	s_waitcnt vmcnt(0)
	v_mul_f32_e32 v4, v178, v7
	v_add_f32_e32 v8, v8, v98
	v_mul_f32_e32 v98, v177, v7
	v_fma_f32 v4, v177, v255, -v4
	v_fmac_f32_e32 v98, v178, v255
	v_add_f32_e32 v3, v3, v4
	v_add_f32_e32 v8, v8, v98
	v_sub_f32_e32 v3, v205, v3
	v_sub_f32_e32 v4, v206, v8
	buffer_store_dword v3, off, s[0:3], 0 offset:56
	buffer_store_dword v4, off, s[0:3], 0 offset:60
	s_and_saveexec_b64 s[4:5], vcc
	s_cbranch_execz .LBB111_289
; %bb.288:
	buffer_load_dword v98, off, s[0:3], 0 offset:48
	buffer_load_dword v99, off, s[0:3], 0 offset:52
	v_mov_b32_e32 v3, 0
	buffer_store_dword v3, off, s[0:3], 0 offset:48
	buffer_store_dword v3, off, s[0:3], 0 offset:52
	s_waitcnt vmcnt(2)
	ds_write_b64 v97, v[98:99]
.LBB111_289:
	s_or_b64 exec, exec, s[4:5]
	s_waitcnt lgkmcnt(0)
	; wave barrier
	buffer_load_dword v107, off, s[0:3], 0 offset:60
	buffer_load_dword v106, off, s[0:3], 0 offset:68
	;; [unrolled: 1-line block ×50, first 2 shown]
	v_mov_b32_e32 v98, 0
	ds_read2_b64 v[108:111], v98 offset0:55 offset1:56
	ds_read2_b64 v[112:115], v98 offset0:57 offset1:58
	;; [unrolled: 1-line block ×6, first 2 shown]
	buffer_load_dword v225, off, s[0:3], 0 offset:248
	buffer_load_dword v226, off, s[0:3], 0 offset:252
	;; [unrolled: 1-line block ×6, first 2 shown]
	v_cmp_lt_u32_e32 vcc, 5, v0
	s_waitcnt vmcnt(55) lgkmcnt(5)
	v_mul_f32_e32 v132, v108, v107
	s_waitcnt vmcnt(54)
	v_mul_f32_e32 v133, v110, v106
	s_waitcnt vmcnt(53) lgkmcnt(4)
	v_mul_f32_e32 v134, v112, v105
	s_waitcnt vmcnt(52)
	v_mul_f32_e32 v135, v114, v104
	;; [unrolled: 4-line block ×5, first 2 shown]
	s_waitcnt vmcnt(45) lgkmcnt(0)
	v_mul_f32_e32 v142, v128, v6
	s_waitcnt vmcnt(44)
	v_fmac_f32_e32 v134, v113, v7
	s_waitcnt vmcnt(43)
	v_fmac_f32_e32 v133, v111, v8
	;; [unrolled: 2-line block ×3, first 2 shown]
	v_add_f32_e32 v132, 0, v132
	v_add_f32_e32 v132, v132, v133
	v_add_f32_e32 v132, v132, v134
	s_waitcnt vmcnt(38)
	v_fmac_f32_e32 v135, v115, v194
	v_fmac_f32_e32 v136, v117, v193
	v_add_f32_e32 v132, v132, v135
	v_fmac_f32_e32 v137, v119, v192
	v_add_f32_e32 v132, v132, v136
	;; [unrolled: 2-line block ×3, first 2 shown]
	s_waitcnt vmcnt(34)
	v_fmac_f32_e32 v139, v123, v198
	v_add_f32_e32 v132, v132, v138
	v_fmac_f32_e32 v140, v125, v197
	v_add_f32_e32 v132, v132, v139
	;; [unrolled: 2-line block ×4, first 2 shown]
	v_add_f32_e32 v136, v132, v142
	ds_read2_b64 v[132:135], v98 offset0:67 offset1:68
	buffer_load_dword v231, off, s[0:3], 0 offset:272
	buffer_load_dword v232, off, s[0:3], 0 offset:276
	s_waitcnt vmcnt(35)
	v_mul_f32_e32 v137, v130, v199
	s_waitcnt vmcnt(29)
	v_fmac_f32_e32 v137, v131, v205
	v_add_f32_e32 v140, v136, v137
	ds_read2_b64 v[136:139], v98 offset0:69 offset1:70
	buffer_load_dword v233, off, s[0:3], 0 offset:280
	buffer_load_dword v234, off, s[0:3], 0 offset:284
	;; [unrolled: 1-line block ×14, first 2 shown]
	s_waitcnt vmcnt(42) lgkmcnt(1)
	v_mul_f32_e32 v141, v132, v206
	v_fmac_f32_e32 v141, v133, v204
	buffer_load_dword v247, off, s[0:3], 0 offset:336
	buffer_load_dword v248, off, s[0:3], 0 offset:340
	v_add_f32_e32 v140, v140, v141
	v_mul_f32_e32 v141, v134, v201
	v_fmac_f32_e32 v141, v135, v200
	v_add_f32_e32 v140, v140, v141
	s_waitcnt lgkmcnt(0)
	v_mul_f32_e32 v141, v136, v203
	v_fmac_f32_e32 v141, v137, v202
	v_add_f32_e32 v144, v140, v141
	ds_read2_b64 v[140:143], v98 offset0:71 offset1:72
	buffer_load_dword v249, off, s[0:3], 0 offset:344
	buffer_load_dword v250, off, s[0:3], 0 offset:348
	;; [unrolled: 1-line block ×6, first 2 shown]
	s_waitcnt vmcnt(46)
	v_mul_f32_e32 v145, v138, v208
	v_fmac_f32_e32 v145, v139, v207
	v_add_f32_e32 v148, v144, v145
	ds_read2_b64 v[144:147], v98 offset0:73 offset1:74
	buffer_load_dword v255, off, s[0:3], 0 offset:372
	buffer_load_dword v9, off, s[0:3], 0 offset:376
	buffer_load_dword v10, off, s[0:3], 0 offset:380
	buffer_load_dword v11, off, s[0:3], 0 offset:368
	s_waitcnt vmcnt(48) lgkmcnt(1)
	v_mul_f32_e32 v149, v140, v210
	v_fmac_f32_e32 v149, v141, v209
	v_add_f32_e32 v12, v148, v149
	s_waitcnt vmcnt(46)
	v_mul_f32_e32 v148, v142, v212
	v_fmac_f32_e32 v148, v143, v211
	v_add_f32_e32 v12, v12, v148
	s_waitcnt vmcnt(44) lgkmcnt(0)
	v_mul_f32_e32 v148, v144, v214
	v_fmac_f32_e32 v148, v145, v213
	v_add_f32_e32 v12, v12, v148
	ds_read2_b64 v[148:151], v98 offset0:75 offset1:76
	s_waitcnt vmcnt(42)
	v_mul_f32_e32 v152, v146, v216
	v_fmac_f32_e32 v152, v147, v215
	v_add_f32_e32 v12, v12, v152
	ds_read2_b64 v[152:155], v98 offset0:77 offset1:78
	s_waitcnt vmcnt(40) lgkmcnt(1)
	v_mul_f32_e32 v156, v148, v218
	v_fmac_f32_e32 v156, v149, v217
	v_add_f32_e32 v12, v12, v156
	s_waitcnt vmcnt(38)
	v_mul_f32_e32 v156, v150, v220
	v_fmac_f32_e32 v156, v151, v219
	v_add_f32_e32 v12, v12, v156
	s_waitcnt vmcnt(36) lgkmcnt(0)
	v_mul_f32_e32 v156, v152, v222
	v_fmac_f32_e32 v156, v153, v221
	v_add_f32_e32 v12, v12, v156
	ds_read2_b64 v[156:159], v98 offset0:79 offset1:80
	s_waitcnt vmcnt(34)
	v_mul_f32_e32 v160, v154, v224
	v_fmac_f32_e32 v160, v155, v223
	v_add_f32_e32 v12, v12, v160
	ds_read2_b64 v[160:163], v98 offset0:81 offset1:82
	s_waitcnt vmcnt(32) lgkmcnt(1)
	v_mul_f32_e32 v164, v156, v226
	v_fmac_f32_e32 v164, v157, v225
	v_add_f32_e32 v12, v12, v164
	s_waitcnt vmcnt(31)
	v_mul_f32_e32 v164, v158, v227
	s_waitcnt vmcnt(28)
	v_fmac_f32_e32 v164, v159, v230
	v_add_f32_e32 v12, v12, v164
	s_waitcnt lgkmcnt(0)
	v_mul_f32_e32 v164, v160, v229
	v_fmac_f32_e32 v164, v161, v228
	v_add_f32_e32 v12, v12, v164
	ds_read2_b64 v[164:167], v98 offset0:83 offset1:84
	v_mul_f32_e32 v14, v111, v106
	v_fma_f32 v8, v110, v8, -v14
	v_mul_f32_e32 v3, v123, v3
	v_fma_f32 v3, v122, v198, -v3
	v_mul_f32_e32 v4, v125, v4
	v_fma_f32 v4, v124, v197, -v4
	s_waitcnt vmcnt(26)
	v_mul_f32_e32 v168, v162, v232
	v_fmac_f32_e32 v168, v163, v231
	v_add_f32_e32 v12, v12, v168
	ds_read2_b64 v[168:171], v98 offset0:85 offset1:86
	s_waitcnt vmcnt(24) lgkmcnt(1)
	v_mul_f32_e32 v172, v164, v234
	v_fmac_f32_e32 v172, v165, v233
	v_add_f32_e32 v12, v12, v172
	s_waitcnt vmcnt(23)
	v_mul_f32_e32 v172, v166, v235
	s_waitcnt vmcnt(20)
	v_fmac_f32_e32 v172, v167, v238
	v_add_f32_e32 v12, v12, v172
	s_waitcnt lgkmcnt(0)
	v_mul_f32_e32 v172, v168, v237
	v_fmac_f32_e32 v172, v169, v236
	v_add_f32_e32 v12, v12, v172
	ds_read2_b64 v[172:175], v98 offset0:87 offset1:88
	s_waitcnt vmcnt(18)
	v_mul_f32_e32 v176, v170, v240
	v_fmac_f32_e32 v176, v171, v239
	v_add_f32_e32 v12, v12, v176
	ds_read2_b64 v[176:179], v98 offset0:89 offset1:90
	s_waitcnt vmcnt(16) lgkmcnt(1)
	v_mul_f32_e32 v180, v172, v242
	v_fmac_f32_e32 v180, v173, v241
	v_add_f32_e32 v12, v12, v180
	s_waitcnt vmcnt(15)
	v_mul_f32_e32 v180, v174, v243
	s_waitcnt vmcnt(12)
	v_fmac_f32_e32 v180, v175, v246
	v_add_f32_e32 v12, v12, v180
	s_waitcnt lgkmcnt(0)
	v_mul_f32_e32 v180, v176, v245
	v_fmac_f32_e32 v180, v177, v244
	v_add_f32_e32 v12, v12, v180
	ds_read2_b64 v[180:183], v98 offset0:91 offset1:92
	s_waitcnt vmcnt(10)
	v_mul_f32_e32 v184, v178, v248
	v_fmac_f32_e32 v184, v179, v247
	v_add_f32_e32 v12, v12, v184
	ds_read2_b64 v[184:187], v98 offset0:93 offset1:94
	s_waitcnt vmcnt(8) lgkmcnt(1)
	v_mul_f32_e32 v188, v180, v250
	v_fmac_f32_e32 v188, v181, v249
	v_add_f32_e32 v12, v12, v188
	s_waitcnt vmcnt(7)
	v_mul_f32_e32 v188, v182, v251
	s_waitcnt vmcnt(4)
	v_fmac_f32_e32 v188, v183, v254
	v_add_f32_e32 v12, v12, v188
	ds_read_b64 v[188:189], v98 offset:760
	s_waitcnt lgkmcnt(1)
	v_mul_f32_e32 v13, v184, v253
	v_fmac_f32_e32 v13, v185, v252
	v_add_f32_e32 v12, v12, v13
	s_waitcnt vmcnt(3)
	v_mul_f32_e32 v13, v186, v255
	s_waitcnt vmcnt(0)
	v_fmac_f32_e32 v13, v187, v11
	v_add_f32_e32 v12, v12, v13
	s_waitcnt lgkmcnt(0)
	v_mul_f32_e32 v13, v188, v10
	v_fmac_f32_e32 v13, v189, v9
	v_add_f32_e32 v12, v12, v13
	v_mul_f32_e32 v13, v109, v107
	v_fma_f32 v13, v108, v190, -v13
	v_add_f32_e32 v13, 0, v13
	v_add_f32_e32 v8, v13, v8
	v_mul_f32_e32 v13, v113, v105
	v_fma_f32 v7, v112, v7, -v13
	v_add_f32_e32 v7, v8, v7
	v_mul_f32_e32 v8, v115, v104
	v_fma_f32 v8, v114, v194, -v8
	;; [unrolled: 3-line block ×5, first 2 shown]
	v_add_f32_e32 v7, v7, v8
	v_add_f32_e32 v3, v7, v3
	;; [unrolled: 1-line block ×3, first 2 shown]
	v_mul_f32_e32 v4, v127, v5
	v_fma_f32 v4, v126, v196, -v4
	v_add_f32_e32 v3, v3, v4
	v_mul_f32_e32 v4, v129, v6
	v_fma_f32 v4, v128, v195, -v4
	v_add_f32_e32 v3, v3, v4
	;; [unrolled: 3-line block ×32, first 2 shown]
	v_sub_f32_e32 v3, v101, v3
	v_sub_f32_e32 v4, v102, v12
	buffer_store_dword v3, off, s[0:3], 0 offset:48
	buffer_store_dword v4, off, s[0:3], 0 offset:52
	s_and_saveexec_b64 s[4:5], vcc
	s_cbranch_execz .LBB111_291
; %bb.290:
	buffer_load_dword v99, off, s[0:3], 0 offset:40
	buffer_load_dword v100, off, s[0:3], 0 offset:44
	s_waitcnt vmcnt(0)
	ds_write_b64 v97, v[99:100]
	buffer_store_dword v98, off, s[0:3], 0 offset:40
	buffer_store_dword v98, off, s[0:3], 0 offset:44
.LBB111_291:
	s_or_b64 exec, exec, s[4:5]
	s_waitcnt lgkmcnt(0)
	; wave barrier
	buffer_load_dword v3, off, s[0:3], 0 offset:52
	buffer_load_dword v4, off, s[0:3], 0 offset:60
	;; [unrolled: 1-line block ×32, first 2 shown]
	ds_read_b128 v[99:102], v98 offset:432
	ds_read_b128 v[103:106], v98 offset:448
	;; [unrolled: 1-line block ×6, first 2 shown]
	buffer_load_dword v203, off, s[0:3], 0 offset:168
	buffer_load_dword v204, off, s[0:3], 0 offset:172
	;; [unrolled: 1-line block ×18, first 2 shown]
	v_cmp_lt_u32_e32 vcc, 4, v0
	s_waitcnt vmcnt(49) lgkmcnt(5)
	v_mul_f32_e32 v123, v99, v3
	s_waitcnt vmcnt(48)
	v_mul_f32_e32 v124, v101, v4
	s_waitcnt vmcnt(47) lgkmcnt(4)
	v_mul_f32_e32 v125, v103, v5
	s_waitcnt vmcnt(46)
	v_mul_f32_e32 v126, v105, v6
	;; [unrolled: 4-line block ×6, first 2 shown]
	s_waitcnt vmcnt(37)
	v_fmac_f32_e32 v125, v104, v183
	s_waitcnt vmcnt(36)
	v_fmac_f32_e32 v124, v102, v184
	;; [unrolled: 2-line block ×3, first 2 shown]
	v_add_f32_e32 v123, 0, v123
	v_add_f32_e32 v123, v123, v124
	;; [unrolled: 1-line block ×3, first 2 shown]
	s_waitcnt vmcnt(31)
	v_fmac_f32_e32 v126, v106, v189
	v_fmac_f32_e32 v127, v108, v188
	v_add_f32_e32 v123, v123, v126
	v_fmac_f32_e32 v128, v110, v187
	v_add_f32_e32 v123, v123, v127
	v_fmac_f32_e32 v129, v112, v186
	v_add_f32_e32 v123, v123, v128
	s_waitcnt vmcnt(27)
	v_fmac_f32_e32 v130, v114, v193
	v_add_f32_e32 v123, v123, v129
	v_fmac_f32_e32 v131, v116, v192
	v_add_f32_e32 v123, v123, v130
	;; [unrolled: 2-line block ×3, first 2 shown]
	v_add_f32_e32 v127, v123, v132
	ds_read_b128 v[123:126], v98 offset:528
	buffer_load_dword v221, off, s[0:3], 0 offset:240
	buffer_load_dword v222, off, s[0:3], 0 offset:244
	;; [unrolled: 1-line block ×6, first 2 shown]
	v_fmac_f32_e32 v133, v120, v190
	s_waitcnt vmcnt(27)
	v_fmac_f32_e32 v134, v122, v199
	v_add_f32_e32 v127, v127, v133
	v_add_f32_e32 v131, v127, v134
	ds_read_b128 v[127:130], v98 offset:544
	buffer_load_dword v227, off, s[0:3], 0 offset:264
	buffer_load_dword v228, off, s[0:3], 0 offset:268
	;; [unrolled: 1-line block ×10, first 2 shown]
	s_waitcnt vmcnt(36) lgkmcnt(1)
	v_mul_f32_e32 v132, v123, v200
	buffer_load_dword v237, off, s[0:3], 0 offset:304
	buffer_load_dword v238, off, s[0:3], 0 offset:308
	;; [unrolled: 1-line block ×6, first 2 shown]
	v_fmac_f32_e32 v132, v124, v198
	v_add_f32_e32 v131, v131, v132
	v_mul_f32_e32 v132, v125, v195
	v_fmac_f32_e32 v132, v126, v194
	v_add_f32_e32 v131, v131, v132
	s_waitcnt lgkmcnt(0)
	v_mul_f32_e32 v132, v127, v197
	v_fmac_f32_e32 v132, v128, v196
	v_add_f32_e32 v135, v131, v132
	ds_read_b128 v[131:134], v98 offset:560
	buffer_load_dword v243, off, s[0:3], 0 offset:328
	buffer_load_dword v244, off, s[0:3], 0 offset:332
	s_waitcnt vmcnt(40)
	v_mul_f32_e32 v136, v129, v204
	v_fmac_f32_e32 v136, v130, v203
	v_add_f32_e32 v139, v135, v136
	ds_read_b128 v[135:138], v98 offset:576
	buffer_load_dword v245, off, s[0:3], 0 offset:336
	buffer_load_dword v246, off, s[0:3], 0 offset:340
	;; [unrolled: 1-line block ×12, first 2 shown]
	v_mul_f32_e32 v3, v100, v3
	v_fma_f32 v3, v99, v185, -v3
	v_mul_f32_e32 v4, v102, v4
	v_add_f32_e32 v3, 0, v3
	v_fma_f32 v4, v101, v184, -v4
	v_add_f32_e32 v3, v3, v4
	v_mul_f32_e32 v4, v104, v5
	v_fma_f32 v4, v103, v183, -v4
	v_add_f32_e32 v3, v3, v4
	v_mul_f32_e32 v4, v106, v6
	;; [unrolled: 3-line block ×6, first 2 shown]
	v_fma_f32 v4, v113, v193, -v4
	s_waitcnt vmcnt(50) lgkmcnt(1)
	v_mul_f32_e32 v140, v131, v206
	v_add_f32_e32 v3, v3, v4
	v_mul_f32_e32 v4, v116, v11
	v_fmac_f32_e32 v140, v132, v205
	v_fma_f32 v4, v115, v192, -v4
	v_add_f32_e32 v139, v139, v140
	s_waitcnt vmcnt(48)
	v_mul_f32_e32 v140, v133, v208
	v_add_f32_e32 v3, v3, v4
	v_mul_f32_e32 v4, v118, v12
	v_fmac_f32_e32 v140, v134, v207
	v_fma_f32 v4, v117, v191, -v4
	v_add_f32_e32 v16, v139, v140
	s_waitcnt vmcnt(46) lgkmcnt(0)
	v_mul_f32_e32 v139, v135, v210
	v_add_f32_e32 v3, v3, v4
	v_mul_f32_e32 v4, v120, v13
	v_fmac_f32_e32 v139, v136, v209
	v_fma_f32 v4, v119, v190, -v4
	v_add_f32_e32 v16, v16, v139
	ds_read_b128 v[139:142], v98 offset:592
	v_add_f32_e32 v3, v3, v4
	v_mul_f32_e32 v4, v122, v14
	v_fma_f32 v4, v121, v199, -v4
	s_waitcnt vmcnt(44)
	v_mul_f32_e32 v143, v137, v212
	v_add_f32_e32 v3, v3, v4
	v_mul_f32_e32 v4, v124, v200
	v_fmac_f32_e32 v143, v138, v211
	v_fma_f32 v4, v123, v198, -v4
	v_add_f32_e32 v16, v16, v143
	ds_read_b128 v[143:146], v98 offset:608
	v_add_f32_e32 v3, v3, v4
	v_mul_f32_e32 v4, v126, v195
	s_waitcnt vmcnt(42) lgkmcnt(1)
	v_mul_f32_e32 v147, v139, v214
	v_fma_f32 v4, v125, v194, -v4
	v_fmac_f32_e32 v147, v140, v213
	v_add_f32_e32 v3, v3, v4
	v_mul_f32_e32 v4, v128, v197
	v_add_f32_e32 v16, v16, v147
	s_waitcnt vmcnt(40)
	v_mul_f32_e32 v147, v141, v216
	v_fma_f32 v4, v127, v196, -v4
	v_fmac_f32_e32 v147, v142, v215
	v_add_f32_e32 v3, v3, v4
	v_mul_f32_e32 v4, v130, v204
	v_add_f32_e32 v16, v16, v147
	s_waitcnt vmcnt(38) lgkmcnt(0)
	v_mul_f32_e32 v147, v143, v218
	v_fma_f32 v4, v129, v203, -v4
	v_fmac_f32_e32 v147, v144, v217
	v_add_f32_e32 v3, v3, v4
	v_mul_f32_e32 v4, v132, v206
	v_add_f32_e32 v16, v16, v147
	ds_read_b128 v[147:150], v98 offset:624
	v_fma_f32 v4, v131, v205, -v4
	v_add_f32_e32 v3, v3, v4
	v_mul_f32_e32 v4, v134, v208
	s_waitcnt vmcnt(36)
	v_mul_f32_e32 v151, v145, v220
	v_fma_f32 v4, v133, v207, -v4
	v_fmac_f32_e32 v151, v146, v219
	v_add_f32_e32 v3, v3, v4
	v_mul_f32_e32 v4, v136, v210
	v_add_f32_e32 v16, v16, v151
	ds_read_b128 v[151:154], v98 offset:640
	v_fma_f32 v4, v135, v209, -v4
	s_waitcnt vmcnt(34) lgkmcnt(1)
	v_mul_f32_e32 v155, v147, v222
	v_add_f32_e32 v3, v3, v4
	v_mul_f32_e32 v4, v138, v212
	v_fmac_f32_e32 v155, v148, v221
	v_fma_f32 v4, v137, v211, -v4
	v_add_f32_e32 v16, v16, v155
	s_waitcnt vmcnt(33)
	v_mul_f32_e32 v155, v149, v223
	v_add_f32_e32 v3, v3, v4
	v_mul_f32_e32 v4, v140, v214
	s_waitcnt vmcnt(30)
	v_fmac_f32_e32 v155, v150, v226
	v_fma_f32 v4, v139, v213, -v4
	v_add_f32_e32 v16, v16, v155
	s_waitcnt lgkmcnt(0)
	v_mul_f32_e32 v155, v151, v225
	v_add_f32_e32 v3, v3, v4
	v_mul_f32_e32 v4, v142, v216
	v_fmac_f32_e32 v155, v152, v224
	v_fma_f32 v4, v141, v215, -v4
	v_add_f32_e32 v16, v16, v155
	ds_read_b128 v[155:158], v98 offset:656
	v_add_f32_e32 v3, v3, v4
	v_mul_f32_e32 v4, v144, v218
	v_fma_f32 v4, v143, v217, -v4
	s_waitcnt vmcnt(28)
	v_mul_f32_e32 v159, v153, v228
	v_add_f32_e32 v3, v3, v4
	v_mul_f32_e32 v4, v146, v220
	v_fmac_f32_e32 v159, v154, v227
	v_fma_f32 v4, v145, v219, -v4
	v_add_f32_e32 v16, v16, v159
	ds_read_b128 v[159:162], v98 offset:672
	v_add_f32_e32 v3, v3, v4
	v_mul_f32_e32 v4, v148, v222
	s_waitcnt vmcnt(26) lgkmcnt(1)
	v_mul_f32_e32 v163, v155, v230
	v_fma_f32 v4, v147, v221, -v4
	v_fmac_f32_e32 v163, v156, v229
	v_add_f32_e32 v3, v3, v4
	v_mul_f32_e32 v4, v150, v223
	v_add_f32_e32 v16, v16, v163
	s_waitcnt vmcnt(25)
	v_mul_f32_e32 v163, v157, v231
	v_fma_f32 v4, v149, v226, -v4
	s_waitcnt vmcnt(22)
	v_fmac_f32_e32 v163, v158, v234
	v_add_f32_e32 v3, v3, v4
	v_mul_f32_e32 v4, v152, v225
	v_add_f32_e32 v16, v16, v163
	s_waitcnt lgkmcnt(0)
	v_mul_f32_e32 v163, v159, v233
	v_fma_f32 v4, v151, v224, -v4
	v_fmac_f32_e32 v163, v160, v232
	v_add_f32_e32 v3, v3, v4
	v_mul_f32_e32 v4, v154, v228
	v_add_f32_e32 v16, v16, v163
	ds_read_b128 v[163:166], v98 offset:688
	v_fma_f32 v4, v153, v227, -v4
	v_add_f32_e32 v3, v3, v4
	v_mul_f32_e32 v4, v156, v230
	s_waitcnt vmcnt(20)
	v_mul_f32_e32 v167, v161, v236
	v_fma_f32 v4, v155, v229, -v4
	v_fmac_f32_e32 v167, v162, v235
	v_add_f32_e32 v3, v3, v4
	v_mul_f32_e32 v4, v158, v231
	v_add_f32_e32 v16, v16, v167
	ds_read_b128 v[167:170], v98 offset:704
	v_fma_f32 v4, v157, v234, -v4
	s_waitcnt vmcnt(18) lgkmcnt(1)
	v_mul_f32_e32 v171, v163, v238
	v_add_f32_e32 v3, v3, v4
	v_mul_f32_e32 v4, v160, v233
	v_fmac_f32_e32 v171, v164, v237
	v_fma_f32 v4, v159, v232, -v4
	v_add_f32_e32 v16, v16, v171
	s_waitcnt vmcnt(17)
	v_mul_f32_e32 v171, v165, v239
	v_add_f32_e32 v3, v3, v4
	v_mul_f32_e32 v4, v162, v236
	s_waitcnt vmcnt(14)
	v_fmac_f32_e32 v171, v166, v242
	v_fma_f32 v4, v161, v235, -v4
	v_add_f32_e32 v16, v16, v171
	s_waitcnt lgkmcnt(0)
	v_mul_f32_e32 v171, v167, v241
	v_add_f32_e32 v3, v3, v4
	v_mul_f32_e32 v4, v164, v238
	v_fmac_f32_e32 v171, v168, v240
	v_fma_f32 v4, v163, v237, -v4
	v_add_f32_e32 v16, v16, v171
	ds_read_b128 v[171:174], v98 offset:720
	v_add_f32_e32 v3, v3, v4
	v_mul_f32_e32 v4, v166, v239
	v_fma_f32 v4, v165, v242, -v4
	v_add_f32_e32 v3, v3, v4
	v_mul_f32_e32 v4, v168, v241
	s_waitcnt vmcnt(12)
	v_mul_f32_e32 v175, v169, v244
	v_fma_f32 v4, v167, v240, -v4
	v_fmac_f32_e32 v175, v170, v243
	v_add_f32_e32 v3, v3, v4
	v_mul_f32_e32 v4, v170, v244
	v_add_f32_e32 v16, v16, v175
	ds_read_b128 v[175:178], v98 offset:736
	s_waitcnt vmcnt(10) lgkmcnt(1)
	v_mul_f32_e32 v179, v171, v246
	v_fma_f32 v4, v169, v243, -v4
	v_fmac_f32_e32 v179, v172, v245
	v_add_f32_e32 v3, v3, v4
	v_mul_f32_e32 v4, v172, v246
	v_add_f32_e32 v16, v16, v179
	s_waitcnt vmcnt(9)
	v_mul_f32_e32 v179, v173, v247
	v_fma_f32 v4, v171, v245, -v4
	s_waitcnt vmcnt(6)
	v_fmac_f32_e32 v179, v174, v250
	v_add_f32_e32 v3, v3, v4
	v_mul_f32_e32 v4, v174, v247
	v_add_f32_e32 v16, v16, v179
	ds_read_b128 v[179:182], v98 offset:752
	v_fma_f32 v4, v173, v250, -v4
	v_add_f32_e32 v3, v3, v4
	s_waitcnt lgkmcnt(1)
	v_mul_f32_e32 v4, v176, v249
	v_mul_f32_e32 v17, v175, v249
	v_fma_f32 v4, v175, v248, -v4
	v_fmac_f32_e32 v17, v176, v248
	v_add_f32_e32 v3, v3, v4
	s_waitcnt vmcnt(4)
	v_mul_f32_e32 v4, v178, v252
	v_add_f32_e32 v16, v16, v17
	v_mul_f32_e32 v17, v177, v252
	v_fma_f32 v4, v177, v251, -v4
	v_fmac_f32_e32 v17, v178, v251
	v_add_f32_e32 v3, v3, v4
	s_waitcnt vmcnt(3) lgkmcnt(0)
	v_mul_f32_e32 v4, v180, v253
	v_add_f32_e32 v16, v16, v17
	v_mul_f32_e32 v17, v179, v253
	s_waitcnt vmcnt(0)
	v_fma_f32 v4, v179, v15, -v4
	v_fmac_f32_e32 v17, v180, v15
	v_add_f32_e32 v3, v3, v4
	v_mul_f32_e32 v4, v182, v255
	v_add_f32_e32 v16, v16, v17
	v_mul_f32_e32 v17, v181, v255
	v_fma_f32 v4, v181, v254, -v4
	v_fmac_f32_e32 v17, v182, v254
	v_add_f32_e32 v3, v3, v4
	v_add_f32_e32 v16, v16, v17
	v_sub_f32_e32 v3, v201, v3
	v_sub_f32_e32 v4, v202, v16
	buffer_store_dword v3, off, s[0:3], 0 offset:40
	buffer_store_dword v4, off, s[0:3], 0 offset:44
	s_and_saveexec_b64 s[4:5], vcc
	s_cbranch_execz .LBB111_293
; %bb.292:
	buffer_load_dword v98, off, s[0:3], 0 offset:32
	buffer_load_dword v99, off, s[0:3], 0 offset:36
	v_mov_b32_e32 v3, 0
	buffer_store_dword v3, off, s[0:3], 0 offset:32
	buffer_store_dword v3, off, s[0:3], 0 offset:36
	s_waitcnt vmcnt(2)
	ds_write_b64 v97, v[98:99]
.LBB111_293:
	s_or_b64 exec, exec, s[4:5]
	s_waitcnt lgkmcnt(0)
	; wave barrier
	buffer_load_dword v107, off, s[0:3], 0 offset:44
	buffer_load_dword v106, off, s[0:3], 0 offset:52
	;; [unrolled: 1-line block ×48, first 2 shown]
	v_mov_b32_e32 v98, 0
	ds_read2_b64 v[113:116], v98 offset0:53 offset1:54
	ds_read2_b64 v[117:120], v98 offset0:55 offset1:56
	;; [unrolled: 1-line block ×6, first 2 shown]
	buffer_load_dword v217, off, s[0:3], 0 offset:224
	buffer_load_dword v218, off, s[0:3], 0 offset:228
	v_cmp_lt_u32_e32 vcc, 3, v0
	s_waitcnt vmcnt(49) lgkmcnt(5)
	v_mul_f32_e32 v137, v113, v107
	s_waitcnt vmcnt(48)
	v_mul_f32_e32 v138, v115, v106
	s_waitcnt vmcnt(47) lgkmcnt(4)
	v_mul_f32_e32 v139, v117, v105
	s_waitcnt vmcnt(46)
	v_mul_f32_e32 v140, v119, v104
	;; [unrolled: 4-line block ×6, first 2 shown]
	s_waitcnt vmcnt(37)
	v_fmac_f32_e32 v139, v118, v3
	s_waitcnt vmcnt(36)
	v_fmac_f32_e32 v138, v116, v4
	s_waitcnt vmcnt(35)
	v_fmac_f32_e32 v137, v114, v5
	v_add_f32_e32 v137, 0, v137
	v_add_f32_e32 v137, v137, v138
	;; [unrolled: 1-line block ×3, first 2 shown]
	s_waitcnt vmcnt(31)
	v_fmac_f32_e32 v140, v120, v9
	v_fmac_f32_e32 v141, v122, v8
	v_add_f32_e32 v137, v137, v140
	v_fmac_f32_e32 v142, v124, v7
	v_add_f32_e32 v137, v137, v141
	;; [unrolled: 2-line block ×3, first 2 shown]
	s_waitcnt vmcnt(27)
	v_fmac_f32_e32 v144, v128, v13
	v_add_f32_e32 v137, v137, v143
	v_fmac_f32_e32 v145, v130, v12
	v_add_f32_e32 v137, v137, v144
	;; [unrolled: 2-line block ×4, first 2 shown]
	v_add_f32_e32 v141, v137, v147
	ds_read2_b64 v[137:140], v98 offset0:65 offset1:66
	buffer_load_dword v219, off, s[0:3], 0 offset:232
	buffer_load_dword v220, off, s[0:3], 0 offset:236
	;; [unrolled: 1-line block ×6, first 2 shown]
	s_waitcnt vmcnt(28)
	v_fmac_f32_e32 v148, v136, v18
	v_add_f32_e32 v145, v141, v148
	ds_read2_b64 v[141:144], v98 offset0:67 offset1:68
	buffer_load_dword v225, off, s[0:3], 0 offset:256
	buffer_load_dword v226, off, s[0:3], 0 offset:260
	;; [unrolled: 1-line block ×8, first 2 shown]
	s_waitcnt vmcnt(35) lgkmcnt(1)
	v_mul_f32_e32 v146, v137, v199
	buffer_load_dword v233, off, s[0:3], 0 offset:288
	buffer_load_dword v234, off, s[0:3], 0 offset:292
	v_fmac_f32_e32 v146, v138, v17
	v_add_f32_e32 v145, v145, v146
	s_waitcnt vmcnt(36)
	v_mul_f32_e32 v146, v139, v200
	v_fmac_f32_e32 v146, v140, v16
	v_add_f32_e32 v145, v145, v146
	s_waitcnt lgkmcnt(0)
	v_mul_f32_e32 v146, v141, v15
	v_fmac_f32_e32 v146, v142, v14
	v_add_f32_e32 v149, v145, v146
	ds_read2_b64 v[145:148], v98 offset0:69 offset1:70
	buffer_load_dword v235, off, s[0:3], 0 offset:296
	buffer_load_dword v236, off, s[0:3], 0 offset:300
	;; [unrolled: 1-line block ×6, first 2 shown]
	s_waitcnt vmcnt(38)
	v_mul_f32_e32 v150, v143, v202
	v_fmac_f32_e32 v150, v144, v201
	v_add_f32_e32 v153, v149, v150
	ds_read2_b64 v[149:152], v98 offset0:71 offset1:72
	buffer_load_dword v241, off, s[0:3], 0 offset:320
	buffer_load_dword v242, off, s[0:3], 0 offset:324
	;; [unrolled: 1-line block ×16, first 2 shown]
	s_waitcnt vmcnt(52) lgkmcnt(1)
	v_mul_f32_e32 v154, v145, v204
	v_fmac_f32_e32 v154, v146, v203
	v_add_f32_e32 v153, v153, v154
	s_waitcnt vmcnt(50)
	v_mul_f32_e32 v154, v147, v206
	v_fmac_f32_e32 v154, v148, v205
	v_add_f32_e32 v153, v153, v154
	s_waitcnt vmcnt(48) lgkmcnt(0)
	v_mul_f32_e32 v154, v149, v208
	v_fmac_f32_e32 v154, v150, v207
	v_add_f32_e32 v157, v153, v154
	ds_read2_b64 v[153:156], v98 offset0:73 offset1:74
	s_waitcnt vmcnt(46)
	v_mul_f32_e32 v20, v151, v210
	v_fmac_f32_e32 v20, v152, v209
	v_add_f32_e32 v20, v157, v20
	ds_read2_b64 v[157:160], v98 offset0:75 offset1:76
	s_waitcnt vmcnt(44) lgkmcnt(1)
	v_mul_f32_e32 v161, v153, v212
	v_fmac_f32_e32 v161, v154, v211
	v_add_f32_e32 v20, v20, v161
	s_waitcnt vmcnt(42)
	v_mul_f32_e32 v161, v155, v214
	v_fmac_f32_e32 v161, v156, v213
	v_add_f32_e32 v20, v20, v161
	s_waitcnt vmcnt(40) lgkmcnt(0)
	v_mul_f32_e32 v161, v157, v216
	v_fmac_f32_e32 v161, v158, v215
	v_add_f32_e32 v20, v20, v161
	ds_read2_b64 v[161:164], v98 offset0:77 offset1:78
	s_waitcnt vmcnt(38)
	v_mul_f32_e32 v165, v159, v218
	v_fmac_f32_e32 v165, v160, v217
	v_add_f32_e32 v20, v20, v165
	ds_read2_b64 v[165:168], v98 offset0:79 offset1:80
	s_waitcnt vmcnt(36) lgkmcnt(1)
	v_mul_f32_e32 v169, v161, v220
	v_fmac_f32_e32 v169, v162, v219
	v_add_f32_e32 v20, v20, v169
	s_waitcnt vmcnt(35)
	v_mul_f32_e32 v169, v163, v221
	s_waitcnt vmcnt(32)
	v_fmac_f32_e32 v169, v164, v224
	v_add_f32_e32 v20, v20, v169
	s_waitcnt lgkmcnt(0)
	v_mul_f32_e32 v169, v165, v223
	v_fmac_f32_e32 v169, v166, v222
	v_add_f32_e32 v20, v20, v169
	ds_read2_b64 v[169:172], v98 offset0:81 offset1:82
	s_waitcnt vmcnt(30)
	v_mul_f32_e32 v173, v167, v226
	v_fmac_f32_e32 v173, v168, v225
	v_add_f32_e32 v20, v20, v173
	ds_read2_b64 v[173:176], v98 offset0:83 offset1:84
	s_waitcnt vmcnt(28) lgkmcnt(1)
	v_mul_f32_e32 v177, v169, v228
	v_fmac_f32_e32 v177, v170, v227
	v_add_f32_e32 v20, v20, v177
	s_waitcnt vmcnt(27)
	v_mul_f32_e32 v177, v171, v229
	s_waitcnt vmcnt(24)
	v_fmac_f32_e32 v177, v172, v232
	v_add_f32_e32 v20, v20, v177
	s_waitcnt lgkmcnt(0)
	;; [unrolled: 19-line block ×4, first 2 shown]
	v_mul_f32_e32 v193, v189, v247
	v_fmac_f32_e32 v193, v190, v246
	v_add_f32_e32 v20, v20, v193
	ds_read2_b64 v[193:196], v98 offset0:93 offset1:94
	s_waitcnt vmcnt(6)
	v_mul_f32_e32 v197, v191, v250
	v_fmac_f32_e32 v197, v192, v249
	v_add_f32_e32 v20, v20, v197
	ds_read_b64 v[197:198], v98 offset:760
	s_waitcnt vmcnt(4) lgkmcnt(1)
	v_mul_f32_e32 v21, v193, v252
	v_fmac_f32_e32 v21, v194, v251
	v_add_f32_e32 v20, v20, v21
	s_waitcnt vmcnt(3)
	v_mul_f32_e32 v21, v195, v253
	s_waitcnt vmcnt(0)
	v_fmac_f32_e32 v21, v196, v19
	v_add_f32_e32 v20, v20, v21
	s_waitcnt lgkmcnt(0)
	v_mul_f32_e32 v21, v197, v255
	v_fmac_f32_e32 v21, v198, v254
	v_add_f32_e32 v20, v20, v21
	v_mul_f32_e32 v21, v114, v107
	v_fma_f32 v5, v113, v5, -v21
	v_mul_f32_e32 v21, v116, v106
	v_add_f32_e32 v5, 0, v5
	v_fma_f32 v4, v115, v4, -v21
	v_add_f32_e32 v4, v5, v4
	v_mul_f32_e32 v5, v118, v105
	v_fma_f32 v3, v117, v3, -v5
	v_add_f32_e32 v3, v4, v3
	v_mul_f32_e32 v4, v120, v104
	;; [unrolled: 3-line block ×41, first 2 shown]
	v_fma_f32 v4, v197, v254, -v4
	v_add_f32_e32 v3, v3, v4
	v_sub_f32_e32 v3, v99, v3
	v_sub_f32_e32 v4, v100, v20
	buffer_store_dword v3, off, s[0:3], 0 offset:32
	buffer_store_dword v4, off, s[0:3], 0 offset:36
	s_and_saveexec_b64 s[4:5], vcc
	s_cbranch_execz .LBB111_295
; %bb.294:
	buffer_load_dword v99, off, s[0:3], 0 offset:24
	buffer_load_dword v100, off, s[0:3], 0 offset:28
	s_waitcnt vmcnt(0)
	ds_write_b64 v97, v[99:100]
	buffer_store_dword v98, off, s[0:3], 0 offset:24
	buffer_store_dword v98, off, s[0:3], 0 offset:28
.LBB111_295:
	s_or_b64 exec, exec, s[4:5]
	s_waitcnt lgkmcnt(0)
	; wave barrier
	buffer_load_dword v107, off, s[0:3], 0 offset:36
	buffer_load_dword v106, off, s[0:3], 0 offset:44
	;; [unrolled: 1-line block ×32, first 2 shown]
	ds_read_b128 v[113:116], v98 offset:416
	ds_read_b128 v[117:120], v98 offset:432
	;; [unrolled: 1-line block ×4, first 2 shown]
	buffer_load_dword v21, off, s[0:3], 0 offset:152
	buffer_load_dword v22, off, s[0:3], 0 offset:156
	ds_read_b128 v[129:132], v98 offset:480
	ds_read_b128 v[133:136], v98 offset:496
	;; [unrolled: 1-line block ×3, first 2 shown]
	buffer_load_dword v201, off, s[0:3], 0 offset:160
	buffer_load_dword v202, off, s[0:3], 0 offset:164
	;; [unrolled: 1-line block ×16, first 2 shown]
	v_cmp_lt_u32_e32 vcc, 2, v0
	s_waitcnt vmcnt(49) lgkmcnt(6)
	v_mul_f32_e32 v141, v113, v107
	s_waitcnt vmcnt(48)
	v_mul_f32_e32 v142, v115, v106
	s_waitcnt vmcnt(47) lgkmcnt(5)
	v_mul_f32_e32 v143, v117, v105
	s_waitcnt vmcnt(46)
	v_mul_f32_e32 v144, v119, v104
	;; [unrolled: 4-line block ×6, first 2 shown]
	s_waitcnt vmcnt(37)
	v_fmac_f32_e32 v143, v118, v3
	s_waitcnt vmcnt(36)
	v_fmac_f32_e32 v142, v116, v4
	;; [unrolled: 2-line block ×3, first 2 shown]
	v_add_f32_e32 v141, 0, v141
	v_add_f32_e32 v141, v141, v142
	;; [unrolled: 1-line block ×3, first 2 shown]
	s_waitcnt vmcnt(31)
	v_fmac_f32_e32 v144, v120, v9
	v_fmac_f32_e32 v145, v122, v8
	v_add_f32_e32 v141, v141, v144
	v_fmac_f32_e32 v146, v124, v7
	v_add_f32_e32 v141, v141, v145
	;; [unrolled: 2-line block ×3, first 2 shown]
	s_waitcnt vmcnt(27)
	v_fmac_f32_e32 v148, v128, v13
	v_add_f32_e32 v141, v141, v147
	v_fmac_f32_e32 v149, v130, v12
	v_add_f32_e32 v141, v141, v148
	;; [unrolled: 2-line block ×4, first 2 shown]
	s_waitcnt vmcnt(23)
	v_fmac_f32_e32 v152, v136, v17
	v_add_f32_e32 v141, v141, v151
	v_add_f32_e32 v145, v141, v152
	ds_read_b128 v[141:144], v98 offset:528
	buffer_load_dword v217, off, s[0:3], 0 offset:224
	buffer_load_dword v218, off, s[0:3], 0 offset:228
	;; [unrolled: 1-line block ×14, first 2 shown]
	s_waitcnt vmcnt(36) lgkmcnt(1)
	v_mul_f32_e32 v146, v137, v18
	buffer_load_dword v231, off, s[0:3], 0 offset:280
	buffer_load_dword v232, off, s[0:3], 0 offset:284
	v_fmac_f32_e32 v146, v138, v16
	v_add_f32_e32 v145, v145, v146
	s_waitcnt vmcnt(37)
	v_mul_f32_e32 v146, v139, v19
	v_fmac_f32_e32 v146, v140, v15
	v_add_f32_e32 v145, v145, v146
	s_waitcnt vmcnt(36) lgkmcnt(0)
	v_mul_f32_e32 v146, v141, v20
	v_fmac_f32_e32 v146, v142, v14
	v_add_f32_e32 v149, v145, v146
	ds_read_b128 v[145:148], v98 offset:544
	buffer_load_dword v233, off, s[0:3], 0 offset:288
	buffer_load_dword v234, off, s[0:3], 0 offset:292
	buffer_load_dword v235, off, s[0:3], 0 offset:300
	buffer_load_dword v236, off, s[0:3], 0 offset:304
	buffer_load_dword v237, off, s[0:3], 0 offset:308
	buffer_load_dword v238, off, s[0:3], 0 offset:296
	s_waitcnt vmcnt(38)
	v_mul_f32_e32 v150, v143, v22
	v_fmac_f32_e32 v150, v144, v21
	v_add_f32_e32 v153, v149, v150
	ds_read_b128 v[149:152], v98 offset:560
	buffer_load_dword v239, off, s[0:3], 0 offset:312
	buffer_load_dword v240, off, s[0:3], 0 offset:316
	;; [unrolled: 1-line block ×10, first 2 shown]
	s_waitcnt vmcnt(46) lgkmcnt(1)
	v_mul_f32_e32 v154, v145, v202
	v_fmac_f32_e32 v154, v146, v201
	v_add_f32_e32 v153, v153, v154
	s_waitcnt vmcnt(44)
	v_mul_f32_e32 v154, v147, v204
	v_fmac_f32_e32 v154, v148, v203
	v_add_f32_e32 v153, v153, v154
	s_waitcnt vmcnt(42) lgkmcnt(0)
	v_mul_f32_e32 v154, v149, v206
	buffer_load_dword v249, off, s[0:3], 0 offset:352
	buffer_load_dword v250, off, s[0:3], 0 offset:356
	;; [unrolled: 1-line block ×6, first 2 shown]
	v_fmac_f32_e32 v154, v150, v205
	s_waitcnt vmcnt(46)
	v_mul_f32_e32 v158, v151, v208
	v_add_f32_e32 v157, v153, v154
	v_fmac_f32_e32 v158, v152, v207
	ds_read_b128 v[153:156], v98 offset:576
	v_add_f32_e32 v161, v157, v158
	ds_read_b128 v[157:160], v98 offset:592
	buffer_load_dword v255, off, s[0:3], 0 offset:376
	buffer_load_dword v23, off, s[0:3], 0 offset:380
	s_waitcnt vmcnt(46) lgkmcnt(1)
	v_mul_f32_e32 v24, v153, v210
	v_fmac_f32_e32 v24, v154, v209
	v_add_f32_e32 v24, v161, v24
	s_waitcnt vmcnt(44)
	v_mul_f32_e32 v161, v155, v212
	v_fmac_f32_e32 v161, v156, v211
	v_add_f32_e32 v24, v24, v161
	s_waitcnt vmcnt(42) lgkmcnt(0)
	v_mul_f32_e32 v161, v157, v214
	v_fmac_f32_e32 v161, v158, v213
	v_add_f32_e32 v24, v24, v161
	ds_read_b128 v[161:164], v98 offset:608
	s_waitcnt vmcnt(40)
	v_mul_f32_e32 v165, v159, v216
	v_fmac_f32_e32 v165, v160, v215
	v_add_f32_e32 v24, v24, v165
	ds_read_b128 v[165:168], v98 offset:624
	s_waitcnt vmcnt(38) lgkmcnt(1)
	v_mul_f32_e32 v169, v161, v218
	v_fmac_f32_e32 v169, v162, v217
	v_add_f32_e32 v24, v24, v169
	s_waitcnt vmcnt(37)
	v_mul_f32_e32 v169, v163, v219
	s_waitcnt vmcnt(34)
	v_fmac_f32_e32 v169, v164, v222
	v_add_f32_e32 v24, v24, v169
	s_waitcnt lgkmcnt(0)
	v_mul_f32_e32 v169, v165, v221
	v_fmac_f32_e32 v169, v166, v220
	v_add_f32_e32 v24, v24, v169
	ds_read_b128 v[169:172], v98 offset:640
	s_waitcnt vmcnt(32)
	v_mul_f32_e32 v173, v167, v224
	v_fmac_f32_e32 v173, v168, v223
	v_add_f32_e32 v24, v24, v173
	ds_read_b128 v[173:176], v98 offset:656
	s_waitcnt vmcnt(30) lgkmcnt(1)
	v_mul_f32_e32 v177, v169, v226
	v_fmac_f32_e32 v177, v170, v225
	v_add_f32_e32 v24, v24, v177
	s_waitcnt vmcnt(29)
	v_mul_f32_e32 v177, v171, v227
	s_waitcnt vmcnt(26)
	v_fmac_f32_e32 v177, v172, v230
	v_add_f32_e32 v24, v24, v177
	s_waitcnt lgkmcnt(0)
	;; [unrolled: 19-line block ×5, first 2 shown]
	v_mul_f32_e32 v98, v197, v253
	v_fmac_f32_e32 v98, v198, v252
	v_add_f32_e32 v24, v24, v98
	s_waitcnt vmcnt(0)
	v_mul_f32_e32 v98, v199, v23
	v_fmac_f32_e32 v98, v200, v255
	v_add_f32_e32 v24, v24, v98
	v_mul_f32_e32 v98, v114, v107
	v_fma_f32 v5, v113, v5, -v98
	v_mul_f32_e32 v98, v116, v106
	v_add_f32_e32 v5, 0, v5
	v_fma_f32 v4, v115, v4, -v98
	v_add_f32_e32 v4, v5, v4
	v_mul_f32_e32 v5, v118, v105
	v_fma_f32 v3, v117, v3, -v5
	v_add_f32_e32 v3, v4, v3
	v_mul_f32_e32 v4, v120, v104
	;; [unrolled: 3-line block ×42, first 2 shown]
	v_fma_f32 v4, v199, v255, -v4
	v_add_f32_e32 v3, v3, v4
	v_sub_f32_e32 v3, v99, v3
	v_sub_f32_e32 v4, v100, v24
	buffer_store_dword v3, off, s[0:3], 0 offset:24
	buffer_store_dword v4, off, s[0:3], 0 offset:28
	s_and_saveexec_b64 s[4:5], vcc
	s_cbranch_execz .LBB111_297
; %bb.296:
	buffer_load_dword v98, off, s[0:3], 0 offset:16
	buffer_load_dword v99, off, s[0:3], 0 offset:20
	v_mov_b32_e32 v3, 0
	buffer_store_dword v3, off, s[0:3], 0 offset:16
	buffer_store_dword v3, off, s[0:3], 0 offset:20
	s_waitcnt vmcnt(2)
	ds_write_b64 v97, v[98:99]
.LBB111_297:
	s_or_b64 exec, exec, s[4:5]
	s_waitcnt lgkmcnt(0)
	; wave barrier
	buffer_load_dword v3, off, s[0:3], 0 offset:28
	buffer_load_dword v4, off, s[0:3], 0 offset:36
	;; [unrolled: 1-line block ×48, first 2 shown]
	v_mov_b32_e32 v98, 0
	ds_read2_b64 v[101:104], v98 offset0:51 offset1:52
	ds_read2_b64 v[105:108], v98 offset0:53 offset1:54
	;; [unrolled: 1-line block ×7, first 2 shown]
	v_cmp_lt_u32_e32 vcc, 1, v0
	s_waitcnt vmcnt(47) lgkmcnt(6)
	v_mul_f32_e32 v129, v101, v3
	s_waitcnt vmcnt(46)
	v_mul_f32_e32 v130, v103, v4
	s_waitcnt vmcnt(45) lgkmcnt(5)
	v_mul_f32_e32 v131, v105, v5
	s_waitcnt vmcnt(44)
	v_mul_f32_e32 v132, v107, v6
	;; [unrolled: 4-line block ×6, first 2 shown]
	s_waitcnt vmcnt(35)
	v_fmac_f32_e32 v131, v106, v15
	s_waitcnt vmcnt(34)
	v_fmac_f32_e32 v130, v104, v16
	;; [unrolled: 2-line block ×3, first 2 shown]
	v_add_f32_e32 v129, 0, v129
	v_add_f32_e32 v129, v129, v130
	;; [unrolled: 1-line block ×3, first 2 shown]
	s_waitcnt vmcnt(29)
	v_fmac_f32_e32 v132, v108, v21
	v_fmac_f32_e32 v133, v110, v20
	v_add_f32_e32 v129, v129, v132
	v_fmac_f32_e32 v134, v112, v19
	v_add_f32_e32 v129, v129, v133
	v_fmac_f32_e32 v135, v114, v18
	v_add_f32_e32 v129, v129, v134
	s_waitcnt vmcnt(25)
	v_fmac_f32_e32 v136, v116, v191
	v_add_f32_e32 v129, v129, v135
	v_fmac_f32_e32 v137, v118, v24
	v_add_f32_e32 v129, v129, v136
	;; [unrolled: 2-line block ×4, first 2 shown]
	s_waitcnt vmcnt(21)
	v_fmac_f32_e32 v140, v124, v195
	v_add_f32_e32 v129, v129, v139
	v_add_f32_e32 v133, v129, v140
	ds_read2_b64 v[129:132], v98 offset0:65 offset1:66
	buffer_load_dword v215, off, s[0:3], 0 offset:208
	buffer_load_dword v216, off, s[0:3], 0 offset:212
	buffer_load_dword v217, off, s[0:3], 0 offset:216
	buffer_load_dword v218, off, s[0:3], 0 offset:220
	buffer_load_dword v219, off, s[0:3], 0 offset:228
	buffer_load_dword v220, off, s[0:3], 0 offset:232
	buffer_load_dword v221, off, s[0:3], 0 offset:236
	buffer_load_dword v222, off, s[0:3], 0 offset:224
	buffer_load_dword v223, off, s[0:3], 0 offset:240
	buffer_load_dword v224, off, s[0:3], 0 offset:244
	s_waitcnt vmcnt(30) lgkmcnt(1)
	v_mul_f32_e32 v134, v125, v196
	v_fmac_f32_e32 v134, v126, v194
	buffer_load_dword v225, off, s[0:3], 0 offset:248
	buffer_load_dword v226, off, s[0:3], 0 offset:252
	;; [unrolled: 1-line block ×6, first 2 shown]
	v_add_f32_e32 v133, v133, v134
	s_waitcnt vmcnt(35)
	v_mul_f32_e32 v134, v127, v197
	v_fmac_f32_e32 v134, v128, v193
	v_add_f32_e32 v133, v133, v134
	s_waitcnt vmcnt(34) lgkmcnt(0)
	v_mul_f32_e32 v134, v129, v198
	v_fmac_f32_e32 v134, v130, v192
	v_add_f32_e32 v137, v133, v134
	ds_read2_b64 v[133:136], v98 offset0:67 offset1:68
	buffer_load_dword v231, off, s[0:3], 0 offset:272
	buffer_load_dword v232, off, s[0:3], 0 offset:276
	s_waitcnt vmcnt(32)
	v_mul_f32_e32 v138, v131, v200
	v_fmac_f32_e32 v138, v132, v199
	v_add_f32_e32 v141, v137, v138
	ds_read2_b64 v[137:140], v98 offset0:69 offset1:70
	buffer_load_dword v233, off, s[0:3], 0 offset:280
	buffer_load_dword v234, off, s[0:3], 0 offset:284
	buffer_load_dword v235, off, s[0:3], 0 offset:292
	buffer_load_dword v236, off, s[0:3], 0 offset:296
	buffer_load_dword v237, off, s[0:3], 0 offset:300
	buffer_load_dword v238, off, s[0:3], 0 offset:288
	buffer_load_dword v239, off, s[0:3], 0 offset:304
	buffer_load_dword v240, off, s[0:3], 0 offset:308
	buffer_load_dword v241, off, s[0:3], 0 offset:312
	buffer_load_dword v242, off, s[0:3], 0 offset:316
	buffer_load_dword v243, off, s[0:3], 0 offset:324
	buffer_load_dword v244, off, s[0:3], 0 offset:328
	buffer_load_dword v245, off, s[0:3], 0 offset:332
	buffer_load_dword v246, off, s[0:3], 0 offset:320
	s_waitcnt vmcnt(44) lgkmcnt(1)
	v_mul_f32_e32 v142, v133, v202
	v_fmac_f32_e32 v142, v134, v201
	buffer_load_dword v247, off, s[0:3], 0 offset:336
	buffer_load_dword v248, off, s[0:3], 0 offset:340
	v_add_f32_e32 v141, v141, v142
	s_waitcnt vmcnt(44)
	v_mul_f32_e32 v142, v135, v204
	v_fmac_f32_e32 v142, v136, v203
	v_add_f32_e32 v141, v141, v142
	s_waitcnt vmcnt(42) lgkmcnt(0)
	v_mul_f32_e32 v142, v137, v206
	v_fmac_f32_e32 v142, v138, v205
	v_mul_f32_e32 v3, v102, v3
	v_add_f32_e32 v145, v141, v142
	ds_read2_b64 v[141:144], v98 offset0:71 offset1:72
	buffer_load_dword v249, off, s[0:3], 0 offset:344
	buffer_load_dword v250, off, s[0:3], 0 offset:348
	;; [unrolled: 1-line block ×6, first 2 shown]
	v_fma_f32 v3, v101, v17, -v3
	v_mul_f32_e32 v4, v104, v4
	v_add_f32_e32 v3, 0, v3
	v_fma_f32 v4, v103, v16, -v4
	v_add_f32_e32 v3, v3, v4
	v_mul_f32_e32 v4, v106, v5
	s_waitcnt vmcnt(46)
	v_mul_f32_e32 v146, v139, v208
	v_fma_f32 v4, v105, v15, -v4
	v_fmac_f32_e32 v146, v140, v207
	v_add_f32_e32 v3, v3, v4
	v_mul_f32_e32 v4, v108, v6
	v_add_f32_e32 v149, v145, v146
	ds_read2_b64 v[145:148], v98 offset0:73 offset1:74
	buffer_load_dword v255, off, s[0:3], 0 offset:372
	buffer_load_dword v25, off, s[0:3], 0 offset:376
	;; [unrolled: 1-line block ×4, first 2 shown]
	v_fma_f32 v4, v107, v21, -v4
	v_add_f32_e32 v3, v3, v4
	v_mul_f32_e32 v4, v110, v7
	v_fma_f32 v4, v109, v20, -v4
	v_add_f32_e32 v3, v3, v4
	v_mul_f32_e32 v4, v112, v8
	;; [unrolled: 3-line block ×8, first 2 shown]
	v_fma_f32 v4, v123, v195, -v4
	s_waitcnt vmcnt(48) lgkmcnt(1)
	v_mul_f32_e32 v150, v141, v210
	v_add_f32_e32 v3, v3, v4
	v_mul_f32_e32 v4, v126, v196
	v_fmac_f32_e32 v150, v142, v209
	v_fma_f32 v4, v125, v194, -v4
	v_add_f32_e32 v28, v149, v150
	s_waitcnt vmcnt(46)
	v_mul_f32_e32 v149, v143, v212
	v_add_f32_e32 v3, v3, v4
	v_mul_f32_e32 v4, v128, v197
	v_fmac_f32_e32 v149, v144, v211
	v_fma_f32 v4, v127, v193, -v4
	v_add_f32_e32 v28, v28, v149
	s_waitcnt vmcnt(44) lgkmcnt(0)
	v_mul_f32_e32 v149, v145, v214
	v_add_f32_e32 v3, v3, v4
	v_mul_f32_e32 v4, v130, v198
	v_fmac_f32_e32 v149, v146, v213
	v_fma_f32 v4, v129, v192, -v4
	v_add_f32_e32 v28, v28, v149
	ds_read2_b64 v[149:152], v98 offset0:75 offset1:76
	v_add_f32_e32 v3, v3, v4
	v_mul_f32_e32 v4, v132, v200
	v_fma_f32 v4, v131, v199, -v4
	s_waitcnt vmcnt(42)
	v_mul_f32_e32 v153, v147, v216
	v_add_f32_e32 v3, v3, v4
	v_mul_f32_e32 v4, v134, v202
	v_fmac_f32_e32 v153, v148, v215
	v_fma_f32 v4, v133, v201, -v4
	v_add_f32_e32 v28, v28, v153
	ds_read2_b64 v[153:156], v98 offset0:77 offset1:78
	v_add_f32_e32 v3, v3, v4
	v_mul_f32_e32 v4, v136, v204
	s_waitcnt vmcnt(40) lgkmcnt(1)
	v_mul_f32_e32 v157, v149, v218
	v_fma_f32 v4, v135, v203, -v4
	v_fmac_f32_e32 v157, v150, v217
	v_add_f32_e32 v3, v3, v4
	v_mul_f32_e32 v4, v138, v206
	v_add_f32_e32 v28, v28, v157
	s_waitcnt vmcnt(39)
	v_mul_f32_e32 v157, v151, v219
	v_fma_f32 v4, v137, v205, -v4
	s_waitcnt vmcnt(36)
	v_fmac_f32_e32 v157, v152, v222
	v_add_f32_e32 v3, v3, v4
	v_mul_f32_e32 v4, v140, v208
	v_add_f32_e32 v28, v28, v157
	s_waitcnt lgkmcnt(0)
	v_mul_f32_e32 v157, v153, v221
	v_fma_f32 v4, v139, v207, -v4
	v_fmac_f32_e32 v157, v154, v220
	v_add_f32_e32 v3, v3, v4
	v_mul_f32_e32 v4, v142, v210
	v_add_f32_e32 v28, v28, v157
	ds_read2_b64 v[157:160], v98 offset0:79 offset1:80
	v_fma_f32 v4, v141, v209, -v4
	v_add_f32_e32 v3, v3, v4
	v_mul_f32_e32 v4, v144, v212
	s_waitcnt vmcnt(34)
	v_mul_f32_e32 v161, v155, v224
	v_fma_f32 v4, v143, v211, -v4
	v_fmac_f32_e32 v161, v156, v223
	v_add_f32_e32 v3, v3, v4
	v_mul_f32_e32 v4, v146, v214
	v_add_f32_e32 v28, v28, v161
	ds_read2_b64 v[161:164], v98 offset0:81 offset1:82
	v_fma_f32 v4, v145, v213, -v4
	s_waitcnt vmcnt(32) lgkmcnt(1)
	v_mul_f32_e32 v165, v157, v226
	v_add_f32_e32 v3, v3, v4
	v_mul_f32_e32 v4, v148, v216
	v_fmac_f32_e32 v165, v158, v225
	v_fma_f32 v4, v147, v215, -v4
	v_add_f32_e32 v28, v28, v165
	s_waitcnt vmcnt(31)
	v_mul_f32_e32 v165, v159, v227
	v_add_f32_e32 v3, v3, v4
	v_mul_f32_e32 v4, v150, v218
	s_waitcnt vmcnt(28)
	v_fmac_f32_e32 v165, v160, v230
	v_fma_f32 v4, v149, v217, -v4
	v_add_f32_e32 v28, v28, v165
	s_waitcnt lgkmcnt(0)
	v_mul_f32_e32 v165, v161, v229
	v_add_f32_e32 v3, v3, v4
	v_mul_f32_e32 v4, v152, v219
	v_fmac_f32_e32 v165, v162, v228
	v_fma_f32 v4, v151, v222, -v4
	v_add_f32_e32 v28, v28, v165
	ds_read2_b64 v[165:168], v98 offset0:83 offset1:84
	v_add_f32_e32 v3, v3, v4
	v_mul_f32_e32 v4, v154, v221
	v_fma_f32 v4, v153, v220, -v4
	s_waitcnt vmcnt(26)
	v_mul_f32_e32 v169, v163, v232
	v_add_f32_e32 v3, v3, v4
	v_mul_f32_e32 v4, v156, v224
	v_fmac_f32_e32 v169, v164, v231
	v_fma_f32 v4, v155, v223, -v4
	v_add_f32_e32 v28, v28, v169
	ds_read2_b64 v[169:172], v98 offset0:85 offset1:86
	v_add_f32_e32 v3, v3, v4
	v_mul_f32_e32 v4, v158, v226
	s_waitcnt vmcnt(24) lgkmcnt(1)
	v_mul_f32_e32 v173, v165, v234
	v_fma_f32 v4, v157, v225, -v4
	v_fmac_f32_e32 v173, v166, v233
	v_add_f32_e32 v3, v3, v4
	v_mul_f32_e32 v4, v160, v227
	v_add_f32_e32 v28, v28, v173
	s_waitcnt vmcnt(23)
	v_mul_f32_e32 v173, v167, v235
	v_fma_f32 v4, v159, v230, -v4
	s_waitcnt vmcnt(20)
	v_fmac_f32_e32 v173, v168, v238
	v_add_f32_e32 v3, v3, v4
	v_mul_f32_e32 v4, v162, v229
	v_add_f32_e32 v28, v28, v173
	s_waitcnt lgkmcnt(0)
	v_mul_f32_e32 v173, v169, v237
	v_fma_f32 v4, v161, v228, -v4
	v_fmac_f32_e32 v173, v170, v236
	v_add_f32_e32 v3, v3, v4
	v_mul_f32_e32 v4, v164, v232
	v_add_f32_e32 v28, v28, v173
	ds_read2_b64 v[173:176], v98 offset0:87 offset1:88
	v_fma_f32 v4, v163, v231, -v4
	v_add_f32_e32 v3, v3, v4
	v_mul_f32_e32 v4, v166, v234
	s_waitcnt vmcnt(18)
	v_mul_f32_e32 v177, v171, v240
	v_fma_f32 v4, v165, v233, -v4
	v_fmac_f32_e32 v177, v172, v239
	v_add_f32_e32 v3, v3, v4
	v_mul_f32_e32 v4, v168, v235
	v_add_f32_e32 v28, v28, v177
	ds_read2_b64 v[177:180], v98 offset0:89 offset1:90
	v_fma_f32 v4, v167, v238, -v4
	s_waitcnt vmcnt(16) lgkmcnt(1)
	v_mul_f32_e32 v181, v173, v242
	v_add_f32_e32 v3, v3, v4
	v_mul_f32_e32 v4, v170, v237
	v_fmac_f32_e32 v181, v174, v241
	v_fma_f32 v4, v169, v236, -v4
	v_add_f32_e32 v28, v28, v181
	s_waitcnt vmcnt(15)
	v_mul_f32_e32 v181, v175, v243
	v_add_f32_e32 v3, v3, v4
	v_mul_f32_e32 v4, v172, v240
	s_waitcnt vmcnt(12)
	v_fmac_f32_e32 v181, v176, v246
	v_fma_f32 v4, v171, v239, -v4
	v_add_f32_e32 v28, v28, v181
	s_waitcnt lgkmcnt(0)
	v_mul_f32_e32 v181, v177, v245
	v_add_f32_e32 v3, v3, v4
	v_mul_f32_e32 v4, v174, v242
	v_fmac_f32_e32 v181, v178, v244
	v_fma_f32 v4, v173, v241, -v4
	v_add_f32_e32 v28, v28, v181
	ds_read2_b64 v[181:184], v98 offset0:91 offset1:92
	v_add_f32_e32 v3, v3, v4
	v_mul_f32_e32 v4, v176, v243
	v_fma_f32 v4, v175, v246, -v4
	v_add_f32_e32 v3, v3, v4
	v_mul_f32_e32 v4, v178, v245
	s_waitcnt vmcnt(10)
	v_mul_f32_e32 v185, v179, v248
	v_fma_f32 v4, v177, v244, -v4
	v_fmac_f32_e32 v185, v180, v247
	v_add_f32_e32 v3, v3, v4
	v_mul_f32_e32 v4, v180, v248
	v_add_f32_e32 v28, v28, v185
	ds_read2_b64 v[185:188], v98 offset0:93 offset1:94
	s_waitcnt vmcnt(8) lgkmcnt(1)
	v_mul_f32_e32 v189, v181, v250
	v_fma_f32 v4, v179, v247, -v4
	v_fmac_f32_e32 v189, v182, v249
	v_add_f32_e32 v3, v3, v4
	v_mul_f32_e32 v4, v182, v250
	v_add_f32_e32 v28, v28, v189
	s_waitcnt vmcnt(7)
	v_mul_f32_e32 v189, v183, v251
	v_fma_f32 v4, v181, v249, -v4
	s_waitcnt vmcnt(4)
	v_fmac_f32_e32 v189, v184, v254
	v_add_f32_e32 v3, v3, v4
	v_mul_f32_e32 v4, v184, v251
	v_add_f32_e32 v28, v28, v189
	ds_read_b64 v[189:190], v98 offset:760
	v_fma_f32 v4, v183, v254, -v4
	v_add_f32_e32 v3, v3, v4
	s_waitcnt lgkmcnt(1)
	v_mul_f32_e32 v4, v186, v253
	v_mul_f32_e32 v29, v185, v253
	v_fma_f32 v4, v185, v252, -v4
	v_fmac_f32_e32 v29, v186, v252
	v_add_f32_e32 v3, v3, v4
	s_waitcnt vmcnt(3)
	v_mul_f32_e32 v4, v188, v255
	v_add_f32_e32 v28, v28, v29
	v_mul_f32_e32 v29, v187, v255
	s_waitcnt vmcnt(0)
	v_fma_f32 v4, v187, v27, -v4
	v_fmac_f32_e32 v29, v188, v27
	v_add_f32_e32 v3, v3, v4
	s_waitcnt lgkmcnt(0)
	v_mul_f32_e32 v4, v190, v26
	v_add_f32_e32 v28, v28, v29
	v_mul_f32_e32 v29, v189, v26
	v_fma_f32 v4, v189, v25, -v4
	v_fmac_f32_e32 v29, v190, v25
	v_add_f32_e32 v3, v3, v4
	v_add_f32_e32 v28, v28, v29
	v_sub_f32_e32 v3, v99, v3
	v_sub_f32_e32 v4, v100, v28
	buffer_store_dword v3, off, s[0:3], 0 offset:16
	buffer_store_dword v4, off, s[0:3], 0 offset:20
	s_and_saveexec_b64 s[4:5], vcc
	s_cbranch_execz .LBB111_299
; %bb.298:
	buffer_load_dword v99, off, s[0:3], 0 offset:8
	buffer_load_dword v100, off, s[0:3], 0 offset:12
	s_waitcnt vmcnt(0)
	ds_write_b64 v97, v[99:100]
	buffer_store_dword v98, off, s[0:3], 0 offset:8
	buffer_store_dword v98, off, s[0:3], 0 offset:12
.LBB111_299:
	s_or_b64 exec, exec, s[4:5]
	s_waitcnt lgkmcnt(0)
	; wave barrier
	buffer_load_dword v107, off, s[0:3], 0 offset:20
	buffer_load_dword v106, off, s[0:3], 0 offset:28
	;; [unrolled: 1-line block ×33, first 2 shown]
	ds_read_b128 v[108:111], v98 offset:400
	ds_read_b128 v[112:115], v98 offset:416
	;; [unrolled: 1-line block ×6, first 2 shown]
	buffer_load_dword v27, off, s[0:3], 0 offset:136
	buffer_load_dword v28, off, s[0:3], 0 offset:148
	;; [unrolled: 1-line block ×7, first 2 shown]
	ds_read_b128 v[132:135], v98 offset:496
	ds_read_b128 v[136:139], v98 offset:512
	buffer_load_dword v203, off, s[0:3], 0 offset:168
	buffer_load_dword v204, off, s[0:3], 0 offset:172
	;; [unrolled: 1-line block ×18, first 2 shown]
	v_cmp_ne_u32_e32 vcc, 0, v0
	s_waitcnt vmcnt(57) lgkmcnt(7)
	v_mul_f32_e32 v140, v108, v107
	s_waitcnt vmcnt(56)
	v_mul_f32_e32 v141, v110, v106
	s_waitcnt vmcnt(55) lgkmcnt(6)
	v_mul_f32_e32 v142, v112, v105
	s_waitcnt vmcnt(54)
	v_mul_f32_e32 v143, v114, v104
	;; [unrolled: 4-line block ×6, first 2 shown]
	s_waitcnt vmcnt(45)
	v_fmac_f32_e32 v142, v113, v8
	s_waitcnt vmcnt(44)
	v_fmac_f32_e32 v141, v111, v9
	;; [unrolled: 2-line block ×3, first 2 shown]
	v_add_f32_e32 v140, 0, v140
	v_add_f32_e32 v140, v140, v141
	;; [unrolled: 1-line block ×3, first 2 shown]
	s_waitcnt vmcnt(39)
	v_fmac_f32_e32 v143, v115, v14
	v_fmac_f32_e32 v144, v117, v13
	v_add_f32_e32 v140, v140, v143
	v_fmac_f32_e32 v145, v119, v12
	v_add_f32_e32 v140, v140, v144
	;; [unrolled: 2-line block ×3, first 2 shown]
	s_waitcnt vmcnt(35)
	v_fmac_f32_e32 v147, v123, v18
	v_add_f32_e32 v140, v140, v146
	v_fmac_f32_e32 v148, v125, v17
	v_add_f32_e32 v140, v140, v147
	;; [unrolled: 2-line block ×4, first 2 shown]
	s_waitcnt vmcnt(31)
	v_fmac_f32_e32 v151, v131, v22
	v_add_f32_e32 v140, v140, v150
	s_waitcnt vmcnt(30) lgkmcnt(1)
	v_mul_f32_e32 v141, v132, v23
	v_add_f32_e32 v140, v140, v151
	v_fmac_f32_e32 v141, v133, v21
	v_add_f32_e32 v140, v140, v141
	s_waitcnt vmcnt(29)
	v_mul_f32_e32 v141, v134, v24
	v_fmac_f32_e32 v141, v135, v20
	v_add_f32_e32 v140, v140, v141
	s_waitcnt vmcnt(28) lgkmcnt(0)
	v_mul_f32_e32 v141, v136, v25
	v_fmac_f32_e32 v141, v137, v19
	v_add_f32_e32 v144, v140, v141
	ds_read_b128 v[140:143], v98 offset:528
	buffer_load_dword v221, off, s[0:3], 0 offset:240
	buffer_load_dword v222, off, s[0:3], 0 offset:244
	;; [unrolled: 1-line block ×6, first 2 shown]
	s_waitcnt vmcnt(33)
	v_mul_f32_e32 v145, v138, v26
	s_waitcnt vmcnt(30)
	v_fmac_f32_e32 v145, v139, v27
	v_add_f32_e32 v148, v144, v145
	ds_read_b128 v[144:147], v98 offset:544
	buffer_load_dword v227, off, s[0:3], 0 offset:264
	buffer_load_dword v228, off, s[0:3], 0 offset:268
	;; [unrolled: 1-line block ×10, first 2 shown]
	s_waitcnt vmcnt(39) lgkmcnt(1)
	v_mul_f32_e32 v149, v140, v28
	buffer_load_dword v237, off, s[0:3], 0 offset:304
	buffer_load_dword v238, off, s[0:3], 0 offset:308
	;; [unrolled: 1-line block ×6, first 2 shown]
	s_waitcnt vmcnt(40)
	v_fmac_f32_e32 v149, v141, v202
	v_add_f32_e32 v148, v148, v149
	v_mul_f32_e32 v149, v142, v30
	v_fmac_f32_e32 v149, v143, v29
	v_add_f32_e32 v148, v148, v149
	s_waitcnt lgkmcnt(0)
	v_mul_f32_e32 v149, v144, v201
	v_fmac_f32_e32 v149, v145, v200
	v_add_f32_e32 v152, v148, v149
	ds_read_b128 v[148:151], v98 offset:560
	buffer_load_dword v243, off, s[0:3], 0 offset:328
	buffer_load_dword v244, off, s[0:3], 0 offset:332
	s_waitcnt vmcnt(40)
	v_mul_f32_e32 v153, v146, v204
	v_fmac_f32_e32 v153, v147, v203
	v_add_f32_e32 v156, v152, v153
	ds_read_b128 v[152:155], v98 offset:576
	buffer_load_dword v245, off, s[0:3], 0 offset:336
	buffer_load_dword v246, off, s[0:3], 0 offset:340
	;; [unrolled: 1-line block ×12, first 2 shown]
	s_waitcnt vmcnt(50) lgkmcnt(1)
	v_mul_f32_e32 v157, v148, v206
	v_fmac_f32_e32 v157, v149, v205
	v_add_f32_e32 v156, v156, v157
	s_waitcnt vmcnt(48)
	v_mul_f32_e32 v157, v150, v208
	v_fmac_f32_e32 v157, v151, v207
	v_add_f32_e32 v32, v156, v157
	s_waitcnt vmcnt(46) lgkmcnt(0)
	v_mul_f32_e32 v156, v152, v210
	v_fmac_f32_e32 v156, v153, v209
	v_add_f32_e32 v32, v32, v156
	ds_read_b128 v[156:159], v98 offset:592
	s_waitcnt vmcnt(44)
	v_mul_f32_e32 v160, v154, v212
	v_fmac_f32_e32 v160, v155, v211
	v_add_f32_e32 v32, v32, v160
	ds_read_b128 v[160:163], v98 offset:608
	s_waitcnt vmcnt(42) lgkmcnt(1)
	v_mul_f32_e32 v164, v156, v214
	v_fmac_f32_e32 v164, v157, v213
	v_add_f32_e32 v32, v32, v164
	s_waitcnt vmcnt(41)
	v_mul_f32_e32 v164, v158, v215
	s_waitcnt vmcnt(38)
	v_fmac_f32_e32 v164, v159, v218
	v_add_f32_e32 v32, v32, v164
	s_waitcnt lgkmcnt(0)
	v_mul_f32_e32 v164, v160, v217
	v_fmac_f32_e32 v164, v161, v216
	v_add_f32_e32 v32, v32, v164
	ds_read_b128 v[164:167], v98 offset:624
	s_waitcnt vmcnt(36)
	v_mul_f32_e32 v168, v162, v220
	v_fmac_f32_e32 v168, v163, v219
	v_add_f32_e32 v32, v32, v168
	ds_read_b128 v[168:171], v98 offset:640
	v_mul_f32_e32 v3, v123, v3
	v_fma_f32 v3, v122, v18, -v3
	v_mul_f32_e32 v4, v125, v4
	v_fma_f32 v4, v124, v17, -v4
	s_waitcnt vmcnt(34) lgkmcnt(1)
	v_mul_f32_e32 v172, v164, v222
	v_fmac_f32_e32 v172, v165, v221
	v_add_f32_e32 v32, v32, v172
	s_waitcnt vmcnt(33)
	v_mul_f32_e32 v172, v166, v223
	s_waitcnt vmcnt(30)
	v_fmac_f32_e32 v172, v167, v226
	v_add_f32_e32 v32, v32, v172
	s_waitcnt lgkmcnt(0)
	v_mul_f32_e32 v172, v168, v225
	v_fmac_f32_e32 v172, v169, v224
	v_add_f32_e32 v32, v32, v172
	ds_read_b128 v[172:175], v98 offset:656
	s_waitcnt vmcnt(28)
	v_mul_f32_e32 v176, v170, v228
	v_fmac_f32_e32 v176, v171, v227
	v_add_f32_e32 v32, v32, v176
	ds_read_b128 v[176:179], v98 offset:672
	s_waitcnt vmcnt(26) lgkmcnt(1)
	v_mul_f32_e32 v180, v172, v230
	v_fmac_f32_e32 v180, v173, v229
	v_add_f32_e32 v32, v32, v180
	s_waitcnt vmcnt(25)
	v_mul_f32_e32 v180, v174, v231
	s_waitcnt vmcnt(22)
	v_fmac_f32_e32 v180, v175, v234
	v_add_f32_e32 v32, v32, v180
	s_waitcnt lgkmcnt(0)
	v_mul_f32_e32 v180, v176, v233
	v_fmac_f32_e32 v180, v177, v232
	v_add_f32_e32 v32, v32, v180
	ds_read_b128 v[180:183], v98 offset:688
	s_waitcnt vmcnt(20)
	v_mul_f32_e32 v184, v178, v236
	v_fmac_f32_e32 v184, v179, v235
	v_add_f32_e32 v32, v32, v184
	ds_read_b128 v[184:187], v98 offset:704
	;; [unrolled: 19-line block ×3, first 2 shown]
	s_waitcnt vmcnt(10) lgkmcnt(1)
	v_mul_f32_e32 v196, v188, v246
	v_fmac_f32_e32 v196, v189, v245
	v_add_f32_e32 v32, v32, v196
	s_waitcnt vmcnt(9)
	v_mul_f32_e32 v196, v190, v247
	s_waitcnt vmcnt(6)
	v_fmac_f32_e32 v196, v191, v250
	v_add_f32_e32 v32, v32, v196
	ds_read_b128 v[196:199], v98 offset:752
	s_waitcnt lgkmcnt(1)
	v_mul_f32_e32 v33, v192, v249
	v_fmac_f32_e32 v33, v193, v248
	v_add_f32_e32 v32, v32, v33
	s_waitcnt vmcnt(4)
	v_mul_f32_e32 v33, v194, v252
	v_fmac_f32_e32 v33, v195, v251
	v_add_f32_e32 v32, v32, v33
	s_waitcnt vmcnt(3) lgkmcnt(0)
	v_mul_f32_e32 v33, v196, v253
	s_waitcnt vmcnt(0)
	v_fmac_f32_e32 v33, v197, v31
	v_add_f32_e32 v32, v32, v33
	v_mul_f32_e32 v33, v198, v255
	v_fmac_f32_e32 v33, v199, v254
	v_add_f32_e32 v32, v32, v33
	v_mul_f32_e32 v33, v109, v107
	v_fma_f32 v10, v108, v10, -v33
	v_mul_f32_e32 v33, v111, v106
	v_add_f32_e32 v10, 0, v10
	v_fma_f32 v9, v110, v9, -v33
	v_add_f32_e32 v9, v10, v9
	v_mul_f32_e32 v10, v113, v105
	v_fma_f32 v8, v112, v8, -v10
	v_add_f32_e32 v8, v9, v8
	v_mul_f32_e32 v9, v115, v104
	;; [unrolled: 3-line block ×5, first 2 shown]
	v_fma_f32 v9, v120, v11, -v9
	v_add_f32_e32 v8, v8, v9
	v_add_f32_e32 v3, v8, v3
	;; [unrolled: 1-line block ×3, first 2 shown]
	v_mul_f32_e32 v4, v127, v5
	v_fma_f32 v4, v126, v16, -v4
	v_add_f32_e32 v3, v3, v4
	v_mul_f32_e32 v4, v129, v6
	v_fma_f32 v4, v128, v15, -v4
	v_add_f32_e32 v3, v3, v4
	;; [unrolled: 3-line block ×37, first 2 shown]
	v_sub_f32_e32 v3, v99, v3
	v_sub_f32_e32 v4, v100, v32
	buffer_store_dword v3, off, s[0:3], 0 offset:8
	buffer_store_dword v4, off, s[0:3], 0 offset:12
	s_and_saveexec_b64 s[4:5], vcc
	s_cbranch_execz .LBB111_301
; %bb.300:
	buffer_load_dword v98, off, s[0:3], 0
	buffer_load_dword v99, off, s[0:3], 0 offset:4
	v_mov_b32_e32 v0, 0
	buffer_store_dword v0, off, s[0:3], 0
	buffer_store_dword v0, off, s[0:3], 0 offset:4
	s_waitcnt vmcnt(2)
	ds_write_b64 v97, v[98:99]
.LBB111_301:
	s_or_b64 exec, exec, s[4:5]
	s_waitcnt lgkmcnt(0)
	; wave barrier
	buffer_load_dword v102, off, s[0:3], 0 offset:12
	buffer_load_dword v101, off, s[0:3], 0 offset:20
	;; [unrolled: 1-line block ×38, first 2 shown]
	buffer_load_dword v104, off, s[0:3], 0
	buffer_load_dword v105, off, s[0:3], 0 offset:4
	buffer_load_dword v34, off, s[0:3], 0 offset:160
	;; [unrolled: 1-line block ×9, first 2 shown]
	v_mov_b32_e32 v103, 0
	ds_read2_b64 v[106:109], v103 offset0:49 offset1:50
	ds_read2_b64 v[110:113], v103 offset0:51 offset1:52
	;; [unrolled: 1-line block ×7, first 2 shown]
	s_and_b64 vcc, exec, s[14:15]
	s_waitcnt vmcnt(47) lgkmcnt(6)
	v_mul_f32_e32 v134, v106, v102
	s_waitcnt vmcnt(46)
	v_mul_f32_e32 v135, v108, v101
	s_waitcnt vmcnt(45) lgkmcnt(5)
	v_mul_f32_e32 v136, v110, v100
	s_waitcnt vmcnt(44)
	v_mul_f32_e32 v137, v112, v99
	;; [unrolled: 4-line block ×6, first 2 shown]
	s_waitcnt vmcnt(35)
	v_fmac_f32_e32 v136, v111, v8
	s_waitcnt vmcnt(34)
	v_fmac_f32_e32 v135, v109, v9
	;; [unrolled: 2-line block ×3, first 2 shown]
	v_add_f32_e32 v134, 0, v134
	v_add_f32_e32 v134, v134, v135
	;; [unrolled: 1-line block ×3, first 2 shown]
	s_waitcnt vmcnt(29)
	v_fmac_f32_e32 v137, v113, v14
	v_fmac_f32_e32 v138, v115, v13
	v_add_f32_e32 v134, v134, v137
	v_fmac_f32_e32 v139, v117, v12
	v_add_f32_e32 v134, v134, v138
	;; [unrolled: 2-line block ×3, first 2 shown]
	s_waitcnt vmcnt(25)
	v_fmac_f32_e32 v141, v121, v18
	v_add_f32_e32 v134, v134, v140
	v_fmac_f32_e32 v142, v123, v17
	v_add_f32_e32 v134, v134, v141
	;; [unrolled: 2-line block ×4, first 2 shown]
	s_waitcnt vmcnt(21)
	v_fmac_f32_e32 v145, v129, v22
	v_add_f32_e32 v134, v134, v144
	v_add_f32_e32 v138, v134, v145
	ds_read2_b64 v[134:137], v103 offset0:63 offset1:64
	buffer_load_dword v207, off, s[0:3], 0 offset:192
	buffer_load_dword v208, off, s[0:3], 0 offset:196
	;; [unrolled: 1-line block ×8, first 2 shown]
	s_waitcnt vmcnt(28) lgkmcnt(1)
	v_mul_f32_e32 v139, v130, v23
	buffer_load_dword v215, off, s[0:3], 0 offset:224
	buffer_load_dword v216, off, s[0:3], 0 offset:228
	v_fmac_f32_e32 v139, v131, v21
	v_add_f32_e32 v138, v138, v139
	s_waitcnt vmcnt(29)
	v_mul_f32_e32 v139, v132, v24
	v_fmac_f32_e32 v139, v133, v20
	v_add_f32_e32 v138, v138, v139
	s_waitcnt vmcnt(28) lgkmcnt(0)
	v_mul_f32_e32 v139, v134, v25
	v_fmac_f32_e32 v139, v135, v19
	v_add_f32_e32 v142, v138, v139
	ds_read2_b64 v[138:141], v103 offset0:65 offset1:66
	buffer_load_dword v217, off, s[0:3], 0 offset:232
	buffer_load_dword v218, off, s[0:3], 0 offset:236
	;; [unrolled: 1-line block ×6, first 2 shown]
	s_waitcnt vmcnt(33)
	v_mul_f32_e32 v143, v136, v26
	s_waitcnt vmcnt(26)
	v_fmac_f32_e32 v143, v137, v33
	v_add_f32_e32 v146, v142, v143
	ds_read2_b64 v[142:145], v103 offset0:67 offset1:68
	buffer_load_dword v223, off, s[0:3], 0 offset:256
	buffer_load_dword v224, off, s[0:3], 0 offset:260
	;; [unrolled: 1-line block ×8, first 2 shown]
	s_waitcnt lgkmcnt(1)
	v_mul_f32_e32 v147, v138, v28
	buffer_load_dword v231, off, s[0:3], 0 offset:288
	buffer_load_dword v232, off, s[0:3], 0 offset:292
	v_fmac_f32_e32 v147, v139, v27
	v_add_f32_e32 v146, v146, v147
	v_mul_f32_e32 v147, v140, v30
	v_fmac_f32_e32 v147, v141, v29
	v_add_f32_e32 v146, v146, v147
	s_waitcnt lgkmcnt(0)
	v_mul_f32_e32 v147, v142, v32
	v_fmac_f32_e32 v147, v143, v31
	v_add_f32_e32 v150, v146, v147
	ds_read2_b64 v[146:149], v103 offset0:69 offset1:70
	buffer_load_dword v233, off, s[0:3], 0 offset:296
	buffer_load_dword v234, off, s[0:3], 0 offset:300
	;; [unrolled: 1-line block ×6, first 2 shown]
	s_waitcnt vmcnt(38)
	v_mul_f32_e32 v151, v144, v200
	v_fmac_f32_e32 v151, v145, v34
	v_add_f32_e32 v154, v150, v151
	ds_read2_b64 v[150:153], v103 offset0:71 offset1:72
	buffer_load_dword v239, off, s[0:3], 0 offset:320
	buffer_load_dword v240, off, s[0:3], 0 offset:324
	;; [unrolled: 1-line block ×16, first 2 shown]
	s_waitcnt vmcnt(52) lgkmcnt(1)
	v_mul_f32_e32 v155, v146, v202
	v_fmac_f32_e32 v155, v147, v201
	v_add_f32_e32 v154, v154, v155
	s_waitcnt vmcnt(50)
	v_mul_f32_e32 v155, v148, v204
	v_fmac_f32_e32 v155, v149, v203
	v_add_f32_e32 v154, v154, v155
	s_waitcnt vmcnt(48) lgkmcnt(0)
	v_mul_f32_e32 v155, v150, v206
	v_fmac_f32_e32 v155, v151, v205
	v_add_f32_e32 v158, v154, v155
	ds_read2_b64 v[154:157], v103 offset0:73 offset1:74
	v_mul_f32_e32 v0, v119, v0
	v_fma_f32 v0, v118, v11, -v0
	v_mul_f32_e32 v3, v121, v3
	v_fma_f32 v3, v120, v18, -v3
	s_waitcnt vmcnt(46)
	v_mul_f32_e32 v159, v152, v208
	v_fmac_f32_e32 v159, v153, v207
	v_add_f32_e32 v162, v158, v159
	ds_read2_b64 v[158:161], v103 offset0:75 offset1:76
	s_waitcnt vmcnt(44) lgkmcnt(1)
	v_mul_f32_e32 v163, v154, v210
	v_fmac_f32_e32 v163, v155, v209
	v_add_f32_e32 v162, v162, v163
	s_waitcnt vmcnt(43)
	v_mul_f32_e32 v163, v156, v211
	s_waitcnt vmcnt(40)
	v_fmac_f32_e32 v163, v157, v214
	v_add_f32_e32 v162, v162, v163
	s_waitcnt lgkmcnt(0)
	v_mul_f32_e32 v163, v158, v213
	v_fmac_f32_e32 v163, v159, v212
	v_add_f32_e32 v166, v162, v163
	ds_read2_b64 v[162:165], v103 offset0:77 offset1:78
	s_waitcnt vmcnt(38)
	v_mul_f32_e32 v167, v160, v216
	v_fmac_f32_e32 v167, v161, v215
	v_add_f32_e32 v170, v166, v167
	ds_read2_b64 v[166:169], v103 offset0:79 offset1:80
	s_waitcnt vmcnt(36) lgkmcnt(1)
	v_mul_f32_e32 v171, v162, v218
	v_fmac_f32_e32 v171, v163, v217
	v_add_f32_e32 v170, v170, v171
	s_waitcnt vmcnt(35)
	v_mul_f32_e32 v171, v164, v219
	s_waitcnt vmcnt(32)
	v_fmac_f32_e32 v171, v165, v222
	v_add_f32_e32 v170, v170, v171
	s_waitcnt lgkmcnt(0)
	v_mul_f32_e32 v171, v166, v221
	v_fmac_f32_e32 v171, v167, v220
	v_add_f32_e32 v174, v170, v171
	ds_read2_b64 v[170:173], v103 offset0:81 offset1:82
	;; [unrolled: 19-line block ×5, first 2 shown]
	s_waitcnt vmcnt(6)
	v_mul_f32_e32 v199, v192, v248
	v_fmac_f32_e32 v199, v193, v247
	v_add_f32_e32 v255, v198, v199
	ds_read_b64 v[198:199], v103 offset:760
	s_waitcnt vmcnt(4) lgkmcnt(1)
	v_mul_f32_e32 v35, v194, v250
	v_fmac_f32_e32 v35, v195, v249
	s_waitcnt vmcnt(3)
	v_mul_f32_e32 v36, v196, v251
	v_add_f32_e32 v35, v255, v35
	s_waitcnt vmcnt(0)
	v_fmac_f32_e32 v36, v197, v254
	v_add_f32_e32 v35, v35, v36
	s_waitcnt lgkmcnt(0)
	v_mul_f32_e32 v36, v198, v253
	v_fmac_f32_e32 v36, v199, v252
	v_add_f32_e32 v35, v35, v36
	v_mul_f32_e32 v36, v107, v102
	v_fma_f32 v10, v106, v10, -v36
	v_mul_f32_e32 v36, v109, v101
	v_add_f32_e32 v10, 0, v10
	v_fma_f32 v9, v108, v9, -v36
	v_add_f32_e32 v9, v10, v9
	v_mul_f32_e32 v10, v111, v100
	v_fma_f32 v8, v110, v8, -v10
	v_add_f32_e32 v8, v9, v8
	v_mul_f32_e32 v9, v113, v99
	;; [unrolled: 3-line block ×4, first 2 shown]
	v_fma_f32 v9, v116, v12, -v9
	v_add_f32_e32 v8, v8, v9
	v_add_f32_e32 v0, v8, v0
	;; [unrolled: 1-line block ×3, first 2 shown]
	v_mul_f32_e32 v3, v123, v4
	v_fma_f32 v3, v122, v17, -v3
	v_add_f32_e32 v0, v0, v3
	v_mul_f32_e32 v3, v125, v5
	v_fma_f32 v3, v124, v16, -v3
	v_add_f32_e32 v0, v0, v3
	;; [unrolled: 3-line block ×39, first 2 shown]
	v_sub_f32_e32 v0, v104, v0
	v_sub_f32_e32 v3, v105, v35
	buffer_store_dword v0, off, s[0:3], 0
	buffer_store_dword v3, off, s[0:3], 0 offset:4
	s_cbranch_vccz .LBB111_396
; %bb.302:
	global_load_dword v0, v103, s[12:13] offset:184
	s_waitcnt vmcnt(0)
	v_add_u32_e32 v0, -1, v0
	v_cmp_ne_u32_e32 vcc, 46, v0
	s_cbranch_vccz .LBB111_304
; %bb.303:
	v_lshlrev_b32_e32 v0, 3, v0
	buffer_load_dword v3, v0, s[0:3], 0 offen
	buffer_load_dword v4, v0, s[0:3], 0 offen offset:4
	buffer_load_dword v5, off, s[0:3], 0 offset:372
	buffer_load_dword v6, off, s[0:3], 0 offset:368
	s_waitcnt vmcnt(3)
	buffer_store_dword v3, off, s[0:3], 0 offset:368
	s_waitcnt vmcnt(3)
	buffer_store_dword v4, off, s[0:3], 0 offset:372
	s_waitcnt vmcnt(3)
	buffer_store_dword v5, v0, s[0:3], 0 offen offset:4
	s_waitcnt vmcnt(3)
	buffer_store_dword v6, v0, s[0:3], 0 offen
.LBB111_304:
	v_mov_b32_e32 v0, 0
	global_load_dword v3, v0, s[12:13] offset:180
	s_waitcnt vmcnt(0)
	v_add_u32_e32 v97, -1, v3
	v_cmp_eq_u32_e32 vcc, 45, v97
	s_cbranch_vccnz .LBB111_306
; %bb.305:
	v_lshlrev_b32_e32 v3, 3, v97
	buffer_load_dword v4, v3, s[0:3], 0 offen
	buffer_load_dword v5, v3, s[0:3], 0 offen offset:4
	buffer_load_dword v6, off, s[0:3], 0 offset:360
	buffer_load_dword v7, off, s[0:3], 0 offset:364
	s_waitcnt vmcnt(3)
	buffer_store_dword v4, off, s[0:3], 0 offset:360
	s_waitcnt vmcnt(3)
	buffer_store_dword v5, off, s[0:3], 0 offset:364
	s_waitcnt vmcnt(3)
	buffer_store_dword v6, v3, s[0:3], 0 offen
	s_waitcnt vmcnt(3)
	buffer_store_dword v7, v3, s[0:3], 0 offen offset:4
.LBB111_306:
	global_load_dword v0, v0, s[12:13] offset:176
	s_waitcnt vmcnt(0)
	v_add_u32_e32 v0, -1, v0
	v_cmp_eq_u32_e32 vcc, 44, v0
	s_cbranch_vccnz .LBB111_308
; %bb.307:
	v_lshlrev_b32_e32 v0, 3, v0
	buffer_load_dword v3, v0, s[0:3], 0 offen
	buffer_load_dword v4, v0, s[0:3], 0 offen offset:4
	buffer_load_dword v5, off, s[0:3], 0 offset:356
	buffer_load_dword v6, off, s[0:3], 0 offset:352
	s_waitcnt vmcnt(3)
	buffer_store_dword v3, off, s[0:3], 0 offset:352
	s_waitcnt vmcnt(3)
	buffer_store_dword v4, off, s[0:3], 0 offset:356
	s_waitcnt vmcnt(3)
	buffer_store_dword v5, v0, s[0:3], 0 offen offset:4
	s_waitcnt vmcnt(3)
	buffer_store_dword v6, v0, s[0:3], 0 offen
.LBB111_308:
	v_mov_b32_e32 v0, 0
	global_load_dword v3, v0, s[12:13] offset:172
	s_waitcnt vmcnt(0)
	v_add_u32_e32 v97, -1, v3
	v_cmp_eq_u32_e32 vcc, 43, v97
	s_cbranch_vccnz .LBB111_310
; %bb.309:
	v_lshlrev_b32_e32 v3, 3, v97
	buffer_load_dword v4, v3, s[0:3], 0 offen
	buffer_load_dword v5, v3, s[0:3], 0 offen offset:4
	buffer_load_dword v6, off, s[0:3], 0 offset:344
	buffer_load_dword v7, off, s[0:3], 0 offset:348
	s_waitcnt vmcnt(3)
	buffer_store_dword v4, off, s[0:3], 0 offset:344
	s_waitcnt vmcnt(3)
	buffer_store_dword v5, off, s[0:3], 0 offset:348
	s_waitcnt vmcnt(3)
	buffer_store_dword v6, v3, s[0:3], 0 offen
	s_waitcnt vmcnt(3)
	buffer_store_dword v7, v3, s[0:3], 0 offen offset:4
.LBB111_310:
	global_load_dword v0, v0, s[12:13] offset:168
	s_waitcnt vmcnt(0)
	v_add_u32_e32 v0, -1, v0
	v_cmp_eq_u32_e32 vcc, 42, v0
	s_cbranch_vccnz .LBB111_312
; %bb.311:
	v_lshlrev_b32_e32 v0, 3, v0
	buffer_load_dword v3, v0, s[0:3], 0 offen
	buffer_load_dword v4, v0, s[0:3], 0 offen offset:4
	buffer_load_dword v5, off, s[0:3], 0 offset:340
	buffer_load_dword v6, off, s[0:3], 0 offset:336
	s_waitcnt vmcnt(3)
	buffer_store_dword v3, off, s[0:3], 0 offset:336
	s_waitcnt vmcnt(3)
	buffer_store_dword v4, off, s[0:3], 0 offset:340
	s_waitcnt vmcnt(3)
	buffer_store_dword v5, v0, s[0:3], 0 offen offset:4
	s_waitcnt vmcnt(3)
	buffer_store_dword v6, v0, s[0:3], 0 offen
.LBB111_312:
	;; [unrolled: 41-line block ×22, first 2 shown]
	v_mov_b32_e32 v0, 0
	global_load_dword v3, v0, s[12:13] offset:4
	s_waitcnt vmcnt(0)
	v_add_u32_e32 v97, -1, v3
	v_cmp_eq_u32_e32 vcc, 1, v97
	s_cbranch_vccnz .LBB111_394
; %bb.393:
	v_lshlrev_b32_e32 v3, 3, v97
	buffer_load_dword v4, v3, s[0:3], 0 offen
	buffer_load_dword v5, v3, s[0:3], 0 offen offset:4
	buffer_load_dword v6, off, s[0:3], 0 offset:8
	buffer_load_dword v7, off, s[0:3], 0 offset:12
	s_waitcnt vmcnt(3)
	buffer_store_dword v4, off, s[0:3], 0 offset:8
	s_waitcnt vmcnt(3)
	buffer_store_dword v5, off, s[0:3], 0 offset:12
	s_waitcnt vmcnt(3)
	buffer_store_dword v6, v3, s[0:3], 0 offen
	s_waitcnt vmcnt(3)
	buffer_store_dword v7, v3, s[0:3], 0 offen offset:4
.LBB111_394:
	global_load_dword v0, v0, s[12:13]
	s_waitcnt vmcnt(0)
	v_add_u32_e32 v0, -1, v0
	v_cmp_eq_u32_e32 vcc, 0, v0
	s_cbranch_vccnz .LBB111_396
; %bb.395:
	v_lshlrev_b32_e32 v0, 3, v0
	buffer_load_dword v3, v0, s[0:3], 0 offen
	buffer_load_dword v4, v0, s[0:3], 0 offen offset:4
	buffer_load_dword v5, off, s[0:3], 0 offset:4
	buffer_load_dword v6, off, s[0:3], 0
	s_waitcnt vmcnt(3)
	buffer_store_dword v3, off, s[0:3], 0
	s_waitcnt vmcnt(3)
	buffer_store_dword v4, off, s[0:3], 0 offset:4
	s_waitcnt vmcnt(3)
	buffer_store_dword v5, v0, s[0:3], 0 offen offset:4
	s_waitcnt vmcnt(3)
	buffer_store_dword v6, v0, s[0:3], 0 offen
.LBB111_396:
	buffer_load_dword v97, off, s[0:3], 0
	buffer_load_dword v98, off, s[0:3], 0 offset:4
	s_waitcnt vmcnt(0)
	flat_store_dwordx2 v[1:2], v[97:98]
	buffer_load_dword v0, off, s[0:3], 0 offset:8
	s_nop 0
	buffer_load_dword v1, off, s[0:3], 0 offset:12
	buffer_load_dword v2, off, s[0:3], 0 offset:384 ; 4-byte Folded Reload
	buffer_load_dword v3, off, s[0:3], 0 offset:388 ; 4-byte Folded Reload
	s_waitcnt vmcnt(0)
	flat_store_dwordx2 v[2:3], v[0:1]
	buffer_load_dword v0, off, s[0:3], 0 offset:16
	s_nop 0
	buffer_load_dword v1, off, s[0:3], 0 offset:20
	buffer_load_dword v2, off, s[0:3], 0 offset:392 ; 4-byte Folded Reload
	buffer_load_dword v3, off, s[0:3], 0 offset:396 ; 4-byte Folded Reload
	;; [unrolled: 7-line block ×17, first 2 shown]
	s_waitcnt vmcnt(0)
	flat_store_dwordx2 v[2:3], v[0:1]
	buffer_load_dword v0, off, s[0:3], 0 offset:144
	s_nop 0
	buffer_load_dword v1, off, s[0:3], 0 offset:148
	s_waitcnt vmcnt(0)
	flat_store_dwordx2 v[37:38], v[0:1]
	buffer_load_dword v0, off, s[0:3], 0 offset:152
	s_nop 0
	buffer_load_dword v1, off, s[0:3], 0 offset:156
	;; [unrolled: 5-line block ×30, first 2 shown]
	s_waitcnt vmcnt(0)
	flat_store_dwordx2 v[95:96], v[0:1]
	s_endpgm
	.section	.rodata,"a",@progbits
	.p2align	6, 0x0
	.amdhsa_kernel _ZN9rocsolver6v33100L18getri_kernel_smallILi48E19rocblas_complex_numIfEPKPS3_EEvT1_iilPiilS8_bb
		.amdhsa_group_segment_fixed_size 772
		.amdhsa_private_segment_fixed_size 528
		.amdhsa_kernarg_size 60
		.amdhsa_user_sgpr_count 6
		.amdhsa_user_sgpr_private_segment_buffer 1
		.amdhsa_user_sgpr_dispatch_ptr 0
		.amdhsa_user_sgpr_queue_ptr 0
		.amdhsa_user_sgpr_kernarg_segment_ptr 1
		.amdhsa_user_sgpr_dispatch_id 0
		.amdhsa_user_sgpr_flat_scratch_init 0
		.amdhsa_user_sgpr_private_segment_size 0
		.amdhsa_uses_dynamic_stack 0
		.amdhsa_system_sgpr_private_segment_wavefront_offset 1
		.amdhsa_system_sgpr_workgroup_id_x 1
		.amdhsa_system_sgpr_workgroup_id_y 0
		.amdhsa_system_sgpr_workgroup_id_z 0
		.amdhsa_system_sgpr_workgroup_info 0
		.amdhsa_system_vgpr_workitem_id 0
		.amdhsa_next_free_vgpr 256
		.amdhsa_next_free_sgpr 21
		.amdhsa_reserve_vcc 1
		.amdhsa_reserve_flat_scratch 0
		.amdhsa_float_round_mode_32 0
		.amdhsa_float_round_mode_16_64 0
		.amdhsa_float_denorm_mode_32 3
		.amdhsa_float_denorm_mode_16_64 3
		.amdhsa_dx10_clamp 1
		.amdhsa_ieee_mode 1
		.amdhsa_fp16_overflow 0
		.amdhsa_exception_fp_ieee_invalid_op 0
		.amdhsa_exception_fp_denorm_src 0
		.amdhsa_exception_fp_ieee_div_zero 0
		.amdhsa_exception_fp_ieee_overflow 0
		.amdhsa_exception_fp_ieee_underflow 0
		.amdhsa_exception_fp_ieee_inexact 0
		.amdhsa_exception_int_div_zero 0
	.end_amdhsa_kernel
	.section	.text._ZN9rocsolver6v33100L18getri_kernel_smallILi48E19rocblas_complex_numIfEPKPS3_EEvT1_iilPiilS8_bb,"axG",@progbits,_ZN9rocsolver6v33100L18getri_kernel_smallILi48E19rocblas_complex_numIfEPKPS3_EEvT1_iilPiilS8_bb,comdat
.Lfunc_end111:
	.size	_ZN9rocsolver6v33100L18getri_kernel_smallILi48E19rocblas_complex_numIfEPKPS3_EEvT1_iilPiilS8_bb, .Lfunc_end111-_ZN9rocsolver6v33100L18getri_kernel_smallILi48E19rocblas_complex_numIfEPKPS3_EEvT1_iilPiilS8_bb
                                        ; -- End function
	.set _ZN9rocsolver6v33100L18getri_kernel_smallILi48E19rocblas_complex_numIfEPKPS3_EEvT1_iilPiilS8_bb.num_vgpr, 256
	.set _ZN9rocsolver6v33100L18getri_kernel_smallILi48E19rocblas_complex_numIfEPKPS3_EEvT1_iilPiilS8_bb.num_agpr, 0
	.set _ZN9rocsolver6v33100L18getri_kernel_smallILi48E19rocblas_complex_numIfEPKPS3_EEvT1_iilPiilS8_bb.numbered_sgpr, 21
	.set _ZN9rocsolver6v33100L18getri_kernel_smallILi48E19rocblas_complex_numIfEPKPS3_EEvT1_iilPiilS8_bb.num_named_barrier, 0
	.set _ZN9rocsolver6v33100L18getri_kernel_smallILi48E19rocblas_complex_numIfEPKPS3_EEvT1_iilPiilS8_bb.private_seg_size, 528
	.set _ZN9rocsolver6v33100L18getri_kernel_smallILi48E19rocblas_complex_numIfEPKPS3_EEvT1_iilPiilS8_bb.uses_vcc, 1
	.set _ZN9rocsolver6v33100L18getri_kernel_smallILi48E19rocblas_complex_numIfEPKPS3_EEvT1_iilPiilS8_bb.uses_flat_scratch, 0
	.set _ZN9rocsolver6v33100L18getri_kernel_smallILi48E19rocblas_complex_numIfEPKPS3_EEvT1_iilPiilS8_bb.has_dyn_sized_stack, 0
	.set _ZN9rocsolver6v33100L18getri_kernel_smallILi48E19rocblas_complex_numIfEPKPS3_EEvT1_iilPiilS8_bb.has_recursion, 0
	.set _ZN9rocsolver6v33100L18getri_kernel_smallILi48E19rocblas_complex_numIfEPKPS3_EEvT1_iilPiilS8_bb.has_indirect_call, 0
	.section	.AMDGPU.csdata,"",@progbits
; Kernel info:
; codeLenInByte = 87456
; TotalNumSgprs: 25
; NumVgprs: 256
; ScratchSize: 528
; MemoryBound: 0
; FloatMode: 240
; IeeeMode: 1
; LDSByteSize: 772 bytes/workgroup (compile time only)
; SGPRBlocks: 3
; VGPRBlocks: 63
; NumSGPRsForWavesPerEU: 25
; NumVGPRsForWavesPerEU: 256
; Occupancy: 1
; WaveLimiterHint : 1
; COMPUTE_PGM_RSRC2:SCRATCH_EN: 1
; COMPUTE_PGM_RSRC2:USER_SGPR: 6
; COMPUTE_PGM_RSRC2:TRAP_HANDLER: 0
; COMPUTE_PGM_RSRC2:TGID_X_EN: 1
; COMPUTE_PGM_RSRC2:TGID_Y_EN: 0
; COMPUTE_PGM_RSRC2:TGID_Z_EN: 0
; COMPUTE_PGM_RSRC2:TIDIG_COMP_CNT: 0
	.section	.text._ZN9rocsolver6v33100L18getri_kernel_smallILi49E19rocblas_complex_numIfEPKPS3_EEvT1_iilPiilS8_bb,"axG",@progbits,_ZN9rocsolver6v33100L18getri_kernel_smallILi49E19rocblas_complex_numIfEPKPS3_EEvT1_iilPiilS8_bb,comdat
	.globl	_ZN9rocsolver6v33100L18getri_kernel_smallILi49E19rocblas_complex_numIfEPKPS3_EEvT1_iilPiilS8_bb ; -- Begin function _ZN9rocsolver6v33100L18getri_kernel_smallILi49E19rocblas_complex_numIfEPKPS3_EEvT1_iilPiilS8_bb
	.p2align	8
	.type	_ZN9rocsolver6v33100L18getri_kernel_smallILi49E19rocblas_complex_numIfEPKPS3_EEvT1_iilPiilS8_bb,@function
_ZN9rocsolver6v33100L18getri_kernel_smallILi49E19rocblas_complex_numIfEPKPS3_EEvT1_iilPiilS8_bb: ; @_ZN9rocsolver6v33100L18getri_kernel_smallILi49E19rocblas_complex_numIfEPKPS3_EEvT1_iilPiilS8_bb
; %bb.0:
	s_add_u32 s0, s0, s7
	s_addc_u32 s1, s1, 0
	v_cmp_gt_u32_e32 vcc, 49, v0
	s_and_saveexec_b64 s[8:9], vcc
	s_cbranch_execz .LBB112_210
; %bb.1:
	s_load_dword s18, s[4:5], 0x38
	s_load_dwordx2 s[12:13], s[4:5], 0x0
	s_load_dwordx4 s[8:11], s[4:5], 0x28
	s_waitcnt lgkmcnt(0)
	s_bitcmp1_b32 s18, 8
	s_cselect_b64 s[14:15], -1, 0
	s_ashr_i32 s7, s6, 31
	s_lshl_b64 s[16:17], s[6:7], 3
	s_add_u32 s12, s12, s16
	s_addc_u32 s13, s13, s17
	s_load_dwordx2 s[16:17], s[12:13], 0x0
	s_bfe_u32 s12, s18, 0x10008
	s_cmp_eq_u32 s12, 0
                                        ; implicit-def: $sgpr12_sgpr13
	s_cbranch_scc1 .LBB112_3
; %bb.2:
	s_load_dword s12, s[4:5], 0x20
	s_load_dwordx2 s[18:19], s[4:5], 0x18
	s_mul_i32 s13, s8, s7
	s_mul_hi_u32 s20, s8, s6
	s_add_i32 s20, s20, s13
	s_mul_i32 s9, s9, s6
	s_add_i32 s9, s20, s9
	s_mul_i32 s8, s8, s6
	s_waitcnt lgkmcnt(0)
	s_ashr_i32 s13, s12, 31
	s_lshl_b64 s[8:9], s[8:9], 2
	s_add_u32 s18, s18, s8
	s_addc_u32 s19, s19, s9
	s_lshl_b64 s[8:9], s[12:13], 2
	s_add_u32 s12, s18, s8
	s_addc_u32 s13, s19, s9
.LBB112_3:
	s_load_dwordx2 s[8:9], s[4:5], 0x8
	s_load_dword s18, s[4:5], 0x38
	v_lshlrev_b32_e32 v101, 3, v0
	s_waitcnt lgkmcnt(0)
	s_ashr_i32 s5, s8, 31
	s_mov_b32 s4, s8
	s_lshl_b64 s[4:5], s[4:5], 3
	s_add_u32 s4, s16, s4
	s_addc_u32 s5, s17, s5
	v_mov_b32_e32 v2, s5
	v_add_co_u32_e32 v1, vcc, s4, v101
	v_addc_co_u32_e32 v2, vcc, 0, v2, vcc
	flat_load_dwordx2 v[5:6], v[1:2]
	s_mov_b32 s16, s9
	s_ashr_i32 s17, s9, 31
	s_lshl_b64 s[16:17], s[16:17], 3
	v_mov_b32_e32 v4, s17
	v_add_co_u32_e32 v3, vcc, s16, v1
	v_addc_co_u32_e32 v4, vcc, v2, v4, vcc
	s_add_i32 s8, s9, s9
	v_add_u32_e32 v9, s8, v0
	v_ashrrev_i32_e32 v10, 31, v9
	v_mov_b32_e32 v11, s5
	v_add_u32_e32 v12, s9, v9
	v_ashrrev_i32_e32 v13, 31, v12
	v_mov_b32_e32 v14, s5
	v_mov_b32_e32 v15, s5
	;; [unrolled: 1-line block ×45, first 2 shown]
	s_bitcmp0_b32 s18, 0
	s_waitcnt vmcnt(0) lgkmcnt(0)
	buffer_store_dword v6, off, s[0:3], 0 offset:4
	buffer_store_dword v5, off, s[0:3], 0
	buffer_store_dword v3, off, s[0:3], 0 offset:392 ; 4-byte Folded Spill
	s_nop 0
	buffer_store_dword v4, off, s[0:3], 0 offset:396 ; 4-byte Folded Spill
	v_lshlrev_b64 v[5:6], 3, v[9:10]
	flat_load_dwordx2 v[7:8], v[3:4]
	v_add_co_u32_e32 v3, vcc, s4, v5
	v_addc_co_u32_e32 v4, vcc, v11, v6, vcc
	s_waitcnt vmcnt(0) lgkmcnt(0)
	buffer_store_dword v8, off, s[0:3], 0 offset:12
	buffer_store_dword v7, off, s[0:3], 0 offset:8
	buffer_store_dword v3, off, s[0:3], 0 offset:400 ; 4-byte Folded Spill
	s_nop 0
	buffer_store_dword v4, off, s[0:3], 0 offset:404 ; 4-byte Folded Spill
	v_lshlrev_b64 v[7:8], 3, v[12:13]
	flat_load_dwordx2 v[10:11], v[3:4]
	v_add_co_u32_e32 v3, vcc, s4, v7
	v_addc_co_u32_e32 v4, vcc, v14, v8, vcc
	s_waitcnt vmcnt(0) lgkmcnt(0)
	buffer_store_dword v11, off, s[0:3], 0 offset:20
	buffer_store_dword v10, off, s[0:3], 0 offset:16
	buffer_store_dword v3, off, s[0:3], 0 offset:408 ; 4-byte Folded Spill
	s_nop 0
	buffer_store_dword v4, off, s[0:3], 0 offset:412 ; 4-byte Folded Spill
	v_add_u32_e32 v11, s9, v12
	v_ashrrev_i32_e32 v12, 31, v11
	v_lshlrev_b64 v[9:10], 3, v[11:12]
	flat_load_dwordx2 v[13:14], v[3:4]
	v_add_co_u32_e32 v3, vcc, s4, v9
	v_addc_co_u32_e32 v4, vcc, v15, v10, vcc
	v_add_u32_e32 v15, s9, v11
	v_ashrrev_i32_e32 v16, 31, v15
	v_lshlrev_b64 v[11:12], 3, v[15:16]
	v_add_u32_e32 v18, s9, v15
	v_ashrrev_i32_e32 v19, 31, v18
	s_waitcnt vmcnt(0) lgkmcnt(0)
	buffer_store_dword v14, off, s[0:3], 0 offset:28
	buffer_store_dword v13, off, s[0:3], 0 offset:24
	buffer_store_dword v3, off, s[0:3], 0 offset:416 ; 4-byte Folded Spill
	s_nop 0
	buffer_store_dword v4, off, s[0:3], 0 offset:420 ; 4-byte Folded Spill
	flat_load_dwordx2 v[13:14], v[3:4]
	v_add_co_u32_e32 v3, vcc, s4, v11
	v_addc_co_u32_e32 v4, vcc, v17, v12, vcc
	s_waitcnt vmcnt(0) lgkmcnt(0)
	buffer_store_dword v14, off, s[0:3], 0 offset:36
	buffer_store_dword v13, off, s[0:3], 0 offset:32
	buffer_store_dword v3, off, s[0:3], 0 offset:424 ; 4-byte Folded Spill
	s_nop 0
	buffer_store_dword v4, off, s[0:3], 0 offset:428 ; 4-byte Folded Spill
	v_lshlrev_b64 v[13:14], 3, v[18:19]
	flat_load_dwordx2 v[16:17], v[3:4]
	v_add_co_u32_e32 v3, vcc, s4, v13
	v_addc_co_u32_e32 v4, vcc, v20, v14, vcc
	s_waitcnt vmcnt(0) lgkmcnt(0)
	buffer_store_dword v17, off, s[0:3], 0 offset:44
	buffer_store_dword v16, off, s[0:3], 0 offset:40
	buffer_store_dword v3, off, s[0:3], 0 offset:432 ; 4-byte Folded Spill
	s_nop 0
	buffer_store_dword v4, off, s[0:3], 0 offset:436 ; 4-byte Folded Spill
	v_add_u32_e32 v17, s9, v18
	v_ashrrev_i32_e32 v18, 31, v17
	v_lshlrev_b64 v[15:16], 3, v[17:18]
	flat_load_dwordx2 v[19:20], v[3:4]
	v_add_co_u32_e32 v3, vcc, s4, v15
	v_addc_co_u32_e32 v4, vcc, v21, v16, vcc
	v_add_u32_e32 v21, s9, v17
	v_ashrrev_i32_e32 v22, 31, v21
	v_lshlrev_b64 v[17:18], 3, v[21:22]
	v_add_u32_e32 v24, s9, v21
	v_ashrrev_i32_e32 v25, 31, v24
	s_waitcnt vmcnt(0) lgkmcnt(0)
	buffer_store_dword v20, off, s[0:3], 0 offset:52
	buffer_store_dword v19, off, s[0:3], 0 offset:48
	buffer_store_dword v3, off, s[0:3], 0 offset:440 ; 4-byte Folded Spill
	s_nop 0
	buffer_store_dword v4, off, s[0:3], 0 offset:444 ; 4-byte Folded Spill
	;; [unrolled: 36-line block ×5, first 2 shown]
	flat_load_dwordx2 v[37:38], v[3:4]
	v_add_co_u32_e32 v3, vcc, s4, v35
	v_addc_co_u32_e32 v4, vcc, v41, v36, vcc
	s_waitcnt vmcnt(0) lgkmcnt(0)
	buffer_store_dword v38, off, s[0:3], 0 offset:132
	buffer_store_dword v37, off, s[0:3], 0 offset:128
	buffer_store_dword v3, off, s[0:3], 0 offset:520 ; 4-byte Folded Spill
	s_nop 0
	buffer_store_dword v4, off, s[0:3], 0 offset:524 ; 4-byte Folded Spill
	v_lshlrev_b64 v[37:38], 3, v[42:43]
	flat_load_dwordx2 v[40:41], v[3:4]
	v_add_co_u32_e32 v3, vcc, s4, v37
	v_addc_co_u32_e32 v4, vcc, v44, v38, vcc
	s_waitcnt vmcnt(0) lgkmcnt(0)
	buffer_store_dword v41, off, s[0:3], 0 offset:140
	buffer_store_dword v40, off, s[0:3], 0 offset:136
	buffer_store_dword v3, off, s[0:3], 0 offset:528 ; 4-byte Folded Spill
	s_nop 0
	buffer_store_dword v4, off, s[0:3], 0 offset:532 ; 4-byte Folded Spill
	v_add_u32_e32 v41, s9, v42
	v_ashrrev_i32_e32 v42, 31, v41
	v_lshlrev_b64 v[39:40], 3, v[41:42]
	flat_load_dwordx2 v[43:44], v[3:4]
	v_add_co_u32_e32 v3, vcc, s4, v39
	v_addc_co_u32_e32 v4, vcc, v45, v40, vcc
	v_add_u32_e32 v45, s9, v41
	v_ashrrev_i32_e32 v46, 31, v45
	v_lshlrev_b64 v[41:42], 3, v[45:46]
	v_add_u32_e32 v48, s9, v45
	v_add_co_u32_e32 v41, vcc, s4, v41
	v_addc_co_u32_e32 v42, vcc, v47, v42, vcc
	v_ashrrev_i32_e32 v49, 31, v48
	s_waitcnt vmcnt(0) lgkmcnt(0)
	buffer_store_dword v44, off, s[0:3], 0 offset:148
	buffer_store_dword v43, off, s[0:3], 0 offset:144
	buffer_store_dword v3, off, s[0:3], 0 offset:536 ; 4-byte Folded Spill
	s_nop 0
	buffer_store_dword v4, off, s[0:3], 0 offset:540 ; 4-byte Folded Spill
	flat_load_dwordx2 v[43:44], v[3:4]
	s_waitcnt vmcnt(0) lgkmcnt(0)
	buffer_store_dword v44, off, s[0:3], 0 offset:156
	buffer_store_dword v43, off, s[0:3], 0 offset:152
	flat_load_dwordx2 v[46:47], v[41:42]
	v_lshlrev_b64 v[43:44], 3, v[48:49]
	s_waitcnt vmcnt(0) lgkmcnt(0)
	buffer_store_dword v47, off, s[0:3], 0 offset:164
	buffer_store_dword v46, off, s[0:3], 0 offset:160
	v_add_co_u32_e32 v43, vcc, s4, v43
	v_addc_co_u32_e32 v44, vcc, v50, v44, vcc
	flat_load_dwordx2 v[49:50], v[43:44]
	v_add_u32_e32 v47, s9, v48
	v_ashrrev_i32_e32 v48, 31, v47
	v_lshlrev_b64 v[45:46], 3, v[47:48]
	s_waitcnt vmcnt(0) lgkmcnt(0)
	buffer_store_dword v50, off, s[0:3], 0 offset:172
	buffer_store_dword v49, off, s[0:3], 0 offset:168
	v_add_co_u32_e32 v45, vcc, s4, v45
	v_addc_co_u32_e32 v46, vcc, v51, v46, vcc
	flat_load_dwordx2 v[49:50], v[45:46]
	v_add_u32_e32 v51, s9, v47
	v_ashrrev_i32_e32 v52, 31, v51
	v_lshlrev_b64 v[47:48], 3, v[51:52]
	v_add_u32_e32 v54, s9, v51
	v_add_co_u32_e32 v47, vcc, s4, v47
	v_addc_co_u32_e32 v48, vcc, v53, v48, vcc
	v_ashrrev_i32_e32 v55, 31, v54
	s_waitcnt vmcnt(0) lgkmcnt(0)
	buffer_store_dword v50, off, s[0:3], 0 offset:180
	buffer_store_dword v49, off, s[0:3], 0 offset:176
	flat_load_dwordx2 v[52:53], v[47:48]
	v_lshlrev_b64 v[49:50], 3, v[54:55]
	s_waitcnt vmcnt(0) lgkmcnt(0)
	buffer_store_dword v53, off, s[0:3], 0 offset:188
	buffer_store_dword v52, off, s[0:3], 0 offset:184
	v_add_co_u32_e32 v49, vcc, s4, v49
	v_addc_co_u32_e32 v50, vcc, v56, v50, vcc
	flat_load_dwordx2 v[55:56], v[49:50]
	v_add_u32_e32 v53, s9, v54
	v_ashrrev_i32_e32 v54, 31, v53
	v_lshlrev_b64 v[51:52], 3, v[53:54]
	s_waitcnt vmcnt(0) lgkmcnt(0)
	buffer_store_dword v56, off, s[0:3], 0 offset:196
	buffer_store_dword v55, off, s[0:3], 0 offset:192
	v_add_co_u32_e32 v51, vcc, s4, v51
	v_addc_co_u32_e32 v52, vcc, v57, v52, vcc
	flat_load_dwordx2 v[55:56], v[51:52]
	v_add_u32_e32 v57, s9, v53
	v_ashrrev_i32_e32 v58, 31, v57
	v_lshlrev_b64 v[53:54], 3, v[57:58]
	v_add_u32_e32 v60, s9, v57
	v_add_co_u32_e32 v53, vcc, s4, v53
	v_addc_co_u32_e32 v54, vcc, v59, v54, vcc
	v_ashrrev_i32_e32 v61, 31, v60
	;; [unrolled: 27-line block ×8, first 2 shown]
	s_waitcnt vmcnt(0) lgkmcnt(0)
	buffer_store_dword v92, off, s[0:3], 0 offset:348
	buffer_store_dword v91, off, s[0:3], 0 offset:344
	flat_load_dwordx2 v[94:95], v[89:90]
	v_lshlrev_b64 v[91:92], 3, v[96:97]
	s_waitcnt vmcnt(0) lgkmcnt(0)
	buffer_store_dword v95, off, s[0:3], 0 offset:356
	buffer_store_dword v94, off, s[0:3], 0 offset:352
	v_add_co_u32_e32 v91, vcc, s4, v91
	v_addc_co_u32_e32 v92, vcc, v98, v92, vcc
	flat_load_dwordx2 v[97:98], v[91:92]
	v_add_u32_e32 v95, s9, v96
	v_ashrrev_i32_e32 v96, 31, v95
	v_lshlrev_b64 v[93:94], 3, v[95:96]
	s_waitcnt vmcnt(0) lgkmcnt(0)
	buffer_store_dword v98, off, s[0:3], 0 offset:364
	buffer_store_dword v97, off, s[0:3], 0 offset:360
	v_add_co_u32_e32 v93, vcc, s4, v93
	v_addc_co_u32_e32 v94, vcc, v99, v94, vcc
	flat_load_dwordx2 v[97:98], v[93:94]
	v_add_u32_e32 v99, s9, v95
	v_ashrrev_i32_e32 v100, 31, v99
	;; [unrolled: 9-line block ×3, first 2 shown]
	v_lshlrev_b64 v[97:98], 3, v[97:98]
	v_mov_b32_e32 v100, s5
	v_add_co_u32_e32 v97, vcc, s4, v97
	v_addc_co_u32_e32 v98, vcc, v100, v98, vcc
	s_waitcnt vmcnt(0) lgkmcnt(0)
	buffer_store_dword v103, off, s[0:3], 0 offset:380
	buffer_store_dword v102, off, s[0:3], 0 offset:376
	flat_load_dwordx2 v[99:100], v[97:98]
	s_mov_b64 s[8:9], -1
	s_waitcnt vmcnt(0) lgkmcnt(0)
	buffer_store_dword v100, off, s[0:3], 0 offset:388
	buffer_store_dword v99, off, s[0:3], 0 offset:384
	s_cbranch_scc1 .LBB112_208
; %bb.4:
	v_cmp_eq_u32_e64 s[4:5], 0, v0
	s_and_saveexec_b64 s[8:9], s[4:5]
; %bb.5:
	v_mov_b32_e32 v99, 0
	ds_write_b32 v99, v99 offset:392
; %bb.6:
	s_or_b64 exec, exec, s[8:9]
	v_mov_b32_e32 v99, 0
	v_lshl_add_u32 v103, v0, 3, v99
	s_waitcnt lgkmcnt(0)
	; wave barrier
	buffer_load_dword v99, v103, s[0:3], 0 offen
	buffer_load_dword v100, v103, s[0:3], 0 offen offset:4
	s_waitcnt vmcnt(1)
	v_cmp_eq_f32_e32 vcc, 0, v99
	s_waitcnt vmcnt(0)
	v_cmp_eq_f32_e64 s[8:9], 0, v100
	s_and_b64 s[8:9], vcc, s[8:9]
	s_and_saveexec_b64 s[16:17], s[8:9]
	s_cbranch_execz .LBB112_10
; %bb.7:
	v_mov_b32_e32 v99, 0
	ds_read_b32 v102, v99 offset:392
	v_add_u32_e32 v100, 1, v0
	s_waitcnt lgkmcnt(0)
	v_readfirstlane_b32 s8, v102
	s_cmp_eq_u32 s8, 0
	s_cselect_b64 s[18:19], -1, 0
	v_cmp_gt_i32_e32 vcc, s8, v100
	s_or_b64 s[18:19], s[18:19], vcc
	s_and_b64 exec, exec, s[18:19]
	s_cbranch_execz .LBB112_10
; %bb.8:
	s_mov_b64 s[18:19], 0
	v_mov_b32_e32 v102, s8
.LBB112_9:                              ; =>This Inner Loop Header: Depth=1
	ds_cmpst_rtn_b32 v102, v99, v102, v100 offset:392
	s_waitcnt lgkmcnt(0)
	v_cmp_ne_u32_e32 vcc, 0, v102
	v_cmp_le_i32_e64 s[8:9], v102, v100
	s_and_b64 s[8:9], vcc, s[8:9]
	s_and_b64 s[8:9], exec, s[8:9]
	s_or_b64 s[18:19], s[8:9], s[18:19]
	s_andn2_b64 exec, exec, s[18:19]
	s_cbranch_execnz .LBB112_9
.LBB112_10:
	s_or_b64 exec, exec, s[16:17]
	v_mov_b32_e32 v100, 0
	; wave barrier
	ds_read_b32 v99, v100 offset:392
	s_and_saveexec_b64 s[8:9], s[4:5]
	s_cbranch_execz .LBB112_12
; %bb.11:
	s_lshl_b64 s[16:17], s[6:7], 2
	s_add_u32 s16, s10, s16
	s_addc_u32 s17, s11, s17
	s_waitcnt lgkmcnt(0)
	global_store_dword v100, v99, s[16:17]
.LBB112_12:
	s_or_b64 exec, exec, s[8:9]
	s_waitcnt lgkmcnt(0)
	v_cmp_ne_u32_e32 vcc, 0, v99
	s_mov_b64 s[8:9], 0
	s_cbranch_vccnz .LBB112_208
; %bb.13:
	buffer_load_dword v100, v103, s[0:3], 0 offen
	buffer_load_dword v102, v103, s[0:3], 0 offen offset:4
                                        ; implicit-def: $vgpr105
                                        ; implicit-def: $vgpr104
                                        ; implicit-def: $vgpr99
	s_waitcnt vmcnt(0)
	v_cmp_ngt_f32_e64 s[8:9], |v100|, |v102|
	s_and_saveexec_b64 s[16:17], s[8:9]
	s_xor_b64 s[8:9], exec, s[16:17]
	s_cbranch_execz .LBB112_15
; %bb.14:
	v_div_scale_f32 v99, s[16:17], v102, v102, v100
	v_div_scale_f32 v104, vcc, v100, v102, v100
	v_rcp_f32_e32 v105, v99
	v_fma_f32 v106, -v99, v105, 1.0
	v_fmac_f32_e32 v105, v106, v105
	v_mul_f32_e32 v106, v104, v105
	v_fma_f32 v107, -v99, v106, v104
	v_fmac_f32_e32 v106, v107, v105
	v_fma_f32 v99, -v99, v106, v104
	v_div_fmas_f32 v99, v99, v105, v106
	v_div_fixup_f32 v99, v99, v102, v100
	v_fmac_f32_e32 v102, v100, v99
	v_div_scale_f32 v100, s[16:17], v102, v102, 1.0
	v_div_scale_f32 v104, vcc, 1.0, v102, 1.0
	v_rcp_f32_e32 v105, v100
	v_fma_f32 v106, -v100, v105, 1.0
	v_fmac_f32_e32 v105, v106, v105
	v_mul_f32_e32 v106, v104, v105
	v_fma_f32 v107, -v100, v106, v104
	v_fmac_f32_e32 v106, v107, v105
	v_fma_f32 v100, -v100, v106, v104
	v_div_fmas_f32 v100, v100, v105, v106
	v_div_fixup_f32 v100, v100, v102, 1.0
	v_mul_f32_e32 v105, v99, v100
	v_xor_b32_e32 v104, 0x80000000, v100
	v_xor_b32_e32 v99, 0x80000000, v105
                                        ; implicit-def: $vgpr100
                                        ; implicit-def: $vgpr102
.LBB112_15:
	s_andn2_saveexec_b64 s[8:9], s[8:9]
	s_cbranch_execz .LBB112_17
; %bb.16:
	v_div_scale_f32 v99, s[16:17], v100, v100, v102
	v_div_scale_f32 v104, vcc, v102, v100, v102
	v_rcp_f32_e32 v105, v99
	v_fma_f32 v106, -v99, v105, 1.0
	v_fmac_f32_e32 v105, v106, v105
	v_mul_f32_e32 v106, v104, v105
	v_fma_f32 v107, -v99, v106, v104
	v_fmac_f32_e32 v106, v107, v105
	v_fma_f32 v99, -v99, v106, v104
	v_div_fmas_f32 v99, v99, v105, v106
	v_div_fixup_f32 v104, v99, v100, v102
	v_fmac_f32_e32 v100, v102, v104
	v_div_scale_f32 v99, s[16:17], v100, v100, 1.0
	v_div_scale_f32 v102, vcc, 1.0, v100, 1.0
	v_rcp_f32_e32 v105, v99
	v_fma_f32 v106, -v99, v105, 1.0
	v_fmac_f32_e32 v105, v106, v105
	v_mul_f32_e32 v106, v102, v105
	v_fma_f32 v107, -v99, v106, v102
	v_fmac_f32_e32 v106, v107, v105
	v_fma_f32 v99, -v99, v106, v102
	v_div_fmas_f32 v99, v99, v105, v106
	v_div_fixup_f32 v105, v99, v100, 1.0
	v_xor_b32_e32 v99, 0x80000000, v105
	v_mul_f32_e64 v104, v104, -v105
.LBB112_17:
	s_or_b64 exec, exec, s[8:9]
	buffer_store_dword v105, v103, s[0:3], 0 offen
	buffer_store_dword v104, v103, s[0:3], 0 offen offset:4
	buffer_load_dword v106, off, s[0:3], 0 offset:12
	s_nop 0
	buffer_load_dword v105, off, s[0:3], 0 offset:8
	v_xor_b32_e32 v100, 0x80000000, v104
	v_add_u32_e32 v102, 0x190, v101
	s_waitcnt vmcnt(0)
	ds_write2_b64 v101, v[99:100], v[105:106] offset1:50
	s_waitcnt lgkmcnt(0)
	; wave barrier
	s_and_saveexec_b64 s[8:9], s[4:5]
	s_cbranch_execz .LBB112_19
; %bb.18:
	buffer_load_dword v106, v103, s[0:3], 0 offen offset:4
	buffer_load_dword v107, v103, s[0:3], 0 offen
	ds_read_b64 v[99:100], v102
	v_mov_b32_e32 v104, 0
	ds_read_b64 v[104:105], v104 offset:8
	s_waitcnt vmcnt(1) lgkmcnt(1)
	v_mul_f32_e32 v108, v100, v106
	v_mul_f32_e32 v106, v99, v106
	s_waitcnt vmcnt(0)
	v_fmac_f32_e32 v106, v100, v107
	v_fma_f32 v99, v99, v107, -v108
	v_add_f32_e32 v100, 0, v106
	v_add_f32_e32 v99, 0, v99
	s_waitcnt lgkmcnt(0)
	v_mul_f32_e32 v106, v100, v105
	v_mul_f32_e32 v105, v99, v105
	v_fma_f32 v99, v99, v104, -v106
	v_fmac_f32_e32 v105, v100, v104
	buffer_store_dword v99, off, s[0:3], 0 offset:8
	buffer_store_dword v105, off, s[0:3], 0 offset:12
.LBB112_19:
	s_or_b64 exec, exec, s[8:9]
	; wave barrier
	buffer_load_dword v99, off, s[0:3], 0 offset:16
	buffer_load_dword v100, off, s[0:3], 0 offset:20
	v_cmp_gt_u32_e32 vcc, 2, v0
	s_waitcnt vmcnt(0)
	ds_write_b64 v102, v[99:100]
	s_waitcnt lgkmcnt(0)
	; wave barrier
	s_and_saveexec_b64 s[8:9], vcc
	s_cbranch_execz .LBB112_23
; %bb.20:
	buffer_load_dword v104, v103, s[0:3], 0 offen offset:4
	buffer_load_dword v105, v103, s[0:3], 0 offen
	ds_read_b64 v[99:100], v102
	s_waitcnt vmcnt(1) lgkmcnt(0)
	v_mul_f32_e32 v103, v100, v104
	v_mul_f32_e32 v104, v99, v104
	s_waitcnt vmcnt(0)
	v_fma_f32 v99, v99, v105, -v103
	v_fmac_f32_e32 v104, v100, v105
	v_add_f32_e32 v100, 0, v99
	v_add_f32_e32 v99, 0, v104
	s_and_saveexec_b64 s[16:17], s[4:5]
	s_cbranch_execz .LBB112_22
; %bb.21:
	buffer_load_dword v105, off, s[0:3], 0 offset:12
	buffer_load_dword v106, off, s[0:3], 0 offset:8
	v_mov_b32_e32 v103, 0
	ds_read_b64 v[103:104], v103 offset:408
	s_waitcnt vmcnt(1) lgkmcnt(0)
	v_mul_f32_e32 v107, v103, v105
	v_mul_f32_e32 v105, v104, v105
	s_waitcnt vmcnt(0)
	v_fmac_f32_e32 v107, v104, v106
	v_fma_f32 v103, v103, v106, -v105
	v_add_f32_e32 v99, v99, v107
	v_add_f32_e32 v100, v100, v103
.LBB112_22:
	s_or_b64 exec, exec, s[16:17]
	v_mov_b32_e32 v103, 0
	ds_read_b64 v[103:104], v103 offset:16
	s_waitcnt lgkmcnt(0)
	v_mul_f32_e32 v105, v99, v104
	v_mul_f32_e32 v104, v100, v104
	v_fma_f32 v100, v100, v103, -v105
	v_fmac_f32_e32 v104, v99, v103
	buffer_store_dword v100, off, s[0:3], 0 offset:16
	buffer_store_dword v104, off, s[0:3], 0 offset:20
.LBB112_23:
	s_or_b64 exec, exec, s[8:9]
	; wave barrier
	buffer_load_dword v99, off, s[0:3], 0 offset:24
	buffer_load_dword v100, off, s[0:3], 0 offset:28
	v_cmp_gt_u32_e32 vcc, 3, v0
	s_waitcnt vmcnt(0)
	ds_write_b64 v102, v[99:100]
	v_add_u32_e32 v99, -1, v0
	s_waitcnt lgkmcnt(0)
	; wave barrier
	s_and_saveexec_b64 s[4:5], vcc
	s_cbranch_execz .LBB112_27
; %bb.24:
	v_add_u32_e32 v103, -1, v0
	v_add_u32_e32 v104, 0x190, v101
	v_mov_b32_e32 v105, v101
	v_mov_b32_e32 v100, 0
	s_mov_b64 s[8:9], 0
	v_mov_b32_e32 v106, 0
.LBB112_25:                             ; =>This Inner Loop Header: Depth=1
	buffer_load_dword v109, v105, s[0:3], 0 offen offset:4
	buffer_load_dword v110, v105, s[0:3], 0 offen
	ds_read_b64 v[107:108], v104
	v_add_u32_e32 v103, 1, v103
	v_cmp_lt_u32_e32 vcc, 1, v103
	v_add_u32_e32 v104, 8, v104
	v_add_u32_e32 v105, 8, v105
	s_or_b64 s[8:9], vcc, s[8:9]
	s_waitcnt vmcnt(1) lgkmcnt(0)
	v_mul_f32_e32 v111, v108, v109
	v_mul_f32_e32 v109, v107, v109
	s_waitcnt vmcnt(0)
	v_fma_f32 v107, v107, v110, -v111
	v_fmac_f32_e32 v109, v108, v110
	v_add_f32_e32 v106, v106, v107
	v_add_f32_e32 v100, v100, v109
	s_andn2_b64 exec, exec, s[8:9]
	s_cbranch_execnz .LBB112_25
; %bb.26:
	s_or_b64 exec, exec, s[8:9]
	v_mov_b32_e32 v103, 0
	ds_read_b64 v[103:104], v103 offset:24
	s_waitcnt lgkmcnt(0)
	v_mul_f32_e32 v105, v100, v104
	v_mul_f32_e32 v104, v106, v104
	v_fma_f32 v105, v106, v103, -v105
	v_fmac_f32_e32 v104, v100, v103
	buffer_store_dword v105, off, s[0:3], 0 offset:24
	buffer_store_dword v104, off, s[0:3], 0 offset:28
.LBB112_27:
	s_or_b64 exec, exec, s[4:5]
	; wave barrier
	buffer_load_dword v103, off, s[0:3], 0 offset:32
	buffer_load_dword v104, off, s[0:3], 0 offset:36
	v_cmp_gt_u32_e32 vcc, 4, v0
	s_waitcnt vmcnt(0)
	ds_write_b64 v102, v[103:104]
	s_waitcnt lgkmcnt(0)
	; wave barrier
	s_and_saveexec_b64 s[4:5], vcc
	s_cbranch_execz .LBB112_31
; %bb.28:
	v_add_u32_e32 v103, -1, v0
	v_add_u32_e32 v104, 0x190, v101
	v_mov_b32_e32 v105, v101
	v_mov_b32_e32 v100, 0
	s_mov_b64 s[8:9], 0
	v_mov_b32_e32 v106, 0
.LBB112_29:                             ; =>This Inner Loop Header: Depth=1
	buffer_load_dword v109, v105, s[0:3], 0 offen offset:4
	buffer_load_dword v110, v105, s[0:3], 0 offen
	ds_read_b64 v[107:108], v104
	v_add_u32_e32 v103, 1, v103
	v_cmp_lt_u32_e32 vcc, 2, v103
	v_add_u32_e32 v104, 8, v104
	v_add_u32_e32 v105, 8, v105
	s_or_b64 s[8:9], vcc, s[8:9]
	s_waitcnt vmcnt(1) lgkmcnt(0)
	v_mul_f32_e32 v111, v108, v109
	v_mul_f32_e32 v109, v107, v109
	s_waitcnt vmcnt(0)
	v_fma_f32 v107, v107, v110, -v111
	v_fmac_f32_e32 v109, v108, v110
	v_add_f32_e32 v106, v106, v107
	v_add_f32_e32 v100, v100, v109
	s_andn2_b64 exec, exec, s[8:9]
	s_cbranch_execnz .LBB112_29
; %bb.30:
	s_or_b64 exec, exec, s[8:9]
	v_mov_b32_e32 v103, 0
	ds_read_b64 v[103:104], v103 offset:32
	s_waitcnt lgkmcnt(0)
	v_mul_f32_e32 v105, v100, v104
	v_mul_f32_e32 v104, v106, v104
	v_fma_f32 v105, v106, v103, -v105
	v_fmac_f32_e32 v104, v100, v103
	buffer_store_dword v105, off, s[0:3], 0 offset:32
	buffer_store_dword v104, off, s[0:3], 0 offset:36
.LBB112_31:
	s_or_b64 exec, exec, s[4:5]
	; wave barrier
	buffer_load_dword v103, off, s[0:3], 0 offset:40
	buffer_load_dword v104, off, s[0:3], 0 offset:44
	v_cmp_gt_u32_e32 vcc, 5, v0
	s_waitcnt vmcnt(0)
	ds_write_b64 v102, v[103:104]
	;; [unrolled: 49-line block ×19, first 2 shown]
	s_waitcnt lgkmcnt(0)
	; wave barrier
	s_and_saveexec_b64 s[4:5], vcc
	s_cbranch_execz .LBB112_103
; %bb.100:
	v_add_u32_e32 v103, -1, v0
	v_add_u32_e32 v104, 0x190, v101
	v_mov_b32_e32 v105, v101
	v_mov_b32_e32 v100, 0
	s_mov_b64 s[8:9], 0
	v_mov_b32_e32 v106, 0
.LBB112_101:                            ; =>This Inner Loop Header: Depth=1
	buffer_load_dword v109, v105, s[0:3], 0 offen offset:4
	buffer_load_dword v110, v105, s[0:3], 0 offen
	ds_read_b64 v[107:108], v104
	v_add_u32_e32 v103, 1, v103
	v_cmp_lt_u32_e32 vcc, 20, v103
	v_add_u32_e32 v104, 8, v104
	v_add_u32_e32 v105, 8, v105
	s_or_b64 s[8:9], vcc, s[8:9]
	s_waitcnt vmcnt(1) lgkmcnt(0)
	v_mul_f32_e32 v111, v108, v109
	v_mul_f32_e32 v109, v107, v109
	s_waitcnt vmcnt(0)
	v_fma_f32 v107, v107, v110, -v111
	v_fmac_f32_e32 v109, v108, v110
	v_add_f32_e32 v106, v106, v107
	v_add_f32_e32 v100, v100, v109
	s_andn2_b64 exec, exec, s[8:9]
	s_cbranch_execnz .LBB112_101
; %bb.102:
	s_or_b64 exec, exec, s[8:9]
	v_mov_b32_e32 v103, 0
	ds_read_b64 v[103:104], v103 offset:176
	s_waitcnt lgkmcnt(0)
	v_mul_f32_e32 v105, v100, v104
	v_mul_f32_e32 v104, v106, v104
	v_fma_f32 v105, v106, v103, -v105
	v_fmac_f32_e32 v104, v100, v103
	buffer_store_dword v105, off, s[0:3], 0 offset:176
	buffer_store_dword v104, off, s[0:3], 0 offset:180
.LBB112_103:
	s_or_b64 exec, exec, s[4:5]
	; wave barrier
	buffer_load_dword v103, off, s[0:3], 0 offset:184
	buffer_load_dword v104, off, s[0:3], 0 offset:188
	v_cmp_gt_u32_e32 vcc, 23, v0
	s_waitcnt vmcnt(0)
	ds_write_b64 v102, v[103:104]
	s_waitcnt lgkmcnt(0)
	; wave barrier
	s_and_saveexec_b64 s[4:5], vcc
	s_cbranch_execz .LBB112_107
; %bb.104:
	v_add_u32_e32 v103, -1, v0
	v_add_u32_e32 v104, 0x190, v101
	v_mov_b32_e32 v105, v101
	v_mov_b32_e32 v100, 0
	s_mov_b64 s[8:9], 0
	v_mov_b32_e32 v106, 0
.LBB112_105:                            ; =>This Inner Loop Header: Depth=1
	buffer_load_dword v109, v105, s[0:3], 0 offen offset:4
	buffer_load_dword v110, v105, s[0:3], 0 offen
	ds_read_b64 v[107:108], v104
	v_add_u32_e32 v103, 1, v103
	v_cmp_lt_u32_e32 vcc, 21, v103
	v_add_u32_e32 v104, 8, v104
	v_add_u32_e32 v105, 8, v105
	s_or_b64 s[8:9], vcc, s[8:9]
	s_waitcnt vmcnt(1) lgkmcnt(0)
	v_mul_f32_e32 v111, v108, v109
	v_mul_f32_e32 v109, v107, v109
	s_waitcnt vmcnt(0)
	v_fma_f32 v107, v107, v110, -v111
	v_fmac_f32_e32 v109, v108, v110
	v_add_f32_e32 v106, v106, v107
	v_add_f32_e32 v100, v100, v109
	s_andn2_b64 exec, exec, s[8:9]
	s_cbranch_execnz .LBB112_105
; %bb.106:
	s_or_b64 exec, exec, s[8:9]
	v_mov_b32_e32 v103, 0
	ds_read_b64 v[103:104], v103 offset:184
	s_waitcnt lgkmcnt(0)
	v_mul_f32_e32 v105, v100, v104
	v_mul_f32_e32 v104, v106, v104
	v_fma_f32 v105, v106, v103, -v105
	v_fmac_f32_e32 v104, v100, v103
	buffer_store_dword v105, off, s[0:3], 0 offset:184
	buffer_store_dword v104, off, s[0:3], 0 offset:188
.LBB112_107:
	s_or_b64 exec, exec, s[4:5]
	; wave barrier
	buffer_load_dword v103, off, s[0:3], 0 offset:192
	buffer_load_dword v104, off, s[0:3], 0 offset:196
	v_cmp_gt_u32_e32 vcc, 24, v0
	s_waitcnt vmcnt(0)
	ds_write_b64 v102, v[103:104]
	;; [unrolled: 49-line block ×25, first 2 shown]
	s_waitcnt lgkmcnt(0)
	; wave barrier
	s_and_saveexec_b64 s[4:5], vcc
	s_cbranch_execz .LBB112_203
; %bb.200:
	v_add_u32_e32 v103, -1, v0
	v_add_u32_e32 v104, 0x190, v101
	v_mov_b32_e32 v105, v101
	v_mov_b32_e32 v100, 0
	s_mov_b64 s[8:9], 0
	v_mov_b32_e32 v106, 0
.LBB112_201:                            ; =>This Inner Loop Header: Depth=1
	buffer_load_dword v109, v105, s[0:3], 0 offen offset:4
	buffer_load_dword v110, v105, s[0:3], 0 offen
	ds_read_b64 v[107:108], v104
	v_add_u32_e32 v103, 1, v103
	v_cmp_lt_u32_e32 vcc, 45, v103
	v_add_u32_e32 v104, 8, v104
	v_add_u32_e32 v105, 8, v105
	s_or_b64 s[8:9], vcc, s[8:9]
	s_waitcnt vmcnt(1) lgkmcnt(0)
	v_mul_f32_e32 v111, v108, v109
	v_mul_f32_e32 v109, v107, v109
	s_waitcnt vmcnt(0)
	v_fma_f32 v107, v107, v110, -v111
	v_fmac_f32_e32 v109, v108, v110
	v_add_f32_e32 v106, v106, v107
	v_add_f32_e32 v100, v100, v109
	s_andn2_b64 exec, exec, s[8:9]
	s_cbranch_execnz .LBB112_201
; %bb.202:
	s_or_b64 exec, exec, s[8:9]
	v_mov_b32_e32 v103, 0
	ds_read_b64 v[103:104], v103 offset:376
	s_waitcnt lgkmcnt(0)
	v_mul_f32_e32 v105, v100, v104
	v_mul_f32_e32 v104, v106, v104
	v_fma_f32 v105, v106, v103, -v105
	v_fmac_f32_e32 v104, v100, v103
	buffer_store_dword v105, off, s[0:3], 0 offset:376
	buffer_store_dword v104, off, s[0:3], 0 offset:380
.LBB112_203:
	s_or_b64 exec, exec, s[4:5]
	; wave barrier
	buffer_load_dword v103, off, s[0:3], 0 offset:384
	buffer_load_dword v104, off, s[0:3], 0 offset:388
	v_cmp_ne_u32_e32 vcc, 48, v0
	s_waitcnt vmcnt(0)
	ds_write_b64 v102, v[103:104]
	s_waitcnt lgkmcnt(0)
	; wave barrier
	s_and_saveexec_b64 s[4:5], vcc
	s_cbranch_execz .LBB112_207
; %bb.204:
	v_add_u32_e32 v102, 0x190, v101
	v_mov_b32_e32 v100, 0
	s_mov_b64 s[8:9], 0
	v_mov_b32_e32 v103, 0
.LBB112_205:                            ; =>This Inner Loop Header: Depth=1
	buffer_load_dword v106, v101, s[0:3], 0 offen offset:4
	buffer_load_dword v107, v101, s[0:3], 0 offen
	ds_read_b64 v[104:105], v102
	v_add_u32_e32 v99, 1, v99
	v_cmp_lt_u32_e32 vcc, 46, v99
	v_add_u32_e32 v102, 8, v102
	v_add_u32_e32 v101, 8, v101
	s_or_b64 s[8:9], vcc, s[8:9]
	s_waitcnt vmcnt(1) lgkmcnt(0)
	v_mul_f32_e32 v108, v105, v106
	v_mul_f32_e32 v106, v104, v106
	s_waitcnt vmcnt(0)
	v_fma_f32 v104, v104, v107, -v108
	v_fmac_f32_e32 v106, v105, v107
	v_add_f32_e32 v103, v103, v104
	v_add_f32_e32 v100, v100, v106
	s_andn2_b64 exec, exec, s[8:9]
	s_cbranch_execnz .LBB112_205
; %bb.206:
	s_or_b64 exec, exec, s[8:9]
	v_mov_b32_e32 v99, 0
	ds_read_b64 v[101:102], v99 offset:384
	s_waitcnt lgkmcnt(0)
	v_mul_f32_e32 v99, v100, v102
	v_mul_f32_e32 v102, v103, v102
	v_fma_f32 v99, v103, v101, -v99
	v_fmac_f32_e32 v102, v100, v101
	buffer_store_dword v99, off, s[0:3], 0 offset:384
	buffer_store_dword v102, off, s[0:3], 0 offset:388
.LBB112_207:
	s_or_b64 exec, exec, s[4:5]
	s_mov_b64 s[8:9], -1
	; wave barrier
.LBB112_208:
	s_and_b64 vcc, exec, s[8:9]
	s_cbranch_vccz .LBB112_210
; %bb.209:
	s_lshl_b64 s[4:5], s[6:7], 2
	s_add_u32 s4, s10, s4
	s_addc_u32 s5, s11, s5
	v_mov_b32_e32 v99, 0
	global_load_dword v99, v99, s[4:5]
	s_waitcnt vmcnt(0)
	v_cmp_ne_u32_e32 vcc, 0, v99
	s_cbranch_vccz .LBB112_211
.LBB112_210:
	s_endpgm
.LBB112_211:
	v_mov_b32_e32 v99, 0x190
	v_lshl_add_u32 v99, v0, 3, v99
	v_cmp_eq_u32_e32 vcc, 48, v0
	s_and_saveexec_b64 s[4:5], vcc
	s_cbranch_execz .LBB112_213
; %bb.212:
	buffer_load_dword v100, off, s[0:3], 0 offset:376
	buffer_load_dword v101, off, s[0:3], 0 offset:380
	v_mov_b32_e32 v102, 0
	buffer_store_dword v102, off, s[0:3], 0 offset:376
	buffer_store_dword v102, off, s[0:3], 0 offset:380
	s_waitcnt vmcnt(2)
	ds_write_b64 v99, v[100:101]
.LBB112_213:
	s_or_b64 exec, exec, s[4:5]
	s_waitcnt lgkmcnt(0)
	; wave barrier
	buffer_load_dword v103, off, s[0:3], 0 offset:388
	buffer_load_dword v104, off, s[0:3], 0 offset:384
	;; [unrolled: 1-line block ×4, first 2 shown]
	v_mov_b32_e32 v100, 0
	ds_read_b64 v[101:102], v100 offset:784
	v_cmp_lt_u32_e32 vcc, 46, v0
	s_waitcnt vmcnt(3) lgkmcnt(0)
	v_mul_f32_e32 v107, v101, v103
	v_mul_f32_e32 v103, v102, v103
	s_waitcnt vmcnt(2)
	v_fma_f32 v101, v101, v104, -v103
	v_fmac_f32_e32 v107, v102, v104
	v_add_f32_e32 v101, 0, v101
	v_add_f32_e32 v102, 0, v107
	s_waitcnt vmcnt(1)
	v_sub_f32_e32 v101, v105, v101
	s_waitcnt vmcnt(0)
	v_sub_f32_e32 v102, v106, v102
	buffer_store_dword v101, off, s[0:3], 0 offset:376
	buffer_store_dword v102, off, s[0:3], 0 offset:380
	s_and_saveexec_b64 s[4:5], vcc
	s_cbranch_execz .LBB112_215
; %bb.214:
	buffer_load_dword v101, off, s[0:3], 0 offset:368
	buffer_load_dword v102, off, s[0:3], 0 offset:372
	s_waitcnt vmcnt(0)
	ds_write_b64 v99, v[101:102]
	buffer_store_dword v100, off, s[0:3], 0 offset:368
	buffer_store_dword v100, off, s[0:3], 0 offset:372
.LBB112_215:
	s_or_b64 exec, exec, s[4:5]
	s_waitcnt lgkmcnt(0)
	; wave barrier
	buffer_load_dword v104, off, s[0:3], 0 offset:380
	buffer_load_dword v105, off, s[0:3], 0 offset:388
	;; [unrolled: 1-line block ×6, first 2 shown]
	ds_read2_b64 v[100:103], v100 offset0:97 offset1:98
	v_cmp_lt_u32_e32 vcc, 45, v0
	s_waitcnt vmcnt(5) lgkmcnt(0)
	v_mul_f32_e32 v110, v100, v104
	v_mul_f32_e32 v104, v101, v104
	s_waitcnt vmcnt(4)
	v_mul_f32_e32 v111, v102, v105
	v_mul_f32_e32 v105, v103, v105
	s_waitcnt vmcnt(3)
	v_fma_f32 v100, v100, v106, -v104
	v_fmac_f32_e32 v110, v101, v106
	s_waitcnt vmcnt(2)
	v_fma_f32 v101, v102, v107, -v105
	v_add_f32_e32 v100, 0, v100
	v_fmac_f32_e32 v111, v103, v107
	v_add_f32_e32 v102, 0, v110
	v_add_f32_e32 v100, v100, v101
	;; [unrolled: 1-line block ×3, first 2 shown]
	s_waitcnt vmcnt(1)
	v_sub_f32_e32 v100, v108, v100
	s_waitcnt vmcnt(0)
	v_sub_f32_e32 v101, v109, v102
	buffer_store_dword v100, off, s[0:3], 0 offset:368
	buffer_store_dword v101, off, s[0:3], 0 offset:372
	s_and_saveexec_b64 s[4:5], vcc
	s_cbranch_execz .LBB112_217
; %bb.216:
	buffer_load_dword v100, off, s[0:3], 0 offset:360
	buffer_load_dword v101, off, s[0:3], 0 offset:364
	v_mov_b32_e32 v102, 0
	buffer_store_dword v102, off, s[0:3], 0 offset:360
	buffer_store_dword v102, off, s[0:3], 0 offset:364
	s_waitcnt vmcnt(2)
	ds_write_b64 v99, v[100:101]
.LBB112_217:
	s_or_b64 exec, exec, s[4:5]
	s_waitcnt lgkmcnt(0)
	; wave barrier
	buffer_load_dword v107, off, s[0:3], 0 offset:372
	buffer_load_dword v108, off, s[0:3], 0 offset:380
	;; [unrolled: 1-line block ×8, first 2 shown]
	v_mov_b32_e32 v100, 0
	ds_read_b128 v[101:104], v100 offset:768
	ds_read_b64 v[105:106], v100 offset:784
	v_cmp_lt_u32_e32 vcc, 44, v0
	s_waitcnt vmcnt(7) lgkmcnt(1)
	v_mul_f32_e32 v115, v101, v107
	v_mul_f32_e32 v107, v102, v107
	s_waitcnt vmcnt(6)
	v_mul_f32_e32 v116, v103, v108
	v_mul_f32_e32 v108, v104, v108
	s_waitcnt vmcnt(4)
	v_fma_f32 v101, v101, v110, -v107
	s_waitcnt lgkmcnt(0)
	v_mul_f32_e32 v117, v105, v109
	v_mul_f32_e32 v109, v106, v109
	v_fmac_f32_e32 v115, v102, v110
	s_waitcnt vmcnt(3)
	v_fma_f32 v102, v103, v111, -v108
	v_add_f32_e32 v101, 0, v101
	v_fmac_f32_e32 v116, v104, v111
	s_waitcnt vmcnt(2)
	v_fma_f32 v103, v105, v112, -v109
	v_add_f32_e32 v104, 0, v115
	v_add_f32_e32 v101, v101, v102
	v_fmac_f32_e32 v117, v106, v112
	v_add_f32_e32 v104, v104, v116
	v_add_f32_e32 v101, v101, v103
	;; [unrolled: 1-line block ×3, first 2 shown]
	s_waitcnt vmcnt(1)
	v_sub_f32_e32 v101, v113, v101
	s_waitcnt vmcnt(0)
	v_sub_f32_e32 v102, v114, v102
	buffer_store_dword v101, off, s[0:3], 0 offset:360
	buffer_store_dword v102, off, s[0:3], 0 offset:364
	s_and_saveexec_b64 s[4:5], vcc
	s_cbranch_execz .LBB112_219
; %bb.218:
	buffer_load_dword v101, off, s[0:3], 0 offset:352
	buffer_load_dword v102, off, s[0:3], 0 offset:356
	s_waitcnt vmcnt(0)
	ds_write_b64 v99, v[101:102]
	buffer_store_dword v100, off, s[0:3], 0 offset:352
	buffer_store_dword v100, off, s[0:3], 0 offset:356
.LBB112_219:
	s_or_b64 exec, exec, s[4:5]
	s_waitcnt lgkmcnt(0)
	; wave barrier
	buffer_load_dword v109, off, s[0:3], 0 offset:364
	buffer_load_dword v110, off, s[0:3], 0 offset:372
	;; [unrolled: 1-line block ×10, first 2 shown]
	ds_read2_b64 v[101:104], v100 offset0:95 offset1:96
	ds_read2_b64 v[105:108], v100 offset0:97 offset1:98
	v_cmp_lt_u32_e32 vcc, 43, v0
	s_waitcnt vmcnt(9) lgkmcnt(1)
	v_mul_f32_e32 v100, v101, v109
	v_mul_f32_e32 v109, v102, v109
	s_waitcnt vmcnt(8)
	v_mul_f32_e32 v119, v103, v110
	v_mul_f32_e32 v110, v104, v110
	s_waitcnt vmcnt(5)
	v_fma_f32 v101, v101, v113, -v109
	s_waitcnt lgkmcnt(0)
	v_mul_f32_e32 v120, v105, v111
	v_mul_f32_e32 v111, v106, v111
	v_fmac_f32_e32 v100, v102, v113
	s_waitcnt vmcnt(4)
	v_fma_f32 v102, v103, v114, -v110
	v_add_f32_e32 v101, 0, v101
	v_mul_f32_e32 v121, v107, v112
	v_mul_f32_e32 v112, v108, v112
	v_fmac_f32_e32 v119, v104, v114
	s_waitcnt vmcnt(3)
	v_fma_f32 v103, v105, v115, -v111
	v_add_f32_e32 v100, 0, v100
	v_add_f32_e32 v101, v101, v102
	v_fmac_f32_e32 v120, v106, v115
	s_waitcnt vmcnt(2)
	v_fma_f32 v104, v107, v116, -v112
	v_add_f32_e32 v100, v100, v119
	v_add_f32_e32 v101, v101, v103
	v_fmac_f32_e32 v121, v108, v116
	v_add_f32_e32 v100, v100, v120
	v_add_f32_e32 v101, v101, v104
	;; [unrolled: 1-line block ×3, first 2 shown]
	s_waitcnt vmcnt(1)
	v_sub_f32_e32 v101, v117, v101
	s_waitcnt vmcnt(0)
	v_sub_f32_e32 v100, v118, v100
	buffer_store_dword v101, off, s[0:3], 0 offset:352
	buffer_store_dword v100, off, s[0:3], 0 offset:356
	s_and_saveexec_b64 s[4:5], vcc
	s_cbranch_execz .LBB112_221
; %bb.220:
	buffer_load_dword v100, off, s[0:3], 0 offset:344
	buffer_load_dword v101, off, s[0:3], 0 offset:348
	v_mov_b32_e32 v102, 0
	buffer_store_dword v102, off, s[0:3], 0 offset:344
	buffer_store_dword v102, off, s[0:3], 0 offset:348
	s_waitcnt vmcnt(2)
	ds_write_b64 v99, v[100:101]
.LBB112_221:
	s_or_b64 exec, exec, s[4:5]
	v_mov_b32_e32 v100, 0
	s_waitcnt lgkmcnt(0)
	; wave barrier
	ds_read_b128 v[101:104], v100 offset:752
	ds_read_b128 v[105:108], v100 offset:768
	ds_read_b64 v[109:110], v100 offset:784
	buffer_load_dword v111, off, s[0:3], 0 offset:344
	buffer_load_dword v112, off, s[0:3], 0 offset:348
	buffer_load_dword v113, off, s[0:3], 0 offset:352
	buffer_load_dword v114, off, s[0:3], 0 offset:356
	buffer_load_dword v115, off, s[0:3], 0 offset:360
	buffer_load_dword v116, off, s[0:3], 0 offset:364
	buffer_load_dword v117, off, s[0:3], 0 offset:368
	buffer_load_dword v118, off, s[0:3], 0 offset:372
	buffer_load_dword v119, off, s[0:3], 0 offset:376
	buffer_load_dword v120, off, s[0:3], 0 offset:380
	buffer_load_dword v121, off, s[0:3], 0 offset:384
	buffer_load_dword v122, off, s[0:3], 0 offset:388
	v_cmp_lt_u32_e32 vcc, 42, v0
	s_waitcnt vmcnt(8) lgkmcnt(2)
	v_mul_f32_e32 v123, v101, v114
	v_fmac_f32_e32 v123, v102, v113
	v_mul_f32_e32 v102, v102, v114
	v_fma_f32 v101, v101, v113, -v102
	s_waitcnt vmcnt(6)
	v_mul_f32_e32 v102, v104, v116
	v_mul_f32_e32 v124, v103, v116
	v_add_f32_e32 v101, 0, v101
	v_fma_f32 v102, v103, v115, -v102
	v_add_f32_e32 v123, 0, v123
	v_fmac_f32_e32 v124, v104, v115
	v_add_f32_e32 v101, v101, v102
	s_waitcnt vmcnt(4) lgkmcnt(1)
	v_mul_f32_e32 v102, v106, v118
	v_add_f32_e32 v123, v123, v124
	v_mul_f32_e32 v124, v105, v118
	v_fma_f32 v102, v105, v117, -v102
	v_fmac_f32_e32 v124, v106, v117
	v_add_f32_e32 v101, v101, v102
	s_waitcnt vmcnt(2)
	v_mul_f32_e32 v102, v108, v120
	v_add_f32_e32 v123, v123, v124
	v_mul_f32_e32 v124, v107, v120
	v_fma_f32 v102, v107, v119, -v102
	v_fmac_f32_e32 v124, v108, v119
	v_add_f32_e32 v101, v101, v102
	s_waitcnt vmcnt(0) lgkmcnt(0)
	v_mul_f32_e32 v102, v110, v122
	v_add_f32_e32 v123, v123, v124
	v_mul_f32_e32 v124, v109, v122
	v_fma_f32 v102, v109, v121, -v102
	v_fmac_f32_e32 v124, v110, v121
	v_add_f32_e32 v101, v101, v102
	v_add_f32_e32 v123, v123, v124
	v_sub_f32_e32 v101, v111, v101
	v_sub_f32_e32 v102, v112, v123
	buffer_store_dword v101, off, s[0:3], 0 offset:344
	buffer_store_dword v102, off, s[0:3], 0 offset:348
	s_and_saveexec_b64 s[4:5], vcc
	s_cbranch_execz .LBB112_223
; %bb.222:
	buffer_load_dword v101, off, s[0:3], 0 offset:336
	buffer_load_dword v102, off, s[0:3], 0 offset:340
	s_waitcnt vmcnt(0)
	ds_write_b64 v99, v[101:102]
	buffer_store_dword v100, off, s[0:3], 0 offset:336
	buffer_store_dword v100, off, s[0:3], 0 offset:340
.LBB112_223:
	s_or_b64 exec, exec, s[4:5]
	s_waitcnt lgkmcnt(0)
	; wave barrier
	buffer_load_dword v113, off, s[0:3], 0 offset:348
	buffer_load_dword v114, off, s[0:3], 0 offset:356
	buffer_load_dword v115, off, s[0:3], 0 offset:364
	buffer_load_dword v116, off, s[0:3], 0 offset:372
	buffer_load_dword v117, off, s[0:3], 0 offset:380
	buffer_load_dword v118, off, s[0:3], 0 offset:388
	buffer_load_dword v119, off, s[0:3], 0 offset:344
	buffer_load_dword v120, off, s[0:3], 0 offset:352
	buffer_load_dword v121, off, s[0:3], 0 offset:360
	buffer_load_dword v122, off, s[0:3], 0 offset:368
	buffer_load_dword v123, off, s[0:3], 0 offset:376
	buffer_load_dword v124, off, s[0:3], 0 offset:384
	buffer_load_dword v125, off, s[0:3], 0 offset:336
	buffer_load_dword v126, off, s[0:3], 0 offset:340
	ds_read2_b64 v[101:104], v100 offset0:93 offset1:94
	ds_read2_b64 v[105:108], v100 offset0:95 offset1:96
	;; [unrolled: 1-line block ×3, first 2 shown]
	v_cmp_lt_u32_e32 vcc, 41, v0
	s_waitcnt vmcnt(13) lgkmcnt(2)
	v_mul_f32_e32 v100, v101, v113
	v_mul_f32_e32 v113, v102, v113
	s_waitcnt vmcnt(12)
	v_mul_f32_e32 v127, v103, v114
	v_mul_f32_e32 v114, v104, v114
	s_waitcnt vmcnt(11) lgkmcnt(1)
	v_mul_f32_e32 v128, v105, v115
	v_mul_f32_e32 v115, v106, v115
	s_waitcnt vmcnt(7)
	v_fma_f32 v101, v101, v119, -v113
	v_fmac_f32_e32 v100, v102, v119
	s_waitcnt vmcnt(6)
	v_fma_f32 v102, v103, v120, -v114
	v_add_f32_e32 v101, 0, v101
	v_mul_f32_e32 v129, v107, v116
	v_mul_f32_e32 v116, v108, v116
	v_fmac_f32_e32 v127, v104, v120
	s_waitcnt vmcnt(5)
	v_fma_f32 v103, v105, v121, -v115
	v_add_f32_e32 v100, 0, v100
	v_add_f32_e32 v101, v101, v102
	s_waitcnt lgkmcnt(0)
	v_mul_f32_e32 v130, v109, v117
	v_mul_f32_e32 v117, v110, v117
	v_fmac_f32_e32 v128, v106, v121
	s_waitcnt vmcnt(4)
	v_fma_f32 v104, v107, v122, -v116
	v_add_f32_e32 v100, v100, v127
	v_add_f32_e32 v101, v101, v103
	v_mul_f32_e32 v131, v111, v118
	v_mul_f32_e32 v118, v112, v118
	v_fmac_f32_e32 v129, v108, v122
	s_waitcnt vmcnt(3)
	v_fma_f32 v105, v109, v123, -v117
	v_add_f32_e32 v100, v100, v128
	v_add_f32_e32 v101, v101, v104
	v_fmac_f32_e32 v130, v110, v123
	s_waitcnt vmcnt(2)
	v_fma_f32 v106, v111, v124, -v118
	v_add_f32_e32 v100, v100, v129
	v_add_f32_e32 v101, v101, v105
	v_fmac_f32_e32 v131, v112, v124
	v_add_f32_e32 v100, v100, v130
	v_add_f32_e32 v101, v101, v106
	;; [unrolled: 1-line block ×3, first 2 shown]
	s_waitcnt vmcnt(1)
	v_sub_f32_e32 v101, v125, v101
	s_waitcnt vmcnt(0)
	v_sub_f32_e32 v100, v126, v100
	buffer_store_dword v101, off, s[0:3], 0 offset:336
	buffer_store_dword v100, off, s[0:3], 0 offset:340
	s_and_saveexec_b64 s[4:5], vcc
	s_cbranch_execz .LBB112_225
; %bb.224:
	buffer_load_dword v100, off, s[0:3], 0 offset:328
	buffer_load_dword v101, off, s[0:3], 0 offset:332
	v_mov_b32_e32 v102, 0
	buffer_store_dword v102, off, s[0:3], 0 offset:328
	buffer_store_dword v102, off, s[0:3], 0 offset:332
	s_waitcnt vmcnt(2)
	ds_write_b64 v99, v[100:101]
.LBB112_225:
	s_or_b64 exec, exec, s[4:5]
	s_waitcnt lgkmcnt(0)
	; wave barrier
	buffer_load_dword v115, off, s[0:3], 0 offset:340
	buffer_load_dword v116, off, s[0:3], 0 offset:348
	;; [unrolled: 1-line block ×16, first 2 shown]
	v_mov_b32_e32 v100, 0
	ds_read_b128 v[101:104], v100 offset:736
	ds_read_b128 v[105:108], v100 offset:752
	;; [unrolled: 1-line block ×3, first 2 shown]
	ds_read_b64 v[113:114], v100 offset:784
	v_cmp_lt_u32_e32 vcc, 40, v0
	s_waitcnt vmcnt(15) lgkmcnt(3)
	v_mul_f32_e32 v131, v101, v115
	v_mul_f32_e32 v115, v102, v115
	s_waitcnt vmcnt(14)
	v_mul_f32_e32 v132, v103, v116
	v_mul_f32_e32 v116, v104, v116
	s_waitcnt vmcnt(13) lgkmcnt(2)
	v_mul_f32_e32 v133, v105, v117
	s_waitcnt vmcnt(12)
	v_mul_f32_e32 v134, v107, v118
	v_mul_f32_e32 v117, v106, v117
	s_waitcnt vmcnt(8)
	v_fma_f32 v101, v101, v122, -v115
	v_fmac_f32_e32 v131, v102, v122
	s_waitcnt vmcnt(7)
	v_fma_f32 v102, v103, v123, -v116
	v_add_f32_e32 v101, 0, v101
	v_mul_f32_e32 v118, v108, v118
	v_fmac_f32_e32 v132, v104, v123
	s_waitcnt vmcnt(5)
	v_fmac_f32_e32 v134, v108, v125
	v_fma_f32 v103, v105, v124, -v117
	v_add_f32_e32 v108, 0, v131
	v_add_f32_e32 v101, v101, v102
	s_waitcnt lgkmcnt(1)
	v_mul_f32_e32 v135, v109, v119
	v_mul_f32_e32 v119, v110, v119
	v_fmac_f32_e32 v133, v106, v124
	v_fma_f32 v104, v107, v125, -v118
	v_add_f32_e32 v108, v108, v132
	v_add_f32_e32 v101, v101, v103
	v_mul_f32_e32 v136, v111, v120
	v_mul_f32_e32 v120, v112, v120
	s_waitcnt vmcnt(4)
	v_fma_f32 v105, v109, v126, -v119
	v_add_f32_e32 v102, v108, v133
	v_add_f32_e32 v101, v101, v104
	s_waitcnt lgkmcnt(0)
	v_mul_f32_e32 v137, v113, v121
	v_mul_f32_e32 v121, v114, v121
	v_fmac_f32_e32 v135, v110, v126
	s_waitcnt vmcnt(3)
	v_fma_f32 v106, v111, v127, -v120
	v_add_f32_e32 v102, v102, v134
	v_add_f32_e32 v101, v101, v105
	v_fmac_f32_e32 v136, v112, v127
	s_waitcnt vmcnt(2)
	v_fma_f32 v107, v113, v128, -v121
	v_add_f32_e32 v102, v102, v135
	v_add_f32_e32 v101, v101, v106
	v_fmac_f32_e32 v137, v114, v128
	v_add_f32_e32 v102, v102, v136
	v_add_f32_e32 v101, v101, v107
	;; [unrolled: 1-line block ×3, first 2 shown]
	s_waitcnt vmcnt(1)
	v_sub_f32_e32 v101, v129, v101
	s_waitcnt vmcnt(0)
	v_sub_f32_e32 v102, v130, v102
	buffer_store_dword v101, off, s[0:3], 0 offset:328
	buffer_store_dword v102, off, s[0:3], 0 offset:332
	s_and_saveexec_b64 s[4:5], vcc
	s_cbranch_execz .LBB112_227
; %bb.226:
	buffer_load_dword v101, off, s[0:3], 0 offset:320
	buffer_load_dword v102, off, s[0:3], 0 offset:324
	s_waitcnt vmcnt(0)
	ds_write_b64 v99, v[101:102]
	buffer_store_dword v100, off, s[0:3], 0 offset:320
	buffer_store_dword v100, off, s[0:3], 0 offset:324
.LBB112_227:
	s_or_b64 exec, exec, s[4:5]
	s_waitcnt lgkmcnt(0)
	; wave barrier
	buffer_load_dword v117, off, s[0:3], 0 offset:332
	buffer_load_dword v118, off, s[0:3], 0 offset:340
	;; [unrolled: 1-line block ×18, first 2 shown]
	ds_read2_b64 v[101:104], v100 offset0:91 offset1:92
	ds_read2_b64 v[105:108], v100 offset0:93 offset1:94
	;; [unrolled: 1-line block ×4, first 2 shown]
	v_cmp_lt_u32_e32 vcc, 39, v0
	s_waitcnt vmcnt(17) lgkmcnt(3)
	v_mul_f32_e32 v100, v101, v117
	v_mul_f32_e32 v117, v102, v117
	s_waitcnt vmcnt(16)
	v_mul_f32_e32 v135, v103, v118
	v_mul_f32_e32 v118, v104, v118
	s_waitcnt vmcnt(15) lgkmcnt(2)
	v_mul_f32_e32 v136, v105, v119
	v_mul_f32_e32 v119, v106, v119
	s_waitcnt vmcnt(14)
	v_mul_f32_e32 v137, v107, v120
	v_mul_f32_e32 v120, v108, v120
	s_waitcnt vmcnt(9)
	v_fma_f32 v101, v101, v125, -v117
	v_fmac_f32_e32 v100, v102, v125
	s_waitcnt vmcnt(8)
	v_fma_f32 v102, v103, v126, -v118
	v_add_f32_e32 v101, 0, v101
	v_fmac_f32_e32 v135, v104, v126
	s_waitcnt vmcnt(7)
	v_fma_f32 v103, v105, v127, -v119
	v_add_f32_e32 v100, 0, v100
	v_add_f32_e32 v101, v101, v102
	s_waitcnt lgkmcnt(1)
	v_mul_f32_e32 v138, v109, v121
	v_mul_f32_e32 v121, v110, v121
	v_fmac_f32_e32 v136, v106, v127
	s_waitcnt vmcnt(6)
	v_fma_f32 v104, v107, v128, -v120
	v_add_f32_e32 v100, v100, v135
	v_add_f32_e32 v101, v101, v103
	v_mul_f32_e32 v139, v111, v122
	v_mul_f32_e32 v122, v112, v122
	v_fmac_f32_e32 v137, v108, v128
	s_waitcnt vmcnt(5)
	v_fma_f32 v105, v109, v129, -v121
	v_add_f32_e32 v100, v100, v136
	v_add_f32_e32 v101, v101, v104
	s_waitcnt lgkmcnt(0)
	v_mul_f32_e32 v140, v113, v123
	v_mul_f32_e32 v123, v114, v123
	v_fmac_f32_e32 v138, v110, v129
	s_waitcnt vmcnt(4)
	v_fma_f32 v106, v111, v130, -v122
	v_add_f32_e32 v100, v100, v137
	v_add_f32_e32 v101, v101, v105
	v_mul_f32_e32 v141, v115, v124
	v_mul_f32_e32 v124, v116, v124
	v_fmac_f32_e32 v139, v112, v130
	s_waitcnt vmcnt(3)
	v_fma_f32 v107, v113, v131, -v123
	v_add_f32_e32 v100, v100, v138
	v_add_f32_e32 v101, v101, v106
	v_fmac_f32_e32 v140, v114, v131
	s_waitcnt vmcnt(2)
	v_fma_f32 v108, v115, v132, -v124
	v_add_f32_e32 v100, v100, v139
	v_add_f32_e32 v101, v101, v107
	v_fmac_f32_e32 v141, v116, v132
	v_add_f32_e32 v100, v100, v140
	v_add_f32_e32 v101, v101, v108
	;; [unrolled: 1-line block ×3, first 2 shown]
	s_waitcnt vmcnt(1)
	v_sub_f32_e32 v101, v133, v101
	s_waitcnt vmcnt(0)
	v_sub_f32_e32 v100, v134, v100
	buffer_store_dword v101, off, s[0:3], 0 offset:320
	buffer_store_dword v100, off, s[0:3], 0 offset:324
	s_and_saveexec_b64 s[4:5], vcc
	s_cbranch_execz .LBB112_229
; %bb.228:
	buffer_load_dword v100, off, s[0:3], 0 offset:312
	buffer_load_dword v101, off, s[0:3], 0 offset:316
	v_mov_b32_e32 v102, 0
	buffer_store_dword v102, off, s[0:3], 0 offset:312
	buffer_store_dword v102, off, s[0:3], 0 offset:316
	s_waitcnt vmcnt(2)
	ds_write_b64 v99, v[100:101]
.LBB112_229:
	s_or_b64 exec, exec, s[4:5]
	s_waitcnt lgkmcnt(0)
	; wave barrier
	buffer_load_dword v119, off, s[0:3], 0 offset:324
	buffer_load_dword v120, off, s[0:3], 0 offset:332
	;; [unrolled: 1-line block ×20, first 2 shown]
	v_mov_b32_e32 v100, 0
	ds_read_b128 v[101:104], v100 offset:720
	ds_read_b128 v[105:108], v100 offset:736
	;; [unrolled: 1-line block ×4, first 2 shown]
	ds_read_b64 v[117:118], v100 offset:784
	v_cmp_lt_u32_e32 vcc, 38, v0
	s_waitcnt vmcnt(19) lgkmcnt(4)
	v_mul_f32_e32 v139, v101, v119
	v_mul_f32_e32 v119, v102, v119
	s_waitcnt vmcnt(18)
	v_mul_f32_e32 v140, v103, v120
	v_mul_f32_e32 v120, v104, v120
	s_waitcnt vmcnt(17) lgkmcnt(3)
	v_mul_f32_e32 v141, v105, v121
	s_waitcnt vmcnt(15) lgkmcnt(2)
	v_mul_f32_e32 v143, v109, v123
	v_mul_f32_e32 v121, v106, v121
	;; [unrolled: 1-line block ×4, first 2 shown]
	s_waitcnt vmcnt(10)
	v_fma_f32 v101, v101, v128, -v119
	v_fmac_f32_e32 v139, v102, v128
	s_waitcnt vmcnt(9)
	v_fma_f32 v102, v103, v129, -v120
	v_add_f32_e32 v101, 0, v101
	v_mul_f32_e32 v123, v110, v123
	v_fmac_f32_e32 v140, v104, v129
	s_waitcnt vmcnt(6)
	v_fmac_f32_e32 v143, v110, v132
	v_fma_f32 v103, v105, v130, -v121
	v_add_f32_e32 v110, 0, v139
	v_add_f32_e32 v101, v101, v102
	v_fmac_f32_e32 v141, v106, v130
	v_fma_f32 v104, v107, v131, -v122
	v_add_f32_e32 v110, v110, v140
	v_add_f32_e32 v101, v101, v103
	v_mul_f32_e32 v144, v111, v124
	v_mul_f32_e32 v124, v112, v124
	v_fmac_f32_e32 v142, v108, v131
	v_fma_f32 v105, v109, v132, -v123
	v_add_f32_e32 v102, v110, v141
	v_add_f32_e32 v101, v101, v104
	s_waitcnt lgkmcnt(1)
	v_mul_f32_e32 v145, v113, v125
	v_mul_f32_e32 v125, v114, v125
	s_waitcnt vmcnt(5)
	v_fma_f32 v106, v111, v133, -v124
	v_add_f32_e32 v102, v102, v142
	v_add_f32_e32 v101, v101, v105
	v_mul_f32_e32 v146, v115, v126
	v_mul_f32_e32 v126, v116, v126
	v_fmac_f32_e32 v144, v112, v133
	s_waitcnt vmcnt(4)
	v_fma_f32 v107, v113, v134, -v125
	v_add_f32_e32 v102, v102, v143
	v_add_f32_e32 v101, v101, v106
	s_waitcnt lgkmcnt(0)
	v_mul_f32_e32 v147, v117, v127
	v_mul_f32_e32 v127, v118, v127
	v_fmac_f32_e32 v145, v114, v134
	s_waitcnt vmcnt(3)
	v_fma_f32 v108, v115, v135, -v126
	v_add_f32_e32 v102, v102, v144
	v_add_f32_e32 v101, v101, v107
	v_fmac_f32_e32 v146, v116, v135
	s_waitcnt vmcnt(2)
	v_fma_f32 v109, v117, v136, -v127
	v_add_f32_e32 v102, v102, v145
	v_add_f32_e32 v101, v101, v108
	v_fmac_f32_e32 v147, v118, v136
	v_add_f32_e32 v102, v102, v146
	v_add_f32_e32 v101, v101, v109
	;; [unrolled: 1-line block ×3, first 2 shown]
	s_waitcnt vmcnt(1)
	v_sub_f32_e32 v101, v137, v101
	s_waitcnt vmcnt(0)
	v_sub_f32_e32 v102, v138, v102
	buffer_store_dword v101, off, s[0:3], 0 offset:312
	buffer_store_dword v102, off, s[0:3], 0 offset:316
	s_and_saveexec_b64 s[4:5], vcc
	s_cbranch_execz .LBB112_231
; %bb.230:
	buffer_load_dword v101, off, s[0:3], 0 offset:304
	buffer_load_dword v102, off, s[0:3], 0 offset:308
	s_waitcnt vmcnt(0)
	ds_write_b64 v99, v[101:102]
	buffer_store_dword v100, off, s[0:3], 0 offset:304
	buffer_store_dword v100, off, s[0:3], 0 offset:308
.LBB112_231:
	s_or_b64 exec, exec, s[4:5]
	s_waitcnt lgkmcnt(0)
	; wave barrier
	buffer_load_dword v121, off, s[0:3], 0 offset:316
	buffer_load_dword v122, off, s[0:3], 0 offset:324
	;; [unrolled: 1-line block ×22, first 2 shown]
	ds_read2_b64 v[101:104], v100 offset0:89 offset1:90
	ds_read2_b64 v[105:108], v100 offset0:91 offset1:92
	;; [unrolled: 1-line block ×5, first 2 shown]
	v_cmp_lt_u32_e32 vcc, 37, v0
	s_waitcnt vmcnt(21) lgkmcnt(4)
	v_mul_f32_e32 v100, v101, v121
	v_mul_f32_e32 v121, v102, v121
	s_waitcnt vmcnt(20)
	v_mul_f32_e32 v143, v103, v122
	v_mul_f32_e32 v122, v104, v122
	s_waitcnt vmcnt(19) lgkmcnt(3)
	v_mul_f32_e32 v144, v105, v123
	v_mul_f32_e32 v123, v106, v123
	s_waitcnt vmcnt(18)
	v_mul_f32_e32 v145, v107, v124
	v_mul_f32_e32 v124, v108, v124
	s_waitcnt vmcnt(17) lgkmcnt(2)
	v_mul_f32_e32 v146, v109, v125
	v_mul_f32_e32 v125, v110, v125
	s_waitcnt vmcnt(11)
	v_fma_f32 v101, v101, v131, -v121
	v_fmac_f32_e32 v100, v102, v131
	s_waitcnt vmcnt(10)
	v_fma_f32 v102, v103, v132, -v122
	v_add_f32_e32 v101, 0, v101
	v_fmac_f32_e32 v143, v104, v132
	s_waitcnt vmcnt(9)
	v_fma_f32 v103, v105, v133, -v123
	v_add_f32_e32 v100, 0, v100
	v_add_f32_e32 v101, v101, v102
	v_fmac_f32_e32 v144, v106, v133
	s_waitcnt vmcnt(8)
	v_fma_f32 v104, v107, v134, -v124
	v_add_f32_e32 v100, v100, v143
	v_add_f32_e32 v101, v101, v103
	v_mul_f32_e32 v147, v111, v126
	v_mul_f32_e32 v126, v112, v126
	v_fmac_f32_e32 v145, v108, v134
	s_waitcnt vmcnt(7)
	v_fma_f32 v105, v109, v135, -v125
	v_add_f32_e32 v100, v100, v144
	v_add_f32_e32 v101, v101, v104
	s_waitcnt lgkmcnt(1)
	v_mul_f32_e32 v148, v113, v127
	v_mul_f32_e32 v127, v114, v127
	v_fmac_f32_e32 v146, v110, v135
	s_waitcnt vmcnt(6)
	v_fma_f32 v106, v111, v136, -v126
	v_add_f32_e32 v100, v100, v145
	v_add_f32_e32 v101, v101, v105
	v_mul_f32_e32 v149, v115, v128
	v_mul_f32_e32 v128, v116, v128
	v_fmac_f32_e32 v147, v112, v136
	s_waitcnt vmcnt(5)
	v_fma_f32 v107, v113, v137, -v127
	v_add_f32_e32 v100, v100, v146
	v_add_f32_e32 v101, v101, v106
	s_waitcnt lgkmcnt(0)
	v_mul_f32_e32 v150, v117, v129
	v_mul_f32_e32 v129, v118, v129
	v_fmac_f32_e32 v148, v114, v137
	s_waitcnt vmcnt(4)
	v_fma_f32 v108, v115, v138, -v128
	v_add_f32_e32 v100, v100, v147
	v_add_f32_e32 v101, v101, v107
	v_mul_f32_e32 v151, v119, v130
	v_mul_f32_e32 v130, v120, v130
	v_fmac_f32_e32 v149, v116, v138
	s_waitcnt vmcnt(3)
	v_fma_f32 v109, v117, v139, -v129
	v_add_f32_e32 v100, v100, v148
	v_add_f32_e32 v101, v101, v108
	v_fmac_f32_e32 v150, v118, v139
	s_waitcnt vmcnt(2)
	v_fma_f32 v110, v119, v140, -v130
	v_add_f32_e32 v100, v100, v149
	v_add_f32_e32 v101, v101, v109
	v_fmac_f32_e32 v151, v120, v140
	v_add_f32_e32 v100, v100, v150
	v_add_f32_e32 v101, v101, v110
	;; [unrolled: 1-line block ×3, first 2 shown]
	s_waitcnt vmcnt(1)
	v_sub_f32_e32 v101, v141, v101
	s_waitcnt vmcnt(0)
	v_sub_f32_e32 v100, v142, v100
	buffer_store_dword v101, off, s[0:3], 0 offset:304
	buffer_store_dword v100, off, s[0:3], 0 offset:308
	s_and_saveexec_b64 s[4:5], vcc
	s_cbranch_execz .LBB112_233
; %bb.232:
	buffer_load_dword v100, off, s[0:3], 0 offset:296
	buffer_load_dword v101, off, s[0:3], 0 offset:300
	v_mov_b32_e32 v102, 0
	buffer_store_dword v102, off, s[0:3], 0 offset:296
	buffer_store_dword v102, off, s[0:3], 0 offset:300
	s_waitcnt vmcnt(2)
	ds_write_b64 v99, v[100:101]
.LBB112_233:
	s_or_b64 exec, exec, s[4:5]
	s_waitcnt lgkmcnt(0)
	; wave barrier
	buffer_load_dword v123, off, s[0:3], 0 offset:308
	buffer_load_dword v124, off, s[0:3], 0 offset:316
	;; [unrolled: 1-line block ×24, first 2 shown]
	v_mov_b32_e32 v100, 0
	ds_read_b128 v[101:104], v100 offset:704
	ds_read_b128 v[105:108], v100 offset:720
	ds_read_b128 v[109:112], v100 offset:736
	ds_read_b128 v[113:116], v100 offset:752
	ds_read_b128 v[117:120], v100 offset:768
	ds_read_b64 v[121:122], v100 offset:784
	v_cmp_lt_u32_e32 vcc, 36, v0
	s_waitcnt vmcnt(23) lgkmcnt(5)
	v_mul_f32_e32 v147, v101, v123
	v_mul_f32_e32 v123, v102, v123
	s_waitcnt vmcnt(22)
	v_mul_f32_e32 v148, v103, v124
	v_mul_f32_e32 v124, v104, v124
	s_waitcnt vmcnt(21) lgkmcnt(4)
	v_mul_f32_e32 v149, v105, v125
	v_mul_f32_e32 v125, v106, v125
	s_waitcnt vmcnt(20)
	v_mul_f32_e32 v150, v107, v126
	s_waitcnt vmcnt(19) lgkmcnt(3)
	v_mul_f32_e32 v151, v109, v127
	v_mul_f32_e32 v126, v108, v126
	;; [unrolled: 1-line block ×3, first 2 shown]
	s_waitcnt vmcnt(18)
	v_mul_f32_e32 v152, v111, v128
	s_waitcnt vmcnt(12)
	v_fma_f32 v101, v101, v134, -v123
	v_fmac_f32_e32 v147, v102, v134
	s_waitcnt vmcnt(11)
	v_fma_f32 v102, v103, v135, -v124
	v_add_f32_e32 v101, 0, v101
	s_waitcnt vmcnt(10)
	v_fma_f32 v103, v105, v136, -v125
	v_add_f32_e32 v101, v101, v102
	v_fmac_f32_e32 v148, v104, v135
	s_waitcnt vmcnt(8)
	v_fmac_f32_e32 v151, v110, v138
	v_fma_f32 v104, v107, v137, -v126
	v_add_f32_e32 v110, 0, v147
	v_add_f32_e32 v101, v101, v103
	v_mul_f32_e32 v128, v112, v128
	v_fmac_f32_e32 v149, v106, v136
	v_fma_f32 v105, v109, v138, -v127
	v_add_f32_e32 v110, v110, v148
	v_add_f32_e32 v101, v101, v104
	s_waitcnt lgkmcnt(2)
	v_mul_f32_e32 v153, v113, v129
	v_mul_f32_e32 v129, v114, v129
	v_fmac_f32_e32 v150, v108, v137
	s_waitcnt vmcnt(7)
	v_fma_f32 v106, v111, v139, -v128
	v_add_f32_e32 v102, v110, v149
	v_add_f32_e32 v101, v101, v105
	v_mul_f32_e32 v154, v115, v130
	v_mul_f32_e32 v130, v116, v130
	s_waitcnt vmcnt(6)
	v_fma_f32 v107, v113, v140, -v129
	v_add_f32_e32 v102, v102, v150
	v_add_f32_e32 v101, v101, v106
	s_waitcnt lgkmcnt(1)
	v_mul_f32_e32 v155, v117, v131
	v_mul_f32_e32 v131, v118, v131
	v_fmac_f32_e32 v152, v112, v139
	s_waitcnt vmcnt(5)
	v_fma_f32 v108, v115, v141, -v130
	v_add_f32_e32 v102, v102, v151
	v_add_f32_e32 v101, v101, v107
	v_fmac_f32_e32 v153, v114, v140
	s_waitcnt vmcnt(4)
	v_fma_f32 v109, v117, v142, -v131
	v_add_f32_e32 v102, v102, v152
	v_add_f32_e32 v101, v101, v108
	v_mul_f32_e32 v103, v120, v132
	v_fmac_f32_e32 v154, v116, v141
	v_add_f32_e32 v102, v102, v153
	v_add_f32_e32 v101, v101, v109
	s_waitcnt vmcnt(3)
	v_fma_f32 v103, v119, v143, -v103
	v_mul_f32_e32 v156, v119, v132
	v_fmac_f32_e32 v155, v118, v142
	v_add_f32_e32 v102, v102, v154
	v_add_f32_e32 v101, v101, v103
	s_waitcnt lgkmcnt(0)
	v_mul_f32_e32 v103, v122, v133
	v_mul_f32_e32 v157, v121, v133
	v_fmac_f32_e32 v156, v120, v143
	v_add_f32_e32 v102, v102, v155
	s_waitcnt vmcnt(2)
	v_fma_f32 v103, v121, v144, -v103
	v_fmac_f32_e32 v157, v122, v144
	v_add_f32_e32 v102, v102, v156
	v_add_f32_e32 v101, v101, v103
	;; [unrolled: 1-line block ×3, first 2 shown]
	s_waitcnt vmcnt(1)
	v_sub_f32_e32 v101, v145, v101
	s_waitcnt vmcnt(0)
	v_sub_f32_e32 v102, v146, v102
	buffer_store_dword v101, off, s[0:3], 0 offset:296
	buffer_store_dword v102, off, s[0:3], 0 offset:300
	s_and_saveexec_b64 s[4:5], vcc
	s_cbranch_execz .LBB112_235
; %bb.234:
	buffer_load_dword v101, off, s[0:3], 0 offset:288
	buffer_load_dword v102, off, s[0:3], 0 offset:292
	s_waitcnt vmcnt(0)
	ds_write_b64 v99, v[101:102]
	buffer_store_dword v100, off, s[0:3], 0 offset:288
	buffer_store_dword v100, off, s[0:3], 0 offset:292
.LBB112_235:
	s_or_b64 exec, exec, s[4:5]
	s_waitcnt lgkmcnt(0)
	; wave barrier
	buffer_load_dword v125, off, s[0:3], 0 offset:300
	buffer_load_dword v126, off, s[0:3], 0 offset:308
	;; [unrolled: 1-line block ×26, first 2 shown]
	ds_read2_b64 v[101:104], v100 offset0:87 offset1:88
	ds_read2_b64 v[105:108], v100 offset0:89 offset1:90
	;; [unrolled: 1-line block ×6, first 2 shown]
	v_cmp_lt_u32_e32 vcc, 35, v0
	s_waitcnt vmcnt(25) lgkmcnt(5)
	v_mul_f32_e32 v100, v101, v125
	v_mul_f32_e32 v125, v102, v125
	s_waitcnt vmcnt(24)
	v_mul_f32_e32 v151, v103, v126
	v_mul_f32_e32 v126, v104, v126
	s_waitcnt vmcnt(23) lgkmcnt(4)
	v_mul_f32_e32 v152, v105, v127
	v_mul_f32_e32 v127, v106, v127
	s_waitcnt vmcnt(22)
	v_mul_f32_e32 v153, v107, v128
	v_mul_f32_e32 v128, v108, v128
	s_waitcnt vmcnt(21) lgkmcnt(3)
	v_mul_f32_e32 v154, v109, v129
	v_mul_f32_e32 v129, v110, v129
	s_waitcnt vmcnt(20)
	v_mul_f32_e32 v155, v111, v130
	v_mul_f32_e32 v130, v112, v130
	s_waitcnt vmcnt(13)
	v_fma_f32 v101, v101, v137, -v125
	v_fmac_f32_e32 v100, v102, v137
	s_waitcnt vmcnt(12)
	v_fma_f32 v102, v103, v138, -v126
	v_add_f32_e32 v101, 0, v101
	s_waitcnt vmcnt(11)
	v_fma_f32 v103, v105, v139, -v127
	v_add_f32_e32 v101, v101, v102
	v_fmac_f32_e32 v151, v104, v138
	s_waitcnt vmcnt(10)
	v_fma_f32 v104, v107, v140, -v128
	v_add_f32_e32 v101, v101, v103
	s_waitcnt vmcnt(9)
	v_fma_f32 v105, v109, v141, -v129
	v_add_f32_e32 v101, v101, v104
	s_waitcnt lgkmcnt(2)
	v_mul_f32_e32 v156, v113, v131
	v_mul_f32_e32 v131, v114, v131
	v_fmac_f32_e32 v152, v106, v139
	s_waitcnt vmcnt(8)
	v_fma_f32 v106, v111, v142, -v130
	v_add_f32_e32 v100, 0, v100
	v_add_f32_e32 v101, v101, v105
	v_mul_f32_e32 v157, v115, v132
	v_mul_f32_e32 v132, v116, v132
	s_waitcnt vmcnt(7)
	v_fma_f32 v107, v113, v143, -v131
	v_add_f32_e32 v100, v100, v151
	v_add_f32_e32 v101, v101, v106
	v_fmac_f32_e32 v153, v108, v140
	s_waitcnt vmcnt(6)
	v_fma_f32 v108, v115, v144, -v132
	v_add_f32_e32 v100, v100, v152
	v_add_f32_e32 v101, v101, v107
	s_waitcnt lgkmcnt(1)
	v_mul_f32_e32 v102, v118, v133
	v_fmac_f32_e32 v154, v110, v141
	v_add_f32_e32 v100, v100, v153
	v_add_f32_e32 v101, v101, v108
	s_waitcnt vmcnt(5)
	v_fma_f32 v102, v117, v145, -v102
	v_fmac_f32_e32 v155, v112, v142
	v_add_f32_e32 v100, v100, v154
	v_add_f32_e32 v101, v101, v102
	v_mul_f32_e32 v102, v120, v134
	v_fmac_f32_e32 v156, v114, v143
	v_add_f32_e32 v100, v100, v155
	s_waitcnt vmcnt(4)
	v_fma_f32 v102, v119, v146, -v102
	v_mul_f32_e32 v158, v117, v133
	v_fmac_f32_e32 v157, v116, v144
	v_add_f32_e32 v100, v100, v156
	v_add_f32_e32 v101, v101, v102
	s_waitcnt lgkmcnt(0)
	v_mul_f32_e32 v102, v122, v135
	v_mul_f32_e32 v159, v119, v134
	v_fmac_f32_e32 v158, v118, v145
	v_add_f32_e32 v100, v100, v157
	s_waitcnt vmcnt(3)
	v_fma_f32 v102, v121, v147, -v102
	v_mul_f32_e32 v160, v121, v135
	v_fmac_f32_e32 v159, v120, v146
	v_add_f32_e32 v100, v100, v158
	v_add_f32_e32 v101, v101, v102
	v_mul_f32_e32 v102, v124, v136
	v_mul_f32_e32 v161, v123, v136
	v_fmac_f32_e32 v160, v122, v147
	v_add_f32_e32 v100, v100, v159
	s_waitcnt vmcnt(2)
	v_fma_f32 v102, v123, v148, -v102
	v_fmac_f32_e32 v161, v124, v148
	v_add_f32_e32 v100, v100, v160
	v_add_f32_e32 v101, v101, v102
	;; [unrolled: 1-line block ×3, first 2 shown]
	s_waitcnt vmcnt(1)
	v_sub_f32_e32 v101, v149, v101
	s_waitcnt vmcnt(0)
	v_sub_f32_e32 v100, v150, v100
	buffer_store_dword v101, off, s[0:3], 0 offset:288
	buffer_store_dword v100, off, s[0:3], 0 offset:292
	s_and_saveexec_b64 s[4:5], vcc
	s_cbranch_execz .LBB112_237
; %bb.236:
	buffer_load_dword v100, off, s[0:3], 0 offset:280
	buffer_load_dword v101, off, s[0:3], 0 offset:284
	v_mov_b32_e32 v102, 0
	buffer_store_dword v102, off, s[0:3], 0 offset:280
	buffer_store_dword v102, off, s[0:3], 0 offset:284
	s_waitcnt vmcnt(2)
	ds_write_b64 v99, v[100:101]
.LBB112_237:
	s_or_b64 exec, exec, s[4:5]
	s_waitcnt lgkmcnt(0)
	; wave barrier
	buffer_load_dword v127, off, s[0:3], 0 offset:292
	buffer_load_dword v128, off, s[0:3], 0 offset:300
	;; [unrolled: 1-line block ×28, first 2 shown]
	v_mov_b32_e32 v100, 0
	ds_read_b128 v[101:104], v100 offset:688
	ds_read_b128 v[105:108], v100 offset:704
	;; [unrolled: 1-line block ×6, first 2 shown]
	ds_read_b64 v[125:126], v100 offset:784
	v_cmp_lt_u32_e32 vcc, 34, v0
	s_waitcnt vmcnt(27) lgkmcnt(6)
	v_mul_f32_e32 v155, v101, v127
	v_mul_f32_e32 v127, v102, v127
	s_waitcnt vmcnt(26)
	v_mul_f32_e32 v156, v103, v128
	v_mul_f32_e32 v128, v104, v128
	s_waitcnt vmcnt(25) lgkmcnt(5)
	v_mul_f32_e32 v157, v105, v129
	v_mul_f32_e32 v129, v106, v129
	s_waitcnt vmcnt(24)
	v_mul_f32_e32 v158, v107, v130
	v_mul_f32_e32 v130, v108, v130
	;; [unrolled: 6-line block ×3, first 2 shown]
	s_waitcnt vmcnt(21) lgkmcnt(3)
	v_mul_f32_e32 v161, v113, v133
	s_waitcnt vmcnt(14)
	v_fma_f32 v101, v101, v140, -v127
	v_fmac_f32_e32 v155, v102, v140
	s_waitcnt vmcnt(13)
	v_fma_f32 v102, v103, v141, -v128
	v_add_f32_e32 v101, 0, v101
	s_waitcnt vmcnt(12)
	v_fma_f32 v103, v105, v142, -v129
	v_add_f32_e32 v101, v101, v102
	v_fmac_f32_e32 v156, v104, v141
	s_waitcnt vmcnt(11)
	v_fma_f32 v104, v107, v143, -v130
	v_add_f32_e32 v101, v101, v103
	s_waitcnt vmcnt(10)
	v_fma_f32 v105, v109, v144, -v131
	v_add_f32_e32 v101, v101, v104
	v_fmac_f32_e32 v157, v106, v142
	s_waitcnt vmcnt(9)
	v_fma_f32 v106, v111, v145, -v132
	v_add_f32_e32 v101, v101, v105
	v_mul_f32_e32 v103, v114, v133
	v_add_f32_e32 v101, v101, v106
	s_waitcnt vmcnt(8)
	v_fma_f32 v103, v113, v146, -v103
	v_add_f32_e32 v101, v101, v103
	v_mul_f32_e32 v103, v116, v134
	v_add_f32_e32 v107, 0, v155
	s_waitcnt vmcnt(7)
	v_fma_f32 v103, v115, v147, -v103
	v_add_f32_e32 v107, v107, v156
	v_add_f32_e32 v101, v101, v103
	s_waitcnt lgkmcnt(2)
	v_mul_f32_e32 v103, v118, v135
	v_fmac_f32_e32 v158, v108, v143
	v_add_f32_e32 v102, v107, v157
	s_waitcnt vmcnt(6)
	v_fma_f32 v103, v117, v148, -v103
	v_fmac_f32_e32 v159, v110, v144
	v_add_f32_e32 v102, v102, v158
	v_add_f32_e32 v101, v101, v103
	v_mul_f32_e32 v103, v120, v136
	v_fmac_f32_e32 v160, v112, v145
	v_add_f32_e32 v102, v102, v159
	s_waitcnt vmcnt(5)
	v_fma_f32 v103, v119, v149, -v103
	v_mul_f32_e32 v162, v115, v134
	v_fmac_f32_e32 v161, v114, v146
	v_add_f32_e32 v102, v102, v160
	v_add_f32_e32 v101, v101, v103
	s_waitcnt lgkmcnt(1)
	v_mul_f32_e32 v103, v122, v137
	v_mul_f32_e32 v163, v117, v135
	v_fmac_f32_e32 v162, v116, v147
	v_add_f32_e32 v102, v102, v161
	s_waitcnt vmcnt(4)
	v_fma_f32 v103, v121, v150, -v103
	v_mul_f32_e32 v164, v119, v136
	v_fmac_f32_e32 v163, v118, v148
	v_add_f32_e32 v102, v102, v162
	v_add_f32_e32 v101, v101, v103
	v_mul_f32_e32 v103, v124, v138
	v_mul_f32_e32 v165, v121, v137
	v_fmac_f32_e32 v164, v120, v149
	v_add_f32_e32 v102, v102, v163
	s_waitcnt vmcnt(3)
	v_fma_f32 v103, v123, v151, -v103
	v_mul_f32_e32 v166, v123, v138
	v_fmac_f32_e32 v165, v122, v150
	v_add_f32_e32 v102, v102, v164
	v_add_f32_e32 v101, v101, v103
	s_waitcnt lgkmcnt(0)
	v_mul_f32_e32 v103, v126, v139
	v_mul_f32_e32 v167, v125, v139
	v_fmac_f32_e32 v166, v124, v151
	v_add_f32_e32 v102, v102, v165
	s_waitcnt vmcnt(2)
	v_fma_f32 v103, v125, v152, -v103
	v_fmac_f32_e32 v167, v126, v152
	v_add_f32_e32 v102, v102, v166
	v_add_f32_e32 v101, v101, v103
	;; [unrolled: 1-line block ×3, first 2 shown]
	s_waitcnt vmcnt(1)
	v_sub_f32_e32 v101, v153, v101
	s_waitcnt vmcnt(0)
	v_sub_f32_e32 v102, v154, v102
	buffer_store_dword v101, off, s[0:3], 0 offset:280
	buffer_store_dword v102, off, s[0:3], 0 offset:284
	s_and_saveexec_b64 s[4:5], vcc
	s_cbranch_execz .LBB112_239
; %bb.238:
	buffer_load_dword v101, off, s[0:3], 0 offset:272
	buffer_load_dword v102, off, s[0:3], 0 offset:276
	s_waitcnt vmcnt(0)
	ds_write_b64 v99, v[101:102]
	buffer_store_dword v100, off, s[0:3], 0 offset:272
	buffer_store_dword v100, off, s[0:3], 0 offset:276
.LBB112_239:
	s_or_b64 exec, exec, s[4:5]
	s_waitcnt lgkmcnt(0)
	; wave barrier
	buffer_load_dword v129, off, s[0:3], 0 offset:284
	buffer_load_dword v130, off, s[0:3], 0 offset:292
	;; [unrolled: 1-line block ×30, first 2 shown]
	ds_read2_b64 v[101:104], v100 offset0:85 offset1:86
	ds_read2_b64 v[105:108], v100 offset0:87 offset1:88
	;; [unrolled: 1-line block ×7, first 2 shown]
	v_cmp_lt_u32_e32 vcc, 33, v0
	s_waitcnt vmcnt(29) lgkmcnt(6)
	v_mul_f32_e32 v100, v101, v129
	v_mul_f32_e32 v129, v102, v129
	s_waitcnt vmcnt(28)
	v_mul_f32_e32 v159, v103, v130
	v_mul_f32_e32 v130, v104, v130
	s_waitcnt vmcnt(27) lgkmcnt(5)
	v_mul_f32_e32 v160, v105, v131
	v_mul_f32_e32 v131, v106, v131
	s_waitcnt vmcnt(26)
	v_mul_f32_e32 v161, v107, v132
	v_mul_f32_e32 v132, v108, v132
	s_waitcnt vmcnt(25) lgkmcnt(4)
	v_mul_f32_e32 v162, v109, v133
	v_mul_f32_e32 v133, v110, v133
	s_waitcnt vmcnt(24)
	v_mul_f32_e32 v163, v111, v134
	s_waitcnt vmcnt(23) lgkmcnt(3)
	v_mul_f32_e32 v164, v113, v135
	s_waitcnt vmcnt(22)
	v_mul_f32_e32 v165, v115, v136
	s_waitcnt vmcnt(21) lgkmcnt(2)
	v_mul_f32_e32 v166, v117, v137
	s_waitcnt vmcnt(15)
	v_fma_f32 v101, v101, v143, -v129
	v_fmac_f32_e32 v100, v102, v143
	s_waitcnt vmcnt(14)
	v_fma_f32 v102, v103, v144, -v130
	v_add_f32_e32 v101, 0, v101
	s_waitcnt vmcnt(13)
	v_fma_f32 v103, v105, v145, -v131
	v_add_f32_e32 v101, v101, v102
	v_fmac_f32_e32 v159, v104, v144
	s_waitcnt vmcnt(12)
	v_fma_f32 v104, v107, v146, -v132
	v_add_f32_e32 v101, v101, v103
	s_waitcnt vmcnt(11)
	v_fma_f32 v105, v109, v147, -v133
	v_add_f32_e32 v101, v101, v104
	v_mul_f32_e32 v102, v112, v134
	v_add_f32_e32 v101, v101, v105
	s_waitcnt vmcnt(10)
	v_fma_f32 v102, v111, v148, -v102
	v_add_f32_e32 v101, v101, v102
	v_mul_f32_e32 v102, v114, v135
	s_waitcnt vmcnt(9)
	v_fma_f32 v102, v113, v149, -v102
	v_add_f32_e32 v101, v101, v102
	v_mul_f32_e32 v102, v116, v136
	s_waitcnt vmcnt(8)
	v_fma_f32 v102, v115, v150, -v102
	v_add_f32_e32 v100, 0, v100
	v_add_f32_e32 v101, v101, v102
	v_mul_f32_e32 v102, v118, v137
	v_fmac_f32_e32 v160, v106, v145
	v_add_f32_e32 v100, v100, v159
	s_waitcnt vmcnt(7)
	v_fma_f32 v102, v117, v151, -v102
	v_fmac_f32_e32 v161, v108, v146
	v_add_f32_e32 v100, v100, v160
	v_add_f32_e32 v101, v101, v102
	v_mul_f32_e32 v102, v120, v138
	v_fmac_f32_e32 v162, v110, v147
	v_add_f32_e32 v100, v100, v161
	s_waitcnt vmcnt(6)
	v_fma_f32 v102, v119, v152, -v102
	v_fmac_f32_e32 v163, v112, v148
	v_add_f32_e32 v100, v100, v162
	v_add_f32_e32 v101, v101, v102
	s_waitcnt lgkmcnt(1)
	v_mul_f32_e32 v102, v122, v139
	v_fmac_f32_e32 v164, v114, v149
	v_add_f32_e32 v100, v100, v163
	s_waitcnt vmcnt(5)
	v_fma_f32 v102, v121, v153, -v102
	v_fmac_f32_e32 v165, v116, v150
	v_add_f32_e32 v100, v100, v164
	v_add_f32_e32 v101, v101, v102
	v_mul_f32_e32 v102, v124, v140
	v_mul_f32_e32 v167, v119, v138
	v_fmac_f32_e32 v166, v118, v151
	v_add_f32_e32 v100, v100, v165
	s_waitcnt vmcnt(4)
	v_fma_f32 v102, v123, v154, -v102
	v_mul_f32_e32 v168, v121, v139
	v_fmac_f32_e32 v167, v120, v152
	v_add_f32_e32 v100, v100, v166
	v_add_f32_e32 v101, v101, v102
	s_waitcnt lgkmcnt(0)
	v_mul_f32_e32 v102, v126, v141
	v_mul_f32_e32 v169, v123, v140
	v_fmac_f32_e32 v168, v122, v153
	v_add_f32_e32 v100, v100, v167
	s_waitcnt vmcnt(3)
	v_fma_f32 v102, v125, v155, -v102
	v_mul_f32_e32 v170, v125, v141
	v_fmac_f32_e32 v169, v124, v154
	v_add_f32_e32 v100, v100, v168
	v_add_f32_e32 v101, v101, v102
	v_mul_f32_e32 v102, v128, v142
	v_mul_f32_e32 v171, v127, v142
	v_fmac_f32_e32 v170, v126, v155
	v_add_f32_e32 v100, v100, v169
	s_waitcnt vmcnt(2)
	v_fma_f32 v102, v127, v156, -v102
	v_fmac_f32_e32 v171, v128, v156
	v_add_f32_e32 v100, v100, v170
	v_add_f32_e32 v101, v101, v102
	;; [unrolled: 1-line block ×3, first 2 shown]
	s_waitcnt vmcnt(1)
	v_sub_f32_e32 v101, v157, v101
	s_waitcnt vmcnt(0)
	v_sub_f32_e32 v100, v158, v100
	buffer_store_dword v101, off, s[0:3], 0 offset:272
	buffer_store_dword v100, off, s[0:3], 0 offset:276
	s_and_saveexec_b64 s[4:5], vcc
	s_cbranch_execz .LBB112_241
; %bb.240:
	buffer_load_dword v100, off, s[0:3], 0 offset:264
	buffer_load_dword v101, off, s[0:3], 0 offset:268
	v_mov_b32_e32 v102, 0
	buffer_store_dword v102, off, s[0:3], 0 offset:264
	buffer_store_dword v102, off, s[0:3], 0 offset:268
	s_waitcnt vmcnt(2)
	ds_write_b64 v99, v[100:101]
.LBB112_241:
	s_or_b64 exec, exec, s[4:5]
	s_waitcnt lgkmcnt(0)
	; wave barrier
	buffer_load_dword v131, off, s[0:3], 0 offset:276
	buffer_load_dword v132, off, s[0:3], 0 offset:284
	;; [unrolled: 1-line block ×32, first 2 shown]
	v_mov_b32_e32 v100, 0
	ds_read_b128 v[101:104], v100 offset:672
	ds_read_b128 v[105:108], v100 offset:688
	;; [unrolled: 1-line block ×7, first 2 shown]
	ds_read_b64 v[129:130], v100 offset:784
	v_cmp_lt_u32_e32 vcc, 32, v0
	s_waitcnt vmcnt(31) lgkmcnt(7)
	v_mul_f32_e32 v163, v101, v131
	v_mul_f32_e32 v131, v102, v131
	s_waitcnt vmcnt(30)
	v_mul_f32_e32 v164, v103, v132
	v_mul_f32_e32 v132, v104, v132
	s_waitcnt vmcnt(29) lgkmcnt(6)
	v_mul_f32_e32 v165, v105, v133
	v_mul_f32_e32 v133, v106, v133
	s_waitcnt vmcnt(28)
	v_mul_f32_e32 v166, v107, v134
	s_waitcnt vmcnt(27) lgkmcnt(5)
	v_mul_f32_e32 v167, v109, v135
	s_waitcnt vmcnt(26)
	v_mul_f32_e32 v168, v111, v136
	s_waitcnt vmcnt(25) lgkmcnt(4)
	;; [unrolled: 4-line block ×4, first 2 shown]
	v_mul_f32_e32 v173, v121, v141
	s_waitcnt vmcnt(20)
	v_mul_f32_e32 v174, v123, v142
	s_waitcnt vmcnt(16)
	v_fma_f32 v101, v101, v146, -v131
	v_fmac_f32_e32 v163, v102, v146
	s_waitcnt vmcnt(15)
	v_fma_f32 v102, v103, v147, -v132
	v_add_f32_e32 v101, 0, v101
	s_waitcnt vmcnt(14)
	v_fma_f32 v103, v105, v148, -v133
	v_add_f32_e32 v101, v101, v102
	v_add_f32_e32 v101, v101, v103
	v_mul_f32_e32 v103, v108, v134
	s_waitcnt vmcnt(13)
	v_fma_f32 v103, v107, v149, -v103
	v_add_f32_e32 v101, v101, v103
	v_mul_f32_e32 v103, v110, v135
	s_waitcnt vmcnt(12)
	v_fma_f32 v103, v109, v150, -v103
	;; [unrolled: 4-line block ×5, first 2 shown]
	v_add_f32_e32 v101, v101, v103
	v_mul_f32_e32 v103, v118, v139
	v_fmac_f32_e32 v164, v104, v147
	v_add_f32_e32 v104, 0, v163
	s_waitcnt vmcnt(8)
	v_fma_f32 v103, v117, v154, -v103
	v_fmac_f32_e32 v165, v106, v148
	v_add_f32_e32 v104, v104, v164
	v_add_f32_e32 v101, v101, v103
	v_mul_f32_e32 v103, v120, v140
	v_fmac_f32_e32 v166, v108, v149
	v_add_f32_e32 v102, v104, v165
	s_waitcnt vmcnt(7)
	v_fma_f32 v103, v119, v155, -v103
	v_fmac_f32_e32 v167, v110, v150
	v_add_f32_e32 v102, v102, v166
	;; [unrolled: 8-line block ×4, first 2 shown]
	v_add_f32_e32 v101, v101, v103
	s_waitcnt lgkmcnt(1)
	v_mul_f32_e32 v103, v126, v143
	v_fmac_f32_e32 v172, v120, v155
	v_add_f32_e32 v102, v102, v171
	s_waitcnt vmcnt(4)
	v_fma_f32 v103, v125, v158, -v103
	v_fmac_f32_e32 v173, v122, v156
	v_add_f32_e32 v102, v102, v172
	v_add_f32_e32 v101, v101, v103
	v_mul_f32_e32 v103, v128, v144
	v_mul_f32_e32 v175, v125, v143
	v_fmac_f32_e32 v174, v124, v157
	v_add_f32_e32 v102, v102, v173
	s_waitcnt vmcnt(3)
	v_fma_f32 v103, v127, v159, -v103
	v_mul_f32_e32 v176, v127, v144
	v_fmac_f32_e32 v175, v126, v158
	v_add_f32_e32 v102, v102, v174
	v_add_f32_e32 v101, v101, v103
	s_waitcnt lgkmcnt(0)
	v_mul_f32_e32 v103, v130, v145
	v_mul_f32_e32 v177, v129, v145
	v_fmac_f32_e32 v176, v128, v159
	v_add_f32_e32 v102, v102, v175
	s_waitcnt vmcnt(2)
	v_fma_f32 v103, v129, v160, -v103
	v_fmac_f32_e32 v177, v130, v160
	v_add_f32_e32 v102, v102, v176
	v_add_f32_e32 v101, v101, v103
	;; [unrolled: 1-line block ×3, first 2 shown]
	s_waitcnt vmcnt(1)
	v_sub_f32_e32 v101, v161, v101
	s_waitcnt vmcnt(0)
	v_sub_f32_e32 v102, v162, v102
	buffer_store_dword v101, off, s[0:3], 0 offset:264
	buffer_store_dword v102, off, s[0:3], 0 offset:268
	s_and_saveexec_b64 s[4:5], vcc
	s_cbranch_execz .LBB112_243
; %bb.242:
	buffer_load_dword v101, off, s[0:3], 0 offset:256
	buffer_load_dword v102, off, s[0:3], 0 offset:260
	s_waitcnt vmcnt(0)
	ds_write_b64 v99, v[101:102]
	buffer_store_dword v100, off, s[0:3], 0 offset:256
	buffer_store_dword v100, off, s[0:3], 0 offset:260
.LBB112_243:
	s_or_b64 exec, exec, s[4:5]
	s_waitcnt lgkmcnt(0)
	; wave barrier
	buffer_load_dword v133, off, s[0:3], 0 offset:268
	buffer_load_dword v134, off, s[0:3], 0 offset:276
	;; [unrolled: 1-line block ×34, first 2 shown]
	ds_read2_b64 v[101:104], v100 offset0:83 offset1:84
	ds_read2_b64 v[105:108], v100 offset0:85 offset1:86
	;; [unrolled: 1-line block ×8, first 2 shown]
	v_cmp_lt_u32_e32 vcc, 31, v0
	s_waitcnt vmcnt(33) lgkmcnt(7)
	v_mul_f32_e32 v100, v101, v133
	v_mul_f32_e32 v133, v102, v133
	s_waitcnt vmcnt(32)
	v_mul_f32_e32 v167, v103, v134
	v_mul_f32_e32 v134, v104, v134
	s_waitcnt vmcnt(31) lgkmcnt(6)
	v_mul_f32_e32 v168, v105, v135
	s_waitcnt vmcnt(30)
	v_mul_f32_e32 v169, v107, v136
	s_waitcnt vmcnt(29) lgkmcnt(5)
	v_mul_f32_e32 v170, v109, v137
	s_waitcnt vmcnt(28)
	;; [unrolled: 4-line block ×6, first 2 shown]
	v_mul_f32_e32 v179, v127, v146
	s_waitcnt vmcnt(17)
	v_fma_f32 v101, v101, v149, -v133
	v_fmac_f32_e32 v100, v102, v149
	s_waitcnt vmcnt(16)
	v_fma_f32 v102, v103, v150, -v134
	v_add_f32_e32 v101, 0, v101
	v_add_f32_e32 v101, v101, v102
	v_mul_f32_e32 v102, v106, v135
	s_waitcnt vmcnt(15)
	v_fma_f32 v102, v105, v151, -v102
	v_add_f32_e32 v101, v101, v102
	v_mul_f32_e32 v102, v108, v136
	s_waitcnt vmcnt(14)
	v_fma_f32 v102, v107, v152, -v102
	;; [unrolled: 4-line block ×7, first 2 shown]
	v_fmac_f32_e32 v167, v104, v150
	v_add_f32_e32 v100, 0, v100
	v_add_f32_e32 v101, v101, v102
	v_mul_f32_e32 v102, v120, v142
	v_fmac_f32_e32 v168, v106, v151
	v_add_f32_e32 v100, v100, v167
	s_waitcnt vmcnt(8)
	v_fma_f32 v102, v119, v158, -v102
	v_fmac_f32_e32 v169, v108, v152
	v_add_f32_e32 v100, v100, v168
	v_add_f32_e32 v101, v101, v102
	v_mul_f32_e32 v102, v122, v143
	v_fmac_f32_e32 v170, v110, v153
	v_add_f32_e32 v100, v100, v169
	s_waitcnt vmcnt(7)
	v_fma_f32 v102, v121, v159, -v102
	v_fmac_f32_e32 v171, v112, v154
	v_add_f32_e32 v100, v100, v170
	v_add_f32_e32 v101, v101, v102
	v_mul_f32_e32 v102, v124, v144
	v_fmac_f32_e32 v172, v114, v155
	v_add_f32_e32 v100, v100, v171
	s_waitcnt vmcnt(6)
	v_fma_f32 v102, v123, v160, -v102
	v_fmac_f32_e32 v173, v116, v156
	v_add_f32_e32 v100, v100, v172
	v_add_f32_e32 v101, v101, v102
	v_mul_f32_e32 v102, v126, v145
	v_fmac_f32_e32 v174, v118, v157
	v_add_f32_e32 v100, v100, v173
	s_waitcnt vmcnt(5)
	v_fma_f32 v102, v125, v161, -v102
	v_fmac_f32_e32 v175, v120, v158
	v_add_f32_e32 v100, v100, v174
	v_add_f32_e32 v101, v101, v102
	v_mul_f32_e32 v102, v128, v146
	v_fmac_f32_e32 v176, v122, v159
	v_add_f32_e32 v100, v100, v175
	s_waitcnt vmcnt(4)
	v_fma_f32 v102, v127, v162, -v102
	v_fmac_f32_e32 v177, v124, v160
	v_add_f32_e32 v100, v100, v176
	v_add_f32_e32 v101, v101, v102
	s_waitcnt lgkmcnt(0)
	v_mul_f32_e32 v102, v130, v147
	v_fmac_f32_e32 v178, v126, v161
	v_add_f32_e32 v100, v100, v177
	s_waitcnt vmcnt(3)
	v_fma_f32 v102, v129, v163, -v102
	v_mul_f32_e32 v180, v129, v147
	v_fmac_f32_e32 v179, v128, v162
	v_add_f32_e32 v100, v100, v178
	v_add_f32_e32 v101, v101, v102
	v_mul_f32_e32 v102, v132, v148
	v_mul_f32_e32 v181, v131, v148
	v_fmac_f32_e32 v180, v130, v163
	v_add_f32_e32 v100, v100, v179
	s_waitcnt vmcnt(2)
	v_fma_f32 v102, v131, v164, -v102
	v_fmac_f32_e32 v181, v132, v164
	v_add_f32_e32 v100, v100, v180
	v_add_f32_e32 v101, v101, v102
	v_add_f32_e32 v100, v100, v181
	s_waitcnt vmcnt(1)
	v_sub_f32_e32 v101, v165, v101
	s_waitcnt vmcnt(0)
	v_sub_f32_e32 v100, v166, v100
	buffer_store_dword v101, off, s[0:3], 0 offset:256
	buffer_store_dword v100, off, s[0:3], 0 offset:260
	s_and_saveexec_b64 s[4:5], vcc
	s_cbranch_execz .LBB112_245
; %bb.244:
	buffer_load_dword v100, off, s[0:3], 0 offset:248
	buffer_load_dword v101, off, s[0:3], 0 offset:252
	v_mov_b32_e32 v102, 0
	buffer_store_dword v102, off, s[0:3], 0 offset:248
	buffer_store_dword v102, off, s[0:3], 0 offset:252
	s_waitcnt vmcnt(2)
	ds_write_b64 v99, v[100:101]
.LBB112_245:
	s_or_b64 exec, exec, s[4:5]
	s_waitcnt lgkmcnt(0)
	; wave barrier
	buffer_load_dword v135, off, s[0:3], 0 offset:260
	buffer_load_dword v136, off, s[0:3], 0 offset:268
	;; [unrolled: 1-line block ×36, first 2 shown]
	v_mov_b32_e32 v100, 0
	ds_read_b128 v[101:104], v100 offset:656
	ds_read_b128 v[105:108], v100 offset:672
	;; [unrolled: 1-line block ×8, first 2 shown]
	ds_read_b64 v[133:134], v100 offset:784
	v_cmp_lt_u32_e32 vcc, 30, v0
	s_waitcnt vmcnt(35) lgkmcnt(8)
	v_mul_f32_e32 v171, v101, v135
	s_waitcnt vmcnt(34)
	v_mul_f32_e32 v172, v103, v136
	s_waitcnt vmcnt(33) lgkmcnt(7)
	v_mul_f32_e32 v173, v105, v137
	s_waitcnt vmcnt(32)
	v_mul_f32_e32 v174, v107, v138
	;; [unrolled: 4-line block ×8, first 2 shown]
	s_waitcnt vmcnt(19) lgkmcnt(0)
	v_mul_f32_e32 v187, v133, v151
	s_waitcnt vmcnt(18)
	v_fmac_f32_e32 v171, v102, v152
	v_mul_f32_e32 v102, v102, v135
	v_fma_f32 v101, v101, v152, -v102
	v_mul_f32_e32 v102, v104, v136
	v_add_f32_e32 v101, 0, v101
	s_waitcnt vmcnt(17)
	v_fma_f32 v102, v103, v153, -v102
	v_add_f32_e32 v101, v101, v102
	v_mul_f32_e32 v102, v106, v137
	s_waitcnt vmcnt(16)
	v_fma_f32 v102, v105, v154, -v102
	v_add_f32_e32 v101, v101, v102
	v_mul_f32_e32 v102, v108, v138
	;; [unrolled: 4-line block ×8, first 2 shown]
	v_fmac_f32_e32 v172, v104, v153
	v_add_f32_e32 v171, 0, v171
	s_waitcnt vmcnt(9)
	v_fma_f32 v102, v119, v161, -v102
	v_fmac_f32_e32 v173, v106, v154
	v_add_f32_e32 v171, v171, v172
	v_add_f32_e32 v101, v101, v102
	v_mul_f32_e32 v102, v122, v145
	v_fmac_f32_e32 v174, v108, v155
	v_add_f32_e32 v171, v171, v173
	s_waitcnt vmcnt(8)
	v_fma_f32 v102, v121, v162, -v102
	v_fmac_f32_e32 v175, v110, v156
	v_add_f32_e32 v171, v171, v174
	v_add_f32_e32 v101, v101, v102
	v_mul_f32_e32 v102, v124, v146
	;; [unrolled: 8-line block ×7, first 2 shown]
	v_fmac_f32_e32 v186, v132, v167
	v_add_f32_e32 v171, v171, v185
	s_waitcnt vmcnt(2)
	v_fma_f32 v102, v133, v168, -v102
	v_fmac_f32_e32 v187, v134, v168
	v_add_f32_e32 v171, v171, v186
	v_add_f32_e32 v101, v101, v102
	;; [unrolled: 1-line block ×3, first 2 shown]
	s_waitcnt vmcnt(1)
	v_sub_f32_e32 v101, v169, v101
	s_waitcnt vmcnt(0)
	v_sub_f32_e32 v102, v170, v171
	buffer_store_dword v101, off, s[0:3], 0 offset:248
	buffer_store_dword v102, off, s[0:3], 0 offset:252
	s_and_saveexec_b64 s[4:5], vcc
	s_cbranch_execz .LBB112_247
; %bb.246:
	buffer_load_dword v101, off, s[0:3], 0 offset:240
	buffer_load_dword v102, off, s[0:3], 0 offset:244
	s_waitcnt vmcnt(0)
	ds_write_b64 v99, v[101:102]
	buffer_store_dword v100, off, s[0:3], 0 offset:240
	buffer_store_dword v100, off, s[0:3], 0 offset:244
.LBB112_247:
	s_or_b64 exec, exec, s[4:5]
	s_waitcnt lgkmcnt(0)
	; wave barrier
	buffer_load_dword v137, off, s[0:3], 0 offset:252
	buffer_load_dword v138, off, s[0:3], 0 offset:260
	;; [unrolled: 1-line block ×38, first 2 shown]
	ds_read2_b64 v[101:104], v100 offset0:81 offset1:82
	ds_read2_b64 v[105:108], v100 offset0:83 offset1:84
	;; [unrolled: 1-line block ×9, first 2 shown]
	v_cmp_lt_u32_e32 vcc, 29, v0
	s_waitcnt vmcnt(37) lgkmcnt(8)
	v_mul_f32_e32 v100, v101, v137
	s_waitcnt vmcnt(36)
	v_mul_f32_e32 v175, v103, v138
	s_waitcnt vmcnt(35) lgkmcnt(7)
	v_mul_f32_e32 v176, v105, v139
	s_waitcnt vmcnt(34)
	v_mul_f32_e32 v177, v107, v140
	;; [unrolled: 4-line block ×8, first 2 shown]
	s_waitcnt vmcnt(21) lgkmcnt(0)
	v_mul_f32_e32 v190, v133, v153
	s_waitcnt vmcnt(20)
	v_fmac_f32_e32 v100, v102, v154
	v_mul_f32_e32 v102, v102, v137
	v_fma_f32 v101, v101, v154, -v102
	v_mul_f32_e32 v102, v104, v138
	v_add_f32_e32 v101, 0, v101
	s_waitcnt vmcnt(19)
	v_fma_f32 v102, v103, v155, -v102
	v_add_f32_e32 v101, v101, v102
	v_mul_f32_e32 v102, v106, v139
	s_waitcnt vmcnt(18)
	v_fma_f32 v102, v105, v156, -v102
	v_add_f32_e32 v101, v101, v102
	v_mul_f32_e32 v102, v108, v140
	;; [unrolled: 4-line block ×8, first 2 shown]
	s_waitcnt vmcnt(11)
	v_fma_f32 v102, v119, v163, -v102
	v_fmac_f32_e32 v175, v104, v155
	v_add_f32_e32 v100, 0, v100
	v_add_f32_e32 v101, v101, v102
	v_mul_f32_e32 v102, v122, v147
	v_fmac_f32_e32 v176, v106, v156
	v_add_f32_e32 v100, v100, v175
	s_waitcnt vmcnt(10)
	v_fma_f32 v102, v121, v164, -v102
	v_fmac_f32_e32 v177, v108, v157
	v_add_f32_e32 v100, v100, v176
	v_add_f32_e32 v101, v101, v102
	v_mul_f32_e32 v102, v124, v148
	v_fmac_f32_e32 v178, v110, v158
	v_add_f32_e32 v100, v100, v177
	;; [unrolled: 8-line block ×7, first 2 shown]
	s_waitcnt vmcnt(4)
	v_fma_f32 v102, v133, v170, -v102
	v_fmac_f32_e32 v189, v132, v169
	v_add_f32_e32 v100, v100, v188
	v_add_f32_e32 v101, v101, v102
	s_waitcnt vmcnt(3)
	v_mul_f32_e32 v102, v136, v171
	v_add_f32_e32 v100, v100, v189
	v_fmac_f32_e32 v190, v134, v170
	v_mul_f32_e32 v175, v135, v171
	s_waitcnt vmcnt(2)
	v_fma_f32 v102, v135, v172, -v102
	v_add_f32_e32 v100, v100, v190
	v_fmac_f32_e32 v175, v136, v172
	v_add_f32_e32 v101, v101, v102
	v_add_f32_e32 v100, v100, v175
	s_waitcnt vmcnt(1)
	v_sub_f32_e32 v101, v173, v101
	s_waitcnt vmcnt(0)
	v_sub_f32_e32 v100, v174, v100
	buffer_store_dword v101, off, s[0:3], 0 offset:240
	buffer_store_dword v100, off, s[0:3], 0 offset:244
	s_and_saveexec_b64 s[4:5], vcc
	s_cbranch_execz .LBB112_249
; %bb.248:
	buffer_load_dword v100, off, s[0:3], 0 offset:232
	buffer_load_dword v101, off, s[0:3], 0 offset:236
	v_mov_b32_e32 v102, 0
	buffer_store_dword v102, off, s[0:3], 0 offset:232
	buffer_store_dword v102, off, s[0:3], 0 offset:236
	s_waitcnt vmcnt(2)
	ds_write_b64 v99, v[100:101]
.LBB112_249:
	s_or_b64 exec, exec, s[4:5]
	s_waitcnt lgkmcnt(0)
	; wave barrier
	buffer_load_dword v139, off, s[0:3], 0 offset:244
	buffer_load_dword v140, off, s[0:3], 0 offset:252
	;; [unrolled: 1-line block ×40, first 2 shown]
	v_mov_b32_e32 v100, 0
	ds_read_b128 v[101:104], v100 offset:640
	ds_read_b128 v[105:108], v100 offset:656
	;; [unrolled: 1-line block ×9, first 2 shown]
	v_cmp_lt_u32_e32 vcc, 28, v0
	s_waitcnt vmcnt(39) lgkmcnt(8)
	v_mul_f32_e32 v137, v101, v139
	s_waitcnt vmcnt(38)
	v_mul_f32_e32 v138, v103, v140
	s_waitcnt vmcnt(37) lgkmcnt(7)
	v_mul_f32_e32 v179, v105, v141
	s_waitcnt vmcnt(36)
	v_mul_f32_e32 v180, v107, v142
	;; [unrolled: 4-line block ×7, first 2 shown]
	s_waitcnt vmcnt(25) lgkmcnt(1)
	v_mul_f32_e32 v191, v129, v153
	s_waitcnt vmcnt(24)
	v_fmac_f32_e32 v137, v102, v154
	v_mul_f32_e32 v102, v102, v139
	v_fma_f32 v101, v101, v154, -v102
	v_mul_f32_e32 v102, v104, v140
	v_add_f32_e32 v101, 0, v101
	s_waitcnt vmcnt(23)
	v_fma_f32 v102, v103, v155, -v102
	v_add_f32_e32 v101, v101, v102
	v_mul_f32_e32 v102, v106, v141
	s_waitcnt vmcnt(22)
	v_fma_f32 v102, v105, v156, -v102
	v_add_f32_e32 v101, v101, v102
	v_mul_f32_e32 v102, v108, v142
	;; [unrolled: 4-line block ×6, first 2 shown]
	s_waitcnt vmcnt(17)
	v_fma_f32 v102, v115, v161, -v102
	v_fmac_f32_e32 v138, v104, v155
	v_add_f32_e32 v137, 0, v137
	v_add_f32_e32 v101, v101, v102
	v_mul_f32_e32 v102, v118, v147
	v_fmac_f32_e32 v179, v106, v156
	v_add_f32_e32 v137, v137, v138
	s_waitcnt vmcnt(16)
	v_fma_f32 v102, v117, v162, -v102
	v_fmac_f32_e32 v180, v108, v157
	v_add_f32_e32 v137, v137, v179
	v_add_f32_e32 v101, v101, v102
	v_mul_f32_e32 v102, v120, v148
	v_fmac_f32_e32 v181, v110, v158
	v_add_f32_e32 v137, v137, v180
	;; [unrolled: 8-line block ×6, first 2 shown]
	s_waitcnt vmcnt(11)
	v_fma_f32 v102, v127, v167, -v102
	v_fmac_f32_e32 v190, v128, v167
	v_add_f32_e32 v137, v137, v189
	v_add_f32_e32 v101, v101, v102
	v_mul_f32_e32 v102, v130, v153
	s_waitcnt vmcnt(10)
	v_fmac_f32_e32 v191, v130, v168
	v_add_f32_e32 v137, v137, v190
	s_waitcnt vmcnt(9)
	v_mul_f32_e32 v138, v131, v169
	v_fma_f32 v102, v129, v168, -v102
	v_add_f32_e32 v137, v137, v191
	s_waitcnt vmcnt(8)
	v_fmac_f32_e32 v138, v132, v170
	v_add_f32_e32 v101, v101, v102
	v_mul_f32_e32 v102, v132, v169
	v_add_f32_e32 v179, v137, v138
	ds_read_b64 v[137:138], v100 offset:784
	v_fma_f32 v102, v131, v170, -v102
	v_add_f32_e32 v101, v101, v102
	s_waitcnt vmcnt(7) lgkmcnt(1)
	v_mul_f32_e32 v102, v134, v171
	v_mul_f32_e32 v180, v133, v171
	s_waitcnt vmcnt(6)
	v_fma_f32 v102, v133, v172, -v102
	v_fmac_f32_e32 v180, v134, v172
	v_add_f32_e32 v101, v101, v102
	s_waitcnt vmcnt(5)
	v_mul_f32_e32 v102, v136, v173
	v_add_f32_e32 v179, v179, v180
	v_mul_f32_e32 v180, v135, v173
	s_waitcnt vmcnt(4)
	v_fma_f32 v102, v135, v174, -v102
	v_fmac_f32_e32 v180, v136, v174
	v_add_f32_e32 v101, v101, v102
	s_waitcnt vmcnt(3) lgkmcnt(0)
	v_mul_f32_e32 v102, v138, v175
	v_add_f32_e32 v179, v179, v180
	v_mul_f32_e32 v180, v137, v175
	s_waitcnt vmcnt(2)
	v_fma_f32 v102, v137, v176, -v102
	v_fmac_f32_e32 v180, v138, v176
	v_add_f32_e32 v101, v101, v102
	v_add_f32_e32 v179, v179, v180
	s_waitcnt vmcnt(1)
	v_sub_f32_e32 v101, v177, v101
	s_waitcnt vmcnt(0)
	v_sub_f32_e32 v102, v178, v179
	buffer_store_dword v101, off, s[0:3], 0 offset:232
	buffer_store_dword v102, off, s[0:3], 0 offset:236
	s_and_saveexec_b64 s[4:5], vcc
	s_cbranch_execz .LBB112_251
; %bb.250:
	buffer_load_dword v101, off, s[0:3], 0 offset:224
	buffer_load_dword v102, off, s[0:3], 0 offset:228
	s_waitcnt vmcnt(0)
	ds_write_b64 v99, v[101:102]
	buffer_store_dword v100, off, s[0:3], 0 offset:224
	buffer_store_dword v100, off, s[0:3], 0 offset:228
.LBB112_251:
	s_or_b64 exec, exec, s[4:5]
	s_waitcnt lgkmcnt(0)
	; wave barrier
	buffer_load_dword v141, off, s[0:3], 0 offset:236
	buffer_load_dword v142, off, s[0:3], 0 offset:244
	;; [unrolled: 1-line block ×42, first 2 shown]
	ds_read2_b64 v[101:104], v100 offset0:79 offset1:80
	ds_read2_b64 v[105:108], v100 offset0:81 offset1:82
	;; [unrolled: 1-line block ×8, first 2 shown]
	v_cmp_lt_u32_e32 vcc, 27, v0
	s_waitcnt vmcnt(41) lgkmcnt(7)
	v_mul_f32_e32 v133, v101, v141
	s_waitcnt vmcnt(40)
	v_mul_f32_e32 v134, v103, v142
	s_waitcnt vmcnt(39) lgkmcnt(6)
	v_mul_f32_e32 v135, v105, v143
	s_waitcnt vmcnt(38)
	v_mul_f32_e32 v136, v107, v144
	;; [unrolled: 4-line block ×7, first 2 shown]
	s_waitcnt vmcnt(27) lgkmcnt(0)
	v_mul_f32_e32 v189, v129, v155
	s_waitcnt vmcnt(26)
	v_fmac_f32_e32 v133, v102, v156
	v_mul_f32_e32 v102, v102, v141
	v_fma_f32 v101, v101, v156, -v102
	v_mul_f32_e32 v102, v104, v142
	v_add_f32_e32 v101, 0, v101
	s_waitcnt vmcnt(25)
	v_fma_f32 v102, v103, v157, -v102
	v_add_f32_e32 v101, v101, v102
	v_mul_f32_e32 v102, v106, v143
	s_waitcnt vmcnt(24)
	v_fma_f32 v102, v105, v158, -v102
	v_add_f32_e32 v101, v101, v102
	v_mul_f32_e32 v102, v108, v144
	;; [unrolled: 4-line block ×5, first 2 shown]
	v_fmac_f32_e32 v134, v104, v157
	v_add_f32_e32 v133, 0, v133
	s_waitcnt vmcnt(20)
	v_fma_f32 v102, v113, v162, -v102
	v_fmac_f32_e32 v135, v106, v158
	v_add_f32_e32 v133, v133, v134
	v_add_f32_e32 v101, v101, v102
	v_mul_f32_e32 v102, v116, v148
	v_fmac_f32_e32 v136, v108, v159
	v_add_f32_e32 v133, v133, v135
	s_waitcnt vmcnt(19)
	v_fma_f32 v102, v115, v163, -v102
	v_fmac_f32_e32 v137, v110, v160
	v_add_f32_e32 v133, v133, v136
	v_add_f32_e32 v101, v101, v102
	v_mul_f32_e32 v102, v118, v149
	;; [unrolled: 8-line block ×5, first 2 shown]
	s_waitcnt vmcnt(15)
	v_fmac_f32_e32 v186, v124, v167
	v_add_f32_e32 v133, v133, v185
	v_fma_f32 v102, v123, v167, -v102
	s_waitcnt vmcnt(14)
	v_fmac_f32_e32 v187, v126, v168
	v_add_f32_e32 v133, v133, v186
	v_add_f32_e32 v101, v101, v102
	v_mul_f32_e32 v102, v126, v153
	s_waitcnt vmcnt(13)
	v_fmac_f32_e32 v188, v128, v169
	v_add_f32_e32 v133, v133, v187
	v_fma_f32 v102, v125, v168, -v102
	s_waitcnt vmcnt(12)
	v_fmac_f32_e32 v189, v130, v170
	v_add_f32_e32 v133, v133, v188
	v_add_f32_e32 v101, v101, v102
	v_mul_f32_e32 v102, v128, v154
	v_add_f32_e32 v137, v133, v189
	ds_read2_b64 v[133:136], v100 offset0:95 offset1:96
	v_fma_f32 v102, v127, v169, -v102
	v_add_f32_e32 v101, v101, v102
	v_mul_f32_e32 v102, v130, v155
	s_waitcnt vmcnt(11)
	v_mul_f32_e32 v138, v131, v171
	v_fma_f32 v102, v129, v170, -v102
	s_waitcnt vmcnt(10)
	v_fmac_f32_e32 v138, v132, v172
	v_add_f32_e32 v101, v101, v102
	v_mul_f32_e32 v102, v132, v171
	v_add_f32_e32 v183, v137, v138
	ds_read2_b64 v[137:140], v100 offset0:97 offset1:98
	v_fma_f32 v102, v131, v172, -v102
	v_add_f32_e32 v101, v101, v102
	s_waitcnt vmcnt(9) lgkmcnt(1)
	v_mul_f32_e32 v102, v134, v173
	v_mul_f32_e32 v100, v133, v173
	s_waitcnt vmcnt(8)
	v_fma_f32 v102, v133, v174, -v102
	v_fmac_f32_e32 v100, v134, v174
	v_add_f32_e32 v101, v101, v102
	s_waitcnt vmcnt(7)
	v_mul_f32_e32 v102, v136, v175
	v_add_f32_e32 v100, v183, v100
	v_mul_f32_e32 v183, v135, v175
	s_waitcnt vmcnt(6)
	v_fma_f32 v102, v135, v176, -v102
	v_fmac_f32_e32 v183, v136, v176
	v_add_f32_e32 v101, v101, v102
	s_waitcnt vmcnt(5) lgkmcnt(0)
	v_mul_f32_e32 v102, v138, v177
	v_add_f32_e32 v100, v100, v183
	v_mul_f32_e32 v183, v137, v177
	s_waitcnt vmcnt(4)
	v_fma_f32 v102, v137, v178, -v102
	v_fmac_f32_e32 v183, v138, v178
	v_add_f32_e32 v101, v101, v102
	s_waitcnt vmcnt(3)
	v_mul_f32_e32 v102, v140, v179
	v_add_f32_e32 v100, v100, v183
	v_mul_f32_e32 v183, v139, v179
	s_waitcnt vmcnt(2)
	v_fma_f32 v102, v139, v180, -v102
	v_fmac_f32_e32 v183, v140, v180
	v_add_f32_e32 v101, v101, v102
	v_add_f32_e32 v100, v100, v183
	s_waitcnt vmcnt(1)
	v_sub_f32_e32 v101, v181, v101
	s_waitcnt vmcnt(0)
	v_sub_f32_e32 v100, v182, v100
	buffer_store_dword v101, off, s[0:3], 0 offset:224
	buffer_store_dword v100, off, s[0:3], 0 offset:228
	s_and_saveexec_b64 s[4:5], vcc
	s_cbranch_execz .LBB112_253
; %bb.252:
	buffer_load_dword v100, off, s[0:3], 0 offset:216
	buffer_load_dword v101, off, s[0:3], 0 offset:220
	v_mov_b32_e32 v102, 0
	buffer_store_dword v102, off, s[0:3], 0 offset:216
	buffer_store_dword v102, off, s[0:3], 0 offset:220
	s_waitcnt vmcnt(2)
	ds_write_b64 v99, v[100:101]
.LBB112_253:
	s_or_b64 exec, exec, s[4:5]
	s_waitcnt lgkmcnt(0)
	; wave barrier
	buffer_load_dword v143, off, s[0:3], 0 offset:228
	buffer_load_dword v144, off, s[0:3], 0 offset:236
	;; [unrolled: 1-line block ×44, first 2 shown]
	v_mov_b32_e32 v100, 0
	ds_read_b128 v[101:104], v100 offset:624
	ds_read_b128 v[105:108], v100 offset:640
	;; [unrolled: 1-line block ×8, first 2 shown]
	v_cmp_lt_u32_e32 vcc, 26, v0
	s_waitcnt vmcnt(43) lgkmcnt(7)
	v_mul_f32_e32 v133, v101, v143
	s_waitcnt vmcnt(42)
	v_mul_f32_e32 v134, v103, v144
	s_waitcnt vmcnt(41) lgkmcnt(6)
	v_mul_f32_e32 v135, v105, v145
	s_waitcnt vmcnt(40)
	v_mul_f32_e32 v136, v107, v146
	;; [unrolled: 4-line block ×7, first 2 shown]
	s_waitcnt vmcnt(29)
	v_fmac_f32_e32 v133, v102, v157
	v_mul_f32_e32 v102, v102, v143
	v_fma_f32 v101, v101, v157, -v102
	v_mul_f32_e32 v102, v104, v144
	v_add_f32_e32 v101, 0, v101
	s_waitcnt vmcnt(28)
	v_fma_f32 v102, v103, v158, -v102
	v_add_f32_e32 v101, v101, v102
	v_mul_f32_e32 v102, v106, v145
	s_waitcnt vmcnt(27)
	v_fma_f32 v102, v105, v159, -v102
	v_add_f32_e32 v101, v101, v102
	v_mul_f32_e32 v102, v108, v146
	;; [unrolled: 4-line block ×4, first 2 shown]
	s_waitcnt vmcnt(24)
	v_fma_f32 v102, v111, v162, -v102
	v_fmac_f32_e32 v134, v104, v158
	v_add_f32_e32 v133, 0, v133
	v_add_f32_e32 v101, v101, v102
	v_mul_f32_e32 v102, v114, v149
	v_fmac_f32_e32 v135, v106, v159
	v_add_f32_e32 v133, v133, v134
	s_waitcnt vmcnt(23)
	v_fma_f32 v102, v113, v163, -v102
	v_fmac_f32_e32 v136, v108, v160
	v_add_f32_e32 v133, v133, v135
	v_add_f32_e32 v101, v101, v102
	v_mul_f32_e32 v102, v116, v150
	v_fmac_f32_e32 v137, v110, v161
	v_add_f32_e32 v133, v133, v136
	;; [unrolled: 8-line block ×4, first 2 shown]
	s_waitcnt vmcnt(20)
	v_fma_f32 v102, v119, v166, -v102
	v_fmac_f32_e32 v142, v120, v166
	v_add_f32_e32 v133, v133, v141
	v_add_f32_e32 v101, v101, v102
	v_mul_f32_e32 v102, v122, v153
	s_waitcnt vmcnt(19)
	v_fmac_f32_e32 v187, v122, v167
	v_add_f32_e32 v133, v133, v142
	v_fma_f32 v102, v121, v167, -v102
	s_waitcnt vmcnt(18)
	v_fmac_f32_e32 v188, v124, v168
	v_add_f32_e32 v133, v133, v187
	v_add_f32_e32 v101, v101, v102
	v_mul_f32_e32 v102, v124, v154
	s_waitcnt vmcnt(17)
	v_fmac_f32_e32 v189, v126, v169
	v_add_f32_e32 v133, v133, v188
	v_fma_f32 v102, v123, v168, -v102
	v_add_f32_e32 v133, v133, v189
	s_waitcnt vmcnt(16)
	v_fmac_f32_e32 v190, v128, v170
	s_waitcnt vmcnt(15) lgkmcnt(0)
	v_mul_f32_e32 v134, v129, v171
	v_add_f32_e32 v101, v101, v102
	v_mul_f32_e32 v102, v126, v155
	v_add_f32_e32 v133, v133, v190
	s_waitcnt vmcnt(14)
	v_fmac_f32_e32 v134, v130, v172
	v_fma_f32 v102, v125, v169, -v102
	v_add_f32_e32 v137, v133, v134
	ds_read_b128 v[133:136], v100 offset:752
	v_add_f32_e32 v101, v101, v102
	v_mul_f32_e32 v102, v128, v156
	v_fma_f32 v102, v127, v170, -v102
	v_add_f32_e32 v101, v101, v102
	v_mul_f32_e32 v102, v130, v171
	s_waitcnt vmcnt(13)
	v_mul_f32_e32 v138, v131, v173
	v_fma_f32 v102, v129, v172, -v102
	s_waitcnt vmcnt(12)
	v_fmac_f32_e32 v138, v132, v174
	v_add_f32_e32 v101, v101, v102
	v_mul_f32_e32 v102, v132, v173
	v_add_f32_e32 v141, v137, v138
	ds_read_b128 v[137:140], v100 offset:768
	s_waitcnt vmcnt(11) lgkmcnt(1)
	v_mul_f32_e32 v142, v133, v175
	v_fma_f32 v102, v131, v174, -v102
	s_waitcnt vmcnt(10)
	v_fmac_f32_e32 v142, v134, v176
	v_add_f32_e32 v101, v101, v102
	v_mul_f32_e32 v102, v134, v175
	v_add_f32_e32 v141, v141, v142
	s_waitcnt vmcnt(9)
	v_mul_f32_e32 v142, v135, v177
	v_fma_f32 v102, v133, v176, -v102
	s_waitcnt vmcnt(8)
	v_fmac_f32_e32 v142, v136, v178
	v_add_f32_e32 v101, v101, v102
	v_mul_f32_e32 v102, v136, v177
	v_add_f32_e32 v187, v141, v142
	ds_read_b64 v[141:142], v100 offset:784
	v_fma_f32 v102, v135, v178, -v102
	v_add_f32_e32 v101, v101, v102
	s_waitcnt vmcnt(7) lgkmcnt(1)
	v_mul_f32_e32 v102, v138, v179
	v_mul_f32_e32 v188, v137, v179
	s_waitcnt vmcnt(6)
	v_fma_f32 v102, v137, v180, -v102
	v_fmac_f32_e32 v188, v138, v180
	v_add_f32_e32 v101, v101, v102
	s_waitcnt vmcnt(5)
	v_mul_f32_e32 v102, v140, v181
	v_add_f32_e32 v187, v187, v188
	v_mul_f32_e32 v188, v139, v181
	s_waitcnt vmcnt(4)
	v_fma_f32 v102, v139, v182, -v102
	v_fmac_f32_e32 v188, v140, v182
	v_add_f32_e32 v101, v101, v102
	s_waitcnt vmcnt(3) lgkmcnt(0)
	v_mul_f32_e32 v102, v142, v183
	v_add_f32_e32 v187, v187, v188
	v_mul_f32_e32 v188, v141, v183
	s_waitcnt vmcnt(2)
	v_fma_f32 v102, v141, v184, -v102
	v_fmac_f32_e32 v188, v142, v184
	v_add_f32_e32 v101, v101, v102
	v_add_f32_e32 v187, v187, v188
	s_waitcnt vmcnt(1)
	v_sub_f32_e32 v101, v185, v101
	s_waitcnt vmcnt(0)
	v_sub_f32_e32 v102, v186, v187
	buffer_store_dword v101, off, s[0:3], 0 offset:216
	buffer_store_dword v102, off, s[0:3], 0 offset:220
	s_and_saveexec_b64 s[4:5], vcc
	s_cbranch_execz .LBB112_255
; %bb.254:
	buffer_load_dword v101, off, s[0:3], 0 offset:208
	buffer_load_dword v102, off, s[0:3], 0 offset:212
	s_waitcnt vmcnt(0)
	ds_write_b64 v99, v[101:102]
	buffer_store_dword v100, off, s[0:3], 0 offset:208
	buffer_store_dword v100, off, s[0:3], 0 offset:212
.LBB112_255:
	s_or_b64 exec, exec, s[4:5]
	s_waitcnt lgkmcnt(0)
	; wave barrier
	buffer_load_dword v145, off, s[0:3], 0 offset:220
	buffer_load_dword v146, off, s[0:3], 0 offset:228
	;; [unrolled: 1-line block ×46, first 2 shown]
	ds_read2_b64 v[101:104], v100 offset0:77 offset1:78
	ds_read2_b64 v[105:108], v100 offset0:79 offset1:80
	;; [unrolled: 1-line block ×8, first 2 shown]
	v_cmp_lt_u32_e32 vcc, 25, v0
	s_waitcnt vmcnt(45) lgkmcnt(7)
	v_mul_f32_e32 v133, v101, v145
	s_waitcnt vmcnt(44)
	v_mul_f32_e32 v134, v103, v146
	s_waitcnt vmcnt(43) lgkmcnt(6)
	v_mul_f32_e32 v135, v105, v147
	s_waitcnt vmcnt(42)
	v_mul_f32_e32 v136, v107, v148
	;; [unrolled: 4-line block ×6, first 2 shown]
	s_waitcnt vmcnt(33) lgkmcnt(1)
	v_mul_f32_e32 v191, v125, v157
	s_waitcnt vmcnt(32)
	v_fmac_f32_e32 v133, v102, v158
	v_mul_f32_e32 v102, v102, v145
	v_fma_f32 v101, v101, v158, -v102
	v_mul_f32_e32 v102, v104, v146
	v_add_f32_e32 v101, 0, v101
	s_waitcnt vmcnt(31)
	v_fma_f32 v102, v103, v159, -v102
	v_add_f32_e32 v101, v101, v102
	v_mul_f32_e32 v102, v106, v147
	s_waitcnt vmcnt(30)
	v_fma_f32 v102, v105, v160, -v102
	v_add_f32_e32 v101, v101, v102
	v_mul_f32_e32 v102, v108, v148
	;; [unrolled: 4-line block ×4, first 2 shown]
	v_fmac_f32_e32 v134, v104, v159
	v_add_f32_e32 v133, 0, v133
	s_waitcnt vmcnt(27)
	v_fma_f32 v102, v111, v163, -v102
	v_fmac_f32_e32 v135, v106, v160
	v_add_f32_e32 v133, v133, v134
	v_add_f32_e32 v101, v101, v102
	v_mul_f32_e32 v102, v114, v151
	v_fmac_f32_e32 v136, v108, v161
	v_add_f32_e32 v133, v133, v135
	s_waitcnt vmcnt(26)
	v_fma_f32 v102, v113, v164, -v102
	v_fmac_f32_e32 v137, v110, v162
	v_add_f32_e32 v133, v133, v136
	v_add_f32_e32 v101, v101, v102
	v_mul_f32_e32 v102, v116, v152
	;; [unrolled: 8-line block ×4, first 2 shown]
	s_waitcnt vmcnt(23)
	v_fmac_f32_e32 v142, v120, v167
	v_add_f32_e32 v133, v133, v141
	v_fma_f32 v102, v119, v167, -v102
	s_waitcnt vmcnt(22)
	v_fmac_f32_e32 v143, v122, v168
	v_add_f32_e32 v133, v133, v142
	v_add_f32_e32 v101, v101, v102
	v_mul_f32_e32 v102, v122, v155
	s_waitcnt vmcnt(21)
	v_fmac_f32_e32 v144, v124, v169
	v_add_f32_e32 v133, v133, v143
	v_fma_f32 v102, v121, v168, -v102
	s_waitcnt vmcnt(20)
	v_fmac_f32_e32 v191, v126, v170
	v_add_f32_e32 v133, v133, v144
	s_waitcnt vmcnt(19)
	v_mul_f32_e32 v134, v127, v171
	v_add_f32_e32 v101, v101, v102
	v_mul_f32_e32 v102, v124, v156
	v_add_f32_e32 v133, v133, v191
	s_waitcnt vmcnt(18)
	v_fmac_f32_e32 v134, v128, v172
	v_fma_f32 v102, v123, v169, -v102
	v_add_f32_e32 v133, v133, v134
	s_waitcnt vmcnt(17) lgkmcnt(0)
	v_mul_f32_e32 v134, v129, v173
	v_add_f32_e32 v101, v101, v102
	v_mul_f32_e32 v102, v126, v157
	s_waitcnt vmcnt(16)
	v_fmac_f32_e32 v134, v130, v174
	v_fma_f32 v102, v125, v170, -v102
	v_add_f32_e32 v137, v133, v134
	ds_read2_b64 v[133:136], v100 offset0:93 offset1:94
	v_add_f32_e32 v101, v101, v102
	v_mul_f32_e32 v102, v128, v171
	v_fma_f32 v102, v127, v172, -v102
	v_add_f32_e32 v101, v101, v102
	v_mul_f32_e32 v102, v130, v173
	s_waitcnt vmcnt(15)
	v_mul_f32_e32 v138, v131, v175
	v_fma_f32 v102, v129, v174, -v102
	s_waitcnt vmcnt(14)
	v_fmac_f32_e32 v138, v132, v176
	v_add_f32_e32 v101, v101, v102
	v_mul_f32_e32 v102, v132, v175
	v_add_f32_e32 v141, v137, v138
	ds_read2_b64 v[137:140], v100 offset0:95 offset1:96
	s_waitcnt vmcnt(13) lgkmcnt(1)
	v_mul_f32_e32 v142, v133, v177
	v_fma_f32 v102, v131, v176, -v102
	s_waitcnt vmcnt(12)
	v_fmac_f32_e32 v142, v134, v178
	v_add_f32_e32 v101, v101, v102
	v_mul_f32_e32 v102, v134, v177
	v_add_f32_e32 v141, v141, v142
	s_waitcnt vmcnt(11)
	v_mul_f32_e32 v142, v135, v179
	v_fma_f32 v102, v133, v178, -v102
	s_waitcnt vmcnt(10)
	v_fmac_f32_e32 v142, v136, v180
	v_add_f32_e32 v101, v101, v102
	v_mul_f32_e32 v102, v136, v179
	v_add_f32_e32 v191, v141, v142
	ds_read2_b64 v[141:144], v100 offset0:97 offset1:98
	v_fma_f32 v102, v135, v180, -v102
	v_add_f32_e32 v101, v101, v102
	s_waitcnt vmcnt(9) lgkmcnt(1)
	v_mul_f32_e32 v102, v138, v181
	v_mul_f32_e32 v192, v137, v181
	s_waitcnt vmcnt(8)
	v_fma_f32 v102, v137, v182, -v102
	v_fmac_f32_e32 v192, v138, v182
	v_add_f32_e32 v101, v101, v102
	s_waitcnt vmcnt(7)
	v_mul_f32_e32 v102, v140, v183
	v_add_f32_e32 v100, v191, v192
	v_mul_f32_e32 v191, v139, v183
	s_waitcnt vmcnt(6)
	v_fma_f32 v102, v139, v184, -v102
	v_fmac_f32_e32 v191, v140, v184
	v_add_f32_e32 v101, v101, v102
	s_waitcnt vmcnt(5) lgkmcnt(0)
	v_mul_f32_e32 v102, v142, v185
	v_add_f32_e32 v100, v100, v191
	v_mul_f32_e32 v191, v141, v185
	s_waitcnt vmcnt(4)
	v_fma_f32 v102, v141, v186, -v102
	v_fmac_f32_e32 v191, v142, v186
	v_add_f32_e32 v101, v101, v102
	s_waitcnt vmcnt(3)
	v_mul_f32_e32 v102, v144, v187
	v_add_f32_e32 v100, v100, v191
	v_mul_f32_e32 v191, v143, v187
	s_waitcnt vmcnt(2)
	v_fma_f32 v102, v143, v188, -v102
	v_fmac_f32_e32 v191, v144, v188
	v_add_f32_e32 v101, v101, v102
	v_add_f32_e32 v100, v100, v191
	s_waitcnt vmcnt(1)
	v_sub_f32_e32 v101, v189, v101
	s_waitcnt vmcnt(0)
	v_sub_f32_e32 v100, v190, v100
	buffer_store_dword v101, off, s[0:3], 0 offset:208
	buffer_store_dword v100, off, s[0:3], 0 offset:212
	s_and_saveexec_b64 s[4:5], vcc
	s_cbranch_execz .LBB112_257
; %bb.256:
	buffer_load_dword v100, off, s[0:3], 0 offset:200
	buffer_load_dword v101, off, s[0:3], 0 offset:204
	v_mov_b32_e32 v102, 0
	buffer_store_dword v102, off, s[0:3], 0 offset:200
	buffer_store_dword v102, off, s[0:3], 0 offset:204
	s_waitcnt vmcnt(2)
	ds_write_b64 v99, v[100:101]
.LBB112_257:
	s_or_b64 exec, exec, s[4:5]
	s_waitcnt lgkmcnt(0)
	; wave barrier
	buffer_load_dword v147, off, s[0:3], 0 offset:212
	buffer_load_dword v148, off, s[0:3], 0 offset:220
	;; [unrolled: 1-line block ×48, first 2 shown]
	v_mov_b32_e32 v100, 0
	ds_read_b128 v[101:104], v100 offset:608
	ds_read_b128 v[105:108], v100 offset:624
	;; [unrolled: 1-line block ×7, first 2 shown]
	v_cmp_lt_u32_e32 vcc, 24, v0
	s_waitcnt vmcnt(47) lgkmcnt(6)
	v_mul_f32_e32 v129, v101, v147
	s_waitcnt vmcnt(46)
	v_mul_f32_e32 v130, v103, v148
	s_waitcnt vmcnt(45) lgkmcnt(5)
	v_mul_f32_e32 v131, v105, v149
	s_waitcnt vmcnt(44)
	v_mul_f32_e32 v132, v107, v150
	;; [unrolled: 4-line block ×6, first 2 shown]
	s_waitcnt vmcnt(35)
	v_fmac_f32_e32 v129, v102, v159
	v_mul_f32_e32 v102, v102, v147
	v_fma_f32 v101, v101, v159, -v102
	v_mul_f32_e32 v102, v104, v148
	v_add_f32_e32 v101, 0, v101
	s_waitcnt vmcnt(34)
	v_fma_f32 v102, v103, v160, -v102
	v_add_f32_e32 v101, v101, v102
	v_mul_f32_e32 v102, v106, v149
	s_waitcnt vmcnt(33)
	v_fma_f32 v102, v105, v161, -v102
	v_fmac_f32_e32 v130, v104, v160
	v_add_f32_e32 v129, 0, v129
	v_add_f32_e32 v101, v101, v102
	v_mul_f32_e32 v102, v108, v150
	v_fmac_f32_e32 v131, v106, v161
	v_add_f32_e32 v129, v129, v130
	s_waitcnt vmcnt(32)
	v_fma_f32 v102, v107, v162, -v102
	v_fmac_f32_e32 v132, v108, v162
	v_add_f32_e32 v129, v129, v131
	v_add_f32_e32 v101, v101, v102
	v_mul_f32_e32 v102, v110, v151
	s_waitcnt vmcnt(31)
	v_fmac_f32_e32 v133, v110, v163
	v_add_f32_e32 v129, v129, v132
	v_fma_f32 v102, v109, v163, -v102
	s_waitcnt vmcnt(30)
	v_fmac_f32_e32 v134, v112, v164
	v_add_f32_e32 v129, v129, v133
	v_add_f32_e32 v101, v101, v102
	v_mul_f32_e32 v102, v112, v152
	s_waitcnt vmcnt(29)
	v_fmac_f32_e32 v135, v114, v165
	v_add_f32_e32 v129, v129, v134
	v_fma_f32 v102, v111, v164, -v102
	s_waitcnt vmcnt(28)
	;; [unrolled: 9-line block ×4, first 2 shown]
	v_fmac_f32_e32 v140, v124, v170
	v_add_f32_e32 v129, v129, v139
	v_add_f32_e32 v101, v101, v102
	v_mul_f32_e32 v102, v118, v155
	v_add_f32_e32 v133, v129, v140
	ds_read_b128 v[129:132], v100 offset:720
	v_fma_f32 v102, v117, v167, -v102
	s_waitcnt vmcnt(23) lgkmcnt(1)
	v_mul_f32_e32 v134, v125, v171
	v_add_f32_e32 v101, v101, v102
	v_mul_f32_e32 v102, v120, v156
	s_waitcnt vmcnt(22)
	v_fmac_f32_e32 v134, v126, v172
	v_fma_f32 v102, v119, v168, -v102
	v_add_f32_e32 v133, v133, v134
	s_waitcnt vmcnt(21)
	v_mul_f32_e32 v134, v127, v173
	v_add_f32_e32 v101, v101, v102
	v_mul_f32_e32 v102, v122, v157
	s_waitcnt vmcnt(20)
	v_fmac_f32_e32 v134, v128, v174
	v_fma_f32 v102, v121, v169, -v102
	v_add_f32_e32 v133, v133, v134
	s_waitcnt vmcnt(19) lgkmcnt(0)
	v_mul_f32_e32 v134, v129, v175
	v_add_f32_e32 v101, v101, v102
	v_mul_f32_e32 v102, v124, v158
	s_waitcnt vmcnt(18)
	v_fmac_f32_e32 v134, v130, v176
	v_fma_f32 v102, v123, v170, -v102
	v_add_f32_e32 v137, v133, v134
	ds_read_b128 v[133:136], v100 offset:736
	v_add_f32_e32 v101, v101, v102
	v_mul_f32_e32 v102, v126, v171
	v_fma_f32 v102, v125, v172, -v102
	s_waitcnt vmcnt(17)
	v_mul_f32_e32 v138, v131, v177
	v_add_f32_e32 v101, v101, v102
	v_mul_f32_e32 v102, v128, v173
	s_waitcnt vmcnt(16)
	v_fmac_f32_e32 v138, v132, v178
	v_fma_f32 v102, v127, v174, -v102
	v_add_f32_e32 v141, v137, v138
	ds_read_b128 v[137:140], v100 offset:752
	v_add_f32_e32 v101, v101, v102
	v_mul_f32_e32 v102, v130, v175
	s_waitcnt vmcnt(15) lgkmcnt(1)
	v_mul_f32_e32 v142, v133, v179
	v_fma_f32 v102, v129, v176, -v102
	s_waitcnt vmcnt(14)
	v_fmac_f32_e32 v142, v134, v180
	v_add_f32_e32 v101, v101, v102
	v_mul_f32_e32 v102, v132, v177
	v_add_f32_e32 v141, v141, v142
	s_waitcnt vmcnt(13)
	v_mul_f32_e32 v142, v135, v181
	v_fma_f32 v102, v131, v178, -v102
	s_waitcnt vmcnt(12)
	v_fmac_f32_e32 v142, v136, v182
	v_add_f32_e32 v101, v101, v102
	v_mul_f32_e32 v102, v134, v179
	v_add_f32_e32 v141, v141, v142
	s_waitcnt vmcnt(11) lgkmcnt(0)
	v_mul_f32_e32 v142, v137, v183
	v_fma_f32 v102, v133, v180, -v102
	s_waitcnt vmcnt(10)
	v_fmac_f32_e32 v142, v138, v184
	v_add_f32_e32 v101, v101, v102
	v_mul_f32_e32 v102, v136, v181
	v_add_f32_e32 v145, v141, v142
	ds_read_b128 v[141:144], v100 offset:768
	v_fma_f32 v102, v135, v182, -v102
	v_add_f32_e32 v101, v101, v102
	v_mul_f32_e32 v102, v138, v183
	s_waitcnt vmcnt(9)
	v_mul_f32_e32 v146, v139, v185
	v_fma_f32 v102, v137, v184, -v102
	s_waitcnt vmcnt(8)
	v_fmac_f32_e32 v146, v140, v186
	v_add_f32_e32 v101, v101, v102
	v_mul_f32_e32 v102, v140, v185
	v_add_f32_e32 v195, v145, v146
	ds_read_b64 v[145:146], v100 offset:784
	v_fma_f32 v102, v139, v186, -v102
	v_add_f32_e32 v101, v101, v102
	s_waitcnt vmcnt(6) lgkmcnt(1)
	v_mul_f32_e32 v102, v142, v188
	v_mul_f32_e32 v196, v141, v188
	v_fma_f32 v102, v141, v187, -v102
	v_fmac_f32_e32 v196, v142, v187
	v_add_f32_e32 v101, v101, v102
	s_waitcnt vmcnt(3)
	v_mul_f32_e32 v102, v144, v191
	v_add_f32_e32 v195, v195, v196
	v_mul_f32_e32 v196, v143, v191
	s_waitcnt vmcnt(2)
	v_fma_f32 v102, v143, v192, -v102
	v_fmac_f32_e32 v196, v144, v192
	v_add_f32_e32 v101, v101, v102
	s_waitcnt vmcnt(0) lgkmcnt(0)
	v_mul_f32_e32 v102, v146, v194
	v_add_f32_e32 v195, v195, v196
	v_mul_f32_e32 v196, v145, v194
	v_fma_f32 v102, v145, v193, -v102
	v_fmac_f32_e32 v196, v146, v193
	v_add_f32_e32 v101, v101, v102
	v_add_f32_e32 v195, v195, v196
	v_sub_f32_e32 v101, v189, v101
	v_sub_f32_e32 v102, v190, v195
	buffer_store_dword v101, off, s[0:3], 0 offset:200
	buffer_store_dword v102, off, s[0:3], 0 offset:204
	s_and_saveexec_b64 s[4:5], vcc
	s_cbranch_execz .LBB112_259
; %bb.258:
	buffer_load_dword v101, off, s[0:3], 0 offset:192
	buffer_load_dword v102, off, s[0:3], 0 offset:196
	s_waitcnt vmcnt(0)
	ds_write_b64 v99, v[101:102]
	buffer_store_dword v100, off, s[0:3], 0 offset:192
	buffer_store_dword v100, off, s[0:3], 0 offset:196
.LBB112_259:
	s_or_b64 exec, exec, s[4:5]
	s_waitcnt lgkmcnt(0)
	; wave barrier
	buffer_load_dword v149, off, s[0:3], 0 offset:204
	buffer_load_dword v150, off, s[0:3], 0 offset:212
	;; [unrolled: 1-line block ×48, first 2 shown]
	ds_read2_b64 v[101:104], v100 offset0:75 offset1:76
	ds_read2_b64 v[105:108], v100 offset0:77 offset1:78
	buffer_load_dword v197, off, s[0:3], 0 offset:384
	buffer_load_dword v198, off, s[0:3], 0 offset:388
	ds_read2_b64 v[109:112], v100 offset0:79 offset1:80
	ds_read2_b64 v[113:116], v100 offset0:81 offset1:82
	;; [unrolled: 1-line block ×5, first 2 shown]
	v_cmp_lt_u32_e32 vcc, 23, v0
	s_waitcnt vmcnt(49) lgkmcnt(6)
	v_mul_f32_e32 v129, v101, v149
	s_waitcnt vmcnt(48)
	v_mul_f32_e32 v130, v103, v150
	s_waitcnt vmcnt(47) lgkmcnt(5)
	v_mul_f32_e32 v131, v105, v151
	s_waitcnt vmcnt(46)
	v_mul_f32_e32 v132, v107, v152
	;; [unrolled: 4-line block ×6, first 2 shown]
	s_waitcnt vmcnt(37)
	v_fmac_f32_e32 v129, v102, v161
	v_mul_f32_e32 v102, v102, v149
	v_fma_f32 v101, v101, v161, -v102
	v_mul_f32_e32 v102, v104, v150
	v_add_f32_e32 v101, 0, v101
	s_waitcnt vmcnt(36)
	v_fma_f32 v102, v103, v162, -v102
	v_add_f32_e32 v101, v101, v102
	v_mul_f32_e32 v102, v106, v151
	s_waitcnt vmcnt(35)
	v_fma_f32 v102, v105, v163, -v102
	v_fmac_f32_e32 v130, v104, v162
	v_add_f32_e32 v129, 0, v129
	v_add_f32_e32 v101, v101, v102
	v_mul_f32_e32 v102, v108, v152
	v_fmac_f32_e32 v131, v106, v163
	v_add_f32_e32 v129, v129, v130
	s_waitcnt vmcnt(34)
	v_fma_f32 v102, v107, v164, -v102
	v_fmac_f32_e32 v132, v108, v164
	v_add_f32_e32 v129, v129, v131
	v_add_f32_e32 v101, v101, v102
	v_mul_f32_e32 v102, v110, v153
	s_waitcnt vmcnt(33)
	v_fmac_f32_e32 v133, v110, v165
	v_add_f32_e32 v129, v129, v132
	v_fma_f32 v102, v109, v165, -v102
	s_waitcnt vmcnt(32)
	v_fmac_f32_e32 v134, v112, v166
	v_add_f32_e32 v129, v129, v133
	v_add_f32_e32 v101, v101, v102
	v_mul_f32_e32 v102, v112, v154
	s_waitcnt vmcnt(31)
	v_fmac_f32_e32 v135, v114, v167
	v_add_f32_e32 v129, v129, v134
	v_fma_f32 v102, v111, v166, -v102
	s_waitcnt vmcnt(30)
	;; [unrolled: 9-line block ×3, first 2 shown]
	v_fmac_f32_e32 v138, v120, v170
	v_add_f32_e32 v129, v129, v137
	v_add_f32_e32 v101, v101, v102
	v_mul_f32_e32 v102, v116, v156
	s_waitcnt vmcnt(27)
	v_fmac_f32_e32 v139, v122, v171
	v_add_f32_e32 v129, v129, v138
	v_fma_f32 v102, v115, v168, -v102
	v_add_f32_e32 v129, v129, v139
	s_waitcnt vmcnt(26)
	v_fmac_f32_e32 v140, v124, v172
	v_add_f32_e32 v101, v101, v102
	v_mul_f32_e32 v102, v118, v157
	v_add_f32_e32 v133, v129, v140
	ds_read2_b64 v[129:132], v100 offset0:89 offset1:90
	v_fma_f32 v102, v117, v169, -v102
	s_waitcnt vmcnt(25) lgkmcnt(1)
	v_mul_f32_e32 v134, v125, v173
	v_add_f32_e32 v101, v101, v102
	v_mul_f32_e32 v102, v120, v158
	s_waitcnt vmcnt(24)
	v_fmac_f32_e32 v134, v126, v174
	v_fma_f32 v102, v119, v170, -v102
	v_add_f32_e32 v133, v133, v134
	s_waitcnt vmcnt(23)
	v_mul_f32_e32 v134, v127, v175
	v_add_f32_e32 v101, v101, v102
	v_mul_f32_e32 v102, v122, v159
	s_waitcnt vmcnt(22)
	v_fmac_f32_e32 v134, v128, v176
	v_fma_f32 v102, v121, v171, -v102
	v_add_f32_e32 v133, v133, v134
	s_waitcnt vmcnt(21) lgkmcnt(0)
	v_mul_f32_e32 v134, v129, v177
	v_add_f32_e32 v101, v101, v102
	v_mul_f32_e32 v102, v124, v160
	s_waitcnt vmcnt(20)
	v_fmac_f32_e32 v134, v130, v178
	v_fma_f32 v102, v123, v172, -v102
	v_add_f32_e32 v137, v133, v134
	ds_read2_b64 v[133:136], v100 offset0:91 offset1:92
	v_add_f32_e32 v101, v101, v102
	v_mul_f32_e32 v102, v126, v173
	v_fma_f32 v102, v125, v174, -v102
	s_waitcnt vmcnt(19)
	v_mul_f32_e32 v138, v131, v179
	v_add_f32_e32 v101, v101, v102
	v_mul_f32_e32 v102, v128, v175
	s_waitcnt vmcnt(18)
	v_fmac_f32_e32 v138, v132, v180
	v_fma_f32 v102, v127, v176, -v102
	v_add_f32_e32 v141, v137, v138
	ds_read2_b64 v[137:140], v100 offset0:93 offset1:94
	v_add_f32_e32 v101, v101, v102
	v_mul_f32_e32 v102, v130, v177
	s_waitcnt vmcnt(17) lgkmcnt(1)
	v_mul_f32_e32 v142, v133, v181
	v_fma_f32 v102, v129, v178, -v102
	s_waitcnt vmcnt(16)
	v_fmac_f32_e32 v142, v134, v182
	v_add_f32_e32 v101, v101, v102
	v_mul_f32_e32 v102, v132, v179
	v_add_f32_e32 v141, v141, v142
	s_waitcnt vmcnt(15)
	v_mul_f32_e32 v142, v135, v183
	v_fma_f32 v102, v131, v180, -v102
	s_waitcnt vmcnt(14)
	v_fmac_f32_e32 v142, v136, v184
	v_add_f32_e32 v101, v101, v102
	v_mul_f32_e32 v102, v134, v181
	v_add_f32_e32 v141, v141, v142
	s_waitcnt vmcnt(13) lgkmcnt(0)
	v_mul_f32_e32 v142, v137, v185
	v_fma_f32 v102, v133, v182, -v102
	s_waitcnt vmcnt(12)
	v_fmac_f32_e32 v142, v138, v186
	v_add_f32_e32 v101, v101, v102
	v_mul_f32_e32 v102, v136, v183
	v_add_f32_e32 v145, v141, v142
	ds_read2_b64 v[141:144], v100 offset0:95 offset1:96
	v_fma_f32 v102, v135, v184, -v102
	v_add_f32_e32 v101, v101, v102
	v_mul_f32_e32 v102, v138, v185
	s_waitcnt vmcnt(11)
	v_mul_f32_e32 v146, v139, v187
	v_fma_f32 v102, v137, v186, -v102
	s_waitcnt vmcnt(10)
	v_fmac_f32_e32 v146, v140, v188
	v_add_f32_e32 v101, v101, v102
	v_mul_f32_e32 v102, v140, v187
	v_add_f32_e32 v199, v145, v146
	ds_read2_b64 v[145:148], v100 offset0:97 offset1:98
	v_fma_f32 v102, v139, v188, -v102
	v_add_f32_e32 v101, v101, v102
	s_waitcnt vmcnt(7) lgkmcnt(1)
	v_mul_f32_e32 v102, v142, v191
	v_mul_f32_e32 v100, v141, v191
	s_waitcnt vmcnt(6)
	v_fma_f32 v102, v141, v192, -v102
	v_fmac_f32_e32 v100, v142, v192
	v_add_f32_e32 v101, v101, v102
	s_waitcnt vmcnt(4)
	v_mul_f32_e32 v102, v144, v194
	v_add_f32_e32 v100, v199, v100
	v_mul_f32_e32 v199, v143, v194
	v_fma_f32 v102, v143, v193, -v102
	v_fmac_f32_e32 v199, v144, v193
	v_add_f32_e32 v101, v101, v102
	s_waitcnt vmcnt(2) lgkmcnt(0)
	v_mul_f32_e32 v102, v146, v196
	v_add_f32_e32 v100, v100, v199
	v_mul_f32_e32 v199, v145, v196
	v_fma_f32 v102, v145, v195, -v102
	v_fmac_f32_e32 v199, v146, v195
	v_add_f32_e32 v101, v101, v102
	s_waitcnt vmcnt(0)
	v_mul_f32_e32 v102, v148, v198
	v_add_f32_e32 v100, v100, v199
	v_mul_f32_e32 v199, v147, v198
	v_fma_f32 v102, v147, v197, -v102
	v_fmac_f32_e32 v199, v148, v197
	v_add_f32_e32 v101, v101, v102
	v_add_f32_e32 v100, v100, v199
	v_sub_f32_e32 v101, v189, v101
	v_sub_f32_e32 v100, v190, v100
	buffer_store_dword v101, off, s[0:3], 0 offset:192
	buffer_store_dword v100, off, s[0:3], 0 offset:196
	s_and_saveexec_b64 s[4:5], vcc
	s_cbranch_execz .LBB112_261
; %bb.260:
	buffer_load_dword v100, off, s[0:3], 0 offset:184
	buffer_load_dword v101, off, s[0:3], 0 offset:188
	v_mov_b32_e32 v102, 0
	buffer_store_dword v102, off, s[0:3], 0 offset:184
	buffer_store_dword v102, off, s[0:3], 0 offset:188
	s_waitcnt vmcnt(2)
	ds_write_b64 v99, v[100:101]
.LBB112_261:
	s_or_b64 exec, exec, s[4:5]
	s_waitcnt lgkmcnt(0)
	; wave barrier
	buffer_load_dword v151, off, s[0:3], 0 offset:196
	buffer_load_dword v152, off, s[0:3], 0 offset:204
	;; [unrolled: 1-line block ×52, first 2 shown]
	v_mov_b32_e32 v100, 0
	ds_read_b128 v[101:104], v100 offset:592
	ds_read_b128 v[105:108], v100 offset:608
	;; [unrolled: 1-line block ×6, first 2 shown]
	v_cmp_lt_u32_e32 vcc, 22, v0
	s_waitcnt vmcnt(51) lgkmcnt(5)
	v_mul_f32_e32 v125, v101, v151
	s_waitcnt vmcnt(50)
	v_mul_f32_e32 v126, v103, v152
	s_waitcnt vmcnt(49) lgkmcnt(4)
	v_mul_f32_e32 v127, v105, v153
	s_waitcnt vmcnt(48)
	v_mul_f32_e32 v128, v107, v154
	;; [unrolled: 4-line block ×5, first 2 shown]
	s_waitcnt vmcnt(41) lgkmcnt(0)
	v_mul_f32_e32 v135, v121, v161
	s_waitcnt vmcnt(40)
	v_fmac_f32_e32 v125, v102, v162
	v_mul_f32_e32 v102, v102, v151
	s_waitcnt vmcnt(39)
	v_fmac_f32_e32 v126, v104, v163
	v_add_f32_e32 v125, 0, v125
	v_fma_f32 v101, v101, v162, -v102
	v_mul_f32_e32 v102, v104, v152
	s_waitcnt vmcnt(38)
	v_fmac_f32_e32 v127, v106, v164
	v_add_f32_e32 v125, v125, v126
	v_add_f32_e32 v101, 0, v101
	v_fma_f32 v102, v103, v163, -v102
	s_waitcnt vmcnt(37)
	v_fmac_f32_e32 v128, v108, v165
	v_add_f32_e32 v125, v125, v127
	v_add_f32_e32 v101, v101, v102
	v_mul_f32_e32 v102, v106, v153
	s_waitcnt vmcnt(36)
	v_fmac_f32_e32 v129, v110, v166
	v_add_f32_e32 v125, v125, v128
	v_fma_f32 v102, v105, v164, -v102
	s_waitcnt vmcnt(35)
	v_fmac_f32_e32 v130, v112, v167
	v_add_f32_e32 v125, v125, v129
	v_add_f32_e32 v101, v101, v102
	v_mul_f32_e32 v102, v108, v154
	s_waitcnt vmcnt(34)
	v_fmac_f32_e32 v131, v114, v168
	;; [unrolled: 9-line block ×3, first 2 shown]
	v_add_f32_e32 v125, v125, v132
	v_fma_f32 v102, v109, v166, -v102
	s_waitcnt vmcnt(31)
	v_fmac_f32_e32 v134, v120, v171
	v_add_f32_e32 v125, v125, v133
	v_add_f32_e32 v101, v101, v102
	v_mul_f32_e32 v102, v112, v156
	v_add_f32_e32 v125, v125, v134
	s_waitcnt vmcnt(30)
	v_fmac_f32_e32 v135, v122, v172
	v_fma_f32 v102, v111, v167, -v102
	v_add_f32_e32 v129, v125, v135
	ds_read_b128 v[125:128], v100 offset:688
	v_add_f32_e32 v101, v101, v102
	v_mul_f32_e32 v102, v114, v157
	v_fma_f32 v102, v113, v168, -v102
	s_waitcnt vmcnt(29)
	v_mul_f32_e32 v130, v123, v173
	v_add_f32_e32 v101, v101, v102
	v_mul_f32_e32 v102, v116, v158
	s_waitcnt vmcnt(28)
	v_fmac_f32_e32 v130, v124, v174
	v_fma_f32 v102, v115, v169, -v102
	v_add_f32_e32 v133, v129, v130
	ds_read_b128 v[129:132], v100 offset:704
	v_add_f32_e32 v101, v101, v102
	v_mul_f32_e32 v102, v118, v159
	s_waitcnt vmcnt(27) lgkmcnt(1)
	v_mul_f32_e32 v134, v125, v175
	v_fma_f32 v102, v117, v170, -v102
	s_waitcnt vmcnt(26)
	v_fmac_f32_e32 v134, v126, v176
	v_add_f32_e32 v101, v101, v102
	v_mul_f32_e32 v102, v120, v160
	v_add_f32_e32 v133, v133, v134
	s_waitcnt vmcnt(25)
	v_mul_f32_e32 v134, v127, v177
	v_fma_f32 v102, v119, v171, -v102
	s_waitcnt vmcnt(24)
	v_fmac_f32_e32 v134, v128, v178
	v_add_f32_e32 v101, v101, v102
	v_mul_f32_e32 v102, v122, v161
	v_add_f32_e32 v133, v133, v134
	s_waitcnt vmcnt(23) lgkmcnt(0)
	v_mul_f32_e32 v134, v129, v179
	v_fma_f32 v102, v121, v172, -v102
	s_waitcnt vmcnt(22)
	v_fmac_f32_e32 v134, v130, v180
	v_add_f32_e32 v101, v101, v102
	v_mul_f32_e32 v102, v124, v173
	v_add_f32_e32 v137, v133, v134
	ds_read_b128 v[133:136], v100 offset:720
	v_fma_f32 v102, v123, v174, -v102
	v_add_f32_e32 v101, v101, v102
	v_mul_f32_e32 v102, v126, v175
	s_waitcnt vmcnt(21)
	v_mul_f32_e32 v138, v131, v181
	v_fma_f32 v102, v125, v176, -v102
	s_waitcnt vmcnt(20)
	v_fmac_f32_e32 v138, v132, v182
	v_add_f32_e32 v101, v101, v102
	v_mul_f32_e32 v102, v128, v177
	v_add_f32_e32 v141, v137, v138
	ds_read_b128 v[137:140], v100 offset:736
	v_fma_f32 v102, v127, v178, -v102
	s_waitcnt vmcnt(19) lgkmcnt(1)
	v_mul_f32_e32 v142, v133, v183
	v_add_f32_e32 v101, v101, v102
	v_mul_f32_e32 v102, v130, v179
	s_waitcnt vmcnt(18)
	v_fmac_f32_e32 v142, v134, v184
	v_fma_f32 v102, v129, v180, -v102
	v_add_f32_e32 v141, v141, v142
	s_waitcnt vmcnt(17)
	v_mul_f32_e32 v142, v135, v185
	v_add_f32_e32 v101, v101, v102
	v_mul_f32_e32 v102, v132, v181
	s_waitcnt vmcnt(16)
	v_fmac_f32_e32 v142, v136, v186
	v_fma_f32 v102, v131, v182, -v102
	v_add_f32_e32 v141, v141, v142
	s_waitcnt vmcnt(14) lgkmcnt(0)
	v_mul_f32_e32 v142, v137, v188
	v_add_f32_e32 v101, v101, v102
	v_mul_f32_e32 v102, v134, v183
	v_fmac_f32_e32 v142, v138, v187
	v_fma_f32 v102, v133, v184, -v102
	v_add_f32_e32 v145, v141, v142
	ds_read_b128 v[141:144], v100 offset:752
	v_add_f32_e32 v101, v101, v102
	v_mul_f32_e32 v102, v136, v185
	v_fma_f32 v102, v135, v186, -v102
	v_add_f32_e32 v101, v101, v102
	v_mul_f32_e32 v102, v138, v188
	s_waitcnt vmcnt(11)
	v_mul_f32_e32 v146, v139, v191
	v_fma_f32 v102, v137, v187, -v102
	s_waitcnt vmcnt(10)
	v_fmac_f32_e32 v146, v140, v192
	v_add_f32_e32 v101, v101, v102
	v_mul_f32_e32 v102, v140, v191
	v_add_f32_e32 v149, v145, v146
	ds_read_b128 v[145:148], v100 offset:768
	s_waitcnt vmcnt(8) lgkmcnt(1)
	v_mul_f32_e32 v150, v141, v194
	v_fma_f32 v102, v139, v192, -v102
	v_fmac_f32_e32 v150, v142, v193
	v_add_f32_e32 v101, v101, v102
	v_mul_f32_e32 v102, v142, v194
	v_add_f32_e32 v149, v149, v150
	s_waitcnt vmcnt(6)
	v_mul_f32_e32 v150, v143, v196
	v_fma_f32 v102, v141, v193, -v102
	v_fmac_f32_e32 v150, v144, v195
	v_add_f32_e32 v101, v101, v102
	v_mul_f32_e32 v102, v144, v196
	v_add_f32_e32 v203, v149, v150
	ds_read_b64 v[149:150], v100 offset:784
	v_fma_f32 v102, v143, v195, -v102
	v_add_f32_e32 v101, v101, v102
	s_waitcnt vmcnt(4) lgkmcnt(1)
	v_mul_f32_e32 v102, v146, v198
	v_mul_f32_e32 v204, v145, v198
	v_fma_f32 v102, v145, v197, -v102
	v_fmac_f32_e32 v204, v146, v197
	v_add_f32_e32 v101, v101, v102
	s_waitcnt vmcnt(2)
	v_mul_f32_e32 v102, v148, v200
	v_add_f32_e32 v203, v203, v204
	v_mul_f32_e32 v204, v147, v200
	v_fma_f32 v102, v147, v199, -v102
	v_fmac_f32_e32 v204, v148, v199
	v_add_f32_e32 v101, v101, v102
	s_waitcnt vmcnt(0) lgkmcnt(0)
	v_mul_f32_e32 v102, v150, v202
	v_add_f32_e32 v203, v203, v204
	v_mul_f32_e32 v204, v149, v202
	v_fma_f32 v102, v149, v201, -v102
	v_fmac_f32_e32 v204, v150, v201
	v_add_f32_e32 v101, v101, v102
	v_add_f32_e32 v203, v203, v204
	v_sub_f32_e32 v101, v189, v101
	v_sub_f32_e32 v102, v190, v203
	buffer_store_dword v101, off, s[0:3], 0 offset:184
	buffer_store_dword v102, off, s[0:3], 0 offset:188
	s_and_saveexec_b64 s[4:5], vcc
	s_cbranch_execz .LBB112_263
; %bb.262:
	buffer_load_dword v101, off, s[0:3], 0 offset:176
	buffer_load_dword v102, off, s[0:3], 0 offset:180
	s_waitcnt vmcnt(0)
	ds_write_b64 v99, v[101:102]
	buffer_store_dword v100, off, s[0:3], 0 offset:176
	buffer_store_dword v100, off, s[0:3], 0 offset:180
.LBB112_263:
	s_or_b64 exec, exec, s[4:5]
	s_waitcnt lgkmcnt(0)
	; wave barrier
	buffer_load_dword v153, off, s[0:3], 0 offset:188
	buffer_load_dword v154, off, s[0:3], 0 offset:196
	;; [unrolled: 1-line block ×42, first 2 shown]
	ds_read2_b64 v[101:104], v100 offset0:73 offset1:74
	ds_read2_b64 v[105:108], v100 offset0:75 offset1:76
	;; [unrolled: 1-line block ×4, first 2 shown]
	buffer_load_dword v195, off, s[0:3], 0 offset:348
	buffer_load_dword v196, off, s[0:3], 0 offset:344
	;; [unrolled: 1-line block ×6, first 2 shown]
	ds_read2_b64 v[117:120], v100 offset0:81 offset1:82
	ds_read2_b64 v[121:124], v100 offset0:83 offset1:84
	buffer_load_dword v201, off, s[0:3], 0 offset:368
	buffer_load_dword v202, off, s[0:3], 0 offset:372
	;; [unrolled: 1-line block ×6, first 2 shown]
	v_cmp_lt_u32_e32 vcc, 21, v0
	s_waitcnt vmcnt(53) lgkmcnt(5)
	v_mul_f32_e32 v125, v101, v153
	s_waitcnt vmcnt(52)
	v_mul_f32_e32 v126, v103, v154
	s_waitcnt vmcnt(51) lgkmcnt(4)
	v_mul_f32_e32 v127, v105, v155
	s_waitcnt vmcnt(50)
	v_mul_f32_e32 v128, v107, v156
	;; [unrolled: 4-line block ×5, first 2 shown]
	s_waitcnt vmcnt(43)
	v_fmac_f32_e32 v125, v102, v163
	v_mul_f32_e32 v102, v102, v153
	s_waitcnt vmcnt(42)
	v_fmac_f32_e32 v126, v104, v164
	v_add_f32_e32 v125, 0, v125
	v_fma_f32 v101, v101, v163, -v102
	v_mul_f32_e32 v102, v104, v154
	s_waitcnt vmcnt(41)
	v_fmac_f32_e32 v127, v106, v165
	v_add_f32_e32 v125, v125, v126
	v_add_f32_e32 v101, 0, v101
	v_fma_f32 v102, v103, v164, -v102
	s_waitcnt vmcnt(40)
	v_fmac_f32_e32 v128, v108, v166
	v_add_f32_e32 v125, v125, v127
	v_add_f32_e32 v101, v101, v102
	v_mul_f32_e32 v102, v106, v155
	s_waitcnt vmcnt(39)
	v_fmac_f32_e32 v129, v110, v167
	v_add_f32_e32 v125, v125, v128
	v_fma_f32 v102, v105, v165, -v102
	s_waitcnt vmcnt(38)
	v_fmac_f32_e32 v130, v112, v168
	v_add_f32_e32 v125, v125, v129
	v_add_f32_e32 v101, v101, v102
	v_mul_f32_e32 v102, v108, v156
	s_waitcnt vmcnt(37)
	v_fmac_f32_e32 v131, v114, v169
	;; [unrolled: 9-line block ×3, first 2 shown]
	v_add_f32_e32 v125, v125, v132
	v_fma_f32 v102, v109, v167, -v102
	s_waitcnt vmcnt(34)
	v_fmac_f32_e32 v134, v120, v172
	v_add_f32_e32 v125, v125, v133
	s_waitcnt vmcnt(33) lgkmcnt(0)
	v_mul_f32_e32 v126, v121, v173
	v_add_f32_e32 v101, v101, v102
	v_mul_f32_e32 v102, v112, v158
	v_add_f32_e32 v125, v125, v134
	s_waitcnt vmcnt(32)
	v_fmac_f32_e32 v126, v122, v174
	v_fma_f32 v102, v111, v168, -v102
	v_add_f32_e32 v129, v125, v126
	ds_read2_b64 v[125:128], v100 offset0:85 offset1:86
	v_add_f32_e32 v101, v101, v102
	v_mul_f32_e32 v102, v114, v159
	v_fma_f32 v102, v113, v169, -v102
	s_waitcnt vmcnt(31)
	v_mul_f32_e32 v130, v123, v175
	v_add_f32_e32 v101, v101, v102
	v_mul_f32_e32 v102, v116, v160
	s_waitcnt vmcnt(30)
	v_fmac_f32_e32 v130, v124, v176
	v_fma_f32 v102, v115, v170, -v102
	v_add_f32_e32 v133, v129, v130
	ds_read2_b64 v[129:132], v100 offset0:87 offset1:88
	v_add_f32_e32 v101, v101, v102
	v_mul_f32_e32 v102, v118, v161
	s_waitcnt vmcnt(29) lgkmcnt(1)
	v_mul_f32_e32 v134, v125, v177
	v_fma_f32 v102, v117, v171, -v102
	s_waitcnt vmcnt(28)
	v_fmac_f32_e32 v134, v126, v178
	v_add_f32_e32 v101, v101, v102
	v_mul_f32_e32 v102, v120, v162
	v_add_f32_e32 v133, v133, v134
	s_waitcnt vmcnt(27)
	v_mul_f32_e32 v134, v127, v179
	v_fma_f32 v102, v119, v172, -v102
	s_waitcnt vmcnt(26)
	v_fmac_f32_e32 v134, v128, v180
	v_add_f32_e32 v101, v101, v102
	v_mul_f32_e32 v102, v122, v173
	v_add_f32_e32 v133, v133, v134
	s_waitcnt vmcnt(25) lgkmcnt(0)
	v_mul_f32_e32 v134, v129, v181
	v_fma_f32 v102, v121, v174, -v102
	s_waitcnt vmcnt(24)
	v_fmac_f32_e32 v134, v130, v182
	v_add_f32_e32 v101, v101, v102
	v_mul_f32_e32 v102, v124, v175
	v_add_f32_e32 v137, v133, v134
	ds_read2_b64 v[133:136], v100 offset0:89 offset1:90
	v_fma_f32 v102, v123, v176, -v102
	v_add_f32_e32 v101, v101, v102
	v_mul_f32_e32 v102, v126, v177
	s_waitcnt vmcnt(23)
	v_mul_f32_e32 v138, v131, v183
	v_fma_f32 v102, v125, v178, -v102
	s_waitcnt vmcnt(22)
	v_fmac_f32_e32 v138, v132, v184
	v_add_f32_e32 v101, v101, v102
	v_mul_f32_e32 v102, v128, v179
	v_add_f32_e32 v141, v137, v138
	ds_read2_b64 v[137:140], v100 offset0:91 offset1:92
	v_fma_f32 v102, v127, v180, -v102
	s_waitcnt vmcnt(21) lgkmcnt(1)
	v_mul_f32_e32 v142, v133, v185
	v_add_f32_e32 v101, v101, v102
	v_mul_f32_e32 v102, v130, v181
	s_waitcnt vmcnt(20)
	v_fmac_f32_e32 v142, v134, v186
	v_fma_f32 v102, v129, v182, -v102
	v_add_f32_e32 v141, v141, v142
	s_waitcnt vmcnt(18)
	v_mul_f32_e32 v142, v135, v188
	v_add_f32_e32 v101, v101, v102
	v_mul_f32_e32 v102, v132, v183
	v_fmac_f32_e32 v142, v136, v187
	v_fma_f32 v102, v131, v184, -v102
	v_add_f32_e32 v141, v141, v142
	s_waitcnt vmcnt(15) lgkmcnt(0)
	v_mul_f32_e32 v142, v137, v191
	v_add_f32_e32 v101, v101, v102
	v_mul_f32_e32 v102, v134, v185
	s_waitcnt vmcnt(14)
	v_fmac_f32_e32 v142, v138, v192
	v_fma_f32 v102, v133, v186, -v102
	v_add_f32_e32 v145, v141, v142
	ds_read2_b64 v[141:144], v100 offset0:93 offset1:94
	v_add_f32_e32 v101, v101, v102
	v_mul_f32_e32 v102, v136, v188
	v_fma_f32 v102, v135, v187, -v102
	v_add_f32_e32 v101, v101, v102
	v_mul_f32_e32 v102, v138, v191
	s_waitcnt vmcnt(12)
	v_mul_f32_e32 v146, v139, v194
	v_fma_f32 v102, v137, v192, -v102
	v_fmac_f32_e32 v146, v140, v193
	v_add_f32_e32 v101, v101, v102
	v_mul_f32_e32 v102, v140, v194
	v_add_f32_e32 v149, v145, v146
	ds_read2_b64 v[145:148], v100 offset0:95 offset1:96
	s_waitcnt vmcnt(11) lgkmcnt(1)
	v_mul_f32_e32 v150, v141, v195
	v_fma_f32 v102, v139, v193, -v102
	s_waitcnt vmcnt(10)
	v_fmac_f32_e32 v150, v142, v196
	v_add_f32_e32 v101, v101, v102
	v_mul_f32_e32 v102, v142, v195
	v_add_f32_e32 v149, v149, v150
	s_waitcnt vmcnt(8)
	v_mul_f32_e32 v150, v143, v198
	v_fma_f32 v102, v141, v196, -v102
	v_fmac_f32_e32 v150, v144, v197
	v_add_f32_e32 v101, v101, v102
	v_mul_f32_e32 v102, v144, v198
	v_add_f32_e32 v207, v149, v150
	ds_read2_b64 v[149:152], v100 offset0:97 offset1:98
	v_fma_f32 v102, v143, v197, -v102
	v_add_f32_e32 v101, v101, v102
	s_waitcnt vmcnt(6) lgkmcnt(1)
	v_mul_f32_e32 v102, v146, v200
	v_mul_f32_e32 v208, v145, v200
	v_fma_f32 v102, v145, v199, -v102
	v_fmac_f32_e32 v208, v146, v199
	v_add_f32_e32 v101, v101, v102
	s_waitcnt vmcnt(4)
	v_mul_f32_e32 v102, v148, v202
	v_add_f32_e32 v100, v207, v208
	v_mul_f32_e32 v207, v147, v202
	v_fma_f32 v102, v147, v201, -v102
	v_fmac_f32_e32 v207, v148, v201
	v_add_f32_e32 v101, v101, v102
	s_waitcnt vmcnt(2) lgkmcnt(0)
	v_mul_f32_e32 v102, v150, v204
	v_add_f32_e32 v100, v100, v207
	v_mul_f32_e32 v207, v149, v204
	v_fma_f32 v102, v149, v203, -v102
	v_fmac_f32_e32 v207, v150, v203
	v_add_f32_e32 v101, v101, v102
	s_waitcnt vmcnt(0)
	v_mul_f32_e32 v102, v152, v206
	v_add_f32_e32 v100, v100, v207
	v_mul_f32_e32 v207, v151, v206
	v_fma_f32 v102, v151, v205, -v102
	v_fmac_f32_e32 v207, v152, v205
	v_add_f32_e32 v101, v101, v102
	v_add_f32_e32 v100, v100, v207
	v_sub_f32_e32 v101, v189, v101
	v_sub_f32_e32 v100, v190, v100
	buffer_store_dword v101, off, s[0:3], 0 offset:176
	buffer_store_dword v100, off, s[0:3], 0 offset:180
	s_and_saveexec_b64 s[4:5], vcc
	s_cbranch_execz .LBB112_265
; %bb.264:
	buffer_load_dword v100, off, s[0:3], 0 offset:168
	buffer_load_dword v101, off, s[0:3], 0 offset:172
	v_mov_b32_e32 v102, 0
	buffer_store_dword v102, off, s[0:3], 0 offset:168
	buffer_store_dword v102, off, s[0:3], 0 offset:172
	s_waitcnt vmcnt(2)
	ds_write_b64 v99, v[100:101]
.LBB112_265:
	s_or_b64 exec, exec, s[4:5]
	s_waitcnt lgkmcnt(0)
	; wave barrier
	buffer_load_dword v155, off, s[0:3], 0 offset:180
	buffer_load_dword v156, off, s[0:3], 0 offset:188
	;; [unrolled: 1-line block ×56, first 2 shown]
	v_mov_b32_e32 v100, 0
	ds_read_b128 v[101:104], v100 offset:576
	ds_read_b128 v[105:108], v100 offset:592
	;; [unrolled: 1-line block ×6, first 2 shown]
	v_cmp_lt_u32_e32 vcc, 20, v0
	s_waitcnt vmcnt(55) lgkmcnt(5)
	v_mul_f32_e32 v125, v101, v155
	s_waitcnt vmcnt(54)
	v_mul_f32_e32 v126, v103, v156
	s_waitcnt vmcnt(53) lgkmcnt(4)
	v_mul_f32_e32 v127, v105, v157
	s_waitcnt vmcnt(52)
	v_mul_f32_e32 v128, v107, v158
	;; [unrolled: 4-line block ×4, first 2 shown]
	s_waitcnt vmcnt(47) lgkmcnt(1)
	v_mul_f32_e32 v133, v117, v163
	s_waitcnt vmcnt(46)
	v_fmac_f32_e32 v125, v102, v164
	s_waitcnt vmcnt(45)
	v_fmac_f32_e32 v126, v104, v165
	v_add_f32_e32 v125, 0, v125
	s_waitcnt vmcnt(44)
	v_fmac_f32_e32 v127, v106, v166
	v_add_f32_e32 v125, v125, v126
	;; [unrolled: 3-line block ×3, first 2 shown]
	v_mul_f32_e32 v102, v102, v155
	s_waitcnt vmcnt(42)
	v_fmac_f32_e32 v129, v110, v168
	v_add_f32_e32 v125, v125, v128
	v_fma_f32 v101, v101, v164, -v102
	v_mul_f32_e32 v102, v104, v156
	s_waitcnt vmcnt(41)
	v_fmac_f32_e32 v130, v112, v169
	v_add_f32_e32 v125, v125, v129
	v_add_f32_e32 v101, 0, v101
	v_fma_f32 v102, v103, v165, -v102
	s_waitcnt vmcnt(40)
	v_fmac_f32_e32 v131, v114, v170
	v_add_f32_e32 v125, v125, v130
	v_add_f32_e32 v101, v101, v102
	v_mul_f32_e32 v102, v106, v157
	s_waitcnt vmcnt(39)
	v_fmac_f32_e32 v132, v116, v171
	v_add_f32_e32 v125, v125, v131
	v_fma_f32 v102, v105, v166, -v102
	v_add_f32_e32 v125, v125, v132
	s_waitcnt vmcnt(38)
	v_fmac_f32_e32 v133, v118, v172
	s_waitcnt vmcnt(37)
	v_mul_f32_e32 v126, v119, v173
	v_add_f32_e32 v101, v101, v102
	v_mul_f32_e32 v102, v108, v158
	v_add_f32_e32 v125, v125, v133
	s_waitcnt vmcnt(36)
	v_fmac_f32_e32 v126, v120, v174
	v_fma_f32 v102, v107, v167, -v102
	v_add_f32_e32 v125, v125, v126
	s_waitcnt vmcnt(35) lgkmcnt(0)
	v_mul_f32_e32 v126, v121, v175
	v_add_f32_e32 v101, v101, v102
	v_mul_f32_e32 v102, v110, v159
	s_waitcnt vmcnt(34)
	v_fmac_f32_e32 v126, v122, v176
	v_fma_f32 v102, v109, v168, -v102
	v_add_f32_e32 v129, v125, v126
	ds_read_b128 v[125:128], v100 offset:672
	v_add_f32_e32 v101, v101, v102
	v_mul_f32_e32 v102, v112, v160
	v_fma_f32 v102, v111, v169, -v102
	s_waitcnt vmcnt(33)
	v_mul_f32_e32 v130, v123, v177
	v_add_f32_e32 v101, v101, v102
	v_mul_f32_e32 v102, v114, v161
	s_waitcnt vmcnt(32)
	v_fmac_f32_e32 v130, v124, v178
	v_fma_f32 v102, v113, v170, -v102
	v_add_f32_e32 v133, v129, v130
	ds_read_b128 v[129:132], v100 offset:688
	v_add_f32_e32 v101, v101, v102
	v_mul_f32_e32 v102, v116, v162
	s_waitcnt vmcnt(31) lgkmcnt(1)
	v_mul_f32_e32 v134, v125, v179
	v_fma_f32 v102, v115, v171, -v102
	s_waitcnt vmcnt(30)
	v_fmac_f32_e32 v134, v126, v180
	v_add_f32_e32 v101, v101, v102
	v_mul_f32_e32 v102, v118, v163
	v_add_f32_e32 v133, v133, v134
	s_waitcnt vmcnt(29)
	v_mul_f32_e32 v134, v127, v181
	v_fma_f32 v102, v117, v172, -v102
	s_waitcnt vmcnt(28)
	v_fmac_f32_e32 v134, v128, v182
	v_add_f32_e32 v101, v101, v102
	v_mul_f32_e32 v102, v120, v173
	v_add_f32_e32 v133, v133, v134
	s_waitcnt vmcnt(27) lgkmcnt(0)
	v_mul_f32_e32 v134, v129, v183
	v_fma_f32 v102, v119, v174, -v102
	s_waitcnt vmcnt(26)
	v_fmac_f32_e32 v134, v130, v184
	v_add_f32_e32 v101, v101, v102
	v_mul_f32_e32 v102, v122, v175
	v_add_f32_e32 v137, v133, v134
	ds_read_b128 v[133:136], v100 offset:704
	v_fma_f32 v102, v121, v176, -v102
	v_add_f32_e32 v101, v101, v102
	v_mul_f32_e32 v102, v124, v177
	s_waitcnt vmcnt(24)
	v_mul_f32_e32 v138, v131, v186
	v_fma_f32 v102, v123, v178, -v102
	v_fmac_f32_e32 v138, v132, v185
	v_add_f32_e32 v101, v101, v102
	v_mul_f32_e32 v102, v126, v179
	v_add_f32_e32 v141, v137, v138
	ds_read_b128 v[137:140], v100 offset:720
	v_fma_f32 v102, v125, v180, -v102
	s_waitcnt vmcnt(21) lgkmcnt(1)
	v_mul_f32_e32 v142, v133, v189
	v_add_f32_e32 v101, v101, v102
	v_mul_f32_e32 v102, v128, v181
	s_waitcnt vmcnt(20)
	v_fmac_f32_e32 v142, v134, v190
	v_fma_f32 v102, v127, v182, -v102
	v_add_f32_e32 v141, v141, v142
	s_waitcnt vmcnt(18)
	v_mul_f32_e32 v142, v135, v192
	v_add_f32_e32 v101, v101, v102
	v_mul_f32_e32 v102, v130, v183
	v_fmac_f32_e32 v142, v136, v191
	v_fma_f32 v102, v129, v184, -v102
	v_add_f32_e32 v141, v141, v142
	s_waitcnt vmcnt(16) lgkmcnt(0)
	v_mul_f32_e32 v142, v137, v194
	v_add_f32_e32 v101, v101, v102
	v_mul_f32_e32 v102, v132, v186
	v_fmac_f32_e32 v142, v138, v193
	v_fma_f32 v102, v131, v185, -v102
	v_add_f32_e32 v145, v141, v142
	ds_read_b128 v[141:144], v100 offset:736
	v_add_f32_e32 v101, v101, v102
	v_mul_f32_e32 v102, v134, v189
	v_fma_f32 v102, v133, v190, -v102
	s_waitcnt vmcnt(14)
	v_mul_f32_e32 v146, v139, v196
	v_add_f32_e32 v101, v101, v102
	v_mul_f32_e32 v102, v136, v192
	v_fmac_f32_e32 v146, v140, v195
	v_fma_f32 v102, v135, v191, -v102
	v_add_f32_e32 v149, v145, v146
	ds_read_b128 v[145:148], v100 offset:752
	v_add_f32_e32 v101, v101, v102
	v_mul_f32_e32 v102, v138, v194
	s_waitcnt vmcnt(12) lgkmcnt(1)
	v_mul_f32_e32 v150, v141, v198
	v_fma_f32 v102, v137, v193, -v102
	v_fmac_f32_e32 v150, v142, v197
	v_add_f32_e32 v101, v101, v102
	v_mul_f32_e32 v102, v140, v196
	v_add_f32_e32 v149, v149, v150
	s_waitcnt vmcnt(10)
	v_mul_f32_e32 v150, v143, v200
	v_fma_f32 v102, v139, v195, -v102
	v_fmac_f32_e32 v150, v144, v199
	v_add_f32_e32 v101, v101, v102
	v_mul_f32_e32 v102, v142, v198
	v_add_f32_e32 v149, v149, v150
	s_waitcnt vmcnt(8) lgkmcnt(0)
	v_mul_f32_e32 v150, v145, v202
	v_fma_f32 v102, v141, v197, -v102
	v_fmac_f32_e32 v150, v146, v201
	v_add_f32_e32 v101, v101, v102
	v_mul_f32_e32 v102, v144, v200
	v_add_f32_e32 v153, v149, v150
	ds_read_b128 v[149:152], v100 offset:768
	v_fma_f32 v102, v143, v199, -v102
	v_add_f32_e32 v101, v101, v102
	v_mul_f32_e32 v102, v146, v202
	s_waitcnt vmcnt(6)
	v_mul_f32_e32 v154, v147, v204
	v_fma_f32 v102, v145, v201, -v102
	v_fmac_f32_e32 v154, v148, v203
	v_add_f32_e32 v101, v101, v102
	v_mul_f32_e32 v102, v148, v204
	v_add_f32_e32 v211, v153, v154
	ds_read_b64 v[153:154], v100 offset:784
	v_fma_f32 v102, v147, v203, -v102
	v_add_f32_e32 v101, v101, v102
	s_waitcnt vmcnt(4) lgkmcnt(1)
	v_mul_f32_e32 v102, v150, v206
	v_mul_f32_e32 v212, v149, v206
	v_fma_f32 v102, v149, v205, -v102
	v_fmac_f32_e32 v212, v150, v205
	v_add_f32_e32 v101, v101, v102
	s_waitcnt vmcnt(2)
	v_mul_f32_e32 v102, v152, v208
	v_add_f32_e32 v211, v211, v212
	v_mul_f32_e32 v212, v151, v208
	v_fma_f32 v102, v151, v207, -v102
	v_fmac_f32_e32 v212, v152, v207
	v_add_f32_e32 v101, v101, v102
	s_waitcnt vmcnt(0) lgkmcnt(0)
	v_mul_f32_e32 v102, v154, v210
	v_add_f32_e32 v211, v211, v212
	v_mul_f32_e32 v212, v153, v210
	v_fma_f32 v102, v153, v209, -v102
	v_fmac_f32_e32 v212, v154, v209
	v_add_f32_e32 v101, v101, v102
	v_add_f32_e32 v211, v211, v212
	v_sub_f32_e32 v101, v187, v101
	v_sub_f32_e32 v102, v188, v211
	buffer_store_dword v101, off, s[0:3], 0 offset:168
	buffer_store_dword v102, off, s[0:3], 0 offset:172
	s_and_saveexec_b64 s[4:5], vcc
	s_cbranch_execz .LBB112_267
; %bb.266:
	buffer_load_dword v101, off, s[0:3], 0 offset:160
	buffer_load_dword v102, off, s[0:3], 0 offset:164
	s_waitcnt vmcnt(0)
	ds_write_b64 v99, v[101:102]
	buffer_store_dword v100, off, s[0:3], 0 offset:160
	buffer_store_dword v100, off, s[0:3], 0 offset:164
.LBB112_267:
	s_or_b64 exec, exec, s[4:5]
	s_waitcnt lgkmcnt(0)
	; wave barrier
	buffer_load_dword v157, off, s[0:3], 0 offset:172
	buffer_load_dword v158, off, s[0:3], 0 offset:180
	;; [unrolled: 1-line block ×34, first 2 shown]
	ds_read2_b64 v[101:104], v100 offset0:71 offset1:72
	ds_read2_b64 v[105:108], v100 offset0:73 offset1:74
	buffer_load_dword v191, off, s[0:3], 0 offset:300
	buffer_load_dword v192, off, s[0:3], 0 offset:296
	;; [unrolled: 1-line block ×6, first 2 shown]
	ds_read2_b64 v[109:112], v100 offset0:75 offset1:76
	ds_read2_b64 v[113:116], v100 offset0:77 offset1:78
	;; [unrolled: 1-line block ×4, first 2 shown]
	buffer_load_dword v197, off, s[0:3], 0 offset:324
	buffer_load_dword v198, off, s[0:3], 0 offset:320
	;; [unrolled: 1-line block ×18, first 2 shown]
	v_cmp_lt_u32_e32 vcc, 19, v0
	s_waitcnt vmcnt(57) lgkmcnt(5)
	v_mul_f32_e32 v125, v101, v157
	s_waitcnt vmcnt(56)
	v_mul_f32_e32 v126, v103, v158
	s_waitcnt vmcnt(55) lgkmcnt(4)
	v_mul_f32_e32 v127, v105, v159
	s_waitcnt vmcnt(54)
	v_mul_f32_e32 v128, v107, v160
	;; [unrolled: 4-line block ×4, first 2 shown]
	s_waitcnt vmcnt(49)
	v_fmac_f32_e32 v125, v102, v165
	s_waitcnt vmcnt(48)
	v_fmac_f32_e32 v126, v104, v166
	v_add_f32_e32 v125, 0, v125
	s_waitcnt vmcnt(47)
	v_fmac_f32_e32 v127, v106, v167
	v_add_f32_e32 v125, v125, v126
	;; [unrolled: 3-line block ×4, first 2 shown]
	v_mul_f32_e32 v102, v102, v157
	s_waitcnt vmcnt(44)
	v_fmac_f32_e32 v130, v112, v170
	v_add_f32_e32 v125, v125, v129
	v_fma_f32 v101, v101, v165, -v102
	v_mul_f32_e32 v102, v104, v158
	s_waitcnt vmcnt(43)
	v_fmac_f32_e32 v131, v114, v171
	v_add_f32_e32 v125, v125, v130
	v_add_f32_e32 v101, 0, v101
	v_fma_f32 v102, v103, v166, -v102
	s_waitcnt vmcnt(42)
	v_fmac_f32_e32 v132, v116, v172
	v_add_f32_e32 v125, v125, v131
	s_waitcnt vmcnt(41) lgkmcnt(1)
	v_mul_f32_e32 v126, v117, v173
	v_add_f32_e32 v101, v101, v102
	v_mul_f32_e32 v102, v106, v159
	v_add_f32_e32 v125, v125, v132
	s_waitcnt vmcnt(40)
	v_fmac_f32_e32 v126, v118, v174
	v_fma_f32 v102, v105, v167, -v102
	v_add_f32_e32 v125, v125, v126
	s_waitcnt vmcnt(39)
	v_mul_f32_e32 v126, v119, v175
	v_add_f32_e32 v101, v101, v102
	v_mul_f32_e32 v102, v108, v160
	s_waitcnt vmcnt(38)
	v_fmac_f32_e32 v126, v120, v176
	v_fma_f32 v102, v107, v168, -v102
	v_add_f32_e32 v125, v125, v126
	s_waitcnt vmcnt(37) lgkmcnt(0)
	v_mul_f32_e32 v126, v121, v177
	v_add_f32_e32 v101, v101, v102
	v_mul_f32_e32 v102, v110, v161
	s_waitcnt vmcnt(36)
	v_fmac_f32_e32 v126, v122, v178
	v_fma_f32 v102, v109, v169, -v102
	v_add_f32_e32 v129, v125, v126
	ds_read2_b64 v[125:128], v100 offset0:83 offset1:84
	v_add_f32_e32 v101, v101, v102
	v_mul_f32_e32 v102, v112, v162
	v_fma_f32 v102, v111, v170, -v102
	s_waitcnt vmcnt(35)
	v_mul_f32_e32 v130, v123, v179
	v_add_f32_e32 v101, v101, v102
	v_mul_f32_e32 v102, v114, v163
	s_waitcnt vmcnt(34)
	v_fmac_f32_e32 v130, v124, v180
	v_fma_f32 v102, v113, v171, -v102
	v_add_f32_e32 v133, v129, v130
	ds_read2_b64 v[129:132], v100 offset0:85 offset1:86
	v_add_f32_e32 v101, v101, v102
	v_mul_f32_e32 v102, v116, v164
	s_waitcnt vmcnt(33) lgkmcnt(1)
	v_mul_f32_e32 v134, v125, v181
	v_fma_f32 v102, v115, v172, -v102
	s_waitcnt vmcnt(32)
	v_fmac_f32_e32 v134, v126, v182
	v_add_f32_e32 v101, v101, v102
	v_mul_f32_e32 v102, v118, v173
	v_add_f32_e32 v133, v133, v134
	s_waitcnt vmcnt(31)
	v_mul_f32_e32 v134, v127, v183
	v_fma_f32 v102, v117, v174, -v102
	s_waitcnt vmcnt(30)
	v_fmac_f32_e32 v134, v128, v184
	v_add_f32_e32 v101, v101, v102
	v_mul_f32_e32 v102, v120, v175
	v_add_f32_e32 v133, v133, v134
	s_waitcnt vmcnt(29) lgkmcnt(0)
	v_mul_f32_e32 v134, v129, v185
	v_fma_f32 v102, v119, v176, -v102
	s_waitcnt vmcnt(28)
	v_fmac_f32_e32 v134, v130, v186
	v_add_f32_e32 v101, v101, v102
	v_mul_f32_e32 v102, v122, v177
	v_add_f32_e32 v137, v133, v134
	ds_read2_b64 v[133:136], v100 offset0:87 offset1:88
	v_fma_f32 v102, v121, v178, -v102
	v_add_f32_e32 v101, v101, v102
	v_mul_f32_e32 v102, v124, v179
	s_waitcnt vmcnt(25)
	v_mul_f32_e32 v138, v131, v189
	v_fma_f32 v102, v123, v180, -v102
	s_waitcnt vmcnt(24)
	v_fmac_f32_e32 v138, v132, v190
	v_add_f32_e32 v101, v101, v102
	v_mul_f32_e32 v102, v126, v181
	v_add_f32_e32 v141, v137, v138
	ds_read2_b64 v[137:140], v100 offset0:89 offset1:90
	v_fma_f32 v102, v125, v182, -v102
	s_waitcnt vmcnt(23) lgkmcnt(1)
	v_mul_f32_e32 v142, v133, v191
	v_add_f32_e32 v101, v101, v102
	v_mul_f32_e32 v102, v128, v183
	s_waitcnt vmcnt(22)
	v_fmac_f32_e32 v142, v134, v192
	v_fma_f32 v102, v127, v184, -v102
	v_add_f32_e32 v141, v141, v142
	s_waitcnt vmcnt(20)
	v_mul_f32_e32 v142, v135, v194
	v_add_f32_e32 v101, v101, v102
	v_mul_f32_e32 v102, v130, v185
	v_fmac_f32_e32 v142, v136, v193
	v_fma_f32 v102, v129, v186, -v102
	v_add_f32_e32 v141, v141, v142
	s_waitcnt vmcnt(18) lgkmcnt(0)
	v_mul_f32_e32 v142, v137, v196
	v_add_f32_e32 v101, v101, v102
	v_mul_f32_e32 v102, v132, v189
	v_fmac_f32_e32 v142, v138, v195
	v_fma_f32 v102, v131, v190, -v102
	v_add_f32_e32 v145, v141, v142
	ds_read2_b64 v[141:144], v100 offset0:91 offset1:92
	v_add_f32_e32 v101, v101, v102
	v_mul_f32_e32 v102, v134, v191
	v_fma_f32 v102, v133, v192, -v102
	s_waitcnt vmcnt(17)
	v_mul_f32_e32 v146, v139, v197
	v_add_f32_e32 v101, v101, v102
	v_mul_f32_e32 v102, v136, v194
	s_waitcnt vmcnt(16)
	v_fmac_f32_e32 v146, v140, v198
	v_fma_f32 v102, v135, v193, -v102
	v_add_f32_e32 v149, v145, v146
	ds_read2_b64 v[145:148], v100 offset0:93 offset1:94
	v_add_f32_e32 v101, v101, v102
	v_mul_f32_e32 v102, v138, v196
	s_waitcnt vmcnt(14) lgkmcnt(1)
	v_mul_f32_e32 v150, v141, v200
	v_fma_f32 v102, v137, v195, -v102
	v_fmac_f32_e32 v150, v142, v199
	v_add_f32_e32 v101, v101, v102
	v_mul_f32_e32 v102, v140, v197
	v_add_f32_e32 v149, v149, v150
	s_waitcnt vmcnt(12)
	v_mul_f32_e32 v150, v143, v202
	v_fma_f32 v102, v139, v198, -v102
	v_fmac_f32_e32 v150, v144, v201
	v_add_f32_e32 v101, v101, v102
	v_mul_f32_e32 v102, v142, v200
	v_add_f32_e32 v149, v149, v150
	s_waitcnt vmcnt(10) lgkmcnt(0)
	v_mul_f32_e32 v150, v145, v204
	v_fma_f32 v102, v141, v199, -v102
	v_fmac_f32_e32 v150, v146, v203
	v_add_f32_e32 v101, v101, v102
	v_mul_f32_e32 v102, v144, v202
	v_add_f32_e32 v153, v149, v150
	ds_read2_b64 v[149:152], v100 offset0:95 offset1:96
	v_fma_f32 v102, v143, v201, -v102
	v_add_f32_e32 v101, v101, v102
	v_mul_f32_e32 v102, v146, v204
	s_waitcnt vmcnt(8)
	v_mul_f32_e32 v154, v147, v206
	v_fma_f32 v102, v145, v203, -v102
	v_fmac_f32_e32 v154, v148, v205
	v_add_f32_e32 v101, v101, v102
	v_mul_f32_e32 v102, v148, v206
	v_add_f32_e32 v215, v153, v154
	ds_read2_b64 v[153:156], v100 offset0:97 offset1:98
	v_fma_f32 v102, v147, v205, -v102
	v_add_f32_e32 v101, v101, v102
	s_waitcnt vmcnt(6) lgkmcnt(1)
	v_mul_f32_e32 v102, v150, v208
	v_mul_f32_e32 v100, v149, v208
	v_fma_f32 v102, v149, v207, -v102
	v_fmac_f32_e32 v100, v150, v207
	v_add_f32_e32 v101, v101, v102
	s_waitcnt vmcnt(4)
	v_mul_f32_e32 v102, v152, v210
	v_add_f32_e32 v100, v215, v100
	v_mul_f32_e32 v215, v151, v210
	v_fma_f32 v102, v151, v209, -v102
	v_fmac_f32_e32 v215, v152, v209
	v_add_f32_e32 v101, v101, v102
	s_waitcnt vmcnt(2) lgkmcnt(0)
	v_mul_f32_e32 v102, v154, v212
	v_add_f32_e32 v100, v100, v215
	v_mul_f32_e32 v215, v153, v212
	v_fma_f32 v102, v153, v211, -v102
	v_fmac_f32_e32 v215, v154, v211
	v_add_f32_e32 v101, v101, v102
	s_waitcnt vmcnt(0)
	v_mul_f32_e32 v102, v156, v214
	v_add_f32_e32 v100, v100, v215
	v_mul_f32_e32 v215, v155, v214
	v_fma_f32 v102, v155, v213, -v102
	v_fmac_f32_e32 v215, v156, v213
	v_add_f32_e32 v101, v101, v102
	v_add_f32_e32 v100, v100, v215
	v_sub_f32_e32 v101, v187, v101
	v_sub_f32_e32 v100, v188, v100
	buffer_store_dword v101, off, s[0:3], 0 offset:160
	buffer_store_dword v100, off, s[0:3], 0 offset:164
	s_and_saveexec_b64 s[4:5], vcc
	s_cbranch_execz .LBB112_269
; %bb.268:
	buffer_load_dword v100, off, s[0:3], 0 offset:152
	buffer_load_dword v101, off, s[0:3], 0 offset:156
	v_mov_b32_e32 v102, 0
	buffer_store_dword v102, off, s[0:3], 0 offset:152
	buffer_store_dword v102, off, s[0:3], 0 offset:156
	s_waitcnt vmcnt(2)
	ds_write_b64 v99, v[100:101]
.LBB112_269:
	s_or_b64 exec, exec, s[4:5]
	s_waitcnt lgkmcnt(0)
	; wave barrier
	buffer_load_dword v159, off, s[0:3], 0 offset:164
	buffer_load_dword v160, off, s[0:3], 0 offset:172
	;; [unrolled: 1-line block ×60, first 2 shown]
	v_mov_b32_e32 v100, 0
	ds_read_b128 v[101:104], v100 offset:560
	ds_read_b128 v[105:108], v100 offset:576
	;; [unrolled: 1-line block ×5, first 2 shown]
	v_cmp_lt_u32_e32 vcc, 18, v0
	s_waitcnt vmcnt(59) lgkmcnt(4)
	v_mul_f32_e32 v121, v101, v159
	s_waitcnt vmcnt(58)
	v_mul_f32_e32 v122, v103, v160
	s_waitcnt vmcnt(57) lgkmcnt(3)
	v_mul_f32_e32 v123, v105, v161
	s_waitcnt vmcnt(56)
	v_mul_f32_e32 v124, v107, v162
	;; [unrolled: 4-line block ×3, first 2 shown]
	s_waitcnt vmcnt(53) lgkmcnt(1)
	v_mul_f32_e32 v127, v113, v165
	s_waitcnt vmcnt(52)
	v_fmac_f32_e32 v121, v102, v166
	s_waitcnt vmcnt(51)
	v_fmac_f32_e32 v122, v104, v167
	v_add_f32_e32 v121, 0, v121
	s_waitcnt vmcnt(50)
	v_fmac_f32_e32 v123, v106, v168
	v_add_f32_e32 v121, v121, v122
	;; [unrolled: 3-line block ×6, first 2 shown]
	s_waitcnt vmcnt(45)
	v_mul_f32_e32 v122, v115, v173
	v_add_f32_e32 v121, v121, v127
	s_waitcnt vmcnt(44)
	v_fmac_f32_e32 v122, v116, v174
	v_mul_f32_e32 v102, v102, v159
	v_add_f32_e32 v125, v121, v122
	ds_read_b128 v[121:124], v100 offset:640
	v_fma_f32 v101, v101, v166, -v102
	v_mul_f32_e32 v102, v104, v160
	s_waitcnt vmcnt(43) lgkmcnt(1)
	v_mul_f32_e32 v126, v117, v175
	v_add_f32_e32 v101, 0, v101
	v_fma_f32 v102, v103, v167, -v102
	s_waitcnt vmcnt(42)
	v_fmac_f32_e32 v126, v118, v176
	v_add_f32_e32 v101, v101, v102
	v_mul_f32_e32 v102, v106, v161
	v_add_f32_e32 v125, v125, v126
	s_waitcnt vmcnt(41)
	v_mul_f32_e32 v126, v119, v177
	v_fma_f32 v102, v105, v168, -v102
	s_waitcnt vmcnt(40)
	v_fmac_f32_e32 v126, v120, v178
	v_add_f32_e32 v101, v101, v102
	v_mul_f32_e32 v102, v108, v162
	v_add_f32_e32 v125, v125, v126
	s_waitcnt vmcnt(39) lgkmcnt(0)
	v_mul_f32_e32 v126, v121, v179
	v_fma_f32 v102, v107, v169, -v102
	s_waitcnt vmcnt(38)
	v_fmac_f32_e32 v126, v122, v180
	v_add_f32_e32 v101, v101, v102
	v_mul_f32_e32 v102, v110, v163
	v_add_f32_e32 v129, v125, v126
	ds_read_b128 v[125:128], v100 offset:656
	v_fma_f32 v102, v109, v170, -v102
	v_add_f32_e32 v101, v101, v102
	v_mul_f32_e32 v102, v112, v164
	s_waitcnt vmcnt(37)
	v_mul_f32_e32 v130, v123, v181
	v_fma_f32 v102, v111, v171, -v102
	s_waitcnt vmcnt(36)
	v_fmac_f32_e32 v130, v124, v182
	v_add_f32_e32 v101, v101, v102
	v_mul_f32_e32 v102, v114, v165
	v_add_f32_e32 v133, v129, v130
	ds_read_b128 v[129:132], v100 offset:672
	v_fma_f32 v102, v113, v172, -v102
	s_waitcnt vmcnt(34) lgkmcnt(1)
	v_mul_f32_e32 v134, v125, v184
	v_add_f32_e32 v101, v101, v102
	v_mul_f32_e32 v102, v116, v173
	v_fmac_f32_e32 v134, v126, v183
	v_fma_f32 v102, v115, v174, -v102
	v_add_f32_e32 v133, v133, v134
	s_waitcnt vmcnt(31)
	v_mul_f32_e32 v134, v127, v187
	v_add_f32_e32 v101, v101, v102
	v_mul_f32_e32 v102, v118, v175
	s_waitcnt vmcnt(30)
	v_fmac_f32_e32 v134, v128, v188
	v_fma_f32 v102, v117, v176, -v102
	v_add_f32_e32 v133, v133, v134
	s_waitcnt vmcnt(28) lgkmcnt(0)
	v_mul_f32_e32 v134, v129, v190
	v_add_f32_e32 v101, v101, v102
	v_mul_f32_e32 v102, v120, v177
	v_fmac_f32_e32 v134, v130, v189
	v_fma_f32 v102, v119, v178, -v102
	v_add_f32_e32 v137, v133, v134
	ds_read_b128 v[133:136], v100 offset:688
	v_add_f32_e32 v101, v101, v102
	v_mul_f32_e32 v102, v122, v179
	v_fma_f32 v102, v121, v180, -v102
	s_waitcnt vmcnt(26)
	v_mul_f32_e32 v138, v131, v192
	v_add_f32_e32 v101, v101, v102
	v_mul_f32_e32 v102, v124, v181
	v_fmac_f32_e32 v138, v132, v191
	v_fma_f32 v102, v123, v182, -v102
	v_add_f32_e32 v141, v137, v138
	ds_read_b128 v[137:140], v100 offset:704
	v_add_f32_e32 v101, v101, v102
	v_mul_f32_e32 v102, v126, v184
	s_waitcnt vmcnt(24) lgkmcnt(1)
	v_mul_f32_e32 v142, v133, v194
	v_fma_f32 v102, v125, v183, -v102
	v_fmac_f32_e32 v142, v134, v193
	v_add_f32_e32 v101, v101, v102
	v_mul_f32_e32 v102, v128, v187
	v_add_f32_e32 v141, v141, v142
	s_waitcnt vmcnt(22)
	v_mul_f32_e32 v142, v135, v196
	v_fma_f32 v102, v127, v188, -v102
	v_fmac_f32_e32 v142, v136, v195
	v_add_f32_e32 v101, v101, v102
	v_mul_f32_e32 v102, v130, v190
	v_add_f32_e32 v141, v141, v142
	s_waitcnt vmcnt(20) lgkmcnt(0)
	v_mul_f32_e32 v142, v137, v198
	v_fma_f32 v102, v129, v189, -v102
	v_fmac_f32_e32 v142, v138, v197
	v_add_f32_e32 v101, v101, v102
	v_mul_f32_e32 v102, v132, v192
	v_add_f32_e32 v145, v141, v142
	ds_read_b128 v[141:144], v100 offset:720
	v_fma_f32 v102, v131, v191, -v102
	v_add_f32_e32 v101, v101, v102
	v_mul_f32_e32 v102, v134, v194
	s_waitcnt vmcnt(18)
	v_mul_f32_e32 v146, v139, v200
	v_fma_f32 v102, v133, v193, -v102
	v_fmac_f32_e32 v146, v140, v199
	v_add_f32_e32 v101, v101, v102
	v_mul_f32_e32 v102, v136, v196
	v_add_f32_e32 v149, v145, v146
	ds_read_b128 v[145:148], v100 offset:736
	v_fma_f32 v102, v135, v195, -v102
	s_waitcnt vmcnt(16) lgkmcnt(1)
	v_mul_f32_e32 v150, v141, v202
	v_add_f32_e32 v101, v101, v102
	v_mul_f32_e32 v102, v138, v198
	v_fmac_f32_e32 v150, v142, v201
	v_fma_f32 v102, v137, v197, -v102
	v_add_f32_e32 v149, v149, v150
	s_waitcnt vmcnt(14)
	v_mul_f32_e32 v150, v143, v204
	v_add_f32_e32 v101, v101, v102
	v_mul_f32_e32 v102, v140, v200
	v_fmac_f32_e32 v150, v144, v203
	v_fma_f32 v102, v139, v199, -v102
	v_add_f32_e32 v149, v149, v150
	s_waitcnt vmcnt(12) lgkmcnt(0)
	v_mul_f32_e32 v150, v145, v206
	v_add_f32_e32 v101, v101, v102
	v_mul_f32_e32 v102, v142, v202
	v_fmac_f32_e32 v150, v146, v205
	v_fma_f32 v102, v141, v201, -v102
	v_add_f32_e32 v153, v149, v150
	ds_read_b128 v[149:152], v100 offset:752
	v_add_f32_e32 v101, v101, v102
	v_mul_f32_e32 v102, v144, v204
	v_fma_f32 v102, v143, v203, -v102
	v_add_f32_e32 v101, v101, v102
	v_mul_f32_e32 v102, v146, v206
	s_waitcnt vmcnt(10)
	v_mul_f32_e32 v154, v147, v208
	v_fma_f32 v102, v145, v205, -v102
	v_fmac_f32_e32 v154, v148, v207
	v_add_f32_e32 v101, v101, v102
	v_mul_f32_e32 v102, v148, v208
	v_add_f32_e32 v157, v153, v154
	ds_read_b128 v[153:156], v100 offset:768
	s_waitcnt vmcnt(8) lgkmcnt(1)
	v_mul_f32_e32 v158, v149, v210
	v_fma_f32 v102, v147, v207, -v102
	v_fmac_f32_e32 v158, v150, v209
	v_add_f32_e32 v101, v101, v102
	v_mul_f32_e32 v102, v150, v210
	v_add_f32_e32 v157, v157, v158
	s_waitcnt vmcnt(6)
	v_mul_f32_e32 v158, v151, v212
	v_fma_f32 v102, v149, v209, -v102
	v_fmac_f32_e32 v158, v152, v211
	v_add_f32_e32 v101, v101, v102
	v_mul_f32_e32 v102, v152, v212
	v_add_f32_e32 v219, v157, v158
	ds_read_b64 v[157:158], v100 offset:784
	v_fma_f32 v102, v151, v211, -v102
	v_add_f32_e32 v101, v101, v102
	s_waitcnt vmcnt(4) lgkmcnt(1)
	v_mul_f32_e32 v102, v154, v214
	v_mul_f32_e32 v220, v153, v214
	v_fma_f32 v102, v153, v213, -v102
	v_fmac_f32_e32 v220, v154, v213
	v_add_f32_e32 v101, v101, v102
	s_waitcnt vmcnt(2)
	v_mul_f32_e32 v102, v156, v216
	v_add_f32_e32 v219, v219, v220
	v_mul_f32_e32 v220, v155, v216
	v_fma_f32 v102, v155, v215, -v102
	v_fmac_f32_e32 v220, v156, v215
	v_add_f32_e32 v101, v101, v102
	s_waitcnt vmcnt(0) lgkmcnt(0)
	v_mul_f32_e32 v102, v158, v218
	v_add_f32_e32 v219, v219, v220
	v_mul_f32_e32 v220, v157, v218
	v_fma_f32 v102, v157, v217, -v102
	v_fmac_f32_e32 v220, v158, v217
	v_add_f32_e32 v101, v101, v102
	v_add_f32_e32 v219, v219, v220
	v_sub_f32_e32 v101, v185, v101
	v_sub_f32_e32 v102, v186, v219
	buffer_store_dword v101, off, s[0:3], 0 offset:152
	buffer_store_dword v102, off, s[0:3], 0 offset:156
	s_and_saveexec_b64 s[4:5], vcc
	s_cbranch_execz .LBB112_271
; %bb.270:
	buffer_load_dword v101, off, s[0:3], 0 offset:144
	buffer_load_dword v102, off, s[0:3], 0 offset:148
	s_waitcnt vmcnt(0)
	ds_write_b64 v99, v[101:102]
	buffer_store_dword v100, off, s[0:3], 0 offset:144
	buffer_store_dword v100, off, s[0:3], 0 offset:148
.LBB112_271:
	s_or_b64 exec, exec, s[4:5]
	s_waitcnt lgkmcnt(0)
	; wave barrier
	buffer_load_dword v161, off, s[0:3], 0 offset:156
	buffer_load_dword v162, off, s[0:3], 0 offset:164
	;; [unrolled: 1-line block ×32, first 2 shown]
	ds_read2_b64 v[101:104], v100 offset0:69 offset1:70
	ds_read2_b64 v[105:108], v100 offset0:71 offset1:72
	;; [unrolled: 1-line block ×4, first 2 shown]
	buffer_load_dword v193, off, s[0:3], 0 offset:276
	buffer_load_dword v194, off, s[0:3], 0 offset:272
	;; [unrolled: 1-line block ×30, first 2 shown]
	v_cmp_lt_u32_e32 vcc, 17, v0
	s_waitcnt vmcnt(61) lgkmcnt(3)
	v_mul_f32_e32 v117, v101, v161
	s_waitcnt vmcnt(60)
	v_mul_f32_e32 v118, v103, v162
	s_waitcnt vmcnt(59) lgkmcnt(2)
	v_mul_f32_e32 v119, v105, v163
	s_waitcnt vmcnt(58)
	v_mul_f32_e32 v120, v107, v164
	s_waitcnt vmcnt(57) lgkmcnt(1)
	v_mul_f32_e32 v121, v109, v165
	s_waitcnt vmcnt(56)
	v_mul_f32_e32 v122, v111, v166
	s_waitcnt vmcnt(55) lgkmcnt(0)
	v_mul_f32_e32 v123, v113, v167
	s_waitcnt vmcnt(54)
	v_fmac_f32_e32 v117, v102, v168
	s_waitcnt vmcnt(53)
	v_fmac_f32_e32 v118, v104, v169
	v_add_f32_e32 v117, 0, v117
	s_waitcnt vmcnt(52)
	v_fmac_f32_e32 v119, v106, v170
	v_add_f32_e32 v117, v117, v118
	;; [unrolled: 3-line block ×6, first 2 shown]
	v_add_f32_e32 v121, v117, v123
	ds_read2_b64 v[117:120], v100 offset0:77 offset1:78
	s_waitcnt vmcnt(47)
	v_mul_f32_e32 v122, v115, v175
	s_waitcnt vmcnt(46)
	v_fmac_f32_e32 v122, v116, v176
	v_mul_f32_e32 v102, v102, v161
	v_add_f32_e32 v125, v121, v122
	ds_read2_b64 v[121:124], v100 offset0:79 offset1:80
	v_fma_f32 v101, v101, v168, -v102
	v_mul_f32_e32 v102, v104, v162
	s_waitcnt vmcnt(45) lgkmcnt(1)
	v_mul_f32_e32 v126, v117, v177
	v_add_f32_e32 v101, 0, v101
	v_fma_f32 v102, v103, v169, -v102
	s_waitcnt vmcnt(44)
	v_fmac_f32_e32 v126, v118, v178
	v_add_f32_e32 v101, v101, v102
	v_mul_f32_e32 v102, v106, v163
	v_add_f32_e32 v125, v125, v126
	s_waitcnt vmcnt(43)
	v_mul_f32_e32 v126, v119, v179
	v_fma_f32 v102, v105, v170, -v102
	s_waitcnt vmcnt(42)
	v_fmac_f32_e32 v126, v120, v180
	v_add_f32_e32 v101, v101, v102
	v_mul_f32_e32 v102, v108, v164
	v_add_f32_e32 v125, v125, v126
	s_waitcnt vmcnt(41) lgkmcnt(0)
	v_mul_f32_e32 v126, v121, v181
	v_fma_f32 v102, v107, v171, -v102
	s_waitcnt vmcnt(40)
	v_fmac_f32_e32 v126, v122, v182
	v_add_f32_e32 v101, v101, v102
	v_mul_f32_e32 v102, v110, v165
	v_add_f32_e32 v129, v125, v126
	ds_read2_b64 v[125:128], v100 offset0:81 offset1:82
	v_fma_f32 v102, v109, v172, -v102
	v_add_f32_e32 v101, v101, v102
	v_mul_f32_e32 v102, v112, v166
	s_waitcnt vmcnt(39)
	v_mul_f32_e32 v130, v123, v183
	v_fma_f32 v102, v111, v173, -v102
	s_waitcnt vmcnt(38)
	v_fmac_f32_e32 v130, v124, v184
	v_add_f32_e32 v101, v101, v102
	v_mul_f32_e32 v102, v114, v167
	v_add_f32_e32 v133, v129, v130
	ds_read2_b64 v[129:132], v100 offset0:83 offset1:84
	v_fma_f32 v102, v113, v174, -v102
	s_waitcnt vmcnt(35) lgkmcnt(1)
	v_mul_f32_e32 v134, v125, v187
	v_add_f32_e32 v101, v101, v102
	v_mul_f32_e32 v102, v116, v175
	s_waitcnt vmcnt(34)
	v_fmac_f32_e32 v134, v126, v188
	v_fma_f32 v102, v115, v176, -v102
	v_add_f32_e32 v133, v133, v134
	s_waitcnt vmcnt(32)
	v_mul_f32_e32 v134, v127, v190
	v_add_f32_e32 v101, v101, v102
	v_mul_f32_e32 v102, v118, v177
	v_fmac_f32_e32 v134, v128, v189
	v_fma_f32 v102, v117, v178, -v102
	v_add_f32_e32 v133, v133, v134
	s_waitcnt vmcnt(30) lgkmcnt(0)
	v_mul_f32_e32 v134, v129, v192
	v_add_f32_e32 v101, v101, v102
	v_mul_f32_e32 v102, v120, v179
	v_fmac_f32_e32 v134, v130, v191
	v_fma_f32 v102, v119, v180, -v102
	v_add_f32_e32 v137, v133, v134
	ds_read2_b64 v[133:136], v100 offset0:85 offset1:86
	v_add_f32_e32 v101, v101, v102
	v_mul_f32_e32 v102, v122, v181
	v_fma_f32 v102, v121, v182, -v102
	s_waitcnt vmcnt(29)
	v_mul_f32_e32 v138, v131, v193
	v_add_f32_e32 v101, v101, v102
	v_mul_f32_e32 v102, v124, v183
	s_waitcnt vmcnt(28)
	v_fmac_f32_e32 v138, v132, v194
	v_fma_f32 v102, v123, v184, -v102
	v_add_f32_e32 v141, v137, v138
	ds_read2_b64 v[137:140], v100 offset0:87 offset1:88
	v_add_f32_e32 v101, v101, v102
	v_mul_f32_e32 v102, v126, v187
	s_waitcnt vmcnt(26) lgkmcnt(1)
	v_mul_f32_e32 v142, v133, v196
	v_fma_f32 v102, v125, v188, -v102
	v_fmac_f32_e32 v142, v134, v195
	v_add_f32_e32 v101, v101, v102
	v_mul_f32_e32 v102, v128, v190
	v_add_f32_e32 v141, v141, v142
	s_waitcnt vmcnt(24)
	v_mul_f32_e32 v142, v135, v198
	v_fma_f32 v102, v127, v189, -v102
	v_fmac_f32_e32 v142, v136, v197
	v_add_f32_e32 v101, v101, v102
	v_mul_f32_e32 v102, v130, v192
	v_add_f32_e32 v141, v141, v142
	s_waitcnt vmcnt(22) lgkmcnt(0)
	v_mul_f32_e32 v142, v137, v200
	v_fma_f32 v102, v129, v191, -v102
	v_fmac_f32_e32 v142, v138, v199
	v_add_f32_e32 v101, v101, v102
	v_mul_f32_e32 v102, v132, v193
	v_add_f32_e32 v145, v141, v142
	ds_read2_b64 v[141:144], v100 offset0:89 offset1:90
	v_fma_f32 v102, v131, v194, -v102
	v_add_f32_e32 v101, v101, v102
	v_mul_f32_e32 v102, v134, v196
	s_waitcnt vmcnt(20)
	v_mul_f32_e32 v146, v139, v202
	v_fma_f32 v102, v133, v195, -v102
	v_fmac_f32_e32 v146, v140, v201
	v_add_f32_e32 v101, v101, v102
	v_mul_f32_e32 v102, v136, v198
	v_add_f32_e32 v149, v145, v146
	ds_read2_b64 v[145:148], v100 offset0:91 offset1:92
	v_fma_f32 v102, v135, v197, -v102
	s_waitcnt vmcnt(18) lgkmcnt(1)
	v_mul_f32_e32 v150, v141, v204
	v_add_f32_e32 v101, v101, v102
	v_mul_f32_e32 v102, v138, v200
	v_fmac_f32_e32 v150, v142, v203
	v_fma_f32 v102, v137, v199, -v102
	v_add_f32_e32 v149, v149, v150
	s_waitcnt vmcnt(16)
	v_mul_f32_e32 v150, v143, v206
	v_add_f32_e32 v101, v101, v102
	v_mul_f32_e32 v102, v140, v202
	v_fmac_f32_e32 v150, v144, v205
	v_fma_f32 v102, v139, v201, -v102
	v_add_f32_e32 v149, v149, v150
	s_waitcnt vmcnt(14) lgkmcnt(0)
	v_mul_f32_e32 v150, v145, v208
	v_add_f32_e32 v101, v101, v102
	v_mul_f32_e32 v102, v142, v204
	v_fmac_f32_e32 v150, v146, v207
	v_fma_f32 v102, v141, v203, -v102
	v_add_f32_e32 v153, v149, v150
	ds_read2_b64 v[149:152], v100 offset0:93 offset1:94
	v_add_f32_e32 v101, v101, v102
	v_mul_f32_e32 v102, v144, v206
	v_fma_f32 v102, v143, v205, -v102
	v_add_f32_e32 v101, v101, v102
	v_mul_f32_e32 v102, v146, v208
	s_waitcnt vmcnt(12)
	v_mul_f32_e32 v154, v147, v210
	v_fma_f32 v102, v145, v207, -v102
	v_fmac_f32_e32 v154, v148, v209
	v_add_f32_e32 v101, v101, v102
	v_mul_f32_e32 v102, v148, v210
	v_add_f32_e32 v157, v153, v154
	ds_read2_b64 v[153:156], v100 offset0:95 offset1:96
	s_waitcnt vmcnt(10) lgkmcnt(1)
	v_mul_f32_e32 v158, v149, v212
	v_fma_f32 v102, v147, v209, -v102
	v_fmac_f32_e32 v158, v150, v211
	v_add_f32_e32 v101, v101, v102
	v_mul_f32_e32 v102, v150, v212
	v_add_f32_e32 v157, v157, v158
	s_waitcnt vmcnt(8)
	v_mul_f32_e32 v158, v151, v214
	v_fma_f32 v102, v149, v211, -v102
	v_fmac_f32_e32 v158, v152, v213
	v_add_f32_e32 v101, v101, v102
	v_mul_f32_e32 v102, v152, v214
	v_add_f32_e32 v223, v157, v158
	ds_read2_b64 v[157:160], v100 offset0:97 offset1:98
	v_fma_f32 v102, v151, v213, -v102
	v_add_f32_e32 v101, v101, v102
	s_waitcnt vmcnt(6) lgkmcnt(1)
	v_mul_f32_e32 v102, v154, v216
	v_mul_f32_e32 v224, v153, v216
	v_fma_f32 v102, v153, v215, -v102
	v_fmac_f32_e32 v224, v154, v215
	v_add_f32_e32 v101, v101, v102
	s_waitcnt vmcnt(4)
	v_mul_f32_e32 v102, v156, v218
	v_add_f32_e32 v100, v223, v224
	v_mul_f32_e32 v223, v155, v218
	v_fma_f32 v102, v155, v217, -v102
	v_fmac_f32_e32 v223, v156, v217
	v_add_f32_e32 v101, v101, v102
	s_waitcnt vmcnt(2) lgkmcnt(0)
	v_mul_f32_e32 v102, v158, v220
	v_add_f32_e32 v100, v100, v223
	v_mul_f32_e32 v223, v157, v220
	v_fma_f32 v102, v157, v219, -v102
	v_fmac_f32_e32 v223, v158, v219
	v_add_f32_e32 v101, v101, v102
	s_waitcnt vmcnt(0)
	v_mul_f32_e32 v102, v160, v222
	v_add_f32_e32 v100, v100, v223
	v_mul_f32_e32 v223, v159, v222
	v_fma_f32 v102, v159, v221, -v102
	v_fmac_f32_e32 v223, v160, v221
	v_add_f32_e32 v101, v101, v102
	v_add_f32_e32 v100, v100, v223
	v_sub_f32_e32 v101, v185, v101
	v_sub_f32_e32 v100, v186, v100
	buffer_store_dword v101, off, s[0:3], 0 offset:144
	buffer_store_dword v100, off, s[0:3], 0 offset:148
	s_and_saveexec_b64 s[4:5], vcc
	s_cbranch_execz .LBB112_273
; %bb.272:
	buffer_load_dword v100, off, s[0:3], 0 offset:136
	buffer_load_dword v101, off, s[0:3], 0 offset:140
	v_mov_b32_e32 v102, 0
	buffer_store_dword v102, off, s[0:3], 0 offset:136
	buffer_store_dword v102, off, s[0:3], 0 offset:140
	s_waitcnt vmcnt(2)
	ds_write_b64 v99, v[100:101]
.LBB112_273:
	s_or_b64 exec, exec, s[4:5]
	s_waitcnt lgkmcnt(0)
	; wave barrier
	buffer_load_dword v163, off, s[0:3], 0 offset:148
	buffer_load_dword v164, off, s[0:3], 0 offset:156
	;; [unrolled: 1-line block ×56, first 2 shown]
	v_mov_b32_e32 v100, 0
	ds_read_b128 v[101:104], v100 offset:544
	buffer_load_dword v219, off, s[0:3], 0 offset:360
	buffer_load_dword v220, off, s[0:3], 0 offset:364
	;; [unrolled: 1-line block ×4, first 2 shown]
	ds_read_b128 v[105:108], v100 offset:560
	ds_read_b128 v[109:112], v100 offset:576
	;; [unrolled: 1-line block ×3, first 2 shown]
	v_cmp_lt_u32_e32 vcc, 16, v0
	s_waitcnt vmcnt(59) lgkmcnt(3)
	v_mul_f32_e32 v117, v101, v163
	s_waitcnt vmcnt(58)
	v_mul_f32_e32 v118, v103, v164
	s_waitcnt vmcnt(57) lgkmcnt(2)
	v_mul_f32_e32 v119, v105, v165
	s_waitcnt vmcnt(56)
	v_mul_f32_e32 v120, v107, v166
	;; [unrolled: 4-line block ×4, first 2 shown]
	s_waitcnt vmcnt(51)
	v_fmac_f32_e32 v117, v102, v171
	s_waitcnt vmcnt(50)
	v_fmac_f32_e32 v118, v104, v172
	v_add_f32_e32 v117, 0, v117
	s_waitcnt vmcnt(49)
	v_fmac_f32_e32 v119, v106, v173
	v_add_f32_e32 v117, v117, v118
	;; [unrolled: 3-line block ×6, first 2 shown]
	v_add_f32_e32 v121, v117, v123
	ds_read_b128 v[117:120], v100 offset:608
	buffer_load_dword v223, off, s[0:3], 0 offset:380
	buffer_load_dword v224, off, s[0:3], 0 offset:376
	;; [unrolled: 1-line block ×4, first 2 shown]
	s_waitcnt vmcnt(48)
	v_fmac_f32_e32 v124, v116, v178
	v_add_f32_e32 v125, v121, v124
	ds_read_b128 v[121:124], v100 offset:624
	s_waitcnt vmcnt(47) lgkmcnt(1)
	v_mul_f32_e32 v126, v117, v179
	v_mul_f32_e32 v102, v102, v163
	s_waitcnt vmcnt(46)
	v_fmac_f32_e32 v126, v118, v180
	v_fma_f32 v101, v101, v171, -v102
	v_mul_f32_e32 v102, v104, v164
	v_add_f32_e32 v125, v125, v126
	s_waitcnt vmcnt(45)
	v_mul_f32_e32 v126, v119, v181
	v_add_f32_e32 v101, 0, v101
	v_fma_f32 v102, v103, v172, -v102
	s_waitcnt vmcnt(44)
	v_fmac_f32_e32 v126, v120, v182
	v_add_f32_e32 v101, v101, v102
	v_mul_f32_e32 v102, v106, v165
	v_add_f32_e32 v125, v125, v126
	s_waitcnt vmcnt(42) lgkmcnt(0)
	v_mul_f32_e32 v126, v121, v184
	v_fma_f32 v102, v105, v173, -v102
	v_fmac_f32_e32 v126, v122, v183
	v_add_f32_e32 v101, v101, v102
	v_mul_f32_e32 v102, v108, v166
	v_add_f32_e32 v129, v125, v126
	ds_read_b128 v[125:128], v100 offset:640
	v_fma_f32 v102, v107, v174, -v102
	v_add_f32_e32 v101, v101, v102
	v_mul_f32_e32 v102, v110, v167
	s_waitcnt vmcnt(39)
	v_mul_f32_e32 v130, v123, v187
	v_fma_f32 v102, v109, v175, -v102
	s_waitcnt vmcnt(38)
	v_fmac_f32_e32 v130, v124, v188
	v_add_f32_e32 v101, v101, v102
	v_mul_f32_e32 v102, v112, v168
	v_add_f32_e32 v133, v129, v130
	ds_read_b128 v[129:132], v100 offset:656
	v_fma_f32 v102, v111, v176, -v102
	s_waitcnt vmcnt(36) lgkmcnt(1)
	v_mul_f32_e32 v134, v125, v190
	v_add_f32_e32 v101, v101, v102
	v_mul_f32_e32 v102, v114, v169
	v_fmac_f32_e32 v134, v126, v189
	v_fma_f32 v102, v113, v177, -v102
	v_add_f32_e32 v133, v133, v134
	s_waitcnt vmcnt(34)
	v_mul_f32_e32 v134, v127, v192
	v_add_f32_e32 v101, v101, v102
	v_mul_f32_e32 v102, v116, v170
	v_fmac_f32_e32 v134, v128, v191
	v_fma_f32 v102, v115, v178, -v102
	v_add_f32_e32 v133, v133, v134
	s_waitcnt vmcnt(32) lgkmcnt(0)
	v_mul_f32_e32 v134, v129, v194
	v_add_f32_e32 v101, v101, v102
	v_mul_f32_e32 v102, v118, v179
	v_fmac_f32_e32 v134, v130, v193
	v_fma_f32 v102, v117, v180, -v102
	v_add_f32_e32 v137, v133, v134
	ds_read_b128 v[133:136], v100 offset:672
	v_add_f32_e32 v101, v101, v102
	v_mul_f32_e32 v102, v120, v181
	v_fma_f32 v102, v119, v182, -v102
	s_waitcnt vmcnt(30)
	v_mul_f32_e32 v138, v131, v196
	v_add_f32_e32 v101, v101, v102
	v_mul_f32_e32 v102, v122, v184
	v_fmac_f32_e32 v138, v132, v195
	v_fma_f32 v102, v121, v183, -v102
	v_add_f32_e32 v141, v137, v138
	ds_read_b128 v[137:140], v100 offset:688
	v_add_f32_e32 v101, v101, v102
	v_mul_f32_e32 v102, v124, v187
	s_waitcnt vmcnt(28) lgkmcnt(1)
	v_mul_f32_e32 v142, v133, v198
	v_fma_f32 v102, v123, v188, -v102
	v_fmac_f32_e32 v142, v134, v197
	v_add_f32_e32 v101, v101, v102
	v_mul_f32_e32 v102, v126, v190
	v_add_f32_e32 v141, v141, v142
	s_waitcnt vmcnt(26)
	v_mul_f32_e32 v142, v135, v200
	v_fma_f32 v102, v125, v189, -v102
	v_fmac_f32_e32 v142, v136, v199
	v_add_f32_e32 v101, v101, v102
	v_mul_f32_e32 v102, v128, v192
	v_add_f32_e32 v141, v141, v142
	s_waitcnt vmcnt(24) lgkmcnt(0)
	v_mul_f32_e32 v142, v137, v202
	v_fma_f32 v102, v127, v191, -v102
	v_fmac_f32_e32 v142, v138, v201
	v_add_f32_e32 v101, v101, v102
	v_mul_f32_e32 v102, v130, v194
	v_add_f32_e32 v145, v141, v142
	ds_read_b128 v[141:144], v100 offset:704
	v_fma_f32 v102, v129, v193, -v102
	v_add_f32_e32 v101, v101, v102
	v_mul_f32_e32 v102, v132, v196
	s_waitcnt vmcnt(22)
	v_mul_f32_e32 v146, v139, v204
	v_fma_f32 v102, v131, v195, -v102
	v_fmac_f32_e32 v146, v140, v203
	v_add_f32_e32 v101, v101, v102
	v_mul_f32_e32 v102, v134, v198
	v_add_f32_e32 v149, v145, v146
	ds_read_b128 v[145:148], v100 offset:720
	v_fma_f32 v102, v133, v197, -v102
	s_waitcnt vmcnt(20) lgkmcnt(1)
	v_mul_f32_e32 v150, v141, v206
	v_add_f32_e32 v101, v101, v102
	v_mul_f32_e32 v102, v136, v200
	v_fmac_f32_e32 v150, v142, v205
	v_fma_f32 v102, v135, v199, -v102
	v_add_f32_e32 v149, v149, v150
	s_waitcnt vmcnt(18)
	v_mul_f32_e32 v150, v143, v208
	v_add_f32_e32 v101, v101, v102
	v_mul_f32_e32 v102, v138, v202
	v_fmac_f32_e32 v150, v144, v207
	v_fma_f32 v102, v137, v201, -v102
	v_add_f32_e32 v149, v149, v150
	s_waitcnt vmcnt(16) lgkmcnt(0)
	v_mul_f32_e32 v150, v145, v210
	v_add_f32_e32 v101, v101, v102
	v_mul_f32_e32 v102, v140, v204
	v_fmac_f32_e32 v150, v146, v209
	v_fma_f32 v102, v139, v203, -v102
	v_add_f32_e32 v153, v149, v150
	ds_read_b128 v[149:152], v100 offset:736
	v_add_f32_e32 v101, v101, v102
	v_mul_f32_e32 v102, v142, v206
	v_fma_f32 v102, v141, v205, -v102
	s_waitcnt vmcnt(14)
	v_mul_f32_e32 v154, v147, v212
	v_add_f32_e32 v101, v101, v102
	v_mul_f32_e32 v102, v144, v208
	v_fmac_f32_e32 v154, v148, v211
	v_fma_f32 v102, v143, v207, -v102
	v_add_f32_e32 v157, v153, v154
	ds_read_b128 v[153:156], v100 offset:752
	v_add_f32_e32 v101, v101, v102
	v_mul_f32_e32 v102, v146, v210
	s_waitcnt vmcnt(12) lgkmcnt(1)
	v_mul_f32_e32 v158, v149, v214
	v_fma_f32 v102, v145, v209, -v102
	v_fmac_f32_e32 v158, v150, v213
	v_add_f32_e32 v101, v101, v102
	v_mul_f32_e32 v102, v148, v212
	v_add_f32_e32 v157, v157, v158
	s_waitcnt vmcnt(10)
	v_mul_f32_e32 v158, v151, v216
	v_fma_f32 v102, v147, v211, -v102
	v_fmac_f32_e32 v158, v152, v215
	v_add_f32_e32 v101, v101, v102
	v_mul_f32_e32 v102, v150, v214
	v_add_f32_e32 v157, v157, v158
	s_waitcnt vmcnt(8) lgkmcnt(0)
	v_mul_f32_e32 v158, v153, v218
	v_fma_f32 v102, v149, v213, -v102
	v_fmac_f32_e32 v158, v154, v217
	v_add_f32_e32 v101, v101, v102
	v_mul_f32_e32 v102, v152, v216
	v_add_f32_e32 v161, v157, v158
	ds_read_b128 v[157:160], v100 offset:768
	v_fma_f32 v102, v151, v215, -v102
	v_add_f32_e32 v101, v101, v102
	v_mul_f32_e32 v102, v154, v218
	s_waitcnt vmcnt(6)
	v_mul_f32_e32 v162, v155, v220
	v_fma_f32 v102, v153, v217, -v102
	v_fmac_f32_e32 v162, v156, v219
	v_add_f32_e32 v101, v101, v102
	v_mul_f32_e32 v102, v156, v220
	v_add_f32_e32 v227, v161, v162
	ds_read_b64 v[161:162], v100 offset:784
	v_fma_f32 v102, v155, v219, -v102
	v_add_f32_e32 v101, v101, v102
	s_waitcnt vmcnt(4) lgkmcnt(1)
	v_mul_f32_e32 v102, v158, v222
	v_mul_f32_e32 v228, v157, v222
	v_fma_f32 v102, v157, v221, -v102
	v_fmac_f32_e32 v228, v158, v221
	v_add_f32_e32 v101, v101, v102
	s_waitcnt vmcnt(3)
	v_mul_f32_e32 v102, v160, v223
	v_add_f32_e32 v227, v227, v228
	v_mul_f32_e32 v228, v159, v223
	s_waitcnt vmcnt(2)
	v_fma_f32 v102, v159, v224, -v102
	v_fmac_f32_e32 v228, v160, v224
	v_add_f32_e32 v101, v101, v102
	s_waitcnt vmcnt(0) lgkmcnt(0)
	v_mul_f32_e32 v102, v162, v226
	v_add_f32_e32 v227, v227, v228
	v_mul_f32_e32 v228, v161, v226
	v_fma_f32 v102, v161, v225, -v102
	v_fmac_f32_e32 v228, v162, v225
	v_add_f32_e32 v101, v101, v102
	v_add_f32_e32 v227, v227, v228
	v_sub_f32_e32 v101, v185, v101
	v_sub_f32_e32 v102, v186, v227
	buffer_store_dword v101, off, s[0:3], 0 offset:136
	buffer_store_dword v102, off, s[0:3], 0 offset:140
	s_and_saveexec_b64 s[4:5], vcc
	s_cbranch_execz .LBB112_275
; %bb.274:
	buffer_load_dword v101, off, s[0:3], 0 offset:128
	buffer_load_dword v102, off, s[0:3], 0 offset:132
	s_waitcnt vmcnt(0)
	ds_write_b64 v99, v[101:102]
	buffer_store_dword v100, off, s[0:3], 0 offset:128
	buffer_store_dword v100, off, s[0:3], 0 offset:132
.LBB112_275:
	s_or_b64 exec, exec, s[4:5]
	s_waitcnt lgkmcnt(0)
	; wave barrier
	buffer_load_dword v165, off, s[0:3], 0 offset:140
	buffer_load_dword v166, off, s[0:3], 0 offset:148
	;; [unrolled: 1-line block ×26, first 2 shown]
	ds_read2_b64 v[101:104], v100 offset0:67 offset1:68
	ds_read2_b64 v[105:108], v100 offset0:69 offset1:70
	;; [unrolled: 1-line block ×4, first 2 shown]
	buffer_load_dword v191, off, s[0:3], 0 offset:236
	buffer_load_dword v192, off, s[0:3], 0 offset:232
	;; [unrolled: 1-line block ×34, first 2 shown]
	v_cmp_lt_u32_e32 vcc, 15, v0
	s_waitcnt vmcnt(59) lgkmcnt(3)
	v_mul_f32_e32 v117, v101, v165
	s_waitcnt vmcnt(58)
	v_mul_f32_e32 v118, v103, v166
	s_waitcnt vmcnt(57) lgkmcnt(2)
	v_mul_f32_e32 v119, v105, v167
	s_waitcnt vmcnt(56)
	v_mul_f32_e32 v120, v107, v168
	;; [unrolled: 4-line block ×4, first 2 shown]
	s_waitcnt vmcnt(51)
	v_fmac_f32_e32 v117, v102, v173
	s_waitcnt vmcnt(50)
	v_fmac_f32_e32 v118, v104, v174
	v_add_f32_e32 v117, 0, v117
	s_waitcnt vmcnt(49)
	v_fmac_f32_e32 v119, v106, v175
	v_add_f32_e32 v117, v117, v118
	;; [unrolled: 3-line block ×7, first 2 shown]
	v_add_f32_e32 v125, v117, v124
	ds_read2_b64 v[117:120], v100 offset0:75 offset1:76
	buffer_load_dword v225, off, s[0:3], 0 offset:372
	buffer_load_dword v226, off, s[0:3], 0 offset:368
	;; [unrolled: 1-line block ×4, first 2 shown]
	ds_read2_b64 v[121:124], v100 offset0:77 offset1:78
	buffer_load_dword v229, off, s[0:3], 0 offset:384
	buffer_load_dword v230, off, s[0:3], 0 offset:388
	v_mul_f32_e32 v102, v102, v165
	s_waitcnt vmcnt(49) lgkmcnt(1)
	v_mul_f32_e32 v126, v117, v181
	s_waitcnt vmcnt(48)
	v_fmac_f32_e32 v126, v118, v182
	v_fma_f32 v101, v101, v173, -v102
	v_mul_f32_e32 v102, v104, v166
	v_add_f32_e32 v125, v125, v126
	s_waitcnt vmcnt(46)
	v_mul_f32_e32 v126, v119, v184
	v_add_f32_e32 v101, 0, v101
	v_fma_f32 v102, v103, v174, -v102
	v_fmac_f32_e32 v126, v120, v183
	v_add_f32_e32 v101, v101, v102
	v_mul_f32_e32 v102, v106, v167
	v_add_f32_e32 v125, v125, v126
	s_waitcnt vmcnt(43) lgkmcnt(0)
	v_mul_f32_e32 v126, v121, v187
	v_fma_f32 v102, v105, v175, -v102
	s_waitcnt vmcnt(42)
	v_fmac_f32_e32 v126, v122, v188
	v_add_f32_e32 v101, v101, v102
	v_mul_f32_e32 v102, v108, v168
	v_add_f32_e32 v129, v125, v126
	ds_read2_b64 v[125:128], v100 offset0:79 offset1:80
	v_fma_f32 v102, v107, v176, -v102
	v_add_f32_e32 v101, v101, v102
	v_mul_f32_e32 v102, v110, v169
	s_waitcnt vmcnt(40)
	v_mul_f32_e32 v130, v123, v190
	v_fma_f32 v102, v109, v177, -v102
	v_fmac_f32_e32 v130, v124, v189
	v_add_f32_e32 v101, v101, v102
	v_mul_f32_e32 v102, v112, v170
	v_add_f32_e32 v133, v129, v130
	ds_read2_b64 v[129:132], v100 offset0:81 offset1:82
	v_fma_f32 v102, v111, v178, -v102
	s_waitcnt vmcnt(39) lgkmcnt(1)
	v_mul_f32_e32 v134, v125, v191
	v_add_f32_e32 v101, v101, v102
	v_mul_f32_e32 v102, v114, v171
	s_waitcnt vmcnt(38)
	v_fmac_f32_e32 v134, v126, v192
	v_fma_f32 v102, v113, v179, -v102
	v_add_f32_e32 v133, v133, v134
	s_waitcnt vmcnt(36)
	v_mul_f32_e32 v134, v127, v194
	v_add_f32_e32 v101, v101, v102
	v_mul_f32_e32 v102, v116, v172
	v_fmac_f32_e32 v134, v128, v193
	v_fma_f32 v102, v115, v180, -v102
	v_add_f32_e32 v133, v133, v134
	s_waitcnt vmcnt(34) lgkmcnt(0)
	v_mul_f32_e32 v134, v129, v196
	v_add_f32_e32 v101, v101, v102
	v_mul_f32_e32 v102, v118, v181
	v_fmac_f32_e32 v134, v130, v195
	v_fma_f32 v102, v117, v182, -v102
	v_add_f32_e32 v137, v133, v134
	ds_read2_b64 v[133:136], v100 offset0:83 offset1:84
	v_add_f32_e32 v101, v101, v102
	v_mul_f32_e32 v102, v120, v184
	v_fma_f32 v102, v119, v183, -v102
	s_waitcnt vmcnt(32)
	v_mul_f32_e32 v138, v131, v198
	v_add_f32_e32 v101, v101, v102
	v_mul_f32_e32 v102, v122, v187
	v_fmac_f32_e32 v138, v132, v197
	v_fma_f32 v102, v121, v188, -v102
	v_add_f32_e32 v141, v137, v138
	ds_read2_b64 v[137:140], v100 offset0:85 offset1:86
	v_add_f32_e32 v101, v101, v102
	v_mul_f32_e32 v102, v124, v190
	s_waitcnt vmcnt(30) lgkmcnt(1)
	v_mul_f32_e32 v142, v133, v200
	v_fma_f32 v102, v123, v189, -v102
	v_fmac_f32_e32 v142, v134, v199
	v_add_f32_e32 v101, v101, v102
	v_mul_f32_e32 v102, v126, v191
	v_add_f32_e32 v141, v141, v142
	s_waitcnt vmcnt(28)
	v_mul_f32_e32 v142, v135, v202
	v_fma_f32 v102, v125, v192, -v102
	v_fmac_f32_e32 v142, v136, v201
	v_add_f32_e32 v101, v101, v102
	v_mul_f32_e32 v102, v128, v194
	v_add_f32_e32 v141, v141, v142
	s_waitcnt vmcnt(26) lgkmcnt(0)
	v_mul_f32_e32 v142, v137, v204
	v_fma_f32 v102, v127, v193, -v102
	v_fmac_f32_e32 v142, v138, v203
	v_add_f32_e32 v101, v101, v102
	v_mul_f32_e32 v102, v130, v196
	v_add_f32_e32 v145, v141, v142
	ds_read2_b64 v[141:144], v100 offset0:87 offset1:88
	v_fma_f32 v102, v129, v195, -v102
	v_add_f32_e32 v101, v101, v102
	v_mul_f32_e32 v102, v132, v198
	s_waitcnt vmcnt(24)
	v_mul_f32_e32 v146, v139, v206
	v_fma_f32 v102, v131, v197, -v102
	v_fmac_f32_e32 v146, v140, v205
	v_add_f32_e32 v101, v101, v102
	v_mul_f32_e32 v102, v134, v200
	v_add_f32_e32 v149, v145, v146
	ds_read2_b64 v[145:148], v100 offset0:89 offset1:90
	v_fma_f32 v102, v133, v199, -v102
	s_waitcnt vmcnt(22) lgkmcnt(1)
	v_mul_f32_e32 v150, v141, v208
	v_add_f32_e32 v101, v101, v102
	v_mul_f32_e32 v102, v136, v202
	v_fmac_f32_e32 v150, v142, v207
	v_fma_f32 v102, v135, v201, -v102
	v_add_f32_e32 v149, v149, v150
	s_waitcnt vmcnt(20)
	v_mul_f32_e32 v150, v143, v210
	v_add_f32_e32 v101, v101, v102
	v_mul_f32_e32 v102, v138, v204
	v_fmac_f32_e32 v150, v144, v209
	v_fma_f32 v102, v137, v203, -v102
	v_add_f32_e32 v149, v149, v150
	s_waitcnt vmcnt(18) lgkmcnt(0)
	v_mul_f32_e32 v150, v145, v212
	v_add_f32_e32 v101, v101, v102
	v_mul_f32_e32 v102, v140, v206
	v_fmac_f32_e32 v150, v146, v211
	v_fma_f32 v102, v139, v205, -v102
	v_add_f32_e32 v153, v149, v150
	ds_read2_b64 v[149:152], v100 offset0:91 offset1:92
	v_add_f32_e32 v101, v101, v102
	v_mul_f32_e32 v102, v142, v208
	v_fma_f32 v102, v141, v207, -v102
	s_waitcnt vmcnt(16)
	v_mul_f32_e32 v154, v147, v214
	v_add_f32_e32 v101, v101, v102
	v_mul_f32_e32 v102, v144, v210
	v_fmac_f32_e32 v154, v148, v213
	v_fma_f32 v102, v143, v209, -v102
	v_add_f32_e32 v157, v153, v154
	ds_read2_b64 v[153:156], v100 offset0:93 offset1:94
	v_add_f32_e32 v101, v101, v102
	v_mul_f32_e32 v102, v146, v212
	s_waitcnt vmcnt(14) lgkmcnt(1)
	v_mul_f32_e32 v158, v149, v216
	v_fma_f32 v102, v145, v211, -v102
	v_fmac_f32_e32 v158, v150, v215
	v_add_f32_e32 v101, v101, v102
	v_mul_f32_e32 v102, v148, v214
	v_add_f32_e32 v157, v157, v158
	s_waitcnt vmcnt(12)
	v_mul_f32_e32 v158, v151, v218
	v_fma_f32 v102, v147, v213, -v102
	v_fmac_f32_e32 v158, v152, v217
	v_add_f32_e32 v101, v101, v102
	v_mul_f32_e32 v102, v150, v216
	v_add_f32_e32 v157, v157, v158
	s_waitcnt vmcnt(10) lgkmcnt(0)
	v_mul_f32_e32 v158, v153, v220
	v_fma_f32 v102, v149, v215, -v102
	v_fmac_f32_e32 v158, v154, v219
	v_add_f32_e32 v101, v101, v102
	v_mul_f32_e32 v102, v152, v218
	v_add_f32_e32 v161, v157, v158
	ds_read2_b64 v[157:160], v100 offset0:95 offset1:96
	v_fma_f32 v102, v151, v217, -v102
	v_add_f32_e32 v101, v101, v102
	v_mul_f32_e32 v102, v154, v220
	s_waitcnt vmcnt(8)
	v_mul_f32_e32 v162, v155, v222
	v_fma_f32 v102, v153, v219, -v102
	v_fmac_f32_e32 v162, v156, v221
	v_add_f32_e32 v101, v101, v102
	v_mul_f32_e32 v102, v156, v222
	v_add_f32_e32 v231, v161, v162
	ds_read2_b64 v[161:164], v100 offset0:97 offset1:98
	v_fma_f32 v102, v155, v221, -v102
	v_add_f32_e32 v101, v101, v102
	s_waitcnt vmcnt(6) lgkmcnt(1)
	v_mul_f32_e32 v102, v158, v224
	v_mul_f32_e32 v100, v157, v224
	v_fma_f32 v102, v157, v223, -v102
	v_fmac_f32_e32 v100, v158, v223
	v_add_f32_e32 v101, v101, v102
	s_waitcnt vmcnt(5)
	v_mul_f32_e32 v102, v160, v225
	v_add_f32_e32 v100, v231, v100
	v_mul_f32_e32 v231, v159, v225
	s_waitcnt vmcnt(4)
	v_fma_f32 v102, v159, v226, -v102
	v_fmac_f32_e32 v231, v160, v226
	v_add_f32_e32 v101, v101, v102
	s_waitcnt vmcnt(2) lgkmcnt(0)
	v_mul_f32_e32 v102, v162, v228
	v_add_f32_e32 v100, v100, v231
	v_mul_f32_e32 v231, v161, v228
	v_fma_f32 v102, v161, v227, -v102
	v_fmac_f32_e32 v231, v162, v227
	v_add_f32_e32 v101, v101, v102
	s_waitcnt vmcnt(0)
	v_mul_f32_e32 v102, v164, v230
	v_add_f32_e32 v100, v100, v231
	v_mul_f32_e32 v231, v163, v230
	v_fma_f32 v102, v163, v229, -v102
	v_fmac_f32_e32 v231, v164, v229
	v_add_f32_e32 v101, v101, v102
	v_add_f32_e32 v100, v100, v231
	v_sub_f32_e32 v101, v185, v101
	v_sub_f32_e32 v100, v186, v100
	buffer_store_dword v101, off, s[0:3], 0 offset:128
	buffer_store_dword v100, off, s[0:3], 0 offset:132
	s_and_saveexec_b64 s[4:5], vcc
	s_cbranch_execz .LBB112_277
; %bb.276:
	buffer_load_dword v100, off, s[0:3], 0 offset:120
	buffer_load_dword v101, off, s[0:3], 0 offset:124
	v_mov_b32_e32 v102, 0
	buffer_store_dword v102, off, s[0:3], 0 offset:120
	buffer_store_dword v102, off, s[0:3], 0 offset:124
	s_waitcnt vmcnt(2)
	ds_write_b64 v99, v[100:101]
.LBB112_277:
	s_or_b64 exec, exec, s[4:5]
	s_waitcnt lgkmcnt(0)
	; wave barrier
	buffer_load_dword v167, off, s[0:3], 0 offset:132
	buffer_load_dword v168, off, s[0:3], 0 offset:140
	;; [unrolled: 1-line block ×58, first 2 shown]
	v_mov_b32_e32 v100, 0
	ds_read_b128 v[101:104], v100 offset:528
	ds_read_b128 v[105:108], v100 offset:544
	;; [unrolled: 1-line block ×5, first 2 shown]
	buffer_load_dword v225, off, s[0:3], 0 offset:352
	buffer_load_dword v226, off, s[0:3], 0 offset:356
	v_cmp_lt_u32_e32 vcc, 14, v0
	s_waitcnt vmcnt(59) lgkmcnt(4)
	v_mul_f32_e32 v121, v101, v167
	s_waitcnt vmcnt(58)
	v_mul_f32_e32 v122, v103, v168
	s_waitcnt vmcnt(57) lgkmcnt(3)
	v_mul_f32_e32 v123, v105, v169
	s_waitcnt vmcnt(56)
	v_mul_f32_e32 v124, v107, v170
	;; [unrolled: 4-line block ×4, first 2 shown]
	s_waitcnt vmcnt(51)
	v_fmac_f32_e32 v121, v102, v175
	s_waitcnt vmcnt(50)
	v_fmac_f32_e32 v122, v104, v176
	v_add_f32_e32 v121, 0, v121
	s_waitcnt vmcnt(49)
	v_fmac_f32_e32 v123, v106, v177
	v_add_f32_e32 v121, v121, v122
	;; [unrolled: 3-line block ×7, first 2 shown]
	v_add_f32_e32 v125, v121, v128
	ds_read_b128 v[121:124], v100 offset:608
	buffer_load_dword v227, off, s[0:3], 0 offset:364
	buffer_load_dword v228, off, s[0:3], 0 offset:360
	buffer_load_dword v229, off, s[0:3], 0 offset:368
	buffer_load_dword v230, off, s[0:3], 0 offset:372
	buffer_load_dword v231, off, s[0:3], 0 offset:380
	buffer_load_dword v232, off, s[0:3], 0 offset:376
	buffer_load_dword v233, off, s[0:3], 0 offset:384
	buffer_load_dword v234, off, s[0:3], 0 offset:388
	s_waitcnt vmcnt(51) lgkmcnt(1)
	v_mul_f32_e32 v126, v117, v183
	s_waitcnt vmcnt(50)
	v_fmac_f32_e32 v126, v118, v184
	v_mul_f32_e32 v102, v102, v167
	v_add_f32_e32 v125, v125, v126
	s_waitcnt vmcnt(49)
	v_mul_f32_e32 v126, v119, v185
	v_fma_f32 v101, v101, v175, -v102
	v_mul_f32_e32 v102, v104, v168
	s_waitcnt vmcnt(46)
	v_fmac_f32_e32 v126, v120, v188
	v_add_f32_e32 v101, 0, v101
	v_fma_f32 v102, v103, v176, -v102
	v_add_f32_e32 v125, v125, v126
	s_waitcnt vmcnt(44) lgkmcnt(0)
	v_mul_f32_e32 v126, v121, v190
	v_add_f32_e32 v101, v101, v102
	v_mul_f32_e32 v102, v106, v169
	v_fmac_f32_e32 v126, v122, v189
	v_fma_f32 v102, v105, v177, -v102
	v_add_f32_e32 v129, v125, v126
	ds_read_b128 v[125:128], v100 offset:624
	v_add_f32_e32 v101, v101, v102
	v_mul_f32_e32 v102, v108, v170
	v_fma_f32 v102, v107, v178, -v102
	s_waitcnt vmcnt(42)
	v_mul_f32_e32 v130, v123, v192
	v_add_f32_e32 v101, v101, v102
	v_mul_f32_e32 v102, v110, v171
	v_fmac_f32_e32 v130, v124, v191
	v_fma_f32 v102, v109, v179, -v102
	v_add_f32_e32 v133, v129, v130
	ds_read_b128 v[129:132], v100 offset:640
	v_add_f32_e32 v101, v101, v102
	v_mul_f32_e32 v102, v112, v172
	s_waitcnt vmcnt(40) lgkmcnt(1)
	v_mul_f32_e32 v134, v125, v194
	v_fma_f32 v102, v111, v180, -v102
	v_fmac_f32_e32 v134, v126, v193
	v_add_f32_e32 v101, v101, v102
	v_mul_f32_e32 v102, v114, v173
	v_add_f32_e32 v133, v133, v134
	s_waitcnt vmcnt(38)
	v_mul_f32_e32 v134, v127, v196
	v_fma_f32 v102, v113, v181, -v102
	v_fmac_f32_e32 v134, v128, v195
	v_add_f32_e32 v101, v101, v102
	v_mul_f32_e32 v102, v116, v174
	v_add_f32_e32 v133, v133, v134
	s_waitcnt vmcnt(36) lgkmcnt(0)
	v_mul_f32_e32 v134, v129, v198
	v_fma_f32 v102, v115, v182, -v102
	v_fmac_f32_e32 v134, v130, v197
	v_add_f32_e32 v101, v101, v102
	v_mul_f32_e32 v102, v118, v183
	v_add_f32_e32 v137, v133, v134
	ds_read_b128 v[133:136], v100 offset:656
	v_fma_f32 v102, v117, v184, -v102
	v_add_f32_e32 v101, v101, v102
	v_mul_f32_e32 v102, v120, v185
	s_waitcnt vmcnt(34)
	v_mul_f32_e32 v138, v131, v200
	v_fma_f32 v102, v119, v188, -v102
	v_fmac_f32_e32 v138, v132, v199
	v_add_f32_e32 v101, v101, v102
	v_mul_f32_e32 v102, v122, v190
	v_add_f32_e32 v141, v137, v138
	ds_read_b128 v[137:140], v100 offset:672
	v_fma_f32 v102, v121, v189, -v102
	s_waitcnt vmcnt(32) lgkmcnt(1)
	v_mul_f32_e32 v142, v133, v202
	v_add_f32_e32 v101, v101, v102
	v_mul_f32_e32 v102, v124, v192
	v_fmac_f32_e32 v142, v134, v201
	v_fma_f32 v102, v123, v191, -v102
	v_add_f32_e32 v141, v141, v142
	s_waitcnt vmcnt(30)
	v_mul_f32_e32 v142, v135, v204
	v_add_f32_e32 v101, v101, v102
	v_mul_f32_e32 v102, v126, v194
	v_fmac_f32_e32 v142, v136, v203
	v_fma_f32 v102, v125, v193, -v102
	v_add_f32_e32 v141, v141, v142
	s_waitcnt vmcnt(28) lgkmcnt(0)
	v_mul_f32_e32 v142, v137, v206
	v_add_f32_e32 v101, v101, v102
	v_mul_f32_e32 v102, v128, v196
	v_fmac_f32_e32 v142, v138, v205
	v_fma_f32 v102, v127, v195, -v102
	v_add_f32_e32 v145, v141, v142
	ds_read_b128 v[141:144], v100 offset:688
	v_add_f32_e32 v101, v101, v102
	v_mul_f32_e32 v102, v130, v198
	v_fma_f32 v102, v129, v197, -v102
	s_waitcnt vmcnt(26)
	v_mul_f32_e32 v146, v139, v208
	v_add_f32_e32 v101, v101, v102
	v_mul_f32_e32 v102, v132, v200
	v_fmac_f32_e32 v146, v140, v207
	v_fma_f32 v102, v131, v199, -v102
	v_add_f32_e32 v149, v145, v146
	ds_read_b128 v[145:148], v100 offset:704
	v_add_f32_e32 v101, v101, v102
	v_mul_f32_e32 v102, v134, v202
	s_waitcnt vmcnt(24) lgkmcnt(1)
	v_mul_f32_e32 v150, v141, v210
	v_fma_f32 v102, v133, v201, -v102
	v_fmac_f32_e32 v150, v142, v209
	v_add_f32_e32 v101, v101, v102
	v_mul_f32_e32 v102, v136, v204
	v_add_f32_e32 v149, v149, v150
	s_waitcnt vmcnt(22)
	v_mul_f32_e32 v150, v143, v212
	v_fma_f32 v102, v135, v203, -v102
	v_fmac_f32_e32 v150, v144, v211
	v_add_f32_e32 v101, v101, v102
	v_mul_f32_e32 v102, v138, v206
	v_add_f32_e32 v149, v149, v150
	s_waitcnt vmcnt(20) lgkmcnt(0)
	v_mul_f32_e32 v150, v145, v214
	v_fma_f32 v102, v137, v205, -v102
	v_fmac_f32_e32 v150, v146, v213
	v_add_f32_e32 v101, v101, v102
	v_mul_f32_e32 v102, v140, v208
	v_add_f32_e32 v153, v149, v150
	ds_read_b128 v[149:152], v100 offset:720
	v_fma_f32 v102, v139, v207, -v102
	v_add_f32_e32 v101, v101, v102
	v_mul_f32_e32 v102, v142, v210
	s_waitcnt vmcnt(18)
	v_mul_f32_e32 v154, v147, v216
	v_fma_f32 v102, v141, v209, -v102
	v_fmac_f32_e32 v154, v148, v215
	v_add_f32_e32 v101, v101, v102
	v_mul_f32_e32 v102, v144, v212
	v_add_f32_e32 v157, v153, v154
	ds_read_b128 v[153:156], v100 offset:736
	v_fma_f32 v102, v143, v211, -v102
	s_waitcnt vmcnt(16) lgkmcnt(1)
	v_mul_f32_e32 v158, v149, v218
	v_add_f32_e32 v101, v101, v102
	v_mul_f32_e32 v102, v146, v214
	v_fmac_f32_e32 v158, v150, v217
	v_fma_f32 v102, v145, v213, -v102
	v_add_f32_e32 v157, v157, v158
	s_waitcnt vmcnt(14)
	v_mul_f32_e32 v158, v151, v220
	v_add_f32_e32 v101, v101, v102
	v_mul_f32_e32 v102, v148, v216
	v_fmac_f32_e32 v158, v152, v219
	v_fma_f32 v102, v147, v215, -v102
	v_add_f32_e32 v157, v157, v158
	s_waitcnt vmcnt(12) lgkmcnt(0)
	v_mul_f32_e32 v158, v153, v222
	v_add_f32_e32 v101, v101, v102
	v_mul_f32_e32 v102, v150, v218
	v_fmac_f32_e32 v158, v154, v221
	v_fma_f32 v102, v149, v217, -v102
	v_add_f32_e32 v161, v157, v158
	ds_read_b128 v[157:160], v100 offset:752
	v_add_f32_e32 v101, v101, v102
	v_mul_f32_e32 v102, v152, v220
	v_fma_f32 v102, v151, v219, -v102
	v_add_f32_e32 v101, v101, v102
	v_mul_f32_e32 v102, v154, v222
	s_waitcnt vmcnt(10)
	v_mul_f32_e32 v162, v155, v224
	v_fma_f32 v102, v153, v221, -v102
	v_fmac_f32_e32 v162, v156, v223
	v_add_f32_e32 v101, v101, v102
	v_mul_f32_e32 v102, v156, v224
	v_add_f32_e32 v165, v161, v162
	ds_read_b128 v[161:164], v100 offset:768
	s_waitcnt vmcnt(8) lgkmcnt(1)
	v_mul_f32_e32 v166, v157, v226
	v_fma_f32 v102, v155, v223, -v102
	v_fmac_f32_e32 v166, v158, v225
	v_add_f32_e32 v101, v101, v102
	v_mul_f32_e32 v102, v158, v226
	v_add_f32_e32 v165, v165, v166
	s_waitcnt vmcnt(7)
	v_mul_f32_e32 v166, v159, v227
	v_fma_f32 v102, v157, v225, -v102
	s_waitcnt vmcnt(6)
	v_fmac_f32_e32 v166, v160, v228
	v_add_f32_e32 v101, v101, v102
	v_mul_f32_e32 v102, v160, v227
	v_add_f32_e32 v235, v165, v166
	ds_read_b64 v[165:166], v100 offset:784
	v_fma_f32 v102, v159, v228, -v102
	v_add_f32_e32 v101, v101, v102
	s_waitcnt vmcnt(4) lgkmcnt(1)
	v_mul_f32_e32 v102, v162, v230
	v_mul_f32_e32 v236, v161, v230
	v_fma_f32 v102, v161, v229, -v102
	v_fmac_f32_e32 v236, v162, v229
	v_add_f32_e32 v101, v101, v102
	s_waitcnt vmcnt(3)
	v_mul_f32_e32 v102, v164, v231
	v_add_f32_e32 v235, v235, v236
	v_mul_f32_e32 v236, v163, v231
	s_waitcnt vmcnt(2)
	v_fma_f32 v102, v163, v232, -v102
	v_fmac_f32_e32 v236, v164, v232
	v_add_f32_e32 v101, v101, v102
	s_waitcnt vmcnt(0) lgkmcnt(0)
	v_mul_f32_e32 v102, v166, v234
	v_add_f32_e32 v235, v235, v236
	v_mul_f32_e32 v236, v165, v234
	v_fma_f32 v102, v165, v233, -v102
	v_fmac_f32_e32 v236, v166, v233
	v_add_f32_e32 v101, v101, v102
	v_add_f32_e32 v235, v235, v236
	v_sub_f32_e32 v101, v186, v101
	v_sub_f32_e32 v102, v187, v235
	buffer_store_dword v101, off, s[0:3], 0 offset:120
	buffer_store_dword v102, off, s[0:3], 0 offset:124
	s_and_saveexec_b64 s[4:5], vcc
	s_cbranch_execz .LBB112_279
; %bb.278:
	buffer_load_dword v101, off, s[0:3], 0 offset:112
	buffer_load_dword v102, off, s[0:3], 0 offset:116
	s_waitcnt vmcnt(0)
	ds_write_b64 v99, v[101:102]
	buffer_store_dword v100, off, s[0:3], 0 offset:112
	buffer_store_dword v100, off, s[0:3], 0 offset:116
.LBB112_279:
	s_or_b64 exec, exec, s[4:5]
	s_waitcnt lgkmcnt(0)
	; wave barrier
	buffer_load_dword v169, off, s[0:3], 0 offset:124
	buffer_load_dword v170, off, s[0:3], 0 offset:132
	;; [unrolled: 1-line block ×24, first 2 shown]
	ds_read2_b64 v[101:104], v100 offset0:65 offset1:66
	ds_read2_b64 v[105:108], v100 offset0:67 offset1:68
	;; [unrolled: 1-line block ×6, first 2 shown]
	buffer_load_dword v193, off, s[0:3], 0 offset:212
	buffer_load_dword v194, off, s[0:3], 0 offset:208
	buffer_load_dword v195, off, s[0:3], 0 offset:216
	buffer_load_dword v196, off, s[0:3], 0 offset:220
	buffer_load_dword v197, off, s[0:3], 0 offset:224
	buffer_load_dword v198, off, s[0:3], 0 offset:228
	buffer_load_dword v199, off, s[0:3], 0 offset:232
	buffer_load_dword v200, off, s[0:3], 0 offset:236
	buffer_load_dword v201, off, s[0:3], 0 offset:240
	buffer_load_dword v202, off, s[0:3], 0 offset:244
	buffer_load_dword v203, off, s[0:3], 0 offset:248
	buffer_load_dword v204, off, s[0:3], 0 offset:252
	buffer_load_dword v205, off, s[0:3], 0 offset:256
	buffer_load_dword v206, off, s[0:3], 0 offset:260
	buffer_load_dword v207, off, s[0:3], 0 offset:264
	buffer_load_dword v208, off, s[0:3], 0 offset:268
	buffer_load_dword v209, off, s[0:3], 0 offset:272
	buffer_load_dword v210, off, s[0:3], 0 offset:276
	buffer_load_dword v211, off, s[0:3], 0 offset:280
	buffer_load_dword v212, off, s[0:3], 0 offset:284
	buffer_load_dword v213, off, s[0:3], 0 offset:288
	buffer_load_dword v214, off, s[0:3], 0 offset:292
	buffer_load_dword v215, off, s[0:3], 0 offset:296
	buffer_load_dword v216, off, s[0:3], 0 offset:300
	buffer_load_dword v217, off, s[0:3], 0 offset:304
	buffer_load_dword v218, off, s[0:3], 0 offset:308
	buffer_load_dword v219, off, s[0:3], 0 offset:312
	buffer_load_dword v220, off, s[0:3], 0 offset:316
	buffer_load_dword v221, off, s[0:3], 0 offset:320
	buffer_load_dword v222, off, s[0:3], 0 offset:324
	buffer_load_dword v223, off, s[0:3], 0 offset:328
	buffer_load_dword v224, off, s[0:3], 0 offset:332
	buffer_load_dword v225, off, s[0:3], 0 offset:336
	buffer_load_dword v226, off, s[0:3], 0 offset:340
	buffer_load_dword v227, off, s[0:3], 0 offset:344
	buffer_load_dword v228, off, s[0:3], 0 offset:348
	buffer_load_dword v229, off, s[0:3], 0 offset:356
	buffer_load_dword v230, off, s[0:3], 0 offset:352
	buffer_load_dword v231, off, s[0:3], 0 offset:360
	buffer_load_dword v232, off, s[0:3], 0 offset:364
	buffer_load_dword v233, off, s[0:3], 0 offset:368
	buffer_load_dword v234, off, s[0:3], 0 offset:372
	buffer_load_dword v235, off, s[0:3], 0 offset:380
	buffer_load_dword v236, off, s[0:3], 0 offset:376
	buffer_load_dword v237, off, s[0:3], 0 offset:384
	buffer_load_dword v238, off, s[0:3], 0 offset:388
	v_cmp_lt_u32_e32 vcc, 13, v0
	s_waitcnt vmcnt(62) lgkmcnt(5)
	v_mul_f32_e32 v125, v101, v169
	v_mul_f32_e32 v126, v103, v170
	s_waitcnt lgkmcnt(4)
	v_mul_f32_e32 v127, v105, v171
	v_mul_f32_e32 v128, v107, v172
	s_waitcnt lgkmcnt(3)
	;; [unrolled: 3-line block ×3, first 2 shown]
	v_mul_f32_e32 v131, v113, v175
	v_mul_f32_e32 v132, v115, v176
	s_waitcnt vmcnt(61)
	v_fmac_f32_e32 v125, v102, v177
	s_waitcnt vmcnt(60)
	v_fmac_f32_e32 v126, v104, v178
	v_add_f32_e32 v125, 0, v125
	s_waitcnt vmcnt(59)
	v_fmac_f32_e32 v127, v106, v179
	v_add_f32_e32 v125, v125, v126
	;; [unrolled: 3-line block ×7, first 2 shown]
	s_waitcnt vmcnt(53) lgkmcnt(1)
	v_mul_f32_e32 v126, v117, v185
	v_add_f32_e32 v125, v125, v132
	s_waitcnt vmcnt(52)
	v_fmac_f32_e32 v126, v118, v186
	v_mul_f32_e32 v102, v102, v169
	v_add_f32_e32 v125, v125, v126
	s_waitcnt vmcnt(51)
	v_mul_f32_e32 v126, v119, v187
	v_fma_f32 v101, v101, v177, -v102
	v_mul_f32_e32 v102, v104, v170
	s_waitcnt vmcnt(50)
	v_fmac_f32_e32 v126, v120, v188
	v_add_f32_e32 v101, 0, v101
	v_fma_f32 v102, v103, v178, -v102
	v_add_f32_e32 v125, v125, v126
	s_waitcnt vmcnt(47) lgkmcnt(0)
	v_mul_f32_e32 v126, v121, v191
	v_add_f32_e32 v101, v101, v102
	v_mul_f32_e32 v102, v106, v171
	s_waitcnt vmcnt(46)
	v_fmac_f32_e32 v126, v122, v192
	v_fma_f32 v102, v105, v179, -v102
	v_add_f32_e32 v129, v125, v126
	ds_read2_b64 v[125:128], v100 offset0:77 offset1:78
	v_add_f32_e32 v101, v101, v102
	v_mul_f32_e32 v102, v108, v172
	v_fma_f32 v102, v107, v180, -v102
	s_waitcnt vmcnt(45)
	v_mul_f32_e32 v130, v123, v193
	v_add_f32_e32 v101, v101, v102
	v_mul_f32_e32 v102, v110, v173
	s_waitcnt vmcnt(44)
	v_fmac_f32_e32 v130, v124, v194
	v_fma_f32 v102, v109, v181, -v102
	v_add_f32_e32 v133, v129, v130
	ds_read2_b64 v[129:132], v100 offset0:79 offset1:80
	v_add_f32_e32 v101, v101, v102
	v_mul_f32_e32 v102, v112, v174
	s_waitcnt vmcnt(42) lgkmcnt(1)
	v_mul_f32_e32 v134, v125, v196
	v_fma_f32 v102, v111, v182, -v102
	v_fmac_f32_e32 v134, v126, v195
	v_add_f32_e32 v101, v101, v102
	v_mul_f32_e32 v102, v114, v175
	v_add_f32_e32 v133, v133, v134
	s_waitcnt vmcnt(40)
	v_mul_f32_e32 v134, v127, v198
	v_fma_f32 v102, v113, v183, -v102
	v_fmac_f32_e32 v134, v128, v197
	v_add_f32_e32 v101, v101, v102
	v_mul_f32_e32 v102, v116, v176
	v_add_f32_e32 v133, v133, v134
	s_waitcnt vmcnt(38) lgkmcnt(0)
	v_mul_f32_e32 v134, v129, v200
	v_fma_f32 v102, v115, v184, -v102
	v_fmac_f32_e32 v134, v130, v199
	v_add_f32_e32 v101, v101, v102
	v_mul_f32_e32 v102, v118, v185
	v_add_f32_e32 v137, v133, v134
	ds_read2_b64 v[133:136], v100 offset0:81 offset1:82
	v_fma_f32 v102, v117, v186, -v102
	v_add_f32_e32 v101, v101, v102
	v_mul_f32_e32 v102, v120, v187
	s_waitcnt vmcnt(36)
	v_mul_f32_e32 v138, v131, v202
	v_fma_f32 v102, v119, v188, -v102
	v_fmac_f32_e32 v138, v132, v201
	v_add_f32_e32 v101, v101, v102
	v_mul_f32_e32 v102, v122, v191
	v_add_f32_e32 v141, v137, v138
	ds_read2_b64 v[137:140], v100 offset0:83 offset1:84
	v_fma_f32 v102, v121, v192, -v102
	s_waitcnt vmcnt(34) lgkmcnt(1)
	v_mul_f32_e32 v142, v133, v204
	v_add_f32_e32 v101, v101, v102
	v_mul_f32_e32 v102, v124, v193
	v_fmac_f32_e32 v142, v134, v203
	v_fma_f32 v102, v123, v194, -v102
	v_add_f32_e32 v141, v141, v142
	s_waitcnt vmcnt(32)
	v_mul_f32_e32 v142, v135, v206
	v_add_f32_e32 v101, v101, v102
	v_mul_f32_e32 v102, v126, v196
	v_fmac_f32_e32 v142, v136, v205
	v_fma_f32 v102, v125, v195, -v102
	v_add_f32_e32 v141, v141, v142
	s_waitcnt vmcnt(30) lgkmcnt(0)
	v_mul_f32_e32 v142, v137, v208
	v_add_f32_e32 v101, v101, v102
	v_mul_f32_e32 v102, v128, v198
	v_fmac_f32_e32 v142, v138, v207
	v_fma_f32 v102, v127, v197, -v102
	v_add_f32_e32 v145, v141, v142
	ds_read2_b64 v[141:144], v100 offset0:85 offset1:86
	v_add_f32_e32 v101, v101, v102
	v_mul_f32_e32 v102, v130, v200
	v_fma_f32 v102, v129, v199, -v102
	s_waitcnt vmcnt(28)
	v_mul_f32_e32 v146, v139, v210
	v_add_f32_e32 v101, v101, v102
	v_mul_f32_e32 v102, v132, v202
	v_fmac_f32_e32 v146, v140, v209
	v_fma_f32 v102, v131, v201, -v102
	v_add_f32_e32 v149, v145, v146
	ds_read2_b64 v[145:148], v100 offset0:87 offset1:88
	v_add_f32_e32 v101, v101, v102
	v_mul_f32_e32 v102, v134, v204
	s_waitcnt vmcnt(26) lgkmcnt(1)
	v_mul_f32_e32 v150, v141, v212
	v_fma_f32 v102, v133, v203, -v102
	v_fmac_f32_e32 v150, v142, v211
	v_add_f32_e32 v101, v101, v102
	v_mul_f32_e32 v102, v136, v206
	v_add_f32_e32 v149, v149, v150
	s_waitcnt vmcnt(24)
	v_mul_f32_e32 v150, v143, v214
	v_fma_f32 v102, v135, v205, -v102
	v_fmac_f32_e32 v150, v144, v213
	v_add_f32_e32 v101, v101, v102
	v_mul_f32_e32 v102, v138, v208
	v_add_f32_e32 v149, v149, v150
	s_waitcnt vmcnt(22) lgkmcnt(0)
	v_mul_f32_e32 v150, v145, v216
	v_fma_f32 v102, v137, v207, -v102
	v_fmac_f32_e32 v150, v146, v215
	v_add_f32_e32 v101, v101, v102
	v_mul_f32_e32 v102, v140, v210
	v_add_f32_e32 v153, v149, v150
	ds_read2_b64 v[149:152], v100 offset0:89 offset1:90
	v_fma_f32 v102, v139, v209, -v102
	v_add_f32_e32 v101, v101, v102
	v_mul_f32_e32 v102, v142, v212
	s_waitcnt vmcnt(20)
	v_mul_f32_e32 v154, v147, v218
	v_fma_f32 v102, v141, v211, -v102
	v_fmac_f32_e32 v154, v148, v217
	v_add_f32_e32 v101, v101, v102
	v_mul_f32_e32 v102, v144, v214
	v_add_f32_e32 v157, v153, v154
	ds_read2_b64 v[153:156], v100 offset0:91 offset1:92
	v_fma_f32 v102, v143, v213, -v102
	s_waitcnt vmcnt(18) lgkmcnt(1)
	v_mul_f32_e32 v158, v149, v220
	v_add_f32_e32 v101, v101, v102
	v_mul_f32_e32 v102, v146, v216
	v_fmac_f32_e32 v158, v150, v219
	v_fma_f32 v102, v145, v215, -v102
	v_add_f32_e32 v157, v157, v158
	s_waitcnt vmcnt(16)
	v_mul_f32_e32 v158, v151, v222
	v_add_f32_e32 v101, v101, v102
	v_mul_f32_e32 v102, v148, v218
	v_fmac_f32_e32 v158, v152, v221
	v_fma_f32 v102, v147, v217, -v102
	v_add_f32_e32 v157, v157, v158
	s_waitcnt vmcnt(14) lgkmcnt(0)
	v_mul_f32_e32 v158, v153, v224
	v_add_f32_e32 v101, v101, v102
	v_mul_f32_e32 v102, v150, v220
	v_fmac_f32_e32 v158, v154, v223
	v_fma_f32 v102, v149, v219, -v102
	v_add_f32_e32 v161, v157, v158
	ds_read2_b64 v[157:160], v100 offset0:93 offset1:94
	v_add_f32_e32 v101, v101, v102
	v_mul_f32_e32 v102, v152, v222
	v_fma_f32 v102, v151, v221, -v102
	v_add_f32_e32 v101, v101, v102
	v_mul_f32_e32 v102, v154, v224
	s_waitcnt vmcnt(12)
	v_mul_f32_e32 v162, v155, v226
	v_fma_f32 v102, v153, v223, -v102
	v_fmac_f32_e32 v162, v156, v225
	v_add_f32_e32 v101, v101, v102
	v_mul_f32_e32 v102, v156, v226
	v_add_f32_e32 v165, v161, v162
	ds_read2_b64 v[161:164], v100 offset0:95 offset1:96
	s_waitcnt vmcnt(10) lgkmcnt(1)
	v_mul_f32_e32 v166, v157, v228
	v_fma_f32 v102, v155, v225, -v102
	v_fmac_f32_e32 v166, v158, v227
	v_add_f32_e32 v101, v101, v102
	v_mul_f32_e32 v102, v158, v228
	v_add_f32_e32 v165, v165, v166
	s_waitcnt vmcnt(9)
	v_mul_f32_e32 v166, v159, v229
	v_fma_f32 v102, v157, v227, -v102
	s_waitcnt vmcnt(8)
	v_fmac_f32_e32 v166, v160, v230
	v_add_f32_e32 v101, v101, v102
	v_mul_f32_e32 v102, v160, v229
	v_add_f32_e32 v239, v165, v166
	ds_read2_b64 v[165:168], v100 offset0:97 offset1:98
	v_fma_f32 v102, v159, v230, -v102
	v_add_f32_e32 v101, v101, v102
	s_waitcnt vmcnt(6) lgkmcnt(1)
	v_mul_f32_e32 v102, v162, v232
	v_mul_f32_e32 v240, v161, v232
	v_fma_f32 v102, v161, v231, -v102
	v_fmac_f32_e32 v240, v162, v231
	v_add_f32_e32 v101, v101, v102
	s_waitcnt vmcnt(4)
	v_mul_f32_e32 v102, v164, v234
	v_add_f32_e32 v100, v239, v240
	v_mul_f32_e32 v239, v163, v234
	v_fma_f32 v102, v163, v233, -v102
	v_fmac_f32_e32 v239, v164, v233
	v_add_f32_e32 v101, v101, v102
	s_waitcnt vmcnt(3) lgkmcnt(0)
	v_mul_f32_e32 v102, v166, v235
	v_add_f32_e32 v100, v100, v239
	v_mul_f32_e32 v239, v165, v235
	s_waitcnt vmcnt(2)
	v_fma_f32 v102, v165, v236, -v102
	v_fmac_f32_e32 v239, v166, v236
	v_add_f32_e32 v101, v101, v102
	s_waitcnt vmcnt(0)
	v_mul_f32_e32 v102, v168, v238
	v_add_f32_e32 v100, v100, v239
	v_mul_f32_e32 v239, v167, v238
	v_fma_f32 v102, v167, v237, -v102
	v_fmac_f32_e32 v239, v168, v237
	v_add_f32_e32 v101, v101, v102
	v_add_f32_e32 v100, v100, v239
	v_sub_f32_e32 v101, v189, v101
	v_sub_f32_e32 v100, v190, v100
	buffer_store_dword v101, off, s[0:3], 0 offset:112
	buffer_store_dword v100, off, s[0:3], 0 offset:116
	s_and_saveexec_b64 s[4:5], vcc
	s_cbranch_execz .LBB112_281
; %bb.280:
	buffer_load_dword v100, off, s[0:3], 0 offset:104
	buffer_load_dword v101, off, s[0:3], 0 offset:108
	v_mov_b32_e32 v102, 0
	buffer_store_dword v102, off, s[0:3], 0 offset:104
	buffer_store_dword v102, off, s[0:3], 0 offset:108
	s_waitcnt vmcnt(2)
	ds_write_b64 v99, v[100:101]
.LBB112_281:
	s_or_b64 exec, exec, s[4:5]
	s_waitcnt lgkmcnt(0)
	; wave barrier
	buffer_load_dword v171, off, s[0:3], 0 offset:116
	buffer_load_dword v172, off, s[0:3], 0 offset:124
	;; [unrolled: 1-line block ×56, first 2 shown]
	v_mov_b32_e32 v100, 0
	ds_read_b128 v[101:104], v100 offset:512
	ds_read_b128 v[105:108], v100 offset:528
	;; [unrolled: 1-line block ×6, first 2 shown]
	buffer_load_dword v227, off, s[0:3], 0 offset:328
	buffer_load_dword v228, off, s[0:3], 0 offset:332
	;; [unrolled: 1-line block ×12, first 2 shown]
	v_cmp_lt_u32_e32 vcc, 12, v0
	s_waitcnt vmcnt(62) lgkmcnt(5)
	v_mul_f32_e32 v125, v101, v171
	v_mul_f32_e32 v126, v103, v172
	s_waitcnt lgkmcnt(4)
	v_mul_f32_e32 v127, v105, v173
	v_mul_f32_e32 v128, v107, v174
	s_waitcnt lgkmcnt(3)
	v_mul_f32_e32 v129, v109, v175
	v_mul_f32_e32 v130, v111, v176
	s_waitcnt vmcnt(61) lgkmcnt(2)
	v_mul_f32_e32 v131, v113, v177
	s_waitcnt vmcnt(60)
	v_mul_f32_e32 v132, v115, v178
	s_waitcnt vmcnt(59) lgkmcnt(1)
	v_mul_f32_e32 v133, v117, v179
	s_waitcnt vmcnt(58)
	v_fmac_f32_e32 v125, v102, v180
	s_waitcnt vmcnt(57)
	v_fmac_f32_e32 v126, v104, v181
	v_add_f32_e32 v125, 0, v125
	s_waitcnt vmcnt(56)
	v_fmac_f32_e32 v127, v106, v182
	v_add_f32_e32 v125, v125, v126
	;; [unrolled: 3-line block ×7, first 2 shown]
	v_add_f32_e32 v125, v125, v132
	s_waitcnt vmcnt(50)
	v_fmac_f32_e32 v133, v118, v188
	s_waitcnt vmcnt(49)
	v_mul_f32_e32 v126, v119, v189
	v_add_f32_e32 v125, v125, v133
	s_waitcnt vmcnt(48)
	v_fmac_f32_e32 v126, v120, v190
	v_add_f32_e32 v125, v125, v126
	s_waitcnt vmcnt(47) lgkmcnt(0)
	v_mul_f32_e32 v126, v121, v191
	s_waitcnt vmcnt(44)
	v_fmac_f32_e32 v126, v122, v194
	v_add_f32_e32 v129, v125, v126
	ds_read_b128 v[125:128], v100 offset:608
	buffer_load_dword v239, off, s[0:3], 0 offset:380
	buffer_load_dword v240, off, s[0:3], 0 offset:376
	;; [unrolled: 1-line block ×4, first 2 shown]
	v_mul_f32_e32 v102, v102, v171
	v_fma_f32 v101, v101, v180, -v102
	v_mul_f32_e32 v102, v104, v172
	v_add_f32_e32 v101, 0, v101
	v_fma_f32 v102, v103, v181, -v102
	v_add_f32_e32 v101, v101, v102
	v_mul_f32_e32 v102, v106, v173
	v_fma_f32 v102, v105, v182, -v102
	s_waitcnt vmcnt(46)
	v_mul_f32_e32 v130, v123, v196
	v_add_f32_e32 v101, v101, v102
	v_mul_f32_e32 v102, v108, v174
	v_fmac_f32_e32 v130, v124, v195
	v_fma_f32 v102, v107, v183, -v102
	v_add_f32_e32 v133, v129, v130
	ds_read_b128 v[129:132], v100 offset:624
	v_add_f32_e32 v101, v101, v102
	v_mul_f32_e32 v102, v110, v175
	s_waitcnt vmcnt(44) lgkmcnt(1)
	v_mul_f32_e32 v134, v125, v198
	v_fma_f32 v102, v109, v184, -v102
	v_fmac_f32_e32 v134, v126, v197
	v_add_f32_e32 v101, v101, v102
	v_mul_f32_e32 v102, v112, v176
	v_add_f32_e32 v133, v133, v134
	s_waitcnt vmcnt(42)
	v_mul_f32_e32 v134, v127, v200
	v_fma_f32 v102, v111, v185, -v102
	v_fmac_f32_e32 v134, v128, v199
	v_add_f32_e32 v101, v101, v102
	v_mul_f32_e32 v102, v114, v177
	v_add_f32_e32 v133, v133, v134
	s_waitcnt vmcnt(40) lgkmcnt(0)
	v_mul_f32_e32 v134, v129, v202
	v_fma_f32 v102, v113, v186, -v102
	v_fmac_f32_e32 v134, v130, v201
	v_add_f32_e32 v101, v101, v102
	v_mul_f32_e32 v102, v116, v178
	v_add_f32_e32 v137, v133, v134
	ds_read_b128 v[133:136], v100 offset:640
	v_fma_f32 v102, v115, v187, -v102
	v_add_f32_e32 v101, v101, v102
	v_mul_f32_e32 v102, v118, v179
	s_waitcnt vmcnt(38)
	v_mul_f32_e32 v138, v131, v204
	v_fma_f32 v102, v117, v188, -v102
	v_fmac_f32_e32 v138, v132, v203
	v_add_f32_e32 v101, v101, v102
	v_mul_f32_e32 v102, v120, v189
	v_add_f32_e32 v141, v137, v138
	ds_read_b128 v[137:140], v100 offset:656
	v_fma_f32 v102, v119, v190, -v102
	s_waitcnt vmcnt(36) lgkmcnt(1)
	v_mul_f32_e32 v142, v133, v206
	v_add_f32_e32 v101, v101, v102
	v_mul_f32_e32 v102, v122, v191
	v_fmac_f32_e32 v142, v134, v205
	v_fma_f32 v102, v121, v194, -v102
	v_add_f32_e32 v141, v141, v142
	s_waitcnt vmcnt(34)
	v_mul_f32_e32 v142, v135, v208
	v_add_f32_e32 v101, v101, v102
	v_mul_f32_e32 v102, v124, v196
	v_fmac_f32_e32 v142, v136, v207
	v_fma_f32 v102, v123, v195, -v102
	v_add_f32_e32 v141, v141, v142
	s_waitcnt vmcnt(32) lgkmcnt(0)
	v_mul_f32_e32 v142, v137, v210
	v_add_f32_e32 v101, v101, v102
	v_mul_f32_e32 v102, v126, v198
	v_fmac_f32_e32 v142, v138, v209
	v_fma_f32 v102, v125, v197, -v102
	v_add_f32_e32 v145, v141, v142
	ds_read_b128 v[141:144], v100 offset:672
	v_add_f32_e32 v101, v101, v102
	v_mul_f32_e32 v102, v128, v200
	v_fma_f32 v102, v127, v199, -v102
	s_waitcnt vmcnt(30)
	v_mul_f32_e32 v146, v139, v212
	v_add_f32_e32 v101, v101, v102
	v_mul_f32_e32 v102, v130, v202
	v_fmac_f32_e32 v146, v140, v211
	v_fma_f32 v102, v129, v201, -v102
	v_add_f32_e32 v149, v145, v146
	ds_read_b128 v[145:148], v100 offset:688
	v_add_f32_e32 v101, v101, v102
	v_mul_f32_e32 v102, v132, v204
	s_waitcnt vmcnt(28) lgkmcnt(1)
	v_mul_f32_e32 v150, v141, v214
	v_fma_f32 v102, v131, v203, -v102
	v_fmac_f32_e32 v150, v142, v213
	v_add_f32_e32 v101, v101, v102
	v_mul_f32_e32 v102, v134, v206
	v_add_f32_e32 v149, v149, v150
	s_waitcnt vmcnt(26)
	v_mul_f32_e32 v150, v143, v216
	v_fma_f32 v102, v133, v205, -v102
	v_fmac_f32_e32 v150, v144, v215
	v_add_f32_e32 v101, v101, v102
	v_mul_f32_e32 v102, v136, v208
	v_add_f32_e32 v149, v149, v150
	s_waitcnt vmcnt(24) lgkmcnt(0)
	v_mul_f32_e32 v150, v145, v218
	v_fma_f32 v102, v135, v207, -v102
	v_fmac_f32_e32 v150, v146, v217
	v_add_f32_e32 v101, v101, v102
	v_mul_f32_e32 v102, v138, v210
	v_add_f32_e32 v153, v149, v150
	ds_read_b128 v[149:152], v100 offset:704
	v_fma_f32 v102, v137, v209, -v102
	v_add_f32_e32 v101, v101, v102
	v_mul_f32_e32 v102, v140, v212
	s_waitcnt vmcnt(22)
	v_mul_f32_e32 v154, v147, v220
	v_fma_f32 v102, v139, v211, -v102
	v_fmac_f32_e32 v154, v148, v219
	v_add_f32_e32 v101, v101, v102
	v_mul_f32_e32 v102, v142, v214
	v_add_f32_e32 v157, v153, v154
	ds_read_b128 v[153:156], v100 offset:720
	v_fma_f32 v102, v141, v213, -v102
	s_waitcnt vmcnt(20) lgkmcnt(1)
	v_mul_f32_e32 v158, v149, v222
	v_add_f32_e32 v101, v101, v102
	v_mul_f32_e32 v102, v144, v216
	v_fmac_f32_e32 v158, v150, v221
	v_fma_f32 v102, v143, v215, -v102
	v_add_f32_e32 v157, v157, v158
	s_waitcnt vmcnt(18)
	v_mul_f32_e32 v158, v151, v224
	v_add_f32_e32 v101, v101, v102
	v_mul_f32_e32 v102, v146, v218
	v_fmac_f32_e32 v158, v152, v223
	v_fma_f32 v102, v145, v217, -v102
	v_add_f32_e32 v157, v157, v158
	s_waitcnt vmcnt(16) lgkmcnt(0)
	v_mul_f32_e32 v158, v153, v226
	v_add_f32_e32 v101, v101, v102
	v_mul_f32_e32 v102, v148, v220
	v_fmac_f32_e32 v158, v154, v225
	v_fma_f32 v102, v147, v219, -v102
	v_add_f32_e32 v161, v157, v158
	ds_read_b128 v[157:160], v100 offset:736
	v_add_f32_e32 v101, v101, v102
	v_mul_f32_e32 v102, v150, v222
	v_fma_f32 v102, v149, v221, -v102
	s_waitcnt vmcnt(14)
	v_mul_f32_e32 v162, v155, v228
	v_add_f32_e32 v101, v101, v102
	v_mul_f32_e32 v102, v152, v224
	v_fmac_f32_e32 v162, v156, v227
	v_fma_f32 v102, v151, v223, -v102
	v_add_f32_e32 v165, v161, v162
	ds_read_b128 v[161:164], v100 offset:752
	v_add_f32_e32 v101, v101, v102
	v_mul_f32_e32 v102, v154, v226
	s_waitcnt vmcnt(12) lgkmcnt(1)
	v_mul_f32_e32 v166, v157, v230
	v_fma_f32 v102, v153, v225, -v102
	v_fmac_f32_e32 v166, v158, v229
	v_add_f32_e32 v101, v101, v102
	v_mul_f32_e32 v102, v156, v228
	v_add_f32_e32 v165, v165, v166
	s_waitcnt vmcnt(11)
	v_mul_f32_e32 v166, v159, v231
	v_fma_f32 v102, v155, v227, -v102
	s_waitcnt vmcnt(10)
	v_fmac_f32_e32 v166, v160, v232
	v_add_f32_e32 v101, v101, v102
	v_mul_f32_e32 v102, v158, v230
	v_add_f32_e32 v165, v165, v166
	s_waitcnt vmcnt(8) lgkmcnt(0)
	v_mul_f32_e32 v166, v161, v234
	v_fma_f32 v102, v157, v229, -v102
	v_fmac_f32_e32 v166, v162, v233
	v_add_f32_e32 v101, v101, v102
	v_mul_f32_e32 v102, v160, v231
	v_add_f32_e32 v169, v165, v166
	ds_read_b128 v[165:168], v100 offset:768
	v_fma_f32 v102, v159, v232, -v102
	v_add_f32_e32 v101, v101, v102
	v_mul_f32_e32 v102, v162, v234
	s_waitcnt vmcnt(6)
	v_mul_f32_e32 v170, v163, v236
	v_fma_f32 v102, v161, v233, -v102
	v_fmac_f32_e32 v170, v164, v235
	v_add_f32_e32 v101, v101, v102
	v_mul_f32_e32 v102, v164, v236
	v_add_f32_e32 v243, v169, v170
	ds_read_b64 v[169:170], v100 offset:784
	v_fma_f32 v102, v163, v235, -v102
	v_add_f32_e32 v101, v101, v102
	s_waitcnt vmcnt(4) lgkmcnt(1)
	v_mul_f32_e32 v102, v166, v238
	v_mul_f32_e32 v244, v165, v238
	v_fma_f32 v102, v165, v237, -v102
	v_fmac_f32_e32 v244, v166, v237
	v_add_f32_e32 v101, v101, v102
	s_waitcnt vmcnt(3)
	v_mul_f32_e32 v102, v168, v239
	v_add_f32_e32 v243, v243, v244
	v_mul_f32_e32 v244, v167, v239
	s_waitcnt vmcnt(2)
	v_fma_f32 v102, v167, v240, -v102
	v_fmac_f32_e32 v244, v168, v240
	v_add_f32_e32 v101, v101, v102
	s_waitcnt vmcnt(0) lgkmcnt(0)
	v_mul_f32_e32 v102, v170, v242
	v_add_f32_e32 v243, v243, v244
	v_mul_f32_e32 v244, v169, v242
	v_fma_f32 v102, v169, v241, -v102
	v_fmac_f32_e32 v244, v170, v241
	v_add_f32_e32 v101, v101, v102
	v_add_f32_e32 v243, v243, v244
	v_sub_f32_e32 v101, v192, v101
	v_sub_f32_e32 v102, v193, v243
	buffer_store_dword v101, off, s[0:3], 0 offset:104
	buffer_store_dword v102, off, s[0:3], 0 offset:108
	s_and_saveexec_b64 s[4:5], vcc
	s_cbranch_execz .LBB112_283
; %bb.282:
	buffer_load_dword v101, off, s[0:3], 0 offset:96
	buffer_load_dword v102, off, s[0:3], 0 offset:100
	s_waitcnt vmcnt(0)
	ds_write_b64 v99, v[101:102]
	buffer_store_dword v100, off, s[0:3], 0 offset:96
	buffer_store_dword v100, off, s[0:3], 0 offset:100
.LBB112_283:
	s_or_b64 exec, exec, s[4:5]
	s_waitcnt lgkmcnt(0)
	; wave barrier
	buffer_load_dword v173, off, s[0:3], 0 offset:108
	buffer_load_dword v174, off, s[0:3], 0 offset:116
	;; [unrolled: 1-line block ×26, first 2 shown]
	ds_read2_b64 v[101:104], v100 offset0:63 offset1:64
	ds_read2_b64 v[105:108], v100 offset0:65 offset1:66
	;; [unrolled: 1-line block ×6, first 2 shown]
	buffer_load_dword v199, off, s[0:3], 0 offset:200
	buffer_load_dword v200, off, s[0:3], 0 offset:204
	;; [unrolled: 1-line block ×42, first 2 shown]
	v_cmp_lt_u32_e32 vcc, 11, v0
	s_waitcnt vmcnt(62) lgkmcnt(5)
	v_mul_f32_e32 v125, v101, v173
	v_mul_f32_e32 v126, v103, v174
	s_waitcnt lgkmcnt(4)
	v_mul_f32_e32 v127, v105, v175
	v_mul_f32_e32 v128, v107, v176
	s_waitcnt lgkmcnt(3)
	v_mul_f32_e32 v129, v109, v177
	v_mul_f32_e32 v130, v111, v178
	s_waitcnt vmcnt(61) lgkmcnt(2)
	v_mul_f32_e32 v131, v113, v179
	s_waitcnt vmcnt(60)
	v_mul_f32_e32 v132, v115, v180
	s_waitcnt vmcnt(59) lgkmcnt(1)
	v_mul_f32_e32 v133, v117, v181
	s_waitcnt vmcnt(58)
	v_fmac_f32_e32 v125, v102, v182
	s_waitcnt vmcnt(57)
	v_fmac_f32_e32 v126, v104, v183
	v_add_f32_e32 v125, 0, v125
	s_waitcnt vmcnt(56)
	v_fmac_f32_e32 v127, v106, v184
	v_add_f32_e32 v125, v125, v126
	s_waitcnt vmcnt(55)
	v_fmac_f32_e32 v128, v108, v185
	v_add_f32_e32 v125, v125, v127
	s_waitcnt vmcnt(54)
	v_fmac_f32_e32 v129, v110, v186
	v_add_f32_e32 v125, v125, v128
	s_waitcnt vmcnt(53)
	v_fmac_f32_e32 v130, v112, v187
	v_add_f32_e32 v125, v125, v129
	s_waitcnt vmcnt(52)
	v_fmac_f32_e32 v131, v114, v188
	v_add_f32_e32 v125, v125, v130
	s_waitcnt vmcnt(51)
	v_fmac_f32_e32 v132, v116, v189
	v_add_f32_e32 v125, v125, v131
	s_waitcnt vmcnt(50)
	v_fmac_f32_e32 v133, v118, v190
	v_add_f32_e32 v125, v125, v132
	s_waitcnt vmcnt(49)
	v_mul_f32_e32 v126, v119, v191
	v_add_f32_e32 v125, v125, v133
	s_waitcnt vmcnt(48)
	v_fmac_f32_e32 v126, v120, v192
	v_add_f32_e32 v125, v125, v126
	s_waitcnt vmcnt(47) lgkmcnt(0)
	v_mul_f32_e32 v126, v121, v193
	s_waitcnt vmcnt(46)
	v_fmac_f32_e32 v126, v122, v194
	v_add_f32_e32 v125, v125, v126
	s_waitcnt vmcnt(42)
	v_mul_f32_e32 v126, v123, v198
	v_fmac_f32_e32 v126, v124, v197
	v_add_f32_e32 v133, v125, v126
	ds_read2_b64 v[125:128], v100 offset0:75 offset1:76
	buffer_load_dword v241, off, s[0:3], 0 offset:372
	buffer_load_dword v242, off, s[0:3], 0 offset:368
	;; [unrolled: 1-line block ×4, first 2 shown]
	ds_read2_b64 v[129:132], v100 offset0:77 offset1:78
	buffer_load_dword v245, off, s[0:3], 0 offset:384
	buffer_load_dword v246, off, s[0:3], 0 offset:388
	v_mul_f32_e32 v102, v102, v173
	v_fma_f32 v101, v101, v182, -v102
	v_mul_f32_e32 v102, v104, v174
	v_add_f32_e32 v101, 0, v101
	v_fma_f32 v102, v103, v183, -v102
	v_add_f32_e32 v101, v101, v102
	v_mul_f32_e32 v102, v106, v175
	v_fma_f32 v102, v105, v184, -v102
	v_add_f32_e32 v101, v101, v102
	v_mul_f32_e32 v102, v108, v176
	;; [unrolled: 3-line block ×3, first 2 shown]
	s_waitcnt vmcnt(46) lgkmcnt(1)
	v_mul_f32_e32 v134, v125, v200
	v_fma_f32 v102, v109, v186, -v102
	v_fmac_f32_e32 v134, v126, v199
	v_add_f32_e32 v101, v101, v102
	v_mul_f32_e32 v102, v112, v178
	v_add_f32_e32 v133, v133, v134
	s_waitcnt vmcnt(44)
	v_mul_f32_e32 v134, v127, v202
	v_fma_f32 v102, v111, v187, -v102
	v_fmac_f32_e32 v134, v128, v201
	v_add_f32_e32 v101, v101, v102
	v_mul_f32_e32 v102, v114, v179
	v_add_f32_e32 v133, v133, v134
	s_waitcnt vmcnt(42) lgkmcnt(0)
	v_mul_f32_e32 v134, v129, v204
	v_fma_f32 v102, v113, v188, -v102
	v_fmac_f32_e32 v134, v130, v203
	v_add_f32_e32 v101, v101, v102
	v_mul_f32_e32 v102, v116, v180
	v_add_f32_e32 v137, v133, v134
	ds_read2_b64 v[133:136], v100 offset0:79 offset1:80
	v_fma_f32 v102, v115, v189, -v102
	v_add_f32_e32 v101, v101, v102
	v_mul_f32_e32 v102, v118, v181
	s_waitcnt vmcnt(40)
	v_mul_f32_e32 v138, v131, v206
	v_fma_f32 v102, v117, v190, -v102
	v_fmac_f32_e32 v138, v132, v205
	v_add_f32_e32 v101, v101, v102
	v_mul_f32_e32 v102, v120, v191
	v_add_f32_e32 v141, v137, v138
	ds_read2_b64 v[137:140], v100 offset0:81 offset1:82
	v_fma_f32 v102, v119, v192, -v102
	s_waitcnt vmcnt(38) lgkmcnt(1)
	v_mul_f32_e32 v142, v133, v208
	v_add_f32_e32 v101, v101, v102
	v_mul_f32_e32 v102, v122, v193
	v_fmac_f32_e32 v142, v134, v207
	v_fma_f32 v102, v121, v194, -v102
	v_add_f32_e32 v141, v141, v142
	s_waitcnt vmcnt(36)
	v_mul_f32_e32 v142, v135, v210
	v_add_f32_e32 v101, v101, v102
	v_mul_f32_e32 v102, v124, v198
	v_fmac_f32_e32 v142, v136, v209
	v_fma_f32 v102, v123, v197, -v102
	v_add_f32_e32 v141, v141, v142
	s_waitcnt vmcnt(34) lgkmcnt(0)
	v_mul_f32_e32 v142, v137, v212
	v_add_f32_e32 v101, v101, v102
	v_mul_f32_e32 v102, v126, v200
	v_fmac_f32_e32 v142, v138, v211
	v_fma_f32 v102, v125, v199, -v102
	v_add_f32_e32 v145, v141, v142
	ds_read2_b64 v[141:144], v100 offset0:83 offset1:84
	v_add_f32_e32 v101, v101, v102
	v_mul_f32_e32 v102, v128, v202
	v_fma_f32 v102, v127, v201, -v102
	s_waitcnt vmcnt(32)
	v_mul_f32_e32 v146, v139, v214
	v_add_f32_e32 v101, v101, v102
	v_mul_f32_e32 v102, v130, v204
	v_fmac_f32_e32 v146, v140, v213
	v_fma_f32 v102, v129, v203, -v102
	v_add_f32_e32 v149, v145, v146
	ds_read2_b64 v[145:148], v100 offset0:85 offset1:86
	v_add_f32_e32 v101, v101, v102
	v_mul_f32_e32 v102, v132, v206
	s_waitcnt vmcnt(30) lgkmcnt(1)
	v_mul_f32_e32 v150, v141, v216
	v_fma_f32 v102, v131, v205, -v102
	v_fmac_f32_e32 v150, v142, v215
	v_add_f32_e32 v101, v101, v102
	v_mul_f32_e32 v102, v134, v208
	v_add_f32_e32 v149, v149, v150
	s_waitcnt vmcnt(28)
	v_mul_f32_e32 v150, v143, v218
	v_fma_f32 v102, v133, v207, -v102
	v_fmac_f32_e32 v150, v144, v217
	v_add_f32_e32 v101, v101, v102
	v_mul_f32_e32 v102, v136, v210
	v_add_f32_e32 v149, v149, v150
	s_waitcnt vmcnt(26) lgkmcnt(0)
	v_mul_f32_e32 v150, v145, v220
	v_fma_f32 v102, v135, v209, -v102
	v_fmac_f32_e32 v150, v146, v219
	v_add_f32_e32 v101, v101, v102
	v_mul_f32_e32 v102, v138, v212
	v_add_f32_e32 v153, v149, v150
	ds_read2_b64 v[149:152], v100 offset0:87 offset1:88
	v_fma_f32 v102, v137, v211, -v102
	v_add_f32_e32 v101, v101, v102
	v_mul_f32_e32 v102, v140, v214
	s_waitcnt vmcnt(24)
	v_mul_f32_e32 v154, v147, v222
	v_fma_f32 v102, v139, v213, -v102
	v_fmac_f32_e32 v154, v148, v221
	v_add_f32_e32 v101, v101, v102
	v_mul_f32_e32 v102, v142, v216
	v_add_f32_e32 v157, v153, v154
	ds_read2_b64 v[153:156], v100 offset0:89 offset1:90
	v_fma_f32 v102, v141, v215, -v102
	s_waitcnt vmcnt(22) lgkmcnt(1)
	v_mul_f32_e32 v158, v149, v224
	v_add_f32_e32 v101, v101, v102
	v_mul_f32_e32 v102, v144, v218
	v_fmac_f32_e32 v158, v150, v223
	v_fma_f32 v102, v143, v217, -v102
	v_add_f32_e32 v157, v157, v158
	s_waitcnt vmcnt(20)
	v_mul_f32_e32 v158, v151, v226
	v_add_f32_e32 v101, v101, v102
	v_mul_f32_e32 v102, v146, v220
	v_fmac_f32_e32 v158, v152, v225
	v_fma_f32 v102, v145, v219, -v102
	v_add_f32_e32 v157, v157, v158
	s_waitcnt vmcnt(18) lgkmcnt(0)
	v_mul_f32_e32 v158, v153, v228
	v_add_f32_e32 v101, v101, v102
	v_mul_f32_e32 v102, v148, v222
	v_fmac_f32_e32 v158, v154, v227
	v_fma_f32 v102, v147, v221, -v102
	v_add_f32_e32 v161, v157, v158
	ds_read2_b64 v[157:160], v100 offset0:91 offset1:92
	v_add_f32_e32 v101, v101, v102
	v_mul_f32_e32 v102, v150, v224
	v_fma_f32 v102, v149, v223, -v102
	s_waitcnt vmcnt(16)
	v_mul_f32_e32 v162, v155, v230
	v_add_f32_e32 v101, v101, v102
	v_mul_f32_e32 v102, v152, v226
	v_fmac_f32_e32 v162, v156, v229
	v_fma_f32 v102, v151, v225, -v102
	v_add_f32_e32 v165, v161, v162
	ds_read2_b64 v[161:164], v100 offset0:93 offset1:94
	v_add_f32_e32 v101, v101, v102
	v_mul_f32_e32 v102, v154, v228
	s_waitcnt vmcnt(14) lgkmcnt(1)
	v_mul_f32_e32 v166, v157, v232
	v_fma_f32 v102, v153, v227, -v102
	v_fmac_f32_e32 v166, v158, v231
	v_add_f32_e32 v101, v101, v102
	v_mul_f32_e32 v102, v156, v230
	v_add_f32_e32 v165, v165, v166
	s_waitcnt vmcnt(13)
	v_mul_f32_e32 v166, v159, v233
	v_fma_f32 v102, v155, v229, -v102
	s_waitcnt vmcnt(12)
	v_fmac_f32_e32 v166, v160, v234
	v_add_f32_e32 v101, v101, v102
	v_mul_f32_e32 v102, v158, v232
	v_add_f32_e32 v165, v165, v166
	s_waitcnt vmcnt(10) lgkmcnt(0)
	v_mul_f32_e32 v166, v161, v236
	v_fma_f32 v102, v157, v231, -v102
	v_fmac_f32_e32 v166, v162, v235
	v_add_f32_e32 v101, v101, v102
	v_mul_f32_e32 v102, v160, v233
	v_add_f32_e32 v169, v165, v166
	ds_read2_b64 v[165:168], v100 offset0:95 offset1:96
	v_fma_f32 v102, v159, v234, -v102
	v_add_f32_e32 v101, v101, v102
	v_mul_f32_e32 v102, v162, v236
	s_waitcnt vmcnt(8)
	v_mul_f32_e32 v170, v163, v238
	v_fma_f32 v102, v161, v235, -v102
	v_fmac_f32_e32 v170, v164, v237
	v_add_f32_e32 v101, v101, v102
	v_mul_f32_e32 v102, v164, v238
	v_add_f32_e32 v247, v169, v170
	ds_read2_b64 v[169:172], v100 offset0:97 offset1:98
	v_fma_f32 v102, v163, v237, -v102
	v_add_f32_e32 v101, v101, v102
	s_waitcnt vmcnt(6) lgkmcnt(1)
	v_mul_f32_e32 v102, v166, v240
	v_mul_f32_e32 v100, v165, v240
	v_fma_f32 v102, v165, v239, -v102
	v_fmac_f32_e32 v100, v166, v239
	v_add_f32_e32 v101, v101, v102
	s_waitcnt vmcnt(5)
	v_mul_f32_e32 v102, v168, v241
	v_add_f32_e32 v100, v247, v100
	v_mul_f32_e32 v247, v167, v241
	s_waitcnt vmcnt(4)
	v_fma_f32 v102, v167, v242, -v102
	v_fmac_f32_e32 v247, v168, v242
	v_add_f32_e32 v101, v101, v102
	s_waitcnt vmcnt(2) lgkmcnt(0)
	v_mul_f32_e32 v102, v170, v244
	v_add_f32_e32 v100, v100, v247
	v_mul_f32_e32 v247, v169, v244
	v_fma_f32 v102, v169, v243, -v102
	v_fmac_f32_e32 v247, v170, v243
	v_add_f32_e32 v101, v101, v102
	s_waitcnt vmcnt(0)
	v_mul_f32_e32 v102, v172, v246
	v_add_f32_e32 v100, v100, v247
	v_mul_f32_e32 v247, v171, v246
	v_fma_f32 v102, v171, v245, -v102
	v_fmac_f32_e32 v247, v172, v245
	v_add_f32_e32 v101, v101, v102
	v_add_f32_e32 v100, v100, v247
	v_sub_f32_e32 v101, v195, v101
	v_sub_f32_e32 v100, v196, v100
	buffer_store_dword v101, off, s[0:3], 0 offset:96
	buffer_store_dword v100, off, s[0:3], 0 offset:100
	s_and_saveexec_b64 s[4:5], vcc
	s_cbranch_execz .LBB112_285
; %bb.284:
	buffer_load_dword v100, off, s[0:3], 0 offset:88
	buffer_load_dword v101, off, s[0:3], 0 offset:92
	v_mov_b32_e32 v102, 0
	buffer_store_dword v102, off, s[0:3], 0 offset:88
	buffer_store_dword v102, off, s[0:3], 0 offset:92
	s_waitcnt vmcnt(2)
	ds_write_b64 v99, v[100:101]
.LBB112_285:
	s_or_b64 exec, exec, s[4:5]
	s_waitcnt lgkmcnt(0)
	; wave barrier
	buffer_load_dword v175, off, s[0:3], 0 offset:100
	buffer_load_dword v176, off, s[0:3], 0 offset:108
	;; [unrolled: 1-line block ×52, first 2 shown]
	v_mov_b32_e32 v100, 0
	ds_read_b128 v[101:104], v100 offset:496
	ds_read_b128 v[105:108], v100 offset:512
	;; [unrolled: 1-line block ×6, first 2 shown]
	buffer_load_dword v227, off, s[0:3], 0 offset:300
	buffer_load_dword v228, off, s[0:3], 0 offset:296
	;; [unrolled: 1-line block ×14, first 2 shown]
	v_cmp_lt_u32_e32 vcc, 10, v0
	s_waitcnt vmcnt(62) lgkmcnt(5)
	v_mul_f32_e32 v125, v101, v175
	v_mul_f32_e32 v126, v103, v176
	s_waitcnt lgkmcnt(4)
	v_mul_f32_e32 v127, v105, v177
	v_mul_f32_e32 v128, v107, v178
	s_waitcnt vmcnt(61) lgkmcnt(3)
	v_mul_f32_e32 v129, v109, v179
	s_waitcnt vmcnt(60)
	v_mul_f32_e32 v130, v111, v180
	s_waitcnt vmcnt(59) lgkmcnt(2)
	v_mul_f32_e32 v131, v113, v181
	s_waitcnt vmcnt(58)
	;; [unrolled: 4-line block ×3, first 2 shown]
	v_fmac_f32_e32 v125, v102, v184
	s_waitcnt vmcnt(55)
	v_fmac_f32_e32 v126, v104, v185
	v_add_f32_e32 v125, 0, v125
	s_waitcnt vmcnt(54)
	v_fmac_f32_e32 v127, v106, v186
	v_add_f32_e32 v125, v125, v126
	;; [unrolled: 3-line block ×8, first 2 shown]
	s_waitcnt vmcnt(47)
	v_mul_f32_e32 v126, v119, v193
	v_add_f32_e32 v125, v125, v133
	s_waitcnt vmcnt(46)
	v_fmac_f32_e32 v126, v120, v194
	v_add_f32_e32 v125, v125, v126
	s_waitcnt vmcnt(45) lgkmcnt(0)
	v_mul_f32_e32 v126, v121, v195
	s_waitcnt vmcnt(44)
	v_fmac_f32_e32 v126, v122, v196
	v_add_f32_e32 v129, v125, v126
	ds_read_b128 v[125:128], v100 offset:592
	buffer_load_dword v241, off, s[0:3], 0 offset:352
	buffer_load_dword v242, off, s[0:3], 0 offset:356
	s_waitcnt vmcnt(43)
	v_mul_f32_e32 v130, v123, v199
	s_waitcnt vmcnt(42)
	v_fmac_f32_e32 v130, v124, v200
	v_add_f32_e32 v133, v129, v130
	ds_read_b128 v[129:132], v100 offset:608
	buffer_load_dword v243, off, s[0:3], 0 offset:364
	buffer_load_dword v244, off, s[0:3], 0 offset:360
	;; [unrolled: 1-line block ×8, first 2 shown]
	v_mul_f32_e32 v102, v102, v175
	v_fma_f32 v101, v101, v184, -v102
	v_mul_f32_e32 v102, v104, v176
	v_add_f32_e32 v101, 0, v101
	v_fma_f32 v102, v103, v185, -v102
	v_add_f32_e32 v101, v101, v102
	v_mul_f32_e32 v102, v106, v177
	v_fma_f32 v102, v105, v186, -v102
	v_add_f32_e32 v101, v101, v102
	v_mul_f32_e32 v102, v108, v178
	v_fma_f32 v102, v107, v187, -v102
	s_waitcnt vmcnt(48) lgkmcnt(1)
	v_mul_f32_e32 v134, v125, v202
	v_add_f32_e32 v101, v101, v102
	v_mul_f32_e32 v102, v110, v179
	v_fmac_f32_e32 v134, v126, v201
	v_fma_f32 v102, v109, v188, -v102
	v_add_f32_e32 v133, v133, v134
	s_waitcnt vmcnt(46)
	v_mul_f32_e32 v134, v127, v204
	v_add_f32_e32 v101, v101, v102
	v_mul_f32_e32 v102, v112, v180
	v_fmac_f32_e32 v134, v128, v203
	v_fma_f32 v102, v111, v189, -v102
	v_add_f32_e32 v133, v133, v134
	s_waitcnt vmcnt(44) lgkmcnt(0)
	v_mul_f32_e32 v134, v129, v206
	v_add_f32_e32 v101, v101, v102
	v_mul_f32_e32 v102, v114, v181
	v_fmac_f32_e32 v134, v130, v205
	v_fma_f32 v102, v113, v190, -v102
	v_add_f32_e32 v137, v133, v134
	ds_read_b128 v[133:136], v100 offset:624
	v_add_f32_e32 v101, v101, v102
	v_mul_f32_e32 v102, v116, v182
	v_fma_f32 v102, v115, v191, -v102
	s_waitcnt vmcnt(42)
	v_mul_f32_e32 v138, v131, v208
	v_add_f32_e32 v101, v101, v102
	v_mul_f32_e32 v102, v118, v183
	v_fmac_f32_e32 v138, v132, v207
	v_fma_f32 v102, v117, v192, -v102
	v_add_f32_e32 v141, v137, v138
	ds_read_b128 v[137:140], v100 offset:640
	v_add_f32_e32 v101, v101, v102
	v_mul_f32_e32 v102, v120, v193
	s_waitcnt vmcnt(40) lgkmcnt(1)
	v_mul_f32_e32 v142, v133, v210
	v_fma_f32 v102, v119, v194, -v102
	v_fmac_f32_e32 v142, v134, v209
	v_add_f32_e32 v101, v101, v102
	v_mul_f32_e32 v102, v122, v195
	v_add_f32_e32 v141, v141, v142
	s_waitcnt vmcnt(38)
	v_mul_f32_e32 v142, v135, v212
	v_fma_f32 v102, v121, v196, -v102
	v_fmac_f32_e32 v142, v136, v211
	v_add_f32_e32 v101, v101, v102
	v_mul_f32_e32 v102, v124, v199
	v_add_f32_e32 v141, v141, v142
	s_waitcnt vmcnt(36) lgkmcnt(0)
	v_mul_f32_e32 v142, v137, v214
	v_fma_f32 v102, v123, v200, -v102
	v_fmac_f32_e32 v142, v138, v213
	v_add_f32_e32 v101, v101, v102
	v_mul_f32_e32 v102, v126, v202
	v_add_f32_e32 v145, v141, v142
	ds_read_b128 v[141:144], v100 offset:656
	v_fma_f32 v102, v125, v201, -v102
	v_add_f32_e32 v101, v101, v102
	v_mul_f32_e32 v102, v128, v204
	s_waitcnt vmcnt(34)
	v_mul_f32_e32 v146, v139, v216
	v_fma_f32 v102, v127, v203, -v102
	v_fmac_f32_e32 v146, v140, v215
	v_add_f32_e32 v101, v101, v102
	v_mul_f32_e32 v102, v130, v206
	v_add_f32_e32 v149, v145, v146
	ds_read_b128 v[145:148], v100 offset:672
	v_fma_f32 v102, v129, v205, -v102
	s_waitcnt vmcnt(32) lgkmcnt(1)
	v_mul_f32_e32 v150, v141, v218
	v_add_f32_e32 v101, v101, v102
	v_mul_f32_e32 v102, v132, v208
	v_fmac_f32_e32 v150, v142, v217
	v_fma_f32 v102, v131, v207, -v102
	v_add_f32_e32 v149, v149, v150
	s_waitcnt vmcnt(30)
	v_mul_f32_e32 v150, v143, v220
	v_add_f32_e32 v101, v101, v102
	v_mul_f32_e32 v102, v134, v210
	v_fmac_f32_e32 v150, v144, v219
	v_fma_f32 v102, v133, v209, -v102
	v_add_f32_e32 v149, v149, v150
	s_waitcnt vmcnt(28) lgkmcnt(0)
	v_mul_f32_e32 v150, v145, v222
	v_add_f32_e32 v101, v101, v102
	v_mul_f32_e32 v102, v136, v212
	v_fmac_f32_e32 v150, v146, v221
	v_fma_f32 v102, v135, v211, -v102
	v_add_f32_e32 v153, v149, v150
	ds_read_b128 v[149:152], v100 offset:688
	v_add_f32_e32 v101, v101, v102
	v_mul_f32_e32 v102, v138, v214
	v_fma_f32 v102, v137, v213, -v102
	s_waitcnt vmcnt(26)
	v_mul_f32_e32 v154, v147, v224
	v_add_f32_e32 v101, v101, v102
	v_mul_f32_e32 v102, v140, v216
	v_fmac_f32_e32 v154, v148, v223
	v_fma_f32 v102, v139, v215, -v102
	v_add_f32_e32 v157, v153, v154
	ds_read_b128 v[153:156], v100 offset:704
	v_add_f32_e32 v101, v101, v102
	v_mul_f32_e32 v102, v142, v218
	s_waitcnt vmcnt(24) lgkmcnt(1)
	v_mul_f32_e32 v158, v149, v226
	v_fma_f32 v102, v141, v217, -v102
	v_fmac_f32_e32 v158, v150, v225
	v_add_f32_e32 v101, v101, v102
	v_mul_f32_e32 v102, v144, v220
	v_add_f32_e32 v157, v157, v158
	s_waitcnt vmcnt(23)
	v_mul_f32_e32 v158, v151, v227
	v_fma_f32 v102, v143, v219, -v102
	s_waitcnt vmcnt(22)
	v_fmac_f32_e32 v158, v152, v228
	v_add_f32_e32 v101, v101, v102
	v_mul_f32_e32 v102, v146, v222
	v_add_f32_e32 v157, v157, v158
	s_waitcnt vmcnt(20) lgkmcnt(0)
	v_mul_f32_e32 v158, v153, v230
	v_fma_f32 v102, v145, v221, -v102
	v_fmac_f32_e32 v158, v154, v229
	v_add_f32_e32 v101, v101, v102
	v_mul_f32_e32 v102, v148, v224
	v_add_f32_e32 v161, v157, v158
	ds_read_b128 v[157:160], v100 offset:720
	v_fma_f32 v102, v147, v223, -v102
	v_add_f32_e32 v101, v101, v102
	v_mul_f32_e32 v102, v150, v226
	s_waitcnt vmcnt(18)
	v_mul_f32_e32 v162, v155, v232
	v_fma_f32 v102, v149, v225, -v102
	v_fmac_f32_e32 v162, v156, v231
	v_add_f32_e32 v101, v101, v102
	v_mul_f32_e32 v102, v152, v227
	v_add_f32_e32 v165, v161, v162
	ds_read_b128 v[161:164], v100 offset:736
	v_fma_f32 v102, v151, v228, -v102
	s_waitcnt vmcnt(16) lgkmcnt(1)
	v_mul_f32_e32 v166, v157, v234
	v_add_f32_e32 v101, v101, v102
	v_mul_f32_e32 v102, v154, v230
	v_fmac_f32_e32 v166, v158, v233
	v_fma_f32 v102, v153, v229, -v102
	v_add_f32_e32 v165, v165, v166
	s_waitcnt vmcnt(15)
	v_mul_f32_e32 v166, v159, v235
	v_add_f32_e32 v101, v101, v102
	v_mul_f32_e32 v102, v156, v232
	s_waitcnt vmcnt(14)
	v_fmac_f32_e32 v166, v160, v236
	v_fma_f32 v102, v155, v231, -v102
	v_add_f32_e32 v165, v165, v166
	s_waitcnt vmcnt(12) lgkmcnt(0)
	v_mul_f32_e32 v166, v161, v238
	v_add_f32_e32 v101, v101, v102
	v_mul_f32_e32 v102, v158, v234
	v_fmac_f32_e32 v166, v162, v237
	v_fma_f32 v102, v157, v233, -v102
	v_add_f32_e32 v169, v165, v166
	ds_read_b128 v[165:168], v100 offset:752
	v_add_f32_e32 v101, v101, v102
	v_mul_f32_e32 v102, v160, v235
	v_fma_f32 v102, v159, v236, -v102
	v_add_f32_e32 v101, v101, v102
	v_mul_f32_e32 v102, v162, v238
	s_waitcnt vmcnt(10)
	v_mul_f32_e32 v170, v163, v240
	v_fma_f32 v102, v161, v237, -v102
	v_fmac_f32_e32 v170, v164, v239
	v_add_f32_e32 v101, v101, v102
	v_mul_f32_e32 v102, v164, v240
	v_add_f32_e32 v173, v169, v170
	ds_read_b128 v[169:172], v100 offset:768
	s_waitcnt vmcnt(8) lgkmcnt(1)
	v_mul_f32_e32 v174, v165, v242
	v_fma_f32 v102, v163, v239, -v102
	v_fmac_f32_e32 v174, v166, v241
	v_add_f32_e32 v101, v101, v102
	v_mul_f32_e32 v102, v166, v242
	v_add_f32_e32 v173, v173, v174
	s_waitcnt vmcnt(7)
	v_mul_f32_e32 v174, v167, v243
	v_fma_f32 v102, v165, v241, -v102
	s_waitcnt vmcnt(6)
	v_fmac_f32_e32 v174, v168, v244
	v_add_f32_e32 v101, v101, v102
	v_mul_f32_e32 v102, v168, v243
	v_add_f32_e32 v251, v173, v174
	ds_read_b64 v[173:174], v100 offset:784
	v_fma_f32 v102, v167, v244, -v102
	v_add_f32_e32 v101, v101, v102
	s_waitcnt vmcnt(4) lgkmcnt(1)
	v_mul_f32_e32 v102, v170, v246
	v_mul_f32_e32 v252, v169, v246
	v_fma_f32 v102, v169, v245, -v102
	v_fmac_f32_e32 v252, v170, v245
	v_add_f32_e32 v101, v101, v102
	s_waitcnt vmcnt(3)
	v_mul_f32_e32 v102, v172, v247
	v_add_f32_e32 v251, v251, v252
	v_mul_f32_e32 v252, v171, v247
	s_waitcnt vmcnt(2)
	v_fma_f32 v102, v171, v248, -v102
	v_fmac_f32_e32 v252, v172, v248
	v_add_f32_e32 v101, v101, v102
	s_waitcnt vmcnt(0) lgkmcnt(0)
	v_mul_f32_e32 v102, v174, v250
	v_add_f32_e32 v251, v251, v252
	v_mul_f32_e32 v252, v173, v250
	v_fma_f32 v102, v173, v249, -v102
	v_fmac_f32_e32 v252, v174, v249
	v_add_f32_e32 v101, v101, v102
	v_add_f32_e32 v251, v251, v252
	v_sub_f32_e32 v101, v197, v101
	v_sub_f32_e32 v102, v198, v251
	buffer_store_dword v101, off, s[0:3], 0 offset:88
	buffer_store_dword v102, off, s[0:3], 0 offset:92
	s_and_saveexec_b64 s[4:5], vcc
	s_cbranch_execz .LBB112_287
; %bb.286:
	buffer_load_dword v101, off, s[0:3], 0 offset:80
	buffer_load_dword v102, off, s[0:3], 0 offset:84
	s_waitcnt vmcnt(0)
	ds_write_b64 v99, v[101:102]
	buffer_store_dword v100, off, s[0:3], 0 offset:80
	buffer_store_dword v100, off, s[0:3], 0 offset:84
.LBB112_287:
	s_or_b64 exec, exec, s[4:5]
	s_waitcnt lgkmcnt(0)
	; wave barrier
	buffer_load_dword v177, off, s[0:3], 0 offset:92
	buffer_load_dword v178, off, s[0:3], 0 offset:100
	;; [unrolled: 1-line block ×32, first 2 shown]
	ds_read2_b64 v[101:104], v100 offset0:61 offset1:62
	ds_read2_b64 v[105:108], v100 offset0:63 offset1:64
	;; [unrolled: 1-line block ×6, first 2 shown]
	buffer_load_dword v209, off, s[0:3], 0 offset:208
	buffer_load_dword v210, off, s[0:3], 0 offset:212
	buffer_load_dword v211, off, s[0:3], 0 offset:216
	buffer_load_dword v212, off, s[0:3], 0 offset:220
	buffer_load_dword v213, off, s[0:3], 0 offset:224
	buffer_load_dword v214, off, s[0:3], 0 offset:228
	buffer_load_dword v215, off, s[0:3], 0 offset:232
	buffer_load_dword v216, off, s[0:3], 0 offset:236
	buffer_load_dword v217, off, s[0:3], 0 offset:240
	buffer_load_dword v218, off, s[0:3], 0 offset:244
	buffer_load_dword v219, off, s[0:3], 0 offset:248
	buffer_load_dword v220, off, s[0:3], 0 offset:252
	buffer_load_dword v221, off, s[0:3], 0 offset:256
	buffer_load_dword v222, off, s[0:3], 0 offset:260
	buffer_load_dword v223, off, s[0:3], 0 offset:264
	buffer_load_dword v224, off, s[0:3], 0 offset:268
	buffer_load_dword v225, off, s[0:3], 0 offset:272
	buffer_load_dword v226, off, s[0:3], 0 offset:276
	buffer_load_dword v227, off, s[0:3], 0 offset:280
	buffer_load_dword v228, off, s[0:3], 0 offset:284
	buffer_load_dword v229, off, s[0:3], 0 offset:292
	buffer_load_dword v230, off, s[0:3], 0 offset:296
	buffer_load_dword v231, off, s[0:3], 0 offset:300
	buffer_load_dword v232, off, s[0:3], 0 offset:288
	buffer_load_dword v233, off, s[0:3], 0 offset:304
	buffer_load_dword v234, off, s[0:3], 0 offset:308
	buffer_load_dword v235, off, s[0:3], 0 offset:312
	buffer_load_dword v236, off, s[0:3], 0 offset:316
	buffer_load_dword v237, off, s[0:3], 0 offset:324
	buffer_load_dword v238, off, s[0:3], 0 offset:328
	buffer_load_dword v239, off, s[0:3], 0 offset:332
	buffer_load_dword v240, off, s[0:3], 0 offset:320
	v_cmp_lt_u32_e32 vcc, 9, v0
	s_waitcnt vmcnt(62) lgkmcnt(5)
	v_mul_f32_e32 v125, v101, v177
	v_mul_f32_e32 v126, v103, v178
	s_waitcnt vmcnt(61) lgkmcnt(4)
	v_mul_f32_e32 v127, v105, v179
	s_waitcnt vmcnt(60)
	v_mul_f32_e32 v128, v107, v180
	s_waitcnt vmcnt(59) lgkmcnt(3)
	v_mul_f32_e32 v129, v109, v181
	s_waitcnt vmcnt(58)
	;; [unrolled: 4-line block ×4, first 2 shown]
	v_mul_f32_e32 v134, v119, v186
	s_waitcnt vmcnt(53)
	v_fmac_f32_e32 v127, v106, v187
	s_waitcnt vmcnt(52)
	v_fmac_f32_e32 v126, v104, v188
	;; [unrolled: 2-line block ×3, first 2 shown]
	v_add_f32_e32 v125, 0, v125
	v_add_f32_e32 v125, v125, v126
	;; [unrolled: 1-line block ×3, first 2 shown]
	s_waitcnt vmcnt(47)
	v_fmac_f32_e32 v128, v108, v193
	v_fmac_f32_e32 v129, v110, v192
	v_add_f32_e32 v125, v125, v128
	v_fmac_f32_e32 v130, v112, v191
	v_add_f32_e32 v125, v125, v129
	;; [unrolled: 2-line block ×3, first 2 shown]
	s_waitcnt vmcnt(43)
	v_fmac_f32_e32 v132, v116, v197
	v_add_f32_e32 v125, v125, v131
	v_fmac_f32_e32 v133, v118, v196
	v_add_f32_e32 v125, v125, v132
	;; [unrolled: 2-line block ×3, first 2 shown]
	s_waitcnt vmcnt(42) lgkmcnt(0)
	v_mul_f32_e32 v126, v121, v198
	v_add_f32_e32 v125, v125, v134
	v_fmac_f32_e32 v126, v122, v194
	v_add_f32_e32 v129, v125, v126
	ds_read2_b64 v[125:128], v100 offset0:73 offset1:74
	buffer_load_dword v241, off, s[0:3], 0 offset:336
	buffer_load_dword v242, off, s[0:3], 0 offset:340
	s_waitcnt vmcnt(43)
	v_mul_f32_e32 v130, v123, v199
	s_waitcnt vmcnt(37)
	v_fmac_f32_e32 v130, v124, v205
	v_add_f32_e32 v133, v129, v130
	ds_read2_b64 v[129:132], v100 offset0:75 offset1:76
	buffer_load_dword v243, off, s[0:3], 0 offset:344
	buffer_load_dword v244, off, s[0:3], 0 offset:348
	;; [unrolled: 1-line block ×12, first 2 shown]
	s_waitcnt vmcnt(48) lgkmcnt(1)
	v_mul_f32_e32 v134, v125, v206
	v_fmac_f32_e32 v134, v126, v204
	v_add_f32_e32 v133, v133, v134
	v_mul_f32_e32 v134, v127, v201
	v_fmac_f32_e32 v134, v128, v200
	v_add_f32_e32 v133, v133, v134
	s_waitcnt lgkmcnt(0)
	v_mul_f32_e32 v134, v129, v203
	v_fmac_f32_e32 v134, v130, v202
	v_add_f32_e32 v137, v133, v134
	ds_read2_b64 v[133:136], v100 offset0:77 offset1:78
	s_waitcnt vmcnt(44)
	v_mul_f32_e32 v138, v131, v210
	v_fmac_f32_e32 v138, v132, v209
	v_add_f32_e32 v141, v137, v138
	ds_read2_b64 v[137:140], v100 offset0:79 offset1:80
	s_waitcnt vmcnt(42) lgkmcnt(1)
	v_mul_f32_e32 v142, v133, v212
	v_fmac_f32_e32 v142, v134, v211
	v_add_f32_e32 v141, v141, v142
	s_waitcnt vmcnt(40)
	v_mul_f32_e32 v142, v135, v214
	v_fmac_f32_e32 v142, v136, v213
	v_add_f32_e32 v141, v141, v142
	s_waitcnt vmcnt(38) lgkmcnt(0)
	v_mul_f32_e32 v142, v137, v216
	v_fmac_f32_e32 v142, v138, v215
	v_add_f32_e32 v145, v141, v142
	ds_read2_b64 v[141:144], v100 offset0:81 offset1:82
	s_waitcnt vmcnt(36)
	v_mul_f32_e32 v146, v139, v218
	v_fmac_f32_e32 v146, v140, v217
	v_add_f32_e32 v149, v145, v146
	ds_read2_b64 v[145:148], v100 offset0:83 offset1:84
	s_waitcnt vmcnt(34) lgkmcnt(1)
	v_mul_f32_e32 v150, v141, v220
	v_fmac_f32_e32 v150, v142, v219
	v_add_f32_e32 v149, v149, v150
	s_waitcnt vmcnt(32)
	v_mul_f32_e32 v150, v143, v222
	v_fmac_f32_e32 v150, v144, v221
	v_add_f32_e32 v149, v149, v150
	s_waitcnt vmcnt(30) lgkmcnt(0)
	v_mul_f32_e32 v150, v145, v224
	v_fmac_f32_e32 v150, v146, v223
	v_add_f32_e32 v153, v149, v150
	ds_read2_b64 v[149:152], v100 offset0:85 offset1:86
	s_waitcnt vmcnt(28)
	v_mul_f32_e32 v154, v147, v226
	v_fmac_f32_e32 v154, v148, v225
	v_add_f32_e32 v157, v153, v154
	ds_read2_b64 v[153:156], v100 offset0:87 offset1:88
	s_waitcnt vmcnt(26) lgkmcnt(1)
	v_mul_f32_e32 v158, v149, v228
	v_fmac_f32_e32 v158, v150, v227
	v_add_f32_e32 v157, v157, v158
	s_waitcnt vmcnt(25)
	v_mul_f32_e32 v158, v151, v229
	s_waitcnt vmcnt(22)
	v_fmac_f32_e32 v158, v152, v232
	v_add_f32_e32 v157, v157, v158
	s_waitcnt lgkmcnt(0)
	v_mul_f32_e32 v158, v153, v231
	v_fmac_f32_e32 v158, v154, v230
	v_add_f32_e32 v161, v157, v158
	ds_read2_b64 v[157:160], v100 offset0:89 offset1:90
	s_waitcnt vmcnt(20)
	v_mul_f32_e32 v162, v155, v234
	v_fmac_f32_e32 v162, v156, v233
	v_add_f32_e32 v165, v161, v162
	ds_read2_b64 v[161:164], v100 offset0:91 offset1:92
	s_waitcnt vmcnt(18) lgkmcnt(1)
	v_mul_f32_e32 v166, v157, v236
	v_fmac_f32_e32 v166, v158, v235
	v_add_f32_e32 v165, v165, v166
	s_waitcnt vmcnt(17)
	v_mul_f32_e32 v166, v159, v237
	s_waitcnt vmcnt(14)
	v_fmac_f32_e32 v166, v160, v240
	v_add_f32_e32 v165, v165, v166
	s_waitcnt lgkmcnt(0)
	v_mul_f32_e32 v166, v161, v239
	v_fmac_f32_e32 v166, v162, v238
	v_add_f32_e32 v169, v165, v166
	ds_read2_b64 v[165:168], v100 offset0:93 offset1:94
	s_waitcnt vmcnt(12)
	v_mul_f32_e32 v170, v163, v242
	v_fmac_f32_e32 v170, v164, v241
	v_add_f32_e32 v173, v169, v170
	ds_read2_b64 v[169:172], v100 offset0:95 offset1:96
	s_waitcnt vmcnt(10) lgkmcnt(1)
	v_mul_f32_e32 v174, v165, v244
	v_fmac_f32_e32 v174, v166, v243
	v_add_f32_e32 v173, v173, v174
	s_waitcnt vmcnt(9)
	v_mul_f32_e32 v174, v167, v245
	s_waitcnt vmcnt(6)
	v_fmac_f32_e32 v174, v168, v248
	v_add_f32_e32 v255, v173, v174
	ds_read2_b64 v[173:176], v100 offset0:97 offset1:98
	s_waitcnt lgkmcnt(1)
	v_mul_f32_e32 v3, v169, v247
	v_fmac_f32_e32 v3, v170, v246
	s_waitcnt vmcnt(4)
	v_mul_f32_e32 v4, v171, v250
	v_add_f32_e32 v3, v255, v3
	v_fmac_f32_e32 v4, v172, v249
	v_add_f32_e32 v3, v3, v4
	s_waitcnt vmcnt(3) lgkmcnt(0)
	v_mul_f32_e32 v4, v173, v251
	s_waitcnt vmcnt(0)
	v_fmac_f32_e32 v4, v174, v254
	v_add_f32_e32 v3, v3, v4
	v_mul_f32_e32 v4, v175, v253
	v_fmac_f32_e32 v4, v176, v252
	v_add_f32_e32 v3, v3, v4
	v_mul_f32_e32 v4, v102, v177
	v_fma_f32 v4, v101, v189, -v4
	v_mul_f32_e32 v100, v104, v178
	v_add_f32_e32 v4, 0, v4
	v_fma_f32 v100, v103, v188, -v100
	v_add_f32_e32 v4, v4, v100
	v_mul_f32_e32 v100, v106, v179
	v_fma_f32 v100, v105, v187, -v100
	v_add_f32_e32 v4, v4, v100
	v_mul_f32_e32 v100, v108, v180
	;; [unrolled: 3-line block ×36, first 2 shown]
	v_fma_f32 v100, v175, v252, -v100
	v_add_f32_e32 v4, v4, v100
	v_sub_f32_e32 v4, v207, v4
	v_sub_f32_e32 v3, v208, v3
	buffer_store_dword v4, off, s[0:3], 0 offset:80
	buffer_store_dword v3, off, s[0:3], 0 offset:84
	s_and_saveexec_b64 s[4:5], vcc
	s_cbranch_execz .LBB112_289
; %bb.288:
	buffer_load_dword v100, off, s[0:3], 0 offset:72
	buffer_load_dword v101, off, s[0:3], 0 offset:76
	v_mov_b32_e32 v3, 0
	buffer_store_dword v3, off, s[0:3], 0 offset:72
	buffer_store_dword v3, off, s[0:3], 0 offset:76
	s_waitcnt vmcnt(2)
	ds_write_b64 v99, v[100:101]
.LBB112_289:
	s_or_b64 exec, exec, s[4:5]
	s_waitcnt lgkmcnt(0)
	; wave barrier
	buffer_load_dword v3, off, s[0:3], 0 offset:84
	buffer_load_dword v4, off, s[0:3], 0 offset:92
	;; [unrolled: 1-line block ×50, first 2 shown]
	v_mov_b32_e32 v100, 0
	ds_read_b128 v[101:104], v100 offset:480
	ds_read_b128 v[105:108], v100 offset:496
	;; [unrolled: 1-line block ×6, first 2 shown]
	buffer_load_dword v227, off, s[0:3], 0 offset:272
	buffer_load_dword v228, off, s[0:3], 0 offset:276
	;; [unrolled: 1-line block ×8, first 2 shown]
	v_cmp_lt_u32_e32 vcc, 8, v0
	s_waitcnt vmcnt(57) lgkmcnt(5)
	v_mul_f32_e32 v125, v101, v3
	s_waitcnt vmcnt(56)
	v_mul_f32_e32 v126, v103, v4
	s_waitcnt vmcnt(55) lgkmcnt(4)
	v_mul_f32_e32 v127, v105, v179
	s_waitcnt vmcnt(54)
	v_mul_f32_e32 v128, v107, v180
	;; [unrolled: 4-line block ×5, first 2 shown]
	s_waitcnt vmcnt(47) lgkmcnt(0)
	v_mul_f32_e32 v135, v121, v187
	s_waitcnt vmcnt(46)
	v_fmac_f32_e32 v127, v106, v188
	s_waitcnt vmcnt(45)
	v_fmac_f32_e32 v126, v104, v189
	;; [unrolled: 2-line block ×3, first 2 shown]
	v_add_f32_e32 v125, 0, v125
	v_add_f32_e32 v125, v125, v126
	;; [unrolled: 1-line block ×3, first 2 shown]
	s_waitcnt vmcnt(40)
	v_fmac_f32_e32 v128, v108, v194
	v_fmac_f32_e32 v129, v110, v193
	v_add_f32_e32 v125, v125, v128
	v_fmac_f32_e32 v130, v112, v192
	v_add_f32_e32 v125, v125, v129
	;; [unrolled: 2-line block ×3, first 2 shown]
	s_waitcnt vmcnt(36)
	v_fmac_f32_e32 v132, v116, v198
	v_add_f32_e32 v125, v125, v131
	v_fmac_f32_e32 v133, v118, v197
	v_add_f32_e32 v125, v125, v132
	;; [unrolled: 2-line block ×3, first 2 shown]
	v_add_f32_e32 v125, v125, v134
	v_fmac_f32_e32 v135, v122, v195
	v_add_f32_e32 v129, v125, v135
	ds_read_b128 v[125:128], v100 offset:576
	buffer_load_dword v235, off, s[0:3], 0 offset:304
	buffer_load_dword v236, off, s[0:3], 0 offset:308
	;; [unrolled: 1-line block ×6, first 2 shown]
	s_waitcnt vmcnt(41)
	v_mul_f32_e32 v130, v123, v199
	s_waitcnt vmcnt(34)
	v_fmac_f32_e32 v130, v124, v206
	v_add_f32_e32 v133, v129, v130
	ds_read_b128 v[129:132], v100 offset:592
	buffer_load_dword v241, off, s[0:3], 0 offset:328
	buffer_load_dword v242, off, s[0:3], 0 offset:332
	;; [unrolled: 1-line block ×16, first 2 shown]
	v_mul_f32_e32 v3, v102, v3
	v_fma_f32 v3, v101, v190, -v3
	v_mul_f32_e32 v4, v104, v4
	v_add_f32_e32 v3, 0, v3
	v_fma_f32 v4, v103, v189, -v4
	v_add_f32_e32 v3, v3, v4
	v_mul_f32_e32 v4, v106, v179
	v_fma_f32 v4, v105, v188, -v4
	s_waitcnt lgkmcnt(1)
	v_mul_f32_e32 v134, v125, v201
	v_add_f32_e32 v3, v3, v4
	v_mul_f32_e32 v4, v108, v180
	v_fmac_f32_e32 v134, v126, v200
	v_fma_f32 v4, v107, v194, -v4
	v_add_f32_e32 v133, v133, v134
	v_mul_f32_e32 v134, v127, v203
	v_add_f32_e32 v3, v3, v4
	v_mul_f32_e32 v4, v110, v181
	v_fmac_f32_e32 v134, v128, v202
	v_fma_f32 v4, v109, v193, -v4
	v_add_f32_e32 v133, v133, v134
	s_waitcnt lgkmcnt(0)
	v_mul_f32_e32 v134, v129, v205
	v_add_f32_e32 v3, v3, v4
	v_mul_f32_e32 v4, v112, v182
	v_fmac_f32_e32 v134, v130, v204
	v_fma_f32 v4, v111, v192, -v4
	v_add_f32_e32 v137, v133, v134
	ds_read_b128 v[133:136], v100 offset:608
	v_add_f32_e32 v3, v3, v4
	v_mul_f32_e32 v4, v114, v183
	v_fma_f32 v4, v113, v191, -v4
	s_waitcnt vmcnt(46)
	v_mul_f32_e32 v6, v131, v210
	v_add_f32_e32 v3, v3, v4
	v_mul_f32_e32 v4, v116, v184
	v_fmac_f32_e32 v6, v132, v209
	v_fma_f32 v4, v115, v198, -v4
	v_add_f32_e32 v6, v137, v6
	ds_read_b128 v[137:140], v100 offset:624
	v_add_f32_e32 v3, v3, v4
	v_mul_f32_e32 v4, v118, v185
	s_waitcnt vmcnt(44) lgkmcnt(1)
	v_mul_f32_e32 v141, v133, v212
	v_fma_f32 v4, v117, v197, -v4
	v_fmac_f32_e32 v141, v134, v211
	v_add_f32_e32 v3, v3, v4
	v_mul_f32_e32 v4, v120, v186
	v_add_f32_e32 v6, v6, v141
	s_waitcnt vmcnt(42)
	v_mul_f32_e32 v141, v135, v214
	v_fma_f32 v4, v119, v196, -v4
	v_fmac_f32_e32 v141, v136, v213
	v_add_f32_e32 v3, v3, v4
	v_mul_f32_e32 v4, v122, v187
	v_add_f32_e32 v6, v6, v141
	s_waitcnt vmcnt(40) lgkmcnt(0)
	v_mul_f32_e32 v141, v137, v216
	v_fma_f32 v4, v121, v195, -v4
	v_fmac_f32_e32 v141, v138, v215
	v_add_f32_e32 v3, v3, v4
	v_mul_f32_e32 v4, v124, v199
	v_add_f32_e32 v6, v6, v141
	ds_read_b128 v[141:144], v100 offset:640
	v_fma_f32 v4, v123, v206, -v4
	v_add_f32_e32 v3, v3, v4
	v_mul_f32_e32 v4, v126, v201
	s_waitcnt vmcnt(38)
	v_mul_f32_e32 v145, v139, v218
	v_fma_f32 v4, v125, v200, -v4
	v_fmac_f32_e32 v145, v140, v217
	v_add_f32_e32 v3, v3, v4
	v_mul_f32_e32 v4, v128, v203
	v_add_f32_e32 v6, v6, v145
	ds_read_b128 v[145:148], v100 offset:656
	v_fma_f32 v4, v127, v202, -v4
	s_waitcnt vmcnt(36) lgkmcnt(1)
	v_mul_f32_e32 v149, v141, v220
	v_add_f32_e32 v3, v3, v4
	v_mul_f32_e32 v4, v130, v205
	v_fmac_f32_e32 v149, v142, v219
	v_fma_f32 v4, v129, v204, -v4
	v_add_f32_e32 v6, v6, v149
	s_waitcnt vmcnt(34)
	v_mul_f32_e32 v149, v143, v222
	v_add_f32_e32 v3, v3, v4
	v_mul_f32_e32 v4, v132, v210
	v_fmac_f32_e32 v149, v144, v221
	v_fma_f32 v4, v131, v209, -v4
	v_add_f32_e32 v6, v6, v149
	s_waitcnt vmcnt(32) lgkmcnt(0)
	v_mul_f32_e32 v149, v145, v224
	v_add_f32_e32 v3, v3, v4
	v_mul_f32_e32 v4, v134, v212
	v_fmac_f32_e32 v149, v146, v223
	v_fma_f32 v4, v133, v211, -v4
	v_add_f32_e32 v6, v6, v149
	ds_read_b128 v[149:152], v100 offset:672
	v_add_f32_e32 v3, v3, v4
	v_mul_f32_e32 v4, v136, v214
	v_fma_f32 v4, v135, v213, -v4
	s_waitcnt vmcnt(30)
	v_mul_f32_e32 v153, v147, v226
	v_add_f32_e32 v3, v3, v4
	v_mul_f32_e32 v4, v138, v216
	v_fmac_f32_e32 v153, v148, v225
	v_fma_f32 v4, v137, v215, -v4
	v_add_f32_e32 v6, v6, v153
	ds_read_b128 v[153:156], v100 offset:688
	v_add_f32_e32 v3, v3, v4
	v_mul_f32_e32 v4, v140, v218
	s_waitcnt vmcnt(28) lgkmcnt(1)
	v_mul_f32_e32 v157, v149, v228
	v_fma_f32 v4, v139, v217, -v4
	v_fmac_f32_e32 v157, v150, v227
	v_add_f32_e32 v3, v3, v4
	v_mul_f32_e32 v4, v142, v220
	v_add_f32_e32 v6, v6, v157
	s_waitcnt vmcnt(27)
	v_mul_f32_e32 v157, v151, v229
	v_fma_f32 v4, v141, v219, -v4
	s_waitcnt vmcnt(24)
	v_fmac_f32_e32 v157, v152, v232
	v_add_f32_e32 v3, v3, v4
	v_mul_f32_e32 v4, v144, v222
	v_add_f32_e32 v6, v6, v157
	s_waitcnt lgkmcnt(0)
	v_mul_f32_e32 v157, v153, v231
	v_fma_f32 v4, v143, v221, -v4
	v_fmac_f32_e32 v157, v154, v230
	v_add_f32_e32 v3, v3, v4
	v_mul_f32_e32 v4, v146, v224
	v_add_f32_e32 v6, v6, v157
	ds_read_b128 v[157:160], v100 offset:704
	v_fma_f32 v4, v145, v223, -v4
	v_add_f32_e32 v3, v3, v4
	v_mul_f32_e32 v4, v148, v226
	s_waitcnt vmcnt(22)
	v_mul_f32_e32 v161, v155, v234
	v_fma_f32 v4, v147, v225, -v4
	v_fmac_f32_e32 v161, v156, v233
	v_add_f32_e32 v3, v3, v4
	v_mul_f32_e32 v4, v150, v228
	v_add_f32_e32 v6, v6, v161
	ds_read_b128 v[161:164], v100 offset:720
	v_fma_f32 v4, v149, v227, -v4
	s_waitcnt vmcnt(20) lgkmcnt(1)
	v_mul_f32_e32 v165, v157, v236
	v_add_f32_e32 v3, v3, v4
	v_mul_f32_e32 v4, v152, v229
	v_fmac_f32_e32 v165, v158, v235
	v_fma_f32 v4, v151, v232, -v4
	v_add_f32_e32 v6, v6, v165
	s_waitcnt vmcnt(19)
	v_mul_f32_e32 v165, v159, v237
	v_add_f32_e32 v3, v3, v4
	v_mul_f32_e32 v4, v154, v231
	s_waitcnt vmcnt(16)
	v_fmac_f32_e32 v165, v160, v240
	v_fma_f32 v4, v153, v230, -v4
	v_add_f32_e32 v6, v6, v165
	s_waitcnt lgkmcnt(0)
	v_mul_f32_e32 v165, v161, v239
	v_add_f32_e32 v3, v3, v4
	v_mul_f32_e32 v4, v156, v234
	v_fmac_f32_e32 v165, v162, v238
	v_fma_f32 v4, v155, v233, -v4
	v_add_f32_e32 v6, v6, v165
	ds_read_b128 v[165:168], v100 offset:736
	v_add_f32_e32 v3, v3, v4
	v_mul_f32_e32 v4, v158, v236
	v_fma_f32 v4, v157, v235, -v4
	s_waitcnt vmcnt(14)
	v_mul_f32_e32 v169, v163, v242
	v_add_f32_e32 v3, v3, v4
	v_mul_f32_e32 v4, v160, v237
	v_fmac_f32_e32 v169, v164, v241
	v_fma_f32 v4, v159, v240, -v4
	v_add_f32_e32 v6, v6, v169
	ds_read_b128 v[169:172], v100 offset:752
	v_add_f32_e32 v3, v3, v4
	v_mul_f32_e32 v4, v162, v239
	s_waitcnt vmcnt(12) lgkmcnt(1)
	v_mul_f32_e32 v173, v165, v244
	v_fma_f32 v4, v161, v238, -v4
	v_fmac_f32_e32 v173, v166, v243
	v_add_f32_e32 v3, v3, v4
	v_mul_f32_e32 v4, v164, v242
	v_add_f32_e32 v6, v6, v173
	s_waitcnt vmcnt(11)
	v_mul_f32_e32 v173, v167, v245
	v_fma_f32 v4, v163, v241, -v4
	s_waitcnt vmcnt(8)
	v_fmac_f32_e32 v173, v168, v248
	v_add_f32_e32 v3, v3, v4
	v_mul_f32_e32 v4, v166, v244
	v_add_f32_e32 v6, v6, v173
	s_waitcnt lgkmcnt(0)
	v_mul_f32_e32 v173, v169, v247
	v_fma_f32 v4, v165, v243, -v4
	v_fmac_f32_e32 v173, v170, v246
	v_add_f32_e32 v3, v3, v4
	v_mul_f32_e32 v4, v168, v245
	v_add_f32_e32 v6, v6, v173
	ds_read_b128 v[173:176], v100 offset:768
	v_fma_f32 v4, v167, v248, -v4
	v_add_f32_e32 v3, v3, v4
	v_mul_f32_e32 v4, v170, v247
	s_waitcnt vmcnt(6)
	v_mul_f32_e32 v177, v171, v250
	v_fma_f32 v4, v169, v246, -v4
	v_fmac_f32_e32 v177, v172, v249
	v_add_f32_e32 v3, v3, v4
	v_mul_f32_e32 v4, v172, v250
	v_add_f32_e32 v6, v6, v177
	ds_read_b64 v[177:178], v100 offset:784
	v_fma_f32 v4, v171, v249, -v4
	v_add_f32_e32 v3, v3, v4
	s_waitcnt vmcnt(4) lgkmcnt(1)
	v_mul_f32_e32 v4, v174, v252
	v_mul_f32_e32 v7, v173, v252
	v_fma_f32 v4, v173, v251, -v4
	v_fmac_f32_e32 v7, v174, v251
	v_add_f32_e32 v3, v3, v4
	s_waitcnt vmcnt(3)
	v_mul_f32_e32 v4, v176, v253
	v_add_f32_e32 v6, v6, v7
	v_mul_f32_e32 v7, v175, v253
	s_waitcnt vmcnt(0)
	v_fma_f32 v4, v175, v5, -v4
	v_fmac_f32_e32 v7, v176, v5
	v_add_f32_e32 v3, v3, v4
	s_waitcnt lgkmcnt(0)
	v_mul_f32_e32 v4, v178, v255
	v_add_f32_e32 v6, v6, v7
	v_mul_f32_e32 v7, v177, v255
	v_fma_f32 v4, v177, v254, -v4
	v_fmac_f32_e32 v7, v178, v254
	v_add_f32_e32 v3, v3, v4
	v_add_f32_e32 v6, v6, v7
	v_sub_f32_e32 v3, v207, v3
	v_sub_f32_e32 v4, v208, v6
	buffer_store_dword v3, off, s[0:3], 0 offset:72
	buffer_store_dword v4, off, s[0:3], 0 offset:76
	s_and_saveexec_b64 s[4:5], vcc
	s_cbranch_execz .LBB112_291
; %bb.290:
	buffer_load_dword v101, off, s[0:3], 0 offset:64
	buffer_load_dword v102, off, s[0:3], 0 offset:68
	s_waitcnt vmcnt(0)
	ds_write_b64 v99, v[101:102]
	buffer_store_dword v100, off, s[0:3], 0 offset:64
	buffer_store_dword v100, off, s[0:3], 0 offset:68
.LBB112_291:
	s_or_b64 exec, exec, s[4:5]
	s_waitcnt lgkmcnt(0)
	; wave barrier
	buffer_load_dword v3, off, s[0:3], 0 offset:76
	buffer_load_dword v4, off, s[0:3], 0 offset:84
	;; [unrolled: 1-line block ×32, first 2 shown]
	ds_read2_b64 v[101:104], v100 offset0:59 offset1:60
	ds_read2_b64 v[105:108], v100 offset0:61 offset1:62
	;; [unrolled: 1-line block ×6, first 2 shown]
	buffer_load_dword v207, off, s[0:3], 0 offset:192
	buffer_load_dword v208, off, s[0:3], 0 offset:196
	;; [unrolled: 1-line block ×26, first 2 shown]
	v_cmp_lt_u32_e32 vcc, 7, v0
	s_waitcnt vmcnt(57) lgkmcnt(5)
	v_mul_f32_e32 v125, v101, v3
	s_waitcnt vmcnt(56)
	v_mul_f32_e32 v126, v103, v4
	s_waitcnt vmcnt(55) lgkmcnt(4)
	v_mul_f32_e32 v127, v105, v5
	s_waitcnt vmcnt(54)
	v_mul_f32_e32 v128, v107, v6
	s_waitcnt vmcnt(53) lgkmcnt(3)
	v_mul_f32_e32 v129, v109, v7
	s_waitcnt vmcnt(52)
	v_mul_f32_e32 v130, v111, v8
	s_waitcnt vmcnt(51) lgkmcnt(2)
	v_mul_f32_e32 v131, v113, v181
	s_waitcnt vmcnt(50)
	v_mul_f32_e32 v132, v115, v182
	s_waitcnt vmcnt(49) lgkmcnt(1)
	v_mul_f32_e32 v133, v117, v183
	s_waitcnt vmcnt(48)
	v_mul_f32_e32 v134, v119, v184
	s_waitcnt vmcnt(47) lgkmcnt(0)
	v_mul_f32_e32 v135, v121, v185
	s_waitcnt vmcnt(46)
	v_fmac_f32_e32 v127, v106, v186
	s_waitcnt vmcnt(45)
	v_fmac_f32_e32 v126, v104, v187
	s_waitcnt vmcnt(44)
	v_fmac_f32_e32 v125, v102, v188
	v_add_f32_e32 v125, 0, v125
	v_add_f32_e32 v125, v125, v126
	;; [unrolled: 1-line block ×3, first 2 shown]
	s_waitcnt vmcnt(40)
	v_fmac_f32_e32 v128, v108, v192
	v_fmac_f32_e32 v129, v110, v191
	v_add_f32_e32 v125, v125, v128
	v_fmac_f32_e32 v130, v112, v190
	v_add_f32_e32 v125, v125, v129
	;; [unrolled: 2-line block ×3, first 2 shown]
	s_waitcnt vmcnt(36)
	v_fmac_f32_e32 v132, v116, v196
	v_add_f32_e32 v125, v125, v131
	v_fmac_f32_e32 v133, v118, v195
	v_add_f32_e32 v125, v125, v132
	;; [unrolled: 2-line block ×4, first 2 shown]
	v_add_f32_e32 v129, v125, v135
	ds_read2_b64 v[125:128], v100 offset0:71 offset1:72
	buffer_load_dword v233, off, s[0:3], 0 offset:296
	buffer_load_dword v234, off, s[0:3], 0 offset:300
	;; [unrolled: 1-line block ×6, first 2 shown]
	s_waitcnt vmcnt(41)
	v_mul_f32_e32 v130, v123, v197
	s_waitcnt vmcnt(35)
	v_fmac_f32_e32 v130, v124, v203
	v_add_f32_e32 v133, v129, v130
	ds_read2_b64 v[129:132], v100 offset0:73 offset1:74
	buffer_load_dword v239, off, s[0:3], 0 offset:320
	buffer_load_dword v240, off, s[0:3], 0 offset:324
	;; [unrolled: 1-line block ×10, first 2 shown]
	s_waitcnt vmcnt(44) lgkmcnt(1)
	v_mul_f32_e32 v134, v125, v204
	v_fmac_f32_e32 v134, v126, v202
	v_add_f32_e32 v133, v133, v134
	v_mul_f32_e32 v134, v127, v199
	v_fmac_f32_e32 v134, v128, v198
	v_add_f32_e32 v133, v133, v134
	s_waitcnt lgkmcnt(0)
	v_mul_f32_e32 v134, v129, v201
	buffer_load_dword v249, off, s[0:3], 0 offset:360
	buffer_load_dword v250, off, s[0:3], 0 offset:364
	;; [unrolled: 1-line block ×6, first 2 shown]
	v_fmac_f32_e32 v134, v130, v200
	s_waitcnt vmcnt(46)
	v_mul_f32_e32 v138, v131, v208
	v_add_f32_e32 v137, v133, v134
	v_fmac_f32_e32 v138, v132, v207
	ds_read2_b64 v[133:136], v100 offset0:75 offset1:76
	v_add_f32_e32 v141, v137, v138
	ds_read2_b64 v[137:140], v100 offset0:77 offset1:78
	buffer_load_dword v255, off, s[0:3], 0 offset:384
	buffer_load_dword v9, off, s[0:3], 0 offset:388
	v_mul_f32_e32 v3, v102, v3
	v_fma_f32 v3, v101, v188, -v3
	v_mul_f32_e32 v4, v104, v4
	v_add_f32_e32 v3, 0, v3
	v_fma_f32 v4, v103, v187, -v4
	v_add_f32_e32 v3, v3, v4
	v_mul_f32_e32 v4, v106, v5
	v_fma_f32 v4, v105, v186, -v4
	v_add_f32_e32 v3, v3, v4
	v_mul_f32_e32 v4, v108, v6
	;; [unrolled: 3-line block ×7, first 2 shown]
	s_waitcnt vmcnt(46) lgkmcnt(1)
	v_mul_f32_e32 v10, v133, v210
	v_fma_f32 v4, v117, v195, -v4
	v_fmac_f32_e32 v10, v134, v209
	v_add_f32_e32 v3, v3, v4
	v_mul_f32_e32 v4, v120, v184
	v_add_f32_e32 v10, v141, v10
	s_waitcnt vmcnt(44)
	v_mul_f32_e32 v141, v135, v212
	v_fma_f32 v4, v119, v194, -v4
	v_fmac_f32_e32 v141, v136, v211
	v_add_f32_e32 v3, v3, v4
	v_mul_f32_e32 v4, v122, v185
	v_add_f32_e32 v10, v10, v141
	s_waitcnt vmcnt(42) lgkmcnt(0)
	v_mul_f32_e32 v141, v137, v214
	v_fma_f32 v4, v121, v193, -v4
	v_fmac_f32_e32 v141, v138, v213
	v_add_f32_e32 v3, v3, v4
	v_mul_f32_e32 v4, v124, v197
	v_add_f32_e32 v10, v10, v141
	ds_read2_b64 v[141:144], v100 offset0:79 offset1:80
	v_fma_f32 v4, v123, v203, -v4
	v_add_f32_e32 v3, v3, v4
	v_mul_f32_e32 v4, v126, v204
	s_waitcnt vmcnt(40)
	v_mul_f32_e32 v145, v139, v216
	v_fma_f32 v4, v125, v202, -v4
	v_fmac_f32_e32 v145, v140, v215
	v_add_f32_e32 v3, v3, v4
	v_mul_f32_e32 v4, v128, v199
	v_add_f32_e32 v10, v10, v145
	ds_read2_b64 v[145:148], v100 offset0:81 offset1:82
	v_fma_f32 v4, v127, v198, -v4
	s_waitcnt vmcnt(38) lgkmcnt(1)
	v_mul_f32_e32 v149, v141, v218
	v_add_f32_e32 v3, v3, v4
	v_mul_f32_e32 v4, v130, v201
	v_fmac_f32_e32 v149, v142, v217
	v_fma_f32 v4, v129, v200, -v4
	v_add_f32_e32 v10, v10, v149
	s_waitcnt vmcnt(36)
	v_mul_f32_e32 v149, v143, v220
	v_add_f32_e32 v3, v3, v4
	v_mul_f32_e32 v4, v132, v208
	v_fmac_f32_e32 v149, v144, v219
	v_fma_f32 v4, v131, v207, -v4
	v_add_f32_e32 v10, v10, v149
	s_waitcnt vmcnt(34) lgkmcnt(0)
	v_mul_f32_e32 v149, v145, v222
	v_add_f32_e32 v3, v3, v4
	v_mul_f32_e32 v4, v134, v210
	v_fmac_f32_e32 v149, v146, v221
	v_fma_f32 v4, v133, v209, -v4
	v_add_f32_e32 v10, v10, v149
	ds_read2_b64 v[149:152], v100 offset0:83 offset1:84
	v_add_f32_e32 v3, v3, v4
	v_mul_f32_e32 v4, v136, v212
	v_fma_f32 v4, v135, v211, -v4
	s_waitcnt vmcnt(32)
	v_mul_f32_e32 v153, v147, v224
	v_add_f32_e32 v3, v3, v4
	v_mul_f32_e32 v4, v138, v214
	v_fmac_f32_e32 v153, v148, v223
	v_fma_f32 v4, v137, v213, -v4
	v_add_f32_e32 v10, v10, v153
	ds_read2_b64 v[153:156], v100 offset0:85 offset1:86
	v_add_f32_e32 v3, v3, v4
	v_mul_f32_e32 v4, v140, v216
	s_waitcnt vmcnt(30) lgkmcnt(1)
	v_mul_f32_e32 v157, v149, v226
	v_fma_f32 v4, v139, v215, -v4
	v_fmac_f32_e32 v157, v150, v225
	v_add_f32_e32 v3, v3, v4
	v_mul_f32_e32 v4, v142, v218
	v_add_f32_e32 v10, v10, v157
	s_waitcnt vmcnt(29)
	v_mul_f32_e32 v157, v151, v227
	v_fma_f32 v4, v141, v217, -v4
	s_waitcnt vmcnt(26)
	v_fmac_f32_e32 v157, v152, v230
	v_add_f32_e32 v3, v3, v4
	v_mul_f32_e32 v4, v144, v220
	v_add_f32_e32 v10, v10, v157
	s_waitcnt lgkmcnt(0)
	v_mul_f32_e32 v157, v153, v229
	v_fma_f32 v4, v143, v219, -v4
	v_fmac_f32_e32 v157, v154, v228
	v_add_f32_e32 v3, v3, v4
	v_mul_f32_e32 v4, v146, v222
	v_add_f32_e32 v10, v10, v157
	ds_read2_b64 v[157:160], v100 offset0:87 offset1:88
	v_fma_f32 v4, v145, v221, -v4
	v_add_f32_e32 v3, v3, v4
	v_mul_f32_e32 v4, v148, v224
	s_waitcnt vmcnt(24)
	v_mul_f32_e32 v161, v155, v232
	v_fma_f32 v4, v147, v223, -v4
	v_fmac_f32_e32 v161, v156, v231
	v_add_f32_e32 v3, v3, v4
	v_mul_f32_e32 v4, v150, v226
	v_add_f32_e32 v10, v10, v161
	ds_read2_b64 v[161:164], v100 offset0:89 offset1:90
	v_fma_f32 v4, v149, v225, -v4
	s_waitcnt vmcnt(22) lgkmcnt(1)
	v_mul_f32_e32 v165, v157, v234
	v_add_f32_e32 v3, v3, v4
	v_mul_f32_e32 v4, v152, v227
	v_fmac_f32_e32 v165, v158, v233
	v_fma_f32 v4, v151, v230, -v4
	v_add_f32_e32 v10, v10, v165
	s_waitcnt vmcnt(21)
	v_mul_f32_e32 v165, v159, v235
	v_add_f32_e32 v3, v3, v4
	v_mul_f32_e32 v4, v154, v229
	s_waitcnt vmcnt(18)
	v_fmac_f32_e32 v165, v160, v238
	v_fma_f32 v4, v153, v228, -v4
	v_add_f32_e32 v10, v10, v165
	s_waitcnt lgkmcnt(0)
	v_mul_f32_e32 v165, v161, v237
	v_add_f32_e32 v3, v3, v4
	v_mul_f32_e32 v4, v156, v232
	v_fmac_f32_e32 v165, v162, v236
	v_fma_f32 v4, v155, v231, -v4
	v_add_f32_e32 v10, v10, v165
	ds_read2_b64 v[165:168], v100 offset0:91 offset1:92
	v_add_f32_e32 v3, v3, v4
	v_mul_f32_e32 v4, v158, v234
	v_fma_f32 v4, v157, v233, -v4
	s_waitcnt vmcnt(16)
	v_mul_f32_e32 v169, v163, v240
	v_add_f32_e32 v3, v3, v4
	v_mul_f32_e32 v4, v160, v235
	v_fmac_f32_e32 v169, v164, v239
	v_fma_f32 v4, v159, v238, -v4
	v_add_f32_e32 v10, v10, v169
	ds_read2_b64 v[169:172], v100 offset0:93 offset1:94
	v_add_f32_e32 v3, v3, v4
	v_mul_f32_e32 v4, v162, v237
	s_waitcnt vmcnt(14) lgkmcnt(1)
	v_mul_f32_e32 v173, v165, v242
	v_fma_f32 v4, v161, v236, -v4
	v_fmac_f32_e32 v173, v166, v241
	v_add_f32_e32 v3, v3, v4
	v_mul_f32_e32 v4, v164, v240
	v_add_f32_e32 v10, v10, v173
	s_waitcnt vmcnt(13)
	v_mul_f32_e32 v173, v167, v243
	v_fma_f32 v4, v163, v239, -v4
	s_waitcnt vmcnt(10)
	v_fmac_f32_e32 v173, v168, v246
	v_add_f32_e32 v3, v3, v4
	v_mul_f32_e32 v4, v166, v242
	v_add_f32_e32 v10, v10, v173
	s_waitcnt lgkmcnt(0)
	v_mul_f32_e32 v173, v169, v245
	v_fma_f32 v4, v165, v241, -v4
	v_fmac_f32_e32 v173, v170, v244
	v_add_f32_e32 v3, v3, v4
	v_mul_f32_e32 v4, v168, v243
	v_add_f32_e32 v10, v10, v173
	ds_read2_b64 v[173:176], v100 offset0:95 offset1:96
	v_fma_f32 v4, v167, v246, -v4
	v_add_f32_e32 v3, v3, v4
	v_mul_f32_e32 v4, v170, v245
	s_waitcnt vmcnt(8)
	v_mul_f32_e32 v177, v171, v248
	v_fma_f32 v4, v169, v244, -v4
	v_fmac_f32_e32 v177, v172, v247
	v_add_f32_e32 v3, v3, v4
	v_mul_f32_e32 v4, v172, v248
	v_add_f32_e32 v10, v10, v177
	ds_read2_b64 v[177:180], v100 offset0:97 offset1:98
	v_fma_f32 v4, v171, v247, -v4
	v_add_f32_e32 v3, v3, v4
	s_waitcnt vmcnt(6) lgkmcnt(1)
	v_mul_f32_e32 v4, v174, v250
	v_mul_f32_e32 v100, v173, v250
	v_fma_f32 v4, v173, v249, -v4
	v_fmac_f32_e32 v100, v174, v249
	v_add_f32_e32 v3, v3, v4
	s_waitcnt vmcnt(5)
	v_mul_f32_e32 v4, v176, v251
	v_add_f32_e32 v10, v10, v100
	v_mul_f32_e32 v100, v175, v251
	s_waitcnt vmcnt(2)
	v_fma_f32 v4, v175, v254, -v4
	v_fmac_f32_e32 v100, v176, v254
	v_add_f32_e32 v3, v3, v4
	s_waitcnt lgkmcnt(0)
	v_mul_f32_e32 v4, v178, v253
	v_add_f32_e32 v10, v10, v100
	v_mul_f32_e32 v100, v177, v253
	v_fma_f32 v4, v177, v252, -v4
	v_fmac_f32_e32 v100, v178, v252
	v_add_f32_e32 v3, v3, v4
	s_waitcnt vmcnt(0)
	v_mul_f32_e32 v4, v180, v9
	v_add_f32_e32 v10, v10, v100
	v_mul_f32_e32 v100, v179, v9
	v_fma_f32 v4, v179, v255, -v4
	v_fmac_f32_e32 v100, v180, v255
	v_add_f32_e32 v3, v3, v4
	v_add_f32_e32 v10, v10, v100
	v_sub_f32_e32 v3, v205, v3
	v_sub_f32_e32 v4, v206, v10
	buffer_store_dword v3, off, s[0:3], 0 offset:64
	buffer_store_dword v4, off, s[0:3], 0 offset:68
	s_and_saveexec_b64 s[4:5], vcc
	s_cbranch_execz .LBB112_293
; %bb.292:
	buffer_load_dword v100, off, s[0:3], 0 offset:56
	buffer_load_dword v101, off, s[0:3], 0 offset:60
	v_mov_b32_e32 v3, 0
	buffer_store_dword v3, off, s[0:3], 0 offset:56
	buffer_store_dword v3, off, s[0:3], 0 offset:60
	s_waitcnt vmcnt(2)
	ds_write_b64 v99, v[100:101]
.LBB112_293:
	s_or_b64 exec, exec, s[4:5]
	s_waitcnt lgkmcnt(0)
	; wave barrier
	buffer_load_dword v109, off, s[0:3], 0 offset:68
	buffer_load_dword v108, off, s[0:3], 0 offset:76
	;; [unrolled: 1-line block ×50, first 2 shown]
	v_mov_b32_e32 v100, 0
	ds_read_b128 v[110:113], v100 offset:464
	ds_read_b128 v[114:117], v100 offset:480
	;; [unrolled: 1-line block ×6, first 2 shown]
	buffer_load_dword v225, off, s[0:3], 0 offset:256
	buffer_load_dword v226, off, s[0:3], 0 offset:260
	;; [unrolled: 1-line block ×6, first 2 shown]
	v_cmp_lt_u32_e32 vcc, 6, v0
	s_waitcnt vmcnt(55) lgkmcnt(5)
	v_mul_f32_e32 v134, v110, v109
	s_waitcnt vmcnt(54)
	v_mul_f32_e32 v135, v112, v108
	s_waitcnt vmcnt(53) lgkmcnt(4)
	v_mul_f32_e32 v136, v114, v107
	s_waitcnt vmcnt(52)
	v_mul_f32_e32 v137, v116, v106
	;; [unrolled: 4-line block ×5, first 2 shown]
	s_waitcnt vmcnt(45) lgkmcnt(0)
	v_mul_f32_e32 v144, v130, v6
	s_waitcnt vmcnt(44)
	v_fmac_f32_e32 v136, v115, v7
	s_waitcnt vmcnt(43)
	v_fmac_f32_e32 v135, v113, v8
	;; [unrolled: 2-line block ×3, first 2 shown]
	v_add_f32_e32 v134, 0, v134
	v_add_f32_e32 v134, v134, v135
	;; [unrolled: 1-line block ×3, first 2 shown]
	s_waitcnt vmcnt(38)
	v_fmac_f32_e32 v137, v117, v194
	v_fmac_f32_e32 v138, v119, v193
	v_add_f32_e32 v134, v134, v137
	v_fmac_f32_e32 v139, v121, v192
	v_add_f32_e32 v134, v134, v138
	;; [unrolled: 2-line block ×3, first 2 shown]
	s_waitcnt vmcnt(34)
	v_fmac_f32_e32 v141, v125, v198
	v_add_f32_e32 v134, v134, v140
	v_fmac_f32_e32 v142, v127, v197
	v_add_f32_e32 v134, v134, v141
	v_fmac_f32_e32 v143, v129, v196
	v_add_f32_e32 v134, v134, v142
	v_fmac_f32_e32 v144, v131, v195
	v_add_f32_e32 v134, v134, v143
	v_add_f32_e32 v138, v134, v144
	ds_read_b128 v[134:137], v100 offset:560
	buffer_load_dword v231, off, s[0:3], 0 offset:280
	buffer_load_dword v232, off, s[0:3], 0 offset:284
	s_waitcnt vmcnt(35)
	v_mul_f32_e32 v139, v132, v199
	s_waitcnt vmcnt(29)
	v_fmac_f32_e32 v139, v133, v205
	v_add_f32_e32 v142, v138, v139
	ds_read_b128 v[138:141], v100 offset:576
	buffer_load_dword v233, off, s[0:3], 0 offset:288
	buffer_load_dword v234, off, s[0:3], 0 offset:292
	;; [unrolled: 1-line block ×14, first 2 shown]
	s_waitcnt vmcnt(42) lgkmcnt(1)
	v_mul_f32_e32 v143, v134, v206
	v_fmac_f32_e32 v143, v135, v204
	buffer_load_dword v247, off, s[0:3], 0 offset:344
	buffer_load_dword v248, off, s[0:3], 0 offset:348
	v_add_f32_e32 v142, v142, v143
	v_mul_f32_e32 v143, v136, v201
	v_fmac_f32_e32 v143, v137, v200
	v_add_f32_e32 v142, v142, v143
	s_waitcnt lgkmcnt(0)
	v_mul_f32_e32 v143, v138, v203
	v_fmac_f32_e32 v143, v139, v202
	v_add_f32_e32 v146, v142, v143
	ds_read_b128 v[142:145], v100 offset:592
	buffer_load_dword v249, off, s[0:3], 0 offset:352
	buffer_load_dword v250, off, s[0:3], 0 offset:356
	;; [unrolled: 1-line block ×6, first 2 shown]
	s_waitcnt vmcnt(46)
	v_mul_f32_e32 v147, v140, v208
	v_fmac_f32_e32 v147, v141, v207
	v_add_f32_e32 v150, v146, v147
	ds_read_b128 v[146:149], v100 offset:608
	buffer_load_dword v255, off, s[0:3], 0 offset:380
	buffer_load_dword v11, off, s[0:3], 0 offset:384
	;; [unrolled: 1-line block ×4, first 2 shown]
	s_waitcnt vmcnt(48) lgkmcnt(1)
	v_mul_f32_e32 v151, v142, v210
	v_fmac_f32_e32 v151, v143, v209
	v_add_f32_e32 v14, v150, v151
	s_waitcnt vmcnt(46)
	v_mul_f32_e32 v150, v144, v212
	v_fmac_f32_e32 v150, v145, v211
	v_add_f32_e32 v14, v14, v150
	s_waitcnt vmcnt(44) lgkmcnt(0)
	v_mul_f32_e32 v150, v146, v214
	v_fmac_f32_e32 v150, v147, v213
	v_add_f32_e32 v14, v14, v150
	ds_read_b128 v[150:153], v100 offset:624
	s_waitcnt vmcnt(42)
	v_mul_f32_e32 v154, v148, v216
	v_fmac_f32_e32 v154, v149, v215
	v_add_f32_e32 v14, v14, v154
	ds_read_b128 v[154:157], v100 offset:640
	s_waitcnt vmcnt(40) lgkmcnt(1)
	v_mul_f32_e32 v158, v150, v218
	v_fmac_f32_e32 v158, v151, v217
	v_add_f32_e32 v14, v14, v158
	s_waitcnt vmcnt(38)
	v_mul_f32_e32 v158, v152, v220
	v_fmac_f32_e32 v158, v153, v219
	v_add_f32_e32 v14, v14, v158
	s_waitcnt vmcnt(36) lgkmcnt(0)
	v_mul_f32_e32 v158, v154, v222
	v_fmac_f32_e32 v158, v155, v221
	v_add_f32_e32 v14, v14, v158
	ds_read_b128 v[158:161], v100 offset:656
	s_waitcnt vmcnt(34)
	v_mul_f32_e32 v162, v156, v224
	v_fmac_f32_e32 v162, v157, v223
	v_add_f32_e32 v14, v14, v162
	ds_read_b128 v[162:165], v100 offset:672
	s_waitcnt vmcnt(32) lgkmcnt(1)
	v_mul_f32_e32 v166, v158, v226
	v_fmac_f32_e32 v166, v159, v225
	v_add_f32_e32 v14, v14, v166
	s_waitcnt vmcnt(31)
	v_mul_f32_e32 v166, v160, v227
	s_waitcnt vmcnt(28)
	v_fmac_f32_e32 v166, v161, v230
	v_add_f32_e32 v14, v14, v166
	s_waitcnt lgkmcnt(0)
	v_mul_f32_e32 v166, v162, v229
	v_fmac_f32_e32 v166, v163, v228
	v_add_f32_e32 v14, v14, v166
	ds_read_b128 v[166:169], v100 offset:688
	v_mul_f32_e32 v3, v125, v3
	v_fma_f32 v3, v124, v198, -v3
	v_mul_f32_e32 v4, v127, v4
	v_fma_f32 v4, v126, v197, -v4
	s_waitcnt vmcnt(26)
	v_mul_f32_e32 v170, v164, v232
	v_fmac_f32_e32 v170, v165, v231
	v_add_f32_e32 v14, v14, v170
	ds_read_b128 v[170:173], v100 offset:704
	s_waitcnt vmcnt(24) lgkmcnt(1)
	v_mul_f32_e32 v174, v166, v234
	v_fmac_f32_e32 v174, v167, v233
	v_add_f32_e32 v14, v14, v174
	s_waitcnt vmcnt(23)
	v_mul_f32_e32 v174, v168, v235
	s_waitcnt vmcnt(20)
	v_fmac_f32_e32 v174, v169, v238
	v_add_f32_e32 v14, v14, v174
	s_waitcnt lgkmcnt(0)
	v_mul_f32_e32 v174, v170, v237
	v_fmac_f32_e32 v174, v171, v236
	v_add_f32_e32 v14, v14, v174
	ds_read_b128 v[174:177], v100 offset:720
	s_waitcnt vmcnt(18)
	v_mul_f32_e32 v178, v172, v240
	v_fmac_f32_e32 v178, v173, v239
	v_add_f32_e32 v14, v14, v178
	ds_read_b128 v[178:181], v100 offset:736
	s_waitcnt vmcnt(16) lgkmcnt(1)
	v_mul_f32_e32 v182, v174, v242
	v_fmac_f32_e32 v182, v175, v241
	v_add_f32_e32 v14, v14, v182
	s_waitcnt vmcnt(15)
	v_mul_f32_e32 v182, v176, v243
	s_waitcnt vmcnt(12)
	v_fmac_f32_e32 v182, v177, v246
	v_add_f32_e32 v14, v14, v182
	s_waitcnt lgkmcnt(0)
	v_mul_f32_e32 v182, v178, v245
	v_fmac_f32_e32 v182, v179, v244
	v_add_f32_e32 v14, v14, v182
	ds_read_b128 v[182:185], v100 offset:752
	s_waitcnt vmcnt(10)
	v_mul_f32_e32 v186, v180, v248
	v_fmac_f32_e32 v186, v181, v247
	v_add_f32_e32 v14, v14, v186
	ds_read_b128 v[186:189], v100 offset:768
	s_waitcnt vmcnt(8) lgkmcnt(1)
	v_mul_f32_e32 v190, v182, v250
	v_fmac_f32_e32 v190, v183, v249
	v_add_f32_e32 v14, v14, v190
	s_waitcnt vmcnt(7)
	v_mul_f32_e32 v190, v184, v251
	s_waitcnt vmcnt(4)
	v_fmac_f32_e32 v190, v185, v254
	v_add_f32_e32 v14, v14, v190
	ds_read_b64 v[190:191], v100 offset:784
	s_waitcnt lgkmcnt(1)
	v_mul_f32_e32 v15, v186, v253
	v_fmac_f32_e32 v15, v187, v252
	v_add_f32_e32 v14, v14, v15
	s_waitcnt vmcnt(3)
	v_mul_f32_e32 v15, v188, v255
	s_waitcnt vmcnt(0)
	v_fmac_f32_e32 v15, v189, v13
	v_add_f32_e32 v14, v14, v15
	s_waitcnt lgkmcnt(0)
	v_mul_f32_e32 v15, v190, v12
	v_fmac_f32_e32 v15, v191, v11
	v_add_f32_e32 v14, v14, v15
	v_mul_f32_e32 v15, v111, v109
	v_fma_f32 v9, v110, v9, -v15
	v_mul_f32_e32 v15, v113, v108
	v_add_f32_e32 v9, 0, v9
	v_fma_f32 v8, v112, v8, -v15
	v_add_f32_e32 v8, v9, v8
	v_mul_f32_e32 v9, v115, v107
	v_fma_f32 v7, v114, v7, -v9
	v_add_f32_e32 v7, v8, v7
	v_mul_f32_e32 v8, v117, v106
	;; [unrolled: 3-line block ×5, first 2 shown]
	v_fma_f32 v8, v122, v10, -v8
	v_add_f32_e32 v7, v7, v8
	v_add_f32_e32 v3, v7, v3
	;; [unrolled: 1-line block ×3, first 2 shown]
	v_mul_f32_e32 v4, v129, v5
	v_fma_f32 v4, v128, v196, -v4
	v_add_f32_e32 v3, v3, v4
	v_mul_f32_e32 v4, v131, v6
	v_fma_f32 v4, v130, v195, -v4
	v_add_f32_e32 v3, v3, v4
	v_mul_f32_e32 v4, v133, v199
	v_fma_f32 v4, v132, v205, -v4
	v_add_f32_e32 v3, v3, v4
	v_mul_f32_e32 v4, v135, v206
	v_fma_f32 v4, v134, v204, -v4
	v_add_f32_e32 v3, v3, v4
	v_mul_f32_e32 v4, v137, v201
	v_fma_f32 v4, v136, v200, -v4
	v_add_f32_e32 v3, v3, v4
	v_mul_f32_e32 v4, v139, v203
	v_fma_f32 v4, v138, v202, -v4
	v_add_f32_e32 v3, v3, v4
	v_mul_f32_e32 v4, v141, v208
	v_fma_f32 v4, v140, v207, -v4
	v_add_f32_e32 v3, v3, v4
	v_mul_f32_e32 v4, v143, v210
	v_fma_f32 v4, v142, v209, -v4
	v_add_f32_e32 v3, v3, v4
	v_mul_f32_e32 v4, v145, v212
	v_fma_f32 v4, v144, v211, -v4
	v_add_f32_e32 v3, v3, v4
	v_mul_f32_e32 v4, v147, v214
	v_fma_f32 v4, v146, v213, -v4
	v_add_f32_e32 v3, v3, v4
	v_mul_f32_e32 v4, v149, v216
	v_fma_f32 v4, v148, v215, -v4
	v_add_f32_e32 v3, v3, v4
	v_mul_f32_e32 v4, v151, v218
	v_fma_f32 v4, v150, v217, -v4
	v_add_f32_e32 v3, v3, v4
	v_mul_f32_e32 v4, v153, v220
	v_fma_f32 v4, v152, v219, -v4
	v_add_f32_e32 v3, v3, v4
	v_mul_f32_e32 v4, v155, v222
	v_fma_f32 v4, v154, v221, -v4
	v_add_f32_e32 v3, v3, v4
	v_mul_f32_e32 v4, v157, v224
	v_fma_f32 v4, v156, v223, -v4
	v_add_f32_e32 v3, v3, v4
	v_mul_f32_e32 v4, v159, v226
	v_fma_f32 v4, v158, v225, -v4
	v_add_f32_e32 v3, v3, v4
	v_mul_f32_e32 v4, v161, v227
	v_fma_f32 v4, v160, v230, -v4
	v_add_f32_e32 v3, v3, v4
	v_mul_f32_e32 v4, v163, v229
	v_fma_f32 v4, v162, v228, -v4
	v_add_f32_e32 v3, v3, v4
	v_mul_f32_e32 v4, v165, v232
	v_fma_f32 v4, v164, v231, -v4
	v_add_f32_e32 v3, v3, v4
	v_mul_f32_e32 v4, v167, v234
	v_fma_f32 v4, v166, v233, -v4
	v_add_f32_e32 v3, v3, v4
	v_mul_f32_e32 v4, v169, v235
	v_fma_f32 v4, v168, v238, -v4
	v_add_f32_e32 v3, v3, v4
	v_mul_f32_e32 v4, v171, v237
	v_fma_f32 v4, v170, v236, -v4
	v_add_f32_e32 v3, v3, v4
	v_mul_f32_e32 v4, v173, v240
	v_fma_f32 v4, v172, v239, -v4
	v_add_f32_e32 v3, v3, v4
	v_mul_f32_e32 v4, v175, v242
	v_fma_f32 v4, v174, v241, -v4
	v_add_f32_e32 v3, v3, v4
	v_mul_f32_e32 v4, v177, v243
	v_fma_f32 v4, v176, v246, -v4
	v_add_f32_e32 v3, v3, v4
	v_mul_f32_e32 v4, v179, v245
	v_fma_f32 v4, v178, v244, -v4
	v_add_f32_e32 v3, v3, v4
	v_mul_f32_e32 v4, v181, v248
	v_fma_f32 v4, v180, v247, -v4
	v_add_f32_e32 v3, v3, v4
	v_mul_f32_e32 v4, v183, v250
	v_fma_f32 v4, v182, v249, -v4
	v_add_f32_e32 v3, v3, v4
	v_mul_f32_e32 v4, v185, v251
	v_fma_f32 v4, v184, v254, -v4
	v_add_f32_e32 v3, v3, v4
	v_mul_f32_e32 v4, v187, v253
	v_fma_f32 v4, v186, v252, -v4
	v_add_f32_e32 v3, v3, v4
	v_mul_f32_e32 v4, v189, v255
	v_fma_f32 v4, v188, v13, -v4
	v_add_f32_e32 v3, v3, v4
	v_mul_f32_e32 v4, v191, v12
	v_fma_f32 v4, v190, v11, -v4
	v_add_f32_e32 v3, v3, v4
	v_sub_f32_e32 v3, v101, v3
	v_sub_f32_e32 v4, v102, v14
	buffer_store_dword v3, off, s[0:3], 0 offset:56
	buffer_store_dword v4, off, s[0:3], 0 offset:60
	s_and_saveexec_b64 s[4:5], vcc
	s_cbranch_execz .LBB112_295
; %bb.294:
	buffer_load_dword v101, off, s[0:3], 0 offset:48
	buffer_load_dword v102, off, s[0:3], 0 offset:52
	s_waitcnt vmcnt(0)
	ds_write_b64 v99, v[101:102]
	buffer_store_dword v100, off, s[0:3], 0 offset:48
	buffer_store_dword v100, off, s[0:3], 0 offset:52
.LBB112_295:
	s_or_b64 exec, exec, s[4:5]
	s_waitcnt lgkmcnt(0)
	; wave barrier
	buffer_load_dword v3, off, s[0:3], 0 offset:60
	buffer_load_dword v4, off, s[0:3], 0 offset:68
	;; [unrolled: 1-line block ×32, first 2 shown]
	ds_read2_b64 v[101:104], v100 offset0:57 offset1:58
	ds_read2_b64 v[105:108], v100 offset0:59 offset1:60
	;; [unrolled: 1-line block ×6, first 2 shown]
	buffer_load_dword v203, off, s[0:3], 0 offset:176
	buffer_load_dword v204, off, s[0:3], 0 offset:180
	;; [unrolled: 1-line block ×18, first 2 shown]
	v_cmp_lt_u32_e32 vcc, 5, v0
	s_waitcnt vmcnt(49) lgkmcnt(5)
	v_mul_f32_e32 v125, v101, v3
	s_waitcnt vmcnt(48)
	v_mul_f32_e32 v126, v103, v4
	s_waitcnt vmcnt(47) lgkmcnt(4)
	v_mul_f32_e32 v127, v105, v5
	s_waitcnt vmcnt(46)
	v_mul_f32_e32 v128, v107, v6
	;; [unrolled: 4-line block ×6, first 2 shown]
	s_waitcnt vmcnt(37)
	v_fmac_f32_e32 v127, v106, v15
	s_waitcnt vmcnt(36)
	v_fmac_f32_e32 v126, v104, v16
	;; [unrolled: 2-line block ×3, first 2 shown]
	v_add_f32_e32 v125, 0, v125
	v_add_f32_e32 v125, v125, v126
	;; [unrolled: 1-line block ×3, first 2 shown]
	s_waitcnt vmcnt(31)
	v_fmac_f32_e32 v128, v108, v189
	v_fmac_f32_e32 v129, v110, v188
	v_add_f32_e32 v125, v125, v128
	v_fmac_f32_e32 v130, v112, v187
	v_add_f32_e32 v125, v125, v129
	;; [unrolled: 2-line block ×3, first 2 shown]
	s_waitcnt vmcnt(27)
	v_fmac_f32_e32 v132, v116, v193
	v_add_f32_e32 v125, v125, v131
	v_fmac_f32_e32 v133, v118, v192
	v_add_f32_e32 v125, v125, v132
	;; [unrolled: 2-line block ×3, first 2 shown]
	v_add_f32_e32 v129, v125, v134
	ds_read2_b64 v[125:128], v100 offset0:69 offset1:70
	buffer_load_dword v221, off, s[0:3], 0 offset:248
	buffer_load_dword v222, off, s[0:3], 0 offset:252
	;; [unrolled: 1-line block ×6, first 2 shown]
	v_fmac_f32_e32 v135, v122, v190
	s_waitcnt vmcnt(27)
	v_fmac_f32_e32 v136, v124, v199
	v_add_f32_e32 v129, v129, v135
	v_add_f32_e32 v133, v129, v136
	ds_read2_b64 v[129:132], v100 offset0:71 offset1:72
	buffer_load_dword v227, off, s[0:3], 0 offset:272
	buffer_load_dword v228, off, s[0:3], 0 offset:276
	;; [unrolled: 1-line block ×10, first 2 shown]
	s_waitcnt vmcnt(36) lgkmcnt(1)
	v_mul_f32_e32 v134, v125, v200
	buffer_load_dword v237, off, s[0:3], 0 offset:312
	buffer_load_dword v238, off, s[0:3], 0 offset:316
	;; [unrolled: 1-line block ×6, first 2 shown]
	v_fmac_f32_e32 v134, v126, v198
	v_add_f32_e32 v133, v133, v134
	v_mul_f32_e32 v134, v127, v195
	v_fmac_f32_e32 v134, v128, v194
	v_add_f32_e32 v133, v133, v134
	s_waitcnt lgkmcnt(0)
	v_mul_f32_e32 v134, v129, v197
	v_fmac_f32_e32 v134, v130, v196
	v_add_f32_e32 v137, v133, v134
	ds_read2_b64 v[133:136], v100 offset0:73 offset1:74
	buffer_load_dword v243, off, s[0:3], 0 offset:336
	buffer_load_dword v244, off, s[0:3], 0 offset:340
	s_waitcnt vmcnt(40)
	v_mul_f32_e32 v138, v131, v204
	v_fmac_f32_e32 v138, v132, v203
	v_add_f32_e32 v141, v137, v138
	ds_read2_b64 v[137:140], v100 offset0:75 offset1:76
	buffer_load_dword v245, off, s[0:3], 0 offset:344
	buffer_load_dword v246, off, s[0:3], 0 offset:348
	;; [unrolled: 1-line block ×12, first 2 shown]
	v_mul_f32_e32 v3, v102, v3
	v_fma_f32 v3, v101, v185, -v3
	v_mul_f32_e32 v4, v104, v4
	v_add_f32_e32 v3, 0, v3
	v_fma_f32 v4, v103, v16, -v4
	v_add_f32_e32 v3, v3, v4
	v_mul_f32_e32 v4, v106, v5
	v_fma_f32 v4, v105, v15, -v4
	v_add_f32_e32 v3, v3, v4
	v_mul_f32_e32 v4, v108, v6
	;; [unrolled: 3-line block ×6, first 2 shown]
	v_fma_f32 v4, v115, v193, -v4
	s_waitcnt vmcnt(50) lgkmcnt(1)
	v_mul_f32_e32 v142, v133, v206
	v_add_f32_e32 v3, v3, v4
	v_mul_f32_e32 v4, v118, v11
	v_fmac_f32_e32 v142, v134, v205
	v_fma_f32 v4, v117, v192, -v4
	v_add_f32_e32 v141, v141, v142
	s_waitcnt vmcnt(48)
	v_mul_f32_e32 v142, v135, v208
	v_add_f32_e32 v3, v3, v4
	v_mul_f32_e32 v4, v120, v12
	v_fmac_f32_e32 v142, v136, v207
	v_fma_f32 v4, v119, v191, -v4
	v_add_f32_e32 v18, v141, v142
	s_waitcnt vmcnt(46) lgkmcnt(0)
	v_mul_f32_e32 v141, v137, v210
	v_add_f32_e32 v3, v3, v4
	v_mul_f32_e32 v4, v122, v13
	v_fmac_f32_e32 v141, v138, v209
	v_fma_f32 v4, v121, v190, -v4
	v_add_f32_e32 v18, v18, v141
	ds_read2_b64 v[141:144], v100 offset0:77 offset1:78
	v_add_f32_e32 v3, v3, v4
	v_mul_f32_e32 v4, v124, v14
	v_fma_f32 v4, v123, v199, -v4
	s_waitcnt vmcnt(44)
	v_mul_f32_e32 v145, v139, v212
	v_add_f32_e32 v3, v3, v4
	v_mul_f32_e32 v4, v126, v200
	v_fmac_f32_e32 v145, v140, v211
	v_fma_f32 v4, v125, v198, -v4
	v_add_f32_e32 v18, v18, v145
	ds_read2_b64 v[145:148], v100 offset0:79 offset1:80
	v_add_f32_e32 v3, v3, v4
	v_mul_f32_e32 v4, v128, v195
	s_waitcnt vmcnt(42) lgkmcnt(1)
	v_mul_f32_e32 v149, v141, v214
	v_fma_f32 v4, v127, v194, -v4
	v_fmac_f32_e32 v149, v142, v213
	v_add_f32_e32 v3, v3, v4
	v_mul_f32_e32 v4, v130, v197
	v_add_f32_e32 v18, v18, v149
	s_waitcnt vmcnt(40)
	v_mul_f32_e32 v149, v143, v216
	v_fma_f32 v4, v129, v196, -v4
	v_fmac_f32_e32 v149, v144, v215
	v_add_f32_e32 v3, v3, v4
	v_mul_f32_e32 v4, v132, v204
	v_add_f32_e32 v18, v18, v149
	s_waitcnt vmcnt(38) lgkmcnt(0)
	v_mul_f32_e32 v149, v145, v218
	v_fma_f32 v4, v131, v203, -v4
	v_fmac_f32_e32 v149, v146, v217
	v_add_f32_e32 v3, v3, v4
	v_mul_f32_e32 v4, v134, v206
	v_add_f32_e32 v18, v18, v149
	ds_read2_b64 v[149:152], v100 offset0:81 offset1:82
	v_fma_f32 v4, v133, v205, -v4
	v_add_f32_e32 v3, v3, v4
	v_mul_f32_e32 v4, v136, v208
	s_waitcnt vmcnt(36)
	v_mul_f32_e32 v153, v147, v220
	v_fma_f32 v4, v135, v207, -v4
	v_fmac_f32_e32 v153, v148, v219
	v_add_f32_e32 v3, v3, v4
	v_mul_f32_e32 v4, v138, v210
	v_add_f32_e32 v18, v18, v153
	ds_read2_b64 v[153:156], v100 offset0:83 offset1:84
	v_fma_f32 v4, v137, v209, -v4
	s_waitcnt vmcnt(34) lgkmcnt(1)
	v_mul_f32_e32 v157, v149, v222
	v_add_f32_e32 v3, v3, v4
	v_mul_f32_e32 v4, v140, v212
	v_fmac_f32_e32 v157, v150, v221
	v_fma_f32 v4, v139, v211, -v4
	v_add_f32_e32 v18, v18, v157
	s_waitcnt vmcnt(33)
	v_mul_f32_e32 v157, v151, v223
	v_add_f32_e32 v3, v3, v4
	v_mul_f32_e32 v4, v142, v214
	s_waitcnt vmcnt(30)
	v_fmac_f32_e32 v157, v152, v226
	v_fma_f32 v4, v141, v213, -v4
	v_add_f32_e32 v18, v18, v157
	s_waitcnt lgkmcnt(0)
	v_mul_f32_e32 v157, v153, v225
	v_add_f32_e32 v3, v3, v4
	v_mul_f32_e32 v4, v144, v216
	v_fmac_f32_e32 v157, v154, v224
	v_fma_f32 v4, v143, v215, -v4
	v_add_f32_e32 v18, v18, v157
	ds_read2_b64 v[157:160], v100 offset0:85 offset1:86
	v_add_f32_e32 v3, v3, v4
	v_mul_f32_e32 v4, v146, v218
	v_fma_f32 v4, v145, v217, -v4
	s_waitcnt vmcnt(28)
	v_mul_f32_e32 v161, v155, v228
	v_add_f32_e32 v3, v3, v4
	v_mul_f32_e32 v4, v148, v220
	v_fmac_f32_e32 v161, v156, v227
	v_fma_f32 v4, v147, v219, -v4
	v_add_f32_e32 v18, v18, v161
	ds_read2_b64 v[161:164], v100 offset0:87 offset1:88
	v_add_f32_e32 v3, v3, v4
	v_mul_f32_e32 v4, v150, v222
	s_waitcnt vmcnt(26) lgkmcnt(1)
	v_mul_f32_e32 v165, v157, v230
	v_fma_f32 v4, v149, v221, -v4
	v_fmac_f32_e32 v165, v158, v229
	v_add_f32_e32 v3, v3, v4
	v_mul_f32_e32 v4, v152, v223
	v_add_f32_e32 v18, v18, v165
	s_waitcnt vmcnt(25)
	v_mul_f32_e32 v165, v159, v231
	v_fma_f32 v4, v151, v226, -v4
	s_waitcnt vmcnt(22)
	v_fmac_f32_e32 v165, v160, v234
	v_add_f32_e32 v3, v3, v4
	v_mul_f32_e32 v4, v154, v225
	v_add_f32_e32 v18, v18, v165
	s_waitcnt lgkmcnt(0)
	v_mul_f32_e32 v165, v161, v233
	v_fma_f32 v4, v153, v224, -v4
	v_fmac_f32_e32 v165, v162, v232
	v_add_f32_e32 v3, v3, v4
	v_mul_f32_e32 v4, v156, v228
	v_add_f32_e32 v18, v18, v165
	ds_read2_b64 v[165:168], v100 offset0:89 offset1:90
	v_fma_f32 v4, v155, v227, -v4
	v_add_f32_e32 v3, v3, v4
	v_mul_f32_e32 v4, v158, v230
	s_waitcnt vmcnt(20)
	v_mul_f32_e32 v169, v163, v236
	v_fma_f32 v4, v157, v229, -v4
	v_fmac_f32_e32 v169, v164, v235
	v_add_f32_e32 v3, v3, v4
	v_mul_f32_e32 v4, v160, v231
	v_add_f32_e32 v18, v18, v169
	ds_read2_b64 v[169:172], v100 offset0:91 offset1:92
	v_fma_f32 v4, v159, v234, -v4
	s_waitcnt vmcnt(18) lgkmcnt(1)
	v_mul_f32_e32 v173, v165, v238
	v_add_f32_e32 v3, v3, v4
	v_mul_f32_e32 v4, v162, v233
	v_fmac_f32_e32 v173, v166, v237
	v_fma_f32 v4, v161, v232, -v4
	v_add_f32_e32 v18, v18, v173
	s_waitcnt vmcnt(17)
	v_mul_f32_e32 v173, v167, v239
	v_add_f32_e32 v3, v3, v4
	v_mul_f32_e32 v4, v164, v236
	s_waitcnt vmcnt(14)
	v_fmac_f32_e32 v173, v168, v242
	v_fma_f32 v4, v163, v235, -v4
	v_add_f32_e32 v18, v18, v173
	s_waitcnt lgkmcnt(0)
	v_mul_f32_e32 v173, v169, v241
	v_add_f32_e32 v3, v3, v4
	v_mul_f32_e32 v4, v166, v238
	v_fmac_f32_e32 v173, v170, v240
	v_fma_f32 v4, v165, v237, -v4
	v_add_f32_e32 v18, v18, v173
	ds_read2_b64 v[173:176], v100 offset0:93 offset1:94
	v_add_f32_e32 v3, v3, v4
	v_mul_f32_e32 v4, v168, v239
	v_fma_f32 v4, v167, v242, -v4
	v_add_f32_e32 v3, v3, v4
	v_mul_f32_e32 v4, v170, v241
	s_waitcnt vmcnt(12)
	v_mul_f32_e32 v177, v171, v244
	v_fma_f32 v4, v169, v240, -v4
	v_fmac_f32_e32 v177, v172, v243
	v_add_f32_e32 v3, v3, v4
	v_mul_f32_e32 v4, v172, v244
	v_add_f32_e32 v18, v18, v177
	ds_read2_b64 v[177:180], v100 offset0:95 offset1:96
	s_waitcnt vmcnt(10) lgkmcnt(1)
	v_mul_f32_e32 v181, v173, v246
	v_fma_f32 v4, v171, v243, -v4
	v_fmac_f32_e32 v181, v174, v245
	v_add_f32_e32 v3, v3, v4
	v_mul_f32_e32 v4, v174, v246
	v_add_f32_e32 v18, v18, v181
	s_waitcnt vmcnt(9)
	v_mul_f32_e32 v181, v175, v247
	v_fma_f32 v4, v173, v245, -v4
	s_waitcnt vmcnt(6)
	v_fmac_f32_e32 v181, v176, v250
	v_add_f32_e32 v3, v3, v4
	v_mul_f32_e32 v4, v176, v247
	v_add_f32_e32 v18, v18, v181
	ds_read2_b64 v[181:184], v100 offset0:97 offset1:98
	v_fma_f32 v4, v175, v250, -v4
	v_add_f32_e32 v3, v3, v4
	s_waitcnt lgkmcnt(1)
	v_mul_f32_e32 v4, v178, v249
	v_mul_f32_e32 v19, v177, v249
	v_fma_f32 v4, v177, v248, -v4
	v_fmac_f32_e32 v19, v178, v248
	v_add_f32_e32 v3, v3, v4
	s_waitcnt vmcnt(4)
	v_mul_f32_e32 v4, v180, v252
	v_add_f32_e32 v18, v18, v19
	v_mul_f32_e32 v19, v179, v252
	v_fma_f32 v4, v179, v251, -v4
	v_fmac_f32_e32 v19, v180, v251
	v_add_f32_e32 v3, v3, v4
	s_waitcnt vmcnt(3) lgkmcnt(0)
	v_mul_f32_e32 v4, v182, v253
	v_add_f32_e32 v18, v18, v19
	v_mul_f32_e32 v19, v181, v253
	s_waitcnt vmcnt(0)
	v_fma_f32 v4, v181, v17, -v4
	v_fmac_f32_e32 v19, v182, v17
	v_add_f32_e32 v3, v3, v4
	v_mul_f32_e32 v4, v184, v255
	v_add_f32_e32 v18, v18, v19
	v_mul_f32_e32 v19, v183, v255
	v_fma_f32 v4, v183, v254, -v4
	v_fmac_f32_e32 v19, v184, v254
	v_add_f32_e32 v3, v3, v4
	v_add_f32_e32 v18, v18, v19
	v_sub_f32_e32 v3, v201, v3
	v_sub_f32_e32 v4, v202, v18
	buffer_store_dword v3, off, s[0:3], 0 offset:48
	buffer_store_dword v4, off, s[0:3], 0 offset:52
	s_and_saveexec_b64 s[4:5], vcc
	s_cbranch_execz .LBB112_297
; %bb.296:
	buffer_load_dword v100, off, s[0:3], 0 offset:40
	buffer_load_dword v101, off, s[0:3], 0 offset:44
	v_mov_b32_e32 v3, 0
	buffer_store_dword v3, off, s[0:3], 0 offset:40
	buffer_store_dword v3, off, s[0:3], 0 offset:44
	s_waitcnt vmcnt(2)
	ds_write_b64 v99, v[100:101]
.LBB112_297:
	s_or_b64 exec, exec, s[4:5]
	s_waitcnt lgkmcnt(0)
	; wave barrier
	buffer_load_dword v109, off, s[0:3], 0 offset:52
	buffer_load_dword v108, off, s[0:3], 0 offset:60
	;; [unrolled: 1-line block ×48, first 2 shown]
	v_mov_b32_e32 v100, 0
	ds_read_b128 v[115:118], v100 offset:448
	ds_read_b128 v[119:122], v100 offset:464
	;; [unrolled: 1-line block ×6, first 2 shown]
	buffer_load_dword v217, off, s[0:3], 0 offset:232
	buffer_load_dword v218, off, s[0:3], 0 offset:236
	v_cmp_lt_u32_e32 vcc, 4, v0
	s_waitcnt vmcnt(49) lgkmcnt(5)
	v_mul_f32_e32 v139, v115, v109
	s_waitcnt vmcnt(48)
	v_mul_f32_e32 v140, v117, v108
	s_waitcnt vmcnt(47) lgkmcnt(4)
	v_mul_f32_e32 v141, v119, v107
	s_waitcnt vmcnt(46)
	v_mul_f32_e32 v142, v121, v106
	;; [unrolled: 4-line block ×6, first 2 shown]
	s_waitcnt vmcnt(37)
	v_fmac_f32_e32 v141, v120, v3
	s_waitcnt vmcnt(36)
	v_fmac_f32_e32 v140, v118, v4
	;; [unrolled: 2-line block ×3, first 2 shown]
	v_add_f32_e32 v139, 0, v139
	v_add_f32_e32 v139, v139, v140
	;; [unrolled: 1-line block ×3, first 2 shown]
	s_waitcnt vmcnt(31)
	v_fmac_f32_e32 v142, v122, v9
	v_fmac_f32_e32 v143, v124, v8
	v_add_f32_e32 v139, v139, v142
	v_fmac_f32_e32 v144, v126, v7
	v_add_f32_e32 v139, v139, v143
	;; [unrolled: 2-line block ×3, first 2 shown]
	s_waitcnt vmcnt(27)
	v_fmac_f32_e32 v146, v130, v13
	v_add_f32_e32 v139, v139, v145
	v_fmac_f32_e32 v147, v132, v12
	v_add_f32_e32 v139, v139, v146
	v_fmac_f32_e32 v148, v134, v11
	v_add_f32_e32 v139, v139, v147
	v_fmac_f32_e32 v149, v136, v10
	v_add_f32_e32 v139, v139, v148
	v_add_f32_e32 v143, v139, v149
	ds_read_b128 v[139:142], v100 offset:544
	buffer_load_dword v219, off, s[0:3], 0 offset:240
	buffer_load_dword v220, off, s[0:3], 0 offset:244
	buffer_load_dword v221, off, s[0:3], 0 offset:252
	buffer_load_dword v222, off, s[0:3], 0 offset:256
	buffer_load_dword v223, off, s[0:3], 0 offset:260
	buffer_load_dword v224, off, s[0:3], 0 offset:248
	s_waitcnt vmcnt(28)
	v_fmac_f32_e32 v150, v138, v18
	v_add_f32_e32 v147, v143, v150
	ds_read_b128 v[143:146], v100 offset:560
	buffer_load_dword v225, off, s[0:3], 0 offset:264
	buffer_load_dword v226, off, s[0:3], 0 offset:268
	buffer_load_dword v227, off, s[0:3], 0 offset:272
	buffer_load_dword v228, off, s[0:3], 0 offset:276
	buffer_load_dword v229, off, s[0:3], 0 offset:284
	buffer_load_dword v230, off, s[0:3], 0 offset:288
	buffer_load_dword v231, off, s[0:3], 0 offset:292
	buffer_load_dword v232, off, s[0:3], 0 offset:280
	s_waitcnt vmcnt(35) lgkmcnt(1)
	v_mul_f32_e32 v148, v139, v19
	buffer_load_dword v233, off, s[0:3], 0 offset:296
	buffer_load_dword v234, off, s[0:3], 0 offset:300
	v_fmac_f32_e32 v148, v140, v17
	v_add_f32_e32 v147, v147, v148
	s_waitcnt vmcnt(36)
	v_mul_f32_e32 v148, v141, v20
	v_fmac_f32_e32 v148, v142, v16
	v_add_f32_e32 v147, v147, v148
	s_waitcnt lgkmcnt(0)
	v_mul_f32_e32 v148, v143, v15
	v_fmac_f32_e32 v148, v144, v14
	v_add_f32_e32 v151, v147, v148
	ds_read_b128 v[147:150], v100 offset:576
	buffer_load_dword v235, off, s[0:3], 0 offset:304
	buffer_load_dword v236, off, s[0:3], 0 offset:308
	;; [unrolled: 1-line block ×6, first 2 shown]
	s_waitcnt vmcnt(38)
	v_mul_f32_e32 v152, v145, v202
	v_fmac_f32_e32 v152, v146, v201
	v_add_f32_e32 v155, v151, v152
	ds_read_b128 v[151:154], v100 offset:592
	buffer_load_dword v241, off, s[0:3], 0 offset:328
	buffer_load_dword v242, off, s[0:3], 0 offset:332
	;; [unrolled: 1-line block ×16, first 2 shown]
	s_waitcnt vmcnt(52) lgkmcnt(1)
	v_mul_f32_e32 v156, v147, v204
	v_fmac_f32_e32 v156, v148, v203
	v_add_f32_e32 v155, v155, v156
	s_waitcnt vmcnt(50)
	v_mul_f32_e32 v156, v149, v206
	v_fmac_f32_e32 v156, v150, v205
	v_add_f32_e32 v155, v155, v156
	s_waitcnt vmcnt(48) lgkmcnt(0)
	v_mul_f32_e32 v156, v151, v208
	v_fmac_f32_e32 v156, v152, v207
	v_add_f32_e32 v159, v155, v156
	ds_read_b128 v[155:158], v100 offset:608
	s_waitcnt vmcnt(46)
	v_mul_f32_e32 v22, v153, v210
	v_fmac_f32_e32 v22, v154, v209
	v_add_f32_e32 v22, v159, v22
	ds_read_b128 v[159:162], v100 offset:624
	s_waitcnt vmcnt(44) lgkmcnt(1)
	v_mul_f32_e32 v163, v155, v212
	v_fmac_f32_e32 v163, v156, v211
	v_add_f32_e32 v22, v22, v163
	s_waitcnt vmcnt(42)
	v_mul_f32_e32 v163, v157, v214
	v_fmac_f32_e32 v163, v158, v213
	v_add_f32_e32 v22, v22, v163
	s_waitcnt vmcnt(40) lgkmcnt(0)
	v_mul_f32_e32 v163, v159, v216
	v_fmac_f32_e32 v163, v160, v215
	v_add_f32_e32 v22, v22, v163
	ds_read_b128 v[163:166], v100 offset:640
	s_waitcnt vmcnt(38)
	v_mul_f32_e32 v167, v161, v218
	v_fmac_f32_e32 v167, v162, v217
	v_add_f32_e32 v22, v22, v167
	ds_read_b128 v[167:170], v100 offset:656
	s_waitcnt vmcnt(36) lgkmcnt(1)
	v_mul_f32_e32 v171, v163, v220
	v_fmac_f32_e32 v171, v164, v219
	v_add_f32_e32 v22, v22, v171
	s_waitcnt vmcnt(35)
	v_mul_f32_e32 v171, v165, v221
	s_waitcnt vmcnt(32)
	v_fmac_f32_e32 v171, v166, v224
	v_add_f32_e32 v22, v22, v171
	s_waitcnt lgkmcnt(0)
	v_mul_f32_e32 v171, v167, v223
	v_fmac_f32_e32 v171, v168, v222
	v_add_f32_e32 v22, v22, v171
	ds_read_b128 v[171:174], v100 offset:672
	s_waitcnt vmcnt(30)
	v_mul_f32_e32 v175, v169, v226
	v_fmac_f32_e32 v175, v170, v225
	v_add_f32_e32 v22, v22, v175
	ds_read_b128 v[175:178], v100 offset:688
	s_waitcnt vmcnt(28) lgkmcnt(1)
	v_mul_f32_e32 v179, v171, v228
	v_fmac_f32_e32 v179, v172, v227
	v_add_f32_e32 v22, v22, v179
	s_waitcnt vmcnt(27)
	v_mul_f32_e32 v179, v173, v229
	s_waitcnt vmcnt(24)
	v_fmac_f32_e32 v179, v174, v232
	v_add_f32_e32 v22, v22, v179
	s_waitcnt lgkmcnt(0)
	;; [unrolled: 19-line block ×4, first 2 shown]
	v_mul_f32_e32 v195, v191, v247
	v_fmac_f32_e32 v195, v192, v246
	v_add_f32_e32 v22, v22, v195
	ds_read_b128 v[195:198], v100 offset:768
	s_waitcnt vmcnt(6)
	v_mul_f32_e32 v199, v193, v250
	v_fmac_f32_e32 v199, v194, v249
	v_add_f32_e32 v22, v22, v199
	ds_read_b64 v[199:200], v100 offset:784
	s_waitcnt vmcnt(4) lgkmcnt(1)
	v_mul_f32_e32 v23, v195, v252
	v_fmac_f32_e32 v23, v196, v251
	v_add_f32_e32 v22, v22, v23
	s_waitcnt vmcnt(3)
	v_mul_f32_e32 v23, v197, v253
	s_waitcnt vmcnt(0)
	v_fmac_f32_e32 v23, v198, v21
	v_add_f32_e32 v22, v22, v23
	s_waitcnt lgkmcnt(0)
	v_mul_f32_e32 v23, v199, v255
	v_fmac_f32_e32 v23, v200, v254
	v_add_f32_e32 v22, v22, v23
	v_mul_f32_e32 v23, v116, v109
	v_fma_f32 v5, v115, v5, -v23
	v_mul_f32_e32 v23, v118, v108
	v_add_f32_e32 v5, 0, v5
	v_fma_f32 v4, v117, v4, -v23
	v_add_f32_e32 v4, v5, v4
	v_mul_f32_e32 v5, v120, v107
	v_fma_f32 v3, v119, v3, -v5
	v_add_f32_e32 v3, v4, v3
	v_mul_f32_e32 v4, v122, v106
	;; [unrolled: 3-line block ×41, first 2 shown]
	v_fma_f32 v4, v199, v254, -v4
	v_add_f32_e32 v3, v3, v4
	v_sub_f32_e32 v3, v101, v3
	v_sub_f32_e32 v4, v102, v22
	buffer_store_dword v3, off, s[0:3], 0 offset:40
	buffer_store_dword v4, off, s[0:3], 0 offset:44
	s_and_saveexec_b64 s[4:5], vcc
	s_cbranch_execz .LBB112_299
; %bb.298:
	buffer_load_dword v101, off, s[0:3], 0 offset:32
	buffer_load_dword v102, off, s[0:3], 0 offset:36
	s_waitcnt vmcnt(0)
	ds_write_b64 v99, v[101:102]
	buffer_store_dword v100, off, s[0:3], 0 offset:32
	buffer_store_dword v100, off, s[0:3], 0 offset:36
.LBB112_299:
	s_or_b64 exec, exec, s[4:5]
	s_waitcnt lgkmcnt(0)
	; wave barrier
	buffer_load_dword v109, off, s[0:3], 0 offset:44
	buffer_load_dword v108, off, s[0:3], 0 offset:52
	;; [unrolled: 1-line block ×32, first 2 shown]
	ds_read2_b64 v[115:118], v100 offset0:55 offset1:56
	ds_read2_b64 v[119:122], v100 offset0:57 offset1:58
	;; [unrolled: 1-line block ×4, first 2 shown]
	buffer_load_dword v21, off, s[0:3], 0 offset:160
	buffer_load_dword v22, off, s[0:3], 0 offset:164
	ds_read2_b64 v[131:134], v100 offset0:63 offset1:64
	ds_read2_b64 v[135:138], v100 offset0:65 offset1:66
	;; [unrolled: 1-line block ×3, first 2 shown]
	buffer_load_dword v23, off, s[0:3], 0 offset:168
	buffer_load_dword v24, off, s[0:3], 0 offset:172
	;; [unrolled: 1-line block ×16, first 2 shown]
	v_cmp_lt_u32_e32 vcc, 3, v0
	s_waitcnt vmcnt(49) lgkmcnt(6)
	v_mul_f32_e32 v143, v115, v109
	s_waitcnt vmcnt(48)
	v_mul_f32_e32 v144, v117, v108
	s_waitcnt vmcnt(47) lgkmcnt(5)
	v_mul_f32_e32 v145, v119, v107
	s_waitcnt vmcnt(46)
	v_mul_f32_e32 v146, v121, v106
	;; [unrolled: 4-line block ×6, first 2 shown]
	s_waitcnt vmcnt(37)
	v_fmac_f32_e32 v145, v120, v3
	s_waitcnt vmcnt(36)
	v_fmac_f32_e32 v144, v118, v4
	;; [unrolled: 2-line block ×3, first 2 shown]
	v_add_f32_e32 v143, 0, v143
	v_add_f32_e32 v143, v143, v144
	;; [unrolled: 1-line block ×3, first 2 shown]
	s_waitcnt vmcnt(31)
	v_fmac_f32_e32 v146, v122, v9
	v_fmac_f32_e32 v147, v124, v8
	v_add_f32_e32 v143, v143, v146
	v_fmac_f32_e32 v148, v126, v7
	v_add_f32_e32 v143, v143, v147
	;; [unrolled: 2-line block ×3, first 2 shown]
	s_waitcnt vmcnt(27)
	v_fmac_f32_e32 v150, v130, v13
	v_add_f32_e32 v143, v143, v149
	v_fmac_f32_e32 v151, v132, v12
	v_add_f32_e32 v143, v143, v150
	;; [unrolled: 2-line block ×4, first 2 shown]
	s_waitcnt vmcnt(23)
	v_fmac_f32_e32 v154, v138, v17
	v_add_f32_e32 v143, v143, v153
	v_add_f32_e32 v147, v143, v154
	ds_read2_b64 v[143:146], v100 offset0:69 offset1:70
	buffer_load_dword v217, off, s[0:3], 0 offset:232
	buffer_load_dword v218, off, s[0:3], 0 offset:236
	buffer_load_dword v219, off, s[0:3], 0 offset:244
	buffer_load_dword v220, off, s[0:3], 0 offset:248
	buffer_load_dword v221, off, s[0:3], 0 offset:252
	buffer_load_dword v222, off, s[0:3], 0 offset:240
	buffer_load_dword v223, off, s[0:3], 0 offset:256
	buffer_load_dword v224, off, s[0:3], 0 offset:260
	buffer_load_dword v225, off, s[0:3], 0 offset:264
	buffer_load_dword v226, off, s[0:3], 0 offset:268
	buffer_load_dword v227, off, s[0:3], 0 offset:276
	buffer_load_dword v228, off, s[0:3], 0 offset:280
	buffer_load_dword v229, off, s[0:3], 0 offset:284
	buffer_load_dword v230, off, s[0:3], 0 offset:272
	s_waitcnt vmcnt(36) lgkmcnt(1)
	v_mul_f32_e32 v148, v139, v18
	buffer_load_dword v231, off, s[0:3], 0 offset:288
	buffer_load_dword v232, off, s[0:3], 0 offset:292
	v_fmac_f32_e32 v148, v140, v16
	v_add_f32_e32 v147, v147, v148
	s_waitcnt vmcnt(37)
	v_mul_f32_e32 v148, v141, v19
	v_fmac_f32_e32 v148, v142, v15
	v_add_f32_e32 v147, v147, v148
	s_waitcnt vmcnt(36) lgkmcnt(0)
	v_mul_f32_e32 v148, v143, v20
	v_fmac_f32_e32 v148, v144, v14
	v_add_f32_e32 v151, v147, v148
	ds_read2_b64 v[147:150], v100 offset0:71 offset1:72
	buffer_load_dword v233, off, s[0:3], 0 offset:296
	buffer_load_dword v234, off, s[0:3], 0 offset:300
	;; [unrolled: 1-line block ×6, first 2 shown]
	s_waitcnt vmcnt(38)
	v_mul_f32_e32 v152, v145, v22
	v_fmac_f32_e32 v152, v146, v21
	v_add_f32_e32 v155, v151, v152
	ds_read2_b64 v[151:154], v100 offset0:73 offset1:74
	buffer_load_dword v239, off, s[0:3], 0 offset:320
	buffer_load_dword v240, off, s[0:3], 0 offset:324
	;; [unrolled: 1-line block ×10, first 2 shown]
	s_waitcnt vmcnt(46) lgkmcnt(1)
	v_mul_f32_e32 v156, v147, v24
	v_fmac_f32_e32 v156, v148, v23
	v_add_f32_e32 v155, v155, v156
	s_waitcnt vmcnt(44)
	v_mul_f32_e32 v156, v149, v204
	v_fmac_f32_e32 v156, v150, v203
	v_add_f32_e32 v155, v155, v156
	s_waitcnt vmcnt(42) lgkmcnt(0)
	v_mul_f32_e32 v156, v151, v206
	buffer_load_dword v249, off, s[0:3], 0 offset:360
	buffer_load_dword v250, off, s[0:3], 0 offset:364
	;; [unrolled: 1-line block ×6, first 2 shown]
	v_fmac_f32_e32 v156, v152, v205
	s_waitcnt vmcnt(46)
	v_mul_f32_e32 v160, v153, v208
	v_add_f32_e32 v159, v155, v156
	v_fmac_f32_e32 v160, v154, v207
	ds_read2_b64 v[155:158], v100 offset0:75 offset1:76
	v_add_f32_e32 v163, v159, v160
	ds_read2_b64 v[159:162], v100 offset0:77 offset1:78
	buffer_load_dword v255, off, s[0:3], 0 offset:384
	buffer_load_dword v25, off, s[0:3], 0 offset:388
	s_waitcnt vmcnt(46) lgkmcnt(1)
	v_mul_f32_e32 v26, v155, v210
	v_fmac_f32_e32 v26, v156, v209
	v_add_f32_e32 v26, v163, v26
	s_waitcnt vmcnt(44)
	v_mul_f32_e32 v163, v157, v212
	v_fmac_f32_e32 v163, v158, v211
	v_add_f32_e32 v26, v26, v163
	s_waitcnt vmcnt(42) lgkmcnt(0)
	v_mul_f32_e32 v163, v159, v214
	v_fmac_f32_e32 v163, v160, v213
	v_add_f32_e32 v26, v26, v163
	ds_read2_b64 v[163:166], v100 offset0:79 offset1:80
	s_waitcnt vmcnt(40)
	v_mul_f32_e32 v167, v161, v216
	v_fmac_f32_e32 v167, v162, v215
	v_add_f32_e32 v26, v26, v167
	ds_read2_b64 v[167:170], v100 offset0:81 offset1:82
	s_waitcnt vmcnt(38) lgkmcnt(1)
	v_mul_f32_e32 v171, v163, v218
	v_fmac_f32_e32 v171, v164, v217
	v_add_f32_e32 v26, v26, v171
	s_waitcnt vmcnt(37)
	v_mul_f32_e32 v171, v165, v219
	s_waitcnt vmcnt(34)
	v_fmac_f32_e32 v171, v166, v222
	v_add_f32_e32 v26, v26, v171
	s_waitcnt lgkmcnt(0)
	v_mul_f32_e32 v171, v167, v221
	v_fmac_f32_e32 v171, v168, v220
	v_add_f32_e32 v26, v26, v171
	ds_read2_b64 v[171:174], v100 offset0:83 offset1:84
	s_waitcnt vmcnt(32)
	v_mul_f32_e32 v175, v169, v224
	v_fmac_f32_e32 v175, v170, v223
	v_add_f32_e32 v26, v26, v175
	ds_read2_b64 v[175:178], v100 offset0:85 offset1:86
	s_waitcnt vmcnt(30) lgkmcnt(1)
	v_mul_f32_e32 v179, v171, v226
	v_fmac_f32_e32 v179, v172, v225
	v_add_f32_e32 v26, v26, v179
	s_waitcnt vmcnt(29)
	v_mul_f32_e32 v179, v173, v227
	s_waitcnt vmcnt(26)
	v_fmac_f32_e32 v179, v174, v230
	v_add_f32_e32 v26, v26, v179
	s_waitcnt lgkmcnt(0)
	;; [unrolled: 19-line block ×5, first 2 shown]
	v_mul_f32_e32 v100, v199, v253
	v_fmac_f32_e32 v100, v200, v252
	v_add_f32_e32 v26, v26, v100
	s_waitcnt vmcnt(0)
	v_mul_f32_e32 v100, v201, v25
	v_fmac_f32_e32 v100, v202, v255
	v_add_f32_e32 v26, v26, v100
	v_mul_f32_e32 v100, v116, v109
	v_fma_f32 v5, v115, v5, -v100
	v_mul_f32_e32 v100, v118, v108
	v_add_f32_e32 v5, 0, v5
	v_fma_f32 v4, v117, v4, -v100
	v_add_f32_e32 v4, v5, v4
	v_mul_f32_e32 v5, v120, v107
	v_fma_f32 v3, v119, v3, -v5
	v_add_f32_e32 v3, v4, v3
	v_mul_f32_e32 v4, v122, v106
	;; [unrolled: 3-line block ×42, first 2 shown]
	v_fma_f32 v4, v201, v255, -v4
	v_add_f32_e32 v3, v3, v4
	v_sub_f32_e32 v3, v101, v3
	v_sub_f32_e32 v4, v102, v26
	buffer_store_dword v3, off, s[0:3], 0 offset:32
	buffer_store_dword v4, off, s[0:3], 0 offset:36
	s_and_saveexec_b64 s[4:5], vcc
	s_cbranch_execz .LBB112_301
; %bb.300:
	buffer_load_dword v100, off, s[0:3], 0 offset:24
	buffer_load_dword v101, off, s[0:3], 0 offset:28
	v_mov_b32_e32 v3, 0
	buffer_store_dword v3, off, s[0:3], 0 offset:24
	buffer_store_dword v3, off, s[0:3], 0 offset:28
	s_waitcnt vmcnt(2)
	ds_write_b64 v99, v[100:101]
.LBB112_301:
	s_or_b64 exec, exec, s[4:5]
	s_waitcnt lgkmcnt(0)
	; wave barrier
	buffer_load_dword v3, off, s[0:3], 0 offset:36
	buffer_load_dword v4, off, s[0:3], 0 offset:44
	;; [unrolled: 1-line block ×48, first 2 shown]
	v_mov_b32_e32 v100, 0
	ds_read_b128 v[103:106], v100 offset:432
	ds_read_b128 v[107:110], v100 offset:448
	;; [unrolled: 1-line block ×7, first 2 shown]
	v_cmp_lt_u32_e32 vcc, 2, v0
	s_waitcnt vmcnt(47) lgkmcnt(6)
	v_mul_f32_e32 v131, v103, v3
	s_waitcnt vmcnt(46)
	v_mul_f32_e32 v132, v105, v4
	s_waitcnt vmcnt(45) lgkmcnt(5)
	v_mul_f32_e32 v133, v107, v5
	s_waitcnt vmcnt(44)
	v_mul_f32_e32 v134, v109, v6
	;; [unrolled: 4-line block ×6, first 2 shown]
	s_waitcnt vmcnt(35)
	v_fmac_f32_e32 v133, v108, v15
	s_waitcnt vmcnt(34)
	v_fmac_f32_e32 v132, v106, v16
	;; [unrolled: 2-line block ×3, first 2 shown]
	v_add_f32_e32 v131, 0, v131
	v_add_f32_e32 v131, v131, v132
	;; [unrolled: 1-line block ×3, first 2 shown]
	s_waitcnt vmcnt(29)
	v_fmac_f32_e32 v134, v110, v21
	v_fmac_f32_e32 v135, v112, v20
	v_add_f32_e32 v131, v131, v134
	v_fmac_f32_e32 v136, v114, v19
	v_add_f32_e32 v131, v131, v135
	;; [unrolled: 2-line block ×3, first 2 shown]
	s_waitcnt vmcnt(25)
	v_fmac_f32_e32 v138, v118, v25
	v_add_f32_e32 v131, v131, v137
	v_fmac_f32_e32 v139, v120, v24
	v_add_f32_e32 v131, v131, v138
	;; [unrolled: 2-line block ×4, first 2 shown]
	s_waitcnt vmcnt(21)
	v_fmac_f32_e32 v142, v126, v195
	v_add_f32_e32 v131, v131, v141
	v_add_f32_e32 v135, v131, v142
	ds_read_b128 v[131:134], v100 offset:544
	buffer_load_dword v215, off, s[0:3], 0 offset:216
	buffer_load_dword v216, off, s[0:3], 0 offset:220
	;; [unrolled: 1-line block ×10, first 2 shown]
	s_waitcnt vmcnt(30) lgkmcnt(1)
	v_mul_f32_e32 v136, v127, v196
	v_fmac_f32_e32 v136, v128, v194
	buffer_load_dword v225, off, s[0:3], 0 offset:256
	buffer_load_dword v226, off, s[0:3], 0 offset:260
	;; [unrolled: 1-line block ×6, first 2 shown]
	v_add_f32_e32 v135, v135, v136
	s_waitcnt vmcnt(35)
	v_mul_f32_e32 v136, v129, v197
	v_fmac_f32_e32 v136, v130, v193
	v_add_f32_e32 v135, v135, v136
	s_waitcnt vmcnt(34) lgkmcnt(0)
	v_mul_f32_e32 v136, v131, v198
	v_fmac_f32_e32 v136, v132, v26
	v_add_f32_e32 v139, v135, v136
	ds_read_b128 v[135:138], v100 offset:560
	buffer_load_dword v231, off, s[0:3], 0 offset:280
	buffer_load_dword v232, off, s[0:3], 0 offset:284
	s_waitcnt vmcnt(32)
	v_mul_f32_e32 v140, v133, v200
	v_fmac_f32_e32 v140, v134, v199
	v_add_f32_e32 v143, v139, v140
	ds_read_b128 v[139:142], v100 offset:576
	buffer_load_dword v233, off, s[0:3], 0 offset:288
	buffer_load_dword v234, off, s[0:3], 0 offset:292
	;; [unrolled: 1-line block ×14, first 2 shown]
	s_waitcnt vmcnt(44) lgkmcnt(1)
	v_mul_f32_e32 v144, v135, v202
	v_fmac_f32_e32 v144, v136, v201
	buffer_load_dword v247, off, s[0:3], 0 offset:344
	buffer_load_dword v248, off, s[0:3], 0 offset:348
	v_add_f32_e32 v143, v143, v144
	s_waitcnt vmcnt(44)
	v_mul_f32_e32 v144, v137, v204
	v_fmac_f32_e32 v144, v138, v203
	v_add_f32_e32 v143, v143, v144
	s_waitcnt vmcnt(42) lgkmcnt(0)
	v_mul_f32_e32 v144, v139, v206
	v_fmac_f32_e32 v144, v140, v205
	v_mul_f32_e32 v3, v104, v3
	v_add_f32_e32 v147, v143, v144
	ds_read_b128 v[143:146], v100 offset:592
	buffer_load_dword v249, off, s[0:3], 0 offset:352
	buffer_load_dword v250, off, s[0:3], 0 offset:356
	;; [unrolled: 1-line block ×6, first 2 shown]
	v_fma_f32 v3, v103, v17, -v3
	v_mul_f32_e32 v4, v106, v4
	v_add_f32_e32 v3, 0, v3
	v_fma_f32 v4, v105, v16, -v4
	v_add_f32_e32 v3, v3, v4
	v_mul_f32_e32 v4, v108, v5
	s_waitcnt vmcnt(46)
	v_mul_f32_e32 v148, v141, v208
	v_fma_f32 v4, v107, v15, -v4
	v_fmac_f32_e32 v148, v142, v207
	v_add_f32_e32 v3, v3, v4
	v_mul_f32_e32 v4, v110, v6
	v_add_f32_e32 v151, v147, v148
	ds_read_b128 v[147:150], v100 offset:608
	buffer_load_dword v255, off, s[0:3], 0 offset:380
	buffer_load_dword v27, off, s[0:3], 0 offset:384
	;; [unrolled: 1-line block ×4, first 2 shown]
	v_fma_f32 v4, v109, v21, -v4
	v_add_f32_e32 v3, v3, v4
	v_mul_f32_e32 v4, v112, v7
	v_fma_f32 v4, v111, v20, -v4
	v_add_f32_e32 v3, v3, v4
	v_mul_f32_e32 v4, v114, v8
	;; [unrolled: 3-line block ×8, first 2 shown]
	v_fma_f32 v4, v125, v195, -v4
	s_waitcnt vmcnt(48) lgkmcnt(1)
	v_mul_f32_e32 v152, v143, v210
	v_add_f32_e32 v3, v3, v4
	v_mul_f32_e32 v4, v128, v196
	v_fmac_f32_e32 v152, v144, v209
	v_fma_f32 v4, v127, v194, -v4
	v_add_f32_e32 v30, v151, v152
	s_waitcnt vmcnt(46)
	v_mul_f32_e32 v151, v145, v212
	v_add_f32_e32 v3, v3, v4
	v_mul_f32_e32 v4, v130, v197
	v_fmac_f32_e32 v151, v146, v211
	v_fma_f32 v4, v129, v193, -v4
	v_add_f32_e32 v30, v30, v151
	s_waitcnt vmcnt(44) lgkmcnt(0)
	v_mul_f32_e32 v151, v147, v214
	v_add_f32_e32 v3, v3, v4
	v_mul_f32_e32 v4, v132, v198
	v_fmac_f32_e32 v151, v148, v213
	v_fma_f32 v4, v131, v26, -v4
	v_add_f32_e32 v30, v30, v151
	ds_read_b128 v[151:154], v100 offset:624
	v_add_f32_e32 v3, v3, v4
	v_mul_f32_e32 v4, v134, v200
	v_fma_f32 v4, v133, v199, -v4
	s_waitcnt vmcnt(42)
	v_mul_f32_e32 v155, v149, v216
	v_add_f32_e32 v3, v3, v4
	v_mul_f32_e32 v4, v136, v202
	v_fmac_f32_e32 v155, v150, v215
	v_fma_f32 v4, v135, v201, -v4
	v_add_f32_e32 v30, v30, v155
	ds_read_b128 v[155:158], v100 offset:640
	v_add_f32_e32 v3, v3, v4
	v_mul_f32_e32 v4, v138, v204
	s_waitcnt vmcnt(40) lgkmcnt(1)
	v_mul_f32_e32 v159, v151, v218
	v_fma_f32 v4, v137, v203, -v4
	v_fmac_f32_e32 v159, v152, v217
	v_add_f32_e32 v3, v3, v4
	v_mul_f32_e32 v4, v140, v206
	v_add_f32_e32 v30, v30, v159
	s_waitcnt vmcnt(39)
	v_mul_f32_e32 v159, v153, v219
	v_fma_f32 v4, v139, v205, -v4
	s_waitcnt vmcnt(36)
	v_fmac_f32_e32 v159, v154, v222
	v_add_f32_e32 v3, v3, v4
	v_mul_f32_e32 v4, v142, v208
	v_add_f32_e32 v30, v30, v159
	s_waitcnt lgkmcnt(0)
	v_mul_f32_e32 v159, v155, v221
	v_fma_f32 v4, v141, v207, -v4
	v_fmac_f32_e32 v159, v156, v220
	v_add_f32_e32 v3, v3, v4
	v_mul_f32_e32 v4, v144, v210
	v_add_f32_e32 v30, v30, v159
	ds_read_b128 v[159:162], v100 offset:656
	v_fma_f32 v4, v143, v209, -v4
	v_add_f32_e32 v3, v3, v4
	v_mul_f32_e32 v4, v146, v212
	s_waitcnt vmcnt(34)
	v_mul_f32_e32 v163, v157, v224
	v_fma_f32 v4, v145, v211, -v4
	v_fmac_f32_e32 v163, v158, v223
	v_add_f32_e32 v3, v3, v4
	v_mul_f32_e32 v4, v148, v214
	v_add_f32_e32 v30, v30, v163
	ds_read_b128 v[163:166], v100 offset:672
	v_fma_f32 v4, v147, v213, -v4
	s_waitcnt vmcnt(32) lgkmcnt(1)
	v_mul_f32_e32 v167, v159, v226
	v_add_f32_e32 v3, v3, v4
	v_mul_f32_e32 v4, v150, v216
	v_fmac_f32_e32 v167, v160, v225
	v_fma_f32 v4, v149, v215, -v4
	v_add_f32_e32 v30, v30, v167
	s_waitcnt vmcnt(31)
	v_mul_f32_e32 v167, v161, v227
	v_add_f32_e32 v3, v3, v4
	v_mul_f32_e32 v4, v152, v218
	s_waitcnt vmcnt(28)
	v_fmac_f32_e32 v167, v162, v230
	v_fma_f32 v4, v151, v217, -v4
	v_add_f32_e32 v30, v30, v167
	s_waitcnt lgkmcnt(0)
	v_mul_f32_e32 v167, v163, v229
	v_add_f32_e32 v3, v3, v4
	v_mul_f32_e32 v4, v154, v219
	v_fmac_f32_e32 v167, v164, v228
	v_fma_f32 v4, v153, v222, -v4
	v_add_f32_e32 v30, v30, v167
	ds_read_b128 v[167:170], v100 offset:688
	v_add_f32_e32 v3, v3, v4
	v_mul_f32_e32 v4, v156, v221
	v_fma_f32 v4, v155, v220, -v4
	s_waitcnt vmcnt(26)
	v_mul_f32_e32 v171, v165, v232
	v_add_f32_e32 v3, v3, v4
	v_mul_f32_e32 v4, v158, v224
	v_fmac_f32_e32 v171, v166, v231
	v_fma_f32 v4, v157, v223, -v4
	v_add_f32_e32 v30, v30, v171
	ds_read_b128 v[171:174], v100 offset:704
	v_add_f32_e32 v3, v3, v4
	v_mul_f32_e32 v4, v160, v226
	s_waitcnt vmcnt(24) lgkmcnt(1)
	v_mul_f32_e32 v175, v167, v234
	v_fma_f32 v4, v159, v225, -v4
	v_fmac_f32_e32 v175, v168, v233
	v_add_f32_e32 v3, v3, v4
	v_mul_f32_e32 v4, v162, v227
	v_add_f32_e32 v30, v30, v175
	s_waitcnt vmcnt(23)
	v_mul_f32_e32 v175, v169, v235
	v_fma_f32 v4, v161, v230, -v4
	s_waitcnt vmcnt(20)
	v_fmac_f32_e32 v175, v170, v238
	v_add_f32_e32 v3, v3, v4
	v_mul_f32_e32 v4, v164, v229
	v_add_f32_e32 v30, v30, v175
	s_waitcnt lgkmcnt(0)
	v_mul_f32_e32 v175, v171, v237
	v_fma_f32 v4, v163, v228, -v4
	v_fmac_f32_e32 v175, v172, v236
	v_add_f32_e32 v3, v3, v4
	v_mul_f32_e32 v4, v166, v232
	v_add_f32_e32 v30, v30, v175
	ds_read_b128 v[175:178], v100 offset:720
	v_fma_f32 v4, v165, v231, -v4
	v_add_f32_e32 v3, v3, v4
	v_mul_f32_e32 v4, v168, v234
	s_waitcnt vmcnt(18)
	v_mul_f32_e32 v179, v173, v240
	v_fma_f32 v4, v167, v233, -v4
	v_fmac_f32_e32 v179, v174, v239
	v_add_f32_e32 v3, v3, v4
	v_mul_f32_e32 v4, v170, v235
	v_add_f32_e32 v30, v30, v179
	ds_read_b128 v[179:182], v100 offset:736
	v_fma_f32 v4, v169, v238, -v4
	s_waitcnt vmcnt(16) lgkmcnt(1)
	v_mul_f32_e32 v183, v175, v242
	v_add_f32_e32 v3, v3, v4
	v_mul_f32_e32 v4, v172, v237
	v_fmac_f32_e32 v183, v176, v241
	v_fma_f32 v4, v171, v236, -v4
	v_add_f32_e32 v30, v30, v183
	s_waitcnt vmcnt(15)
	v_mul_f32_e32 v183, v177, v243
	v_add_f32_e32 v3, v3, v4
	v_mul_f32_e32 v4, v174, v240
	s_waitcnt vmcnt(12)
	v_fmac_f32_e32 v183, v178, v246
	v_fma_f32 v4, v173, v239, -v4
	v_add_f32_e32 v30, v30, v183
	s_waitcnt lgkmcnt(0)
	v_mul_f32_e32 v183, v179, v245
	v_add_f32_e32 v3, v3, v4
	v_mul_f32_e32 v4, v176, v242
	v_fmac_f32_e32 v183, v180, v244
	v_fma_f32 v4, v175, v241, -v4
	v_add_f32_e32 v30, v30, v183
	ds_read_b128 v[183:186], v100 offset:752
	v_add_f32_e32 v3, v3, v4
	v_mul_f32_e32 v4, v178, v243
	v_fma_f32 v4, v177, v246, -v4
	v_add_f32_e32 v3, v3, v4
	v_mul_f32_e32 v4, v180, v245
	s_waitcnt vmcnt(10)
	v_mul_f32_e32 v187, v181, v248
	v_fma_f32 v4, v179, v244, -v4
	v_fmac_f32_e32 v187, v182, v247
	v_add_f32_e32 v3, v3, v4
	v_mul_f32_e32 v4, v182, v248
	v_add_f32_e32 v30, v30, v187
	ds_read_b128 v[187:190], v100 offset:768
	s_waitcnt vmcnt(8) lgkmcnt(1)
	v_mul_f32_e32 v191, v183, v250
	v_fma_f32 v4, v181, v247, -v4
	v_fmac_f32_e32 v191, v184, v249
	v_add_f32_e32 v3, v3, v4
	v_mul_f32_e32 v4, v184, v250
	v_add_f32_e32 v30, v30, v191
	s_waitcnt vmcnt(7)
	v_mul_f32_e32 v191, v185, v251
	v_fma_f32 v4, v183, v249, -v4
	s_waitcnt vmcnt(4)
	v_fmac_f32_e32 v191, v186, v254
	v_add_f32_e32 v3, v3, v4
	v_mul_f32_e32 v4, v186, v251
	v_add_f32_e32 v30, v30, v191
	ds_read_b64 v[191:192], v100 offset:784
	v_fma_f32 v4, v185, v254, -v4
	v_add_f32_e32 v3, v3, v4
	s_waitcnt lgkmcnt(1)
	v_mul_f32_e32 v4, v188, v253
	v_mul_f32_e32 v31, v187, v253
	v_fma_f32 v4, v187, v252, -v4
	v_fmac_f32_e32 v31, v188, v252
	v_add_f32_e32 v3, v3, v4
	s_waitcnt vmcnt(3)
	v_mul_f32_e32 v4, v190, v255
	v_add_f32_e32 v30, v30, v31
	v_mul_f32_e32 v31, v189, v255
	s_waitcnt vmcnt(0)
	v_fma_f32 v4, v189, v29, -v4
	v_fmac_f32_e32 v31, v190, v29
	v_add_f32_e32 v3, v3, v4
	s_waitcnt lgkmcnt(0)
	v_mul_f32_e32 v4, v192, v28
	v_add_f32_e32 v30, v30, v31
	v_mul_f32_e32 v31, v191, v28
	v_fma_f32 v4, v191, v27, -v4
	v_fmac_f32_e32 v31, v192, v27
	v_add_f32_e32 v3, v3, v4
	v_add_f32_e32 v30, v30, v31
	v_sub_f32_e32 v3, v101, v3
	v_sub_f32_e32 v4, v102, v30
	buffer_store_dword v3, off, s[0:3], 0 offset:24
	buffer_store_dword v4, off, s[0:3], 0 offset:28
	s_and_saveexec_b64 s[4:5], vcc
	s_cbranch_execz .LBB112_303
; %bb.302:
	buffer_load_dword v101, off, s[0:3], 0 offset:16
	buffer_load_dword v102, off, s[0:3], 0 offset:20
	s_waitcnt vmcnt(0)
	ds_write_b64 v99, v[101:102]
	buffer_store_dword v100, off, s[0:3], 0 offset:16
	buffer_store_dword v100, off, s[0:3], 0 offset:20
.LBB112_303:
	s_or_b64 exec, exec, s[4:5]
	s_waitcnt lgkmcnt(0)
	; wave barrier
	buffer_load_dword v109, off, s[0:3], 0 offset:28
	buffer_load_dword v108, off, s[0:3], 0 offset:36
	;; [unrolled: 1-line block ×33, first 2 shown]
	ds_read2_b64 v[110:113], v100 offset0:53 offset1:54
	ds_read2_b64 v[114:117], v100 offset0:55 offset1:56
	;; [unrolled: 1-line block ×6, first 2 shown]
	buffer_load_dword v27, off, s[0:3], 0 offset:144
	buffer_load_dword v28, off, s[0:3], 0 offset:156
	buffer_load_dword v29, off, s[0:3], 0 offset:160
	buffer_load_dword v30, off, s[0:3], 0 offset:164
	buffer_load_dword v31, off, s[0:3], 0 offset:168
	buffer_load_dword v32, off, s[0:3], 0 offset:172
	buffer_load_dword v202, off, s[0:3], 0 offset:152
	ds_read2_b64 v[134:137], v100 offset0:65 offset1:66
	ds_read2_b64 v[138:141], v100 offset0:67 offset1:68
	buffer_load_dword v203, off, s[0:3], 0 offset:176
	buffer_load_dword v204, off, s[0:3], 0 offset:180
	;; [unrolled: 1-line block ×18, first 2 shown]
	v_cmp_lt_u32_e32 vcc, 1, v0
	s_waitcnt vmcnt(57) lgkmcnt(7)
	v_mul_f32_e32 v142, v110, v109
	s_waitcnt vmcnt(56)
	v_mul_f32_e32 v143, v112, v108
	s_waitcnt vmcnt(55) lgkmcnt(6)
	v_mul_f32_e32 v144, v114, v107
	s_waitcnt vmcnt(54)
	v_mul_f32_e32 v145, v116, v106
	;; [unrolled: 4-line block ×6, first 2 shown]
	s_waitcnt vmcnt(45)
	v_fmac_f32_e32 v144, v115, v8
	s_waitcnt vmcnt(44)
	v_fmac_f32_e32 v143, v113, v9
	s_waitcnt vmcnt(43)
	v_fmac_f32_e32 v142, v111, v10
	v_add_f32_e32 v142, 0, v142
	v_add_f32_e32 v142, v142, v143
	;; [unrolled: 1-line block ×3, first 2 shown]
	s_waitcnt vmcnt(39)
	v_fmac_f32_e32 v145, v117, v14
	v_fmac_f32_e32 v146, v119, v13
	v_add_f32_e32 v142, v142, v145
	v_fmac_f32_e32 v147, v121, v12
	v_add_f32_e32 v142, v142, v146
	v_fmac_f32_e32 v148, v123, v11
	v_add_f32_e32 v142, v142, v147
	s_waitcnt vmcnt(35)
	v_fmac_f32_e32 v149, v125, v18
	v_add_f32_e32 v142, v142, v148
	v_fmac_f32_e32 v150, v127, v17
	v_add_f32_e32 v142, v142, v149
	;; [unrolled: 2-line block ×4, first 2 shown]
	s_waitcnt vmcnt(31)
	v_fmac_f32_e32 v153, v133, v22
	v_add_f32_e32 v142, v142, v152
	s_waitcnt vmcnt(30) lgkmcnt(1)
	v_mul_f32_e32 v143, v134, v23
	v_add_f32_e32 v142, v142, v153
	v_fmac_f32_e32 v143, v135, v21
	v_add_f32_e32 v142, v142, v143
	s_waitcnt vmcnt(29)
	v_mul_f32_e32 v143, v136, v24
	v_fmac_f32_e32 v143, v137, v20
	v_add_f32_e32 v142, v142, v143
	s_waitcnt vmcnt(28) lgkmcnt(0)
	v_mul_f32_e32 v143, v138, v25
	v_fmac_f32_e32 v143, v139, v19
	v_add_f32_e32 v146, v142, v143
	ds_read2_b64 v[142:145], v100 offset0:69 offset1:70
	buffer_load_dword v221, off, s[0:3], 0 offset:248
	buffer_load_dword v222, off, s[0:3], 0 offset:252
	;; [unrolled: 1-line block ×6, first 2 shown]
	s_waitcnt vmcnt(33)
	v_mul_f32_e32 v147, v140, v26
	s_waitcnt vmcnt(30)
	v_fmac_f32_e32 v147, v141, v27
	v_add_f32_e32 v150, v146, v147
	ds_read2_b64 v[146:149], v100 offset0:71 offset1:72
	buffer_load_dword v227, off, s[0:3], 0 offset:272
	buffer_load_dword v228, off, s[0:3], 0 offset:276
	;; [unrolled: 1-line block ×10, first 2 shown]
	s_waitcnt vmcnt(39) lgkmcnt(1)
	v_mul_f32_e32 v151, v142, v28
	buffer_load_dword v237, off, s[0:3], 0 offset:312
	buffer_load_dword v238, off, s[0:3], 0 offset:316
	;; [unrolled: 1-line block ×6, first 2 shown]
	s_waitcnt vmcnt(40)
	v_fmac_f32_e32 v151, v143, v202
	v_add_f32_e32 v150, v150, v151
	v_mul_f32_e32 v151, v144, v30
	v_fmac_f32_e32 v151, v145, v29
	v_add_f32_e32 v150, v150, v151
	s_waitcnt lgkmcnt(0)
	v_mul_f32_e32 v151, v146, v32
	v_fmac_f32_e32 v151, v147, v31
	v_add_f32_e32 v154, v150, v151
	ds_read2_b64 v[150:153], v100 offset0:73 offset1:74
	buffer_load_dword v243, off, s[0:3], 0 offset:336
	buffer_load_dword v244, off, s[0:3], 0 offset:340
	s_waitcnt vmcnt(40)
	v_mul_f32_e32 v155, v148, v204
	v_fmac_f32_e32 v155, v149, v203
	v_add_f32_e32 v158, v154, v155
	ds_read2_b64 v[154:157], v100 offset0:75 offset1:76
	buffer_load_dword v245, off, s[0:3], 0 offset:344
	buffer_load_dword v246, off, s[0:3], 0 offset:348
	;; [unrolled: 1-line block ×12, first 2 shown]
	s_waitcnt vmcnt(50) lgkmcnt(1)
	v_mul_f32_e32 v159, v150, v206
	v_fmac_f32_e32 v159, v151, v205
	v_add_f32_e32 v158, v158, v159
	s_waitcnt vmcnt(48)
	v_mul_f32_e32 v159, v152, v208
	v_fmac_f32_e32 v159, v153, v207
	v_add_f32_e32 v34, v158, v159
	s_waitcnt vmcnt(46) lgkmcnt(0)
	v_mul_f32_e32 v158, v154, v210
	v_fmac_f32_e32 v158, v155, v209
	v_add_f32_e32 v34, v34, v158
	ds_read2_b64 v[158:161], v100 offset0:77 offset1:78
	s_waitcnt vmcnt(44)
	v_mul_f32_e32 v162, v156, v212
	v_fmac_f32_e32 v162, v157, v211
	v_add_f32_e32 v34, v34, v162
	ds_read2_b64 v[162:165], v100 offset0:79 offset1:80
	s_waitcnt vmcnt(42) lgkmcnt(1)
	v_mul_f32_e32 v166, v158, v214
	v_fmac_f32_e32 v166, v159, v213
	v_add_f32_e32 v34, v34, v166
	s_waitcnt vmcnt(41)
	v_mul_f32_e32 v166, v160, v215
	s_waitcnt vmcnt(38)
	v_fmac_f32_e32 v166, v161, v218
	v_add_f32_e32 v34, v34, v166
	s_waitcnt lgkmcnt(0)
	v_mul_f32_e32 v166, v162, v217
	v_fmac_f32_e32 v166, v163, v216
	v_add_f32_e32 v34, v34, v166
	ds_read2_b64 v[166:169], v100 offset0:81 offset1:82
	s_waitcnt vmcnt(36)
	v_mul_f32_e32 v170, v164, v220
	v_fmac_f32_e32 v170, v165, v219
	v_add_f32_e32 v34, v34, v170
	ds_read2_b64 v[170:173], v100 offset0:83 offset1:84
	v_mul_f32_e32 v3, v125, v3
	v_fma_f32 v3, v124, v18, -v3
	v_mul_f32_e32 v4, v127, v4
	v_fma_f32 v4, v126, v17, -v4
	s_waitcnt vmcnt(34) lgkmcnt(1)
	v_mul_f32_e32 v174, v166, v222
	v_fmac_f32_e32 v174, v167, v221
	v_add_f32_e32 v34, v34, v174
	s_waitcnt vmcnt(33)
	v_mul_f32_e32 v174, v168, v223
	s_waitcnt vmcnt(30)
	v_fmac_f32_e32 v174, v169, v226
	v_add_f32_e32 v34, v34, v174
	s_waitcnt lgkmcnt(0)
	v_mul_f32_e32 v174, v170, v225
	v_fmac_f32_e32 v174, v171, v224
	v_add_f32_e32 v34, v34, v174
	ds_read2_b64 v[174:177], v100 offset0:85 offset1:86
	s_waitcnt vmcnt(28)
	v_mul_f32_e32 v178, v172, v228
	v_fmac_f32_e32 v178, v173, v227
	v_add_f32_e32 v34, v34, v178
	ds_read2_b64 v[178:181], v100 offset0:87 offset1:88
	s_waitcnt vmcnt(26) lgkmcnt(1)
	v_mul_f32_e32 v182, v174, v230
	v_fmac_f32_e32 v182, v175, v229
	v_add_f32_e32 v34, v34, v182
	s_waitcnt vmcnt(25)
	v_mul_f32_e32 v182, v176, v231
	s_waitcnt vmcnt(22)
	v_fmac_f32_e32 v182, v177, v234
	v_add_f32_e32 v34, v34, v182
	s_waitcnt lgkmcnt(0)
	v_mul_f32_e32 v182, v178, v233
	v_fmac_f32_e32 v182, v179, v232
	v_add_f32_e32 v34, v34, v182
	ds_read2_b64 v[182:185], v100 offset0:89 offset1:90
	s_waitcnt vmcnt(20)
	v_mul_f32_e32 v186, v180, v236
	v_fmac_f32_e32 v186, v181, v235
	v_add_f32_e32 v34, v34, v186
	ds_read2_b64 v[186:189], v100 offset0:91 offset1:92
	;; [unrolled: 19-line block ×3, first 2 shown]
	s_waitcnt vmcnt(10) lgkmcnt(1)
	v_mul_f32_e32 v198, v190, v246
	v_fmac_f32_e32 v198, v191, v245
	v_add_f32_e32 v34, v34, v198
	s_waitcnt vmcnt(9)
	v_mul_f32_e32 v198, v192, v247
	s_waitcnt vmcnt(6)
	v_fmac_f32_e32 v198, v193, v250
	v_add_f32_e32 v34, v34, v198
	ds_read2_b64 v[198:201], v100 offset0:97 offset1:98
	s_waitcnt lgkmcnt(1)
	v_mul_f32_e32 v35, v194, v249
	v_fmac_f32_e32 v35, v195, v248
	v_add_f32_e32 v34, v34, v35
	s_waitcnt vmcnt(4)
	v_mul_f32_e32 v35, v196, v252
	v_fmac_f32_e32 v35, v197, v251
	v_add_f32_e32 v34, v34, v35
	s_waitcnt vmcnt(3) lgkmcnt(0)
	v_mul_f32_e32 v35, v198, v253
	s_waitcnt vmcnt(0)
	v_fmac_f32_e32 v35, v199, v33
	v_add_f32_e32 v34, v34, v35
	v_mul_f32_e32 v35, v200, v255
	v_fmac_f32_e32 v35, v201, v254
	v_add_f32_e32 v34, v34, v35
	v_mul_f32_e32 v35, v111, v109
	v_fma_f32 v10, v110, v10, -v35
	v_mul_f32_e32 v35, v113, v108
	v_add_f32_e32 v10, 0, v10
	v_fma_f32 v9, v112, v9, -v35
	v_add_f32_e32 v9, v10, v9
	v_mul_f32_e32 v10, v115, v107
	v_fma_f32 v8, v114, v8, -v10
	v_add_f32_e32 v8, v9, v8
	v_mul_f32_e32 v9, v117, v106
	;; [unrolled: 3-line block ×5, first 2 shown]
	v_fma_f32 v9, v122, v11, -v9
	v_add_f32_e32 v8, v8, v9
	v_add_f32_e32 v3, v8, v3
	;; [unrolled: 1-line block ×3, first 2 shown]
	v_mul_f32_e32 v4, v129, v5
	v_fma_f32 v4, v128, v16, -v4
	v_add_f32_e32 v3, v3, v4
	v_mul_f32_e32 v4, v131, v6
	v_fma_f32 v4, v130, v15, -v4
	v_add_f32_e32 v3, v3, v4
	;; [unrolled: 3-line block ×37, first 2 shown]
	v_sub_f32_e32 v3, v101, v3
	v_sub_f32_e32 v4, v102, v34
	buffer_store_dword v3, off, s[0:3], 0 offset:16
	buffer_store_dword v4, off, s[0:3], 0 offset:20
	s_and_saveexec_b64 s[4:5], vcc
	s_cbranch_execz .LBB112_305
; %bb.304:
	buffer_load_dword v100, off, s[0:3], 0 offset:8
	buffer_load_dword v101, off, s[0:3], 0 offset:12
	v_mov_b32_e32 v3, 0
	buffer_store_dword v3, off, s[0:3], 0 offset:8
	buffer_store_dword v3, off, s[0:3], 0 offset:12
	s_waitcnt vmcnt(2)
	ds_write_b64 v99, v[100:101]
.LBB112_305:
	s_or_b64 exec, exec, s[4:5]
	s_waitcnt lgkmcnt(0)
	; wave barrier
	buffer_load_dword v107, off, s[0:3], 0 offset:20
	buffer_load_dword v106, off, s[0:3], 0 offset:28
	;; [unrolled: 1-line block ×48, first 2 shown]
	v_mov_b32_e32 v100, 0
	ds_read_b128 v[110:113], v100 offset:416
	ds_read_b128 v[114:117], v100 offset:432
	;; [unrolled: 1-line block ×7, first 2 shown]
	v_cmp_ne_u32_e32 vcc, 0, v0
	s_waitcnt vmcnt(47) lgkmcnt(6)
	v_mul_f32_e32 v138, v110, v107
	s_waitcnt vmcnt(46)
	v_mul_f32_e32 v139, v112, v106
	s_waitcnt vmcnt(45) lgkmcnt(5)
	v_mul_f32_e32 v140, v114, v105
	s_waitcnt vmcnt(44)
	v_mul_f32_e32 v141, v116, v104
	;; [unrolled: 4-line block ×6, first 2 shown]
	s_waitcnt vmcnt(35)
	v_fmac_f32_e32 v140, v115, v8
	s_waitcnt vmcnt(34)
	v_fmac_f32_e32 v139, v113, v9
	;; [unrolled: 2-line block ×3, first 2 shown]
	v_add_f32_e32 v138, 0, v138
	v_add_f32_e32 v138, v138, v139
	;; [unrolled: 1-line block ×3, first 2 shown]
	s_waitcnt vmcnt(29)
	v_fmac_f32_e32 v141, v117, v14
	v_fmac_f32_e32 v142, v119, v13
	v_add_f32_e32 v138, v138, v141
	v_fmac_f32_e32 v143, v121, v12
	v_add_f32_e32 v138, v138, v142
	;; [unrolled: 2-line block ×3, first 2 shown]
	s_waitcnt vmcnt(25)
	v_fmac_f32_e32 v145, v125, v18
	v_add_f32_e32 v138, v138, v144
	v_fmac_f32_e32 v146, v127, v17
	v_add_f32_e32 v138, v138, v145
	;; [unrolled: 2-line block ×4, first 2 shown]
	s_waitcnt vmcnt(21)
	v_fmac_f32_e32 v149, v133, v22
	v_add_f32_e32 v138, v138, v148
	v_add_f32_e32 v142, v138, v149
	ds_read_b128 v[138:141], v100 offset:528
	buffer_load_dword v209, off, s[0:3], 0 offset:200
	buffer_load_dword v210, off, s[0:3], 0 offset:204
	;; [unrolled: 1-line block ×8, first 2 shown]
	s_waitcnt vmcnt(28) lgkmcnt(1)
	v_mul_f32_e32 v143, v134, v23
	buffer_load_dword v217, off, s[0:3], 0 offset:232
	buffer_load_dword v218, off, s[0:3], 0 offset:236
	v_fmac_f32_e32 v143, v135, v21
	v_add_f32_e32 v142, v142, v143
	s_waitcnt vmcnt(29)
	v_mul_f32_e32 v143, v136, v24
	v_fmac_f32_e32 v143, v137, v20
	v_add_f32_e32 v142, v142, v143
	s_waitcnt vmcnt(28) lgkmcnt(0)
	v_mul_f32_e32 v143, v138, v25
	v_fmac_f32_e32 v143, v139, v19
	v_add_f32_e32 v146, v142, v143
	ds_read_b128 v[142:145], v100 offset:544
	buffer_load_dword v219, off, s[0:3], 0 offset:240
	buffer_load_dword v220, off, s[0:3], 0 offset:244
	;; [unrolled: 1-line block ×6, first 2 shown]
	s_waitcnt vmcnt(33)
	v_mul_f32_e32 v147, v140, v26
	s_waitcnt vmcnt(26)
	v_fmac_f32_e32 v147, v141, v33
	v_add_f32_e32 v150, v146, v147
	ds_read_b128 v[146:149], v100 offset:560
	buffer_load_dword v225, off, s[0:3], 0 offset:264
	buffer_load_dword v226, off, s[0:3], 0 offset:268
	buffer_load_dword v227, off, s[0:3], 0 offset:272
	buffer_load_dword v228, off, s[0:3], 0 offset:276
	buffer_load_dword v229, off, s[0:3], 0 offset:284
	buffer_load_dword v230, off, s[0:3], 0 offset:288
	buffer_load_dword v231, off, s[0:3], 0 offset:292
	buffer_load_dword v232, off, s[0:3], 0 offset:280
	s_waitcnt lgkmcnt(1)
	v_mul_f32_e32 v151, v142, v28
	buffer_load_dword v233, off, s[0:3], 0 offset:296
	buffer_load_dword v234, off, s[0:3], 0 offset:300
	v_fmac_f32_e32 v151, v143, v27
	v_add_f32_e32 v150, v150, v151
	v_mul_f32_e32 v151, v144, v30
	v_fmac_f32_e32 v151, v145, v29
	v_add_f32_e32 v150, v150, v151
	s_waitcnt lgkmcnt(0)
	v_mul_f32_e32 v151, v146, v32
	v_fmac_f32_e32 v151, v147, v31
	v_add_f32_e32 v154, v150, v151
	ds_read_b128 v[150:153], v100 offset:576
	buffer_load_dword v235, off, s[0:3], 0 offset:304
	buffer_load_dword v236, off, s[0:3], 0 offset:308
	;; [unrolled: 1-line block ×6, first 2 shown]
	s_waitcnt vmcnt(38)
	v_mul_f32_e32 v155, v148, v35
	v_fmac_f32_e32 v155, v149, v34
	v_add_f32_e32 v158, v154, v155
	ds_read_b128 v[154:157], v100 offset:592
	buffer_load_dword v241, off, s[0:3], 0 offset:328
	buffer_load_dword v242, off, s[0:3], 0 offset:332
	;; [unrolled: 1-line block ×16, first 2 shown]
	s_waitcnt vmcnt(52) lgkmcnt(1)
	v_mul_f32_e32 v159, v150, v204
	v_fmac_f32_e32 v159, v151, v36
	v_add_f32_e32 v158, v158, v159
	s_waitcnt vmcnt(50)
	v_mul_f32_e32 v159, v152, v206
	v_fmac_f32_e32 v159, v153, v205
	v_add_f32_e32 v158, v158, v159
	s_waitcnt vmcnt(48) lgkmcnt(0)
	v_mul_f32_e32 v159, v154, v208
	v_fmac_f32_e32 v159, v155, v207
	v_add_f32_e32 v162, v158, v159
	ds_read_b128 v[158:161], v100 offset:608
	v_mul_f32_e32 v3, v125, v3
	v_fma_f32 v3, v124, v18, -v3
	v_mul_f32_e32 v4, v127, v4
	v_fma_f32 v4, v126, v17, -v4
	s_waitcnt vmcnt(46)
	v_mul_f32_e32 v38, v156, v210
	v_fmac_f32_e32 v38, v157, v209
	v_add_f32_e32 v38, v162, v38
	ds_read_b128 v[162:165], v100 offset:624
	s_waitcnt vmcnt(44) lgkmcnt(1)
	v_mul_f32_e32 v166, v158, v212
	v_fmac_f32_e32 v166, v159, v211
	v_add_f32_e32 v38, v38, v166
	s_waitcnt vmcnt(43)
	v_mul_f32_e32 v166, v160, v213
	s_waitcnt vmcnt(40)
	v_fmac_f32_e32 v166, v161, v216
	v_add_f32_e32 v38, v38, v166
	s_waitcnt lgkmcnt(0)
	v_mul_f32_e32 v166, v162, v215
	v_fmac_f32_e32 v166, v163, v214
	v_add_f32_e32 v38, v38, v166
	ds_read_b128 v[166:169], v100 offset:640
	s_waitcnt vmcnt(38)
	v_mul_f32_e32 v170, v164, v218
	v_fmac_f32_e32 v170, v165, v217
	v_add_f32_e32 v38, v38, v170
	ds_read_b128 v[170:173], v100 offset:656
	s_waitcnt vmcnt(36) lgkmcnt(1)
	v_mul_f32_e32 v174, v166, v220
	v_fmac_f32_e32 v174, v167, v219
	v_add_f32_e32 v38, v38, v174
	s_waitcnt vmcnt(35)
	v_mul_f32_e32 v174, v168, v221
	s_waitcnt vmcnt(32)
	v_fmac_f32_e32 v174, v169, v224
	v_add_f32_e32 v38, v38, v174
	s_waitcnt lgkmcnt(0)
	v_mul_f32_e32 v174, v170, v223
	v_fmac_f32_e32 v174, v171, v222
	v_add_f32_e32 v38, v38, v174
	ds_read_b128 v[174:177], v100 offset:672
	s_waitcnt vmcnt(30)
	v_mul_f32_e32 v178, v172, v226
	v_fmac_f32_e32 v178, v173, v225
	v_add_f32_e32 v38, v38, v178
	ds_read_b128 v[178:181], v100 offset:688
	s_waitcnt vmcnt(28) lgkmcnt(1)
	v_mul_f32_e32 v182, v174, v228
	v_fmac_f32_e32 v182, v175, v227
	v_add_f32_e32 v38, v38, v182
	s_waitcnt vmcnt(27)
	v_mul_f32_e32 v182, v176, v229
	s_waitcnt vmcnt(24)
	v_fmac_f32_e32 v182, v177, v232
	v_add_f32_e32 v38, v38, v182
	s_waitcnt lgkmcnt(0)
	v_mul_f32_e32 v182, v178, v231
	v_fmac_f32_e32 v182, v179, v230
	v_add_f32_e32 v38, v38, v182
	ds_read_b128 v[182:185], v100 offset:704
	s_waitcnt vmcnt(22)
	v_mul_f32_e32 v186, v180, v234
	v_fmac_f32_e32 v186, v181, v233
	v_add_f32_e32 v38, v38, v186
	ds_read_b128 v[186:189], v100 offset:720
	s_waitcnt vmcnt(20) lgkmcnt(1)
	v_mul_f32_e32 v190, v182, v236
	v_fmac_f32_e32 v190, v183, v235
	v_add_f32_e32 v38, v38, v190
	s_waitcnt vmcnt(19)
	v_mul_f32_e32 v190, v184, v237
	s_waitcnt vmcnt(16)
	v_fmac_f32_e32 v190, v185, v240
	v_add_f32_e32 v38, v38, v190
	s_waitcnt lgkmcnt(0)
	v_mul_f32_e32 v190, v186, v239
	v_fmac_f32_e32 v190, v187, v238
	v_add_f32_e32 v38, v38, v190
	ds_read_b128 v[190:193], v100 offset:736
	s_waitcnt vmcnt(14)
	v_mul_f32_e32 v194, v188, v242
	v_fmac_f32_e32 v194, v189, v241
	v_add_f32_e32 v38, v38, v194
	ds_read_b128 v[194:197], v100 offset:752
	s_waitcnt vmcnt(12) lgkmcnt(1)
	v_mul_f32_e32 v198, v190, v244
	v_fmac_f32_e32 v198, v191, v243
	v_add_f32_e32 v38, v38, v198
	s_waitcnt vmcnt(11)
	v_mul_f32_e32 v198, v192, v245
	s_waitcnt vmcnt(8)
	v_fmac_f32_e32 v198, v193, v248
	v_add_f32_e32 v38, v38, v198
	s_waitcnt lgkmcnt(0)
	v_mul_f32_e32 v198, v194, v247
	v_fmac_f32_e32 v198, v195, v246
	v_add_f32_e32 v38, v38, v198
	ds_read_b128 v[198:201], v100 offset:768
	s_waitcnt vmcnt(6)
	v_mul_f32_e32 v202, v196, v250
	v_fmac_f32_e32 v202, v197, v249
	v_add_f32_e32 v38, v38, v202
	ds_read_b64 v[202:203], v100 offset:784
	s_waitcnt vmcnt(4) lgkmcnt(1)
	v_mul_f32_e32 v39, v198, v252
	v_fmac_f32_e32 v39, v199, v251
	v_add_f32_e32 v38, v38, v39
	s_waitcnt vmcnt(3)
	v_mul_f32_e32 v39, v200, v253
	s_waitcnt vmcnt(0)
	v_fmac_f32_e32 v39, v201, v37
	v_add_f32_e32 v38, v38, v39
	s_waitcnt lgkmcnt(0)
	v_mul_f32_e32 v39, v202, v255
	v_fmac_f32_e32 v39, v203, v254
	v_add_f32_e32 v38, v38, v39
	v_mul_f32_e32 v39, v111, v107
	v_fma_f32 v10, v110, v10, -v39
	v_mul_f32_e32 v39, v113, v106
	v_add_f32_e32 v10, 0, v10
	v_fma_f32 v9, v112, v9, -v39
	v_add_f32_e32 v9, v10, v9
	v_mul_f32_e32 v10, v115, v105
	v_fma_f32 v8, v114, v8, -v10
	v_add_f32_e32 v8, v9, v8
	v_mul_f32_e32 v9, v117, v104
	;; [unrolled: 3-line block ×5, first 2 shown]
	v_fma_f32 v9, v122, v11, -v9
	v_add_f32_e32 v8, v8, v9
	v_add_f32_e32 v3, v8, v3
	;; [unrolled: 1-line block ×3, first 2 shown]
	v_mul_f32_e32 v4, v129, v5
	v_fma_f32 v4, v128, v16, -v4
	v_add_f32_e32 v3, v3, v4
	v_mul_f32_e32 v4, v131, v6
	v_fma_f32 v4, v130, v15, -v4
	v_add_f32_e32 v3, v3, v4
	;; [unrolled: 3-line block ×38, first 2 shown]
	v_sub_f32_e32 v3, v108, v3
	v_sub_f32_e32 v4, v109, v38
	buffer_store_dword v3, off, s[0:3], 0 offset:8
	buffer_store_dword v4, off, s[0:3], 0 offset:12
	s_and_saveexec_b64 s[4:5], vcc
	s_cbranch_execz .LBB112_307
; %bb.306:
	buffer_load_dword v101, off, s[0:3], 0
	buffer_load_dword v102, off, s[0:3], 0 offset:4
	s_waitcnt vmcnt(0)
	ds_write_b64 v99, v[101:102]
	buffer_store_dword v100, off, s[0:3], 0
	buffer_store_dword v100, off, s[0:3], 0 offset:4
.LBB112_307:
	s_or_b64 exec, exec, s[4:5]
	s_waitcnt lgkmcnt(0)
	; wave barrier
	buffer_load_dword v105, off, s[0:3], 0 offset:12
	buffer_load_dword v104, off, s[0:3], 0 offset:20
	;; [unrolled: 1-line block ×38, first 2 shown]
	buffer_load_dword v106, off, s[0:3], 0
	buffer_load_dword v107, off, s[0:3], 0 offset:4
	ds_read2_b64 v[136:139], v100 offset0:51 offset1:52
	ds_read2_b64 v[140:143], v100 offset0:53 offset1:54
	;; [unrolled: 1-line block ×7, first 2 shown]
	buffer_load_dword v6, off, s[0:3], 0 offset:160
	buffer_load_dword v7, off, s[0:3], 0 offset:164
	;; [unrolled: 1-line block ×8, first 2 shown]
	s_and_b64 vcc, exec, s[14:15]
	s_waitcnt vmcnt(47) lgkmcnt(6)
	v_mul_f32_e32 v14, v136, v105
	s_waitcnt vmcnt(46)
	v_mul_f32_e32 v15, v138, v104
	s_waitcnt vmcnt(45) lgkmcnt(5)
	v_mul_f32_e32 v16, v140, v103
	s_waitcnt vmcnt(44)
	v_mul_f32_e32 v17, v142, v102
	;; [unrolled: 4-line block ×6, first 2 shown]
	s_waitcnt vmcnt(35)
	v_fmac_f32_e32 v16, v141, v118
	s_waitcnt vmcnt(34)
	v_fmac_f32_e32 v15, v139, v121
	s_waitcnt vmcnt(33)
	v_fmac_f32_e32 v14, v137, v124
	v_add_f32_e32 v14, 0, v14
	v_add_f32_e32 v14, v14, v15
	;; [unrolled: 1-line block ×3, first 2 shown]
	buffer_load_dword v15, off, s[0:3], 0 offset:192
	buffer_load_dword v16, off, s[0:3], 0 offset:196
	s_waitcnt vmcnt(31)
	v_fmac_f32_e32 v17, v143, v123
	v_fmac_f32_e32 v18, v145, v120
	v_add_f32_e32 v14, v14, v17
	v_fmac_f32_e32 v19, v147, v117
	v_add_f32_e32 v14, v14, v18
	;; [unrolled: 2-line block ×3, first 2 shown]
	s_waitcnt vmcnt(27)
	v_fmac_f32_e32 v21, v151, v119
	v_add_f32_e32 v14, v14, v20
	v_fmac_f32_e32 v22, v153, v116
	v_add_f32_e32 v14, v14, v21
	;; [unrolled: 2-line block ×4, first 2 shown]
	ds_read2_b64 v[164:167], v100 offset0:65 offset1:66
	s_waitcnt vmcnt(23)
	v_fmac_f32_e32 v25, v159, v131
	v_add_f32_e32 v14, v14, v24
	s_waitcnt vmcnt(22) lgkmcnt(1)
	v_mul_f32_e32 v17, v160, v130
	v_add_f32_e32 v14, v14, v25
	v_fmac_f32_e32 v17, v161, v127
	v_add_f32_e32 v14, v14, v17
	s_waitcnt vmcnt(21)
	v_mul_f32_e32 v17, v162, v128
	v_fmac_f32_e32 v17, v163, v125
	v_add_f32_e32 v14, v14, v17
	s_waitcnt vmcnt(20) lgkmcnt(0)
	v_mul_f32_e32 v17, v164, v126
	v_fmac_f32_e32 v17, v165, v122
	v_add_f32_e32 v14, v14, v17
	buffer_load_dword v17, off, s[0:3], 0 offset:200
	buffer_load_dword v18, off, s[0:3], 0 offset:204
	;; [unrolled: 1-line block ×6, first 2 shown]
	s_waitcnt vmcnt(25)
	v_mul_f32_e32 v23, v166, v129
	s_waitcnt vmcnt(18)
	v_fmac_f32_e32 v23, v167, v5
	ds_read2_b64 v[168:171], v100 offset0:67 offset1:68
	v_add_f32_e32 v14, v14, v23
	buffer_load_dword v23, off, s[0:3], 0 offset:224
	buffer_load_dword v24, off, s[0:3], 0 offset:228
	ds_read2_b64 v[172:175], v100 offset0:69 offset1:70
	buffer_load_dword v26, off, s[0:3], 0 offset:232
	buffer_load_dword v27, off, s[0:3], 0 offset:236
	;; [unrolled: 1-line block ×14, first 2 shown]
	s_waitcnt lgkmcnt(1)
	v_mul_f32_e32 v25, v168, v133
	v_fmac_f32_e32 v25, v169, v132
	v_add_f32_e32 v14, v14, v25
	v_mul_f32_e32 v25, v170, v135
	buffer_load_dword v40, off, s[0:3], 0 offset:288
	buffer_load_dword v232, off, s[0:3], 0 offset:292
	v_fmac_f32_e32 v25, v171, v134
	v_add_f32_e32 v14, v14, v25
	s_waitcnt lgkmcnt(0)
	v_mul_f32_e32 v25, v172, v4
	v_fmac_f32_e32 v25, v173, v3
	v_add_f32_e32 v14, v14, v25
	s_waitcnt vmcnt(32)
	v_mul_f32_e32 v25, v174, v7
	v_fmac_f32_e32 v25, v175, v6
	ds_read2_b64 v[176:179], v100 offset0:71 offset1:72
	v_add_f32_e32 v14, v14, v25
	buffer_load_dword v25, off, s[0:3], 0 offset:296
	buffer_load_dword v233, off, s[0:3], 0 offset:300
	;; [unrolled: 1-line block ×6, first 2 shown]
	ds_read2_b64 v[180:183], v100 offset0:73 offset1:74
	buffer_load_dword v238, off, s[0:3], 0 offset:320
	buffer_load_dword v239, off, s[0:3], 0 offset:324
	;; [unrolled: 1-line block ×10, first 2 shown]
	s_waitcnt vmcnt(46) lgkmcnt(1)
	v_mul_f32_e32 v184, v176, v9
	v_fmac_f32_e32 v184, v177, v8
	v_add_f32_e32 v14, v14, v184
	s_waitcnt vmcnt(44)
	v_mul_f32_e32 v184, v178, v11
	v_fmac_f32_e32 v184, v179, v10
	v_add_f32_e32 v14, v14, v184
	s_waitcnt vmcnt(42) lgkmcnt(0)
	v_mul_f32_e32 v184, v180, v13
	buffer_load_dword v248, off, s[0:3], 0 offset:360
	buffer_load_dword v249, off, s[0:3], 0 offset:364
	;; [unrolled: 1-line block ×6, first 2 shown]
	v_fmac_f32_e32 v184, v181, v12
	v_add_f32_e32 v14, v14, v184
	ds_read2_b64 v[184:187], v100 offset0:75 offset1:76
	v_mul_f32_e32 v104, v139, v104
	v_fma_f32 v104, v138, v121, -v104
	v_mul_f32_e32 v103, v141, v103
	v_fma_f32 v103, v140, v118, -v103
	v_mul_f32_e32 v102, v143, v102
	v_fma_f32 v102, v142, v123, -v102
	v_mul_f32_e32 v101, v145, v101
	v_fma_f32 v101, v144, v120, -v101
	v_mul_f32_e32 v99, v147, v99
	v_fma_f32 v99, v146, v117, -v99
	v_mul_f32_e32 v0, v149, v0
	s_waitcnt vmcnt(46)
	v_mul_f32_e32 v188, v182, v16
	v_fmac_f32_e32 v188, v183, v15
	v_add_f32_e32 v14, v14, v188
	ds_read2_b64 v[188:191], v100 offset0:77 offset1:78
	buffer_load_dword v254, off, s[0:3], 0 offset:384
	buffer_load_dword v255, off, s[0:3], 0 offset:388
	v_fma_f32 v0, v148, v115, -v0
	v_mul_f32_e32 v4, v173, v4
	v_fma_f32 v3, v172, v3, -v4
	s_waitcnt vmcnt(46) lgkmcnt(1)
	v_mul_f32_e32 v192, v184, v18
	v_fmac_f32_e32 v192, v185, v17
	v_add_f32_e32 v14, v14, v192
	s_waitcnt vmcnt(45)
	v_mul_f32_e32 v192, v186, v19
	s_waitcnt vmcnt(42)
	v_fmac_f32_e32 v192, v187, v22
	v_add_f32_e32 v14, v14, v192
	s_waitcnt lgkmcnt(0)
	v_mul_f32_e32 v192, v188, v21
	v_fmac_f32_e32 v192, v189, v20
	v_add_f32_e32 v14, v14, v192
	ds_read2_b64 v[192:195], v100 offset0:79 offset1:80
	s_waitcnt vmcnt(40)
	v_mul_f32_e32 v196, v190, v24
	v_fmac_f32_e32 v196, v191, v23
	v_add_f32_e32 v14, v14, v196
	ds_read2_b64 v[196:199], v100 offset0:81 offset1:82
	s_waitcnt vmcnt(38) lgkmcnt(1)
	v_mul_f32_e32 v200, v192, v27
	v_fmac_f32_e32 v200, v193, v26
	v_add_f32_e32 v14, v14, v200
	s_waitcnt vmcnt(37)
	v_mul_f32_e32 v200, v194, v28
	s_waitcnt vmcnt(34)
	v_fmac_f32_e32 v200, v195, v31
	v_add_f32_e32 v14, v14, v200
	s_waitcnt lgkmcnt(0)
	v_mul_f32_e32 v200, v196, v30
	v_fmac_f32_e32 v200, v197, v29
	v_add_f32_e32 v14, v14, v200
	ds_read2_b64 v[200:203], v100 offset0:83 offset1:84
	s_waitcnt vmcnt(32)
	v_mul_f32_e32 v204, v198, v33
	v_fmac_f32_e32 v204, v199, v32
	v_add_f32_e32 v14, v14, v204
	ds_read2_b64 v[204:207], v100 offset0:85 offset1:86
	;; [unrolled: 19-line block ×5, first 2 shown]
	s_waitcnt vmcnt(6) lgkmcnt(1)
	v_mul_f32_e32 v100, v224, v249
	v_fmac_f32_e32 v100, v225, v248
	v_add_f32_e32 v14, v14, v100
	s_waitcnt vmcnt(5)
	v_mul_f32_e32 v100, v226, v250
	s_waitcnt vmcnt(2)
	v_fmac_f32_e32 v100, v227, v253
	v_add_f32_e32 v14, v14, v100
	s_waitcnt lgkmcnt(0)
	v_mul_f32_e32 v100, v228, v252
	v_fmac_f32_e32 v100, v229, v251
	v_add_f32_e32 v14, v14, v100
	s_waitcnt vmcnt(0)
	v_mul_f32_e32 v100, v230, v255
	v_fmac_f32_e32 v100, v231, v254
	v_add_f32_e32 v14, v14, v100
	v_mul_f32_e32 v100, v137, v105
	v_fma_f32 v100, v136, v124, -v100
	v_add_f32_e32 v100, 0, v100
	v_add_f32_e32 v100, v100, v104
	;; [unrolled: 1-line block ×7, first 2 shown]
	v_mul_f32_e32 v99, v151, v108
	v_fma_f32 v99, v150, v119, -v99
	v_add_f32_e32 v0, v0, v99
	v_mul_f32_e32 v99, v153, v109
	v_fma_f32 v99, v152, v116, -v99
	v_add_f32_e32 v0, v0, v99
	;; [unrolled: 3-line block ×11, first 2 shown]
	v_add_f32_e32 v0, v0, v3
	v_mul_f32_e32 v3, v175, v7
	v_fma_f32 v3, v174, v6, -v3
	v_add_f32_e32 v0, v0, v3
	v_mul_f32_e32 v3, v177, v9
	v_fma_f32 v3, v176, v8, -v3
	;; [unrolled: 3-line block ×29, first 2 shown]
	v_add_f32_e32 v0, v0, v3
	v_sub_f32_e32 v0, v106, v0
	v_sub_f32_e32 v3, v107, v14
	buffer_store_dword v0, off, s[0:3], 0
	buffer_store_dword v3, off, s[0:3], 0 offset:4
	s_cbranch_vccz .LBB112_404
; %bb.308:
	v_mov_b32_e32 v0, 0
	global_load_dword v99, v0, s[12:13] offset:188
	s_waitcnt vmcnt(0)
	v_add_u32_e32 v99, -1, v99
	v_cmp_ne_u32_e32 vcc, 47, v99
	s_cbranch_vccz .LBB112_310
; %bb.309:
	v_lshlrev_b32_e32 v3, 3, v99
	buffer_load_dword v4, v3, s[0:3], 0 offen
	buffer_load_dword v5, v3, s[0:3], 0 offen offset:4
	buffer_load_dword v6, off, s[0:3], 0 offset:376
	buffer_load_dword v7, off, s[0:3], 0 offset:380
	s_waitcnt vmcnt(3)
	buffer_store_dword v4, off, s[0:3], 0 offset:376
	s_waitcnt vmcnt(3)
	buffer_store_dword v5, off, s[0:3], 0 offset:380
	s_waitcnt vmcnt(3)
	buffer_store_dword v6, v3, s[0:3], 0 offen
	s_waitcnt vmcnt(3)
	buffer_store_dword v7, v3, s[0:3], 0 offen offset:4
.LBB112_310:
	global_load_dword v0, v0, s[12:13] offset:184
	s_waitcnt vmcnt(0)
	v_add_u32_e32 v0, -1, v0
	v_cmp_eq_u32_e32 vcc, 46, v0
	s_cbranch_vccnz .LBB112_312
; %bb.311:
	v_lshlrev_b32_e32 v0, 3, v0
	buffer_load_dword v3, v0, s[0:3], 0 offen
	buffer_load_dword v4, v0, s[0:3], 0 offen offset:4
	buffer_load_dword v5, off, s[0:3], 0 offset:372
	buffer_load_dword v6, off, s[0:3], 0 offset:368
	s_waitcnt vmcnt(3)
	buffer_store_dword v3, off, s[0:3], 0 offset:368
	s_waitcnt vmcnt(3)
	buffer_store_dword v4, off, s[0:3], 0 offset:372
	s_waitcnt vmcnt(3)
	buffer_store_dword v5, v0, s[0:3], 0 offen offset:4
	s_waitcnt vmcnt(3)
	buffer_store_dword v6, v0, s[0:3], 0 offen
.LBB112_312:
	v_mov_b32_e32 v0, 0
	global_load_dword v3, v0, s[12:13] offset:180
	s_waitcnt vmcnt(0)
	v_add_u32_e32 v99, -1, v3
	v_cmp_eq_u32_e32 vcc, 45, v99
	s_cbranch_vccnz .LBB112_314
; %bb.313:
	v_lshlrev_b32_e32 v3, 3, v99
	buffer_load_dword v4, v3, s[0:3], 0 offen
	buffer_load_dword v5, v3, s[0:3], 0 offen offset:4
	buffer_load_dword v6, off, s[0:3], 0 offset:360
	buffer_load_dword v7, off, s[0:3], 0 offset:364
	s_waitcnt vmcnt(3)
	buffer_store_dword v4, off, s[0:3], 0 offset:360
	s_waitcnt vmcnt(3)
	buffer_store_dword v5, off, s[0:3], 0 offset:364
	s_waitcnt vmcnt(3)
	buffer_store_dword v6, v3, s[0:3], 0 offen
	s_waitcnt vmcnt(3)
	buffer_store_dword v7, v3, s[0:3], 0 offen offset:4
.LBB112_314:
	global_load_dword v0, v0, s[12:13] offset:176
	s_waitcnt vmcnt(0)
	v_add_u32_e32 v0, -1, v0
	v_cmp_eq_u32_e32 vcc, 44, v0
	s_cbranch_vccnz .LBB112_316
; %bb.315:
	v_lshlrev_b32_e32 v0, 3, v0
	buffer_load_dword v3, v0, s[0:3], 0 offen
	buffer_load_dword v4, v0, s[0:3], 0 offen offset:4
	buffer_load_dword v5, off, s[0:3], 0 offset:356
	buffer_load_dword v6, off, s[0:3], 0 offset:352
	s_waitcnt vmcnt(3)
	buffer_store_dword v3, off, s[0:3], 0 offset:352
	s_waitcnt vmcnt(3)
	buffer_store_dword v4, off, s[0:3], 0 offset:356
	s_waitcnt vmcnt(3)
	buffer_store_dword v5, v0, s[0:3], 0 offen offset:4
	s_waitcnt vmcnt(3)
	buffer_store_dword v6, v0, s[0:3], 0 offen
.LBB112_316:
	v_mov_b32_e32 v0, 0
	global_load_dword v3, v0, s[12:13] offset:172
	s_waitcnt vmcnt(0)
	v_add_u32_e32 v99, -1, v3
	v_cmp_eq_u32_e32 vcc, 43, v99
	s_cbranch_vccnz .LBB112_318
; %bb.317:
	v_lshlrev_b32_e32 v3, 3, v99
	buffer_load_dword v4, v3, s[0:3], 0 offen
	buffer_load_dword v5, v3, s[0:3], 0 offen offset:4
	buffer_load_dword v6, off, s[0:3], 0 offset:344
	buffer_load_dword v7, off, s[0:3], 0 offset:348
	s_waitcnt vmcnt(3)
	buffer_store_dword v4, off, s[0:3], 0 offset:344
	s_waitcnt vmcnt(3)
	buffer_store_dword v5, off, s[0:3], 0 offset:348
	s_waitcnt vmcnt(3)
	buffer_store_dword v6, v3, s[0:3], 0 offen
	s_waitcnt vmcnt(3)
	buffer_store_dword v7, v3, s[0:3], 0 offen offset:4
.LBB112_318:
	;; [unrolled: 41-line block ×23, first 2 shown]
	global_load_dword v0, v0, s[12:13]
	s_waitcnt vmcnt(0)
	v_add_u32_e32 v0, -1, v0
	v_cmp_eq_u32_e32 vcc, 0, v0
	s_cbranch_vccnz .LBB112_404
; %bb.403:
	v_lshlrev_b32_e32 v0, 3, v0
	buffer_load_dword v3, v0, s[0:3], 0 offen
	buffer_load_dword v4, v0, s[0:3], 0 offen offset:4
	buffer_load_dword v5, off, s[0:3], 0 offset:4
	buffer_load_dword v6, off, s[0:3], 0
	s_waitcnt vmcnt(3)
	buffer_store_dword v3, off, s[0:3], 0
	s_waitcnt vmcnt(3)
	buffer_store_dword v4, off, s[0:3], 0 offset:4
	s_waitcnt vmcnt(3)
	buffer_store_dword v5, v0, s[0:3], 0 offen offset:4
	s_waitcnt vmcnt(3)
	buffer_store_dword v6, v0, s[0:3], 0 offen
.LBB112_404:
	buffer_load_dword v99, off, s[0:3], 0
	buffer_load_dword v100, off, s[0:3], 0 offset:4
	s_waitcnt vmcnt(0)
	flat_store_dwordx2 v[1:2], v[99:100]
	buffer_load_dword v0, off, s[0:3], 0 offset:8
	s_nop 0
	buffer_load_dword v1, off, s[0:3], 0 offset:12
	buffer_load_dword v2, off, s[0:3], 0 offset:392 ; 4-byte Folded Reload
	buffer_load_dword v3, off, s[0:3], 0 offset:396 ; 4-byte Folded Reload
	s_waitcnt vmcnt(0)
	flat_store_dwordx2 v[2:3], v[0:1]
	buffer_load_dword v0, off, s[0:3], 0 offset:16
	s_nop 0
	buffer_load_dword v1, off, s[0:3], 0 offset:20
	buffer_load_dword v2, off, s[0:3], 0 offset:400 ; 4-byte Folded Reload
	buffer_load_dword v3, off, s[0:3], 0 offset:404 ; 4-byte Folded Reload
	s_waitcnt vmcnt(0)
	flat_store_dwordx2 v[2:3], v[0:1]
	buffer_load_dword v0, off, s[0:3], 0 offset:24
	s_nop 0
	buffer_load_dword v1, off, s[0:3], 0 offset:28
	buffer_load_dword v2, off, s[0:3], 0 offset:408 ; 4-byte Folded Reload
	buffer_load_dword v3, off, s[0:3], 0 offset:412 ; 4-byte Folded Reload
	s_waitcnt vmcnt(0)
	flat_store_dwordx2 v[2:3], v[0:1]
	buffer_load_dword v0, off, s[0:3], 0 offset:32
	s_nop 0
	buffer_load_dword v1, off, s[0:3], 0 offset:36
	buffer_load_dword v2, off, s[0:3], 0 offset:416 ; 4-byte Folded Reload
	buffer_load_dword v3, off, s[0:3], 0 offset:420 ; 4-byte Folded Reload
	s_waitcnt vmcnt(0)
	flat_store_dwordx2 v[2:3], v[0:1]
	buffer_load_dword v0, off, s[0:3], 0 offset:40
	s_nop 0
	buffer_load_dword v1, off, s[0:3], 0 offset:44
	buffer_load_dword v2, off, s[0:3], 0 offset:424 ; 4-byte Folded Reload
	buffer_load_dword v3, off, s[0:3], 0 offset:428 ; 4-byte Folded Reload
	s_waitcnt vmcnt(0)
	flat_store_dwordx2 v[2:3], v[0:1]
	buffer_load_dword v0, off, s[0:3], 0 offset:48
	s_nop 0
	buffer_load_dword v1, off, s[0:3], 0 offset:52
	buffer_load_dword v2, off, s[0:3], 0 offset:432 ; 4-byte Folded Reload
	buffer_load_dword v3, off, s[0:3], 0 offset:436 ; 4-byte Folded Reload
	s_waitcnt vmcnt(0)
	flat_store_dwordx2 v[2:3], v[0:1]
	buffer_load_dword v0, off, s[0:3], 0 offset:56
	s_nop 0
	buffer_load_dword v1, off, s[0:3], 0 offset:60
	buffer_load_dword v2, off, s[0:3], 0 offset:440 ; 4-byte Folded Reload
	buffer_load_dword v3, off, s[0:3], 0 offset:444 ; 4-byte Folded Reload
	s_waitcnt vmcnt(0)
	flat_store_dwordx2 v[2:3], v[0:1]
	buffer_load_dword v0, off, s[0:3], 0 offset:64
	s_nop 0
	buffer_load_dword v1, off, s[0:3], 0 offset:68
	buffer_load_dword v2, off, s[0:3], 0 offset:448 ; 4-byte Folded Reload
	buffer_load_dword v3, off, s[0:3], 0 offset:452 ; 4-byte Folded Reload
	s_waitcnt vmcnt(0)
	flat_store_dwordx2 v[2:3], v[0:1]
	buffer_load_dword v0, off, s[0:3], 0 offset:72
	s_nop 0
	buffer_load_dword v1, off, s[0:3], 0 offset:76
	buffer_load_dword v2, off, s[0:3], 0 offset:456 ; 4-byte Folded Reload
	buffer_load_dword v3, off, s[0:3], 0 offset:460 ; 4-byte Folded Reload
	s_waitcnt vmcnt(0)
	flat_store_dwordx2 v[2:3], v[0:1]
	buffer_load_dword v0, off, s[0:3], 0 offset:80
	s_nop 0
	buffer_load_dword v1, off, s[0:3], 0 offset:84
	buffer_load_dword v2, off, s[0:3], 0 offset:464 ; 4-byte Folded Reload
	buffer_load_dword v3, off, s[0:3], 0 offset:468 ; 4-byte Folded Reload
	s_waitcnt vmcnt(0)
	flat_store_dwordx2 v[2:3], v[0:1]
	buffer_load_dword v0, off, s[0:3], 0 offset:88
	s_nop 0
	buffer_load_dword v1, off, s[0:3], 0 offset:92
	buffer_load_dword v2, off, s[0:3], 0 offset:472 ; 4-byte Folded Reload
	buffer_load_dword v3, off, s[0:3], 0 offset:476 ; 4-byte Folded Reload
	s_waitcnt vmcnt(0)
	flat_store_dwordx2 v[2:3], v[0:1]
	buffer_load_dword v0, off, s[0:3], 0 offset:96
	s_nop 0
	buffer_load_dword v1, off, s[0:3], 0 offset:100
	buffer_load_dword v2, off, s[0:3], 0 offset:480 ; 4-byte Folded Reload
	buffer_load_dword v3, off, s[0:3], 0 offset:484 ; 4-byte Folded Reload
	s_waitcnt vmcnt(0)
	flat_store_dwordx2 v[2:3], v[0:1]
	buffer_load_dword v0, off, s[0:3], 0 offset:104
	s_nop 0
	buffer_load_dword v1, off, s[0:3], 0 offset:108
	buffer_load_dword v2, off, s[0:3], 0 offset:488 ; 4-byte Folded Reload
	buffer_load_dword v3, off, s[0:3], 0 offset:492 ; 4-byte Folded Reload
	s_waitcnt vmcnt(0)
	flat_store_dwordx2 v[2:3], v[0:1]
	buffer_load_dword v0, off, s[0:3], 0 offset:112
	s_nop 0
	buffer_load_dword v1, off, s[0:3], 0 offset:116
	buffer_load_dword v2, off, s[0:3], 0 offset:496 ; 4-byte Folded Reload
	buffer_load_dword v3, off, s[0:3], 0 offset:500 ; 4-byte Folded Reload
	s_waitcnt vmcnt(0)
	flat_store_dwordx2 v[2:3], v[0:1]
	buffer_load_dword v0, off, s[0:3], 0 offset:120
	s_nop 0
	buffer_load_dword v1, off, s[0:3], 0 offset:124
	buffer_load_dword v2, off, s[0:3], 0 offset:504 ; 4-byte Folded Reload
	buffer_load_dword v3, off, s[0:3], 0 offset:508 ; 4-byte Folded Reload
	s_waitcnt vmcnt(0)
	flat_store_dwordx2 v[2:3], v[0:1]
	buffer_load_dword v0, off, s[0:3], 0 offset:128
	s_nop 0
	buffer_load_dword v1, off, s[0:3], 0 offset:132
	buffer_load_dword v2, off, s[0:3], 0 offset:512 ; 4-byte Folded Reload
	buffer_load_dword v3, off, s[0:3], 0 offset:516 ; 4-byte Folded Reload
	s_waitcnt vmcnt(0)
	flat_store_dwordx2 v[2:3], v[0:1]
	buffer_load_dword v0, off, s[0:3], 0 offset:136
	s_nop 0
	buffer_load_dword v1, off, s[0:3], 0 offset:140
	buffer_load_dword v2, off, s[0:3], 0 offset:520 ; 4-byte Folded Reload
	buffer_load_dword v3, off, s[0:3], 0 offset:524 ; 4-byte Folded Reload
	s_waitcnt vmcnt(0)
	flat_store_dwordx2 v[2:3], v[0:1]
	buffer_load_dword v0, off, s[0:3], 0 offset:144
	s_nop 0
	buffer_load_dword v1, off, s[0:3], 0 offset:148
	buffer_load_dword v2, off, s[0:3], 0 offset:528 ; 4-byte Folded Reload
	buffer_load_dword v3, off, s[0:3], 0 offset:532 ; 4-byte Folded Reload
	s_waitcnt vmcnt(0)
	flat_store_dwordx2 v[2:3], v[0:1]
	buffer_load_dword v0, off, s[0:3], 0 offset:152
	s_nop 0
	buffer_load_dword v1, off, s[0:3], 0 offset:156
	buffer_load_dword v2, off, s[0:3], 0 offset:536 ; 4-byte Folded Reload
	buffer_load_dword v3, off, s[0:3], 0 offset:540 ; 4-byte Folded Reload
	s_waitcnt vmcnt(0)
	flat_store_dwordx2 v[2:3], v[0:1]
	buffer_load_dword v0, off, s[0:3], 0 offset:160
	s_nop 0
	buffer_load_dword v1, off, s[0:3], 0 offset:164
	s_waitcnt vmcnt(0)
	flat_store_dwordx2 v[41:42], v[0:1]
	buffer_load_dword v0, off, s[0:3], 0 offset:168
	s_nop 0
	buffer_load_dword v1, off, s[0:3], 0 offset:172
	;; [unrolled: 5-line block ×29, first 2 shown]
	s_waitcnt vmcnt(0)
	flat_store_dwordx2 v[97:98], v[0:1]
	s_endpgm
	.section	.rodata,"a",@progbits
	.p2align	6, 0x0
	.amdhsa_kernel _ZN9rocsolver6v33100L18getri_kernel_smallILi49E19rocblas_complex_numIfEPKPS3_EEvT1_iilPiilS8_bb
		.amdhsa_group_segment_fixed_size 792
		.amdhsa_private_segment_fixed_size 560
		.amdhsa_kernarg_size 60
		.amdhsa_user_sgpr_count 6
		.amdhsa_user_sgpr_private_segment_buffer 1
		.amdhsa_user_sgpr_dispatch_ptr 0
		.amdhsa_user_sgpr_queue_ptr 0
		.amdhsa_user_sgpr_kernarg_segment_ptr 1
		.amdhsa_user_sgpr_dispatch_id 0
		.amdhsa_user_sgpr_flat_scratch_init 0
		.amdhsa_user_sgpr_private_segment_size 0
		.amdhsa_uses_dynamic_stack 0
		.amdhsa_system_sgpr_private_segment_wavefront_offset 1
		.amdhsa_system_sgpr_workgroup_id_x 1
		.amdhsa_system_sgpr_workgroup_id_y 0
		.amdhsa_system_sgpr_workgroup_id_z 0
		.amdhsa_system_sgpr_workgroup_info 0
		.amdhsa_system_vgpr_workitem_id 0
		.amdhsa_next_free_vgpr 256
		.amdhsa_next_free_sgpr 21
		.amdhsa_reserve_vcc 1
		.amdhsa_reserve_flat_scratch 0
		.amdhsa_float_round_mode_32 0
		.amdhsa_float_round_mode_16_64 0
		.amdhsa_float_denorm_mode_32 3
		.amdhsa_float_denorm_mode_16_64 3
		.amdhsa_dx10_clamp 1
		.amdhsa_ieee_mode 1
		.amdhsa_fp16_overflow 0
		.amdhsa_exception_fp_ieee_invalid_op 0
		.amdhsa_exception_fp_denorm_src 0
		.amdhsa_exception_fp_ieee_div_zero 0
		.amdhsa_exception_fp_ieee_overflow 0
		.amdhsa_exception_fp_ieee_underflow 0
		.amdhsa_exception_fp_ieee_inexact 0
		.amdhsa_exception_int_div_zero 0
	.end_amdhsa_kernel
	.section	.text._ZN9rocsolver6v33100L18getri_kernel_smallILi49E19rocblas_complex_numIfEPKPS3_EEvT1_iilPiilS8_bb,"axG",@progbits,_ZN9rocsolver6v33100L18getri_kernel_smallILi49E19rocblas_complex_numIfEPKPS3_EEvT1_iilPiilS8_bb,comdat
.Lfunc_end112:
	.size	_ZN9rocsolver6v33100L18getri_kernel_smallILi49E19rocblas_complex_numIfEPKPS3_EEvT1_iilPiilS8_bb, .Lfunc_end112-_ZN9rocsolver6v33100L18getri_kernel_smallILi49E19rocblas_complex_numIfEPKPS3_EEvT1_iilPiilS8_bb
                                        ; -- End function
	.set _ZN9rocsolver6v33100L18getri_kernel_smallILi49E19rocblas_complex_numIfEPKPS3_EEvT1_iilPiilS8_bb.num_vgpr, 256
	.set _ZN9rocsolver6v33100L18getri_kernel_smallILi49E19rocblas_complex_numIfEPKPS3_EEvT1_iilPiilS8_bb.num_agpr, 0
	.set _ZN9rocsolver6v33100L18getri_kernel_smallILi49E19rocblas_complex_numIfEPKPS3_EEvT1_iilPiilS8_bb.numbered_sgpr, 21
	.set _ZN9rocsolver6v33100L18getri_kernel_smallILi49E19rocblas_complex_numIfEPKPS3_EEvT1_iilPiilS8_bb.num_named_barrier, 0
	.set _ZN9rocsolver6v33100L18getri_kernel_smallILi49E19rocblas_complex_numIfEPKPS3_EEvT1_iilPiilS8_bb.private_seg_size, 560
	.set _ZN9rocsolver6v33100L18getri_kernel_smallILi49E19rocblas_complex_numIfEPKPS3_EEvT1_iilPiilS8_bb.uses_vcc, 1
	.set _ZN9rocsolver6v33100L18getri_kernel_smallILi49E19rocblas_complex_numIfEPKPS3_EEvT1_iilPiilS8_bb.uses_flat_scratch, 0
	.set _ZN9rocsolver6v33100L18getri_kernel_smallILi49E19rocblas_complex_numIfEPKPS3_EEvT1_iilPiilS8_bb.has_dyn_sized_stack, 0
	.set _ZN9rocsolver6v33100L18getri_kernel_smallILi49E19rocblas_complex_numIfEPKPS3_EEvT1_iilPiilS8_bb.has_recursion, 0
	.set _ZN9rocsolver6v33100L18getri_kernel_smallILi49E19rocblas_complex_numIfEPKPS3_EEvT1_iilPiilS8_bb.has_indirect_call, 0
	.section	.AMDGPU.csdata,"",@progbits
; Kernel info:
; codeLenInByte = 90564
; TotalNumSgprs: 25
; NumVgprs: 256
; ScratchSize: 560
; MemoryBound: 0
; FloatMode: 240
; IeeeMode: 1
; LDSByteSize: 792 bytes/workgroup (compile time only)
; SGPRBlocks: 3
; VGPRBlocks: 63
; NumSGPRsForWavesPerEU: 25
; NumVGPRsForWavesPerEU: 256
; Occupancy: 1
; WaveLimiterHint : 1
; COMPUTE_PGM_RSRC2:SCRATCH_EN: 1
; COMPUTE_PGM_RSRC2:USER_SGPR: 6
; COMPUTE_PGM_RSRC2:TRAP_HANDLER: 0
; COMPUTE_PGM_RSRC2:TGID_X_EN: 1
; COMPUTE_PGM_RSRC2:TGID_Y_EN: 0
; COMPUTE_PGM_RSRC2:TGID_Z_EN: 0
; COMPUTE_PGM_RSRC2:TIDIG_COMP_CNT: 0
	.section	.text._ZN9rocsolver6v33100L18getri_kernel_smallILi50E19rocblas_complex_numIfEPKPS3_EEvT1_iilPiilS8_bb,"axG",@progbits,_ZN9rocsolver6v33100L18getri_kernel_smallILi50E19rocblas_complex_numIfEPKPS3_EEvT1_iilPiilS8_bb,comdat
	.globl	_ZN9rocsolver6v33100L18getri_kernel_smallILi50E19rocblas_complex_numIfEPKPS3_EEvT1_iilPiilS8_bb ; -- Begin function _ZN9rocsolver6v33100L18getri_kernel_smallILi50E19rocblas_complex_numIfEPKPS3_EEvT1_iilPiilS8_bb
	.p2align	8
	.type	_ZN9rocsolver6v33100L18getri_kernel_smallILi50E19rocblas_complex_numIfEPKPS3_EEvT1_iilPiilS8_bb,@function
_ZN9rocsolver6v33100L18getri_kernel_smallILi50E19rocblas_complex_numIfEPKPS3_EEvT1_iilPiilS8_bb: ; @_ZN9rocsolver6v33100L18getri_kernel_smallILi50E19rocblas_complex_numIfEPKPS3_EEvT1_iilPiilS8_bb
; %bb.0:
	s_add_u32 s0, s0, s7
	s_addc_u32 s1, s1, 0
	v_cmp_gt_u32_e32 vcc, 50, v0
	s_and_saveexec_b64 s[8:9], vcc
	s_cbranch_execz .LBB113_214
; %bb.1:
	s_load_dword s18, s[4:5], 0x38
	s_load_dwordx2 s[12:13], s[4:5], 0x0
	s_load_dwordx4 s[8:11], s[4:5], 0x28
	s_waitcnt lgkmcnt(0)
	s_bitcmp1_b32 s18, 8
	s_cselect_b64 s[14:15], -1, 0
	s_ashr_i32 s7, s6, 31
	s_lshl_b64 s[16:17], s[6:7], 3
	s_add_u32 s12, s12, s16
	s_addc_u32 s13, s13, s17
	s_load_dwordx2 s[16:17], s[12:13], 0x0
	s_bfe_u32 s12, s18, 0x10008
	s_cmp_eq_u32 s12, 0
                                        ; implicit-def: $sgpr12_sgpr13
	s_cbranch_scc1 .LBB113_3
; %bb.2:
	s_load_dword s12, s[4:5], 0x20
	s_load_dwordx2 s[18:19], s[4:5], 0x18
	s_mul_i32 s13, s8, s7
	s_mul_hi_u32 s20, s8, s6
	s_add_i32 s20, s20, s13
	s_mul_i32 s9, s9, s6
	s_add_i32 s9, s20, s9
	s_mul_i32 s8, s8, s6
	s_waitcnt lgkmcnt(0)
	s_ashr_i32 s13, s12, 31
	s_lshl_b64 s[8:9], s[8:9], 2
	s_add_u32 s18, s18, s8
	s_addc_u32 s19, s19, s9
	s_lshl_b64 s[8:9], s[12:13], 2
	s_add_u32 s12, s18, s8
	s_addc_u32 s13, s19, s9
.LBB113_3:
	s_load_dwordx2 s[8:9], s[4:5], 0x8
	s_load_dword s18, s[4:5], 0x38
	v_lshlrev_b32_e32 v103, 3, v0
	s_waitcnt lgkmcnt(0)
	s_ashr_i32 s5, s8, 31
	s_mov_b32 s4, s8
	s_lshl_b64 s[4:5], s[4:5], 3
	s_add_u32 s4, s16, s4
	s_addc_u32 s5, s17, s5
	v_mov_b32_e32 v2, s5
	v_add_co_u32_e32 v1, vcc, s4, v103
	v_addc_co_u32_e32 v2, vcc, 0, v2, vcc
	flat_load_dwordx2 v[5:6], v[1:2]
	s_mov_b32 s16, s9
	s_ashr_i32 s17, s9, 31
	s_lshl_b64 s[16:17], s[16:17], 3
	v_mov_b32_e32 v4, s17
	v_add_co_u32_e32 v3, vcc, s16, v1
	v_addc_co_u32_e32 v4, vcc, v2, v4, vcc
	s_add_i32 s8, s9, s9
	v_add_u32_e32 v9, s8, v0
	v_ashrrev_i32_e32 v10, 31, v9
	v_mov_b32_e32 v11, s5
	v_add_u32_e32 v12, s9, v9
	v_ashrrev_i32_e32 v13, 31, v12
	v_mov_b32_e32 v14, s5
	v_mov_b32_e32 v15, s5
	;; [unrolled: 1-line block ×46, first 2 shown]
	s_bitcmp0_b32 s18, 0
	s_waitcnt vmcnt(0) lgkmcnt(0)
	buffer_store_dword v6, off, s[0:3], 0 offset:4
	buffer_store_dword v5, off, s[0:3], 0
	buffer_store_dword v3, off, s[0:3], 0 offset:400 ; 4-byte Folded Spill
	s_nop 0
	buffer_store_dword v4, off, s[0:3], 0 offset:404 ; 4-byte Folded Spill
	v_lshlrev_b64 v[5:6], 3, v[9:10]
	flat_load_dwordx2 v[7:8], v[3:4]
	v_add_co_u32_e32 v3, vcc, s4, v5
	v_addc_co_u32_e32 v4, vcc, v11, v6, vcc
	s_waitcnt vmcnt(0) lgkmcnt(0)
	buffer_store_dword v8, off, s[0:3], 0 offset:12
	buffer_store_dword v7, off, s[0:3], 0 offset:8
	buffer_store_dword v3, off, s[0:3], 0 offset:408 ; 4-byte Folded Spill
	s_nop 0
	buffer_store_dword v4, off, s[0:3], 0 offset:412 ; 4-byte Folded Spill
	v_lshlrev_b64 v[7:8], 3, v[12:13]
	flat_load_dwordx2 v[10:11], v[3:4]
	v_add_co_u32_e32 v3, vcc, s4, v7
	v_addc_co_u32_e32 v4, vcc, v14, v8, vcc
	s_waitcnt vmcnt(0) lgkmcnt(0)
	buffer_store_dword v11, off, s[0:3], 0 offset:20
	buffer_store_dword v10, off, s[0:3], 0 offset:16
	buffer_store_dword v3, off, s[0:3], 0 offset:416 ; 4-byte Folded Spill
	s_nop 0
	buffer_store_dword v4, off, s[0:3], 0 offset:420 ; 4-byte Folded Spill
	v_add_u32_e32 v11, s9, v12
	v_ashrrev_i32_e32 v12, 31, v11
	v_lshlrev_b64 v[9:10], 3, v[11:12]
	flat_load_dwordx2 v[13:14], v[3:4]
	v_add_co_u32_e32 v3, vcc, s4, v9
	v_addc_co_u32_e32 v4, vcc, v15, v10, vcc
	v_add_u32_e32 v15, s9, v11
	v_ashrrev_i32_e32 v16, 31, v15
	v_lshlrev_b64 v[11:12], 3, v[15:16]
	v_add_u32_e32 v18, s9, v15
	v_ashrrev_i32_e32 v19, 31, v18
	s_waitcnt vmcnt(0) lgkmcnt(0)
	buffer_store_dword v14, off, s[0:3], 0 offset:28
	buffer_store_dword v13, off, s[0:3], 0 offset:24
	buffer_store_dword v3, off, s[0:3], 0 offset:424 ; 4-byte Folded Spill
	s_nop 0
	buffer_store_dword v4, off, s[0:3], 0 offset:428 ; 4-byte Folded Spill
	flat_load_dwordx2 v[13:14], v[3:4]
	v_add_co_u32_e32 v3, vcc, s4, v11
	v_addc_co_u32_e32 v4, vcc, v17, v12, vcc
	s_waitcnt vmcnt(0) lgkmcnt(0)
	buffer_store_dword v14, off, s[0:3], 0 offset:36
	buffer_store_dword v13, off, s[0:3], 0 offset:32
	buffer_store_dword v3, off, s[0:3], 0 offset:432 ; 4-byte Folded Spill
	s_nop 0
	buffer_store_dword v4, off, s[0:3], 0 offset:436 ; 4-byte Folded Spill
	v_lshlrev_b64 v[13:14], 3, v[18:19]
	flat_load_dwordx2 v[16:17], v[3:4]
	v_add_co_u32_e32 v3, vcc, s4, v13
	v_addc_co_u32_e32 v4, vcc, v20, v14, vcc
	s_waitcnt vmcnt(0) lgkmcnt(0)
	buffer_store_dword v17, off, s[0:3], 0 offset:44
	buffer_store_dword v16, off, s[0:3], 0 offset:40
	buffer_store_dword v3, off, s[0:3], 0 offset:440 ; 4-byte Folded Spill
	s_nop 0
	buffer_store_dword v4, off, s[0:3], 0 offset:444 ; 4-byte Folded Spill
	v_add_u32_e32 v17, s9, v18
	v_ashrrev_i32_e32 v18, 31, v17
	v_lshlrev_b64 v[15:16], 3, v[17:18]
	flat_load_dwordx2 v[19:20], v[3:4]
	v_add_co_u32_e32 v3, vcc, s4, v15
	v_addc_co_u32_e32 v4, vcc, v21, v16, vcc
	v_add_u32_e32 v21, s9, v17
	v_ashrrev_i32_e32 v22, 31, v21
	v_lshlrev_b64 v[17:18], 3, v[21:22]
	v_add_u32_e32 v24, s9, v21
	v_ashrrev_i32_e32 v25, 31, v24
	s_waitcnt vmcnt(0) lgkmcnt(0)
	buffer_store_dword v20, off, s[0:3], 0 offset:52
	buffer_store_dword v19, off, s[0:3], 0 offset:48
	buffer_store_dword v3, off, s[0:3], 0 offset:448 ; 4-byte Folded Spill
	s_nop 0
	buffer_store_dword v4, off, s[0:3], 0 offset:452 ; 4-byte Folded Spill
	;; [unrolled: 36-line block ×7, first 2 shown]
	flat_load_dwordx2 v[49:50], v[3:4]
	v_add_co_u32_e32 v3, vcc, s4, v47
	v_addc_co_u32_e32 v4, vcc, v53, v48, vcc
	s_waitcnt vmcnt(0) lgkmcnt(0)
	buffer_store_dword v50, off, s[0:3], 0 offset:180
	buffer_store_dword v49, off, s[0:3], 0 offset:176
	buffer_store_dword v3, off, s[0:3], 0 offset:576 ; 4-byte Folded Spill
	s_nop 0
	buffer_store_dword v4, off, s[0:3], 0 offset:580 ; 4-byte Folded Spill
	v_lshlrev_b64 v[49:50], 3, v[54:55]
	v_add_co_u32_e32 v49, vcc, s4, v49
	v_addc_co_u32_e32 v50, vcc, v56, v50, vcc
	flat_load_dwordx2 v[52:53], v[3:4]
	s_waitcnt vmcnt(0) lgkmcnt(0)
	buffer_store_dword v53, off, s[0:3], 0 offset:188
	buffer_store_dword v52, off, s[0:3], 0 offset:184
	flat_load_dwordx2 v[55:56], v[49:50]
	v_add_u32_e32 v53, s9, v54
	v_ashrrev_i32_e32 v54, 31, v53
	v_lshlrev_b64 v[51:52], 3, v[53:54]
	s_waitcnt vmcnt(0) lgkmcnt(0)
	buffer_store_dword v56, off, s[0:3], 0 offset:196
	buffer_store_dword v55, off, s[0:3], 0 offset:192
	v_add_co_u32_e32 v51, vcc, s4, v51
	v_addc_co_u32_e32 v52, vcc, v57, v52, vcc
	flat_load_dwordx2 v[55:56], v[51:52]
	v_add_u32_e32 v57, s9, v53
	v_ashrrev_i32_e32 v58, 31, v57
	v_lshlrev_b64 v[53:54], 3, v[57:58]
	v_add_u32_e32 v60, s9, v57
	v_add_co_u32_e32 v53, vcc, s4, v53
	v_addc_co_u32_e32 v54, vcc, v59, v54, vcc
	v_ashrrev_i32_e32 v61, 31, v60
	s_waitcnt vmcnt(0) lgkmcnt(0)
	buffer_store_dword v56, off, s[0:3], 0 offset:204
	buffer_store_dword v55, off, s[0:3], 0 offset:200
	flat_load_dwordx2 v[58:59], v[53:54]
	v_lshlrev_b64 v[55:56], 3, v[60:61]
	s_waitcnt vmcnt(0) lgkmcnt(0)
	buffer_store_dword v59, off, s[0:3], 0 offset:212
	buffer_store_dword v58, off, s[0:3], 0 offset:208
	v_add_co_u32_e32 v55, vcc, s4, v55
	v_addc_co_u32_e32 v56, vcc, v62, v56, vcc
	flat_load_dwordx2 v[61:62], v[55:56]
	v_add_u32_e32 v59, s9, v60
	v_ashrrev_i32_e32 v60, 31, v59
	v_lshlrev_b64 v[57:58], 3, v[59:60]
	s_waitcnt vmcnt(0) lgkmcnt(0)
	buffer_store_dword v62, off, s[0:3], 0 offset:220
	buffer_store_dword v61, off, s[0:3], 0 offset:216
	v_add_co_u32_e32 v57, vcc, s4, v57
	v_addc_co_u32_e32 v58, vcc, v63, v58, vcc
	flat_load_dwordx2 v[61:62], v[57:58]
	v_add_u32_e32 v63, s9, v59
	v_ashrrev_i32_e32 v64, 31, v63
	v_lshlrev_b64 v[59:60], 3, v[63:64]
	v_add_u32_e32 v66, s9, v63
	v_add_co_u32_e32 v59, vcc, s4, v59
	v_addc_co_u32_e32 v60, vcc, v65, v60, vcc
	v_ashrrev_i32_e32 v67, 31, v66
	s_waitcnt vmcnt(0) lgkmcnt(0)
	buffer_store_dword v62, off, s[0:3], 0 offset:228
	buffer_store_dword v61, off, s[0:3], 0 offset:224
	flat_load_dwordx2 v[64:65], v[59:60]
	v_lshlrev_b64 v[61:62], 3, v[66:67]
	s_waitcnt vmcnt(0) lgkmcnt(0)
	buffer_store_dword v65, off, s[0:3], 0 offset:236
	buffer_store_dword v64, off, s[0:3], 0 offset:232
	v_add_co_u32_e32 v61, vcc, s4, v61
	v_addc_co_u32_e32 v62, vcc, v68, v62, vcc
	;; [unrolled: 27-line block ×7, first 2 shown]
	flat_load_dwordx2 v[97:98], v[91:92]
	v_add_u32_e32 v95, s9, v96
	v_ashrrev_i32_e32 v96, 31, v95
	v_lshlrev_b64 v[93:94], 3, v[95:96]
	s_waitcnt vmcnt(0) lgkmcnt(0)
	buffer_store_dword v98, off, s[0:3], 0 offset:364
	buffer_store_dword v97, off, s[0:3], 0 offset:360
	v_add_co_u32_e32 v93, vcc, s4, v93
	v_addc_co_u32_e32 v94, vcc, v99, v94, vcc
	flat_load_dwordx2 v[97:98], v[93:94]
	v_add_u32_e32 v99, s9, v95
	v_ashrrev_i32_e32 v100, 31, v99
	v_lshlrev_b64 v[95:96], 3, v[99:100]
	v_add_u32_e32 v104, s9, v99
	v_add_co_u32_e32 v95, vcc, s4, v95
	v_addc_co_u32_e32 v96, vcc, v101, v96, vcc
	v_ashrrev_i32_e32 v105, 31, v104
	v_add_u32_e32 v99, s9, v104
	s_mov_b64 s[8:9], -1
	s_waitcnt vmcnt(0) lgkmcnt(0)
	buffer_store_dword v98, off, s[0:3], 0 offset:372
	buffer_store_dword v97, off, s[0:3], 0 offset:368
	flat_load_dwordx2 v[100:101], v[95:96]
	v_lshlrev_b64 v[97:98], 3, v[104:105]
	v_mov_b32_e32 v105, s5
	v_add_co_u32_e32 v97, vcc, s4, v97
	v_addc_co_u32_e32 v98, vcc, v102, v98, vcc
	s_waitcnt vmcnt(0) lgkmcnt(0)
	buffer_store_dword v101, off, s[0:3], 0 offset:380
	buffer_store_dword v100, off, s[0:3], 0 offset:376
	flat_load_dwordx2 v[101:102], v[97:98]
	v_ashrrev_i32_e32 v100, 31, v99
	v_lshlrev_b64 v[99:100], 3, v[99:100]
	s_waitcnt vmcnt(0) lgkmcnt(0)
	buffer_store_dword v102, off, s[0:3], 0 offset:388
	buffer_store_dword v101, off, s[0:3], 0 offset:384
	v_add_co_u32_e32 v99, vcc, s4, v99
	v_addc_co_u32_e32 v100, vcc, v105, v100, vcc
	flat_load_dwordx2 v[101:102], v[99:100]
	s_waitcnt vmcnt(0) lgkmcnt(0)
	buffer_store_dword v102, off, s[0:3], 0 offset:396
	buffer_store_dword v101, off, s[0:3], 0 offset:392
	s_cbranch_scc1 .LBB113_212
; %bb.4:
	v_cmp_eq_u32_e64 s[4:5], 0, v0
	s_and_saveexec_b64 s[8:9], s[4:5]
; %bb.5:
	v_mov_b32_e32 v101, 0
	ds_write_b32 v101, v101 offset:800
; %bb.6:
	s_or_b64 exec, exec, s[8:9]
	v_mov_b32_e32 v101, 0
	v_lshl_add_u32 v105, v0, 3, v101
	s_waitcnt lgkmcnt(0)
	; wave barrier
	buffer_load_dword v101, v105, s[0:3], 0 offen
	buffer_load_dword v102, v105, s[0:3], 0 offen offset:4
	s_waitcnt vmcnt(1)
	v_cmp_eq_f32_e32 vcc, 0, v101
	s_waitcnt vmcnt(0)
	v_cmp_eq_f32_e64 s[8:9], 0, v102
	s_and_b64 s[8:9], vcc, s[8:9]
	s_and_saveexec_b64 s[16:17], s[8:9]
	s_cbranch_execz .LBB113_10
; %bb.7:
	v_mov_b32_e32 v101, 0
	ds_read_b32 v104, v101 offset:800
	v_add_u32_e32 v102, 1, v0
	s_waitcnt lgkmcnt(0)
	v_readfirstlane_b32 s8, v104
	s_cmp_eq_u32 s8, 0
	s_cselect_b64 s[18:19], -1, 0
	v_cmp_gt_i32_e32 vcc, s8, v102
	s_or_b64 s[18:19], s[18:19], vcc
	s_and_b64 exec, exec, s[18:19]
	s_cbranch_execz .LBB113_10
; %bb.8:
	s_mov_b64 s[18:19], 0
	v_mov_b32_e32 v104, s8
.LBB113_9:                              ; =>This Inner Loop Header: Depth=1
	ds_cmpst_rtn_b32 v104, v101, v104, v102 offset:800
	s_waitcnt lgkmcnt(0)
	v_cmp_ne_u32_e32 vcc, 0, v104
	v_cmp_le_i32_e64 s[8:9], v104, v102
	s_and_b64 s[8:9], vcc, s[8:9]
	s_and_b64 s[8:9], exec, s[8:9]
	s_or_b64 s[18:19], s[8:9], s[18:19]
	s_andn2_b64 exec, exec, s[18:19]
	s_cbranch_execnz .LBB113_9
.LBB113_10:
	s_or_b64 exec, exec, s[16:17]
	v_mov_b32_e32 v102, 0
	; wave barrier
	ds_read_b32 v101, v102 offset:800
	s_and_saveexec_b64 s[8:9], s[4:5]
	s_cbranch_execz .LBB113_12
; %bb.11:
	s_lshl_b64 s[16:17], s[6:7], 2
	s_add_u32 s16, s10, s16
	s_addc_u32 s17, s11, s17
	s_waitcnt lgkmcnt(0)
	global_store_dword v102, v101, s[16:17]
.LBB113_12:
	s_or_b64 exec, exec, s[8:9]
	s_waitcnt lgkmcnt(0)
	v_cmp_ne_u32_e32 vcc, 0, v101
	s_mov_b64 s[8:9], 0
	s_cbranch_vccnz .LBB113_212
; %bb.13:
	buffer_load_dword v102, v105, s[0:3], 0 offen
	buffer_load_dword v104, v105, s[0:3], 0 offen offset:4
                                        ; implicit-def: $vgpr107
                                        ; implicit-def: $vgpr106
                                        ; implicit-def: $vgpr101
	s_waitcnt vmcnt(0)
	v_cmp_ngt_f32_e64 s[8:9], |v102|, |v104|
	s_and_saveexec_b64 s[16:17], s[8:9]
	s_xor_b64 s[8:9], exec, s[16:17]
	s_cbranch_execz .LBB113_15
; %bb.14:
	v_div_scale_f32 v101, s[16:17], v104, v104, v102
	v_div_scale_f32 v106, vcc, v102, v104, v102
	v_rcp_f32_e32 v107, v101
	v_fma_f32 v108, -v101, v107, 1.0
	v_fmac_f32_e32 v107, v108, v107
	v_mul_f32_e32 v108, v106, v107
	v_fma_f32 v109, -v101, v108, v106
	v_fmac_f32_e32 v108, v109, v107
	v_fma_f32 v101, -v101, v108, v106
	v_div_fmas_f32 v101, v101, v107, v108
	v_div_fixup_f32 v101, v101, v104, v102
	v_fmac_f32_e32 v104, v102, v101
	v_div_scale_f32 v102, s[16:17], v104, v104, 1.0
	v_div_scale_f32 v106, vcc, 1.0, v104, 1.0
	v_rcp_f32_e32 v107, v102
	v_fma_f32 v108, -v102, v107, 1.0
	v_fmac_f32_e32 v107, v108, v107
	v_mul_f32_e32 v108, v106, v107
	v_fma_f32 v109, -v102, v108, v106
	v_fmac_f32_e32 v108, v109, v107
	v_fma_f32 v102, -v102, v108, v106
	v_div_fmas_f32 v102, v102, v107, v108
	v_div_fixup_f32 v102, v102, v104, 1.0
	v_mul_f32_e32 v107, v101, v102
	v_xor_b32_e32 v106, 0x80000000, v102
	v_xor_b32_e32 v101, 0x80000000, v107
                                        ; implicit-def: $vgpr102
                                        ; implicit-def: $vgpr104
.LBB113_15:
	s_andn2_saveexec_b64 s[8:9], s[8:9]
	s_cbranch_execz .LBB113_17
; %bb.16:
	v_div_scale_f32 v101, s[16:17], v102, v102, v104
	v_div_scale_f32 v106, vcc, v104, v102, v104
	v_rcp_f32_e32 v107, v101
	v_fma_f32 v108, -v101, v107, 1.0
	v_fmac_f32_e32 v107, v108, v107
	v_mul_f32_e32 v108, v106, v107
	v_fma_f32 v109, -v101, v108, v106
	v_fmac_f32_e32 v108, v109, v107
	v_fma_f32 v101, -v101, v108, v106
	v_div_fmas_f32 v101, v101, v107, v108
	v_div_fixup_f32 v106, v101, v102, v104
	v_fmac_f32_e32 v102, v104, v106
	v_div_scale_f32 v101, s[16:17], v102, v102, 1.0
	v_div_scale_f32 v104, vcc, 1.0, v102, 1.0
	v_rcp_f32_e32 v107, v101
	v_fma_f32 v108, -v101, v107, 1.0
	v_fmac_f32_e32 v107, v108, v107
	v_mul_f32_e32 v108, v104, v107
	v_fma_f32 v109, -v101, v108, v104
	v_fmac_f32_e32 v108, v109, v107
	v_fma_f32 v101, -v101, v108, v104
	v_div_fmas_f32 v101, v101, v107, v108
	v_div_fixup_f32 v107, v101, v102, 1.0
	v_xor_b32_e32 v101, 0x80000000, v107
	v_mul_f32_e64 v106, v106, -v107
.LBB113_17:
	s_or_b64 exec, exec, s[8:9]
	buffer_store_dword v107, v105, s[0:3], 0 offen
	buffer_store_dword v106, v105, s[0:3], 0 offen offset:4
	buffer_load_dword v108, off, s[0:3], 0 offset:12
	s_nop 0
	buffer_load_dword v107, off, s[0:3], 0 offset:8
	v_xor_b32_e32 v102, 0x80000000, v106
	v_add_u32_e32 v104, 0x190, v103
	s_waitcnt vmcnt(0)
	ds_write2_b64 v103, v[101:102], v[107:108] offset1:50
	s_waitcnt lgkmcnt(0)
	; wave barrier
	s_and_saveexec_b64 s[8:9], s[4:5]
	s_cbranch_execz .LBB113_19
; %bb.18:
	buffer_load_dword v108, v105, s[0:3], 0 offen offset:4
	buffer_load_dword v109, v105, s[0:3], 0 offen
	ds_read_b64 v[101:102], v104
	v_mov_b32_e32 v106, 0
	ds_read_b64 v[106:107], v106 offset:8
	s_waitcnt vmcnt(1) lgkmcnt(1)
	v_mul_f32_e32 v110, v102, v108
	v_mul_f32_e32 v108, v101, v108
	s_waitcnt vmcnt(0)
	v_fmac_f32_e32 v108, v102, v109
	v_fma_f32 v101, v101, v109, -v110
	v_add_f32_e32 v102, 0, v108
	v_add_f32_e32 v101, 0, v101
	s_waitcnt lgkmcnt(0)
	v_mul_f32_e32 v108, v102, v107
	v_mul_f32_e32 v107, v101, v107
	v_fma_f32 v101, v101, v106, -v108
	v_fmac_f32_e32 v107, v102, v106
	buffer_store_dword v101, off, s[0:3], 0 offset:8
	buffer_store_dword v107, off, s[0:3], 0 offset:12
.LBB113_19:
	s_or_b64 exec, exec, s[8:9]
	; wave barrier
	buffer_load_dword v101, off, s[0:3], 0 offset:16
	buffer_load_dword v102, off, s[0:3], 0 offset:20
	v_cmp_gt_u32_e32 vcc, 2, v0
	s_waitcnt vmcnt(0)
	ds_write_b64 v104, v[101:102]
	s_waitcnt lgkmcnt(0)
	; wave barrier
	s_and_saveexec_b64 s[8:9], vcc
	s_cbranch_execz .LBB113_23
; %bb.20:
	buffer_load_dword v106, v105, s[0:3], 0 offen offset:4
	buffer_load_dword v107, v105, s[0:3], 0 offen
	ds_read_b64 v[101:102], v104
	s_waitcnt vmcnt(1) lgkmcnt(0)
	v_mul_f32_e32 v105, v102, v106
	v_mul_f32_e32 v106, v101, v106
	s_waitcnt vmcnt(0)
	v_fma_f32 v101, v101, v107, -v105
	v_fmac_f32_e32 v106, v102, v107
	v_add_f32_e32 v102, 0, v101
	v_add_f32_e32 v101, 0, v106
	s_and_saveexec_b64 s[16:17], s[4:5]
	s_cbranch_execz .LBB113_22
; %bb.21:
	buffer_load_dword v107, off, s[0:3], 0 offset:12
	buffer_load_dword v108, off, s[0:3], 0 offset:8
	v_mov_b32_e32 v105, 0
	ds_read_b64 v[105:106], v105 offset:408
	s_waitcnt vmcnt(1) lgkmcnt(0)
	v_mul_f32_e32 v109, v105, v107
	v_mul_f32_e32 v107, v106, v107
	s_waitcnt vmcnt(0)
	v_fmac_f32_e32 v109, v106, v108
	v_fma_f32 v105, v105, v108, -v107
	v_add_f32_e32 v101, v101, v109
	v_add_f32_e32 v102, v102, v105
.LBB113_22:
	s_or_b64 exec, exec, s[16:17]
	v_mov_b32_e32 v105, 0
	ds_read_b64 v[105:106], v105 offset:16
	s_waitcnt lgkmcnt(0)
	v_mul_f32_e32 v107, v101, v106
	v_mul_f32_e32 v106, v102, v106
	v_fma_f32 v102, v102, v105, -v107
	v_fmac_f32_e32 v106, v101, v105
	buffer_store_dword v102, off, s[0:3], 0 offset:16
	buffer_store_dword v106, off, s[0:3], 0 offset:20
.LBB113_23:
	s_or_b64 exec, exec, s[8:9]
	; wave barrier
	buffer_load_dword v101, off, s[0:3], 0 offset:24
	buffer_load_dword v102, off, s[0:3], 0 offset:28
	v_cmp_gt_u32_e32 vcc, 3, v0
	s_waitcnt vmcnt(0)
	ds_write_b64 v104, v[101:102]
	v_add_u32_e32 v101, -1, v0
	s_waitcnt lgkmcnt(0)
	; wave barrier
	s_and_saveexec_b64 s[4:5], vcc
	s_cbranch_execz .LBB113_27
; %bb.24:
	v_add_u32_e32 v105, -1, v0
	v_add_u32_e32 v106, 0x190, v103
	v_mov_b32_e32 v107, v103
	v_mov_b32_e32 v102, 0
	s_mov_b64 s[8:9], 0
	v_mov_b32_e32 v108, 0
.LBB113_25:                             ; =>This Inner Loop Header: Depth=1
	buffer_load_dword v111, v107, s[0:3], 0 offen offset:4
	buffer_load_dword v112, v107, s[0:3], 0 offen
	ds_read_b64 v[109:110], v106
	v_add_u32_e32 v105, 1, v105
	v_cmp_lt_u32_e32 vcc, 1, v105
	v_add_u32_e32 v106, 8, v106
	v_add_u32_e32 v107, 8, v107
	s_or_b64 s[8:9], vcc, s[8:9]
	s_waitcnt vmcnt(1) lgkmcnt(0)
	v_mul_f32_e32 v113, v110, v111
	v_mul_f32_e32 v111, v109, v111
	s_waitcnt vmcnt(0)
	v_fma_f32 v109, v109, v112, -v113
	v_fmac_f32_e32 v111, v110, v112
	v_add_f32_e32 v108, v108, v109
	v_add_f32_e32 v102, v102, v111
	s_andn2_b64 exec, exec, s[8:9]
	s_cbranch_execnz .LBB113_25
; %bb.26:
	s_or_b64 exec, exec, s[8:9]
	v_mov_b32_e32 v105, 0
	ds_read_b64 v[105:106], v105 offset:24
	s_waitcnt lgkmcnt(0)
	v_mul_f32_e32 v107, v102, v106
	v_mul_f32_e32 v106, v108, v106
	v_fma_f32 v107, v108, v105, -v107
	v_fmac_f32_e32 v106, v102, v105
	buffer_store_dword v107, off, s[0:3], 0 offset:24
	buffer_store_dword v106, off, s[0:3], 0 offset:28
.LBB113_27:
	s_or_b64 exec, exec, s[4:5]
	; wave barrier
	buffer_load_dword v105, off, s[0:3], 0 offset:32
	buffer_load_dword v106, off, s[0:3], 0 offset:36
	v_cmp_gt_u32_e32 vcc, 4, v0
	s_waitcnt vmcnt(0)
	ds_write_b64 v104, v[105:106]
	s_waitcnt lgkmcnt(0)
	; wave barrier
	s_and_saveexec_b64 s[4:5], vcc
	s_cbranch_execz .LBB113_31
; %bb.28:
	v_add_u32_e32 v105, -1, v0
	v_add_u32_e32 v106, 0x190, v103
	v_mov_b32_e32 v107, v103
	v_mov_b32_e32 v102, 0
	s_mov_b64 s[8:9], 0
	v_mov_b32_e32 v108, 0
.LBB113_29:                             ; =>This Inner Loop Header: Depth=1
	buffer_load_dword v111, v107, s[0:3], 0 offen offset:4
	buffer_load_dword v112, v107, s[0:3], 0 offen
	ds_read_b64 v[109:110], v106
	v_add_u32_e32 v105, 1, v105
	v_cmp_lt_u32_e32 vcc, 2, v105
	v_add_u32_e32 v106, 8, v106
	v_add_u32_e32 v107, 8, v107
	s_or_b64 s[8:9], vcc, s[8:9]
	s_waitcnt vmcnt(1) lgkmcnt(0)
	v_mul_f32_e32 v113, v110, v111
	v_mul_f32_e32 v111, v109, v111
	s_waitcnt vmcnt(0)
	v_fma_f32 v109, v109, v112, -v113
	v_fmac_f32_e32 v111, v110, v112
	v_add_f32_e32 v108, v108, v109
	v_add_f32_e32 v102, v102, v111
	s_andn2_b64 exec, exec, s[8:9]
	s_cbranch_execnz .LBB113_29
; %bb.30:
	s_or_b64 exec, exec, s[8:9]
	v_mov_b32_e32 v105, 0
	ds_read_b64 v[105:106], v105 offset:32
	s_waitcnt lgkmcnt(0)
	v_mul_f32_e32 v107, v102, v106
	v_mul_f32_e32 v106, v108, v106
	v_fma_f32 v107, v108, v105, -v107
	v_fmac_f32_e32 v106, v102, v105
	buffer_store_dword v107, off, s[0:3], 0 offset:32
	buffer_store_dword v106, off, s[0:3], 0 offset:36
.LBB113_31:
	s_or_b64 exec, exec, s[4:5]
	; wave barrier
	buffer_load_dword v105, off, s[0:3], 0 offset:40
	buffer_load_dword v106, off, s[0:3], 0 offset:44
	v_cmp_gt_u32_e32 vcc, 5, v0
	s_waitcnt vmcnt(0)
	ds_write_b64 v104, v[105:106]
	;; [unrolled: 49-line block ×19, first 2 shown]
	s_waitcnt lgkmcnt(0)
	; wave barrier
	s_and_saveexec_b64 s[4:5], vcc
	s_cbranch_execz .LBB113_103
; %bb.100:
	v_add_u32_e32 v105, -1, v0
	v_add_u32_e32 v106, 0x190, v103
	v_mov_b32_e32 v107, v103
	v_mov_b32_e32 v102, 0
	s_mov_b64 s[8:9], 0
	v_mov_b32_e32 v108, 0
.LBB113_101:                            ; =>This Inner Loop Header: Depth=1
	buffer_load_dword v111, v107, s[0:3], 0 offen offset:4
	buffer_load_dword v112, v107, s[0:3], 0 offen
	ds_read_b64 v[109:110], v106
	v_add_u32_e32 v105, 1, v105
	v_cmp_lt_u32_e32 vcc, 20, v105
	v_add_u32_e32 v106, 8, v106
	v_add_u32_e32 v107, 8, v107
	s_or_b64 s[8:9], vcc, s[8:9]
	s_waitcnt vmcnt(1) lgkmcnt(0)
	v_mul_f32_e32 v113, v110, v111
	v_mul_f32_e32 v111, v109, v111
	s_waitcnt vmcnt(0)
	v_fma_f32 v109, v109, v112, -v113
	v_fmac_f32_e32 v111, v110, v112
	v_add_f32_e32 v108, v108, v109
	v_add_f32_e32 v102, v102, v111
	s_andn2_b64 exec, exec, s[8:9]
	s_cbranch_execnz .LBB113_101
; %bb.102:
	s_or_b64 exec, exec, s[8:9]
	v_mov_b32_e32 v105, 0
	ds_read_b64 v[105:106], v105 offset:176
	s_waitcnt lgkmcnt(0)
	v_mul_f32_e32 v107, v102, v106
	v_mul_f32_e32 v106, v108, v106
	v_fma_f32 v107, v108, v105, -v107
	v_fmac_f32_e32 v106, v102, v105
	buffer_store_dword v107, off, s[0:3], 0 offset:176
	buffer_store_dword v106, off, s[0:3], 0 offset:180
.LBB113_103:
	s_or_b64 exec, exec, s[4:5]
	; wave barrier
	buffer_load_dword v105, off, s[0:3], 0 offset:184
	buffer_load_dword v106, off, s[0:3], 0 offset:188
	v_cmp_gt_u32_e32 vcc, 23, v0
	s_waitcnt vmcnt(0)
	ds_write_b64 v104, v[105:106]
	s_waitcnt lgkmcnt(0)
	; wave barrier
	s_and_saveexec_b64 s[4:5], vcc
	s_cbranch_execz .LBB113_107
; %bb.104:
	v_add_u32_e32 v105, -1, v0
	v_add_u32_e32 v106, 0x190, v103
	v_mov_b32_e32 v107, v103
	v_mov_b32_e32 v102, 0
	s_mov_b64 s[8:9], 0
	v_mov_b32_e32 v108, 0
.LBB113_105:                            ; =>This Inner Loop Header: Depth=1
	buffer_load_dword v111, v107, s[0:3], 0 offen offset:4
	buffer_load_dword v112, v107, s[0:3], 0 offen
	ds_read_b64 v[109:110], v106
	v_add_u32_e32 v105, 1, v105
	v_cmp_lt_u32_e32 vcc, 21, v105
	v_add_u32_e32 v106, 8, v106
	v_add_u32_e32 v107, 8, v107
	s_or_b64 s[8:9], vcc, s[8:9]
	s_waitcnt vmcnt(1) lgkmcnt(0)
	v_mul_f32_e32 v113, v110, v111
	v_mul_f32_e32 v111, v109, v111
	s_waitcnt vmcnt(0)
	v_fma_f32 v109, v109, v112, -v113
	v_fmac_f32_e32 v111, v110, v112
	v_add_f32_e32 v108, v108, v109
	v_add_f32_e32 v102, v102, v111
	s_andn2_b64 exec, exec, s[8:9]
	s_cbranch_execnz .LBB113_105
; %bb.106:
	s_or_b64 exec, exec, s[8:9]
	v_mov_b32_e32 v105, 0
	ds_read_b64 v[105:106], v105 offset:184
	s_waitcnt lgkmcnt(0)
	v_mul_f32_e32 v107, v102, v106
	v_mul_f32_e32 v106, v108, v106
	v_fma_f32 v107, v108, v105, -v107
	v_fmac_f32_e32 v106, v102, v105
	buffer_store_dword v107, off, s[0:3], 0 offset:184
	buffer_store_dword v106, off, s[0:3], 0 offset:188
.LBB113_107:
	s_or_b64 exec, exec, s[4:5]
	; wave barrier
	buffer_load_dword v105, off, s[0:3], 0 offset:192
	buffer_load_dword v106, off, s[0:3], 0 offset:196
	v_cmp_gt_u32_e32 vcc, 24, v0
	s_waitcnt vmcnt(0)
	ds_write_b64 v104, v[105:106]
	;; [unrolled: 49-line block ×26, first 2 shown]
	s_waitcnt lgkmcnt(0)
	; wave barrier
	s_and_saveexec_b64 s[4:5], vcc
	s_cbranch_execz .LBB113_207
; %bb.204:
	v_add_u32_e32 v105, -1, v0
	v_add_u32_e32 v106, 0x190, v103
	v_mov_b32_e32 v107, v103
	v_mov_b32_e32 v102, 0
	s_mov_b64 s[8:9], 0
	v_mov_b32_e32 v108, 0
.LBB113_205:                            ; =>This Inner Loop Header: Depth=1
	buffer_load_dword v111, v107, s[0:3], 0 offen offset:4
	buffer_load_dword v112, v107, s[0:3], 0 offen
	ds_read_b64 v[109:110], v106
	v_add_u32_e32 v105, 1, v105
	v_cmp_lt_u32_e32 vcc, 46, v105
	v_add_u32_e32 v106, 8, v106
	v_add_u32_e32 v107, 8, v107
	s_or_b64 s[8:9], vcc, s[8:9]
	s_waitcnt vmcnt(1) lgkmcnt(0)
	v_mul_f32_e32 v113, v110, v111
	v_mul_f32_e32 v111, v109, v111
	s_waitcnt vmcnt(0)
	v_fma_f32 v109, v109, v112, -v113
	v_fmac_f32_e32 v111, v110, v112
	v_add_f32_e32 v108, v108, v109
	v_add_f32_e32 v102, v102, v111
	s_andn2_b64 exec, exec, s[8:9]
	s_cbranch_execnz .LBB113_205
; %bb.206:
	s_or_b64 exec, exec, s[8:9]
	v_mov_b32_e32 v105, 0
	ds_read_b64 v[105:106], v105 offset:384
	s_waitcnt lgkmcnt(0)
	v_mul_f32_e32 v107, v102, v106
	v_mul_f32_e32 v106, v108, v106
	v_fma_f32 v107, v108, v105, -v107
	v_fmac_f32_e32 v106, v102, v105
	buffer_store_dword v107, off, s[0:3], 0 offset:384
	buffer_store_dword v106, off, s[0:3], 0 offset:388
.LBB113_207:
	s_or_b64 exec, exec, s[4:5]
	; wave barrier
	buffer_load_dword v105, off, s[0:3], 0 offset:392
	buffer_load_dword v106, off, s[0:3], 0 offset:396
	v_cmp_ne_u32_e32 vcc, 49, v0
	s_waitcnt vmcnt(0)
	ds_write_b64 v104, v[105:106]
	s_waitcnt lgkmcnt(0)
	; wave barrier
	s_and_saveexec_b64 s[4:5], vcc
	s_cbranch_execz .LBB113_211
; %bb.208:
	v_add_u32_e32 v104, 0x190, v103
	v_mov_b32_e32 v102, 0
	s_mov_b64 s[8:9], 0
	v_mov_b32_e32 v105, 0
.LBB113_209:                            ; =>This Inner Loop Header: Depth=1
	buffer_load_dword v108, v103, s[0:3], 0 offen offset:4
	buffer_load_dword v109, v103, s[0:3], 0 offen
	ds_read_b64 v[106:107], v104
	v_add_u32_e32 v101, 1, v101
	v_cmp_lt_u32_e32 vcc, 47, v101
	v_add_u32_e32 v104, 8, v104
	v_add_u32_e32 v103, 8, v103
	s_or_b64 s[8:9], vcc, s[8:9]
	s_waitcnt vmcnt(1) lgkmcnt(0)
	v_mul_f32_e32 v110, v107, v108
	v_mul_f32_e32 v108, v106, v108
	s_waitcnt vmcnt(0)
	v_fma_f32 v106, v106, v109, -v110
	v_fmac_f32_e32 v108, v107, v109
	v_add_f32_e32 v105, v105, v106
	v_add_f32_e32 v102, v102, v108
	s_andn2_b64 exec, exec, s[8:9]
	s_cbranch_execnz .LBB113_209
; %bb.210:
	s_or_b64 exec, exec, s[8:9]
	v_mov_b32_e32 v101, 0
	ds_read_b64 v[103:104], v101 offset:392
	s_waitcnt lgkmcnt(0)
	v_mul_f32_e32 v101, v102, v104
	v_mul_f32_e32 v104, v105, v104
	v_fma_f32 v101, v105, v103, -v101
	v_fmac_f32_e32 v104, v102, v103
	buffer_store_dword v101, off, s[0:3], 0 offset:392
	buffer_store_dword v104, off, s[0:3], 0 offset:396
.LBB113_211:
	s_or_b64 exec, exec, s[4:5]
	s_mov_b64 s[8:9], -1
	; wave barrier
.LBB113_212:
	s_and_b64 vcc, exec, s[8:9]
	s_cbranch_vccz .LBB113_214
; %bb.213:
	s_lshl_b64 s[4:5], s[6:7], 2
	s_add_u32 s4, s10, s4
	s_addc_u32 s5, s11, s5
	v_mov_b32_e32 v101, 0
	global_load_dword v101, v101, s[4:5]
	s_waitcnt vmcnt(0)
	v_cmp_ne_u32_e32 vcc, 0, v101
	s_cbranch_vccz .LBB113_215
.LBB113_214:
	s_endpgm
.LBB113_215:
	v_mov_b32_e32 v101, 0x190
	v_lshl_add_u32 v101, v0, 3, v101
	v_cmp_eq_u32_e32 vcc, 49, v0
	s_and_saveexec_b64 s[4:5], vcc
	s_cbranch_execz .LBB113_217
; %bb.216:
	buffer_load_dword v102, off, s[0:3], 0 offset:384
	buffer_load_dword v103, off, s[0:3], 0 offset:388
	v_mov_b32_e32 v104, 0
	buffer_store_dword v104, off, s[0:3], 0 offset:384
	buffer_store_dword v104, off, s[0:3], 0 offset:388
	s_waitcnt vmcnt(2)
	ds_write_b64 v101, v[102:103]
.LBB113_217:
	s_or_b64 exec, exec, s[4:5]
	s_waitcnt lgkmcnt(0)
	; wave barrier
	buffer_load_dword v105, off, s[0:3], 0 offset:396
	buffer_load_dword v106, off, s[0:3], 0 offset:392
	;; [unrolled: 1-line block ×4, first 2 shown]
	v_mov_b32_e32 v102, 0
	ds_read_b64 v[103:104], v102 offset:792
	v_cmp_lt_u32_e32 vcc, 47, v0
	s_waitcnt vmcnt(3) lgkmcnt(0)
	v_mul_f32_e32 v109, v103, v105
	v_mul_f32_e32 v105, v104, v105
	s_waitcnt vmcnt(2)
	v_fma_f32 v103, v103, v106, -v105
	v_fmac_f32_e32 v109, v104, v106
	v_add_f32_e32 v103, 0, v103
	v_add_f32_e32 v104, 0, v109
	s_waitcnt vmcnt(1)
	v_sub_f32_e32 v103, v107, v103
	s_waitcnt vmcnt(0)
	v_sub_f32_e32 v104, v108, v104
	buffer_store_dword v103, off, s[0:3], 0 offset:384
	buffer_store_dword v104, off, s[0:3], 0 offset:388
	s_and_saveexec_b64 s[4:5], vcc
	s_cbranch_execz .LBB113_219
; %bb.218:
	buffer_load_dword v103, off, s[0:3], 0 offset:376
	buffer_load_dword v104, off, s[0:3], 0 offset:380
	s_waitcnt vmcnt(0)
	ds_write_b64 v101, v[103:104]
	buffer_store_dword v102, off, s[0:3], 0 offset:376
	buffer_store_dword v102, off, s[0:3], 0 offset:380
.LBB113_219:
	s_or_b64 exec, exec, s[4:5]
	s_waitcnt lgkmcnt(0)
	; wave barrier
	buffer_load_dword v106, off, s[0:3], 0 offset:388
	buffer_load_dword v107, off, s[0:3], 0 offset:396
	;; [unrolled: 1-line block ×6, first 2 shown]
	ds_read_b128 v[102:105], v102 offset:784
	v_cmp_lt_u32_e32 vcc, 46, v0
	s_waitcnt vmcnt(5) lgkmcnt(0)
	v_mul_f32_e32 v112, v102, v106
	v_mul_f32_e32 v106, v103, v106
	s_waitcnt vmcnt(4)
	v_mul_f32_e32 v113, v104, v107
	v_mul_f32_e32 v107, v105, v107
	s_waitcnt vmcnt(3)
	v_fma_f32 v102, v102, v108, -v106
	v_fmac_f32_e32 v112, v103, v108
	s_waitcnt vmcnt(2)
	v_fma_f32 v103, v104, v109, -v107
	v_add_f32_e32 v102, 0, v102
	v_fmac_f32_e32 v113, v105, v109
	v_add_f32_e32 v104, 0, v112
	v_add_f32_e32 v102, v102, v103
	;; [unrolled: 1-line block ×3, first 2 shown]
	s_waitcnt vmcnt(1)
	v_sub_f32_e32 v102, v110, v102
	s_waitcnt vmcnt(0)
	v_sub_f32_e32 v103, v111, v104
	buffer_store_dword v102, off, s[0:3], 0 offset:376
	buffer_store_dword v103, off, s[0:3], 0 offset:380
	s_and_saveexec_b64 s[4:5], vcc
	s_cbranch_execz .LBB113_221
; %bb.220:
	buffer_load_dword v102, off, s[0:3], 0 offset:368
	buffer_load_dword v103, off, s[0:3], 0 offset:372
	v_mov_b32_e32 v104, 0
	buffer_store_dword v104, off, s[0:3], 0 offset:368
	buffer_store_dword v104, off, s[0:3], 0 offset:372
	s_waitcnt vmcnt(2)
	ds_write_b64 v101, v[102:103]
.LBB113_221:
	s_or_b64 exec, exec, s[4:5]
	s_waitcnt lgkmcnt(0)
	; wave barrier
	buffer_load_dword v109, off, s[0:3], 0 offset:380
	buffer_load_dword v110, off, s[0:3], 0 offset:388
	;; [unrolled: 1-line block ×8, first 2 shown]
	v_mov_b32_e32 v102, 0
	ds_read2_b64 v[103:106], v102 offset0:97 offset1:98
	ds_read_b64 v[107:108], v102 offset:792
	v_cmp_lt_u32_e32 vcc, 45, v0
	s_waitcnt vmcnt(7) lgkmcnt(1)
	v_mul_f32_e32 v117, v103, v109
	v_mul_f32_e32 v109, v104, v109
	s_waitcnt vmcnt(6)
	v_mul_f32_e32 v118, v105, v110
	v_mul_f32_e32 v110, v106, v110
	s_waitcnt vmcnt(4)
	v_fma_f32 v103, v103, v112, -v109
	s_waitcnt lgkmcnt(0)
	v_mul_f32_e32 v119, v107, v111
	v_mul_f32_e32 v111, v108, v111
	v_fmac_f32_e32 v117, v104, v112
	s_waitcnt vmcnt(3)
	v_fma_f32 v104, v105, v113, -v110
	v_add_f32_e32 v103, 0, v103
	v_fmac_f32_e32 v118, v106, v113
	s_waitcnt vmcnt(2)
	v_fma_f32 v105, v107, v114, -v111
	v_add_f32_e32 v106, 0, v117
	v_add_f32_e32 v103, v103, v104
	v_fmac_f32_e32 v119, v108, v114
	v_add_f32_e32 v106, v106, v118
	v_add_f32_e32 v103, v103, v105
	;; [unrolled: 1-line block ×3, first 2 shown]
	s_waitcnt vmcnt(1)
	v_sub_f32_e32 v103, v115, v103
	s_waitcnt vmcnt(0)
	v_sub_f32_e32 v104, v116, v104
	buffer_store_dword v103, off, s[0:3], 0 offset:368
	buffer_store_dword v104, off, s[0:3], 0 offset:372
	s_and_saveexec_b64 s[4:5], vcc
	s_cbranch_execz .LBB113_223
; %bb.222:
	buffer_load_dword v103, off, s[0:3], 0 offset:360
	buffer_load_dword v104, off, s[0:3], 0 offset:364
	s_waitcnt vmcnt(0)
	ds_write_b64 v101, v[103:104]
	buffer_store_dword v102, off, s[0:3], 0 offset:360
	buffer_store_dword v102, off, s[0:3], 0 offset:364
.LBB113_223:
	s_or_b64 exec, exec, s[4:5]
	s_waitcnt lgkmcnt(0)
	; wave barrier
	buffer_load_dword v111, off, s[0:3], 0 offset:372
	buffer_load_dword v112, off, s[0:3], 0 offset:380
	;; [unrolled: 1-line block ×10, first 2 shown]
	ds_read_b128 v[103:106], v102 offset:768
	ds_read_b128 v[107:110], v102 offset:784
	v_cmp_lt_u32_e32 vcc, 44, v0
	s_waitcnt vmcnt(9) lgkmcnt(1)
	v_mul_f32_e32 v102, v103, v111
	v_mul_f32_e32 v111, v104, v111
	s_waitcnt vmcnt(8)
	v_mul_f32_e32 v121, v105, v112
	v_mul_f32_e32 v112, v106, v112
	s_waitcnt vmcnt(5)
	v_fma_f32 v103, v103, v115, -v111
	s_waitcnt lgkmcnt(0)
	v_mul_f32_e32 v122, v107, v113
	v_mul_f32_e32 v113, v108, v113
	v_fmac_f32_e32 v102, v104, v115
	s_waitcnt vmcnt(4)
	v_fma_f32 v104, v105, v116, -v112
	v_add_f32_e32 v103, 0, v103
	v_mul_f32_e32 v123, v109, v114
	v_mul_f32_e32 v114, v110, v114
	v_fmac_f32_e32 v121, v106, v116
	s_waitcnt vmcnt(3)
	v_fma_f32 v105, v107, v117, -v113
	v_add_f32_e32 v102, 0, v102
	v_add_f32_e32 v103, v103, v104
	v_fmac_f32_e32 v122, v108, v117
	s_waitcnt vmcnt(2)
	v_fma_f32 v106, v109, v118, -v114
	v_add_f32_e32 v102, v102, v121
	v_add_f32_e32 v103, v103, v105
	v_fmac_f32_e32 v123, v110, v118
	v_add_f32_e32 v102, v102, v122
	v_add_f32_e32 v103, v103, v106
	;; [unrolled: 1-line block ×3, first 2 shown]
	s_waitcnt vmcnt(1)
	v_sub_f32_e32 v103, v119, v103
	s_waitcnt vmcnt(0)
	v_sub_f32_e32 v102, v120, v102
	buffer_store_dword v103, off, s[0:3], 0 offset:360
	buffer_store_dword v102, off, s[0:3], 0 offset:364
	s_and_saveexec_b64 s[4:5], vcc
	s_cbranch_execz .LBB113_225
; %bb.224:
	buffer_load_dword v102, off, s[0:3], 0 offset:352
	buffer_load_dword v103, off, s[0:3], 0 offset:356
	v_mov_b32_e32 v104, 0
	buffer_store_dword v104, off, s[0:3], 0 offset:352
	buffer_store_dword v104, off, s[0:3], 0 offset:356
	s_waitcnt vmcnt(2)
	ds_write_b64 v101, v[102:103]
.LBB113_225:
	s_or_b64 exec, exec, s[4:5]
	v_mov_b32_e32 v102, 0
	s_waitcnt lgkmcnt(0)
	; wave barrier
	ds_read2_b64 v[103:106], v102 offset0:95 offset1:96
	buffer_load_dword v113, off, s[0:3], 0 offset:352
	buffer_load_dword v114, off, s[0:3], 0 offset:356
	;; [unrolled: 1-line block ×12, first 2 shown]
	v_cmp_lt_u32_e32 vcc, 43, v0
	s_waitcnt vmcnt(8) lgkmcnt(0)
	v_mul_f32_e32 v107, v103, v116
	v_fmac_f32_e32 v107, v104, v115
	s_waitcnt vmcnt(6)
	v_mul_f32_e32 v108, v105, v118
	v_add_f32_e32 v107, 0, v107
	v_fmac_f32_e32 v108, v106, v117
	v_add_f32_e32 v111, v107, v108
	ds_read2_b64 v[107:110], v102 offset0:97 offset1:98
	v_mul_f32_e32 v104, v104, v116
	v_fma_f32 v103, v103, v115, -v104
	v_mul_f32_e32 v104, v106, v118
	v_add_f32_e32 v103, 0, v103
	s_waitcnt vmcnt(4) lgkmcnt(0)
	v_mul_f32_e32 v112, v107, v120
	v_fmac_f32_e32 v112, v108, v119
	v_add_f32_e32 v111, v111, v112
	s_waitcnt vmcnt(2)
	v_mul_f32_e32 v112, v109, v122
	v_fmac_f32_e32 v112, v110, v121
	v_add_f32_e32 v125, v111, v112
	ds_read_b64 v[111:112], v102 offset:792
	v_fma_f32 v104, v105, v117, -v104
	v_add_f32_e32 v103, v103, v104
	v_mul_f32_e32 v104, v108, v120
	v_fma_f32 v104, v107, v119, -v104
	v_add_f32_e32 v103, v103, v104
	v_mul_f32_e32 v104, v110, v122
	v_fma_f32 v104, v109, v121, -v104
	v_add_f32_e32 v103, v103, v104
	s_waitcnt vmcnt(0) lgkmcnt(0)
	v_mul_f32_e32 v104, v112, v124
	v_mul_f32_e32 v126, v111, v124
	v_fma_f32 v104, v111, v123, -v104
	v_fmac_f32_e32 v126, v112, v123
	v_add_f32_e32 v103, v103, v104
	v_add_f32_e32 v125, v125, v126
	v_sub_f32_e32 v103, v113, v103
	v_sub_f32_e32 v104, v114, v125
	buffer_store_dword v103, off, s[0:3], 0 offset:352
	buffer_store_dword v104, off, s[0:3], 0 offset:356
	s_and_saveexec_b64 s[4:5], vcc
	s_cbranch_execz .LBB113_227
; %bb.226:
	buffer_load_dword v103, off, s[0:3], 0 offset:344
	buffer_load_dword v104, off, s[0:3], 0 offset:348
	s_waitcnt vmcnt(0)
	ds_write_b64 v101, v[103:104]
	buffer_store_dword v102, off, s[0:3], 0 offset:344
	buffer_store_dword v102, off, s[0:3], 0 offset:348
.LBB113_227:
	s_or_b64 exec, exec, s[4:5]
	s_waitcnt lgkmcnt(0)
	; wave barrier
	buffer_load_dword v115, off, s[0:3], 0 offset:356
	buffer_load_dword v116, off, s[0:3], 0 offset:364
	;; [unrolled: 1-line block ×14, first 2 shown]
	ds_read_b128 v[103:106], v102 offset:752
	ds_read_b128 v[107:110], v102 offset:768
	;; [unrolled: 1-line block ×3, first 2 shown]
	v_cmp_lt_u32_e32 vcc, 42, v0
	s_waitcnt vmcnt(13) lgkmcnt(2)
	v_mul_f32_e32 v102, v103, v115
	v_mul_f32_e32 v115, v104, v115
	s_waitcnt vmcnt(12)
	v_mul_f32_e32 v129, v105, v116
	v_mul_f32_e32 v116, v106, v116
	s_waitcnt vmcnt(11) lgkmcnt(1)
	v_mul_f32_e32 v130, v107, v117
	v_mul_f32_e32 v117, v108, v117
	s_waitcnt vmcnt(7)
	v_fma_f32 v103, v103, v121, -v115
	v_fmac_f32_e32 v102, v104, v121
	s_waitcnt vmcnt(6)
	v_fma_f32 v104, v105, v122, -v116
	v_add_f32_e32 v103, 0, v103
	v_mul_f32_e32 v131, v109, v118
	v_mul_f32_e32 v118, v110, v118
	v_fmac_f32_e32 v129, v106, v122
	s_waitcnt vmcnt(5)
	v_fma_f32 v105, v107, v123, -v117
	v_add_f32_e32 v102, 0, v102
	v_add_f32_e32 v103, v103, v104
	s_waitcnt lgkmcnt(0)
	v_mul_f32_e32 v132, v111, v119
	v_mul_f32_e32 v119, v112, v119
	v_fmac_f32_e32 v130, v108, v123
	s_waitcnt vmcnt(4)
	v_fma_f32 v106, v109, v124, -v118
	v_add_f32_e32 v102, v102, v129
	v_add_f32_e32 v103, v103, v105
	v_mul_f32_e32 v133, v113, v120
	v_mul_f32_e32 v120, v114, v120
	v_fmac_f32_e32 v131, v110, v124
	s_waitcnt vmcnt(3)
	v_fma_f32 v107, v111, v125, -v119
	v_add_f32_e32 v102, v102, v130
	v_add_f32_e32 v103, v103, v106
	v_fmac_f32_e32 v132, v112, v125
	s_waitcnt vmcnt(2)
	v_fma_f32 v108, v113, v126, -v120
	v_add_f32_e32 v102, v102, v131
	v_add_f32_e32 v103, v103, v107
	v_fmac_f32_e32 v133, v114, v126
	v_add_f32_e32 v102, v102, v132
	v_add_f32_e32 v103, v103, v108
	v_add_f32_e32 v102, v102, v133
	s_waitcnt vmcnt(1)
	v_sub_f32_e32 v103, v127, v103
	s_waitcnt vmcnt(0)
	v_sub_f32_e32 v102, v128, v102
	buffer_store_dword v103, off, s[0:3], 0 offset:344
	buffer_store_dword v102, off, s[0:3], 0 offset:348
	s_and_saveexec_b64 s[4:5], vcc
	s_cbranch_execz .LBB113_229
; %bb.228:
	buffer_load_dword v102, off, s[0:3], 0 offset:336
	buffer_load_dword v103, off, s[0:3], 0 offset:340
	v_mov_b32_e32 v104, 0
	buffer_store_dword v104, off, s[0:3], 0 offset:336
	buffer_store_dword v104, off, s[0:3], 0 offset:340
	s_waitcnt vmcnt(2)
	ds_write_b64 v101, v[102:103]
.LBB113_229:
	s_or_b64 exec, exec, s[4:5]
	s_waitcnt lgkmcnt(0)
	; wave barrier
	buffer_load_dword v117, off, s[0:3], 0 offset:348
	buffer_load_dword v118, off, s[0:3], 0 offset:356
	;; [unrolled: 1-line block ×16, first 2 shown]
	v_mov_b32_e32 v102, 0
	ds_read2_b64 v[103:106], v102 offset0:93 offset1:94
	ds_read2_b64 v[107:110], v102 offset0:95 offset1:96
	;; [unrolled: 1-line block ×3, first 2 shown]
	ds_read_b64 v[115:116], v102 offset:792
	v_cmp_lt_u32_e32 vcc, 41, v0
	s_waitcnt vmcnt(15) lgkmcnt(3)
	v_mul_f32_e32 v133, v103, v117
	v_mul_f32_e32 v117, v104, v117
	s_waitcnt vmcnt(14)
	v_mul_f32_e32 v134, v105, v118
	v_mul_f32_e32 v118, v106, v118
	s_waitcnt vmcnt(13) lgkmcnt(2)
	v_mul_f32_e32 v135, v107, v119
	s_waitcnt vmcnt(12)
	v_mul_f32_e32 v136, v109, v120
	v_mul_f32_e32 v119, v108, v119
	s_waitcnt vmcnt(8)
	v_fma_f32 v103, v103, v124, -v117
	v_fmac_f32_e32 v133, v104, v124
	s_waitcnt vmcnt(7)
	v_fma_f32 v104, v105, v125, -v118
	v_add_f32_e32 v103, 0, v103
	v_mul_f32_e32 v120, v110, v120
	v_fmac_f32_e32 v134, v106, v125
	s_waitcnt vmcnt(5)
	v_fmac_f32_e32 v136, v110, v127
	v_fma_f32 v105, v107, v126, -v119
	v_add_f32_e32 v110, 0, v133
	v_add_f32_e32 v103, v103, v104
	s_waitcnt lgkmcnt(1)
	v_mul_f32_e32 v137, v111, v121
	v_mul_f32_e32 v121, v112, v121
	v_fmac_f32_e32 v135, v108, v126
	v_fma_f32 v106, v109, v127, -v120
	v_add_f32_e32 v110, v110, v134
	v_add_f32_e32 v103, v103, v105
	v_mul_f32_e32 v138, v113, v122
	v_mul_f32_e32 v122, v114, v122
	s_waitcnt vmcnt(4)
	v_fma_f32 v107, v111, v128, -v121
	v_add_f32_e32 v104, v110, v135
	v_add_f32_e32 v103, v103, v106
	s_waitcnt lgkmcnt(0)
	v_mul_f32_e32 v139, v115, v123
	v_mul_f32_e32 v123, v116, v123
	v_fmac_f32_e32 v137, v112, v128
	s_waitcnt vmcnt(3)
	v_fma_f32 v108, v113, v129, -v122
	v_add_f32_e32 v104, v104, v136
	v_add_f32_e32 v103, v103, v107
	v_fmac_f32_e32 v138, v114, v129
	s_waitcnt vmcnt(2)
	v_fma_f32 v109, v115, v130, -v123
	v_add_f32_e32 v104, v104, v137
	v_add_f32_e32 v103, v103, v108
	v_fmac_f32_e32 v139, v116, v130
	v_add_f32_e32 v104, v104, v138
	v_add_f32_e32 v103, v103, v109
	;; [unrolled: 1-line block ×3, first 2 shown]
	s_waitcnt vmcnt(1)
	v_sub_f32_e32 v103, v131, v103
	s_waitcnt vmcnt(0)
	v_sub_f32_e32 v104, v132, v104
	buffer_store_dword v103, off, s[0:3], 0 offset:336
	buffer_store_dword v104, off, s[0:3], 0 offset:340
	s_and_saveexec_b64 s[4:5], vcc
	s_cbranch_execz .LBB113_231
; %bb.230:
	buffer_load_dword v103, off, s[0:3], 0 offset:328
	buffer_load_dword v104, off, s[0:3], 0 offset:332
	s_waitcnt vmcnt(0)
	ds_write_b64 v101, v[103:104]
	buffer_store_dword v102, off, s[0:3], 0 offset:328
	buffer_store_dword v102, off, s[0:3], 0 offset:332
.LBB113_231:
	s_or_b64 exec, exec, s[4:5]
	s_waitcnt lgkmcnt(0)
	; wave barrier
	buffer_load_dword v119, off, s[0:3], 0 offset:340
	buffer_load_dword v120, off, s[0:3], 0 offset:348
	;; [unrolled: 1-line block ×18, first 2 shown]
	ds_read_b128 v[103:106], v102 offset:736
	ds_read_b128 v[107:110], v102 offset:752
	;; [unrolled: 1-line block ×4, first 2 shown]
	v_cmp_lt_u32_e32 vcc, 40, v0
	s_waitcnt vmcnt(17) lgkmcnt(3)
	v_mul_f32_e32 v102, v103, v119
	v_mul_f32_e32 v119, v104, v119
	s_waitcnt vmcnt(16)
	v_mul_f32_e32 v137, v105, v120
	v_mul_f32_e32 v120, v106, v120
	s_waitcnt vmcnt(15) lgkmcnt(2)
	v_mul_f32_e32 v138, v107, v121
	v_mul_f32_e32 v121, v108, v121
	s_waitcnt vmcnt(14)
	v_mul_f32_e32 v139, v109, v122
	v_mul_f32_e32 v122, v110, v122
	s_waitcnt vmcnt(9)
	v_fma_f32 v103, v103, v127, -v119
	v_fmac_f32_e32 v102, v104, v127
	s_waitcnt vmcnt(8)
	v_fma_f32 v104, v105, v128, -v120
	v_add_f32_e32 v103, 0, v103
	v_fmac_f32_e32 v137, v106, v128
	s_waitcnt vmcnt(7)
	v_fma_f32 v105, v107, v129, -v121
	v_add_f32_e32 v102, 0, v102
	v_add_f32_e32 v103, v103, v104
	s_waitcnt lgkmcnt(1)
	v_mul_f32_e32 v140, v111, v123
	v_mul_f32_e32 v123, v112, v123
	v_fmac_f32_e32 v138, v108, v129
	s_waitcnt vmcnt(6)
	v_fma_f32 v106, v109, v130, -v122
	v_add_f32_e32 v102, v102, v137
	v_add_f32_e32 v103, v103, v105
	v_mul_f32_e32 v141, v113, v124
	v_mul_f32_e32 v124, v114, v124
	v_fmac_f32_e32 v139, v110, v130
	s_waitcnt vmcnt(5)
	v_fma_f32 v107, v111, v131, -v123
	v_add_f32_e32 v102, v102, v138
	v_add_f32_e32 v103, v103, v106
	s_waitcnt lgkmcnt(0)
	v_mul_f32_e32 v142, v115, v125
	v_mul_f32_e32 v125, v116, v125
	v_fmac_f32_e32 v140, v112, v131
	s_waitcnt vmcnt(4)
	v_fma_f32 v108, v113, v132, -v124
	v_add_f32_e32 v102, v102, v139
	v_add_f32_e32 v103, v103, v107
	v_mul_f32_e32 v143, v117, v126
	v_mul_f32_e32 v126, v118, v126
	v_fmac_f32_e32 v141, v114, v132
	s_waitcnt vmcnt(3)
	v_fma_f32 v109, v115, v133, -v125
	v_add_f32_e32 v102, v102, v140
	v_add_f32_e32 v103, v103, v108
	v_fmac_f32_e32 v142, v116, v133
	s_waitcnt vmcnt(2)
	v_fma_f32 v110, v117, v134, -v126
	v_add_f32_e32 v102, v102, v141
	v_add_f32_e32 v103, v103, v109
	v_fmac_f32_e32 v143, v118, v134
	v_add_f32_e32 v102, v102, v142
	v_add_f32_e32 v103, v103, v110
	;; [unrolled: 1-line block ×3, first 2 shown]
	s_waitcnt vmcnt(1)
	v_sub_f32_e32 v103, v135, v103
	s_waitcnt vmcnt(0)
	v_sub_f32_e32 v102, v136, v102
	buffer_store_dword v103, off, s[0:3], 0 offset:328
	buffer_store_dword v102, off, s[0:3], 0 offset:332
	s_and_saveexec_b64 s[4:5], vcc
	s_cbranch_execz .LBB113_233
; %bb.232:
	buffer_load_dword v102, off, s[0:3], 0 offset:320
	buffer_load_dword v103, off, s[0:3], 0 offset:324
	v_mov_b32_e32 v104, 0
	buffer_store_dword v104, off, s[0:3], 0 offset:320
	buffer_store_dword v104, off, s[0:3], 0 offset:324
	s_waitcnt vmcnt(2)
	ds_write_b64 v101, v[102:103]
.LBB113_233:
	s_or_b64 exec, exec, s[4:5]
	s_waitcnt lgkmcnt(0)
	; wave barrier
	buffer_load_dword v121, off, s[0:3], 0 offset:332
	buffer_load_dword v122, off, s[0:3], 0 offset:340
	;; [unrolled: 1-line block ×20, first 2 shown]
	v_mov_b32_e32 v102, 0
	ds_read2_b64 v[103:106], v102 offset0:91 offset1:92
	ds_read2_b64 v[107:110], v102 offset0:93 offset1:94
	ds_read2_b64 v[111:114], v102 offset0:95 offset1:96
	ds_read2_b64 v[115:118], v102 offset0:97 offset1:98
	ds_read_b64 v[119:120], v102 offset:792
	v_cmp_lt_u32_e32 vcc, 39, v0
	s_waitcnt vmcnt(19) lgkmcnt(4)
	v_mul_f32_e32 v141, v103, v121
	v_mul_f32_e32 v121, v104, v121
	s_waitcnt vmcnt(18)
	v_mul_f32_e32 v142, v105, v122
	v_mul_f32_e32 v122, v106, v122
	s_waitcnt vmcnt(17) lgkmcnt(3)
	v_mul_f32_e32 v143, v107, v123
	s_waitcnt vmcnt(15) lgkmcnt(2)
	v_mul_f32_e32 v145, v111, v125
	v_mul_f32_e32 v123, v108, v123
	v_mul_f32_e32 v144, v109, v124
	v_mul_f32_e32 v124, v110, v124
	s_waitcnt vmcnt(10)
	v_fma_f32 v103, v103, v130, -v121
	v_fmac_f32_e32 v141, v104, v130
	s_waitcnt vmcnt(9)
	v_fma_f32 v104, v105, v131, -v122
	v_add_f32_e32 v103, 0, v103
	v_mul_f32_e32 v125, v112, v125
	v_fmac_f32_e32 v142, v106, v131
	s_waitcnt vmcnt(6)
	v_fmac_f32_e32 v145, v112, v134
	v_fma_f32 v105, v107, v132, -v123
	v_add_f32_e32 v112, 0, v141
	v_add_f32_e32 v103, v103, v104
	v_fmac_f32_e32 v143, v108, v132
	v_fma_f32 v106, v109, v133, -v124
	v_add_f32_e32 v112, v112, v142
	v_add_f32_e32 v103, v103, v105
	v_mul_f32_e32 v146, v113, v126
	v_mul_f32_e32 v126, v114, v126
	v_fmac_f32_e32 v144, v110, v133
	v_fma_f32 v107, v111, v134, -v125
	v_add_f32_e32 v104, v112, v143
	v_add_f32_e32 v103, v103, v106
	s_waitcnt lgkmcnt(1)
	v_mul_f32_e32 v147, v115, v127
	v_mul_f32_e32 v127, v116, v127
	s_waitcnt vmcnt(5)
	v_fma_f32 v108, v113, v135, -v126
	v_add_f32_e32 v104, v104, v144
	v_add_f32_e32 v103, v103, v107
	v_mul_f32_e32 v148, v117, v128
	v_mul_f32_e32 v128, v118, v128
	v_fmac_f32_e32 v146, v114, v135
	s_waitcnt vmcnt(4)
	v_fma_f32 v109, v115, v136, -v127
	v_add_f32_e32 v104, v104, v145
	v_add_f32_e32 v103, v103, v108
	s_waitcnt lgkmcnt(0)
	v_mul_f32_e32 v149, v119, v129
	v_mul_f32_e32 v129, v120, v129
	v_fmac_f32_e32 v147, v116, v136
	s_waitcnt vmcnt(3)
	v_fma_f32 v110, v117, v137, -v128
	v_add_f32_e32 v104, v104, v146
	v_add_f32_e32 v103, v103, v109
	v_fmac_f32_e32 v148, v118, v137
	s_waitcnt vmcnt(2)
	v_fma_f32 v111, v119, v138, -v129
	v_add_f32_e32 v104, v104, v147
	v_add_f32_e32 v103, v103, v110
	v_fmac_f32_e32 v149, v120, v138
	v_add_f32_e32 v104, v104, v148
	v_add_f32_e32 v103, v103, v111
	;; [unrolled: 1-line block ×3, first 2 shown]
	s_waitcnt vmcnt(1)
	v_sub_f32_e32 v103, v139, v103
	s_waitcnt vmcnt(0)
	v_sub_f32_e32 v104, v140, v104
	buffer_store_dword v103, off, s[0:3], 0 offset:320
	buffer_store_dword v104, off, s[0:3], 0 offset:324
	s_and_saveexec_b64 s[4:5], vcc
	s_cbranch_execz .LBB113_235
; %bb.234:
	buffer_load_dword v103, off, s[0:3], 0 offset:312
	buffer_load_dword v104, off, s[0:3], 0 offset:316
	s_waitcnt vmcnt(0)
	ds_write_b64 v101, v[103:104]
	buffer_store_dword v102, off, s[0:3], 0 offset:312
	buffer_store_dword v102, off, s[0:3], 0 offset:316
.LBB113_235:
	s_or_b64 exec, exec, s[4:5]
	s_waitcnt lgkmcnt(0)
	; wave barrier
	buffer_load_dword v123, off, s[0:3], 0 offset:324
	buffer_load_dword v124, off, s[0:3], 0 offset:332
	;; [unrolled: 1-line block ×22, first 2 shown]
	ds_read_b128 v[103:106], v102 offset:720
	ds_read_b128 v[107:110], v102 offset:736
	;; [unrolled: 1-line block ×5, first 2 shown]
	v_cmp_lt_u32_e32 vcc, 38, v0
	s_waitcnt vmcnt(21) lgkmcnt(4)
	v_mul_f32_e32 v102, v103, v123
	v_mul_f32_e32 v123, v104, v123
	s_waitcnt vmcnt(20)
	v_mul_f32_e32 v145, v105, v124
	v_mul_f32_e32 v124, v106, v124
	s_waitcnt vmcnt(19) lgkmcnt(3)
	v_mul_f32_e32 v146, v107, v125
	v_mul_f32_e32 v125, v108, v125
	s_waitcnt vmcnt(18)
	v_mul_f32_e32 v147, v109, v126
	v_mul_f32_e32 v126, v110, v126
	s_waitcnt vmcnt(17) lgkmcnt(2)
	v_mul_f32_e32 v148, v111, v127
	v_mul_f32_e32 v127, v112, v127
	s_waitcnt vmcnt(11)
	v_fma_f32 v103, v103, v133, -v123
	v_fmac_f32_e32 v102, v104, v133
	s_waitcnt vmcnt(10)
	v_fma_f32 v104, v105, v134, -v124
	v_add_f32_e32 v103, 0, v103
	v_fmac_f32_e32 v145, v106, v134
	s_waitcnt vmcnt(9)
	v_fma_f32 v105, v107, v135, -v125
	v_add_f32_e32 v102, 0, v102
	v_add_f32_e32 v103, v103, v104
	v_fmac_f32_e32 v146, v108, v135
	s_waitcnt vmcnt(8)
	v_fma_f32 v106, v109, v136, -v126
	v_add_f32_e32 v102, v102, v145
	v_add_f32_e32 v103, v103, v105
	v_mul_f32_e32 v149, v113, v128
	v_mul_f32_e32 v128, v114, v128
	v_fmac_f32_e32 v147, v110, v136
	s_waitcnt vmcnt(7)
	v_fma_f32 v107, v111, v137, -v127
	v_add_f32_e32 v102, v102, v146
	v_add_f32_e32 v103, v103, v106
	s_waitcnt lgkmcnt(1)
	v_mul_f32_e32 v150, v115, v129
	v_mul_f32_e32 v129, v116, v129
	v_fmac_f32_e32 v148, v112, v137
	s_waitcnt vmcnt(6)
	v_fma_f32 v108, v113, v138, -v128
	v_add_f32_e32 v102, v102, v147
	v_add_f32_e32 v103, v103, v107
	v_mul_f32_e32 v151, v117, v130
	v_mul_f32_e32 v130, v118, v130
	v_fmac_f32_e32 v149, v114, v138
	s_waitcnt vmcnt(5)
	v_fma_f32 v109, v115, v139, -v129
	v_add_f32_e32 v102, v102, v148
	v_add_f32_e32 v103, v103, v108
	s_waitcnt lgkmcnt(0)
	v_mul_f32_e32 v152, v119, v131
	v_mul_f32_e32 v131, v120, v131
	v_fmac_f32_e32 v150, v116, v139
	s_waitcnt vmcnt(4)
	v_fma_f32 v110, v117, v140, -v130
	v_add_f32_e32 v102, v102, v149
	v_add_f32_e32 v103, v103, v109
	v_mul_f32_e32 v153, v121, v132
	v_mul_f32_e32 v132, v122, v132
	v_fmac_f32_e32 v151, v118, v140
	s_waitcnt vmcnt(3)
	v_fma_f32 v111, v119, v141, -v131
	v_add_f32_e32 v102, v102, v150
	v_add_f32_e32 v103, v103, v110
	v_fmac_f32_e32 v152, v120, v141
	s_waitcnt vmcnt(2)
	v_fma_f32 v112, v121, v142, -v132
	v_add_f32_e32 v102, v102, v151
	v_add_f32_e32 v103, v103, v111
	v_fmac_f32_e32 v153, v122, v142
	v_add_f32_e32 v102, v102, v152
	v_add_f32_e32 v103, v103, v112
	;; [unrolled: 1-line block ×3, first 2 shown]
	s_waitcnt vmcnt(1)
	v_sub_f32_e32 v103, v143, v103
	s_waitcnt vmcnt(0)
	v_sub_f32_e32 v102, v144, v102
	buffer_store_dword v103, off, s[0:3], 0 offset:312
	buffer_store_dword v102, off, s[0:3], 0 offset:316
	s_and_saveexec_b64 s[4:5], vcc
	s_cbranch_execz .LBB113_237
; %bb.236:
	buffer_load_dword v102, off, s[0:3], 0 offset:304
	buffer_load_dword v103, off, s[0:3], 0 offset:308
	v_mov_b32_e32 v104, 0
	buffer_store_dword v104, off, s[0:3], 0 offset:304
	buffer_store_dword v104, off, s[0:3], 0 offset:308
	s_waitcnt vmcnt(2)
	ds_write_b64 v101, v[102:103]
.LBB113_237:
	s_or_b64 exec, exec, s[4:5]
	s_waitcnt lgkmcnt(0)
	; wave barrier
	buffer_load_dword v125, off, s[0:3], 0 offset:316
	buffer_load_dword v126, off, s[0:3], 0 offset:324
	;; [unrolled: 1-line block ×24, first 2 shown]
	v_mov_b32_e32 v102, 0
	ds_read2_b64 v[103:106], v102 offset0:89 offset1:90
	ds_read2_b64 v[107:110], v102 offset0:91 offset1:92
	;; [unrolled: 1-line block ×5, first 2 shown]
	ds_read_b64 v[123:124], v102 offset:792
	v_cmp_lt_u32_e32 vcc, 37, v0
	s_waitcnt vmcnt(23) lgkmcnt(5)
	v_mul_f32_e32 v149, v103, v125
	v_mul_f32_e32 v125, v104, v125
	s_waitcnt vmcnt(22)
	v_mul_f32_e32 v150, v105, v126
	v_mul_f32_e32 v126, v106, v126
	s_waitcnt vmcnt(21) lgkmcnt(4)
	v_mul_f32_e32 v151, v107, v127
	v_mul_f32_e32 v127, v108, v127
	s_waitcnt vmcnt(20)
	v_mul_f32_e32 v152, v109, v128
	s_waitcnt vmcnt(19) lgkmcnt(3)
	v_mul_f32_e32 v153, v111, v129
	v_mul_f32_e32 v128, v110, v128
	v_mul_f32_e32 v129, v112, v129
	s_waitcnt vmcnt(18)
	v_mul_f32_e32 v154, v113, v130
	s_waitcnt vmcnt(12)
	v_fma_f32 v103, v103, v136, -v125
	v_fmac_f32_e32 v149, v104, v136
	s_waitcnt vmcnt(11)
	v_fma_f32 v104, v105, v137, -v126
	v_add_f32_e32 v103, 0, v103
	s_waitcnt vmcnt(10)
	v_fma_f32 v105, v107, v138, -v127
	v_add_f32_e32 v103, v103, v104
	v_fmac_f32_e32 v150, v106, v137
	s_waitcnt vmcnt(8)
	v_fmac_f32_e32 v153, v112, v140
	v_fma_f32 v106, v109, v139, -v128
	v_add_f32_e32 v112, 0, v149
	v_add_f32_e32 v103, v103, v105
	v_mul_f32_e32 v130, v114, v130
	v_fmac_f32_e32 v151, v108, v138
	v_fma_f32 v107, v111, v140, -v129
	v_add_f32_e32 v112, v112, v150
	v_add_f32_e32 v103, v103, v106
	s_waitcnt lgkmcnt(2)
	v_mul_f32_e32 v155, v115, v131
	v_mul_f32_e32 v131, v116, v131
	v_fmac_f32_e32 v152, v110, v139
	s_waitcnt vmcnt(7)
	v_fma_f32 v108, v113, v141, -v130
	v_add_f32_e32 v104, v112, v151
	v_add_f32_e32 v103, v103, v107
	v_mul_f32_e32 v156, v117, v132
	v_mul_f32_e32 v132, v118, v132
	s_waitcnt vmcnt(6)
	v_fma_f32 v109, v115, v142, -v131
	v_add_f32_e32 v104, v104, v152
	v_add_f32_e32 v103, v103, v108
	s_waitcnt lgkmcnt(1)
	v_mul_f32_e32 v157, v119, v133
	v_mul_f32_e32 v133, v120, v133
	v_fmac_f32_e32 v154, v114, v141
	s_waitcnt vmcnt(5)
	v_fma_f32 v110, v117, v143, -v132
	v_add_f32_e32 v104, v104, v153
	v_add_f32_e32 v103, v103, v109
	v_fmac_f32_e32 v155, v116, v142
	s_waitcnt vmcnt(4)
	v_fma_f32 v111, v119, v144, -v133
	v_add_f32_e32 v104, v104, v154
	v_add_f32_e32 v103, v103, v110
	v_mul_f32_e32 v105, v122, v134
	v_fmac_f32_e32 v156, v118, v143
	v_add_f32_e32 v104, v104, v155
	v_add_f32_e32 v103, v103, v111
	s_waitcnt vmcnt(3)
	v_fma_f32 v105, v121, v145, -v105
	v_mul_f32_e32 v158, v121, v134
	v_fmac_f32_e32 v157, v120, v144
	v_add_f32_e32 v104, v104, v156
	v_add_f32_e32 v103, v103, v105
	s_waitcnt lgkmcnt(0)
	v_mul_f32_e32 v105, v124, v135
	v_mul_f32_e32 v159, v123, v135
	v_fmac_f32_e32 v158, v122, v145
	v_add_f32_e32 v104, v104, v157
	s_waitcnt vmcnt(2)
	v_fma_f32 v105, v123, v146, -v105
	v_fmac_f32_e32 v159, v124, v146
	v_add_f32_e32 v104, v104, v158
	v_add_f32_e32 v103, v103, v105
	;; [unrolled: 1-line block ×3, first 2 shown]
	s_waitcnt vmcnt(1)
	v_sub_f32_e32 v103, v147, v103
	s_waitcnt vmcnt(0)
	v_sub_f32_e32 v104, v148, v104
	buffer_store_dword v103, off, s[0:3], 0 offset:304
	buffer_store_dword v104, off, s[0:3], 0 offset:308
	s_and_saveexec_b64 s[4:5], vcc
	s_cbranch_execz .LBB113_239
; %bb.238:
	buffer_load_dword v103, off, s[0:3], 0 offset:296
	buffer_load_dword v104, off, s[0:3], 0 offset:300
	s_waitcnt vmcnt(0)
	ds_write_b64 v101, v[103:104]
	buffer_store_dword v102, off, s[0:3], 0 offset:296
	buffer_store_dword v102, off, s[0:3], 0 offset:300
.LBB113_239:
	s_or_b64 exec, exec, s[4:5]
	s_waitcnt lgkmcnt(0)
	; wave barrier
	buffer_load_dword v127, off, s[0:3], 0 offset:308
	buffer_load_dword v128, off, s[0:3], 0 offset:316
	;; [unrolled: 1-line block ×26, first 2 shown]
	ds_read_b128 v[103:106], v102 offset:704
	ds_read_b128 v[107:110], v102 offset:720
	;; [unrolled: 1-line block ×6, first 2 shown]
	v_cmp_lt_u32_e32 vcc, 36, v0
	s_waitcnt vmcnt(25) lgkmcnt(5)
	v_mul_f32_e32 v102, v103, v127
	v_mul_f32_e32 v127, v104, v127
	s_waitcnt vmcnt(24)
	v_mul_f32_e32 v153, v105, v128
	v_mul_f32_e32 v128, v106, v128
	s_waitcnt vmcnt(23) lgkmcnt(4)
	v_mul_f32_e32 v154, v107, v129
	v_mul_f32_e32 v129, v108, v129
	s_waitcnt vmcnt(22)
	v_mul_f32_e32 v155, v109, v130
	v_mul_f32_e32 v130, v110, v130
	;; [unrolled: 6-line block ×3, first 2 shown]
	s_waitcnt vmcnt(13)
	v_fma_f32 v103, v103, v139, -v127
	v_fmac_f32_e32 v102, v104, v139
	s_waitcnt vmcnt(12)
	v_fma_f32 v104, v105, v140, -v128
	v_add_f32_e32 v103, 0, v103
	s_waitcnt vmcnt(11)
	v_fma_f32 v105, v107, v141, -v129
	v_add_f32_e32 v103, v103, v104
	v_fmac_f32_e32 v153, v106, v140
	s_waitcnt vmcnt(10)
	v_fma_f32 v106, v109, v142, -v130
	v_add_f32_e32 v103, v103, v105
	s_waitcnt vmcnt(9)
	v_fma_f32 v107, v111, v143, -v131
	v_add_f32_e32 v103, v103, v106
	s_waitcnt lgkmcnt(2)
	v_mul_f32_e32 v158, v115, v133
	v_mul_f32_e32 v133, v116, v133
	v_fmac_f32_e32 v154, v108, v141
	s_waitcnt vmcnt(8)
	v_fma_f32 v108, v113, v144, -v132
	v_add_f32_e32 v102, 0, v102
	v_add_f32_e32 v103, v103, v107
	v_mul_f32_e32 v159, v117, v134
	v_mul_f32_e32 v134, v118, v134
	s_waitcnt vmcnt(7)
	v_fma_f32 v109, v115, v145, -v133
	v_add_f32_e32 v102, v102, v153
	v_add_f32_e32 v103, v103, v108
	v_fmac_f32_e32 v155, v110, v142
	s_waitcnt vmcnt(6)
	v_fma_f32 v110, v117, v146, -v134
	v_add_f32_e32 v102, v102, v154
	v_add_f32_e32 v103, v103, v109
	s_waitcnt lgkmcnt(1)
	v_mul_f32_e32 v104, v120, v135
	v_fmac_f32_e32 v156, v112, v143
	v_add_f32_e32 v102, v102, v155
	v_add_f32_e32 v103, v103, v110
	s_waitcnt vmcnt(5)
	v_fma_f32 v104, v119, v147, -v104
	v_fmac_f32_e32 v157, v114, v144
	v_add_f32_e32 v102, v102, v156
	v_add_f32_e32 v103, v103, v104
	v_mul_f32_e32 v104, v122, v136
	v_fmac_f32_e32 v158, v116, v145
	v_add_f32_e32 v102, v102, v157
	s_waitcnt vmcnt(4)
	v_fma_f32 v104, v121, v148, -v104
	v_mul_f32_e32 v160, v119, v135
	v_fmac_f32_e32 v159, v118, v146
	v_add_f32_e32 v102, v102, v158
	v_add_f32_e32 v103, v103, v104
	s_waitcnt lgkmcnt(0)
	v_mul_f32_e32 v104, v124, v137
	v_mul_f32_e32 v161, v121, v136
	v_fmac_f32_e32 v160, v120, v147
	v_add_f32_e32 v102, v102, v159
	s_waitcnt vmcnt(3)
	v_fma_f32 v104, v123, v149, -v104
	v_mul_f32_e32 v162, v123, v137
	v_fmac_f32_e32 v161, v122, v148
	v_add_f32_e32 v102, v102, v160
	v_add_f32_e32 v103, v103, v104
	v_mul_f32_e32 v104, v126, v138
	v_mul_f32_e32 v163, v125, v138
	v_fmac_f32_e32 v162, v124, v149
	v_add_f32_e32 v102, v102, v161
	s_waitcnt vmcnt(2)
	v_fma_f32 v104, v125, v150, -v104
	v_fmac_f32_e32 v163, v126, v150
	v_add_f32_e32 v102, v102, v162
	v_add_f32_e32 v103, v103, v104
	;; [unrolled: 1-line block ×3, first 2 shown]
	s_waitcnt vmcnt(1)
	v_sub_f32_e32 v103, v151, v103
	s_waitcnt vmcnt(0)
	v_sub_f32_e32 v102, v152, v102
	buffer_store_dword v103, off, s[0:3], 0 offset:296
	buffer_store_dword v102, off, s[0:3], 0 offset:300
	s_and_saveexec_b64 s[4:5], vcc
	s_cbranch_execz .LBB113_241
; %bb.240:
	buffer_load_dword v102, off, s[0:3], 0 offset:288
	buffer_load_dword v103, off, s[0:3], 0 offset:292
	v_mov_b32_e32 v104, 0
	buffer_store_dword v104, off, s[0:3], 0 offset:288
	buffer_store_dword v104, off, s[0:3], 0 offset:292
	s_waitcnt vmcnt(2)
	ds_write_b64 v101, v[102:103]
.LBB113_241:
	s_or_b64 exec, exec, s[4:5]
	s_waitcnt lgkmcnt(0)
	; wave barrier
	buffer_load_dword v129, off, s[0:3], 0 offset:300
	buffer_load_dword v130, off, s[0:3], 0 offset:308
	;; [unrolled: 1-line block ×28, first 2 shown]
	v_mov_b32_e32 v102, 0
	ds_read2_b64 v[103:106], v102 offset0:87 offset1:88
	ds_read2_b64 v[107:110], v102 offset0:89 offset1:90
	ds_read2_b64 v[111:114], v102 offset0:91 offset1:92
	ds_read2_b64 v[115:118], v102 offset0:93 offset1:94
	ds_read2_b64 v[119:122], v102 offset0:95 offset1:96
	ds_read2_b64 v[123:126], v102 offset0:97 offset1:98
	ds_read_b64 v[127:128], v102 offset:792
	v_cmp_lt_u32_e32 vcc, 35, v0
	s_waitcnt vmcnt(27) lgkmcnt(6)
	v_mul_f32_e32 v157, v103, v129
	v_mul_f32_e32 v129, v104, v129
	s_waitcnt vmcnt(26)
	v_mul_f32_e32 v158, v105, v130
	v_mul_f32_e32 v130, v106, v130
	s_waitcnt vmcnt(25) lgkmcnt(5)
	v_mul_f32_e32 v159, v107, v131
	v_mul_f32_e32 v131, v108, v131
	s_waitcnt vmcnt(24)
	v_mul_f32_e32 v160, v109, v132
	v_mul_f32_e32 v132, v110, v132
	s_waitcnt vmcnt(23) lgkmcnt(4)
	v_mul_f32_e32 v161, v111, v133
	v_mul_f32_e32 v133, v112, v133
	s_waitcnt vmcnt(22)
	v_mul_f32_e32 v162, v113, v134
	v_mul_f32_e32 v134, v114, v134
	s_waitcnt vmcnt(21) lgkmcnt(3)
	v_mul_f32_e32 v163, v115, v135
	s_waitcnt vmcnt(14)
	v_fma_f32 v103, v103, v142, -v129
	v_fmac_f32_e32 v157, v104, v142
	s_waitcnt vmcnt(13)
	v_fma_f32 v104, v105, v143, -v130
	v_add_f32_e32 v103, 0, v103
	s_waitcnt vmcnt(12)
	v_fma_f32 v105, v107, v144, -v131
	v_add_f32_e32 v103, v103, v104
	v_fmac_f32_e32 v158, v106, v143
	s_waitcnt vmcnt(11)
	v_fma_f32 v106, v109, v145, -v132
	v_add_f32_e32 v103, v103, v105
	s_waitcnt vmcnt(10)
	v_fma_f32 v107, v111, v146, -v133
	v_add_f32_e32 v103, v103, v106
	v_fmac_f32_e32 v159, v108, v144
	s_waitcnt vmcnt(9)
	v_fma_f32 v108, v113, v147, -v134
	v_add_f32_e32 v103, v103, v107
	v_mul_f32_e32 v105, v116, v135
	v_add_f32_e32 v103, v103, v108
	s_waitcnt vmcnt(8)
	v_fma_f32 v105, v115, v148, -v105
	v_add_f32_e32 v103, v103, v105
	v_mul_f32_e32 v105, v118, v136
	v_add_f32_e32 v109, 0, v157
	s_waitcnt vmcnt(7)
	v_fma_f32 v105, v117, v149, -v105
	v_add_f32_e32 v109, v109, v158
	v_add_f32_e32 v103, v103, v105
	s_waitcnt lgkmcnt(2)
	v_mul_f32_e32 v105, v120, v137
	v_fmac_f32_e32 v160, v110, v145
	v_add_f32_e32 v104, v109, v159
	s_waitcnt vmcnt(6)
	v_fma_f32 v105, v119, v150, -v105
	v_fmac_f32_e32 v161, v112, v146
	v_add_f32_e32 v104, v104, v160
	v_add_f32_e32 v103, v103, v105
	v_mul_f32_e32 v105, v122, v138
	v_fmac_f32_e32 v162, v114, v147
	v_add_f32_e32 v104, v104, v161
	s_waitcnt vmcnt(5)
	v_fma_f32 v105, v121, v151, -v105
	v_mul_f32_e32 v164, v117, v136
	v_fmac_f32_e32 v163, v116, v148
	v_add_f32_e32 v104, v104, v162
	v_add_f32_e32 v103, v103, v105
	s_waitcnt lgkmcnt(1)
	v_mul_f32_e32 v105, v124, v139
	v_mul_f32_e32 v165, v119, v137
	v_fmac_f32_e32 v164, v118, v149
	v_add_f32_e32 v104, v104, v163
	s_waitcnt vmcnt(4)
	v_fma_f32 v105, v123, v152, -v105
	v_mul_f32_e32 v166, v121, v138
	v_fmac_f32_e32 v165, v120, v150
	v_add_f32_e32 v104, v104, v164
	v_add_f32_e32 v103, v103, v105
	v_mul_f32_e32 v105, v126, v140
	v_mul_f32_e32 v167, v123, v139
	v_fmac_f32_e32 v166, v122, v151
	v_add_f32_e32 v104, v104, v165
	s_waitcnt vmcnt(3)
	v_fma_f32 v105, v125, v153, -v105
	v_mul_f32_e32 v168, v125, v140
	v_fmac_f32_e32 v167, v124, v152
	v_add_f32_e32 v104, v104, v166
	v_add_f32_e32 v103, v103, v105
	s_waitcnt lgkmcnt(0)
	v_mul_f32_e32 v105, v128, v141
	v_mul_f32_e32 v169, v127, v141
	v_fmac_f32_e32 v168, v126, v153
	v_add_f32_e32 v104, v104, v167
	s_waitcnt vmcnt(2)
	v_fma_f32 v105, v127, v154, -v105
	v_fmac_f32_e32 v169, v128, v154
	v_add_f32_e32 v104, v104, v168
	v_add_f32_e32 v103, v103, v105
	;; [unrolled: 1-line block ×3, first 2 shown]
	s_waitcnt vmcnt(1)
	v_sub_f32_e32 v103, v155, v103
	s_waitcnt vmcnt(0)
	v_sub_f32_e32 v104, v156, v104
	buffer_store_dword v103, off, s[0:3], 0 offset:288
	buffer_store_dword v104, off, s[0:3], 0 offset:292
	s_and_saveexec_b64 s[4:5], vcc
	s_cbranch_execz .LBB113_243
; %bb.242:
	buffer_load_dword v103, off, s[0:3], 0 offset:280
	buffer_load_dword v104, off, s[0:3], 0 offset:284
	s_waitcnt vmcnt(0)
	ds_write_b64 v101, v[103:104]
	buffer_store_dword v102, off, s[0:3], 0 offset:280
	buffer_store_dword v102, off, s[0:3], 0 offset:284
.LBB113_243:
	s_or_b64 exec, exec, s[4:5]
	s_waitcnt lgkmcnt(0)
	; wave barrier
	buffer_load_dword v131, off, s[0:3], 0 offset:292
	buffer_load_dword v132, off, s[0:3], 0 offset:300
	;; [unrolled: 1-line block ×30, first 2 shown]
	ds_read_b128 v[103:106], v102 offset:688
	ds_read_b128 v[107:110], v102 offset:704
	;; [unrolled: 1-line block ×7, first 2 shown]
	v_cmp_lt_u32_e32 vcc, 34, v0
	s_waitcnt vmcnt(29) lgkmcnt(6)
	v_mul_f32_e32 v102, v103, v131
	v_mul_f32_e32 v131, v104, v131
	s_waitcnt vmcnt(28)
	v_mul_f32_e32 v161, v105, v132
	v_mul_f32_e32 v132, v106, v132
	s_waitcnt vmcnt(27) lgkmcnt(5)
	v_mul_f32_e32 v162, v107, v133
	v_mul_f32_e32 v133, v108, v133
	s_waitcnt vmcnt(26)
	v_mul_f32_e32 v163, v109, v134
	v_mul_f32_e32 v134, v110, v134
	s_waitcnt vmcnt(25) lgkmcnt(4)
	v_mul_f32_e32 v164, v111, v135
	v_mul_f32_e32 v135, v112, v135
	s_waitcnt vmcnt(24)
	v_mul_f32_e32 v165, v113, v136
	s_waitcnt vmcnt(23) lgkmcnt(3)
	v_mul_f32_e32 v166, v115, v137
	s_waitcnt vmcnt(22)
	v_mul_f32_e32 v167, v117, v138
	s_waitcnt vmcnt(21) lgkmcnt(2)
	v_mul_f32_e32 v168, v119, v139
	s_waitcnt vmcnt(15)
	v_fma_f32 v103, v103, v145, -v131
	v_fmac_f32_e32 v102, v104, v145
	s_waitcnt vmcnt(14)
	v_fma_f32 v104, v105, v146, -v132
	v_add_f32_e32 v103, 0, v103
	s_waitcnt vmcnt(13)
	v_fma_f32 v105, v107, v147, -v133
	v_add_f32_e32 v103, v103, v104
	v_fmac_f32_e32 v161, v106, v146
	s_waitcnt vmcnt(12)
	v_fma_f32 v106, v109, v148, -v134
	v_add_f32_e32 v103, v103, v105
	s_waitcnt vmcnt(11)
	v_fma_f32 v107, v111, v149, -v135
	v_add_f32_e32 v103, v103, v106
	v_mul_f32_e32 v104, v114, v136
	v_add_f32_e32 v103, v103, v107
	s_waitcnt vmcnt(10)
	v_fma_f32 v104, v113, v150, -v104
	v_add_f32_e32 v103, v103, v104
	v_mul_f32_e32 v104, v116, v137
	s_waitcnt vmcnt(9)
	v_fma_f32 v104, v115, v151, -v104
	v_add_f32_e32 v103, v103, v104
	v_mul_f32_e32 v104, v118, v138
	s_waitcnt vmcnt(8)
	v_fma_f32 v104, v117, v152, -v104
	v_add_f32_e32 v102, 0, v102
	v_add_f32_e32 v103, v103, v104
	v_mul_f32_e32 v104, v120, v139
	v_fmac_f32_e32 v162, v108, v147
	v_add_f32_e32 v102, v102, v161
	s_waitcnt vmcnt(7)
	v_fma_f32 v104, v119, v153, -v104
	v_fmac_f32_e32 v163, v110, v148
	v_add_f32_e32 v102, v102, v162
	v_add_f32_e32 v103, v103, v104
	v_mul_f32_e32 v104, v122, v140
	v_fmac_f32_e32 v164, v112, v149
	v_add_f32_e32 v102, v102, v163
	s_waitcnt vmcnt(6)
	v_fma_f32 v104, v121, v154, -v104
	v_fmac_f32_e32 v165, v114, v150
	v_add_f32_e32 v102, v102, v164
	v_add_f32_e32 v103, v103, v104
	s_waitcnt lgkmcnt(1)
	v_mul_f32_e32 v104, v124, v141
	v_fmac_f32_e32 v166, v116, v151
	v_add_f32_e32 v102, v102, v165
	s_waitcnt vmcnt(5)
	v_fma_f32 v104, v123, v155, -v104
	v_fmac_f32_e32 v167, v118, v152
	v_add_f32_e32 v102, v102, v166
	v_add_f32_e32 v103, v103, v104
	v_mul_f32_e32 v104, v126, v142
	v_mul_f32_e32 v169, v121, v140
	v_fmac_f32_e32 v168, v120, v153
	v_add_f32_e32 v102, v102, v167
	s_waitcnt vmcnt(4)
	v_fma_f32 v104, v125, v156, -v104
	v_mul_f32_e32 v170, v123, v141
	v_fmac_f32_e32 v169, v122, v154
	v_add_f32_e32 v102, v102, v168
	v_add_f32_e32 v103, v103, v104
	s_waitcnt lgkmcnt(0)
	v_mul_f32_e32 v104, v128, v143
	v_mul_f32_e32 v171, v125, v142
	v_fmac_f32_e32 v170, v124, v155
	v_add_f32_e32 v102, v102, v169
	s_waitcnt vmcnt(3)
	v_fma_f32 v104, v127, v157, -v104
	v_mul_f32_e32 v172, v127, v143
	v_fmac_f32_e32 v171, v126, v156
	v_add_f32_e32 v102, v102, v170
	v_add_f32_e32 v103, v103, v104
	v_mul_f32_e32 v104, v130, v144
	v_mul_f32_e32 v173, v129, v144
	v_fmac_f32_e32 v172, v128, v157
	v_add_f32_e32 v102, v102, v171
	s_waitcnt vmcnt(2)
	v_fma_f32 v104, v129, v158, -v104
	v_fmac_f32_e32 v173, v130, v158
	v_add_f32_e32 v102, v102, v172
	v_add_f32_e32 v103, v103, v104
	;; [unrolled: 1-line block ×3, first 2 shown]
	s_waitcnt vmcnt(1)
	v_sub_f32_e32 v103, v159, v103
	s_waitcnt vmcnt(0)
	v_sub_f32_e32 v102, v160, v102
	buffer_store_dword v103, off, s[0:3], 0 offset:280
	buffer_store_dword v102, off, s[0:3], 0 offset:284
	s_and_saveexec_b64 s[4:5], vcc
	s_cbranch_execz .LBB113_245
; %bb.244:
	buffer_load_dword v102, off, s[0:3], 0 offset:272
	buffer_load_dword v103, off, s[0:3], 0 offset:276
	v_mov_b32_e32 v104, 0
	buffer_store_dword v104, off, s[0:3], 0 offset:272
	buffer_store_dword v104, off, s[0:3], 0 offset:276
	s_waitcnt vmcnt(2)
	ds_write_b64 v101, v[102:103]
.LBB113_245:
	s_or_b64 exec, exec, s[4:5]
	s_waitcnt lgkmcnt(0)
	; wave barrier
	buffer_load_dword v133, off, s[0:3], 0 offset:284
	buffer_load_dword v134, off, s[0:3], 0 offset:292
	;; [unrolled: 1-line block ×32, first 2 shown]
	v_mov_b32_e32 v102, 0
	ds_read2_b64 v[103:106], v102 offset0:85 offset1:86
	ds_read2_b64 v[107:110], v102 offset0:87 offset1:88
	ds_read2_b64 v[111:114], v102 offset0:89 offset1:90
	ds_read2_b64 v[115:118], v102 offset0:91 offset1:92
	ds_read2_b64 v[119:122], v102 offset0:93 offset1:94
	ds_read2_b64 v[123:126], v102 offset0:95 offset1:96
	ds_read2_b64 v[127:130], v102 offset0:97 offset1:98
	ds_read_b64 v[131:132], v102 offset:792
	v_cmp_lt_u32_e32 vcc, 33, v0
	s_waitcnt vmcnt(31) lgkmcnt(7)
	v_mul_f32_e32 v165, v103, v133
	v_mul_f32_e32 v133, v104, v133
	s_waitcnt vmcnt(30)
	v_mul_f32_e32 v166, v105, v134
	v_mul_f32_e32 v134, v106, v134
	s_waitcnt vmcnt(29) lgkmcnt(6)
	v_mul_f32_e32 v167, v107, v135
	v_mul_f32_e32 v135, v108, v135
	s_waitcnt vmcnt(28)
	v_mul_f32_e32 v168, v109, v136
	s_waitcnt vmcnt(27) lgkmcnt(5)
	v_mul_f32_e32 v169, v111, v137
	s_waitcnt vmcnt(26)
	v_mul_f32_e32 v170, v113, v138
	s_waitcnt vmcnt(25) lgkmcnt(4)
	;; [unrolled: 4-line block ×4, first 2 shown]
	v_mul_f32_e32 v175, v123, v143
	s_waitcnt vmcnt(20)
	v_mul_f32_e32 v176, v125, v144
	s_waitcnt vmcnt(16)
	v_fma_f32 v103, v103, v148, -v133
	v_fmac_f32_e32 v165, v104, v148
	s_waitcnt vmcnt(15)
	v_fma_f32 v104, v105, v149, -v134
	v_add_f32_e32 v103, 0, v103
	s_waitcnt vmcnt(14)
	v_fma_f32 v105, v107, v150, -v135
	v_add_f32_e32 v103, v103, v104
	v_add_f32_e32 v103, v103, v105
	v_mul_f32_e32 v105, v110, v136
	s_waitcnt vmcnt(13)
	v_fma_f32 v105, v109, v151, -v105
	v_add_f32_e32 v103, v103, v105
	v_mul_f32_e32 v105, v112, v137
	s_waitcnt vmcnt(12)
	v_fma_f32 v105, v111, v152, -v105
	;; [unrolled: 4-line block ×5, first 2 shown]
	v_add_f32_e32 v103, v103, v105
	v_mul_f32_e32 v105, v120, v141
	v_fmac_f32_e32 v166, v106, v149
	v_add_f32_e32 v106, 0, v165
	s_waitcnt vmcnt(8)
	v_fma_f32 v105, v119, v156, -v105
	v_fmac_f32_e32 v167, v108, v150
	v_add_f32_e32 v106, v106, v166
	v_add_f32_e32 v103, v103, v105
	v_mul_f32_e32 v105, v122, v142
	v_fmac_f32_e32 v168, v110, v151
	v_add_f32_e32 v104, v106, v167
	s_waitcnt vmcnt(7)
	v_fma_f32 v105, v121, v157, -v105
	v_fmac_f32_e32 v169, v112, v152
	v_add_f32_e32 v104, v104, v168
	;; [unrolled: 8-line block ×4, first 2 shown]
	v_add_f32_e32 v103, v103, v105
	s_waitcnt lgkmcnt(1)
	v_mul_f32_e32 v105, v128, v145
	v_fmac_f32_e32 v174, v122, v157
	v_add_f32_e32 v104, v104, v173
	s_waitcnt vmcnt(4)
	v_fma_f32 v105, v127, v160, -v105
	v_fmac_f32_e32 v175, v124, v158
	v_add_f32_e32 v104, v104, v174
	v_add_f32_e32 v103, v103, v105
	v_mul_f32_e32 v105, v130, v146
	v_mul_f32_e32 v177, v127, v145
	v_fmac_f32_e32 v176, v126, v159
	v_add_f32_e32 v104, v104, v175
	s_waitcnt vmcnt(3)
	v_fma_f32 v105, v129, v161, -v105
	v_mul_f32_e32 v178, v129, v146
	v_fmac_f32_e32 v177, v128, v160
	v_add_f32_e32 v104, v104, v176
	v_add_f32_e32 v103, v103, v105
	s_waitcnt lgkmcnt(0)
	v_mul_f32_e32 v105, v132, v147
	v_mul_f32_e32 v179, v131, v147
	v_fmac_f32_e32 v178, v130, v161
	v_add_f32_e32 v104, v104, v177
	s_waitcnt vmcnt(2)
	v_fma_f32 v105, v131, v162, -v105
	v_fmac_f32_e32 v179, v132, v162
	v_add_f32_e32 v104, v104, v178
	v_add_f32_e32 v103, v103, v105
	;; [unrolled: 1-line block ×3, first 2 shown]
	s_waitcnt vmcnt(1)
	v_sub_f32_e32 v103, v163, v103
	s_waitcnt vmcnt(0)
	v_sub_f32_e32 v104, v164, v104
	buffer_store_dword v103, off, s[0:3], 0 offset:272
	buffer_store_dword v104, off, s[0:3], 0 offset:276
	s_and_saveexec_b64 s[4:5], vcc
	s_cbranch_execz .LBB113_247
; %bb.246:
	buffer_load_dword v103, off, s[0:3], 0 offset:264
	buffer_load_dword v104, off, s[0:3], 0 offset:268
	s_waitcnt vmcnt(0)
	ds_write_b64 v101, v[103:104]
	buffer_store_dword v102, off, s[0:3], 0 offset:264
	buffer_store_dword v102, off, s[0:3], 0 offset:268
.LBB113_247:
	s_or_b64 exec, exec, s[4:5]
	s_waitcnt lgkmcnt(0)
	; wave barrier
	buffer_load_dword v135, off, s[0:3], 0 offset:276
	buffer_load_dword v136, off, s[0:3], 0 offset:284
	buffer_load_dword v137, off, s[0:3], 0 offset:292
	buffer_load_dword v138, off, s[0:3], 0 offset:300
	buffer_load_dword v139, off, s[0:3], 0 offset:308
	buffer_load_dword v140, off, s[0:3], 0 offset:316
	buffer_load_dword v141, off, s[0:3], 0 offset:324
	buffer_load_dword v142, off, s[0:3], 0 offset:332
	buffer_load_dword v143, off, s[0:3], 0 offset:340
	buffer_load_dword v144, off, s[0:3], 0 offset:348
	buffer_load_dword v145, off, s[0:3], 0 offset:356
	buffer_load_dword v146, off, s[0:3], 0 offset:364
	buffer_load_dword v147, off, s[0:3], 0 offset:372
	buffer_load_dword v148, off, s[0:3], 0 offset:380
	buffer_load_dword v149, off, s[0:3], 0 offset:388
	buffer_load_dword v150, off, s[0:3], 0 offset:396
	buffer_load_dword v151, off, s[0:3], 0 offset:272
	buffer_load_dword v152, off, s[0:3], 0 offset:280
	buffer_load_dword v153, off, s[0:3], 0 offset:288
	buffer_load_dword v154, off, s[0:3], 0 offset:296
	buffer_load_dword v155, off, s[0:3], 0 offset:304
	buffer_load_dword v156, off, s[0:3], 0 offset:312
	buffer_load_dword v157, off, s[0:3], 0 offset:320
	buffer_load_dword v158, off, s[0:3], 0 offset:328
	buffer_load_dword v159, off, s[0:3], 0 offset:336
	buffer_load_dword v160, off, s[0:3], 0 offset:344
	buffer_load_dword v161, off, s[0:3], 0 offset:352
	buffer_load_dword v162, off, s[0:3], 0 offset:360
	buffer_load_dword v163, off, s[0:3], 0 offset:368
	buffer_load_dword v164, off, s[0:3], 0 offset:376
	buffer_load_dword v165, off, s[0:3], 0 offset:384
	buffer_load_dword v166, off, s[0:3], 0 offset:392
	buffer_load_dword v167, off, s[0:3], 0 offset:264
	buffer_load_dword v168, off, s[0:3], 0 offset:268
	ds_read_b128 v[103:106], v102 offset:672
	ds_read_b128 v[107:110], v102 offset:688
	;; [unrolled: 1-line block ×8, first 2 shown]
	v_cmp_lt_u32_e32 vcc, 32, v0
	s_waitcnt vmcnt(33) lgkmcnt(7)
	v_mul_f32_e32 v102, v103, v135
	v_mul_f32_e32 v135, v104, v135
	s_waitcnt vmcnt(32)
	v_mul_f32_e32 v169, v105, v136
	v_mul_f32_e32 v136, v106, v136
	s_waitcnt vmcnt(31) lgkmcnt(6)
	v_mul_f32_e32 v170, v107, v137
	s_waitcnt vmcnt(30)
	v_mul_f32_e32 v171, v109, v138
	s_waitcnt vmcnt(29) lgkmcnt(5)
	v_mul_f32_e32 v172, v111, v139
	s_waitcnt vmcnt(28)
	;; [unrolled: 4-line block ×6, first 2 shown]
	v_mul_f32_e32 v181, v129, v148
	s_waitcnt vmcnt(17)
	v_fma_f32 v103, v103, v151, -v135
	v_fmac_f32_e32 v102, v104, v151
	s_waitcnt vmcnt(16)
	v_fma_f32 v104, v105, v152, -v136
	v_add_f32_e32 v103, 0, v103
	v_add_f32_e32 v103, v103, v104
	v_mul_f32_e32 v104, v108, v137
	s_waitcnt vmcnt(15)
	v_fma_f32 v104, v107, v153, -v104
	v_add_f32_e32 v103, v103, v104
	v_mul_f32_e32 v104, v110, v138
	s_waitcnt vmcnt(14)
	v_fma_f32 v104, v109, v154, -v104
	;; [unrolled: 4-line block ×7, first 2 shown]
	v_fmac_f32_e32 v169, v106, v152
	v_add_f32_e32 v102, 0, v102
	v_add_f32_e32 v103, v103, v104
	v_mul_f32_e32 v104, v122, v144
	v_fmac_f32_e32 v170, v108, v153
	v_add_f32_e32 v102, v102, v169
	s_waitcnt vmcnt(8)
	v_fma_f32 v104, v121, v160, -v104
	v_fmac_f32_e32 v171, v110, v154
	v_add_f32_e32 v102, v102, v170
	v_add_f32_e32 v103, v103, v104
	v_mul_f32_e32 v104, v124, v145
	v_fmac_f32_e32 v172, v112, v155
	v_add_f32_e32 v102, v102, v171
	s_waitcnt vmcnt(7)
	v_fma_f32 v104, v123, v161, -v104
	;; [unrolled: 8-line block ×5, first 2 shown]
	v_fmac_f32_e32 v179, v126, v162
	v_add_f32_e32 v102, v102, v178
	v_add_f32_e32 v103, v103, v104
	s_waitcnt lgkmcnt(0)
	v_mul_f32_e32 v104, v132, v149
	v_fmac_f32_e32 v180, v128, v163
	v_add_f32_e32 v102, v102, v179
	s_waitcnt vmcnt(3)
	v_fma_f32 v104, v131, v165, -v104
	v_mul_f32_e32 v182, v131, v149
	v_fmac_f32_e32 v181, v130, v164
	v_add_f32_e32 v102, v102, v180
	v_add_f32_e32 v103, v103, v104
	v_mul_f32_e32 v104, v134, v150
	v_mul_f32_e32 v183, v133, v150
	v_fmac_f32_e32 v182, v132, v165
	v_add_f32_e32 v102, v102, v181
	s_waitcnt vmcnt(2)
	v_fma_f32 v104, v133, v166, -v104
	v_fmac_f32_e32 v183, v134, v166
	v_add_f32_e32 v102, v102, v182
	v_add_f32_e32 v103, v103, v104
	;; [unrolled: 1-line block ×3, first 2 shown]
	s_waitcnt vmcnt(1)
	v_sub_f32_e32 v103, v167, v103
	s_waitcnt vmcnt(0)
	v_sub_f32_e32 v102, v168, v102
	buffer_store_dword v103, off, s[0:3], 0 offset:264
	buffer_store_dword v102, off, s[0:3], 0 offset:268
	s_and_saveexec_b64 s[4:5], vcc
	s_cbranch_execz .LBB113_249
; %bb.248:
	buffer_load_dword v102, off, s[0:3], 0 offset:256
	buffer_load_dword v103, off, s[0:3], 0 offset:260
	v_mov_b32_e32 v104, 0
	buffer_store_dword v104, off, s[0:3], 0 offset:256
	buffer_store_dword v104, off, s[0:3], 0 offset:260
	s_waitcnt vmcnt(2)
	ds_write_b64 v101, v[102:103]
.LBB113_249:
	s_or_b64 exec, exec, s[4:5]
	s_waitcnt lgkmcnt(0)
	; wave barrier
	buffer_load_dword v137, off, s[0:3], 0 offset:268
	buffer_load_dword v138, off, s[0:3], 0 offset:276
	buffer_load_dword v139, off, s[0:3], 0 offset:284
	buffer_load_dword v140, off, s[0:3], 0 offset:292
	buffer_load_dword v141, off, s[0:3], 0 offset:300
	buffer_load_dword v142, off, s[0:3], 0 offset:308
	buffer_load_dword v143, off, s[0:3], 0 offset:316
	buffer_load_dword v144, off, s[0:3], 0 offset:324
	buffer_load_dword v145, off, s[0:3], 0 offset:332
	buffer_load_dword v146, off, s[0:3], 0 offset:340
	buffer_load_dword v147, off, s[0:3], 0 offset:348
	buffer_load_dword v148, off, s[0:3], 0 offset:356
	buffer_load_dword v149, off, s[0:3], 0 offset:364
	buffer_load_dword v150, off, s[0:3], 0 offset:372
	buffer_load_dword v151, off, s[0:3], 0 offset:380
	buffer_load_dword v152, off, s[0:3], 0 offset:388
	buffer_load_dword v153, off, s[0:3], 0 offset:396
	buffer_load_dword v154, off, s[0:3], 0 offset:264
	buffer_load_dword v155, off, s[0:3], 0 offset:272
	buffer_load_dword v156, off, s[0:3], 0 offset:280
	buffer_load_dword v157, off, s[0:3], 0 offset:288
	buffer_load_dword v158, off, s[0:3], 0 offset:296
	buffer_load_dword v159, off, s[0:3], 0 offset:304
	buffer_load_dword v160, off, s[0:3], 0 offset:312
	buffer_load_dword v161, off, s[0:3], 0 offset:320
	buffer_load_dword v162, off, s[0:3], 0 offset:328
	buffer_load_dword v163, off, s[0:3], 0 offset:336
	buffer_load_dword v164, off, s[0:3], 0 offset:344
	buffer_load_dword v165, off, s[0:3], 0 offset:352
	buffer_load_dword v166, off, s[0:3], 0 offset:360
	buffer_load_dword v167, off, s[0:3], 0 offset:368
	buffer_load_dword v168, off, s[0:3], 0 offset:376
	buffer_load_dword v169, off, s[0:3], 0 offset:384
	buffer_load_dword v170, off, s[0:3], 0 offset:392
	buffer_load_dword v171, off, s[0:3], 0 offset:256
	buffer_load_dword v172, off, s[0:3], 0 offset:260
	v_mov_b32_e32 v102, 0
	ds_read2_b64 v[103:106], v102 offset0:83 offset1:84
	ds_read2_b64 v[107:110], v102 offset0:85 offset1:86
	;; [unrolled: 1-line block ×8, first 2 shown]
	ds_read_b64 v[135:136], v102 offset:792
	v_cmp_lt_u32_e32 vcc, 31, v0
	s_waitcnt vmcnt(35) lgkmcnt(8)
	v_mul_f32_e32 v173, v103, v137
	s_waitcnt vmcnt(34)
	v_mul_f32_e32 v174, v105, v138
	s_waitcnt vmcnt(33) lgkmcnt(7)
	v_mul_f32_e32 v175, v107, v139
	s_waitcnt vmcnt(32)
	v_mul_f32_e32 v176, v109, v140
	s_waitcnt vmcnt(31) lgkmcnt(6)
	v_mul_f32_e32 v177, v111, v141
	s_waitcnt vmcnt(30)
	v_mul_f32_e32 v178, v113, v142
	s_waitcnt vmcnt(29) lgkmcnt(5)
	v_mul_f32_e32 v179, v115, v143
	s_waitcnt vmcnt(28)
	v_mul_f32_e32 v180, v117, v144
	s_waitcnt vmcnt(27) lgkmcnt(4)
	v_mul_f32_e32 v181, v119, v145
	s_waitcnt vmcnt(26)
	v_mul_f32_e32 v182, v121, v146
	s_waitcnt vmcnt(25) lgkmcnt(3)
	v_mul_f32_e32 v183, v123, v147
	s_waitcnt vmcnt(24)
	v_mul_f32_e32 v184, v125, v148
	s_waitcnt vmcnt(23) lgkmcnt(2)
	v_mul_f32_e32 v185, v127, v149
	s_waitcnt vmcnt(22)
	v_mul_f32_e32 v186, v129, v150
	s_waitcnt vmcnt(21) lgkmcnt(1)
	v_mul_f32_e32 v187, v131, v151
	s_waitcnt vmcnt(20)
	v_mul_f32_e32 v188, v133, v152
	s_waitcnt vmcnt(19) lgkmcnt(0)
	v_mul_f32_e32 v189, v135, v153
	s_waitcnt vmcnt(18)
	v_fmac_f32_e32 v173, v104, v154
	v_mul_f32_e32 v104, v104, v137
	v_fma_f32 v103, v103, v154, -v104
	v_mul_f32_e32 v104, v106, v138
	v_add_f32_e32 v103, 0, v103
	s_waitcnt vmcnt(17)
	v_fma_f32 v104, v105, v155, -v104
	v_add_f32_e32 v103, v103, v104
	v_mul_f32_e32 v104, v108, v139
	s_waitcnt vmcnt(16)
	v_fma_f32 v104, v107, v156, -v104
	v_add_f32_e32 v103, v103, v104
	v_mul_f32_e32 v104, v110, v140
	;; [unrolled: 4-line block ×8, first 2 shown]
	v_fmac_f32_e32 v174, v106, v155
	v_add_f32_e32 v173, 0, v173
	s_waitcnt vmcnt(9)
	v_fma_f32 v104, v121, v163, -v104
	v_fmac_f32_e32 v175, v108, v156
	v_add_f32_e32 v173, v173, v174
	v_add_f32_e32 v103, v103, v104
	v_mul_f32_e32 v104, v124, v147
	v_fmac_f32_e32 v176, v110, v157
	v_add_f32_e32 v173, v173, v175
	s_waitcnt vmcnt(8)
	v_fma_f32 v104, v123, v164, -v104
	v_fmac_f32_e32 v177, v112, v158
	v_add_f32_e32 v173, v173, v176
	v_add_f32_e32 v103, v103, v104
	v_mul_f32_e32 v104, v126, v148
	;; [unrolled: 8-line block ×7, first 2 shown]
	v_fmac_f32_e32 v188, v134, v169
	v_add_f32_e32 v173, v173, v187
	s_waitcnt vmcnt(2)
	v_fma_f32 v104, v135, v170, -v104
	v_fmac_f32_e32 v189, v136, v170
	v_add_f32_e32 v173, v173, v188
	v_add_f32_e32 v103, v103, v104
	;; [unrolled: 1-line block ×3, first 2 shown]
	s_waitcnt vmcnt(1)
	v_sub_f32_e32 v103, v171, v103
	s_waitcnt vmcnt(0)
	v_sub_f32_e32 v104, v172, v173
	buffer_store_dword v103, off, s[0:3], 0 offset:256
	buffer_store_dword v104, off, s[0:3], 0 offset:260
	s_and_saveexec_b64 s[4:5], vcc
	s_cbranch_execz .LBB113_251
; %bb.250:
	buffer_load_dword v103, off, s[0:3], 0 offset:248
	buffer_load_dword v104, off, s[0:3], 0 offset:252
	s_waitcnt vmcnt(0)
	ds_write_b64 v101, v[103:104]
	buffer_store_dword v102, off, s[0:3], 0 offset:248
	buffer_store_dword v102, off, s[0:3], 0 offset:252
.LBB113_251:
	s_or_b64 exec, exec, s[4:5]
	s_waitcnt lgkmcnt(0)
	; wave barrier
	buffer_load_dword v139, off, s[0:3], 0 offset:260
	buffer_load_dword v140, off, s[0:3], 0 offset:268
	;; [unrolled: 1-line block ×38, first 2 shown]
	ds_read_b128 v[103:106], v102 offset:656
	ds_read_b128 v[107:110], v102 offset:672
	;; [unrolled: 1-line block ×9, first 2 shown]
	v_cmp_lt_u32_e32 vcc, 30, v0
	s_waitcnt vmcnt(37) lgkmcnt(8)
	v_mul_f32_e32 v102, v103, v139
	s_waitcnt vmcnt(36)
	v_mul_f32_e32 v177, v105, v140
	s_waitcnt vmcnt(35) lgkmcnt(7)
	v_mul_f32_e32 v178, v107, v141
	s_waitcnt vmcnt(34)
	v_mul_f32_e32 v179, v109, v142
	;; [unrolled: 4-line block ×8, first 2 shown]
	s_waitcnt vmcnt(21) lgkmcnt(0)
	v_mul_f32_e32 v192, v135, v155
	s_waitcnt vmcnt(20)
	v_fmac_f32_e32 v102, v104, v156
	v_mul_f32_e32 v104, v104, v139
	v_fma_f32 v103, v103, v156, -v104
	v_mul_f32_e32 v104, v106, v140
	v_add_f32_e32 v103, 0, v103
	s_waitcnt vmcnt(19)
	v_fma_f32 v104, v105, v157, -v104
	v_add_f32_e32 v103, v103, v104
	v_mul_f32_e32 v104, v108, v141
	s_waitcnt vmcnt(18)
	v_fma_f32 v104, v107, v158, -v104
	v_add_f32_e32 v103, v103, v104
	v_mul_f32_e32 v104, v110, v142
	;; [unrolled: 4-line block ×8, first 2 shown]
	s_waitcnt vmcnt(11)
	v_fma_f32 v104, v121, v165, -v104
	v_fmac_f32_e32 v177, v106, v157
	v_add_f32_e32 v102, 0, v102
	v_add_f32_e32 v103, v103, v104
	v_mul_f32_e32 v104, v124, v149
	v_fmac_f32_e32 v178, v108, v158
	v_add_f32_e32 v102, v102, v177
	s_waitcnt vmcnt(10)
	v_fma_f32 v104, v123, v166, -v104
	v_fmac_f32_e32 v179, v110, v159
	v_add_f32_e32 v102, v102, v178
	v_add_f32_e32 v103, v103, v104
	v_mul_f32_e32 v104, v126, v150
	v_fmac_f32_e32 v180, v112, v160
	v_add_f32_e32 v102, v102, v179
	;; [unrolled: 8-line block ×7, first 2 shown]
	s_waitcnt vmcnt(4)
	v_fma_f32 v104, v135, v172, -v104
	v_fmac_f32_e32 v191, v134, v171
	v_add_f32_e32 v102, v102, v190
	v_add_f32_e32 v103, v103, v104
	s_waitcnt vmcnt(3)
	v_mul_f32_e32 v104, v138, v173
	v_add_f32_e32 v102, v102, v191
	v_fmac_f32_e32 v192, v136, v172
	v_mul_f32_e32 v177, v137, v173
	s_waitcnt vmcnt(2)
	v_fma_f32 v104, v137, v174, -v104
	v_add_f32_e32 v102, v102, v192
	v_fmac_f32_e32 v177, v138, v174
	v_add_f32_e32 v103, v103, v104
	v_add_f32_e32 v102, v102, v177
	s_waitcnt vmcnt(1)
	v_sub_f32_e32 v103, v175, v103
	s_waitcnt vmcnt(0)
	v_sub_f32_e32 v102, v176, v102
	buffer_store_dword v103, off, s[0:3], 0 offset:248
	buffer_store_dword v102, off, s[0:3], 0 offset:252
	s_and_saveexec_b64 s[4:5], vcc
	s_cbranch_execz .LBB113_253
; %bb.252:
	buffer_load_dword v102, off, s[0:3], 0 offset:240
	buffer_load_dword v103, off, s[0:3], 0 offset:244
	v_mov_b32_e32 v104, 0
	buffer_store_dword v104, off, s[0:3], 0 offset:240
	buffer_store_dword v104, off, s[0:3], 0 offset:244
	s_waitcnt vmcnt(2)
	ds_write_b64 v101, v[102:103]
.LBB113_253:
	s_or_b64 exec, exec, s[4:5]
	s_waitcnt lgkmcnt(0)
	; wave barrier
	buffer_load_dword v141, off, s[0:3], 0 offset:252
	buffer_load_dword v142, off, s[0:3], 0 offset:260
	;; [unrolled: 1-line block ×40, first 2 shown]
	v_mov_b32_e32 v102, 0
	ds_read2_b64 v[103:106], v102 offset0:81 offset1:82
	ds_read2_b64 v[107:110], v102 offset0:83 offset1:84
	;; [unrolled: 1-line block ×9, first 2 shown]
	v_cmp_lt_u32_e32 vcc, 29, v0
	s_waitcnt vmcnt(39) lgkmcnt(8)
	v_mul_f32_e32 v139, v103, v141
	s_waitcnt vmcnt(38)
	v_mul_f32_e32 v140, v105, v142
	s_waitcnt vmcnt(37) lgkmcnt(7)
	v_mul_f32_e32 v181, v107, v143
	s_waitcnt vmcnt(36)
	v_mul_f32_e32 v182, v109, v144
	;; [unrolled: 4-line block ×7, first 2 shown]
	s_waitcnt vmcnt(25) lgkmcnt(1)
	v_mul_f32_e32 v193, v131, v155
	s_waitcnt vmcnt(24)
	v_fmac_f32_e32 v139, v104, v156
	v_mul_f32_e32 v104, v104, v141
	v_fma_f32 v103, v103, v156, -v104
	v_mul_f32_e32 v104, v106, v142
	v_add_f32_e32 v103, 0, v103
	s_waitcnt vmcnt(23)
	v_fma_f32 v104, v105, v157, -v104
	v_add_f32_e32 v103, v103, v104
	v_mul_f32_e32 v104, v108, v143
	s_waitcnt vmcnt(22)
	v_fma_f32 v104, v107, v158, -v104
	v_add_f32_e32 v103, v103, v104
	v_mul_f32_e32 v104, v110, v144
	;; [unrolled: 4-line block ×6, first 2 shown]
	s_waitcnt vmcnt(17)
	v_fma_f32 v104, v117, v163, -v104
	v_fmac_f32_e32 v140, v106, v157
	v_add_f32_e32 v139, 0, v139
	v_add_f32_e32 v103, v103, v104
	v_mul_f32_e32 v104, v120, v149
	v_fmac_f32_e32 v181, v108, v158
	v_add_f32_e32 v139, v139, v140
	s_waitcnt vmcnt(16)
	v_fma_f32 v104, v119, v164, -v104
	v_fmac_f32_e32 v182, v110, v159
	v_add_f32_e32 v139, v139, v181
	v_add_f32_e32 v103, v103, v104
	v_mul_f32_e32 v104, v122, v150
	v_fmac_f32_e32 v183, v112, v160
	v_add_f32_e32 v139, v139, v182
	s_waitcnt vmcnt(15)
	v_fma_f32 v104, v121, v165, -v104
	v_fmac_f32_e32 v184, v114, v161
	v_add_f32_e32 v139, v139, v183
	v_add_f32_e32 v103, v103, v104
	v_mul_f32_e32 v104, v124, v151
	v_fmac_f32_e32 v185, v116, v162
	v_add_f32_e32 v139, v139, v184
	s_waitcnt vmcnt(14)
	v_fma_f32 v104, v123, v166, -v104
	v_fmac_f32_e32 v186, v118, v163
	v_add_f32_e32 v139, v139, v185
	v_add_f32_e32 v103, v103, v104
	v_mul_f32_e32 v104, v126, v152
	v_fmac_f32_e32 v187, v120, v164
	v_add_f32_e32 v139, v139, v186
	s_waitcnt vmcnt(13)
	v_fma_f32 v104, v125, v167, -v104
	v_fmac_f32_e32 v188, v122, v165
	v_add_f32_e32 v139, v139, v187
	v_add_f32_e32 v103, v103, v104
	v_mul_f32_e32 v104, v128, v153
	v_fmac_f32_e32 v189, v124, v166
	v_add_f32_e32 v139, v139, v188
	s_waitcnt vmcnt(12)
	v_fma_f32 v104, v127, v168, -v104
	v_fmac_f32_e32 v190, v126, v167
	v_add_f32_e32 v139, v139, v189
	v_add_f32_e32 v103, v103, v104
	v_mul_f32_e32 v104, v130, v154
	v_fmac_f32_e32 v191, v128, v168
	v_add_f32_e32 v139, v139, v190
	s_waitcnt vmcnt(11)
	v_fma_f32 v104, v129, v169, -v104
	v_fmac_f32_e32 v192, v130, v169
	v_add_f32_e32 v139, v139, v191
	v_add_f32_e32 v103, v103, v104
	v_mul_f32_e32 v104, v132, v155
	s_waitcnt vmcnt(10)
	v_fmac_f32_e32 v193, v132, v170
	v_add_f32_e32 v139, v139, v192
	s_waitcnt vmcnt(9)
	v_mul_f32_e32 v140, v133, v171
	v_fma_f32 v104, v131, v170, -v104
	v_add_f32_e32 v139, v139, v193
	s_waitcnt vmcnt(8)
	v_fmac_f32_e32 v140, v134, v172
	v_add_f32_e32 v103, v103, v104
	v_mul_f32_e32 v104, v134, v171
	v_add_f32_e32 v181, v139, v140
	ds_read_b64 v[139:140], v102 offset:792
	v_fma_f32 v104, v133, v172, -v104
	v_add_f32_e32 v103, v103, v104
	s_waitcnt vmcnt(7) lgkmcnt(1)
	v_mul_f32_e32 v104, v136, v173
	v_mul_f32_e32 v182, v135, v173
	s_waitcnt vmcnt(6)
	v_fma_f32 v104, v135, v174, -v104
	v_fmac_f32_e32 v182, v136, v174
	v_add_f32_e32 v103, v103, v104
	s_waitcnt vmcnt(5)
	v_mul_f32_e32 v104, v138, v175
	v_add_f32_e32 v181, v181, v182
	v_mul_f32_e32 v182, v137, v175
	s_waitcnt vmcnt(4)
	v_fma_f32 v104, v137, v176, -v104
	v_fmac_f32_e32 v182, v138, v176
	v_add_f32_e32 v103, v103, v104
	s_waitcnt vmcnt(3) lgkmcnt(0)
	v_mul_f32_e32 v104, v140, v177
	v_add_f32_e32 v181, v181, v182
	v_mul_f32_e32 v182, v139, v177
	s_waitcnt vmcnt(2)
	v_fma_f32 v104, v139, v178, -v104
	v_fmac_f32_e32 v182, v140, v178
	v_add_f32_e32 v103, v103, v104
	v_add_f32_e32 v181, v181, v182
	s_waitcnt vmcnt(1)
	v_sub_f32_e32 v103, v179, v103
	s_waitcnt vmcnt(0)
	v_sub_f32_e32 v104, v180, v181
	buffer_store_dword v103, off, s[0:3], 0 offset:240
	buffer_store_dword v104, off, s[0:3], 0 offset:244
	s_and_saveexec_b64 s[4:5], vcc
	s_cbranch_execz .LBB113_255
; %bb.254:
	buffer_load_dword v103, off, s[0:3], 0 offset:232
	buffer_load_dword v104, off, s[0:3], 0 offset:236
	s_waitcnt vmcnt(0)
	ds_write_b64 v101, v[103:104]
	buffer_store_dword v102, off, s[0:3], 0 offset:232
	buffer_store_dword v102, off, s[0:3], 0 offset:236
.LBB113_255:
	s_or_b64 exec, exec, s[4:5]
	s_waitcnt lgkmcnt(0)
	; wave barrier
	buffer_load_dword v143, off, s[0:3], 0 offset:244
	buffer_load_dword v144, off, s[0:3], 0 offset:252
	;; [unrolled: 1-line block ×42, first 2 shown]
	ds_read_b128 v[103:106], v102 offset:640
	ds_read_b128 v[107:110], v102 offset:656
	;; [unrolled: 1-line block ×8, first 2 shown]
	v_cmp_lt_u32_e32 vcc, 28, v0
	s_waitcnt vmcnt(41) lgkmcnt(7)
	v_mul_f32_e32 v135, v103, v143
	s_waitcnt vmcnt(40)
	v_mul_f32_e32 v136, v105, v144
	s_waitcnt vmcnt(39) lgkmcnt(6)
	v_mul_f32_e32 v137, v107, v145
	s_waitcnt vmcnt(38)
	v_mul_f32_e32 v138, v109, v146
	;; [unrolled: 4-line block ×7, first 2 shown]
	s_waitcnt vmcnt(27) lgkmcnt(0)
	v_mul_f32_e32 v191, v131, v157
	s_waitcnt vmcnt(26)
	v_fmac_f32_e32 v135, v104, v158
	v_mul_f32_e32 v104, v104, v143
	v_fma_f32 v103, v103, v158, -v104
	v_mul_f32_e32 v104, v106, v144
	v_add_f32_e32 v103, 0, v103
	s_waitcnt vmcnt(25)
	v_fma_f32 v104, v105, v159, -v104
	v_add_f32_e32 v103, v103, v104
	v_mul_f32_e32 v104, v108, v145
	s_waitcnt vmcnt(24)
	v_fma_f32 v104, v107, v160, -v104
	v_add_f32_e32 v103, v103, v104
	v_mul_f32_e32 v104, v110, v146
	;; [unrolled: 4-line block ×5, first 2 shown]
	v_fmac_f32_e32 v136, v106, v159
	v_add_f32_e32 v135, 0, v135
	s_waitcnt vmcnt(20)
	v_fma_f32 v104, v115, v164, -v104
	v_fmac_f32_e32 v137, v108, v160
	v_add_f32_e32 v135, v135, v136
	v_add_f32_e32 v103, v103, v104
	v_mul_f32_e32 v104, v118, v150
	v_fmac_f32_e32 v138, v110, v161
	v_add_f32_e32 v135, v135, v137
	s_waitcnt vmcnt(19)
	v_fma_f32 v104, v117, v165, -v104
	v_fmac_f32_e32 v139, v112, v162
	v_add_f32_e32 v135, v135, v138
	v_add_f32_e32 v103, v103, v104
	v_mul_f32_e32 v104, v120, v151
	;; [unrolled: 8-line block ×5, first 2 shown]
	s_waitcnt vmcnt(15)
	v_fmac_f32_e32 v188, v126, v169
	v_add_f32_e32 v135, v135, v187
	v_fma_f32 v104, v125, v169, -v104
	s_waitcnt vmcnt(14)
	v_fmac_f32_e32 v189, v128, v170
	v_add_f32_e32 v135, v135, v188
	v_add_f32_e32 v103, v103, v104
	v_mul_f32_e32 v104, v128, v155
	s_waitcnt vmcnt(13)
	v_fmac_f32_e32 v190, v130, v171
	v_add_f32_e32 v135, v135, v189
	v_fma_f32 v104, v127, v170, -v104
	s_waitcnt vmcnt(12)
	v_fmac_f32_e32 v191, v132, v172
	v_add_f32_e32 v135, v135, v190
	v_add_f32_e32 v103, v103, v104
	v_mul_f32_e32 v104, v130, v156
	v_add_f32_e32 v139, v135, v191
	ds_read_b128 v[135:138], v102 offset:768
	v_fma_f32 v104, v129, v171, -v104
	v_add_f32_e32 v103, v103, v104
	v_mul_f32_e32 v104, v132, v157
	s_waitcnt vmcnt(11)
	v_mul_f32_e32 v140, v133, v173
	v_fma_f32 v104, v131, v172, -v104
	s_waitcnt vmcnt(10)
	v_fmac_f32_e32 v140, v134, v174
	v_add_f32_e32 v103, v103, v104
	v_mul_f32_e32 v104, v134, v173
	v_add_f32_e32 v185, v139, v140
	ds_read_b128 v[139:142], v102 offset:784
	v_fma_f32 v104, v133, v174, -v104
	v_add_f32_e32 v103, v103, v104
	s_waitcnt vmcnt(9) lgkmcnt(1)
	v_mul_f32_e32 v104, v136, v175
	v_mul_f32_e32 v102, v135, v175
	s_waitcnt vmcnt(8)
	v_fma_f32 v104, v135, v176, -v104
	v_fmac_f32_e32 v102, v136, v176
	v_add_f32_e32 v103, v103, v104
	s_waitcnt vmcnt(7)
	v_mul_f32_e32 v104, v138, v177
	v_add_f32_e32 v102, v185, v102
	v_mul_f32_e32 v185, v137, v177
	s_waitcnt vmcnt(6)
	v_fma_f32 v104, v137, v178, -v104
	v_fmac_f32_e32 v185, v138, v178
	v_add_f32_e32 v103, v103, v104
	s_waitcnt vmcnt(5) lgkmcnt(0)
	v_mul_f32_e32 v104, v140, v179
	v_add_f32_e32 v102, v102, v185
	v_mul_f32_e32 v185, v139, v179
	s_waitcnt vmcnt(4)
	v_fma_f32 v104, v139, v180, -v104
	v_fmac_f32_e32 v185, v140, v180
	v_add_f32_e32 v103, v103, v104
	s_waitcnt vmcnt(3)
	v_mul_f32_e32 v104, v142, v181
	v_add_f32_e32 v102, v102, v185
	v_mul_f32_e32 v185, v141, v181
	s_waitcnt vmcnt(2)
	v_fma_f32 v104, v141, v182, -v104
	v_fmac_f32_e32 v185, v142, v182
	v_add_f32_e32 v103, v103, v104
	v_add_f32_e32 v102, v102, v185
	s_waitcnt vmcnt(1)
	v_sub_f32_e32 v103, v183, v103
	s_waitcnt vmcnt(0)
	v_sub_f32_e32 v102, v184, v102
	buffer_store_dword v103, off, s[0:3], 0 offset:232
	buffer_store_dword v102, off, s[0:3], 0 offset:236
	s_and_saveexec_b64 s[4:5], vcc
	s_cbranch_execz .LBB113_257
; %bb.256:
	buffer_load_dword v102, off, s[0:3], 0 offset:224
	buffer_load_dword v103, off, s[0:3], 0 offset:228
	v_mov_b32_e32 v104, 0
	buffer_store_dword v104, off, s[0:3], 0 offset:224
	buffer_store_dword v104, off, s[0:3], 0 offset:228
	s_waitcnt vmcnt(2)
	ds_write_b64 v101, v[102:103]
.LBB113_257:
	s_or_b64 exec, exec, s[4:5]
	s_waitcnt lgkmcnt(0)
	; wave barrier
	buffer_load_dword v145, off, s[0:3], 0 offset:236
	buffer_load_dword v146, off, s[0:3], 0 offset:244
	;; [unrolled: 1-line block ×44, first 2 shown]
	v_mov_b32_e32 v102, 0
	ds_read2_b64 v[103:106], v102 offset0:79 offset1:80
	ds_read2_b64 v[107:110], v102 offset0:81 offset1:82
	;; [unrolled: 1-line block ×8, first 2 shown]
	v_cmp_lt_u32_e32 vcc, 27, v0
	s_waitcnt vmcnt(43) lgkmcnt(7)
	v_mul_f32_e32 v135, v103, v145
	s_waitcnt vmcnt(42)
	v_mul_f32_e32 v136, v105, v146
	s_waitcnt vmcnt(41) lgkmcnt(6)
	v_mul_f32_e32 v137, v107, v147
	s_waitcnt vmcnt(40)
	v_mul_f32_e32 v138, v109, v148
	;; [unrolled: 4-line block ×7, first 2 shown]
	s_waitcnt vmcnt(29)
	v_fmac_f32_e32 v135, v104, v159
	v_mul_f32_e32 v104, v104, v145
	v_fma_f32 v103, v103, v159, -v104
	v_mul_f32_e32 v104, v106, v146
	v_add_f32_e32 v103, 0, v103
	s_waitcnt vmcnt(28)
	v_fma_f32 v104, v105, v160, -v104
	v_add_f32_e32 v103, v103, v104
	v_mul_f32_e32 v104, v108, v147
	s_waitcnt vmcnt(27)
	v_fma_f32 v104, v107, v161, -v104
	v_add_f32_e32 v103, v103, v104
	v_mul_f32_e32 v104, v110, v148
	;; [unrolled: 4-line block ×4, first 2 shown]
	s_waitcnt vmcnt(24)
	v_fma_f32 v104, v113, v164, -v104
	v_fmac_f32_e32 v136, v106, v160
	v_add_f32_e32 v135, 0, v135
	v_add_f32_e32 v103, v103, v104
	v_mul_f32_e32 v104, v116, v151
	v_fmac_f32_e32 v137, v108, v161
	v_add_f32_e32 v135, v135, v136
	s_waitcnt vmcnt(23)
	v_fma_f32 v104, v115, v165, -v104
	v_fmac_f32_e32 v138, v110, v162
	v_add_f32_e32 v135, v135, v137
	v_add_f32_e32 v103, v103, v104
	v_mul_f32_e32 v104, v118, v152
	v_fmac_f32_e32 v139, v112, v163
	v_add_f32_e32 v135, v135, v138
	;; [unrolled: 8-line block ×4, first 2 shown]
	s_waitcnt vmcnt(20)
	v_fma_f32 v104, v121, v168, -v104
	v_fmac_f32_e32 v144, v122, v168
	v_add_f32_e32 v135, v135, v143
	v_add_f32_e32 v103, v103, v104
	v_mul_f32_e32 v104, v124, v155
	s_waitcnt vmcnt(19)
	v_fmac_f32_e32 v189, v124, v169
	v_add_f32_e32 v135, v135, v144
	v_fma_f32 v104, v123, v169, -v104
	s_waitcnt vmcnt(18)
	v_fmac_f32_e32 v190, v126, v170
	v_add_f32_e32 v135, v135, v189
	v_add_f32_e32 v103, v103, v104
	v_mul_f32_e32 v104, v126, v156
	s_waitcnt vmcnt(17)
	v_fmac_f32_e32 v191, v128, v171
	v_add_f32_e32 v135, v135, v190
	v_fma_f32 v104, v125, v170, -v104
	v_add_f32_e32 v135, v135, v191
	s_waitcnt vmcnt(16)
	v_fmac_f32_e32 v192, v130, v172
	s_waitcnt vmcnt(15) lgkmcnt(0)
	v_mul_f32_e32 v136, v131, v173
	v_add_f32_e32 v103, v103, v104
	v_mul_f32_e32 v104, v128, v157
	v_add_f32_e32 v135, v135, v192
	s_waitcnt vmcnt(14)
	v_fmac_f32_e32 v136, v132, v174
	v_fma_f32 v104, v127, v171, -v104
	v_add_f32_e32 v139, v135, v136
	ds_read2_b64 v[135:138], v102 offset0:95 offset1:96
	v_add_f32_e32 v103, v103, v104
	v_mul_f32_e32 v104, v130, v158
	v_fma_f32 v104, v129, v172, -v104
	v_add_f32_e32 v103, v103, v104
	v_mul_f32_e32 v104, v132, v173
	s_waitcnt vmcnt(13)
	v_mul_f32_e32 v140, v133, v175
	v_fma_f32 v104, v131, v174, -v104
	s_waitcnt vmcnt(12)
	v_fmac_f32_e32 v140, v134, v176
	v_add_f32_e32 v103, v103, v104
	v_mul_f32_e32 v104, v134, v175
	v_add_f32_e32 v143, v139, v140
	ds_read2_b64 v[139:142], v102 offset0:97 offset1:98
	s_waitcnt vmcnt(11) lgkmcnt(1)
	v_mul_f32_e32 v144, v135, v177
	v_fma_f32 v104, v133, v176, -v104
	s_waitcnt vmcnt(10)
	v_fmac_f32_e32 v144, v136, v178
	v_add_f32_e32 v103, v103, v104
	v_mul_f32_e32 v104, v136, v177
	v_add_f32_e32 v143, v143, v144
	s_waitcnt vmcnt(9)
	v_mul_f32_e32 v144, v137, v179
	v_fma_f32 v104, v135, v178, -v104
	s_waitcnt vmcnt(8)
	v_fmac_f32_e32 v144, v138, v180
	v_add_f32_e32 v103, v103, v104
	v_mul_f32_e32 v104, v138, v179
	v_add_f32_e32 v189, v143, v144
	ds_read_b64 v[143:144], v102 offset:792
	v_fma_f32 v104, v137, v180, -v104
	v_add_f32_e32 v103, v103, v104
	s_waitcnt vmcnt(7) lgkmcnt(1)
	v_mul_f32_e32 v104, v140, v181
	v_mul_f32_e32 v190, v139, v181
	s_waitcnt vmcnt(6)
	v_fma_f32 v104, v139, v182, -v104
	v_fmac_f32_e32 v190, v140, v182
	v_add_f32_e32 v103, v103, v104
	s_waitcnt vmcnt(5)
	v_mul_f32_e32 v104, v142, v183
	v_add_f32_e32 v189, v189, v190
	v_mul_f32_e32 v190, v141, v183
	s_waitcnt vmcnt(4)
	v_fma_f32 v104, v141, v184, -v104
	v_fmac_f32_e32 v190, v142, v184
	v_add_f32_e32 v103, v103, v104
	s_waitcnt vmcnt(3) lgkmcnt(0)
	v_mul_f32_e32 v104, v144, v185
	v_add_f32_e32 v189, v189, v190
	v_mul_f32_e32 v190, v143, v185
	s_waitcnt vmcnt(2)
	v_fma_f32 v104, v143, v186, -v104
	v_fmac_f32_e32 v190, v144, v186
	v_add_f32_e32 v103, v103, v104
	v_add_f32_e32 v189, v189, v190
	s_waitcnt vmcnt(1)
	v_sub_f32_e32 v103, v187, v103
	s_waitcnt vmcnt(0)
	v_sub_f32_e32 v104, v188, v189
	buffer_store_dword v103, off, s[0:3], 0 offset:224
	buffer_store_dword v104, off, s[0:3], 0 offset:228
	s_and_saveexec_b64 s[4:5], vcc
	s_cbranch_execz .LBB113_259
; %bb.258:
	buffer_load_dword v103, off, s[0:3], 0 offset:216
	buffer_load_dword v104, off, s[0:3], 0 offset:220
	s_waitcnt vmcnt(0)
	ds_write_b64 v101, v[103:104]
	buffer_store_dword v102, off, s[0:3], 0 offset:216
	buffer_store_dword v102, off, s[0:3], 0 offset:220
.LBB113_259:
	s_or_b64 exec, exec, s[4:5]
	s_waitcnt lgkmcnt(0)
	; wave barrier
	buffer_load_dword v147, off, s[0:3], 0 offset:228
	buffer_load_dword v148, off, s[0:3], 0 offset:236
	;; [unrolled: 1-line block ×46, first 2 shown]
	ds_read_b128 v[103:106], v102 offset:624
	ds_read_b128 v[107:110], v102 offset:640
	;; [unrolled: 1-line block ×8, first 2 shown]
	v_cmp_lt_u32_e32 vcc, 26, v0
	s_waitcnt vmcnt(45) lgkmcnt(7)
	v_mul_f32_e32 v135, v103, v147
	s_waitcnt vmcnt(44)
	v_mul_f32_e32 v136, v105, v148
	s_waitcnt vmcnt(43) lgkmcnt(6)
	v_mul_f32_e32 v137, v107, v149
	s_waitcnt vmcnt(42)
	v_mul_f32_e32 v138, v109, v150
	;; [unrolled: 4-line block ×6, first 2 shown]
	s_waitcnt vmcnt(33) lgkmcnt(1)
	v_mul_f32_e32 v193, v127, v159
	s_waitcnt vmcnt(32)
	v_fmac_f32_e32 v135, v104, v160
	v_mul_f32_e32 v104, v104, v147
	v_fma_f32 v103, v103, v160, -v104
	v_mul_f32_e32 v104, v106, v148
	v_add_f32_e32 v103, 0, v103
	s_waitcnt vmcnt(31)
	v_fma_f32 v104, v105, v161, -v104
	v_add_f32_e32 v103, v103, v104
	v_mul_f32_e32 v104, v108, v149
	s_waitcnt vmcnt(30)
	v_fma_f32 v104, v107, v162, -v104
	v_add_f32_e32 v103, v103, v104
	v_mul_f32_e32 v104, v110, v150
	;; [unrolled: 4-line block ×4, first 2 shown]
	v_fmac_f32_e32 v136, v106, v161
	v_add_f32_e32 v135, 0, v135
	s_waitcnt vmcnt(27)
	v_fma_f32 v104, v113, v165, -v104
	v_fmac_f32_e32 v137, v108, v162
	v_add_f32_e32 v135, v135, v136
	v_add_f32_e32 v103, v103, v104
	v_mul_f32_e32 v104, v116, v153
	v_fmac_f32_e32 v138, v110, v163
	v_add_f32_e32 v135, v135, v137
	s_waitcnt vmcnt(26)
	v_fma_f32 v104, v115, v166, -v104
	v_fmac_f32_e32 v139, v112, v164
	v_add_f32_e32 v135, v135, v138
	v_add_f32_e32 v103, v103, v104
	v_mul_f32_e32 v104, v118, v154
	v_fmac_f32_e32 v140, v114, v165
	v_add_f32_e32 v135, v135, v139
	s_waitcnt vmcnt(25)
	v_fma_f32 v104, v117, v167, -v104
	v_fmac_f32_e32 v141, v116, v166
	v_add_f32_e32 v135, v135, v140
	v_add_f32_e32 v103, v103, v104
	v_mul_f32_e32 v104, v120, v155
	v_fmac_f32_e32 v142, v118, v167
	v_add_f32_e32 v135, v135, v141
	s_waitcnt vmcnt(24)
	v_fma_f32 v104, v119, v168, -v104
	v_fmac_f32_e32 v143, v120, v168
	v_add_f32_e32 v135, v135, v142
	v_add_f32_e32 v103, v103, v104
	v_mul_f32_e32 v104, v122, v156
	s_waitcnt vmcnt(23)
	v_fmac_f32_e32 v144, v122, v169
	v_add_f32_e32 v135, v135, v143
	v_fma_f32 v104, v121, v169, -v104
	s_waitcnt vmcnt(22)
	v_fmac_f32_e32 v145, v124, v170
	v_add_f32_e32 v135, v135, v144
	v_add_f32_e32 v103, v103, v104
	v_mul_f32_e32 v104, v124, v157
	s_waitcnt vmcnt(21)
	v_fmac_f32_e32 v146, v126, v171
	v_add_f32_e32 v135, v135, v145
	v_fma_f32 v104, v123, v170, -v104
	s_waitcnt vmcnt(20)
	v_fmac_f32_e32 v193, v128, v172
	v_add_f32_e32 v135, v135, v146
	s_waitcnt vmcnt(19)
	v_mul_f32_e32 v136, v129, v173
	v_add_f32_e32 v103, v103, v104
	v_mul_f32_e32 v104, v126, v158
	v_add_f32_e32 v135, v135, v193
	s_waitcnt vmcnt(18)
	v_fmac_f32_e32 v136, v130, v174
	v_fma_f32 v104, v125, v171, -v104
	v_add_f32_e32 v135, v135, v136
	s_waitcnt vmcnt(17) lgkmcnt(0)
	v_mul_f32_e32 v136, v131, v175
	v_add_f32_e32 v103, v103, v104
	v_mul_f32_e32 v104, v128, v159
	s_waitcnt vmcnt(16)
	v_fmac_f32_e32 v136, v132, v176
	v_fma_f32 v104, v127, v172, -v104
	v_add_f32_e32 v139, v135, v136
	ds_read_b128 v[135:138], v102 offset:752
	v_add_f32_e32 v103, v103, v104
	v_mul_f32_e32 v104, v130, v173
	v_fma_f32 v104, v129, v174, -v104
	v_add_f32_e32 v103, v103, v104
	v_mul_f32_e32 v104, v132, v175
	s_waitcnt vmcnt(15)
	v_mul_f32_e32 v140, v133, v177
	v_fma_f32 v104, v131, v176, -v104
	s_waitcnt vmcnt(14)
	v_fmac_f32_e32 v140, v134, v178
	v_add_f32_e32 v103, v103, v104
	v_mul_f32_e32 v104, v134, v177
	v_add_f32_e32 v143, v139, v140
	ds_read_b128 v[139:142], v102 offset:768
	s_waitcnt vmcnt(13) lgkmcnt(1)
	v_mul_f32_e32 v144, v135, v179
	v_fma_f32 v104, v133, v178, -v104
	s_waitcnt vmcnt(12)
	v_fmac_f32_e32 v144, v136, v180
	v_add_f32_e32 v103, v103, v104
	v_mul_f32_e32 v104, v136, v179
	v_add_f32_e32 v143, v143, v144
	s_waitcnt vmcnt(11)
	v_mul_f32_e32 v144, v137, v181
	v_fma_f32 v104, v135, v180, -v104
	s_waitcnt vmcnt(10)
	v_fmac_f32_e32 v144, v138, v182
	v_add_f32_e32 v103, v103, v104
	v_mul_f32_e32 v104, v138, v181
	v_add_f32_e32 v193, v143, v144
	ds_read_b128 v[143:146], v102 offset:784
	v_fma_f32 v104, v137, v182, -v104
	v_add_f32_e32 v103, v103, v104
	s_waitcnt vmcnt(9) lgkmcnt(1)
	v_mul_f32_e32 v104, v140, v183
	v_mul_f32_e32 v194, v139, v183
	s_waitcnt vmcnt(8)
	v_fma_f32 v104, v139, v184, -v104
	v_fmac_f32_e32 v194, v140, v184
	v_add_f32_e32 v103, v103, v104
	s_waitcnt vmcnt(7)
	v_mul_f32_e32 v104, v142, v185
	v_add_f32_e32 v102, v193, v194
	v_mul_f32_e32 v193, v141, v185
	s_waitcnt vmcnt(6)
	v_fma_f32 v104, v141, v186, -v104
	v_fmac_f32_e32 v193, v142, v186
	v_add_f32_e32 v103, v103, v104
	s_waitcnt vmcnt(5) lgkmcnt(0)
	v_mul_f32_e32 v104, v144, v187
	v_add_f32_e32 v102, v102, v193
	v_mul_f32_e32 v193, v143, v187
	s_waitcnt vmcnt(4)
	v_fma_f32 v104, v143, v188, -v104
	v_fmac_f32_e32 v193, v144, v188
	v_add_f32_e32 v103, v103, v104
	s_waitcnt vmcnt(3)
	v_mul_f32_e32 v104, v146, v189
	v_add_f32_e32 v102, v102, v193
	v_mul_f32_e32 v193, v145, v189
	s_waitcnt vmcnt(2)
	v_fma_f32 v104, v145, v190, -v104
	v_fmac_f32_e32 v193, v146, v190
	v_add_f32_e32 v103, v103, v104
	v_add_f32_e32 v102, v102, v193
	s_waitcnt vmcnt(1)
	v_sub_f32_e32 v103, v191, v103
	s_waitcnt vmcnt(0)
	v_sub_f32_e32 v102, v192, v102
	buffer_store_dword v103, off, s[0:3], 0 offset:216
	buffer_store_dword v102, off, s[0:3], 0 offset:220
	s_and_saveexec_b64 s[4:5], vcc
	s_cbranch_execz .LBB113_261
; %bb.260:
	buffer_load_dword v102, off, s[0:3], 0 offset:208
	buffer_load_dword v103, off, s[0:3], 0 offset:212
	v_mov_b32_e32 v104, 0
	buffer_store_dword v104, off, s[0:3], 0 offset:208
	buffer_store_dword v104, off, s[0:3], 0 offset:212
	s_waitcnt vmcnt(2)
	ds_write_b64 v101, v[102:103]
.LBB113_261:
	s_or_b64 exec, exec, s[4:5]
	s_waitcnt lgkmcnt(0)
	; wave barrier
	buffer_load_dword v149, off, s[0:3], 0 offset:220
	buffer_load_dword v150, off, s[0:3], 0 offset:228
	;; [unrolled: 1-line block ×48, first 2 shown]
	v_mov_b32_e32 v102, 0
	ds_read2_b64 v[103:106], v102 offset0:77 offset1:78
	ds_read2_b64 v[107:110], v102 offset0:79 offset1:80
	;; [unrolled: 1-line block ×7, first 2 shown]
	v_cmp_lt_u32_e32 vcc, 25, v0
	s_waitcnt vmcnt(47) lgkmcnt(6)
	v_mul_f32_e32 v131, v103, v149
	s_waitcnt vmcnt(46)
	v_mul_f32_e32 v132, v105, v150
	s_waitcnt vmcnt(45) lgkmcnt(5)
	v_mul_f32_e32 v133, v107, v151
	s_waitcnt vmcnt(44)
	v_mul_f32_e32 v134, v109, v152
	;; [unrolled: 4-line block ×6, first 2 shown]
	s_waitcnt vmcnt(35)
	v_fmac_f32_e32 v131, v104, v161
	v_mul_f32_e32 v104, v104, v149
	v_fma_f32 v103, v103, v161, -v104
	v_mul_f32_e32 v104, v106, v150
	v_add_f32_e32 v103, 0, v103
	s_waitcnt vmcnt(34)
	v_fma_f32 v104, v105, v162, -v104
	v_add_f32_e32 v103, v103, v104
	v_mul_f32_e32 v104, v108, v151
	s_waitcnt vmcnt(33)
	v_fma_f32 v104, v107, v163, -v104
	v_fmac_f32_e32 v132, v106, v162
	v_add_f32_e32 v131, 0, v131
	v_add_f32_e32 v103, v103, v104
	v_mul_f32_e32 v104, v110, v152
	v_fmac_f32_e32 v133, v108, v163
	v_add_f32_e32 v131, v131, v132
	s_waitcnt vmcnt(32)
	v_fma_f32 v104, v109, v164, -v104
	v_fmac_f32_e32 v134, v110, v164
	v_add_f32_e32 v131, v131, v133
	v_add_f32_e32 v103, v103, v104
	v_mul_f32_e32 v104, v112, v153
	s_waitcnt vmcnt(31)
	v_fmac_f32_e32 v135, v112, v165
	v_add_f32_e32 v131, v131, v134
	v_fma_f32 v104, v111, v165, -v104
	s_waitcnt vmcnt(30)
	v_fmac_f32_e32 v136, v114, v166
	v_add_f32_e32 v131, v131, v135
	v_add_f32_e32 v103, v103, v104
	v_mul_f32_e32 v104, v114, v154
	s_waitcnt vmcnt(29)
	v_fmac_f32_e32 v137, v116, v167
	v_add_f32_e32 v131, v131, v136
	v_fma_f32 v104, v113, v166, -v104
	s_waitcnt vmcnt(28)
	v_fmac_f32_e32 v138, v118, v168
	v_add_f32_e32 v131, v131, v137
	v_add_f32_e32 v103, v103, v104
	v_mul_f32_e32 v104, v116, v155
	s_waitcnt vmcnt(27)
	v_fmac_f32_e32 v139, v120, v169
	v_add_f32_e32 v131, v131, v138
	v_fma_f32 v104, v115, v167, -v104
	s_waitcnt vmcnt(26)
	v_fmac_f32_e32 v140, v122, v170
	v_add_f32_e32 v131, v131, v139
	v_add_f32_e32 v103, v103, v104
	v_mul_f32_e32 v104, v118, v156
	s_waitcnt vmcnt(25)
	v_fmac_f32_e32 v141, v124, v171
	v_add_f32_e32 v131, v131, v140
	v_fma_f32 v104, v117, v168, -v104
	s_waitcnt vmcnt(24)
	v_fmac_f32_e32 v142, v126, v172
	v_add_f32_e32 v131, v131, v141
	v_add_f32_e32 v103, v103, v104
	v_mul_f32_e32 v104, v120, v157
	v_add_f32_e32 v135, v131, v142
	ds_read2_b64 v[131:134], v102 offset0:91 offset1:92
	v_fma_f32 v104, v119, v169, -v104
	s_waitcnt vmcnt(23) lgkmcnt(1)
	v_mul_f32_e32 v136, v127, v173
	v_add_f32_e32 v103, v103, v104
	v_mul_f32_e32 v104, v122, v158
	s_waitcnt vmcnt(22)
	v_fmac_f32_e32 v136, v128, v174
	v_fma_f32 v104, v121, v170, -v104
	v_add_f32_e32 v135, v135, v136
	s_waitcnt vmcnt(21)
	v_mul_f32_e32 v136, v129, v175
	v_add_f32_e32 v103, v103, v104
	v_mul_f32_e32 v104, v124, v159
	s_waitcnt vmcnt(20)
	v_fmac_f32_e32 v136, v130, v176
	v_fma_f32 v104, v123, v171, -v104
	v_add_f32_e32 v135, v135, v136
	s_waitcnt vmcnt(19) lgkmcnt(0)
	v_mul_f32_e32 v136, v131, v177
	v_add_f32_e32 v103, v103, v104
	v_mul_f32_e32 v104, v126, v160
	s_waitcnt vmcnt(18)
	v_fmac_f32_e32 v136, v132, v178
	v_fma_f32 v104, v125, v172, -v104
	v_add_f32_e32 v139, v135, v136
	ds_read2_b64 v[135:138], v102 offset0:93 offset1:94
	v_add_f32_e32 v103, v103, v104
	v_mul_f32_e32 v104, v128, v173
	v_fma_f32 v104, v127, v174, -v104
	s_waitcnt vmcnt(17)
	v_mul_f32_e32 v140, v133, v179
	v_add_f32_e32 v103, v103, v104
	v_mul_f32_e32 v104, v130, v175
	s_waitcnt vmcnt(16)
	v_fmac_f32_e32 v140, v134, v180
	v_fma_f32 v104, v129, v176, -v104
	v_add_f32_e32 v143, v139, v140
	ds_read2_b64 v[139:142], v102 offset0:95 offset1:96
	v_add_f32_e32 v103, v103, v104
	v_mul_f32_e32 v104, v132, v177
	s_waitcnt vmcnt(15) lgkmcnt(1)
	v_mul_f32_e32 v144, v135, v181
	v_fma_f32 v104, v131, v178, -v104
	s_waitcnt vmcnt(14)
	v_fmac_f32_e32 v144, v136, v182
	v_add_f32_e32 v103, v103, v104
	v_mul_f32_e32 v104, v134, v179
	v_add_f32_e32 v143, v143, v144
	s_waitcnt vmcnt(13)
	v_mul_f32_e32 v144, v137, v183
	v_fma_f32 v104, v133, v180, -v104
	s_waitcnt vmcnt(12)
	v_fmac_f32_e32 v144, v138, v184
	v_add_f32_e32 v103, v103, v104
	v_mul_f32_e32 v104, v136, v181
	v_add_f32_e32 v143, v143, v144
	s_waitcnt vmcnt(11) lgkmcnt(0)
	v_mul_f32_e32 v144, v139, v185
	v_fma_f32 v104, v135, v182, -v104
	s_waitcnt vmcnt(10)
	v_fmac_f32_e32 v144, v140, v186
	v_add_f32_e32 v103, v103, v104
	v_mul_f32_e32 v104, v138, v183
	v_add_f32_e32 v147, v143, v144
	ds_read2_b64 v[143:146], v102 offset0:97 offset1:98
	v_fma_f32 v104, v137, v184, -v104
	v_add_f32_e32 v103, v103, v104
	v_mul_f32_e32 v104, v140, v185
	s_waitcnt vmcnt(9)
	v_mul_f32_e32 v148, v141, v187
	v_fma_f32 v104, v139, v186, -v104
	s_waitcnt vmcnt(8)
	v_fmac_f32_e32 v148, v142, v188
	v_add_f32_e32 v103, v103, v104
	v_mul_f32_e32 v104, v142, v187
	v_add_f32_e32 v197, v147, v148
	ds_read_b64 v[147:148], v102 offset:792
	v_fma_f32 v104, v141, v188, -v104
	v_add_f32_e32 v103, v103, v104
	s_waitcnt vmcnt(6) lgkmcnt(1)
	v_mul_f32_e32 v104, v144, v190
	v_mul_f32_e32 v198, v143, v190
	v_fma_f32 v104, v143, v189, -v104
	v_fmac_f32_e32 v198, v144, v189
	v_add_f32_e32 v103, v103, v104
	s_waitcnt vmcnt(3)
	v_mul_f32_e32 v104, v146, v193
	v_add_f32_e32 v197, v197, v198
	v_mul_f32_e32 v198, v145, v193
	s_waitcnt vmcnt(2)
	v_fma_f32 v104, v145, v194, -v104
	v_fmac_f32_e32 v198, v146, v194
	v_add_f32_e32 v103, v103, v104
	s_waitcnt vmcnt(0) lgkmcnt(0)
	v_mul_f32_e32 v104, v148, v196
	v_add_f32_e32 v197, v197, v198
	v_mul_f32_e32 v198, v147, v196
	v_fma_f32 v104, v147, v195, -v104
	v_fmac_f32_e32 v198, v148, v195
	v_add_f32_e32 v103, v103, v104
	v_add_f32_e32 v197, v197, v198
	v_sub_f32_e32 v103, v191, v103
	v_sub_f32_e32 v104, v192, v197
	buffer_store_dword v103, off, s[0:3], 0 offset:208
	buffer_store_dword v104, off, s[0:3], 0 offset:212
	s_and_saveexec_b64 s[4:5], vcc
	s_cbranch_execz .LBB113_263
; %bb.262:
	buffer_load_dword v103, off, s[0:3], 0 offset:200
	buffer_load_dword v104, off, s[0:3], 0 offset:204
	s_waitcnt vmcnt(0)
	ds_write_b64 v101, v[103:104]
	buffer_store_dword v102, off, s[0:3], 0 offset:200
	buffer_store_dword v102, off, s[0:3], 0 offset:204
.LBB113_263:
	s_or_b64 exec, exec, s[4:5]
	s_waitcnt lgkmcnt(0)
	; wave barrier
	buffer_load_dword v151, off, s[0:3], 0 offset:212
	buffer_load_dword v152, off, s[0:3], 0 offset:220
	;; [unrolled: 1-line block ×48, first 2 shown]
	ds_read_b128 v[103:106], v102 offset:608
	ds_read_b128 v[107:110], v102 offset:624
	buffer_load_dword v199, off, s[0:3], 0 offset:392
	buffer_load_dword v200, off, s[0:3], 0 offset:396
	ds_read_b128 v[111:114], v102 offset:640
	ds_read_b128 v[115:118], v102 offset:656
	;; [unrolled: 1-line block ×5, first 2 shown]
	v_cmp_lt_u32_e32 vcc, 24, v0
	s_waitcnt vmcnt(49) lgkmcnt(6)
	v_mul_f32_e32 v131, v103, v151
	s_waitcnt vmcnt(48)
	v_mul_f32_e32 v132, v105, v152
	s_waitcnt vmcnt(47) lgkmcnt(5)
	v_mul_f32_e32 v133, v107, v153
	s_waitcnt vmcnt(46)
	v_mul_f32_e32 v134, v109, v154
	;; [unrolled: 4-line block ×6, first 2 shown]
	s_waitcnt vmcnt(37)
	v_fmac_f32_e32 v131, v104, v163
	v_mul_f32_e32 v104, v104, v151
	v_fma_f32 v103, v103, v163, -v104
	v_mul_f32_e32 v104, v106, v152
	v_add_f32_e32 v103, 0, v103
	s_waitcnt vmcnt(36)
	v_fma_f32 v104, v105, v164, -v104
	v_add_f32_e32 v103, v103, v104
	v_mul_f32_e32 v104, v108, v153
	s_waitcnt vmcnt(35)
	v_fma_f32 v104, v107, v165, -v104
	v_fmac_f32_e32 v132, v106, v164
	v_add_f32_e32 v131, 0, v131
	v_add_f32_e32 v103, v103, v104
	v_mul_f32_e32 v104, v110, v154
	v_fmac_f32_e32 v133, v108, v165
	v_add_f32_e32 v131, v131, v132
	s_waitcnt vmcnt(34)
	v_fma_f32 v104, v109, v166, -v104
	v_fmac_f32_e32 v134, v110, v166
	v_add_f32_e32 v131, v131, v133
	v_add_f32_e32 v103, v103, v104
	v_mul_f32_e32 v104, v112, v155
	s_waitcnt vmcnt(33)
	v_fmac_f32_e32 v135, v112, v167
	v_add_f32_e32 v131, v131, v134
	v_fma_f32 v104, v111, v167, -v104
	s_waitcnt vmcnt(32)
	v_fmac_f32_e32 v136, v114, v168
	v_add_f32_e32 v131, v131, v135
	v_add_f32_e32 v103, v103, v104
	v_mul_f32_e32 v104, v114, v156
	s_waitcnt vmcnt(31)
	v_fmac_f32_e32 v137, v116, v169
	v_add_f32_e32 v131, v131, v136
	v_fma_f32 v104, v113, v168, -v104
	s_waitcnt vmcnt(30)
	;; [unrolled: 9-line block ×3, first 2 shown]
	v_fmac_f32_e32 v140, v122, v172
	v_add_f32_e32 v131, v131, v139
	v_add_f32_e32 v103, v103, v104
	v_mul_f32_e32 v104, v118, v158
	s_waitcnt vmcnt(27)
	v_fmac_f32_e32 v141, v124, v173
	v_add_f32_e32 v131, v131, v140
	v_fma_f32 v104, v117, v170, -v104
	v_add_f32_e32 v131, v131, v141
	s_waitcnt vmcnt(26)
	v_fmac_f32_e32 v142, v126, v174
	v_add_f32_e32 v103, v103, v104
	v_mul_f32_e32 v104, v120, v159
	v_add_f32_e32 v135, v131, v142
	ds_read_b128 v[131:134], v102 offset:720
	v_fma_f32 v104, v119, v171, -v104
	s_waitcnt vmcnt(25) lgkmcnt(1)
	v_mul_f32_e32 v136, v127, v175
	v_add_f32_e32 v103, v103, v104
	v_mul_f32_e32 v104, v122, v160
	s_waitcnt vmcnt(24)
	v_fmac_f32_e32 v136, v128, v176
	v_fma_f32 v104, v121, v172, -v104
	v_add_f32_e32 v135, v135, v136
	s_waitcnt vmcnt(23)
	v_mul_f32_e32 v136, v129, v177
	v_add_f32_e32 v103, v103, v104
	v_mul_f32_e32 v104, v124, v161
	s_waitcnt vmcnt(22)
	v_fmac_f32_e32 v136, v130, v178
	v_fma_f32 v104, v123, v173, -v104
	v_add_f32_e32 v135, v135, v136
	s_waitcnt vmcnt(21) lgkmcnt(0)
	v_mul_f32_e32 v136, v131, v179
	v_add_f32_e32 v103, v103, v104
	v_mul_f32_e32 v104, v126, v162
	s_waitcnt vmcnt(20)
	v_fmac_f32_e32 v136, v132, v180
	v_fma_f32 v104, v125, v174, -v104
	v_add_f32_e32 v139, v135, v136
	ds_read_b128 v[135:138], v102 offset:736
	v_add_f32_e32 v103, v103, v104
	v_mul_f32_e32 v104, v128, v175
	v_fma_f32 v104, v127, v176, -v104
	s_waitcnt vmcnt(19)
	v_mul_f32_e32 v140, v133, v181
	v_add_f32_e32 v103, v103, v104
	v_mul_f32_e32 v104, v130, v177
	s_waitcnt vmcnt(18)
	v_fmac_f32_e32 v140, v134, v182
	v_fma_f32 v104, v129, v178, -v104
	v_add_f32_e32 v143, v139, v140
	ds_read_b128 v[139:142], v102 offset:752
	v_add_f32_e32 v103, v103, v104
	v_mul_f32_e32 v104, v132, v179
	s_waitcnt vmcnt(17) lgkmcnt(1)
	v_mul_f32_e32 v144, v135, v183
	v_fma_f32 v104, v131, v180, -v104
	s_waitcnt vmcnt(16)
	v_fmac_f32_e32 v144, v136, v184
	v_add_f32_e32 v103, v103, v104
	v_mul_f32_e32 v104, v134, v181
	v_add_f32_e32 v143, v143, v144
	s_waitcnt vmcnt(15)
	v_mul_f32_e32 v144, v137, v185
	v_fma_f32 v104, v133, v182, -v104
	s_waitcnt vmcnt(14)
	v_fmac_f32_e32 v144, v138, v186
	v_add_f32_e32 v103, v103, v104
	v_mul_f32_e32 v104, v136, v183
	v_add_f32_e32 v143, v143, v144
	s_waitcnt vmcnt(13) lgkmcnt(0)
	v_mul_f32_e32 v144, v139, v187
	v_fma_f32 v104, v135, v184, -v104
	s_waitcnt vmcnt(12)
	v_fmac_f32_e32 v144, v140, v188
	v_add_f32_e32 v103, v103, v104
	v_mul_f32_e32 v104, v138, v185
	v_add_f32_e32 v147, v143, v144
	ds_read_b128 v[143:146], v102 offset:768
	v_fma_f32 v104, v137, v186, -v104
	v_add_f32_e32 v103, v103, v104
	v_mul_f32_e32 v104, v140, v187
	s_waitcnt vmcnt(11)
	v_mul_f32_e32 v148, v141, v189
	v_fma_f32 v104, v139, v188, -v104
	s_waitcnt vmcnt(10)
	v_fmac_f32_e32 v148, v142, v190
	v_add_f32_e32 v103, v103, v104
	v_mul_f32_e32 v104, v142, v189
	v_add_f32_e32 v201, v147, v148
	ds_read_b128 v[147:150], v102 offset:784
	v_fma_f32 v104, v141, v190, -v104
	v_add_f32_e32 v103, v103, v104
	s_waitcnt vmcnt(7) lgkmcnt(1)
	v_mul_f32_e32 v104, v144, v193
	v_mul_f32_e32 v102, v143, v193
	s_waitcnt vmcnt(6)
	v_fma_f32 v104, v143, v194, -v104
	v_fmac_f32_e32 v102, v144, v194
	v_add_f32_e32 v103, v103, v104
	s_waitcnt vmcnt(4)
	v_mul_f32_e32 v104, v146, v196
	v_add_f32_e32 v102, v201, v102
	v_mul_f32_e32 v201, v145, v196
	v_fma_f32 v104, v145, v195, -v104
	v_fmac_f32_e32 v201, v146, v195
	v_add_f32_e32 v103, v103, v104
	s_waitcnt vmcnt(2) lgkmcnt(0)
	v_mul_f32_e32 v104, v148, v198
	v_add_f32_e32 v102, v102, v201
	v_mul_f32_e32 v201, v147, v198
	v_fma_f32 v104, v147, v197, -v104
	v_fmac_f32_e32 v201, v148, v197
	v_add_f32_e32 v103, v103, v104
	s_waitcnt vmcnt(0)
	v_mul_f32_e32 v104, v150, v200
	v_add_f32_e32 v102, v102, v201
	v_mul_f32_e32 v201, v149, v200
	v_fma_f32 v104, v149, v199, -v104
	v_fmac_f32_e32 v201, v150, v199
	v_add_f32_e32 v103, v103, v104
	v_add_f32_e32 v102, v102, v201
	v_sub_f32_e32 v103, v191, v103
	v_sub_f32_e32 v102, v192, v102
	buffer_store_dword v103, off, s[0:3], 0 offset:200
	buffer_store_dword v102, off, s[0:3], 0 offset:204
	s_and_saveexec_b64 s[4:5], vcc
	s_cbranch_execz .LBB113_265
; %bb.264:
	buffer_load_dword v102, off, s[0:3], 0 offset:192
	buffer_load_dword v103, off, s[0:3], 0 offset:196
	v_mov_b32_e32 v104, 0
	buffer_store_dword v104, off, s[0:3], 0 offset:192
	buffer_store_dword v104, off, s[0:3], 0 offset:196
	s_waitcnt vmcnt(2)
	ds_write_b64 v101, v[102:103]
.LBB113_265:
	s_or_b64 exec, exec, s[4:5]
	s_waitcnt lgkmcnt(0)
	; wave barrier
	buffer_load_dword v153, off, s[0:3], 0 offset:204
	buffer_load_dword v154, off, s[0:3], 0 offset:212
	buffer_load_dword v155, off, s[0:3], 0 offset:220
	buffer_load_dword v156, off, s[0:3], 0 offset:228
	buffer_load_dword v157, off, s[0:3], 0 offset:236
	buffer_load_dword v158, off, s[0:3], 0 offset:244
	buffer_load_dword v159, off, s[0:3], 0 offset:252
	buffer_load_dword v160, off, s[0:3], 0 offset:260
	buffer_load_dword v161, off, s[0:3], 0 offset:268
	buffer_load_dword v162, off, s[0:3], 0 offset:276
	buffer_load_dword v163, off, s[0:3], 0 offset:284
	buffer_load_dword v164, off, s[0:3], 0 offset:200
	buffer_load_dword v165, off, s[0:3], 0 offset:208
	buffer_load_dword v166, off, s[0:3], 0 offset:216
	buffer_load_dword v167, off, s[0:3], 0 offset:224
	buffer_load_dword v168, off, s[0:3], 0 offset:232
	buffer_load_dword v169, off, s[0:3], 0 offset:240
	buffer_load_dword v170, off, s[0:3], 0 offset:248
	buffer_load_dword v171, off, s[0:3], 0 offset:256
	buffer_load_dword v172, off, s[0:3], 0 offset:264
	buffer_load_dword v173, off, s[0:3], 0 offset:272
	buffer_load_dword v174, off, s[0:3], 0 offset:280
	buffer_load_dword v175, off, s[0:3], 0 offset:292
	buffer_load_dword v176, off, s[0:3], 0 offset:288
	buffer_load_dword v177, off, s[0:3], 0 offset:300
	buffer_load_dword v178, off, s[0:3], 0 offset:296
	buffer_load_dword v179, off, s[0:3], 0 offset:308
	buffer_load_dword v180, off, s[0:3], 0 offset:304
	buffer_load_dword v181, off, s[0:3], 0 offset:316
	buffer_load_dword v182, off, s[0:3], 0 offset:312
	buffer_load_dword v183, off, s[0:3], 0 offset:324
	buffer_load_dword v184, off, s[0:3], 0 offset:320
	buffer_load_dword v185, off, s[0:3], 0 offset:332
	buffer_load_dword v186, off, s[0:3], 0 offset:328
	buffer_load_dword v187, off, s[0:3], 0 offset:340
	buffer_load_dword v188, off, s[0:3], 0 offset:336
	buffer_load_dword v189, off, s[0:3], 0 offset:344
	buffer_load_dword v190, off, s[0:3], 0 offset:348
	buffer_load_dword v191, off, s[0:3], 0 offset:192
	buffer_load_dword v192, off, s[0:3], 0 offset:196
	buffer_load_dword v193, off, s[0:3], 0 offset:356
	buffer_load_dword v194, off, s[0:3], 0 offset:352
	buffer_load_dword v195, off, s[0:3], 0 offset:360
	buffer_load_dword v196, off, s[0:3], 0 offset:364
	buffer_load_dword v197, off, s[0:3], 0 offset:368
	buffer_load_dword v198, off, s[0:3], 0 offset:372
	buffer_load_dword v199, off, s[0:3], 0 offset:376
	buffer_load_dword v200, off, s[0:3], 0 offset:380
	buffer_load_dword v201, off, s[0:3], 0 offset:384
	buffer_load_dword v202, off, s[0:3], 0 offset:388
	buffer_load_dword v203, off, s[0:3], 0 offset:392
	buffer_load_dword v204, off, s[0:3], 0 offset:396
	v_mov_b32_e32 v102, 0
	ds_read2_b64 v[103:106], v102 offset0:75 offset1:76
	ds_read2_b64 v[107:110], v102 offset0:77 offset1:78
	;; [unrolled: 1-line block ×6, first 2 shown]
	v_cmp_lt_u32_e32 vcc, 23, v0
	s_waitcnt vmcnt(51) lgkmcnt(5)
	v_mul_f32_e32 v127, v103, v153
	s_waitcnt vmcnt(50)
	v_mul_f32_e32 v128, v105, v154
	s_waitcnt vmcnt(49) lgkmcnt(4)
	v_mul_f32_e32 v129, v107, v155
	s_waitcnt vmcnt(48)
	v_mul_f32_e32 v130, v109, v156
	;; [unrolled: 4-line block ×5, first 2 shown]
	s_waitcnt vmcnt(41) lgkmcnt(0)
	v_mul_f32_e32 v137, v123, v163
	s_waitcnt vmcnt(40)
	v_fmac_f32_e32 v127, v104, v164
	v_mul_f32_e32 v104, v104, v153
	s_waitcnt vmcnt(39)
	v_fmac_f32_e32 v128, v106, v165
	v_add_f32_e32 v127, 0, v127
	v_fma_f32 v103, v103, v164, -v104
	v_mul_f32_e32 v104, v106, v154
	s_waitcnt vmcnt(38)
	v_fmac_f32_e32 v129, v108, v166
	v_add_f32_e32 v127, v127, v128
	v_add_f32_e32 v103, 0, v103
	v_fma_f32 v104, v105, v165, -v104
	s_waitcnt vmcnt(37)
	v_fmac_f32_e32 v130, v110, v167
	v_add_f32_e32 v127, v127, v129
	v_add_f32_e32 v103, v103, v104
	v_mul_f32_e32 v104, v108, v155
	s_waitcnt vmcnt(36)
	v_fmac_f32_e32 v131, v112, v168
	v_add_f32_e32 v127, v127, v130
	v_fma_f32 v104, v107, v166, -v104
	s_waitcnt vmcnt(35)
	v_fmac_f32_e32 v132, v114, v169
	v_add_f32_e32 v127, v127, v131
	v_add_f32_e32 v103, v103, v104
	v_mul_f32_e32 v104, v110, v156
	s_waitcnt vmcnt(34)
	v_fmac_f32_e32 v133, v116, v170
	;; [unrolled: 9-line block ×3, first 2 shown]
	v_add_f32_e32 v127, v127, v134
	v_fma_f32 v104, v111, v168, -v104
	s_waitcnt vmcnt(31)
	v_fmac_f32_e32 v136, v122, v173
	v_add_f32_e32 v127, v127, v135
	v_add_f32_e32 v103, v103, v104
	v_mul_f32_e32 v104, v114, v158
	v_add_f32_e32 v127, v127, v136
	s_waitcnt vmcnt(30)
	v_fmac_f32_e32 v137, v124, v174
	v_fma_f32 v104, v113, v169, -v104
	v_add_f32_e32 v131, v127, v137
	ds_read2_b64 v[127:130], v102 offset0:87 offset1:88
	v_add_f32_e32 v103, v103, v104
	v_mul_f32_e32 v104, v116, v159
	v_fma_f32 v104, v115, v170, -v104
	s_waitcnt vmcnt(29)
	v_mul_f32_e32 v132, v125, v175
	v_add_f32_e32 v103, v103, v104
	v_mul_f32_e32 v104, v118, v160
	s_waitcnt vmcnt(28)
	v_fmac_f32_e32 v132, v126, v176
	v_fma_f32 v104, v117, v171, -v104
	v_add_f32_e32 v135, v131, v132
	ds_read2_b64 v[131:134], v102 offset0:89 offset1:90
	v_add_f32_e32 v103, v103, v104
	v_mul_f32_e32 v104, v120, v161
	s_waitcnt vmcnt(27) lgkmcnt(1)
	v_mul_f32_e32 v136, v127, v177
	v_fma_f32 v104, v119, v172, -v104
	s_waitcnt vmcnt(26)
	v_fmac_f32_e32 v136, v128, v178
	v_add_f32_e32 v103, v103, v104
	v_mul_f32_e32 v104, v122, v162
	v_add_f32_e32 v135, v135, v136
	s_waitcnt vmcnt(25)
	v_mul_f32_e32 v136, v129, v179
	v_fma_f32 v104, v121, v173, -v104
	s_waitcnt vmcnt(24)
	v_fmac_f32_e32 v136, v130, v180
	v_add_f32_e32 v103, v103, v104
	v_mul_f32_e32 v104, v124, v163
	v_add_f32_e32 v135, v135, v136
	s_waitcnt vmcnt(23) lgkmcnt(0)
	v_mul_f32_e32 v136, v131, v181
	v_fma_f32 v104, v123, v174, -v104
	s_waitcnt vmcnt(22)
	v_fmac_f32_e32 v136, v132, v182
	v_add_f32_e32 v103, v103, v104
	v_mul_f32_e32 v104, v126, v175
	v_add_f32_e32 v139, v135, v136
	ds_read2_b64 v[135:138], v102 offset0:91 offset1:92
	v_fma_f32 v104, v125, v176, -v104
	v_add_f32_e32 v103, v103, v104
	v_mul_f32_e32 v104, v128, v177
	s_waitcnt vmcnt(21)
	v_mul_f32_e32 v140, v133, v183
	v_fma_f32 v104, v127, v178, -v104
	s_waitcnt vmcnt(20)
	v_fmac_f32_e32 v140, v134, v184
	v_add_f32_e32 v103, v103, v104
	v_mul_f32_e32 v104, v130, v179
	v_add_f32_e32 v143, v139, v140
	ds_read2_b64 v[139:142], v102 offset0:93 offset1:94
	v_fma_f32 v104, v129, v180, -v104
	s_waitcnt vmcnt(19) lgkmcnt(1)
	v_mul_f32_e32 v144, v135, v185
	v_add_f32_e32 v103, v103, v104
	v_mul_f32_e32 v104, v132, v181
	s_waitcnt vmcnt(18)
	v_fmac_f32_e32 v144, v136, v186
	v_fma_f32 v104, v131, v182, -v104
	v_add_f32_e32 v143, v143, v144
	s_waitcnt vmcnt(17)
	v_mul_f32_e32 v144, v137, v187
	v_add_f32_e32 v103, v103, v104
	v_mul_f32_e32 v104, v134, v183
	s_waitcnt vmcnt(16)
	v_fmac_f32_e32 v144, v138, v188
	v_fma_f32 v104, v133, v184, -v104
	v_add_f32_e32 v143, v143, v144
	s_waitcnt vmcnt(14) lgkmcnt(0)
	v_mul_f32_e32 v144, v139, v190
	v_add_f32_e32 v103, v103, v104
	v_mul_f32_e32 v104, v136, v185
	v_fmac_f32_e32 v144, v140, v189
	v_fma_f32 v104, v135, v186, -v104
	v_add_f32_e32 v147, v143, v144
	ds_read2_b64 v[143:146], v102 offset0:95 offset1:96
	v_add_f32_e32 v103, v103, v104
	v_mul_f32_e32 v104, v138, v187
	v_fma_f32 v104, v137, v188, -v104
	v_add_f32_e32 v103, v103, v104
	v_mul_f32_e32 v104, v140, v190
	s_waitcnt vmcnt(11)
	v_mul_f32_e32 v148, v141, v193
	v_fma_f32 v104, v139, v189, -v104
	s_waitcnt vmcnt(10)
	v_fmac_f32_e32 v148, v142, v194
	v_add_f32_e32 v103, v103, v104
	v_mul_f32_e32 v104, v142, v193
	v_add_f32_e32 v151, v147, v148
	ds_read2_b64 v[147:150], v102 offset0:97 offset1:98
	s_waitcnt vmcnt(8) lgkmcnt(1)
	v_mul_f32_e32 v152, v143, v196
	v_fma_f32 v104, v141, v194, -v104
	v_fmac_f32_e32 v152, v144, v195
	v_add_f32_e32 v103, v103, v104
	v_mul_f32_e32 v104, v144, v196
	v_add_f32_e32 v151, v151, v152
	s_waitcnt vmcnt(6)
	v_mul_f32_e32 v152, v145, v198
	v_fma_f32 v104, v143, v195, -v104
	v_fmac_f32_e32 v152, v146, v197
	v_add_f32_e32 v103, v103, v104
	v_mul_f32_e32 v104, v146, v198
	v_add_f32_e32 v205, v151, v152
	ds_read_b64 v[151:152], v102 offset:792
	v_fma_f32 v104, v145, v197, -v104
	v_add_f32_e32 v103, v103, v104
	s_waitcnt vmcnt(4) lgkmcnt(1)
	v_mul_f32_e32 v104, v148, v200
	v_mul_f32_e32 v206, v147, v200
	v_fma_f32 v104, v147, v199, -v104
	v_fmac_f32_e32 v206, v148, v199
	v_add_f32_e32 v103, v103, v104
	s_waitcnt vmcnt(2)
	v_mul_f32_e32 v104, v150, v202
	v_add_f32_e32 v205, v205, v206
	v_mul_f32_e32 v206, v149, v202
	v_fma_f32 v104, v149, v201, -v104
	v_fmac_f32_e32 v206, v150, v201
	v_add_f32_e32 v103, v103, v104
	s_waitcnt vmcnt(0) lgkmcnt(0)
	v_mul_f32_e32 v104, v152, v204
	v_add_f32_e32 v205, v205, v206
	v_mul_f32_e32 v206, v151, v204
	v_fma_f32 v104, v151, v203, -v104
	v_fmac_f32_e32 v206, v152, v203
	v_add_f32_e32 v103, v103, v104
	v_add_f32_e32 v205, v205, v206
	v_sub_f32_e32 v103, v191, v103
	v_sub_f32_e32 v104, v192, v205
	buffer_store_dword v103, off, s[0:3], 0 offset:192
	buffer_store_dword v104, off, s[0:3], 0 offset:196
	s_and_saveexec_b64 s[4:5], vcc
	s_cbranch_execz .LBB113_267
; %bb.266:
	buffer_load_dword v103, off, s[0:3], 0 offset:184
	buffer_load_dword v104, off, s[0:3], 0 offset:188
	s_waitcnt vmcnt(0)
	ds_write_b64 v101, v[103:104]
	buffer_store_dword v102, off, s[0:3], 0 offset:184
	buffer_store_dword v102, off, s[0:3], 0 offset:188
.LBB113_267:
	s_or_b64 exec, exec, s[4:5]
	s_waitcnt lgkmcnt(0)
	; wave barrier
	buffer_load_dword v155, off, s[0:3], 0 offset:196
	buffer_load_dword v156, off, s[0:3], 0 offset:204
	;; [unrolled: 1-line block ×42, first 2 shown]
	ds_read_b128 v[103:106], v102 offset:592
	ds_read_b128 v[107:110], v102 offset:608
	;; [unrolled: 1-line block ×4, first 2 shown]
	buffer_load_dword v197, off, s[0:3], 0 offset:356
	buffer_load_dword v198, off, s[0:3], 0 offset:352
	buffer_load_dword v199, off, s[0:3], 0 offset:360
	buffer_load_dword v200, off, s[0:3], 0 offset:364
	buffer_load_dword v201, off, s[0:3], 0 offset:368
	buffer_load_dword v202, off, s[0:3], 0 offset:372
	ds_read_b128 v[119:122], v102 offset:656
	ds_read_b128 v[123:126], v102 offset:672
	buffer_load_dword v203, off, s[0:3], 0 offset:376
	buffer_load_dword v204, off, s[0:3], 0 offset:380
	;; [unrolled: 1-line block ×6, first 2 shown]
	v_cmp_lt_u32_e32 vcc, 22, v0
	s_waitcnt vmcnt(53) lgkmcnt(5)
	v_mul_f32_e32 v127, v103, v155
	s_waitcnt vmcnt(52)
	v_mul_f32_e32 v128, v105, v156
	s_waitcnt vmcnt(51) lgkmcnt(4)
	v_mul_f32_e32 v129, v107, v157
	s_waitcnt vmcnt(50)
	v_mul_f32_e32 v130, v109, v158
	;; [unrolled: 4-line block ×5, first 2 shown]
	s_waitcnt vmcnt(43)
	v_fmac_f32_e32 v127, v104, v165
	v_mul_f32_e32 v104, v104, v155
	s_waitcnt vmcnt(42)
	v_fmac_f32_e32 v128, v106, v166
	v_add_f32_e32 v127, 0, v127
	v_fma_f32 v103, v103, v165, -v104
	v_mul_f32_e32 v104, v106, v156
	s_waitcnt vmcnt(41)
	v_fmac_f32_e32 v129, v108, v167
	v_add_f32_e32 v127, v127, v128
	v_add_f32_e32 v103, 0, v103
	v_fma_f32 v104, v105, v166, -v104
	s_waitcnt vmcnt(40)
	v_fmac_f32_e32 v130, v110, v168
	v_add_f32_e32 v127, v127, v129
	v_add_f32_e32 v103, v103, v104
	v_mul_f32_e32 v104, v108, v157
	s_waitcnt vmcnt(39)
	v_fmac_f32_e32 v131, v112, v169
	v_add_f32_e32 v127, v127, v130
	v_fma_f32 v104, v107, v167, -v104
	s_waitcnt vmcnt(38)
	v_fmac_f32_e32 v132, v114, v170
	v_add_f32_e32 v127, v127, v131
	v_add_f32_e32 v103, v103, v104
	v_mul_f32_e32 v104, v110, v158
	s_waitcnt vmcnt(37)
	v_fmac_f32_e32 v133, v116, v171
	;; [unrolled: 9-line block ×3, first 2 shown]
	v_add_f32_e32 v127, v127, v134
	v_fma_f32 v104, v111, v169, -v104
	s_waitcnt vmcnt(34)
	v_fmac_f32_e32 v136, v122, v174
	v_add_f32_e32 v127, v127, v135
	s_waitcnt vmcnt(33) lgkmcnt(0)
	v_mul_f32_e32 v128, v123, v175
	v_add_f32_e32 v103, v103, v104
	v_mul_f32_e32 v104, v114, v160
	v_add_f32_e32 v127, v127, v136
	s_waitcnt vmcnt(32)
	v_fmac_f32_e32 v128, v124, v176
	v_fma_f32 v104, v113, v170, -v104
	v_add_f32_e32 v131, v127, v128
	ds_read_b128 v[127:130], v102 offset:688
	v_add_f32_e32 v103, v103, v104
	v_mul_f32_e32 v104, v116, v161
	v_fma_f32 v104, v115, v171, -v104
	s_waitcnt vmcnt(31)
	v_mul_f32_e32 v132, v125, v177
	v_add_f32_e32 v103, v103, v104
	v_mul_f32_e32 v104, v118, v162
	s_waitcnt vmcnt(30)
	v_fmac_f32_e32 v132, v126, v178
	v_fma_f32 v104, v117, v172, -v104
	v_add_f32_e32 v135, v131, v132
	ds_read_b128 v[131:134], v102 offset:704
	v_add_f32_e32 v103, v103, v104
	v_mul_f32_e32 v104, v120, v163
	s_waitcnt vmcnt(29) lgkmcnt(1)
	v_mul_f32_e32 v136, v127, v179
	v_fma_f32 v104, v119, v173, -v104
	s_waitcnt vmcnt(28)
	v_fmac_f32_e32 v136, v128, v180
	v_add_f32_e32 v103, v103, v104
	v_mul_f32_e32 v104, v122, v164
	v_add_f32_e32 v135, v135, v136
	s_waitcnt vmcnt(27)
	v_mul_f32_e32 v136, v129, v181
	v_fma_f32 v104, v121, v174, -v104
	s_waitcnt vmcnt(26)
	v_fmac_f32_e32 v136, v130, v182
	v_add_f32_e32 v103, v103, v104
	v_mul_f32_e32 v104, v124, v175
	v_add_f32_e32 v135, v135, v136
	s_waitcnt vmcnt(25) lgkmcnt(0)
	v_mul_f32_e32 v136, v131, v183
	v_fma_f32 v104, v123, v176, -v104
	s_waitcnt vmcnt(24)
	v_fmac_f32_e32 v136, v132, v184
	v_add_f32_e32 v103, v103, v104
	v_mul_f32_e32 v104, v126, v177
	v_add_f32_e32 v139, v135, v136
	ds_read_b128 v[135:138], v102 offset:720
	v_fma_f32 v104, v125, v178, -v104
	v_add_f32_e32 v103, v103, v104
	v_mul_f32_e32 v104, v128, v179
	s_waitcnt vmcnt(23)
	v_mul_f32_e32 v140, v133, v185
	v_fma_f32 v104, v127, v180, -v104
	s_waitcnt vmcnt(22)
	v_fmac_f32_e32 v140, v134, v186
	v_add_f32_e32 v103, v103, v104
	v_mul_f32_e32 v104, v130, v181
	v_add_f32_e32 v143, v139, v140
	ds_read_b128 v[139:142], v102 offset:736
	v_fma_f32 v104, v129, v182, -v104
	s_waitcnt vmcnt(21) lgkmcnt(1)
	v_mul_f32_e32 v144, v135, v187
	v_add_f32_e32 v103, v103, v104
	v_mul_f32_e32 v104, v132, v183
	s_waitcnt vmcnt(20)
	v_fmac_f32_e32 v144, v136, v188
	v_fma_f32 v104, v131, v184, -v104
	v_add_f32_e32 v143, v143, v144
	s_waitcnt vmcnt(18)
	v_mul_f32_e32 v144, v137, v190
	v_add_f32_e32 v103, v103, v104
	v_mul_f32_e32 v104, v134, v185
	v_fmac_f32_e32 v144, v138, v189
	v_fma_f32 v104, v133, v186, -v104
	v_add_f32_e32 v143, v143, v144
	s_waitcnt vmcnt(15) lgkmcnt(0)
	v_mul_f32_e32 v144, v139, v193
	v_add_f32_e32 v103, v103, v104
	v_mul_f32_e32 v104, v136, v187
	s_waitcnt vmcnt(14)
	v_fmac_f32_e32 v144, v140, v194
	v_fma_f32 v104, v135, v188, -v104
	v_add_f32_e32 v147, v143, v144
	ds_read_b128 v[143:146], v102 offset:752
	v_add_f32_e32 v103, v103, v104
	v_mul_f32_e32 v104, v138, v190
	v_fma_f32 v104, v137, v189, -v104
	v_add_f32_e32 v103, v103, v104
	v_mul_f32_e32 v104, v140, v193
	s_waitcnt vmcnt(12)
	v_mul_f32_e32 v148, v141, v196
	v_fma_f32 v104, v139, v194, -v104
	v_fmac_f32_e32 v148, v142, v195
	v_add_f32_e32 v103, v103, v104
	v_mul_f32_e32 v104, v142, v196
	v_add_f32_e32 v151, v147, v148
	ds_read_b128 v[147:150], v102 offset:768
	s_waitcnt vmcnt(11) lgkmcnt(1)
	v_mul_f32_e32 v152, v143, v197
	v_fma_f32 v104, v141, v195, -v104
	s_waitcnt vmcnt(10)
	v_fmac_f32_e32 v152, v144, v198
	v_add_f32_e32 v103, v103, v104
	v_mul_f32_e32 v104, v144, v197
	v_add_f32_e32 v151, v151, v152
	s_waitcnt vmcnt(8)
	v_mul_f32_e32 v152, v145, v200
	v_fma_f32 v104, v143, v198, -v104
	v_fmac_f32_e32 v152, v146, v199
	v_add_f32_e32 v103, v103, v104
	v_mul_f32_e32 v104, v146, v200
	v_add_f32_e32 v209, v151, v152
	ds_read_b128 v[151:154], v102 offset:784
	v_fma_f32 v104, v145, v199, -v104
	v_add_f32_e32 v103, v103, v104
	s_waitcnt vmcnt(6) lgkmcnt(1)
	v_mul_f32_e32 v104, v148, v202
	v_mul_f32_e32 v210, v147, v202
	v_fma_f32 v104, v147, v201, -v104
	v_fmac_f32_e32 v210, v148, v201
	v_add_f32_e32 v103, v103, v104
	s_waitcnt vmcnt(4)
	v_mul_f32_e32 v104, v150, v204
	v_add_f32_e32 v102, v209, v210
	v_mul_f32_e32 v209, v149, v204
	v_fma_f32 v104, v149, v203, -v104
	v_fmac_f32_e32 v209, v150, v203
	v_add_f32_e32 v103, v103, v104
	s_waitcnt vmcnt(2) lgkmcnt(0)
	v_mul_f32_e32 v104, v152, v206
	v_add_f32_e32 v102, v102, v209
	v_mul_f32_e32 v209, v151, v206
	v_fma_f32 v104, v151, v205, -v104
	v_fmac_f32_e32 v209, v152, v205
	v_add_f32_e32 v103, v103, v104
	s_waitcnt vmcnt(0)
	v_mul_f32_e32 v104, v154, v208
	v_add_f32_e32 v102, v102, v209
	v_mul_f32_e32 v209, v153, v208
	v_fma_f32 v104, v153, v207, -v104
	v_fmac_f32_e32 v209, v154, v207
	v_add_f32_e32 v103, v103, v104
	v_add_f32_e32 v102, v102, v209
	v_sub_f32_e32 v103, v191, v103
	v_sub_f32_e32 v102, v192, v102
	buffer_store_dword v103, off, s[0:3], 0 offset:184
	buffer_store_dword v102, off, s[0:3], 0 offset:188
	s_and_saveexec_b64 s[4:5], vcc
	s_cbranch_execz .LBB113_269
; %bb.268:
	buffer_load_dword v102, off, s[0:3], 0 offset:176
	buffer_load_dword v103, off, s[0:3], 0 offset:180
	v_mov_b32_e32 v104, 0
	buffer_store_dword v104, off, s[0:3], 0 offset:176
	buffer_store_dword v104, off, s[0:3], 0 offset:180
	s_waitcnt vmcnt(2)
	ds_write_b64 v101, v[102:103]
.LBB113_269:
	s_or_b64 exec, exec, s[4:5]
	s_waitcnt lgkmcnt(0)
	; wave barrier
	buffer_load_dword v157, off, s[0:3], 0 offset:188
	buffer_load_dword v158, off, s[0:3], 0 offset:196
	;; [unrolled: 1-line block ×56, first 2 shown]
	v_mov_b32_e32 v102, 0
	ds_read2_b64 v[103:106], v102 offset0:73 offset1:74
	ds_read2_b64 v[107:110], v102 offset0:75 offset1:76
	;; [unrolled: 1-line block ×6, first 2 shown]
	v_cmp_lt_u32_e32 vcc, 21, v0
	s_waitcnt vmcnt(55) lgkmcnt(5)
	v_mul_f32_e32 v127, v103, v157
	s_waitcnt vmcnt(54)
	v_mul_f32_e32 v128, v105, v158
	s_waitcnt vmcnt(53) lgkmcnt(4)
	v_mul_f32_e32 v129, v107, v159
	s_waitcnt vmcnt(52)
	v_mul_f32_e32 v130, v109, v160
	s_waitcnt vmcnt(51) lgkmcnt(3)
	v_mul_f32_e32 v131, v111, v161
	s_waitcnt vmcnt(50)
	v_mul_f32_e32 v132, v113, v162
	s_waitcnt vmcnt(49) lgkmcnt(2)
	v_mul_f32_e32 v133, v115, v163
	s_waitcnt vmcnt(48)
	v_mul_f32_e32 v134, v117, v164
	s_waitcnt vmcnt(47) lgkmcnt(1)
	v_mul_f32_e32 v135, v119, v165
	s_waitcnt vmcnt(46)
	v_fmac_f32_e32 v127, v104, v166
	s_waitcnt vmcnt(45)
	v_fmac_f32_e32 v128, v106, v167
	v_add_f32_e32 v127, 0, v127
	s_waitcnt vmcnt(44)
	v_fmac_f32_e32 v129, v108, v168
	v_add_f32_e32 v127, v127, v128
	;; [unrolled: 3-line block ×3, first 2 shown]
	v_mul_f32_e32 v104, v104, v157
	s_waitcnt vmcnt(42)
	v_fmac_f32_e32 v131, v112, v170
	v_add_f32_e32 v127, v127, v130
	v_fma_f32 v103, v103, v166, -v104
	v_mul_f32_e32 v104, v106, v158
	s_waitcnt vmcnt(41)
	v_fmac_f32_e32 v132, v114, v171
	v_add_f32_e32 v127, v127, v131
	v_add_f32_e32 v103, 0, v103
	v_fma_f32 v104, v105, v167, -v104
	s_waitcnt vmcnt(40)
	v_fmac_f32_e32 v133, v116, v172
	v_add_f32_e32 v127, v127, v132
	v_add_f32_e32 v103, v103, v104
	v_mul_f32_e32 v104, v108, v159
	s_waitcnt vmcnt(39)
	v_fmac_f32_e32 v134, v118, v173
	v_add_f32_e32 v127, v127, v133
	v_fma_f32 v104, v107, v168, -v104
	v_add_f32_e32 v127, v127, v134
	s_waitcnt vmcnt(38)
	v_fmac_f32_e32 v135, v120, v174
	s_waitcnt vmcnt(37)
	v_mul_f32_e32 v128, v121, v175
	v_add_f32_e32 v103, v103, v104
	v_mul_f32_e32 v104, v110, v160
	v_add_f32_e32 v127, v127, v135
	s_waitcnt vmcnt(36)
	v_fmac_f32_e32 v128, v122, v176
	v_fma_f32 v104, v109, v169, -v104
	v_add_f32_e32 v127, v127, v128
	s_waitcnt vmcnt(35) lgkmcnt(0)
	v_mul_f32_e32 v128, v123, v177
	v_add_f32_e32 v103, v103, v104
	v_mul_f32_e32 v104, v112, v161
	s_waitcnt vmcnt(34)
	v_fmac_f32_e32 v128, v124, v178
	v_fma_f32 v104, v111, v170, -v104
	v_add_f32_e32 v131, v127, v128
	ds_read2_b64 v[127:130], v102 offset0:85 offset1:86
	v_add_f32_e32 v103, v103, v104
	v_mul_f32_e32 v104, v114, v162
	v_fma_f32 v104, v113, v171, -v104
	s_waitcnt vmcnt(33)
	v_mul_f32_e32 v132, v125, v179
	v_add_f32_e32 v103, v103, v104
	v_mul_f32_e32 v104, v116, v163
	s_waitcnt vmcnt(32)
	v_fmac_f32_e32 v132, v126, v180
	v_fma_f32 v104, v115, v172, -v104
	v_add_f32_e32 v135, v131, v132
	ds_read2_b64 v[131:134], v102 offset0:87 offset1:88
	v_add_f32_e32 v103, v103, v104
	v_mul_f32_e32 v104, v118, v164
	s_waitcnt vmcnt(31) lgkmcnt(1)
	v_mul_f32_e32 v136, v127, v181
	v_fma_f32 v104, v117, v173, -v104
	s_waitcnt vmcnt(30)
	v_fmac_f32_e32 v136, v128, v182
	v_add_f32_e32 v103, v103, v104
	v_mul_f32_e32 v104, v120, v165
	v_add_f32_e32 v135, v135, v136
	s_waitcnt vmcnt(29)
	v_mul_f32_e32 v136, v129, v183
	v_fma_f32 v104, v119, v174, -v104
	s_waitcnt vmcnt(28)
	v_fmac_f32_e32 v136, v130, v184
	v_add_f32_e32 v103, v103, v104
	v_mul_f32_e32 v104, v122, v175
	v_add_f32_e32 v135, v135, v136
	s_waitcnt vmcnt(27) lgkmcnt(0)
	v_mul_f32_e32 v136, v131, v185
	v_fma_f32 v104, v121, v176, -v104
	s_waitcnt vmcnt(26)
	v_fmac_f32_e32 v136, v132, v186
	v_add_f32_e32 v103, v103, v104
	v_mul_f32_e32 v104, v124, v177
	v_add_f32_e32 v139, v135, v136
	ds_read2_b64 v[135:138], v102 offset0:89 offset1:90
	v_fma_f32 v104, v123, v178, -v104
	v_add_f32_e32 v103, v103, v104
	v_mul_f32_e32 v104, v126, v179
	s_waitcnt vmcnt(24)
	v_mul_f32_e32 v140, v133, v188
	v_fma_f32 v104, v125, v180, -v104
	v_fmac_f32_e32 v140, v134, v187
	v_add_f32_e32 v103, v103, v104
	v_mul_f32_e32 v104, v128, v181
	v_add_f32_e32 v143, v139, v140
	ds_read2_b64 v[139:142], v102 offset0:91 offset1:92
	v_fma_f32 v104, v127, v182, -v104
	s_waitcnt vmcnt(21) lgkmcnt(1)
	v_mul_f32_e32 v144, v135, v191
	v_add_f32_e32 v103, v103, v104
	v_mul_f32_e32 v104, v130, v183
	s_waitcnt vmcnt(20)
	v_fmac_f32_e32 v144, v136, v192
	v_fma_f32 v104, v129, v184, -v104
	v_add_f32_e32 v143, v143, v144
	s_waitcnt vmcnt(18)
	v_mul_f32_e32 v144, v137, v194
	v_add_f32_e32 v103, v103, v104
	v_mul_f32_e32 v104, v132, v185
	v_fmac_f32_e32 v144, v138, v193
	v_fma_f32 v104, v131, v186, -v104
	v_add_f32_e32 v143, v143, v144
	s_waitcnt vmcnt(16) lgkmcnt(0)
	v_mul_f32_e32 v144, v139, v196
	v_add_f32_e32 v103, v103, v104
	v_mul_f32_e32 v104, v134, v188
	v_fmac_f32_e32 v144, v140, v195
	v_fma_f32 v104, v133, v187, -v104
	v_add_f32_e32 v147, v143, v144
	ds_read2_b64 v[143:146], v102 offset0:93 offset1:94
	v_add_f32_e32 v103, v103, v104
	v_mul_f32_e32 v104, v136, v191
	v_fma_f32 v104, v135, v192, -v104
	s_waitcnt vmcnt(14)
	v_mul_f32_e32 v148, v141, v198
	v_add_f32_e32 v103, v103, v104
	v_mul_f32_e32 v104, v138, v194
	v_fmac_f32_e32 v148, v142, v197
	v_fma_f32 v104, v137, v193, -v104
	v_add_f32_e32 v151, v147, v148
	ds_read2_b64 v[147:150], v102 offset0:95 offset1:96
	v_add_f32_e32 v103, v103, v104
	v_mul_f32_e32 v104, v140, v196
	s_waitcnt vmcnt(12) lgkmcnt(1)
	v_mul_f32_e32 v152, v143, v200
	v_fma_f32 v104, v139, v195, -v104
	v_fmac_f32_e32 v152, v144, v199
	v_add_f32_e32 v103, v103, v104
	v_mul_f32_e32 v104, v142, v198
	v_add_f32_e32 v151, v151, v152
	s_waitcnt vmcnt(10)
	v_mul_f32_e32 v152, v145, v202
	v_fma_f32 v104, v141, v197, -v104
	v_fmac_f32_e32 v152, v146, v201
	v_add_f32_e32 v103, v103, v104
	v_mul_f32_e32 v104, v144, v200
	v_add_f32_e32 v151, v151, v152
	s_waitcnt vmcnt(8) lgkmcnt(0)
	v_mul_f32_e32 v152, v147, v204
	v_fma_f32 v104, v143, v199, -v104
	v_fmac_f32_e32 v152, v148, v203
	v_add_f32_e32 v103, v103, v104
	v_mul_f32_e32 v104, v146, v202
	v_add_f32_e32 v155, v151, v152
	ds_read2_b64 v[151:154], v102 offset0:97 offset1:98
	v_fma_f32 v104, v145, v201, -v104
	v_add_f32_e32 v103, v103, v104
	v_mul_f32_e32 v104, v148, v204
	s_waitcnt vmcnt(6)
	v_mul_f32_e32 v156, v149, v206
	v_fma_f32 v104, v147, v203, -v104
	v_fmac_f32_e32 v156, v150, v205
	v_add_f32_e32 v103, v103, v104
	v_mul_f32_e32 v104, v150, v206
	v_add_f32_e32 v213, v155, v156
	ds_read_b64 v[155:156], v102 offset:792
	v_fma_f32 v104, v149, v205, -v104
	v_add_f32_e32 v103, v103, v104
	s_waitcnt vmcnt(4) lgkmcnt(1)
	v_mul_f32_e32 v104, v152, v208
	v_mul_f32_e32 v214, v151, v208
	v_fma_f32 v104, v151, v207, -v104
	v_fmac_f32_e32 v214, v152, v207
	v_add_f32_e32 v103, v103, v104
	s_waitcnt vmcnt(2)
	v_mul_f32_e32 v104, v154, v210
	v_add_f32_e32 v213, v213, v214
	v_mul_f32_e32 v214, v153, v210
	v_fma_f32 v104, v153, v209, -v104
	v_fmac_f32_e32 v214, v154, v209
	v_add_f32_e32 v103, v103, v104
	s_waitcnt vmcnt(0) lgkmcnt(0)
	v_mul_f32_e32 v104, v156, v212
	v_add_f32_e32 v213, v213, v214
	v_mul_f32_e32 v214, v155, v212
	v_fma_f32 v104, v155, v211, -v104
	v_fmac_f32_e32 v214, v156, v211
	v_add_f32_e32 v103, v103, v104
	v_add_f32_e32 v213, v213, v214
	v_sub_f32_e32 v103, v189, v103
	v_sub_f32_e32 v104, v190, v213
	buffer_store_dword v103, off, s[0:3], 0 offset:176
	buffer_store_dword v104, off, s[0:3], 0 offset:180
	s_and_saveexec_b64 s[4:5], vcc
	s_cbranch_execz .LBB113_271
; %bb.270:
	buffer_load_dword v103, off, s[0:3], 0 offset:168
	buffer_load_dword v104, off, s[0:3], 0 offset:172
	s_waitcnt vmcnt(0)
	ds_write_b64 v101, v[103:104]
	buffer_store_dword v102, off, s[0:3], 0 offset:168
	buffer_store_dword v102, off, s[0:3], 0 offset:172
.LBB113_271:
	s_or_b64 exec, exec, s[4:5]
	s_waitcnt lgkmcnt(0)
	; wave barrier
	buffer_load_dword v159, off, s[0:3], 0 offset:180
	buffer_load_dword v160, off, s[0:3], 0 offset:188
	;; [unrolled: 1-line block ×34, first 2 shown]
	ds_read_b128 v[103:106], v102 offset:576
	ds_read_b128 v[107:110], v102 offset:592
	buffer_load_dword v193, off, s[0:3], 0 offset:308
	buffer_load_dword v194, off, s[0:3], 0 offset:304
	;; [unrolled: 1-line block ×6, first 2 shown]
	ds_read_b128 v[111:114], v102 offset:608
	ds_read_b128 v[115:118], v102 offset:624
	;; [unrolled: 1-line block ×4, first 2 shown]
	buffer_load_dword v199, off, s[0:3], 0 offset:332
	buffer_load_dword v200, off, s[0:3], 0 offset:328
	;; [unrolled: 1-line block ×18, first 2 shown]
	v_cmp_lt_u32_e32 vcc, 20, v0
	s_waitcnt vmcnt(57) lgkmcnt(5)
	v_mul_f32_e32 v127, v103, v159
	s_waitcnt vmcnt(56)
	v_mul_f32_e32 v128, v105, v160
	s_waitcnt vmcnt(55) lgkmcnt(4)
	v_mul_f32_e32 v129, v107, v161
	s_waitcnt vmcnt(54)
	v_mul_f32_e32 v130, v109, v162
	;; [unrolled: 4-line block ×4, first 2 shown]
	s_waitcnt vmcnt(49)
	v_fmac_f32_e32 v127, v104, v167
	s_waitcnt vmcnt(48)
	v_fmac_f32_e32 v128, v106, v168
	v_add_f32_e32 v127, 0, v127
	s_waitcnt vmcnt(47)
	v_fmac_f32_e32 v129, v108, v169
	v_add_f32_e32 v127, v127, v128
	;; [unrolled: 3-line block ×4, first 2 shown]
	v_mul_f32_e32 v104, v104, v159
	s_waitcnt vmcnt(44)
	v_fmac_f32_e32 v132, v114, v172
	v_add_f32_e32 v127, v127, v131
	v_fma_f32 v103, v103, v167, -v104
	v_mul_f32_e32 v104, v106, v160
	s_waitcnt vmcnt(43)
	v_fmac_f32_e32 v133, v116, v173
	v_add_f32_e32 v127, v127, v132
	v_add_f32_e32 v103, 0, v103
	v_fma_f32 v104, v105, v168, -v104
	s_waitcnt vmcnt(42)
	v_fmac_f32_e32 v134, v118, v174
	v_add_f32_e32 v127, v127, v133
	s_waitcnt vmcnt(41) lgkmcnt(1)
	v_mul_f32_e32 v128, v119, v175
	v_add_f32_e32 v103, v103, v104
	v_mul_f32_e32 v104, v108, v161
	v_add_f32_e32 v127, v127, v134
	s_waitcnt vmcnt(40)
	v_fmac_f32_e32 v128, v120, v176
	v_fma_f32 v104, v107, v169, -v104
	v_add_f32_e32 v127, v127, v128
	s_waitcnt vmcnt(39)
	v_mul_f32_e32 v128, v121, v177
	v_add_f32_e32 v103, v103, v104
	v_mul_f32_e32 v104, v110, v162
	s_waitcnt vmcnt(38)
	v_fmac_f32_e32 v128, v122, v178
	v_fma_f32 v104, v109, v170, -v104
	v_add_f32_e32 v127, v127, v128
	s_waitcnt vmcnt(37) lgkmcnt(0)
	v_mul_f32_e32 v128, v123, v179
	v_add_f32_e32 v103, v103, v104
	v_mul_f32_e32 v104, v112, v163
	s_waitcnt vmcnt(36)
	v_fmac_f32_e32 v128, v124, v180
	v_fma_f32 v104, v111, v171, -v104
	v_add_f32_e32 v131, v127, v128
	ds_read_b128 v[127:130], v102 offset:672
	v_add_f32_e32 v103, v103, v104
	v_mul_f32_e32 v104, v114, v164
	v_fma_f32 v104, v113, v172, -v104
	s_waitcnt vmcnt(35)
	v_mul_f32_e32 v132, v125, v181
	v_add_f32_e32 v103, v103, v104
	v_mul_f32_e32 v104, v116, v165
	s_waitcnt vmcnt(34)
	v_fmac_f32_e32 v132, v126, v182
	v_fma_f32 v104, v115, v173, -v104
	v_add_f32_e32 v135, v131, v132
	ds_read_b128 v[131:134], v102 offset:688
	v_add_f32_e32 v103, v103, v104
	v_mul_f32_e32 v104, v118, v166
	s_waitcnt vmcnt(33) lgkmcnt(1)
	v_mul_f32_e32 v136, v127, v183
	v_fma_f32 v104, v117, v174, -v104
	s_waitcnt vmcnt(32)
	v_fmac_f32_e32 v136, v128, v184
	v_add_f32_e32 v103, v103, v104
	v_mul_f32_e32 v104, v120, v175
	v_add_f32_e32 v135, v135, v136
	s_waitcnt vmcnt(31)
	v_mul_f32_e32 v136, v129, v185
	v_fma_f32 v104, v119, v176, -v104
	s_waitcnt vmcnt(30)
	v_fmac_f32_e32 v136, v130, v186
	v_add_f32_e32 v103, v103, v104
	v_mul_f32_e32 v104, v122, v177
	v_add_f32_e32 v135, v135, v136
	s_waitcnt vmcnt(29) lgkmcnt(0)
	v_mul_f32_e32 v136, v131, v187
	v_fma_f32 v104, v121, v178, -v104
	s_waitcnt vmcnt(28)
	v_fmac_f32_e32 v136, v132, v188
	v_add_f32_e32 v103, v103, v104
	v_mul_f32_e32 v104, v124, v179
	v_add_f32_e32 v139, v135, v136
	ds_read_b128 v[135:138], v102 offset:704
	v_fma_f32 v104, v123, v180, -v104
	v_add_f32_e32 v103, v103, v104
	v_mul_f32_e32 v104, v126, v181
	s_waitcnt vmcnt(25)
	v_mul_f32_e32 v140, v133, v191
	v_fma_f32 v104, v125, v182, -v104
	s_waitcnt vmcnt(24)
	v_fmac_f32_e32 v140, v134, v192
	v_add_f32_e32 v103, v103, v104
	v_mul_f32_e32 v104, v128, v183
	v_add_f32_e32 v143, v139, v140
	ds_read_b128 v[139:142], v102 offset:720
	v_fma_f32 v104, v127, v184, -v104
	s_waitcnt vmcnt(23) lgkmcnt(1)
	v_mul_f32_e32 v144, v135, v193
	v_add_f32_e32 v103, v103, v104
	v_mul_f32_e32 v104, v130, v185
	s_waitcnt vmcnt(22)
	v_fmac_f32_e32 v144, v136, v194
	v_fma_f32 v104, v129, v186, -v104
	v_add_f32_e32 v143, v143, v144
	s_waitcnt vmcnt(20)
	v_mul_f32_e32 v144, v137, v196
	v_add_f32_e32 v103, v103, v104
	v_mul_f32_e32 v104, v132, v187
	v_fmac_f32_e32 v144, v138, v195
	v_fma_f32 v104, v131, v188, -v104
	v_add_f32_e32 v143, v143, v144
	s_waitcnt vmcnt(18) lgkmcnt(0)
	v_mul_f32_e32 v144, v139, v198
	v_add_f32_e32 v103, v103, v104
	v_mul_f32_e32 v104, v134, v191
	v_fmac_f32_e32 v144, v140, v197
	v_fma_f32 v104, v133, v192, -v104
	v_add_f32_e32 v147, v143, v144
	ds_read_b128 v[143:146], v102 offset:736
	v_add_f32_e32 v103, v103, v104
	v_mul_f32_e32 v104, v136, v193
	v_fma_f32 v104, v135, v194, -v104
	s_waitcnt vmcnt(17)
	v_mul_f32_e32 v148, v141, v199
	v_add_f32_e32 v103, v103, v104
	v_mul_f32_e32 v104, v138, v196
	s_waitcnt vmcnt(16)
	v_fmac_f32_e32 v148, v142, v200
	v_fma_f32 v104, v137, v195, -v104
	v_add_f32_e32 v151, v147, v148
	ds_read_b128 v[147:150], v102 offset:752
	v_add_f32_e32 v103, v103, v104
	v_mul_f32_e32 v104, v140, v198
	s_waitcnt vmcnt(14) lgkmcnt(1)
	v_mul_f32_e32 v152, v143, v202
	v_fma_f32 v104, v139, v197, -v104
	v_fmac_f32_e32 v152, v144, v201
	v_add_f32_e32 v103, v103, v104
	v_mul_f32_e32 v104, v142, v199
	v_add_f32_e32 v151, v151, v152
	s_waitcnt vmcnt(12)
	v_mul_f32_e32 v152, v145, v204
	v_fma_f32 v104, v141, v200, -v104
	v_fmac_f32_e32 v152, v146, v203
	v_add_f32_e32 v103, v103, v104
	v_mul_f32_e32 v104, v144, v202
	v_add_f32_e32 v151, v151, v152
	s_waitcnt vmcnt(10) lgkmcnt(0)
	v_mul_f32_e32 v152, v147, v206
	v_fma_f32 v104, v143, v201, -v104
	v_fmac_f32_e32 v152, v148, v205
	v_add_f32_e32 v103, v103, v104
	v_mul_f32_e32 v104, v146, v204
	v_add_f32_e32 v155, v151, v152
	ds_read_b128 v[151:154], v102 offset:768
	v_fma_f32 v104, v145, v203, -v104
	v_add_f32_e32 v103, v103, v104
	v_mul_f32_e32 v104, v148, v206
	s_waitcnt vmcnt(8)
	v_mul_f32_e32 v156, v149, v208
	v_fma_f32 v104, v147, v205, -v104
	v_fmac_f32_e32 v156, v150, v207
	v_add_f32_e32 v103, v103, v104
	v_mul_f32_e32 v104, v150, v208
	v_add_f32_e32 v217, v155, v156
	ds_read_b128 v[155:158], v102 offset:784
	v_fma_f32 v104, v149, v207, -v104
	v_add_f32_e32 v103, v103, v104
	s_waitcnt vmcnt(6) lgkmcnt(1)
	v_mul_f32_e32 v104, v152, v210
	v_mul_f32_e32 v102, v151, v210
	v_fma_f32 v104, v151, v209, -v104
	v_fmac_f32_e32 v102, v152, v209
	v_add_f32_e32 v103, v103, v104
	s_waitcnt vmcnt(4)
	v_mul_f32_e32 v104, v154, v212
	v_add_f32_e32 v102, v217, v102
	v_mul_f32_e32 v217, v153, v212
	v_fma_f32 v104, v153, v211, -v104
	v_fmac_f32_e32 v217, v154, v211
	v_add_f32_e32 v103, v103, v104
	s_waitcnt vmcnt(2) lgkmcnt(0)
	v_mul_f32_e32 v104, v156, v214
	v_add_f32_e32 v102, v102, v217
	v_mul_f32_e32 v217, v155, v214
	v_fma_f32 v104, v155, v213, -v104
	v_fmac_f32_e32 v217, v156, v213
	v_add_f32_e32 v103, v103, v104
	s_waitcnt vmcnt(0)
	v_mul_f32_e32 v104, v158, v216
	v_add_f32_e32 v102, v102, v217
	v_mul_f32_e32 v217, v157, v216
	v_fma_f32 v104, v157, v215, -v104
	v_fmac_f32_e32 v217, v158, v215
	v_add_f32_e32 v103, v103, v104
	v_add_f32_e32 v102, v102, v217
	v_sub_f32_e32 v103, v189, v103
	v_sub_f32_e32 v102, v190, v102
	buffer_store_dword v103, off, s[0:3], 0 offset:168
	buffer_store_dword v102, off, s[0:3], 0 offset:172
	s_and_saveexec_b64 s[4:5], vcc
	s_cbranch_execz .LBB113_273
; %bb.272:
	buffer_load_dword v102, off, s[0:3], 0 offset:160
	buffer_load_dword v103, off, s[0:3], 0 offset:164
	v_mov_b32_e32 v104, 0
	buffer_store_dword v104, off, s[0:3], 0 offset:160
	buffer_store_dword v104, off, s[0:3], 0 offset:164
	s_waitcnt vmcnt(2)
	ds_write_b64 v101, v[102:103]
.LBB113_273:
	s_or_b64 exec, exec, s[4:5]
	s_waitcnt lgkmcnt(0)
	; wave barrier
	buffer_load_dword v161, off, s[0:3], 0 offset:172
	buffer_load_dword v162, off, s[0:3], 0 offset:180
	;; [unrolled: 1-line block ×60, first 2 shown]
	v_mov_b32_e32 v102, 0
	ds_read2_b64 v[103:106], v102 offset0:71 offset1:72
	ds_read2_b64 v[107:110], v102 offset0:73 offset1:74
	ds_read2_b64 v[111:114], v102 offset0:75 offset1:76
	ds_read2_b64 v[115:118], v102 offset0:77 offset1:78
	ds_read2_b64 v[119:122], v102 offset0:79 offset1:80
	v_cmp_lt_u32_e32 vcc, 19, v0
	s_waitcnt vmcnt(59) lgkmcnt(4)
	v_mul_f32_e32 v123, v103, v161
	s_waitcnt vmcnt(58)
	v_mul_f32_e32 v124, v105, v162
	s_waitcnt vmcnt(57) lgkmcnt(3)
	v_mul_f32_e32 v125, v107, v163
	s_waitcnt vmcnt(56)
	v_mul_f32_e32 v126, v109, v164
	;; [unrolled: 4-line block ×3, first 2 shown]
	s_waitcnt vmcnt(53) lgkmcnt(1)
	v_mul_f32_e32 v129, v115, v167
	s_waitcnt vmcnt(52)
	v_fmac_f32_e32 v123, v104, v168
	s_waitcnt vmcnt(51)
	v_fmac_f32_e32 v124, v106, v169
	v_add_f32_e32 v123, 0, v123
	s_waitcnt vmcnt(50)
	v_fmac_f32_e32 v125, v108, v170
	v_add_f32_e32 v123, v123, v124
	;; [unrolled: 3-line block ×6, first 2 shown]
	s_waitcnt vmcnt(45)
	v_mul_f32_e32 v124, v117, v175
	v_add_f32_e32 v123, v123, v129
	s_waitcnt vmcnt(44)
	v_fmac_f32_e32 v124, v118, v176
	v_mul_f32_e32 v104, v104, v161
	v_add_f32_e32 v127, v123, v124
	ds_read2_b64 v[123:126], v102 offset0:81 offset1:82
	v_fma_f32 v103, v103, v168, -v104
	v_mul_f32_e32 v104, v106, v162
	s_waitcnt vmcnt(43) lgkmcnt(1)
	v_mul_f32_e32 v128, v119, v177
	v_add_f32_e32 v103, 0, v103
	v_fma_f32 v104, v105, v169, -v104
	s_waitcnt vmcnt(42)
	v_fmac_f32_e32 v128, v120, v178
	v_add_f32_e32 v103, v103, v104
	v_mul_f32_e32 v104, v108, v163
	v_add_f32_e32 v127, v127, v128
	s_waitcnt vmcnt(41)
	v_mul_f32_e32 v128, v121, v179
	v_fma_f32 v104, v107, v170, -v104
	s_waitcnt vmcnt(40)
	v_fmac_f32_e32 v128, v122, v180
	v_add_f32_e32 v103, v103, v104
	v_mul_f32_e32 v104, v110, v164
	v_add_f32_e32 v127, v127, v128
	s_waitcnt vmcnt(39) lgkmcnt(0)
	v_mul_f32_e32 v128, v123, v181
	v_fma_f32 v104, v109, v171, -v104
	s_waitcnt vmcnt(38)
	v_fmac_f32_e32 v128, v124, v182
	v_add_f32_e32 v103, v103, v104
	v_mul_f32_e32 v104, v112, v165
	v_add_f32_e32 v131, v127, v128
	ds_read2_b64 v[127:130], v102 offset0:83 offset1:84
	v_fma_f32 v104, v111, v172, -v104
	v_add_f32_e32 v103, v103, v104
	v_mul_f32_e32 v104, v114, v166
	s_waitcnt vmcnt(37)
	v_mul_f32_e32 v132, v125, v183
	v_fma_f32 v104, v113, v173, -v104
	s_waitcnt vmcnt(36)
	v_fmac_f32_e32 v132, v126, v184
	v_add_f32_e32 v103, v103, v104
	v_mul_f32_e32 v104, v116, v167
	v_add_f32_e32 v135, v131, v132
	ds_read2_b64 v[131:134], v102 offset0:85 offset1:86
	v_fma_f32 v104, v115, v174, -v104
	s_waitcnt vmcnt(34) lgkmcnt(1)
	v_mul_f32_e32 v136, v127, v186
	v_add_f32_e32 v103, v103, v104
	v_mul_f32_e32 v104, v118, v175
	v_fmac_f32_e32 v136, v128, v185
	v_fma_f32 v104, v117, v176, -v104
	v_add_f32_e32 v135, v135, v136
	s_waitcnt vmcnt(31)
	v_mul_f32_e32 v136, v129, v189
	v_add_f32_e32 v103, v103, v104
	v_mul_f32_e32 v104, v120, v177
	s_waitcnt vmcnt(30)
	v_fmac_f32_e32 v136, v130, v190
	v_fma_f32 v104, v119, v178, -v104
	v_add_f32_e32 v135, v135, v136
	s_waitcnt vmcnt(28) lgkmcnt(0)
	v_mul_f32_e32 v136, v131, v192
	v_add_f32_e32 v103, v103, v104
	v_mul_f32_e32 v104, v122, v179
	v_fmac_f32_e32 v136, v132, v191
	v_fma_f32 v104, v121, v180, -v104
	v_add_f32_e32 v139, v135, v136
	ds_read2_b64 v[135:138], v102 offset0:87 offset1:88
	v_add_f32_e32 v103, v103, v104
	v_mul_f32_e32 v104, v124, v181
	v_fma_f32 v104, v123, v182, -v104
	s_waitcnt vmcnt(26)
	v_mul_f32_e32 v140, v133, v194
	v_add_f32_e32 v103, v103, v104
	v_mul_f32_e32 v104, v126, v183
	v_fmac_f32_e32 v140, v134, v193
	v_fma_f32 v104, v125, v184, -v104
	v_add_f32_e32 v143, v139, v140
	ds_read2_b64 v[139:142], v102 offset0:89 offset1:90
	v_add_f32_e32 v103, v103, v104
	v_mul_f32_e32 v104, v128, v186
	s_waitcnt vmcnt(24) lgkmcnt(1)
	v_mul_f32_e32 v144, v135, v196
	v_fma_f32 v104, v127, v185, -v104
	v_fmac_f32_e32 v144, v136, v195
	v_add_f32_e32 v103, v103, v104
	v_mul_f32_e32 v104, v130, v189
	v_add_f32_e32 v143, v143, v144
	s_waitcnt vmcnt(22)
	v_mul_f32_e32 v144, v137, v198
	v_fma_f32 v104, v129, v190, -v104
	v_fmac_f32_e32 v144, v138, v197
	v_add_f32_e32 v103, v103, v104
	v_mul_f32_e32 v104, v132, v192
	v_add_f32_e32 v143, v143, v144
	s_waitcnt vmcnt(20) lgkmcnt(0)
	v_mul_f32_e32 v144, v139, v200
	v_fma_f32 v104, v131, v191, -v104
	v_fmac_f32_e32 v144, v140, v199
	v_add_f32_e32 v103, v103, v104
	v_mul_f32_e32 v104, v134, v194
	v_add_f32_e32 v147, v143, v144
	ds_read2_b64 v[143:146], v102 offset0:91 offset1:92
	v_fma_f32 v104, v133, v193, -v104
	v_add_f32_e32 v103, v103, v104
	v_mul_f32_e32 v104, v136, v196
	s_waitcnt vmcnt(18)
	v_mul_f32_e32 v148, v141, v202
	v_fma_f32 v104, v135, v195, -v104
	v_fmac_f32_e32 v148, v142, v201
	v_add_f32_e32 v103, v103, v104
	v_mul_f32_e32 v104, v138, v198
	v_add_f32_e32 v151, v147, v148
	ds_read2_b64 v[147:150], v102 offset0:93 offset1:94
	v_fma_f32 v104, v137, v197, -v104
	s_waitcnt vmcnt(16) lgkmcnt(1)
	v_mul_f32_e32 v152, v143, v204
	v_add_f32_e32 v103, v103, v104
	v_mul_f32_e32 v104, v140, v200
	v_fmac_f32_e32 v152, v144, v203
	v_fma_f32 v104, v139, v199, -v104
	v_add_f32_e32 v151, v151, v152
	s_waitcnt vmcnt(14)
	v_mul_f32_e32 v152, v145, v206
	v_add_f32_e32 v103, v103, v104
	v_mul_f32_e32 v104, v142, v202
	v_fmac_f32_e32 v152, v146, v205
	v_fma_f32 v104, v141, v201, -v104
	v_add_f32_e32 v151, v151, v152
	s_waitcnt vmcnt(12) lgkmcnt(0)
	v_mul_f32_e32 v152, v147, v208
	v_add_f32_e32 v103, v103, v104
	v_mul_f32_e32 v104, v144, v204
	v_fmac_f32_e32 v152, v148, v207
	v_fma_f32 v104, v143, v203, -v104
	v_add_f32_e32 v155, v151, v152
	ds_read2_b64 v[151:154], v102 offset0:95 offset1:96
	v_add_f32_e32 v103, v103, v104
	v_mul_f32_e32 v104, v146, v206
	v_fma_f32 v104, v145, v205, -v104
	v_add_f32_e32 v103, v103, v104
	v_mul_f32_e32 v104, v148, v208
	s_waitcnt vmcnt(10)
	v_mul_f32_e32 v156, v149, v210
	v_fma_f32 v104, v147, v207, -v104
	v_fmac_f32_e32 v156, v150, v209
	v_add_f32_e32 v103, v103, v104
	v_mul_f32_e32 v104, v150, v210
	v_add_f32_e32 v159, v155, v156
	ds_read2_b64 v[155:158], v102 offset0:97 offset1:98
	s_waitcnt vmcnt(8) lgkmcnt(1)
	v_mul_f32_e32 v160, v151, v212
	v_fma_f32 v104, v149, v209, -v104
	v_fmac_f32_e32 v160, v152, v211
	v_add_f32_e32 v103, v103, v104
	v_mul_f32_e32 v104, v152, v212
	v_add_f32_e32 v159, v159, v160
	s_waitcnt vmcnt(6)
	v_mul_f32_e32 v160, v153, v214
	v_fma_f32 v104, v151, v211, -v104
	v_fmac_f32_e32 v160, v154, v213
	v_add_f32_e32 v103, v103, v104
	v_mul_f32_e32 v104, v154, v214
	v_add_f32_e32 v221, v159, v160
	ds_read_b64 v[159:160], v102 offset:792
	v_fma_f32 v104, v153, v213, -v104
	v_add_f32_e32 v103, v103, v104
	s_waitcnt vmcnt(4) lgkmcnt(1)
	v_mul_f32_e32 v104, v156, v216
	v_mul_f32_e32 v222, v155, v216
	v_fma_f32 v104, v155, v215, -v104
	v_fmac_f32_e32 v222, v156, v215
	v_add_f32_e32 v103, v103, v104
	s_waitcnt vmcnt(2)
	v_mul_f32_e32 v104, v158, v218
	v_add_f32_e32 v221, v221, v222
	v_mul_f32_e32 v222, v157, v218
	v_fma_f32 v104, v157, v217, -v104
	v_fmac_f32_e32 v222, v158, v217
	v_add_f32_e32 v103, v103, v104
	s_waitcnt vmcnt(0) lgkmcnt(0)
	v_mul_f32_e32 v104, v160, v220
	v_add_f32_e32 v221, v221, v222
	v_mul_f32_e32 v222, v159, v220
	v_fma_f32 v104, v159, v219, -v104
	v_fmac_f32_e32 v222, v160, v219
	v_add_f32_e32 v103, v103, v104
	v_add_f32_e32 v221, v221, v222
	v_sub_f32_e32 v103, v187, v103
	v_sub_f32_e32 v104, v188, v221
	buffer_store_dword v103, off, s[0:3], 0 offset:160
	buffer_store_dword v104, off, s[0:3], 0 offset:164
	s_and_saveexec_b64 s[4:5], vcc
	s_cbranch_execz .LBB113_275
; %bb.274:
	buffer_load_dword v103, off, s[0:3], 0 offset:152
	buffer_load_dword v104, off, s[0:3], 0 offset:156
	s_waitcnt vmcnt(0)
	ds_write_b64 v101, v[103:104]
	buffer_store_dword v102, off, s[0:3], 0 offset:152
	buffer_store_dword v102, off, s[0:3], 0 offset:156
.LBB113_275:
	s_or_b64 exec, exec, s[4:5]
	s_waitcnt lgkmcnt(0)
	; wave barrier
	buffer_load_dword v163, off, s[0:3], 0 offset:164
	buffer_load_dword v164, off, s[0:3], 0 offset:172
	;; [unrolled: 1-line block ×32, first 2 shown]
	ds_read_b128 v[103:106], v102 offset:560
	ds_read_b128 v[107:110], v102 offset:576
	;; [unrolled: 1-line block ×4, first 2 shown]
	buffer_load_dword v195, off, s[0:3], 0 offset:284
	buffer_load_dword v196, off, s[0:3], 0 offset:280
	;; [unrolled: 1-line block ×30, first 2 shown]
	v_cmp_lt_u32_e32 vcc, 18, v0
	s_waitcnt vmcnt(61) lgkmcnt(3)
	v_mul_f32_e32 v119, v103, v163
	s_waitcnt vmcnt(60)
	v_mul_f32_e32 v120, v105, v164
	s_waitcnt vmcnt(59) lgkmcnt(2)
	v_mul_f32_e32 v121, v107, v165
	s_waitcnt vmcnt(58)
	v_mul_f32_e32 v122, v109, v166
	;; [unrolled: 4-line block ×3, first 2 shown]
	s_waitcnt vmcnt(55) lgkmcnt(0)
	v_mul_f32_e32 v125, v115, v169
	s_waitcnt vmcnt(54)
	v_fmac_f32_e32 v119, v104, v170
	s_waitcnt vmcnt(53)
	v_fmac_f32_e32 v120, v106, v171
	v_add_f32_e32 v119, 0, v119
	s_waitcnt vmcnt(52)
	v_fmac_f32_e32 v121, v108, v172
	v_add_f32_e32 v119, v119, v120
	;; [unrolled: 3-line block ×6, first 2 shown]
	v_add_f32_e32 v123, v119, v125
	ds_read_b128 v[119:122], v102 offset:624
	s_waitcnt vmcnt(47)
	v_mul_f32_e32 v124, v117, v177
	s_waitcnt vmcnt(46)
	v_fmac_f32_e32 v124, v118, v178
	v_mul_f32_e32 v104, v104, v163
	v_add_f32_e32 v127, v123, v124
	ds_read_b128 v[123:126], v102 offset:640
	v_fma_f32 v103, v103, v170, -v104
	v_mul_f32_e32 v104, v106, v164
	s_waitcnt vmcnt(45) lgkmcnt(1)
	v_mul_f32_e32 v128, v119, v179
	v_add_f32_e32 v103, 0, v103
	v_fma_f32 v104, v105, v171, -v104
	s_waitcnt vmcnt(44)
	v_fmac_f32_e32 v128, v120, v180
	v_add_f32_e32 v103, v103, v104
	v_mul_f32_e32 v104, v108, v165
	v_add_f32_e32 v127, v127, v128
	s_waitcnt vmcnt(43)
	v_mul_f32_e32 v128, v121, v181
	v_fma_f32 v104, v107, v172, -v104
	s_waitcnt vmcnt(42)
	v_fmac_f32_e32 v128, v122, v182
	v_add_f32_e32 v103, v103, v104
	v_mul_f32_e32 v104, v110, v166
	v_add_f32_e32 v127, v127, v128
	s_waitcnt vmcnt(41) lgkmcnt(0)
	v_mul_f32_e32 v128, v123, v183
	v_fma_f32 v104, v109, v173, -v104
	s_waitcnt vmcnt(40)
	v_fmac_f32_e32 v128, v124, v184
	v_add_f32_e32 v103, v103, v104
	v_mul_f32_e32 v104, v112, v167
	v_add_f32_e32 v131, v127, v128
	ds_read_b128 v[127:130], v102 offset:656
	v_fma_f32 v104, v111, v174, -v104
	v_add_f32_e32 v103, v103, v104
	v_mul_f32_e32 v104, v114, v168
	s_waitcnt vmcnt(39)
	v_mul_f32_e32 v132, v125, v185
	v_fma_f32 v104, v113, v175, -v104
	s_waitcnt vmcnt(38)
	v_fmac_f32_e32 v132, v126, v186
	v_add_f32_e32 v103, v103, v104
	v_mul_f32_e32 v104, v116, v169
	v_add_f32_e32 v135, v131, v132
	ds_read_b128 v[131:134], v102 offset:672
	v_fma_f32 v104, v115, v176, -v104
	s_waitcnt vmcnt(35) lgkmcnt(1)
	v_mul_f32_e32 v136, v127, v189
	v_add_f32_e32 v103, v103, v104
	v_mul_f32_e32 v104, v118, v177
	s_waitcnt vmcnt(34)
	v_fmac_f32_e32 v136, v128, v190
	v_fma_f32 v104, v117, v178, -v104
	v_add_f32_e32 v135, v135, v136
	s_waitcnt vmcnt(32)
	v_mul_f32_e32 v136, v129, v192
	v_add_f32_e32 v103, v103, v104
	v_mul_f32_e32 v104, v120, v179
	v_fmac_f32_e32 v136, v130, v191
	v_fma_f32 v104, v119, v180, -v104
	v_add_f32_e32 v135, v135, v136
	s_waitcnt vmcnt(30) lgkmcnt(0)
	v_mul_f32_e32 v136, v131, v194
	v_add_f32_e32 v103, v103, v104
	v_mul_f32_e32 v104, v122, v181
	v_fmac_f32_e32 v136, v132, v193
	v_fma_f32 v104, v121, v182, -v104
	v_add_f32_e32 v139, v135, v136
	ds_read_b128 v[135:138], v102 offset:688
	v_add_f32_e32 v103, v103, v104
	v_mul_f32_e32 v104, v124, v183
	v_fma_f32 v104, v123, v184, -v104
	s_waitcnt vmcnt(29)
	v_mul_f32_e32 v140, v133, v195
	v_add_f32_e32 v103, v103, v104
	v_mul_f32_e32 v104, v126, v185
	s_waitcnt vmcnt(28)
	v_fmac_f32_e32 v140, v134, v196
	v_fma_f32 v104, v125, v186, -v104
	v_add_f32_e32 v143, v139, v140
	ds_read_b128 v[139:142], v102 offset:704
	v_add_f32_e32 v103, v103, v104
	v_mul_f32_e32 v104, v128, v189
	s_waitcnt vmcnt(26) lgkmcnt(1)
	v_mul_f32_e32 v144, v135, v198
	v_fma_f32 v104, v127, v190, -v104
	v_fmac_f32_e32 v144, v136, v197
	v_add_f32_e32 v103, v103, v104
	v_mul_f32_e32 v104, v130, v192
	v_add_f32_e32 v143, v143, v144
	s_waitcnt vmcnt(24)
	v_mul_f32_e32 v144, v137, v200
	v_fma_f32 v104, v129, v191, -v104
	v_fmac_f32_e32 v144, v138, v199
	v_add_f32_e32 v103, v103, v104
	v_mul_f32_e32 v104, v132, v194
	v_add_f32_e32 v143, v143, v144
	s_waitcnt vmcnt(22) lgkmcnt(0)
	v_mul_f32_e32 v144, v139, v202
	v_fma_f32 v104, v131, v193, -v104
	v_fmac_f32_e32 v144, v140, v201
	v_add_f32_e32 v103, v103, v104
	v_mul_f32_e32 v104, v134, v195
	v_add_f32_e32 v147, v143, v144
	ds_read_b128 v[143:146], v102 offset:720
	v_fma_f32 v104, v133, v196, -v104
	v_add_f32_e32 v103, v103, v104
	v_mul_f32_e32 v104, v136, v198
	s_waitcnt vmcnt(20)
	v_mul_f32_e32 v148, v141, v204
	v_fma_f32 v104, v135, v197, -v104
	v_fmac_f32_e32 v148, v142, v203
	v_add_f32_e32 v103, v103, v104
	v_mul_f32_e32 v104, v138, v200
	v_add_f32_e32 v151, v147, v148
	ds_read_b128 v[147:150], v102 offset:736
	v_fma_f32 v104, v137, v199, -v104
	s_waitcnt vmcnt(18) lgkmcnt(1)
	v_mul_f32_e32 v152, v143, v206
	v_add_f32_e32 v103, v103, v104
	v_mul_f32_e32 v104, v140, v202
	v_fmac_f32_e32 v152, v144, v205
	v_fma_f32 v104, v139, v201, -v104
	v_add_f32_e32 v151, v151, v152
	s_waitcnt vmcnt(16)
	v_mul_f32_e32 v152, v145, v208
	v_add_f32_e32 v103, v103, v104
	v_mul_f32_e32 v104, v142, v204
	v_fmac_f32_e32 v152, v146, v207
	v_fma_f32 v104, v141, v203, -v104
	v_add_f32_e32 v151, v151, v152
	s_waitcnt vmcnt(14) lgkmcnt(0)
	v_mul_f32_e32 v152, v147, v210
	v_add_f32_e32 v103, v103, v104
	v_mul_f32_e32 v104, v144, v206
	v_fmac_f32_e32 v152, v148, v209
	v_fma_f32 v104, v143, v205, -v104
	v_add_f32_e32 v155, v151, v152
	ds_read_b128 v[151:154], v102 offset:752
	v_add_f32_e32 v103, v103, v104
	v_mul_f32_e32 v104, v146, v208
	v_fma_f32 v104, v145, v207, -v104
	v_add_f32_e32 v103, v103, v104
	v_mul_f32_e32 v104, v148, v210
	s_waitcnt vmcnt(12)
	v_mul_f32_e32 v156, v149, v212
	v_fma_f32 v104, v147, v209, -v104
	v_fmac_f32_e32 v156, v150, v211
	v_add_f32_e32 v103, v103, v104
	v_mul_f32_e32 v104, v150, v212
	v_add_f32_e32 v159, v155, v156
	ds_read_b128 v[155:158], v102 offset:768
	s_waitcnt vmcnt(10) lgkmcnt(1)
	v_mul_f32_e32 v160, v151, v214
	v_fma_f32 v104, v149, v211, -v104
	v_fmac_f32_e32 v160, v152, v213
	v_add_f32_e32 v103, v103, v104
	v_mul_f32_e32 v104, v152, v214
	v_add_f32_e32 v159, v159, v160
	s_waitcnt vmcnt(8)
	v_mul_f32_e32 v160, v153, v216
	v_fma_f32 v104, v151, v213, -v104
	v_fmac_f32_e32 v160, v154, v215
	v_add_f32_e32 v103, v103, v104
	v_mul_f32_e32 v104, v154, v216
	v_add_f32_e32 v225, v159, v160
	ds_read_b128 v[159:162], v102 offset:784
	v_fma_f32 v104, v153, v215, -v104
	v_add_f32_e32 v103, v103, v104
	s_waitcnt vmcnt(6) lgkmcnt(1)
	v_mul_f32_e32 v104, v156, v218
	v_mul_f32_e32 v226, v155, v218
	v_fma_f32 v104, v155, v217, -v104
	v_fmac_f32_e32 v226, v156, v217
	v_add_f32_e32 v103, v103, v104
	s_waitcnt vmcnt(4)
	v_mul_f32_e32 v104, v158, v220
	v_add_f32_e32 v102, v225, v226
	v_mul_f32_e32 v225, v157, v220
	v_fma_f32 v104, v157, v219, -v104
	v_fmac_f32_e32 v225, v158, v219
	v_add_f32_e32 v103, v103, v104
	s_waitcnt vmcnt(2) lgkmcnt(0)
	v_mul_f32_e32 v104, v160, v222
	v_add_f32_e32 v102, v102, v225
	v_mul_f32_e32 v225, v159, v222
	v_fma_f32 v104, v159, v221, -v104
	v_fmac_f32_e32 v225, v160, v221
	v_add_f32_e32 v103, v103, v104
	s_waitcnt vmcnt(0)
	v_mul_f32_e32 v104, v162, v224
	v_add_f32_e32 v102, v102, v225
	v_mul_f32_e32 v225, v161, v224
	v_fma_f32 v104, v161, v223, -v104
	v_fmac_f32_e32 v225, v162, v223
	v_add_f32_e32 v103, v103, v104
	v_add_f32_e32 v102, v102, v225
	v_sub_f32_e32 v103, v187, v103
	v_sub_f32_e32 v102, v188, v102
	buffer_store_dword v103, off, s[0:3], 0 offset:152
	buffer_store_dword v102, off, s[0:3], 0 offset:156
	s_and_saveexec_b64 s[4:5], vcc
	s_cbranch_execz .LBB113_277
; %bb.276:
	buffer_load_dword v102, off, s[0:3], 0 offset:144
	buffer_load_dword v103, off, s[0:3], 0 offset:148
	v_mov_b32_e32 v104, 0
	buffer_store_dword v104, off, s[0:3], 0 offset:144
	buffer_store_dword v104, off, s[0:3], 0 offset:148
	s_waitcnt vmcnt(2)
	ds_write_b64 v101, v[102:103]
.LBB113_277:
	s_or_b64 exec, exec, s[4:5]
	s_waitcnt lgkmcnt(0)
	; wave barrier
	buffer_load_dword v165, off, s[0:3], 0 offset:156
	buffer_load_dword v166, off, s[0:3], 0 offset:164
	;; [unrolled: 1-line block ×56, first 2 shown]
	v_mov_b32_e32 v102, 0
	ds_read2_b64 v[103:106], v102 offset0:69 offset1:70
	buffer_load_dword v221, off, s[0:3], 0 offset:368
	buffer_load_dword v222, off, s[0:3], 0 offset:372
	;; [unrolled: 1-line block ×4, first 2 shown]
	ds_read2_b64 v[107:110], v102 offset0:71 offset1:72
	ds_read2_b64 v[111:114], v102 offset0:73 offset1:74
	;; [unrolled: 1-line block ×3, first 2 shown]
	v_cmp_lt_u32_e32 vcc, 17, v0
	s_waitcnt vmcnt(59) lgkmcnt(3)
	v_mul_f32_e32 v119, v103, v165
	s_waitcnt vmcnt(58)
	v_mul_f32_e32 v120, v105, v166
	s_waitcnt vmcnt(57) lgkmcnt(2)
	v_mul_f32_e32 v121, v107, v167
	s_waitcnt vmcnt(56)
	v_mul_f32_e32 v122, v109, v168
	;; [unrolled: 4-line block ×4, first 2 shown]
	s_waitcnt vmcnt(51)
	v_fmac_f32_e32 v119, v104, v173
	s_waitcnt vmcnt(50)
	v_fmac_f32_e32 v120, v106, v174
	v_add_f32_e32 v119, 0, v119
	s_waitcnt vmcnt(49)
	v_fmac_f32_e32 v121, v108, v175
	v_add_f32_e32 v119, v119, v120
	;; [unrolled: 3-line block ×6, first 2 shown]
	v_add_f32_e32 v123, v119, v125
	ds_read2_b64 v[119:122], v102 offset0:77 offset1:78
	buffer_load_dword v225, off, s[0:3], 0 offset:388
	buffer_load_dword v226, off, s[0:3], 0 offset:384
	;; [unrolled: 1-line block ×4, first 2 shown]
	s_waitcnt vmcnt(48)
	v_fmac_f32_e32 v126, v118, v180
	v_add_f32_e32 v127, v123, v126
	ds_read2_b64 v[123:126], v102 offset0:79 offset1:80
	s_waitcnt vmcnt(47) lgkmcnt(1)
	v_mul_f32_e32 v128, v119, v181
	v_mul_f32_e32 v104, v104, v165
	s_waitcnt vmcnt(46)
	v_fmac_f32_e32 v128, v120, v182
	v_fma_f32 v103, v103, v173, -v104
	v_mul_f32_e32 v104, v106, v166
	v_add_f32_e32 v127, v127, v128
	s_waitcnt vmcnt(45)
	v_mul_f32_e32 v128, v121, v183
	v_add_f32_e32 v103, 0, v103
	v_fma_f32 v104, v105, v174, -v104
	s_waitcnt vmcnt(44)
	v_fmac_f32_e32 v128, v122, v184
	v_add_f32_e32 v103, v103, v104
	v_mul_f32_e32 v104, v108, v167
	v_add_f32_e32 v127, v127, v128
	s_waitcnt vmcnt(42) lgkmcnt(0)
	v_mul_f32_e32 v128, v123, v186
	v_fma_f32 v104, v107, v175, -v104
	v_fmac_f32_e32 v128, v124, v185
	v_add_f32_e32 v103, v103, v104
	v_mul_f32_e32 v104, v110, v168
	v_add_f32_e32 v131, v127, v128
	ds_read2_b64 v[127:130], v102 offset0:81 offset1:82
	v_fma_f32 v104, v109, v176, -v104
	v_add_f32_e32 v103, v103, v104
	v_mul_f32_e32 v104, v112, v169
	s_waitcnt vmcnt(39)
	v_mul_f32_e32 v132, v125, v189
	v_fma_f32 v104, v111, v177, -v104
	s_waitcnt vmcnt(38)
	v_fmac_f32_e32 v132, v126, v190
	v_add_f32_e32 v103, v103, v104
	v_mul_f32_e32 v104, v114, v170
	v_add_f32_e32 v135, v131, v132
	ds_read2_b64 v[131:134], v102 offset0:83 offset1:84
	v_fma_f32 v104, v113, v178, -v104
	s_waitcnt vmcnt(36) lgkmcnt(1)
	v_mul_f32_e32 v136, v127, v192
	v_add_f32_e32 v103, v103, v104
	v_mul_f32_e32 v104, v116, v171
	v_fmac_f32_e32 v136, v128, v191
	v_fma_f32 v104, v115, v179, -v104
	v_add_f32_e32 v135, v135, v136
	s_waitcnt vmcnt(34)
	v_mul_f32_e32 v136, v129, v194
	v_add_f32_e32 v103, v103, v104
	v_mul_f32_e32 v104, v118, v172
	v_fmac_f32_e32 v136, v130, v193
	v_fma_f32 v104, v117, v180, -v104
	v_add_f32_e32 v135, v135, v136
	s_waitcnt vmcnt(32) lgkmcnt(0)
	v_mul_f32_e32 v136, v131, v196
	v_add_f32_e32 v103, v103, v104
	v_mul_f32_e32 v104, v120, v181
	v_fmac_f32_e32 v136, v132, v195
	v_fma_f32 v104, v119, v182, -v104
	v_add_f32_e32 v139, v135, v136
	ds_read2_b64 v[135:138], v102 offset0:85 offset1:86
	v_add_f32_e32 v103, v103, v104
	v_mul_f32_e32 v104, v122, v183
	v_fma_f32 v104, v121, v184, -v104
	s_waitcnt vmcnt(30)
	v_mul_f32_e32 v140, v133, v198
	v_add_f32_e32 v103, v103, v104
	v_mul_f32_e32 v104, v124, v186
	v_fmac_f32_e32 v140, v134, v197
	v_fma_f32 v104, v123, v185, -v104
	v_add_f32_e32 v143, v139, v140
	ds_read2_b64 v[139:142], v102 offset0:87 offset1:88
	v_add_f32_e32 v103, v103, v104
	v_mul_f32_e32 v104, v126, v189
	s_waitcnt vmcnt(28) lgkmcnt(1)
	v_mul_f32_e32 v144, v135, v200
	v_fma_f32 v104, v125, v190, -v104
	v_fmac_f32_e32 v144, v136, v199
	v_add_f32_e32 v103, v103, v104
	v_mul_f32_e32 v104, v128, v192
	v_add_f32_e32 v143, v143, v144
	s_waitcnt vmcnt(26)
	v_mul_f32_e32 v144, v137, v202
	v_fma_f32 v104, v127, v191, -v104
	v_fmac_f32_e32 v144, v138, v201
	v_add_f32_e32 v103, v103, v104
	v_mul_f32_e32 v104, v130, v194
	v_add_f32_e32 v143, v143, v144
	s_waitcnt vmcnt(24) lgkmcnt(0)
	v_mul_f32_e32 v144, v139, v204
	v_fma_f32 v104, v129, v193, -v104
	v_fmac_f32_e32 v144, v140, v203
	v_add_f32_e32 v103, v103, v104
	v_mul_f32_e32 v104, v132, v196
	v_add_f32_e32 v147, v143, v144
	ds_read2_b64 v[143:146], v102 offset0:89 offset1:90
	v_fma_f32 v104, v131, v195, -v104
	v_add_f32_e32 v103, v103, v104
	v_mul_f32_e32 v104, v134, v198
	s_waitcnt vmcnt(22)
	v_mul_f32_e32 v148, v141, v206
	v_fma_f32 v104, v133, v197, -v104
	v_fmac_f32_e32 v148, v142, v205
	v_add_f32_e32 v103, v103, v104
	v_mul_f32_e32 v104, v136, v200
	v_add_f32_e32 v151, v147, v148
	ds_read2_b64 v[147:150], v102 offset0:91 offset1:92
	v_fma_f32 v104, v135, v199, -v104
	s_waitcnt vmcnt(20) lgkmcnt(1)
	v_mul_f32_e32 v152, v143, v208
	v_add_f32_e32 v103, v103, v104
	v_mul_f32_e32 v104, v138, v202
	v_fmac_f32_e32 v152, v144, v207
	v_fma_f32 v104, v137, v201, -v104
	v_add_f32_e32 v151, v151, v152
	s_waitcnt vmcnt(18)
	v_mul_f32_e32 v152, v145, v210
	v_add_f32_e32 v103, v103, v104
	v_mul_f32_e32 v104, v140, v204
	v_fmac_f32_e32 v152, v146, v209
	v_fma_f32 v104, v139, v203, -v104
	v_add_f32_e32 v151, v151, v152
	s_waitcnt vmcnt(16) lgkmcnt(0)
	v_mul_f32_e32 v152, v147, v212
	v_add_f32_e32 v103, v103, v104
	v_mul_f32_e32 v104, v142, v206
	v_fmac_f32_e32 v152, v148, v211
	v_fma_f32 v104, v141, v205, -v104
	v_add_f32_e32 v155, v151, v152
	ds_read2_b64 v[151:154], v102 offset0:93 offset1:94
	v_add_f32_e32 v103, v103, v104
	v_mul_f32_e32 v104, v144, v208
	v_fma_f32 v104, v143, v207, -v104
	s_waitcnt vmcnt(14)
	v_mul_f32_e32 v156, v149, v214
	v_add_f32_e32 v103, v103, v104
	v_mul_f32_e32 v104, v146, v210
	v_fmac_f32_e32 v156, v150, v213
	v_fma_f32 v104, v145, v209, -v104
	v_add_f32_e32 v159, v155, v156
	ds_read2_b64 v[155:158], v102 offset0:95 offset1:96
	v_add_f32_e32 v103, v103, v104
	v_mul_f32_e32 v104, v148, v212
	s_waitcnt vmcnt(12) lgkmcnt(1)
	v_mul_f32_e32 v160, v151, v216
	v_fma_f32 v104, v147, v211, -v104
	v_fmac_f32_e32 v160, v152, v215
	v_add_f32_e32 v103, v103, v104
	v_mul_f32_e32 v104, v150, v214
	v_add_f32_e32 v159, v159, v160
	s_waitcnt vmcnt(10)
	v_mul_f32_e32 v160, v153, v218
	v_fma_f32 v104, v149, v213, -v104
	v_fmac_f32_e32 v160, v154, v217
	v_add_f32_e32 v103, v103, v104
	v_mul_f32_e32 v104, v152, v216
	v_add_f32_e32 v159, v159, v160
	s_waitcnt vmcnt(8) lgkmcnt(0)
	v_mul_f32_e32 v160, v155, v220
	v_fma_f32 v104, v151, v215, -v104
	v_fmac_f32_e32 v160, v156, v219
	v_add_f32_e32 v103, v103, v104
	v_mul_f32_e32 v104, v154, v218
	v_add_f32_e32 v163, v159, v160
	ds_read2_b64 v[159:162], v102 offset0:97 offset1:98
	v_fma_f32 v104, v153, v217, -v104
	v_add_f32_e32 v103, v103, v104
	v_mul_f32_e32 v104, v156, v220
	s_waitcnt vmcnt(6)
	v_mul_f32_e32 v164, v157, v222
	v_fma_f32 v104, v155, v219, -v104
	v_fmac_f32_e32 v164, v158, v221
	v_add_f32_e32 v103, v103, v104
	v_mul_f32_e32 v104, v158, v222
	v_add_f32_e32 v229, v163, v164
	ds_read_b64 v[163:164], v102 offset:792
	v_fma_f32 v104, v157, v221, -v104
	v_add_f32_e32 v103, v103, v104
	s_waitcnt vmcnt(4) lgkmcnt(1)
	v_mul_f32_e32 v104, v160, v224
	v_mul_f32_e32 v230, v159, v224
	v_fma_f32 v104, v159, v223, -v104
	v_fmac_f32_e32 v230, v160, v223
	v_add_f32_e32 v103, v103, v104
	s_waitcnt vmcnt(3)
	v_mul_f32_e32 v104, v162, v225
	v_add_f32_e32 v229, v229, v230
	v_mul_f32_e32 v230, v161, v225
	s_waitcnt vmcnt(2)
	v_fma_f32 v104, v161, v226, -v104
	v_fmac_f32_e32 v230, v162, v226
	v_add_f32_e32 v103, v103, v104
	s_waitcnt vmcnt(0) lgkmcnt(0)
	v_mul_f32_e32 v104, v164, v228
	v_add_f32_e32 v229, v229, v230
	v_mul_f32_e32 v230, v163, v228
	v_fma_f32 v104, v163, v227, -v104
	v_fmac_f32_e32 v230, v164, v227
	v_add_f32_e32 v103, v103, v104
	v_add_f32_e32 v229, v229, v230
	v_sub_f32_e32 v103, v187, v103
	v_sub_f32_e32 v104, v188, v229
	buffer_store_dword v103, off, s[0:3], 0 offset:144
	buffer_store_dword v104, off, s[0:3], 0 offset:148
	s_and_saveexec_b64 s[4:5], vcc
	s_cbranch_execz .LBB113_279
; %bb.278:
	buffer_load_dword v103, off, s[0:3], 0 offset:136
	buffer_load_dword v104, off, s[0:3], 0 offset:140
	s_waitcnt vmcnt(0)
	ds_write_b64 v101, v[103:104]
	buffer_store_dword v102, off, s[0:3], 0 offset:136
	buffer_store_dword v102, off, s[0:3], 0 offset:140
.LBB113_279:
	s_or_b64 exec, exec, s[4:5]
	s_waitcnt lgkmcnt(0)
	; wave barrier
	buffer_load_dword v167, off, s[0:3], 0 offset:148
	buffer_load_dword v168, off, s[0:3], 0 offset:156
	;; [unrolled: 1-line block ×26, first 2 shown]
	ds_read_b128 v[103:106], v102 offset:544
	ds_read_b128 v[107:110], v102 offset:560
	ds_read_b128 v[111:114], v102 offset:576
	ds_read_b128 v[115:118], v102 offset:592
	buffer_load_dword v193, off, s[0:3], 0 offset:244
	buffer_load_dword v194, off, s[0:3], 0 offset:240
	;; [unrolled: 1-line block ×34, first 2 shown]
	v_cmp_lt_u32_e32 vcc, 16, v0
	s_waitcnt vmcnt(59) lgkmcnt(3)
	v_mul_f32_e32 v119, v103, v167
	s_waitcnt vmcnt(58)
	v_mul_f32_e32 v120, v105, v168
	s_waitcnt vmcnt(57) lgkmcnt(2)
	v_mul_f32_e32 v121, v107, v169
	s_waitcnt vmcnt(56)
	v_mul_f32_e32 v122, v109, v170
	;; [unrolled: 4-line block ×4, first 2 shown]
	s_waitcnt vmcnt(51)
	v_fmac_f32_e32 v119, v104, v175
	s_waitcnt vmcnt(50)
	v_fmac_f32_e32 v120, v106, v176
	v_add_f32_e32 v119, 0, v119
	s_waitcnt vmcnt(49)
	v_fmac_f32_e32 v121, v108, v177
	v_add_f32_e32 v119, v119, v120
	;; [unrolled: 3-line block ×7, first 2 shown]
	v_add_f32_e32 v127, v119, v126
	ds_read_b128 v[119:122], v102 offset:608
	buffer_load_dword v227, off, s[0:3], 0 offset:380
	buffer_load_dword v228, off, s[0:3], 0 offset:376
	;; [unrolled: 1-line block ×4, first 2 shown]
	ds_read_b128 v[123:126], v102 offset:624
	buffer_load_dword v231, off, s[0:3], 0 offset:392
	buffer_load_dword v232, off, s[0:3], 0 offset:396
	v_mul_f32_e32 v104, v104, v167
	s_waitcnt vmcnt(49) lgkmcnt(1)
	v_mul_f32_e32 v128, v119, v183
	s_waitcnt vmcnt(48)
	v_fmac_f32_e32 v128, v120, v184
	v_fma_f32 v103, v103, v175, -v104
	v_mul_f32_e32 v104, v106, v168
	v_add_f32_e32 v127, v127, v128
	s_waitcnt vmcnt(46)
	v_mul_f32_e32 v128, v121, v186
	v_add_f32_e32 v103, 0, v103
	v_fma_f32 v104, v105, v176, -v104
	v_fmac_f32_e32 v128, v122, v185
	v_add_f32_e32 v103, v103, v104
	v_mul_f32_e32 v104, v108, v169
	v_add_f32_e32 v127, v127, v128
	s_waitcnt vmcnt(43) lgkmcnt(0)
	v_mul_f32_e32 v128, v123, v189
	v_fma_f32 v104, v107, v177, -v104
	s_waitcnt vmcnt(42)
	v_fmac_f32_e32 v128, v124, v190
	v_add_f32_e32 v103, v103, v104
	v_mul_f32_e32 v104, v110, v170
	v_add_f32_e32 v131, v127, v128
	ds_read_b128 v[127:130], v102 offset:640
	v_fma_f32 v104, v109, v178, -v104
	v_add_f32_e32 v103, v103, v104
	v_mul_f32_e32 v104, v112, v171
	s_waitcnt vmcnt(40)
	v_mul_f32_e32 v132, v125, v192
	v_fma_f32 v104, v111, v179, -v104
	v_fmac_f32_e32 v132, v126, v191
	v_add_f32_e32 v103, v103, v104
	v_mul_f32_e32 v104, v114, v172
	v_add_f32_e32 v135, v131, v132
	ds_read_b128 v[131:134], v102 offset:656
	v_fma_f32 v104, v113, v180, -v104
	s_waitcnt vmcnt(39) lgkmcnt(1)
	v_mul_f32_e32 v136, v127, v193
	v_add_f32_e32 v103, v103, v104
	v_mul_f32_e32 v104, v116, v173
	s_waitcnt vmcnt(38)
	v_fmac_f32_e32 v136, v128, v194
	v_fma_f32 v104, v115, v181, -v104
	v_add_f32_e32 v135, v135, v136
	s_waitcnt vmcnt(36)
	v_mul_f32_e32 v136, v129, v196
	v_add_f32_e32 v103, v103, v104
	v_mul_f32_e32 v104, v118, v174
	v_fmac_f32_e32 v136, v130, v195
	v_fma_f32 v104, v117, v182, -v104
	v_add_f32_e32 v135, v135, v136
	s_waitcnt vmcnt(34) lgkmcnt(0)
	v_mul_f32_e32 v136, v131, v198
	v_add_f32_e32 v103, v103, v104
	v_mul_f32_e32 v104, v120, v183
	v_fmac_f32_e32 v136, v132, v197
	v_fma_f32 v104, v119, v184, -v104
	v_add_f32_e32 v139, v135, v136
	ds_read_b128 v[135:138], v102 offset:672
	v_add_f32_e32 v103, v103, v104
	v_mul_f32_e32 v104, v122, v186
	v_fma_f32 v104, v121, v185, -v104
	s_waitcnt vmcnt(32)
	v_mul_f32_e32 v140, v133, v200
	v_add_f32_e32 v103, v103, v104
	v_mul_f32_e32 v104, v124, v189
	v_fmac_f32_e32 v140, v134, v199
	v_fma_f32 v104, v123, v190, -v104
	v_add_f32_e32 v143, v139, v140
	ds_read_b128 v[139:142], v102 offset:688
	v_add_f32_e32 v103, v103, v104
	v_mul_f32_e32 v104, v126, v192
	s_waitcnt vmcnt(30) lgkmcnt(1)
	v_mul_f32_e32 v144, v135, v202
	v_fma_f32 v104, v125, v191, -v104
	v_fmac_f32_e32 v144, v136, v201
	v_add_f32_e32 v103, v103, v104
	v_mul_f32_e32 v104, v128, v193
	v_add_f32_e32 v143, v143, v144
	s_waitcnt vmcnt(28)
	v_mul_f32_e32 v144, v137, v204
	v_fma_f32 v104, v127, v194, -v104
	v_fmac_f32_e32 v144, v138, v203
	v_add_f32_e32 v103, v103, v104
	v_mul_f32_e32 v104, v130, v196
	v_add_f32_e32 v143, v143, v144
	s_waitcnt vmcnt(26) lgkmcnt(0)
	v_mul_f32_e32 v144, v139, v206
	v_fma_f32 v104, v129, v195, -v104
	v_fmac_f32_e32 v144, v140, v205
	v_add_f32_e32 v103, v103, v104
	v_mul_f32_e32 v104, v132, v198
	v_add_f32_e32 v147, v143, v144
	ds_read_b128 v[143:146], v102 offset:704
	v_fma_f32 v104, v131, v197, -v104
	v_add_f32_e32 v103, v103, v104
	v_mul_f32_e32 v104, v134, v200
	s_waitcnt vmcnt(24)
	v_mul_f32_e32 v148, v141, v208
	v_fma_f32 v104, v133, v199, -v104
	v_fmac_f32_e32 v148, v142, v207
	v_add_f32_e32 v103, v103, v104
	v_mul_f32_e32 v104, v136, v202
	v_add_f32_e32 v151, v147, v148
	ds_read_b128 v[147:150], v102 offset:720
	v_fma_f32 v104, v135, v201, -v104
	s_waitcnt vmcnt(22) lgkmcnt(1)
	v_mul_f32_e32 v152, v143, v210
	v_add_f32_e32 v103, v103, v104
	v_mul_f32_e32 v104, v138, v204
	v_fmac_f32_e32 v152, v144, v209
	v_fma_f32 v104, v137, v203, -v104
	v_add_f32_e32 v151, v151, v152
	s_waitcnt vmcnt(20)
	v_mul_f32_e32 v152, v145, v212
	v_add_f32_e32 v103, v103, v104
	v_mul_f32_e32 v104, v140, v206
	v_fmac_f32_e32 v152, v146, v211
	v_fma_f32 v104, v139, v205, -v104
	v_add_f32_e32 v151, v151, v152
	s_waitcnt vmcnt(18) lgkmcnt(0)
	v_mul_f32_e32 v152, v147, v214
	v_add_f32_e32 v103, v103, v104
	v_mul_f32_e32 v104, v142, v208
	v_fmac_f32_e32 v152, v148, v213
	v_fma_f32 v104, v141, v207, -v104
	v_add_f32_e32 v155, v151, v152
	ds_read_b128 v[151:154], v102 offset:736
	v_add_f32_e32 v103, v103, v104
	v_mul_f32_e32 v104, v144, v210
	v_fma_f32 v104, v143, v209, -v104
	s_waitcnt vmcnt(16)
	v_mul_f32_e32 v156, v149, v216
	v_add_f32_e32 v103, v103, v104
	v_mul_f32_e32 v104, v146, v212
	v_fmac_f32_e32 v156, v150, v215
	v_fma_f32 v104, v145, v211, -v104
	v_add_f32_e32 v159, v155, v156
	ds_read_b128 v[155:158], v102 offset:752
	v_add_f32_e32 v103, v103, v104
	v_mul_f32_e32 v104, v148, v214
	s_waitcnt vmcnt(14) lgkmcnt(1)
	v_mul_f32_e32 v160, v151, v218
	v_fma_f32 v104, v147, v213, -v104
	v_fmac_f32_e32 v160, v152, v217
	v_add_f32_e32 v103, v103, v104
	v_mul_f32_e32 v104, v150, v216
	v_add_f32_e32 v159, v159, v160
	s_waitcnt vmcnt(12)
	v_mul_f32_e32 v160, v153, v220
	v_fma_f32 v104, v149, v215, -v104
	v_fmac_f32_e32 v160, v154, v219
	v_add_f32_e32 v103, v103, v104
	v_mul_f32_e32 v104, v152, v218
	v_add_f32_e32 v159, v159, v160
	s_waitcnt vmcnt(10) lgkmcnt(0)
	v_mul_f32_e32 v160, v155, v222
	v_fma_f32 v104, v151, v217, -v104
	v_fmac_f32_e32 v160, v156, v221
	v_add_f32_e32 v103, v103, v104
	v_mul_f32_e32 v104, v154, v220
	v_add_f32_e32 v163, v159, v160
	ds_read_b128 v[159:162], v102 offset:768
	v_fma_f32 v104, v153, v219, -v104
	v_add_f32_e32 v103, v103, v104
	v_mul_f32_e32 v104, v156, v222
	s_waitcnt vmcnt(8)
	v_mul_f32_e32 v164, v157, v224
	v_fma_f32 v104, v155, v221, -v104
	v_fmac_f32_e32 v164, v158, v223
	v_add_f32_e32 v103, v103, v104
	v_mul_f32_e32 v104, v158, v224
	v_add_f32_e32 v233, v163, v164
	ds_read_b128 v[163:166], v102 offset:784
	v_fma_f32 v104, v157, v223, -v104
	v_add_f32_e32 v103, v103, v104
	s_waitcnt vmcnt(6) lgkmcnt(1)
	v_mul_f32_e32 v104, v160, v226
	v_mul_f32_e32 v102, v159, v226
	v_fma_f32 v104, v159, v225, -v104
	v_fmac_f32_e32 v102, v160, v225
	v_add_f32_e32 v103, v103, v104
	s_waitcnt vmcnt(5)
	v_mul_f32_e32 v104, v162, v227
	v_add_f32_e32 v102, v233, v102
	v_mul_f32_e32 v233, v161, v227
	s_waitcnt vmcnt(4)
	v_fma_f32 v104, v161, v228, -v104
	v_fmac_f32_e32 v233, v162, v228
	v_add_f32_e32 v103, v103, v104
	s_waitcnt vmcnt(2) lgkmcnt(0)
	v_mul_f32_e32 v104, v164, v230
	v_add_f32_e32 v102, v102, v233
	v_mul_f32_e32 v233, v163, v230
	v_fma_f32 v104, v163, v229, -v104
	v_fmac_f32_e32 v233, v164, v229
	v_add_f32_e32 v103, v103, v104
	s_waitcnt vmcnt(0)
	v_mul_f32_e32 v104, v166, v232
	v_add_f32_e32 v102, v102, v233
	v_mul_f32_e32 v233, v165, v232
	v_fma_f32 v104, v165, v231, -v104
	v_fmac_f32_e32 v233, v166, v231
	v_add_f32_e32 v103, v103, v104
	v_add_f32_e32 v102, v102, v233
	v_sub_f32_e32 v103, v187, v103
	v_sub_f32_e32 v102, v188, v102
	buffer_store_dword v103, off, s[0:3], 0 offset:136
	buffer_store_dword v102, off, s[0:3], 0 offset:140
	s_and_saveexec_b64 s[4:5], vcc
	s_cbranch_execz .LBB113_281
; %bb.280:
	buffer_load_dword v102, off, s[0:3], 0 offset:128
	buffer_load_dword v103, off, s[0:3], 0 offset:132
	v_mov_b32_e32 v104, 0
	buffer_store_dword v104, off, s[0:3], 0 offset:128
	buffer_store_dword v104, off, s[0:3], 0 offset:132
	s_waitcnt vmcnt(2)
	ds_write_b64 v101, v[102:103]
.LBB113_281:
	s_or_b64 exec, exec, s[4:5]
	s_waitcnt lgkmcnt(0)
	; wave barrier
	buffer_load_dword v169, off, s[0:3], 0 offset:140
	buffer_load_dword v170, off, s[0:3], 0 offset:148
	;; [unrolled: 1-line block ×58, first 2 shown]
	v_mov_b32_e32 v102, 0
	ds_read2_b64 v[103:106], v102 offset0:67 offset1:68
	ds_read2_b64 v[107:110], v102 offset0:69 offset1:70
	;; [unrolled: 1-line block ×5, first 2 shown]
	buffer_load_dword v227, off, s[0:3], 0 offset:360
	buffer_load_dword v228, off, s[0:3], 0 offset:364
	v_cmp_lt_u32_e32 vcc, 15, v0
	s_waitcnt vmcnt(59) lgkmcnt(4)
	v_mul_f32_e32 v123, v103, v169
	s_waitcnt vmcnt(58)
	v_mul_f32_e32 v124, v105, v170
	s_waitcnt vmcnt(57) lgkmcnt(3)
	v_mul_f32_e32 v125, v107, v171
	s_waitcnt vmcnt(56)
	v_mul_f32_e32 v126, v109, v172
	s_waitcnt vmcnt(55) lgkmcnt(2)
	v_mul_f32_e32 v127, v111, v173
	s_waitcnt vmcnt(54)
	v_mul_f32_e32 v128, v113, v174
	s_waitcnt vmcnt(53) lgkmcnt(1)
	v_mul_f32_e32 v129, v115, v175
	s_waitcnt vmcnt(52)
	v_mul_f32_e32 v130, v117, v176
	s_waitcnt vmcnt(51)
	v_fmac_f32_e32 v123, v104, v177
	s_waitcnt vmcnt(50)
	v_fmac_f32_e32 v124, v106, v178
	v_add_f32_e32 v123, 0, v123
	s_waitcnt vmcnt(49)
	v_fmac_f32_e32 v125, v108, v179
	v_add_f32_e32 v123, v123, v124
	s_waitcnt vmcnt(48)
	v_fmac_f32_e32 v126, v110, v180
	v_add_f32_e32 v123, v123, v125
	s_waitcnt vmcnt(47)
	v_fmac_f32_e32 v127, v112, v181
	v_add_f32_e32 v123, v123, v126
	s_waitcnt vmcnt(46)
	v_fmac_f32_e32 v128, v114, v182
	v_add_f32_e32 v123, v123, v127
	s_waitcnt vmcnt(45)
	v_fmac_f32_e32 v129, v116, v183
	v_add_f32_e32 v123, v123, v128
	s_waitcnt vmcnt(44)
	v_fmac_f32_e32 v130, v118, v184
	v_add_f32_e32 v123, v123, v129
	v_add_f32_e32 v127, v123, v130
	ds_read2_b64 v[123:126], v102 offset0:77 offset1:78
	buffer_load_dword v229, off, s[0:3], 0 offset:372
	buffer_load_dword v230, off, s[0:3], 0 offset:368
	;; [unrolled: 1-line block ×8, first 2 shown]
	s_waitcnt vmcnt(51) lgkmcnt(1)
	v_mul_f32_e32 v128, v119, v185
	s_waitcnt vmcnt(50)
	v_fmac_f32_e32 v128, v120, v186
	v_mul_f32_e32 v104, v104, v169
	v_add_f32_e32 v127, v127, v128
	s_waitcnt vmcnt(49)
	v_mul_f32_e32 v128, v121, v187
	v_fma_f32 v103, v103, v177, -v104
	v_mul_f32_e32 v104, v106, v170
	s_waitcnt vmcnt(46)
	v_fmac_f32_e32 v128, v122, v190
	v_add_f32_e32 v103, 0, v103
	v_fma_f32 v104, v105, v178, -v104
	v_add_f32_e32 v127, v127, v128
	s_waitcnt vmcnt(44) lgkmcnt(0)
	v_mul_f32_e32 v128, v123, v192
	v_add_f32_e32 v103, v103, v104
	v_mul_f32_e32 v104, v108, v171
	v_fmac_f32_e32 v128, v124, v191
	v_fma_f32 v104, v107, v179, -v104
	v_add_f32_e32 v131, v127, v128
	ds_read2_b64 v[127:130], v102 offset0:79 offset1:80
	v_add_f32_e32 v103, v103, v104
	v_mul_f32_e32 v104, v110, v172
	v_fma_f32 v104, v109, v180, -v104
	s_waitcnt vmcnt(42)
	v_mul_f32_e32 v132, v125, v194
	v_add_f32_e32 v103, v103, v104
	v_mul_f32_e32 v104, v112, v173
	v_fmac_f32_e32 v132, v126, v193
	v_fma_f32 v104, v111, v181, -v104
	v_add_f32_e32 v135, v131, v132
	ds_read2_b64 v[131:134], v102 offset0:81 offset1:82
	v_add_f32_e32 v103, v103, v104
	v_mul_f32_e32 v104, v114, v174
	s_waitcnt vmcnt(40) lgkmcnt(1)
	v_mul_f32_e32 v136, v127, v196
	v_fma_f32 v104, v113, v182, -v104
	v_fmac_f32_e32 v136, v128, v195
	v_add_f32_e32 v103, v103, v104
	v_mul_f32_e32 v104, v116, v175
	v_add_f32_e32 v135, v135, v136
	s_waitcnt vmcnt(38)
	v_mul_f32_e32 v136, v129, v198
	v_fma_f32 v104, v115, v183, -v104
	v_fmac_f32_e32 v136, v130, v197
	v_add_f32_e32 v103, v103, v104
	v_mul_f32_e32 v104, v118, v176
	v_add_f32_e32 v135, v135, v136
	s_waitcnt vmcnt(36) lgkmcnt(0)
	v_mul_f32_e32 v136, v131, v200
	v_fma_f32 v104, v117, v184, -v104
	v_fmac_f32_e32 v136, v132, v199
	v_add_f32_e32 v103, v103, v104
	v_mul_f32_e32 v104, v120, v185
	v_add_f32_e32 v139, v135, v136
	ds_read2_b64 v[135:138], v102 offset0:83 offset1:84
	v_fma_f32 v104, v119, v186, -v104
	v_add_f32_e32 v103, v103, v104
	v_mul_f32_e32 v104, v122, v187
	s_waitcnt vmcnt(34)
	v_mul_f32_e32 v140, v133, v202
	v_fma_f32 v104, v121, v190, -v104
	v_fmac_f32_e32 v140, v134, v201
	v_add_f32_e32 v103, v103, v104
	v_mul_f32_e32 v104, v124, v192
	v_add_f32_e32 v143, v139, v140
	ds_read2_b64 v[139:142], v102 offset0:85 offset1:86
	v_fma_f32 v104, v123, v191, -v104
	s_waitcnt vmcnt(32) lgkmcnt(1)
	v_mul_f32_e32 v144, v135, v204
	v_add_f32_e32 v103, v103, v104
	v_mul_f32_e32 v104, v126, v194
	v_fmac_f32_e32 v144, v136, v203
	v_fma_f32 v104, v125, v193, -v104
	v_add_f32_e32 v143, v143, v144
	s_waitcnt vmcnt(30)
	v_mul_f32_e32 v144, v137, v206
	v_add_f32_e32 v103, v103, v104
	v_mul_f32_e32 v104, v128, v196
	v_fmac_f32_e32 v144, v138, v205
	v_fma_f32 v104, v127, v195, -v104
	v_add_f32_e32 v143, v143, v144
	s_waitcnt vmcnt(28) lgkmcnt(0)
	v_mul_f32_e32 v144, v139, v208
	v_add_f32_e32 v103, v103, v104
	v_mul_f32_e32 v104, v130, v198
	v_fmac_f32_e32 v144, v140, v207
	v_fma_f32 v104, v129, v197, -v104
	v_add_f32_e32 v147, v143, v144
	ds_read2_b64 v[143:146], v102 offset0:87 offset1:88
	v_add_f32_e32 v103, v103, v104
	v_mul_f32_e32 v104, v132, v200
	v_fma_f32 v104, v131, v199, -v104
	s_waitcnt vmcnt(26)
	v_mul_f32_e32 v148, v141, v210
	v_add_f32_e32 v103, v103, v104
	v_mul_f32_e32 v104, v134, v202
	v_fmac_f32_e32 v148, v142, v209
	v_fma_f32 v104, v133, v201, -v104
	v_add_f32_e32 v151, v147, v148
	ds_read2_b64 v[147:150], v102 offset0:89 offset1:90
	v_add_f32_e32 v103, v103, v104
	v_mul_f32_e32 v104, v136, v204
	s_waitcnt vmcnt(24) lgkmcnt(1)
	v_mul_f32_e32 v152, v143, v212
	v_fma_f32 v104, v135, v203, -v104
	v_fmac_f32_e32 v152, v144, v211
	v_add_f32_e32 v103, v103, v104
	v_mul_f32_e32 v104, v138, v206
	v_add_f32_e32 v151, v151, v152
	s_waitcnt vmcnt(22)
	v_mul_f32_e32 v152, v145, v214
	v_fma_f32 v104, v137, v205, -v104
	v_fmac_f32_e32 v152, v146, v213
	v_add_f32_e32 v103, v103, v104
	v_mul_f32_e32 v104, v140, v208
	v_add_f32_e32 v151, v151, v152
	s_waitcnt vmcnt(20) lgkmcnt(0)
	v_mul_f32_e32 v152, v147, v216
	v_fma_f32 v104, v139, v207, -v104
	v_fmac_f32_e32 v152, v148, v215
	v_add_f32_e32 v103, v103, v104
	v_mul_f32_e32 v104, v142, v210
	v_add_f32_e32 v155, v151, v152
	ds_read2_b64 v[151:154], v102 offset0:91 offset1:92
	v_fma_f32 v104, v141, v209, -v104
	v_add_f32_e32 v103, v103, v104
	v_mul_f32_e32 v104, v144, v212
	s_waitcnt vmcnt(18)
	v_mul_f32_e32 v156, v149, v218
	v_fma_f32 v104, v143, v211, -v104
	v_fmac_f32_e32 v156, v150, v217
	v_add_f32_e32 v103, v103, v104
	v_mul_f32_e32 v104, v146, v214
	v_add_f32_e32 v159, v155, v156
	ds_read2_b64 v[155:158], v102 offset0:93 offset1:94
	v_fma_f32 v104, v145, v213, -v104
	s_waitcnt vmcnt(16) lgkmcnt(1)
	v_mul_f32_e32 v160, v151, v220
	v_add_f32_e32 v103, v103, v104
	v_mul_f32_e32 v104, v148, v216
	v_fmac_f32_e32 v160, v152, v219
	v_fma_f32 v104, v147, v215, -v104
	v_add_f32_e32 v159, v159, v160
	s_waitcnt vmcnt(14)
	v_mul_f32_e32 v160, v153, v222
	v_add_f32_e32 v103, v103, v104
	v_mul_f32_e32 v104, v150, v218
	v_fmac_f32_e32 v160, v154, v221
	v_fma_f32 v104, v149, v217, -v104
	v_add_f32_e32 v159, v159, v160
	s_waitcnt vmcnt(12) lgkmcnt(0)
	v_mul_f32_e32 v160, v155, v224
	v_add_f32_e32 v103, v103, v104
	v_mul_f32_e32 v104, v152, v220
	v_fmac_f32_e32 v160, v156, v223
	v_fma_f32 v104, v151, v219, -v104
	v_add_f32_e32 v163, v159, v160
	ds_read2_b64 v[159:162], v102 offset0:95 offset1:96
	v_add_f32_e32 v103, v103, v104
	v_mul_f32_e32 v104, v154, v222
	v_fma_f32 v104, v153, v221, -v104
	v_add_f32_e32 v103, v103, v104
	v_mul_f32_e32 v104, v156, v224
	s_waitcnt vmcnt(10)
	v_mul_f32_e32 v164, v157, v226
	v_fma_f32 v104, v155, v223, -v104
	v_fmac_f32_e32 v164, v158, v225
	v_add_f32_e32 v103, v103, v104
	v_mul_f32_e32 v104, v158, v226
	v_add_f32_e32 v167, v163, v164
	ds_read2_b64 v[163:166], v102 offset0:97 offset1:98
	s_waitcnt vmcnt(8) lgkmcnt(1)
	v_mul_f32_e32 v168, v159, v228
	v_fma_f32 v104, v157, v225, -v104
	v_fmac_f32_e32 v168, v160, v227
	v_add_f32_e32 v103, v103, v104
	v_mul_f32_e32 v104, v160, v228
	v_add_f32_e32 v167, v167, v168
	s_waitcnt vmcnt(7)
	v_mul_f32_e32 v168, v161, v229
	v_fma_f32 v104, v159, v227, -v104
	s_waitcnt vmcnt(6)
	v_fmac_f32_e32 v168, v162, v230
	v_add_f32_e32 v103, v103, v104
	v_mul_f32_e32 v104, v162, v229
	v_add_f32_e32 v237, v167, v168
	ds_read_b64 v[167:168], v102 offset:792
	v_fma_f32 v104, v161, v230, -v104
	v_add_f32_e32 v103, v103, v104
	s_waitcnt vmcnt(4) lgkmcnt(1)
	v_mul_f32_e32 v104, v164, v232
	v_mul_f32_e32 v238, v163, v232
	v_fma_f32 v104, v163, v231, -v104
	v_fmac_f32_e32 v238, v164, v231
	v_add_f32_e32 v103, v103, v104
	s_waitcnt vmcnt(3)
	v_mul_f32_e32 v104, v166, v233
	v_add_f32_e32 v237, v237, v238
	v_mul_f32_e32 v238, v165, v233
	s_waitcnt vmcnt(2)
	v_fma_f32 v104, v165, v234, -v104
	v_fmac_f32_e32 v238, v166, v234
	v_add_f32_e32 v103, v103, v104
	s_waitcnt vmcnt(0) lgkmcnt(0)
	v_mul_f32_e32 v104, v168, v236
	v_add_f32_e32 v237, v237, v238
	v_mul_f32_e32 v238, v167, v236
	v_fma_f32 v104, v167, v235, -v104
	v_fmac_f32_e32 v238, v168, v235
	v_add_f32_e32 v103, v103, v104
	v_add_f32_e32 v237, v237, v238
	v_sub_f32_e32 v103, v188, v103
	v_sub_f32_e32 v104, v189, v237
	buffer_store_dword v103, off, s[0:3], 0 offset:128
	buffer_store_dword v104, off, s[0:3], 0 offset:132
	s_and_saveexec_b64 s[4:5], vcc
	s_cbranch_execz .LBB113_283
; %bb.282:
	buffer_load_dword v103, off, s[0:3], 0 offset:120
	buffer_load_dword v104, off, s[0:3], 0 offset:124
	s_waitcnt vmcnt(0)
	ds_write_b64 v101, v[103:104]
	buffer_store_dword v102, off, s[0:3], 0 offset:120
	buffer_store_dword v102, off, s[0:3], 0 offset:124
.LBB113_283:
	s_or_b64 exec, exec, s[4:5]
	s_waitcnt lgkmcnt(0)
	; wave barrier
	buffer_load_dword v171, off, s[0:3], 0 offset:132
	buffer_load_dword v172, off, s[0:3], 0 offset:140
	;; [unrolled: 1-line block ×24, first 2 shown]
	ds_read_b128 v[103:106], v102 offset:528
	ds_read_b128 v[107:110], v102 offset:544
	;; [unrolled: 1-line block ×6, first 2 shown]
	buffer_load_dword v195, off, s[0:3], 0 offset:220
	buffer_load_dword v196, off, s[0:3], 0 offset:216
	;; [unrolled: 1-line block ×46, first 2 shown]
	v_cmp_lt_u32_e32 vcc, 14, v0
	s_waitcnt vmcnt(62) lgkmcnt(5)
	v_mul_f32_e32 v127, v103, v171
	v_mul_f32_e32 v128, v105, v172
	s_waitcnt lgkmcnt(4)
	v_mul_f32_e32 v129, v107, v173
	v_mul_f32_e32 v130, v109, v174
	s_waitcnt lgkmcnt(3)
	;; [unrolled: 3-line block ×3, first 2 shown]
	v_mul_f32_e32 v133, v115, v177
	v_mul_f32_e32 v134, v117, v178
	s_waitcnt vmcnt(61)
	v_fmac_f32_e32 v127, v104, v179
	s_waitcnt vmcnt(60)
	v_fmac_f32_e32 v128, v106, v180
	v_add_f32_e32 v127, 0, v127
	s_waitcnt vmcnt(59)
	v_fmac_f32_e32 v129, v108, v181
	v_add_f32_e32 v127, v127, v128
	;; [unrolled: 3-line block ×7, first 2 shown]
	s_waitcnt vmcnt(53) lgkmcnt(1)
	v_mul_f32_e32 v128, v119, v187
	v_add_f32_e32 v127, v127, v134
	s_waitcnt vmcnt(52)
	v_fmac_f32_e32 v128, v120, v188
	v_mul_f32_e32 v104, v104, v171
	v_add_f32_e32 v127, v127, v128
	s_waitcnt vmcnt(51)
	v_mul_f32_e32 v128, v121, v189
	v_fma_f32 v103, v103, v179, -v104
	v_mul_f32_e32 v104, v106, v172
	s_waitcnt vmcnt(50)
	v_fmac_f32_e32 v128, v122, v190
	v_add_f32_e32 v103, 0, v103
	v_fma_f32 v104, v105, v180, -v104
	v_add_f32_e32 v127, v127, v128
	s_waitcnt vmcnt(47) lgkmcnt(0)
	v_mul_f32_e32 v128, v123, v193
	v_add_f32_e32 v103, v103, v104
	v_mul_f32_e32 v104, v108, v173
	s_waitcnt vmcnt(46)
	v_fmac_f32_e32 v128, v124, v194
	v_fma_f32 v104, v107, v181, -v104
	v_add_f32_e32 v131, v127, v128
	ds_read_b128 v[127:130], v102 offset:624
	v_add_f32_e32 v103, v103, v104
	v_mul_f32_e32 v104, v110, v174
	v_fma_f32 v104, v109, v182, -v104
	s_waitcnt vmcnt(45)
	v_mul_f32_e32 v132, v125, v195
	v_add_f32_e32 v103, v103, v104
	v_mul_f32_e32 v104, v112, v175
	s_waitcnt vmcnt(44)
	v_fmac_f32_e32 v132, v126, v196
	v_fma_f32 v104, v111, v183, -v104
	v_add_f32_e32 v135, v131, v132
	ds_read_b128 v[131:134], v102 offset:640
	v_add_f32_e32 v103, v103, v104
	v_mul_f32_e32 v104, v114, v176
	s_waitcnt vmcnt(42) lgkmcnt(1)
	v_mul_f32_e32 v136, v127, v198
	v_fma_f32 v104, v113, v184, -v104
	v_fmac_f32_e32 v136, v128, v197
	v_add_f32_e32 v103, v103, v104
	v_mul_f32_e32 v104, v116, v177
	v_add_f32_e32 v135, v135, v136
	s_waitcnt vmcnt(40)
	v_mul_f32_e32 v136, v129, v200
	v_fma_f32 v104, v115, v185, -v104
	v_fmac_f32_e32 v136, v130, v199
	v_add_f32_e32 v103, v103, v104
	v_mul_f32_e32 v104, v118, v178
	v_add_f32_e32 v135, v135, v136
	s_waitcnt vmcnt(38) lgkmcnt(0)
	v_mul_f32_e32 v136, v131, v202
	v_fma_f32 v104, v117, v186, -v104
	v_fmac_f32_e32 v136, v132, v201
	v_add_f32_e32 v103, v103, v104
	v_mul_f32_e32 v104, v120, v187
	v_add_f32_e32 v139, v135, v136
	ds_read_b128 v[135:138], v102 offset:656
	v_fma_f32 v104, v119, v188, -v104
	v_add_f32_e32 v103, v103, v104
	v_mul_f32_e32 v104, v122, v189
	s_waitcnt vmcnt(36)
	v_mul_f32_e32 v140, v133, v204
	v_fma_f32 v104, v121, v190, -v104
	v_fmac_f32_e32 v140, v134, v203
	v_add_f32_e32 v103, v103, v104
	v_mul_f32_e32 v104, v124, v193
	v_add_f32_e32 v143, v139, v140
	ds_read_b128 v[139:142], v102 offset:672
	v_fma_f32 v104, v123, v194, -v104
	s_waitcnt vmcnt(34) lgkmcnt(1)
	v_mul_f32_e32 v144, v135, v206
	v_add_f32_e32 v103, v103, v104
	v_mul_f32_e32 v104, v126, v195
	v_fmac_f32_e32 v144, v136, v205
	v_fma_f32 v104, v125, v196, -v104
	v_add_f32_e32 v143, v143, v144
	s_waitcnt vmcnt(32)
	v_mul_f32_e32 v144, v137, v208
	v_add_f32_e32 v103, v103, v104
	v_mul_f32_e32 v104, v128, v198
	v_fmac_f32_e32 v144, v138, v207
	v_fma_f32 v104, v127, v197, -v104
	v_add_f32_e32 v143, v143, v144
	s_waitcnt vmcnt(30) lgkmcnt(0)
	v_mul_f32_e32 v144, v139, v210
	v_add_f32_e32 v103, v103, v104
	v_mul_f32_e32 v104, v130, v200
	v_fmac_f32_e32 v144, v140, v209
	v_fma_f32 v104, v129, v199, -v104
	v_add_f32_e32 v147, v143, v144
	ds_read_b128 v[143:146], v102 offset:688
	v_add_f32_e32 v103, v103, v104
	v_mul_f32_e32 v104, v132, v202
	v_fma_f32 v104, v131, v201, -v104
	s_waitcnt vmcnt(28)
	v_mul_f32_e32 v148, v141, v212
	v_add_f32_e32 v103, v103, v104
	v_mul_f32_e32 v104, v134, v204
	v_fmac_f32_e32 v148, v142, v211
	v_fma_f32 v104, v133, v203, -v104
	v_add_f32_e32 v151, v147, v148
	ds_read_b128 v[147:150], v102 offset:704
	v_add_f32_e32 v103, v103, v104
	v_mul_f32_e32 v104, v136, v206
	s_waitcnt vmcnt(26) lgkmcnt(1)
	v_mul_f32_e32 v152, v143, v214
	v_fma_f32 v104, v135, v205, -v104
	v_fmac_f32_e32 v152, v144, v213
	v_add_f32_e32 v103, v103, v104
	v_mul_f32_e32 v104, v138, v208
	v_add_f32_e32 v151, v151, v152
	s_waitcnt vmcnt(24)
	v_mul_f32_e32 v152, v145, v216
	v_fma_f32 v104, v137, v207, -v104
	v_fmac_f32_e32 v152, v146, v215
	v_add_f32_e32 v103, v103, v104
	v_mul_f32_e32 v104, v140, v210
	v_add_f32_e32 v151, v151, v152
	s_waitcnt vmcnt(22) lgkmcnt(0)
	v_mul_f32_e32 v152, v147, v218
	v_fma_f32 v104, v139, v209, -v104
	v_fmac_f32_e32 v152, v148, v217
	v_add_f32_e32 v103, v103, v104
	v_mul_f32_e32 v104, v142, v212
	v_add_f32_e32 v155, v151, v152
	ds_read_b128 v[151:154], v102 offset:720
	v_fma_f32 v104, v141, v211, -v104
	v_add_f32_e32 v103, v103, v104
	v_mul_f32_e32 v104, v144, v214
	s_waitcnt vmcnt(20)
	v_mul_f32_e32 v156, v149, v220
	v_fma_f32 v104, v143, v213, -v104
	v_fmac_f32_e32 v156, v150, v219
	v_add_f32_e32 v103, v103, v104
	v_mul_f32_e32 v104, v146, v216
	v_add_f32_e32 v159, v155, v156
	ds_read_b128 v[155:158], v102 offset:736
	v_fma_f32 v104, v145, v215, -v104
	s_waitcnt vmcnt(18) lgkmcnt(1)
	v_mul_f32_e32 v160, v151, v222
	v_add_f32_e32 v103, v103, v104
	v_mul_f32_e32 v104, v148, v218
	v_fmac_f32_e32 v160, v152, v221
	v_fma_f32 v104, v147, v217, -v104
	v_add_f32_e32 v159, v159, v160
	s_waitcnt vmcnt(16)
	v_mul_f32_e32 v160, v153, v224
	v_add_f32_e32 v103, v103, v104
	v_mul_f32_e32 v104, v150, v220
	v_fmac_f32_e32 v160, v154, v223
	v_fma_f32 v104, v149, v219, -v104
	v_add_f32_e32 v159, v159, v160
	s_waitcnt vmcnt(14) lgkmcnt(0)
	v_mul_f32_e32 v160, v155, v226
	v_add_f32_e32 v103, v103, v104
	v_mul_f32_e32 v104, v152, v222
	v_fmac_f32_e32 v160, v156, v225
	v_fma_f32 v104, v151, v221, -v104
	v_add_f32_e32 v163, v159, v160
	ds_read_b128 v[159:162], v102 offset:752
	v_add_f32_e32 v103, v103, v104
	v_mul_f32_e32 v104, v154, v224
	v_fma_f32 v104, v153, v223, -v104
	v_add_f32_e32 v103, v103, v104
	v_mul_f32_e32 v104, v156, v226
	s_waitcnt vmcnt(12)
	v_mul_f32_e32 v164, v157, v228
	v_fma_f32 v104, v155, v225, -v104
	v_fmac_f32_e32 v164, v158, v227
	v_add_f32_e32 v103, v103, v104
	v_mul_f32_e32 v104, v158, v228
	v_add_f32_e32 v167, v163, v164
	ds_read_b128 v[163:166], v102 offset:768
	s_waitcnt vmcnt(10) lgkmcnt(1)
	v_mul_f32_e32 v168, v159, v230
	v_fma_f32 v104, v157, v227, -v104
	v_fmac_f32_e32 v168, v160, v229
	v_add_f32_e32 v103, v103, v104
	v_mul_f32_e32 v104, v160, v230
	v_add_f32_e32 v167, v167, v168
	s_waitcnt vmcnt(9)
	v_mul_f32_e32 v168, v161, v231
	v_fma_f32 v104, v159, v229, -v104
	s_waitcnt vmcnt(8)
	v_fmac_f32_e32 v168, v162, v232
	v_add_f32_e32 v103, v103, v104
	v_mul_f32_e32 v104, v162, v231
	v_add_f32_e32 v241, v167, v168
	ds_read_b128 v[167:170], v102 offset:784
	v_fma_f32 v104, v161, v232, -v104
	v_add_f32_e32 v103, v103, v104
	s_waitcnt vmcnt(6) lgkmcnt(1)
	v_mul_f32_e32 v104, v164, v234
	v_mul_f32_e32 v242, v163, v234
	v_fma_f32 v104, v163, v233, -v104
	v_fmac_f32_e32 v242, v164, v233
	v_add_f32_e32 v103, v103, v104
	s_waitcnt vmcnt(4)
	v_mul_f32_e32 v104, v166, v236
	v_add_f32_e32 v102, v241, v242
	v_mul_f32_e32 v241, v165, v236
	v_fma_f32 v104, v165, v235, -v104
	v_fmac_f32_e32 v241, v166, v235
	v_add_f32_e32 v103, v103, v104
	s_waitcnt vmcnt(3) lgkmcnt(0)
	v_mul_f32_e32 v104, v168, v237
	v_add_f32_e32 v102, v102, v241
	v_mul_f32_e32 v241, v167, v237
	s_waitcnt vmcnt(2)
	v_fma_f32 v104, v167, v238, -v104
	v_fmac_f32_e32 v241, v168, v238
	v_add_f32_e32 v103, v103, v104
	s_waitcnt vmcnt(0)
	v_mul_f32_e32 v104, v170, v240
	v_add_f32_e32 v102, v102, v241
	v_mul_f32_e32 v241, v169, v240
	v_fma_f32 v104, v169, v239, -v104
	v_fmac_f32_e32 v241, v170, v239
	v_add_f32_e32 v103, v103, v104
	v_add_f32_e32 v102, v102, v241
	v_sub_f32_e32 v103, v191, v103
	v_sub_f32_e32 v102, v192, v102
	buffer_store_dword v103, off, s[0:3], 0 offset:120
	buffer_store_dword v102, off, s[0:3], 0 offset:124
	s_and_saveexec_b64 s[4:5], vcc
	s_cbranch_execz .LBB113_285
; %bb.284:
	buffer_load_dword v102, off, s[0:3], 0 offset:112
	buffer_load_dword v103, off, s[0:3], 0 offset:116
	v_mov_b32_e32 v104, 0
	buffer_store_dword v104, off, s[0:3], 0 offset:112
	buffer_store_dword v104, off, s[0:3], 0 offset:116
	s_waitcnt vmcnt(2)
	ds_write_b64 v101, v[102:103]
.LBB113_285:
	s_or_b64 exec, exec, s[4:5]
	s_waitcnt lgkmcnt(0)
	; wave barrier
	buffer_load_dword v173, off, s[0:3], 0 offset:124
	buffer_load_dword v174, off, s[0:3], 0 offset:132
	;; [unrolled: 1-line block ×56, first 2 shown]
	v_mov_b32_e32 v102, 0
	ds_read2_b64 v[103:106], v102 offset0:65 offset1:66
	ds_read2_b64 v[107:110], v102 offset0:67 offset1:68
	ds_read2_b64 v[111:114], v102 offset0:69 offset1:70
	ds_read2_b64 v[115:118], v102 offset0:71 offset1:72
	ds_read2_b64 v[119:122], v102 offset0:73 offset1:74
	ds_read2_b64 v[123:126], v102 offset0:75 offset1:76
	buffer_load_dword v229, off, s[0:3], 0 offset:336
	buffer_load_dword v230, off, s[0:3], 0 offset:340
	;; [unrolled: 1-line block ×12, first 2 shown]
	v_cmp_lt_u32_e32 vcc, 13, v0
	s_waitcnt vmcnt(62) lgkmcnt(5)
	v_mul_f32_e32 v127, v103, v173
	v_mul_f32_e32 v128, v105, v174
	s_waitcnt lgkmcnt(4)
	v_mul_f32_e32 v129, v107, v175
	v_mul_f32_e32 v130, v109, v176
	s_waitcnt lgkmcnt(3)
	v_mul_f32_e32 v131, v111, v177
	v_mul_f32_e32 v132, v113, v178
	s_waitcnt vmcnt(61) lgkmcnt(2)
	v_mul_f32_e32 v133, v115, v179
	s_waitcnt vmcnt(60)
	v_mul_f32_e32 v134, v117, v180
	s_waitcnt vmcnt(59) lgkmcnt(1)
	v_mul_f32_e32 v135, v119, v181
	s_waitcnt vmcnt(58)
	v_fmac_f32_e32 v127, v104, v182
	s_waitcnt vmcnt(57)
	v_fmac_f32_e32 v128, v106, v183
	v_add_f32_e32 v127, 0, v127
	s_waitcnt vmcnt(56)
	v_fmac_f32_e32 v129, v108, v184
	v_add_f32_e32 v127, v127, v128
	;; [unrolled: 3-line block ×7, first 2 shown]
	v_add_f32_e32 v127, v127, v134
	s_waitcnt vmcnt(50)
	v_fmac_f32_e32 v135, v120, v190
	s_waitcnt vmcnt(49)
	v_mul_f32_e32 v128, v121, v191
	v_add_f32_e32 v127, v127, v135
	s_waitcnt vmcnt(48)
	v_fmac_f32_e32 v128, v122, v192
	v_add_f32_e32 v127, v127, v128
	s_waitcnt vmcnt(47) lgkmcnt(0)
	v_mul_f32_e32 v128, v123, v193
	s_waitcnt vmcnt(44)
	v_fmac_f32_e32 v128, v124, v196
	v_add_f32_e32 v131, v127, v128
	ds_read2_b64 v[127:130], v102 offset0:77 offset1:78
	buffer_load_dword v241, off, s[0:3], 0 offset:388
	buffer_load_dword v242, off, s[0:3], 0 offset:384
	;; [unrolled: 1-line block ×4, first 2 shown]
	v_mul_f32_e32 v104, v104, v173
	v_fma_f32 v103, v103, v182, -v104
	v_mul_f32_e32 v104, v106, v174
	v_add_f32_e32 v103, 0, v103
	v_fma_f32 v104, v105, v183, -v104
	v_add_f32_e32 v103, v103, v104
	v_mul_f32_e32 v104, v108, v175
	v_fma_f32 v104, v107, v184, -v104
	s_waitcnt vmcnt(46)
	v_mul_f32_e32 v132, v125, v198
	v_add_f32_e32 v103, v103, v104
	v_mul_f32_e32 v104, v110, v176
	v_fmac_f32_e32 v132, v126, v197
	v_fma_f32 v104, v109, v185, -v104
	v_add_f32_e32 v135, v131, v132
	ds_read2_b64 v[131:134], v102 offset0:79 offset1:80
	v_add_f32_e32 v103, v103, v104
	v_mul_f32_e32 v104, v112, v177
	s_waitcnt vmcnt(44) lgkmcnt(1)
	v_mul_f32_e32 v136, v127, v200
	v_fma_f32 v104, v111, v186, -v104
	v_fmac_f32_e32 v136, v128, v199
	v_add_f32_e32 v103, v103, v104
	v_mul_f32_e32 v104, v114, v178
	v_add_f32_e32 v135, v135, v136
	s_waitcnt vmcnt(42)
	v_mul_f32_e32 v136, v129, v202
	v_fma_f32 v104, v113, v187, -v104
	v_fmac_f32_e32 v136, v130, v201
	v_add_f32_e32 v103, v103, v104
	v_mul_f32_e32 v104, v116, v179
	v_add_f32_e32 v135, v135, v136
	s_waitcnt vmcnt(40) lgkmcnt(0)
	v_mul_f32_e32 v136, v131, v204
	v_fma_f32 v104, v115, v188, -v104
	v_fmac_f32_e32 v136, v132, v203
	v_add_f32_e32 v103, v103, v104
	v_mul_f32_e32 v104, v118, v180
	v_add_f32_e32 v139, v135, v136
	ds_read2_b64 v[135:138], v102 offset0:81 offset1:82
	v_fma_f32 v104, v117, v189, -v104
	v_add_f32_e32 v103, v103, v104
	v_mul_f32_e32 v104, v120, v181
	s_waitcnt vmcnt(38)
	v_mul_f32_e32 v140, v133, v206
	v_fma_f32 v104, v119, v190, -v104
	v_fmac_f32_e32 v140, v134, v205
	v_add_f32_e32 v103, v103, v104
	v_mul_f32_e32 v104, v122, v191
	v_add_f32_e32 v143, v139, v140
	ds_read2_b64 v[139:142], v102 offset0:83 offset1:84
	v_fma_f32 v104, v121, v192, -v104
	s_waitcnt vmcnt(36) lgkmcnt(1)
	v_mul_f32_e32 v144, v135, v208
	v_add_f32_e32 v103, v103, v104
	v_mul_f32_e32 v104, v124, v193
	v_fmac_f32_e32 v144, v136, v207
	v_fma_f32 v104, v123, v196, -v104
	v_add_f32_e32 v143, v143, v144
	s_waitcnt vmcnt(34)
	v_mul_f32_e32 v144, v137, v210
	v_add_f32_e32 v103, v103, v104
	v_mul_f32_e32 v104, v126, v198
	v_fmac_f32_e32 v144, v138, v209
	v_fma_f32 v104, v125, v197, -v104
	v_add_f32_e32 v143, v143, v144
	s_waitcnt vmcnt(32) lgkmcnt(0)
	v_mul_f32_e32 v144, v139, v212
	v_add_f32_e32 v103, v103, v104
	v_mul_f32_e32 v104, v128, v200
	v_fmac_f32_e32 v144, v140, v211
	v_fma_f32 v104, v127, v199, -v104
	v_add_f32_e32 v147, v143, v144
	ds_read2_b64 v[143:146], v102 offset0:85 offset1:86
	v_add_f32_e32 v103, v103, v104
	v_mul_f32_e32 v104, v130, v202
	v_fma_f32 v104, v129, v201, -v104
	s_waitcnt vmcnt(30)
	v_mul_f32_e32 v148, v141, v214
	v_add_f32_e32 v103, v103, v104
	v_mul_f32_e32 v104, v132, v204
	v_fmac_f32_e32 v148, v142, v213
	v_fma_f32 v104, v131, v203, -v104
	v_add_f32_e32 v151, v147, v148
	ds_read2_b64 v[147:150], v102 offset0:87 offset1:88
	v_add_f32_e32 v103, v103, v104
	v_mul_f32_e32 v104, v134, v206
	s_waitcnt vmcnt(28) lgkmcnt(1)
	v_mul_f32_e32 v152, v143, v216
	v_fma_f32 v104, v133, v205, -v104
	v_fmac_f32_e32 v152, v144, v215
	v_add_f32_e32 v103, v103, v104
	v_mul_f32_e32 v104, v136, v208
	v_add_f32_e32 v151, v151, v152
	s_waitcnt vmcnt(26)
	v_mul_f32_e32 v152, v145, v218
	v_fma_f32 v104, v135, v207, -v104
	v_fmac_f32_e32 v152, v146, v217
	v_add_f32_e32 v103, v103, v104
	v_mul_f32_e32 v104, v138, v210
	v_add_f32_e32 v151, v151, v152
	s_waitcnt vmcnt(24) lgkmcnt(0)
	v_mul_f32_e32 v152, v147, v220
	v_fma_f32 v104, v137, v209, -v104
	v_fmac_f32_e32 v152, v148, v219
	v_add_f32_e32 v103, v103, v104
	v_mul_f32_e32 v104, v140, v212
	v_add_f32_e32 v155, v151, v152
	ds_read2_b64 v[151:154], v102 offset0:89 offset1:90
	v_fma_f32 v104, v139, v211, -v104
	v_add_f32_e32 v103, v103, v104
	v_mul_f32_e32 v104, v142, v214
	s_waitcnt vmcnt(22)
	v_mul_f32_e32 v156, v149, v222
	v_fma_f32 v104, v141, v213, -v104
	v_fmac_f32_e32 v156, v150, v221
	v_add_f32_e32 v103, v103, v104
	v_mul_f32_e32 v104, v144, v216
	v_add_f32_e32 v159, v155, v156
	ds_read2_b64 v[155:158], v102 offset0:91 offset1:92
	v_fma_f32 v104, v143, v215, -v104
	s_waitcnt vmcnt(20) lgkmcnt(1)
	v_mul_f32_e32 v160, v151, v224
	v_add_f32_e32 v103, v103, v104
	v_mul_f32_e32 v104, v146, v218
	v_fmac_f32_e32 v160, v152, v223
	v_fma_f32 v104, v145, v217, -v104
	v_add_f32_e32 v159, v159, v160
	s_waitcnt vmcnt(18)
	v_mul_f32_e32 v160, v153, v226
	v_add_f32_e32 v103, v103, v104
	v_mul_f32_e32 v104, v148, v220
	v_fmac_f32_e32 v160, v154, v225
	v_fma_f32 v104, v147, v219, -v104
	v_add_f32_e32 v159, v159, v160
	s_waitcnt vmcnt(16) lgkmcnt(0)
	v_mul_f32_e32 v160, v155, v228
	v_add_f32_e32 v103, v103, v104
	v_mul_f32_e32 v104, v150, v222
	v_fmac_f32_e32 v160, v156, v227
	v_fma_f32 v104, v149, v221, -v104
	v_add_f32_e32 v163, v159, v160
	ds_read2_b64 v[159:162], v102 offset0:93 offset1:94
	v_add_f32_e32 v103, v103, v104
	v_mul_f32_e32 v104, v152, v224
	v_fma_f32 v104, v151, v223, -v104
	s_waitcnt vmcnt(14)
	v_mul_f32_e32 v164, v157, v230
	v_add_f32_e32 v103, v103, v104
	v_mul_f32_e32 v104, v154, v226
	v_fmac_f32_e32 v164, v158, v229
	v_fma_f32 v104, v153, v225, -v104
	v_add_f32_e32 v167, v163, v164
	ds_read2_b64 v[163:166], v102 offset0:95 offset1:96
	v_add_f32_e32 v103, v103, v104
	v_mul_f32_e32 v104, v156, v228
	s_waitcnt vmcnt(12) lgkmcnt(1)
	v_mul_f32_e32 v168, v159, v232
	v_fma_f32 v104, v155, v227, -v104
	v_fmac_f32_e32 v168, v160, v231
	v_add_f32_e32 v103, v103, v104
	v_mul_f32_e32 v104, v158, v230
	v_add_f32_e32 v167, v167, v168
	s_waitcnt vmcnt(11)
	v_mul_f32_e32 v168, v161, v233
	v_fma_f32 v104, v157, v229, -v104
	s_waitcnt vmcnt(10)
	v_fmac_f32_e32 v168, v162, v234
	v_add_f32_e32 v103, v103, v104
	v_mul_f32_e32 v104, v160, v232
	v_add_f32_e32 v167, v167, v168
	s_waitcnt vmcnt(8) lgkmcnt(0)
	v_mul_f32_e32 v168, v163, v236
	v_fma_f32 v104, v159, v231, -v104
	v_fmac_f32_e32 v168, v164, v235
	v_add_f32_e32 v103, v103, v104
	v_mul_f32_e32 v104, v162, v233
	v_add_f32_e32 v171, v167, v168
	ds_read2_b64 v[167:170], v102 offset0:97 offset1:98
	v_fma_f32 v104, v161, v234, -v104
	v_add_f32_e32 v103, v103, v104
	v_mul_f32_e32 v104, v164, v236
	s_waitcnt vmcnt(6)
	v_mul_f32_e32 v172, v165, v238
	v_fma_f32 v104, v163, v235, -v104
	v_fmac_f32_e32 v172, v166, v237
	v_add_f32_e32 v103, v103, v104
	v_mul_f32_e32 v104, v166, v238
	v_add_f32_e32 v245, v171, v172
	ds_read_b64 v[171:172], v102 offset:792
	v_fma_f32 v104, v165, v237, -v104
	v_add_f32_e32 v103, v103, v104
	s_waitcnt vmcnt(4) lgkmcnt(1)
	v_mul_f32_e32 v104, v168, v240
	v_mul_f32_e32 v246, v167, v240
	v_fma_f32 v104, v167, v239, -v104
	v_fmac_f32_e32 v246, v168, v239
	v_add_f32_e32 v103, v103, v104
	s_waitcnt vmcnt(3)
	v_mul_f32_e32 v104, v170, v241
	v_add_f32_e32 v245, v245, v246
	v_mul_f32_e32 v246, v169, v241
	s_waitcnt vmcnt(2)
	v_fma_f32 v104, v169, v242, -v104
	v_fmac_f32_e32 v246, v170, v242
	v_add_f32_e32 v103, v103, v104
	s_waitcnt vmcnt(0) lgkmcnt(0)
	v_mul_f32_e32 v104, v172, v244
	v_add_f32_e32 v245, v245, v246
	v_mul_f32_e32 v246, v171, v244
	v_fma_f32 v104, v171, v243, -v104
	v_fmac_f32_e32 v246, v172, v243
	v_add_f32_e32 v103, v103, v104
	v_add_f32_e32 v245, v245, v246
	v_sub_f32_e32 v103, v194, v103
	v_sub_f32_e32 v104, v195, v245
	buffer_store_dword v103, off, s[0:3], 0 offset:112
	buffer_store_dword v104, off, s[0:3], 0 offset:116
	s_and_saveexec_b64 s[4:5], vcc
	s_cbranch_execz .LBB113_287
; %bb.286:
	buffer_load_dword v103, off, s[0:3], 0 offset:104
	buffer_load_dword v104, off, s[0:3], 0 offset:108
	s_waitcnt vmcnt(0)
	ds_write_b64 v101, v[103:104]
	buffer_store_dword v102, off, s[0:3], 0 offset:104
	buffer_store_dword v102, off, s[0:3], 0 offset:108
.LBB113_287:
	s_or_b64 exec, exec, s[4:5]
	s_waitcnt lgkmcnt(0)
	; wave barrier
	buffer_load_dword v175, off, s[0:3], 0 offset:116
	buffer_load_dword v176, off, s[0:3], 0 offset:124
	buffer_load_dword v177, off, s[0:3], 0 offset:132
	buffer_load_dword v178, off, s[0:3], 0 offset:140
	buffer_load_dword v179, off, s[0:3], 0 offset:148
	buffer_load_dword v180, off, s[0:3], 0 offset:156
	buffer_load_dword v181, off, s[0:3], 0 offset:164
	buffer_load_dword v182, off, s[0:3], 0 offset:172
	buffer_load_dword v183, off, s[0:3], 0 offset:180
	buffer_load_dword v184, off, s[0:3], 0 offset:112
	buffer_load_dword v185, off, s[0:3], 0 offset:120
	buffer_load_dword v186, off, s[0:3], 0 offset:128
	buffer_load_dword v187, off, s[0:3], 0 offset:136
	buffer_load_dword v188, off, s[0:3], 0 offset:144
	buffer_load_dword v189, off, s[0:3], 0 offset:152
	buffer_load_dword v190, off, s[0:3], 0 offset:160
	buffer_load_dword v191, off, s[0:3], 0 offset:168
	buffer_load_dword v192, off, s[0:3], 0 offset:176
	buffer_load_dword v193, off, s[0:3], 0 offset:188
	buffer_load_dword v194, off, s[0:3], 0 offset:184
	buffer_load_dword v195, off, s[0:3], 0 offset:196
	buffer_load_dword v196, off, s[0:3], 0 offset:192
	buffer_load_dword v197, off, s[0:3], 0 offset:104
	buffer_load_dword v198, off, s[0:3], 0 offset:108
	buffer_load_dword v199, off, s[0:3], 0 offset:200
	buffer_load_dword v200, off, s[0:3], 0 offset:204
	ds_read_b128 v[103:106], v102 offset:512
	ds_read_b128 v[107:110], v102 offset:528
	;; [unrolled: 1-line block ×6, first 2 shown]
	buffer_load_dword v201, off, s[0:3], 0 offset:208
	buffer_load_dword v202, off, s[0:3], 0 offset:212
	;; [unrolled: 1-line block ×42, first 2 shown]
	v_cmp_lt_u32_e32 vcc, 12, v0
	s_waitcnt vmcnt(62) lgkmcnt(5)
	v_mul_f32_e32 v127, v103, v175
	v_mul_f32_e32 v128, v105, v176
	s_waitcnt lgkmcnt(4)
	v_mul_f32_e32 v129, v107, v177
	v_mul_f32_e32 v130, v109, v178
	s_waitcnt lgkmcnt(3)
	v_mul_f32_e32 v131, v111, v179
	v_mul_f32_e32 v132, v113, v180
	s_waitcnt vmcnt(61) lgkmcnt(2)
	v_mul_f32_e32 v133, v115, v181
	s_waitcnt vmcnt(60)
	v_mul_f32_e32 v134, v117, v182
	s_waitcnt vmcnt(59) lgkmcnt(1)
	v_mul_f32_e32 v135, v119, v183
	s_waitcnt vmcnt(58)
	v_fmac_f32_e32 v127, v104, v184
	s_waitcnt vmcnt(57)
	v_fmac_f32_e32 v128, v106, v185
	v_add_f32_e32 v127, 0, v127
	s_waitcnt vmcnt(56)
	v_fmac_f32_e32 v129, v108, v186
	v_add_f32_e32 v127, v127, v128
	;; [unrolled: 3-line block ×8, first 2 shown]
	s_waitcnt vmcnt(49)
	v_mul_f32_e32 v128, v121, v193
	v_add_f32_e32 v127, v127, v135
	s_waitcnt vmcnt(48)
	v_fmac_f32_e32 v128, v122, v194
	v_add_f32_e32 v127, v127, v128
	s_waitcnt vmcnt(47) lgkmcnt(0)
	v_mul_f32_e32 v128, v123, v195
	s_waitcnt vmcnt(46)
	v_fmac_f32_e32 v128, v124, v196
	v_add_f32_e32 v127, v127, v128
	s_waitcnt vmcnt(42)
	v_mul_f32_e32 v128, v125, v200
	v_fmac_f32_e32 v128, v126, v199
	v_add_f32_e32 v135, v127, v128
	ds_read_b128 v[127:130], v102 offset:608
	buffer_load_dword v243, off, s[0:3], 0 offset:380
	buffer_load_dword v244, off, s[0:3], 0 offset:376
	;; [unrolled: 1-line block ×4, first 2 shown]
	ds_read_b128 v[131:134], v102 offset:624
	buffer_load_dword v247, off, s[0:3], 0 offset:392
	buffer_load_dword v248, off, s[0:3], 0 offset:396
	v_mul_f32_e32 v104, v104, v175
	v_fma_f32 v103, v103, v184, -v104
	v_mul_f32_e32 v104, v106, v176
	v_add_f32_e32 v103, 0, v103
	v_fma_f32 v104, v105, v185, -v104
	v_add_f32_e32 v103, v103, v104
	v_mul_f32_e32 v104, v108, v177
	v_fma_f32 v104, v107, v186, -v104
	v_add_f32_e32 v103, v103, v104
	v_mul_f32_e32 v104, v110, v178
	;; [unrolled: 3-line block ×3, first 2 shown]
	s_waitcnt vmcnt(46) lgkmcnt(1)
	v_mul_f32_e32 v136, v127, v202
	v_fma_f32 v104, v111, v188, -v104
	v_fmac_f32_e32 v136, v128, v201
	v_add_f32_e32 v103, v103, v104
	v_mul_f32_e32 v104, v114, v180
	v_add_f32_e32 v135, v135, v136
	s_waitcnt vmcnt(44)
	v_mul_f32_e32 v136, v129, v204
	v_fma_f32 v104, v113, v189, -v104
	v_fmac_f32_e32 v136, v130, v203
	v_add_f32_e32 v103, v103, v104
	v_mul_f32_e32 v104, v116, v181
	v_add_f32_e32 v135, v135, v136
	s_waitcnt vmcnt(42) lgkmcnt(0)
	v_mul_f32_e32 v136, v131, v206
	v_fma_f32 v104, v115, v190, -v104
	v_fmac_f32_e32 v136, v132, v205
	v_add_f32_e32 v103, v103, v104
	v_mul_f32_e32 v104, v118, v182
	v_add_f32_e32 v139, v135, v136
	ds_read_b128 v[135:138], v102 offset:640
	v_fma_f32 v104, v117, v191, -v104
	v_add_f32_e32 v103, v103, v104
	v_mul_f32_e32 v104, v120, v183
	s_waitcnt vmcnt(40)
	v_mul_f32_e32 v140, v133, v208
	v_fma_f32 v104, v119, v192, -v104
	v_fmac_f32_e32 v140, v134, v207
	v_add_f32_e32 v103, v103, v104
	v_mul_f32_e32 v104, v122, v193
	v_add_f32_e32 v143, v139, v140
	ds_read_b128 v[139:142], v102 offset:656
	v_fma_f32 v104, v121, v194, -v104
	s_waitcnt vmcnt(38) lgkmcnt(1)
	v_mul_f32_e32 v144, v135, v210
	v_add_f32_e32 v103, v103, v104
	v_mul_f32_e32 v104, v124, v195
	v_fmac_f32_e32 v144, v136, v209
	v_fma_f32 v104, v123, v196, -v104
	v_add_f32_e32 v143, v143, v144
	s_waitcnt vmcnt(36)
	v_mul_f32_e32 v144, v137, v212
	v_add_f32_e32 v103, v103, v104
	v_mul_f32_e32 v104, v126, v200
	v_fmac_f32_e32 v144, v138, v211
	v_fma_f32 v104, v125, v199, -v104
	v_add_f32_e32 v143, v143, v144
	s_waitcnt vmcnt(34) lgkmcnt(0)
	v_mul_f32_e32 v144, v139, v214
	v_add_f32_e32 v103, v103, v104
	v_mul_f32_e32 v104, v128, v202
	v_fmac_f32_e32 v144, v140, v213
	v_fma_f32 v104, v127, v201, -v104
	v_add_f32_e32 v147, v143, v144
	ds_read_b128 v[143:146], v102 offset:672
	v_add_f32_e32 v103, v103, v104
	v_mul_f32_e32 v104, v130, v204
	v_fma_f32 v104, v129, v203, -v104
	s_waitcnt vmcnt(32)
	v_mul_f32_e32 v148, v141, v216
	v_add_f32_e32 v103, v103, v104
	v_mul_f32_e32 v104, v132, v206
	v_fmac_f32_e32 v148, v142, v215
	v_fma_f32 v104, v131, v205, -v104
	v_add_f32_e32 v151, v147, v148
	ds_read_b128 v[147:150], v102 offset:688
	v_add_f32_e32 v103, v103, v104
	v_mul_f32_e32 v104, v134, v208
	s_waitcnt vmcnt(30) lgkmcnt(1)
	v_mul_f32_e32 v152, v143, v218
	v_fma_f32 v104, v133, v207, -v104
	v_fmac_f32_e32 v152, v144, v217
	v_add_f32_e32 v103, v103, v104
	v_mul_f32_e32 v104, v136, v210
	v_add_f32_e32 v151, v151, v152
	s_waitcnt vmcnt(28)
	v_mul_f32_e32 v152, v145, v220
	v_fma_f32 v104, v135, v209, -v104
	v_fmac_f32_e32 v152, v146, v219
	v_add_f32_e32 v103, v103, v104
	v_mul_f32_e32 v104, v138, v212
	v_add_f32_e32 v151, v151, v152
	s_waitcnt vmcnt(26) lgkmcnt(0)
	v_mul_f32_e32 v152, v147, v222
	v_fma_f32 v104, v137, v211, -v104
	v_fmac_f32_e32 v152, v148, v221
	v_add_f32_e32 v103, v103, v104
	v_mul_f32_e32 v104, v140, v214
	v_add_f32_e32 v155, v151, v152
	ds_read_b128 v[151:154], v102 offset:704
	v_fma_f32 v104, v139, v213, -v104
	v_add_f32_e32 v103, v103, v104
	v_mul_f32_e32 v104, v142, v216
	s_waitcnt vmcnt(24)
	v_mul_f32_e32 v156, v149, v224
	v_fma_f32 v104, v141, v215, -v104
	v_fmac_f32_e32 v156, v150, v223
	v_add_f32_e32 v103, v103, v104
	v_mul_f32_e32 v104, v144, v218
	v_add_f32_e32 v159, v155, v156
	ds_read_b128 v[155:158], v102 offset:720
	v_fma_f32 v104, v143, v217, -v104
	s_waitcnt vmcnt(22) lgkmcnt(1)
	v_mul_f32_e32 v160, v151, v226
	v_add_f32_e32 v103, v103, v104
	v_mul_f32_e32 v104, v146, v220
	v_fmac_f32_e32 v160, v152, v225
	v_fma_f32 v104, v145, v219, -v104
	v_add_f32_e32 v159, v159, v160
	s_waitcnt vmcnt(20)
	v_mul_f32_e32 v160, v153, v228
	v_add_f32_e32 v103, v103, v104
	v_mul_f32_e32 v104, v148, v222
	v_fmac_f32_e32 v160, v154, v227
	v_fma_f32 v104, v147, v221, -v104
	v_add_f32_e32 v159, v159, v160
	s_waitcnt vmcnt(18) lgkmcnt(0)
	v_mul_f32_e32 v160, v155, v230
	v_add_f32_e32 v103, v103, v104
	v_mul_f32_e32 v104, v150, v224
	v_fmac_f32_e32 v160, v156, v229
	v_fma_f32 v104, v149, v223, -v104
	v_add_f32_e32 v163, v159, v160
	ds_read_b128 v[159:162], v102 offset:736
	v_add_f32_e32 v103, v103, v104
	v_mul_f32_e32 v104, v152, v226
	v_fma_f32 v104, v151, v225, -v104
	s_waitcnt vmcnt(16)
	v_mul_f32_e32 v164, v157, v232
	v_add_f32_e32 v103, v103, v104
	v_mul_f32_e32 v104, v154, v228
	v_fmac_f32_e32 v164, v158, v231
	v_fma_f32 v104, v153, v227, -v104
	v_add_f32_e32 v167, v163, v164
	ds_read_b128 v[163:166], v102 offset:752
	v_add_f32_e32 v103, v103, v104
	v_mul_f32_e32 v104, v156, v230
	s_waitcnt vmcnt(14) lgkmcnt(1)
	v_mul_f32_e32 v168, v159, v234
	v_fma_f32 v104, v155, v229, -v104
	v_fmac_f32_e32 v168, v160, v233
	v_add_f32_e32 v103, v103, v104
	v_mul_f32_e32 v104, v158, v232
	v_add_f32_e32 v167, v167, v168
	s_waitcnt vmcnt(13)
	v_mul_f32_e32 v168, v161, v235
	v_fma_f32 v104, v157, v231, -v104
	s_waitcnt vmcnt(12)
	v_fmac_f32_e32 v168, v162, v236
	v_add_f32_e32 v103, v103, v104
	v_mul_f32_e32 v104, v160, v234
	v_add_f32_e32 v167, v167, v168
	s_waitcnt vmcnt(10) lgkmcnt(0)
	v_mul_f32_e32 v168, v163, v238
	v_fma_f32 v104, v159, v233, -v104
	v_fmac_f32_e32 v168, v164, v237
	v_add_f32_e32 v103, v103, v104
	v_mul_f32_e32 v104, v162, v235
	v_add_f32_e32 v171, v167, v168
	ds_read_b128 v[167:170], v102 offset:768
	v_fma_f32 v104, v161, v236, -v104
	v_add_f32_e32 v103, v103, v104
	v_mul_f32_e32 v104, v164, v238
	s_waitcnt vmcnt(8)
	v_mul_f32_e32 v172, v165, v240
	v_fma_f32 v104, v163, v237, -v104
	v_fmac_f32_e32 v172, v166, v239
	v_add_f32_e32 v103, v103, v104
	v_mul_f32_e32 v104, v166, v240
	v_add_f32_e32 v249, v171, v172
	ds_read_b128 v[171:174], v102 offset:784
	v_fma_f32 v104, v165, v239, -v104
	v_add_f32_e32 v103, v103, v104
	s_waitcnt vmcnt(6) lgkmcnt(1)
	v_mul_f32_e32 v104, v168, v242
	v_mul_f32_e32 v102, v167, v242
	v_fma_f32 v104, v167, v241, -v104
	v_fmac_f32_e32 v102, v168, v241
	v_add_f32_e32 v103, v103, v104
	s_waitcnt vmcnt(5)
	v_mul_f32_e32 v104, v170, v243
	v_add_f32_e32 v102, v249, v102
	v_mul_f32_e32 v249, v169, v243
	s_waitcnt vmcnt(4)
	v_fma_f32 v104, v169, v244, -v104
	v_fmac_f32_e32 v249, v170, v244
	v_add_f32_e32 v103, v103, v104
	s_waitcnt vmcnt(2) lgkmcnt(0)
	v_mul_f32_e32 v104, v172, v246
	v_add_f32_e32 v102, v102, v249
	v_mul_f32_e32 v249, v171, v246
	v_fma_f32 v104, v171, v245, -v104
	v_fmac_f32_e32 v249, v172, v245
	v_add_f32_e32 v103, v103, v104
	s_waitcnt vmcnt(0)
	v_mul_f32_e32 v104, v174, v248
	v_add_f32_e32 v102, v102, v249
	v_mul_f32_e32 v249, v173, v248
	v_fma_f32 v104, v173, v247, -v104
	v_fmac_f32_e32 v249, v174, v247
	v_add_f32_e32 v103, v103, v104
	v_add_f32_e32 v102, v102, v249
	v_sub_f32_e32 v103, v197, v103
	v_sub_f32_e32 v102, v198, v102
	buffer_store_dword v103, off, s[0:3], 0 offset:104
	buffer_store_dword v102, off, s[0:3], 0 offset:108
	s_and_saveexec_b64 s[4:5], vcc
	s_cbranch_execz .LBB113_289
; %bb.288:
	buffer_load_dword v102, off, s[0:3], 0 offset:96
	buffer_load_dword v103, off, s[0:3], 0 offset:100
	v_mov_b32_e32 v104, 0
	buffer_store_dword v104, off, s[0:3], 0 offset:96
	buffer_store_dword v104, off, s[0:3], 0 offset:100
	s_waitcnt vmcnt(2)
	ds_write_b64 v101, v[102:103]
.LBB113_289:
	s_or_b64 exec, exec, s[4:5]
	s_waitcnt lgkmcnt(0)
	; wave barrier
	buffer_load_dword v177, off, s[0:3], 0 offset:108
	buffer_load_dword v178, off, s[0:3], 0 offset:116
	;; [unrolled: 1-line block ×52, first 2 shown]
	v_mov_b32_e32 v102, 0
	ds_read2_b64 v[103:106], v102 offset0:63 offset1:64
	ds_read2_b64 v[107:110], v102 offset0:65 offset1:66
	;; [unrolled: 1-line block ×6, first 2 shown]
	buffer_load_dword v229, off, s[0:3], 0 offset:308
	buffer_load_dword v230, off, s[0:3], 0 offset:304
	;; [unrolled: 1-line block ×14, first 2 shown]
	v_cmp_lt_u32_e32 vcc, 11, v0
	s_waitcnt vmcnt(62) lgkmcnt(5)
	v_mul_f32_e32 v127, v103, v177
	v_mul_f32_e32 v128, v105, v178
	s_waitcnt lgkmcnt(4)
	v_mul_f32_e32 v129, v107, v179
	v_mul_f32_e32 v130, v109, v180
	s_waitcnt vmcnt(61) lgkmcnt(3)
	v_mul_f32_e32 v131, v111, v181
	s_waitcnt vmcnt(60)
	v_mul_f32_e32 v132, v113, v182
	s_waitcnt vmcnt(59) lgkmcnt(2)
	v_mul_f32_e32 v133, v115, v183
	s_waitcnt vmcnt(58)
	;; [unrolled: 4-line block ×3, first 2 shown]
	v_fmac_f32_e32 v127, v104, v186
	s_waitcnt vmcnt(55)
	v_fmac_f32_e32 v128, v106, v187
	v_add_f32_e32 v127, 0, v127
	s_waitcnt vmcnt(54)
	v_fmac_f32_e32 v129, v108, v188
	v_add_f32_e32 v127, v127, v128
	;; [unrolled: 3-line block ×8, first 2 shown]
	s_waitcnt vmcnt(47)
	v_mul_f32_e32 v128, v121, v195
	v_add_f32_e32 v127, v127, v135
	s_waitcnt vmcnt(46)
	v_fmac_f32_e32 v128, v122, v196
	v_add_f32_e32 v127, v127, v128
	s_waitcnt vmcnt(45) lgkmcnt(0)
	v_mul_f32_e32 v128, v123, v197
	s_waitcnt vmcnt(44)
	v_fmac_f32_e32 v128, v124, v198
	v_add_f32_e32 v131, v127, v128
	ds_read2_b64 v[127:130], v102 offset0:75 offset1:76
	buffer_load_dword v243, off, s[0:3], 0 offset:360
	buffer_load_dword v244, off, s[0:3], 0 offset:364
	s_waitcnt vmcnt(43)
	v_mul_f32_e32 v132, v125, v201
	s_waitcnt vmcnt(42)
	v_fmac_f32_e32 v132, v126, v202
	v_add_f32_e32 v135, v131, v132
	ds_read2_b64 v[131:134], v102 offset0:77 offset1:78
	buffer_load_dword v245, off, s[0:3], 0 offset:372
	buffer_load_dword v246, off, s[0:3], 0 offset:368
	;; [unrolled: 1-line block ×8, first 2 shown]
	v_mul_f32_e32 v104, v104, v177
	v_fma_f32 v103, v103, v186, -v104
	v_mul_f32_e32 v104, v106, v178
	v_add_f32_e32 v103, 0, v103
	v_fma_f32 v104, v105, v187, -v104
	v_add_f32_e32 v103, v103, v104
	v_mul_f32_e32 v104, v108, v179
	v_fma_f32 v104, v107, v188, -v104
	v_add_f32_e32 v103, v103, v104
	v_mul_f32_e32 v104, v110, v180
	v_fma_f32 v104, v109, v189, -v104
	s_waitcnt vmcnt(48) lgkmcnt(1)
	v_mul_f32_e32 v136, v127, v204
	v_add_f32_e32 v103, v103, v104
	v_mul_f32_e32 v104, v112, v181
	v_fmac_f32_e32 v136, v128, v203
	v_fma_f32 v104, v111, v190, -v104
	v_add_f32_e32 v135, v135, v136
	s_waitcnt vmcnt(46)
	v_mul_f32_e32 v136, v129, v206
	v_add_f32_e32 v103, v103, v104
	v_mul_f32_e32 v104, v114, v182
	v_fmac_f32_e32 v136, v130, v205
	v_fma_f32 v104, v113, v191, -v104
	v_add_f32_e32 v135, v135, v136
	s_waitcnt vmcnt(44) lgkmcnt(0)
	v_mul_f32_e32 v136, v131, v208
	v_add_f32_e32 v103, v103, v104
	v_mul_f32_e32 v104, v116, v183
	v_fmac_f32_e32 v136, v132, v207
	v_fma_f32 v104, v115, v192, -v104
	v_add_f32_e32 v139, v135, v136
	ds_read2_b64 v[135:138], v102 offset0:79 offset1:80
	v_add_f32_e32 v103, v103, v104
	v_mul_f32_e32 v104, v118, v184
	v_fma_f32 v104, v117, v193, -v104
	s_waitcnt vmcnt(42)
	v_mul_f32_e32 v140, v133, v210
	v_add_f32_e32 v103, v103, v104
	v_mul_f32_e32 v104, v120, v185
	v_fmac_f32_e32 v140, v134, v209
	v_fma_f32 v104, v119, v194, -v104
	v_add_f32_e32 v143, v139, v140
	ds_read2_b64 v[139:142], v102 offset0:81 offset1:82
	v_add_f32_e32 v103, v103, v104
	v_mul_f32_e32 v104, v122, v195
	s_waitcnt vmcnt(40) lgkmcnt(1)
	v_mul_f32_e32 v144, v135, v212
	v_fma_f32 v104, v121, v196, -v104
	v_fmac_f32_e32 v144, v136, v211
	v_add_f32_e32 v103, v103, v104
	v_mul_f32_e32 v104, v124, v197
	v_add_f32_e32 v143, v143, v144
	s_waitcnt vmcnt(38)
	v_mul_f32_e32 v144, v137, v214
	v_fma_f32 v104, v123, v198, -v104
	v_fmac_f32_e32 v144, v138, v213
	v_add_f32_e32 v103, v103, v104
	v_mul_f32_e32 v104, v126, v201
	v_add_f32_e32 v143, v143, v144
	s_waitcnt vmcnt(36) lgkmcnt(0)
	v_mul_f32_e32 v144, v139, v216
	v_fma_f32 v104, v125, v202, -v104
	v_fmac_f32_e32 v144, v140, v215
	v_add_f32_e32 v103, v103, v104
	v_mul_f32_e32 v104, v128, v204
	v_add_f32_e32 v147, v143, v144
	ds_read2_b64 v[143:146], v102 offset0:83 offset1:84
	v_fma_f32 v104, v127, v203, -v104
	v_add_f32_e32 v103, v103, v104
	v_mul_f32_e32 v104, v130, v206
	s_waitcnt vmcnt(34)
	v_mul_f32_e32 v148, v141, v218
	v_fma_f32 v104, v129, v205, -v104
	v_fmac_f32_e32 v148, v142, v217
	v_add_f32_e32 v103, v103, v104
	v_mul_f32_e32 v104, v132, v208
	v_add_f32_e32 v151, v147, v148
	ds_read2_b64 v[147:150], v102 offset0:85 offset1:86
	v_fma_f32 v104, v131, v207, -v104
	s_waitcnt vmcnt(32) lgkmcnt(1)
	v_mul_f32_e32 v152, v143, v220
	v_add_f32_e32 v103, v103, v104
	v_mul_f32_e32 v104, v134, v210
	v_fmac_f32_e32 v152, v144, v219
	v_fma_f32 v104, v133, v209, -v104
	v_add_f32_e32 v151, v151, v152
	s_waitcnt vmcnt(30)
	v_mul_f32_e32 v152, v145, v222
	v_add_f32_e32 v103, v103, v104
	v_mul_f32_e32 v104, v136, v212
	v_fmac_f32_e32 v152, v146, v221
	v_fma_f32 v104, v135, v211, -v104
	v_add_f32_e32 v151, v151, v152
	s_waitcnt vmcnt(28) lgkmcnt(0)
	v_mul_f32_e32 v152, v147, v224
	v_add_f32_e32 v103, v103, v104
	v_mul_f32_e32 v104, v138, v214
	v_fmac_f32_e32 v152, v148, v223
	v_fma_f32 v104, v137, v213, -v104
	v_add_f32_e32 v155, v151, v152
	ds_read2_b64 v[151:154], v102 offset0:87 offset1:88
	v_add_f32_e32 v103, v103, v104
	v_mul_f32_e32 v104, v140, v216
	v_fma_f32 v104, v139, v215, -v104
	s_waitcnt vmcnt(26)
	v_mul_f32_e32 v156, v149, v226
	v_add_f32_e32 v103, v103, v104
	v_mul_f32_e32 v104, v142, v218
	v_fmac_f32_e32 v156, v150, v225
	v_fma_f32 v104, v141, v217, -v104
	v_add_f32_e32 v159, v155, v156
	ds_read2_b64 v[155:158], v102 offset0:89 offset1:90
	v_add_f32_e32 v103, v103, v104
	v_mul_f32_e32 v104, v144, v220
	s_waitcnt vmcnt(24) lgkmcnt(1)
	v_mul_f32_e32 v160, v151, v228
	v_fma_f32 v104, v143, v219, -v104
	v_fmac_f32_e32 v160, v152, v227
	v_add_f32_e32 v103, v103, v104
	v_mul_f32_e32 v104, v146, v222
	v_add_f32_e32 v159, v159, v160
	s_waitcnt vmcnt(23)
	v_mul_f32_e32 v160, v153, v229
	v_fma_f32 v104, v145, v221, -v104
	s_waitcnt vmcnt(22)
	v_fmac_f32_e32 v160, v154, v230
	v_add_f32_e32 v103, v103, v104
	v_mul_f32_e32 v104, v148, v224
	v_add_f32_e32 v159, v159, v160
	s_waitcnt vmcnt(20) lgkmcnt(0)
	v_mul_f32_e32 v160, v155, v232
	v_fma_f32 v104, v147, v223, -v104
	v_fmac_f32_e32 v160, v156, v231
	v_add_f32_e32 v103, v103, v104
	v_mul_f32_e32 v104, v150, v226
	v_add_f32_e32 v163, v159, v160
	ds_read2_b64 v[159:162], v102 offset0:91 offset1:92
	v_fma_f32 v104, v149, v225, -v104
	v_add_f32_e32 v103, v103, v104
	v_mul_f32_e32 v104, v152, v228
	s_waitcnt vmcnt(18)
	v_mul_f32_e32 v164, v157, v234
	v_fma_f32 v104, v151, v227, -v104
	v_fmac_f32_e32 v164, v158, v233
	v_add_f32_e32 v103, v103, v104
	v_mul_f32_e32 v104, v154, v229
	v_add_f32_e32 v167, v163, v164
	ds_read2_b64 v[163:166], v102 offset0:93 offset1:94
	v_fma_f32 v104, v153, v230, -v104
	s_waitcnt vmcnt(16) lgkmcnt(1)
	v_mul_f32_e32 v168, v159, v236
	v_add_f32_e32 v103, v103, v104
	v_mul_f32_e32 v104, v156, v232
	v_fmac_f32_e32 v168, v160, v235
	v_fma_f32 v104, v155, v231, -v104
	v_add_f32_e32 v167, v167, v168
	s_waitcnt vmcnt(15)
	v_mul_f32_e32 v168, v161, v237
	v_add_f32_e32 v103, v103, v104
	v_mul_f32_e32 v104, v158, v234
	s_waitcnt vmcnt(14)
	v_fmac_f32_e32 v168, v162, v238
	v_fma_f32 v104, v157, v233, -v104
	v_add_f32_e32 v167, v167, v168
	s_waitcnt vmcnt(12) lgkmcnt(0)
	v_mul_f32_e32 v168, v163, v240
	v_add_f32_e32 v103, v103, v104
	v_mul_f32_e32 v104, v160, v236
	v_fmac_f32_e32 v168, v164, v239
	v_fma_f32 v104, v159, v235, -v104
	v_add_f32_e32 v171, v167, v168
	ds_read2_b64 v[167:170], v102 offset0:95 offset1:96
	v_add_f32_e32 v103, v103, v104
	v_mul_f32_e32 v104, v162, v237
	v_fma_f32 v104, v161, v238, -v104
	v_add_f32_e32 v103, v103, v104
	v_mul_f32_e32 v104, v164, v240
	s_waitcnt vmcnt(10)
	v_mul_f32_e32 v172, v165, v242
	v_fma_f32 v104, v163, v239, -v104
	v_fmac_f32_e32 v172, v166, v241
	v_add_f32_e32 v103, v103, v104
	v_mul_f32_e32 v104, v166, v242
	v_add_f32_e32 v175, v171, v172
	ds_read2_b64 v[171:174], v102 offset0:97 offset1:98
	s_waitcnt vmcnt(8) lgkmcnt(1)
	v_mul_f32_e32 v176, v167, v244
	v_fma_f32 v104, v165, v241, -v104
	v_fmac_f32_e32 v176, v168, v243
	v_add_f32_e32 v103, v103, v104
	v_mul_f32_e32 v104, v168, v244
	v_add_f32_e32 v175, v175, v176
	s_waitcnt vmcnt(7)
	v_mul_f32_e32 v176, v169, v245
	v_fma_f32 v104, v167, v243, -v104
	s_waitcnt vmcnt(6)
	v_fmac_f32_e32 v176, v170, v246
	v_add_f32_e32 v103, v103, v104
	v_mul_f32_e32 v104, v170, v245
	v_add_f32_e32 v253, v175, v176
	ds_read_b64 v[175:176], v102 offset:792
	v_fma_f32 v104, v169, v246, -v104
	v_add_f32_e32 v103, v103, v104
	s_waitcnt vmcnt(4) lgkmcnt(1)
	v_mul_f32_e32 v104, v172, v248
	v_mul_f32_e32 v254, v171, v248
	v_fma_f32 v104, v171, v247, -v104
	v_fmac_f32_e32 v254, v172, v247
	v_add_f32_e32 v103, v103, v104
	s_waitcnt vmcnt(3)
	v_mul_f32_e32 v104, v174, v249
	v_add_f32_e32 v253, v253, v254
	v_mul_f32_e32 v254, v173, v249
	s_waitcnt vmcnt(2)
	v_fma_f32 v104, v173, v250, -v104
	v_fmac_f32_e32 v254, v174, v250
	v_add_f32_e32 v103, v103, v104
	s_waitcnt vmcnt(0) lgkmcnt(0)
	v_mul_f32_e32 v104, v176, v252
	v_add_f32_e32 v253, v253, v254
	v_mul_f32_e32 v254, v175, v252
	v_fma_f32 v104, v175, v251, -v104
	v_fmac_f32_e32 v254, v176, v251
	v_add_f32_e32 v103, v103, v104
	v_add_f32_e32 v253, v253, v254
	v_sub_f32_e32 v103, v199, v103
	v_sub_f32_e32 v104, v200, v253
	buffer_store_dword v103, off, s[0:3], 0 offset:96
	buffer_store_dword v104, off, s[0:3], 0 offset:100
	s_and_saveexec_b64 s[4:5], vcc
	s_cbranch_execz .LBB113_291
; %bb.290:
	buffer_load_dword v103, off, s[0:3], 0 offset:88
	buffer_load_dword v104, off, s[0:3], 0 offset:92
	s_waitcnt vmcnt(0)
	ds_write_b64 v101, v[103:104]
	buffer_store_dword v102, off, s[0:3], 0 offset:88
	buffer_store_dword v102, off, s[0:3], 0 offset:92
.LBB113_291:
	s_or_b64 exec, exec, s[4:5]
	s_waitcnt lgkmcnt(0)
	; wave barrier
	buffer_load_dword v179, off, s[0:3], 0 offset:100
	buffer_load_dword v180, off, s[0:3], 0 offset:108
	;; [unrolled: 1-line block ×32, first 2 shown]
	ds_read_b128 v[103:106], v102 offset:496
	ds_read_b128 v[107:110], v102 offset:512
	ds_read_b128 v[111:114], v102 offset:528
	ds_read_b128 v[115:118], v102 offset:544
	ds_read_b128 v[119:122], v102 offset:560
	ds_read_b128 v[123:126], v102 offset:576
	buffer_load_dword v211, off, s[0:3], 0 offset:216
	buffer_load_dword v212, off, s[0:3], 0 offset:220
	;; [unrolled: 1-line block ×32, first 2 shown]
	v_cmp_lt_u32_e32 vcc, 10, v0
	s_waitcnt vmcnt(62) lgkmcnt(5)
	v_mul_f32_e32 v127, v103, v179
	v_mul_f32_e32 v128, v105, v180
	s_waitcnt vmcnt(61) lgkmcnt(4)
	v_mul_f32_e32 v129, v107, v181
	s_waitcnt vmcnt(60)
	v_mul_f32_e32 v130, v109, v182
	s_waitcnt vmcnt(59) lgkmcnt(3)
	v_mul_f32_e32 v131, v111, v183
	s_waitcnt vmcnt(58)
	;; [unrolled: 4-line block ×4, first 2 shown]
	v_mul_f32_e32 v136, v121, v188
	s_waitcnt vmcnt(53)
	v_fmac_f32_e32 v129, v108, v189
	s_waitcnt vmcnt(52)
	v_fmac_f32_e32 v128, v106, v190
	;; [unrolled: 2-line block ×3, first 2 shown]
	v_add_f32_e32 v127, 0, v127
	v_add_f32_e32 v127, v127, v128
	;; [unrolled: 1-line block ×3, first 2 shown]
	s_waitcnt vmcnt(47)
	v_fmac_f32_e32 v130, v110, v195
	v_fmac_f32_e32 v131, v112, v194
	v_add_f32_e32 v127, v127, v130
	v_fmac_f32_e32 v132, v114, v193
	v_add_f32_e32 v127, v127, v131
	;; [unrolled: 2-line block ×3, first 2 shown]
	s_waitcnt vmcnt(43)
	v_fmac_f32_e32 v134, v118, v199
	v_add_f32_e32 v127, v127, v133
	v_fmac_f32_e32 v135, v120, v198
	v_add_f32_e32 v127, v127, v134
	;; [unrolled: 2-line block ×3, first 2 shown]
	s_waitcnt vmcnt(42) lgkmcnt(0)
	v_mul_f32_e32 v128, v123, v200
	v_add_f32_e32 v127, v127, v136
	v_fmac_f32_e32 v128, v124, v196
	v_add_f32_e32 v131, v127, v128
	ds_read_b128 v[127:130], v102 offset:592
	buffer_load_dword v243, off, s[0:3], 0 offset:344
	buffer_load_dword v244, off, s[0:3], 0 offset:348
	s_waitcnt vmcnt(43)
	v_mul_f32_e32 v132, v125, v201
	s_waitcnt vmcnt(37)
	v_fmac_f32_e32 v132, v126, v207
	v_add_f32_e32 v135, v131, v132
	ds_read_b128 v[131:134], v102 offset:608
	buffer_load_dword v245, off, s[0:3], 0 offset:352
	buffer_load_dword v246, off, s[0:3], 0 offset:356
	;; [unrolled: 1-line block ×12, first 2 shown]
	s_waitcnt vmcnt(48) lgkmcnt(1)
	v_mul_f32_e32 v136, v127, v208
	v_fmac_f32_e32 v136, v128, v206
	v_add_f32_e32 v135, v135, v136
	v_mul_f32_e32 v136, v129, v203
	v_fmac_f32_e32 v136, v130, v202
	v_add_f32_e32 v4, v135, v136
	s_waitcnt lgkmcnt(0)
	v_mul_f32_e32 v135, v131, v205
	v_fmac_f32_e32 v135, v132, v204
	v_add_f32_e32 v4, v4, v135
	ds_read_b128 v[135:138], v102 offset:624
	s_waitcnt vmcnt(44)
	v_mul_f32_e32 v139, v133, v212
	v_fmac_f32_e32 v139, v134, v211
	v_add_f32_e32 v4, v4, v139
	ds_read_b128 v[139:142], v102 offset:640
	s_waitcnt vmcnt(42) lgkmcnt(1)
	v_mul_f32_e32 v143, v135, v214
	v_fmac_f32_e32 v143, v136, v213
	v_add_f32_e32 v4, v4, v143
	s_waitcnt vmcnt(40)
	v_mul_f32_e32 v143, v137, v216
	v_fmac_f32_e32 v143, v138, v215
	v_add_f32_e32 v4, v4, v143
	s_waitcnt vmcnt(38) lgkmcnt(0)
	v_mul_f32_e32 v143, v139, v218
	v_fmac_f32_e32 v143, v140, v217
	v_add_f32_e32 v4, v4, v143
	ds_read_b128 v[143:146], v102 offset:656
	s_waitcnt vmcnt(36)
	v_mul_f32_e32 v147, v141, v220
	v_fmac_f32_e32 v147, v142, v219
	v_add_f32_e32 v4, v4, v147
	ds_read_b128 v[147:150], v102 offset:672
	s_waitcnt vmcnt(34) lgkmcnt(1)
	v_mul_f32_e32 v151, v143, v222
	v_fmac_f32_e32 v151, v144, v221
	v_add_f32_e32 v4, v4, v151
	s_waitcnt vmcnt(32)
	v_mul_f32_e32 v151, v145, v224
	v_fmac_f32_e32 v151, v146, v223
	v_add_f32_e32 v4, v4, v151
	s_waitcnt vmcnt(30) lgkmcnt(0)
	v_mul_f32_e32 v151, v147, v226
	v_fmac_f32_e32 v151, v148, v225
	v_add_f32_e32 v4, v4, v151
	ds_read_b128 v[151:154], v102 offset:688
	s_waitcnt vmcnt(28)
	v_mul_f32_e32 v155, v149, v228
	v_fmac_f32_e32 v155, v150, v227
	v_add_f32_e32 v4, v4, v155
	ds_read_b128 v[155:158], v102 offset:704
	s_waitcnt vmcnt(26) lgkmcnt(1)
	v_mul_f32_e32 v159, v151, v230
	v_fmac_f32_e32 v159, v152, v229
	v_add_f32_e32 v4, v4, v159
	s_waitcnt vmcnt(25)
	v_mul_f32_e32 v159, v153, v231
	s_waitcnt vmcnt(22)
	v_fmac_f32_e32 v159, v154, v234
	v_add_f32_e32 v4, v4, v159
	s_waitcnt lgkmcnt(0)
	v_mul_f32_e32 v159, v155, v233
	v_fmac_f32_e32 v159, v156, v232
	v_add_f32_e32 v4, v4, v159
	ds_read_b128 v[159:162], v102 offset:720
	s_waitcnt vmcnt(20)
	v_mul_f32_e32 v163, v157, v236
	v_fmac_f32_e32 v163, v158, v235
	v_add_f32_e32 v4, v4, v163
	ds_read_b128 v[163:166], v102 offset:736
	s_waitcnt vmcnt(18) lgkmcnt(1)
	v_mul_f32_e32 v167, v159, v238
	v_fmac_f32_e32 v167, v160, v237
	v_add_f32_e32 v4, v4, v167
	s_waitcnt vmcnt(17)
	v_mul_f32_e32 v167, v161, v239
	s_waitcnt vmcnt(14)
	v_fmac_f32_e32 v167, v162, v242
	v_add_f32_e32 v4, v4, v167
	s_waitcnt lgkmcnt(0)
	v_mul_f32_e32 v167, v163, v241
	v_fmac_f32_e32 v167, v164, v240
	v_add_f32_e32 v4, v4, v167
	ds_read_b128 v[167:170], v102 offset:752
	v_mul_f32_e32 v6, v106, v180
	v_fma_f32 v6, v105, v190, -v6
	s_waitcnt vmcnt(12)
	v_mul_f32_e32 v171, v165, v244
	v_fmac_f32_e32 v171, v166, v243
	v_add_f32_e32 v4, v4, v171
	ds_read_b128 v[171:174], v102 offset:768
	s_waitcnt vmcnt(10) lgkmcnt(1)
	v_mul_f32_e32 v175, v167, v246
	v_fmac_f32_e32 v175, v168, v245
	v_add_f32_e32 v4, v4, v175
	s_waitcnt vmcnt(9)
	v_mul_f32_e32 v175, v169, v247
	s_waitcnt vmcnt(6)
	v_fmac_f32_e32 v175, v170, v250
	v_add_f32_e32 v4, v4, v175
	ds_read_b128 v[175:178], v102 offset:784
	s_waitcnt lgkmcnt(1)
	v_mul_f32_e32 v5, v171, v249
	v_fmac_f32_e32 v5, v172, v248
	v_add_f32_e32 v4, v4, v5
	s_waitcnt vmcnt(4)
	v_mul_f32_e32 v5, v173, v252
	v_fmac_f32_e32 v5, v174, v251
	v_add_f32_e32 v4, v4, v5
	s_waitcnt vmcnt(3) lgkmcnt(0)
	v_mul_f32_e32 v5, v175, v253
	s_waitcnt vmcnt(0)
	v_fmac_f32_e32 v5, v176, v3
	v_add_f32_e32 v4, v4, v5
	v_mul_f32_e32 v5, v177, v255
	v_fmac_f32_e32 v5, v178, v254
	v_add_f32_e32 v4, v4, v5
	v_mul_f32_e32 v5, v104, v179
	v_fma_f32 v5, v103, v191, -v5
	v_add_f32_e32 v5, 0, v5
	v_add_f32_e32 v5, v5, v6
	v_mul_f32_e32 v6, v108, v181
	v_fma_f32 v6, v107, v189, -v6
	v_add_f32_e32 v5, v5, v6
	v_mul_f32_e32 v6, v110, v182
	v_fma_f32 v6, v109, v195, -v6
	;; [unrolled: 3-line block ×36, first 2 shown]
	v_add_f32_e32 v3, v3, v5
	v_sub_f32_e32 v3, v209, v3
	v_sub_f32_e32 v4, v210, v4
	buffer_store_dword v3, off, s[0:3], 0 offset:88
	buffer_store_dword v4, off, s[0:3], 0 offset:92
	s_and_saveexec_b64 s[4:5], vcc
	s_cbranch_execz .LBB113_293
; %bb.292:
	buffer_load_dword v102, off, s[0:3], 0 offset:80
	buffer_load_dword v103, off, s[0:3], 0 offset:84
	v_mov_b32_e32 v3, 0
	buffer_store_dword v3, off, s[0:3], 0 offset:80
	buffer_store_dword v3, off, s[0:3], 0 offset:84
	s_waitcnt vmcnt(2)
	ds_write_b64 v101, v[102:103]
.LBB113_293:
	s_or_b64 exec, exec, s[4:5]
	s_waitcnt lgkmcnt(0)
	; wave barrier
	buffer_load_dword v3, off, s[0:3], 0 offset:92
	buffer_load_dword v4, off, s[0:3], 0 offset:100
	;; [unrolled: 1-line block ×50, first 2 shown]
	v_mov_b32_e32 v102, 0
	ds_read2_b64 v[103:106], v102 offset0:61 offset1:62
	ds_read2_b64 v[107:110], v102 offset0:63 offset1:64
	ds_read2_b64 v[111:114], v102 offset0:65 offset1:66
	ds_read2_b64 v[115:118], v102 offset0:67 offset1:68
	ds_read2_b64 v[119:122], v102 offset0:69 offset1:70
	ds_read2_b64 v[123:126], v102 offset0:71 offset1:72
	buffer_load_dword v227, off, s[0:3], 0 offset:280
	buffer_load_dword v228, off, s[0:3], 0 offset:284
	;; [unrolled: 1-line block ×8, first 2 shown]
	v_cmp_lt_u32_e32 vcc, 9, v0
	s_waitcnt vmcnt(57) lgkmcnt(5)
	v_mul_f32_e32 v127, v103, v3
	s_waitcnt vmcnt(56)
	v_mul_f32_e32 v128, v105, v4
	s_waitcnt vmcnt(55) lgkmcnt(4)
	v_mul_f32_e32 v129, v107, v5
	s_waitcnt vmcnt(54)
	v_mul_f32_e32 v130, v109, v6
	s_waitcnt vmcnt(53) lgkmcnt(3)
	v_mul_f32_e32 v131, v111, v181
	s_waitcnt vmcnt(52)
	v_mul_f32_e32 v132, v113, v182
	s_waitcnt vmcnt(51) lgkmcnt(2)
	v_mul_f32_e32 v133, v115, v183
	s_waitcnt vmcnt(50)
	v_mul_f32_e32 v134, v117, v184
	s_waitcnt vmcnt(49) lgkmcnt(1)
	v_mul_f32_e32 v135, v119, v185
	s_waitcnt vmcnt(48)
	v_mul_f32_e32 v136, v121, v186
	s_waitcnt vmcnt(47) lgkmcnt(0)
	v_mul_f32_e32 v137, v123, v187
	s_waitcnt vmcnt(46)
	v_fmac_f32_e32 v129, v108, v188
	s_waitcnt vmcnt(45)
	v_fmac_f32_e32 v128, v106, v189
	;; [unrolled: 2-line block ×3, first 2 shown]
	v_add_f32_e32 v127, 0, v127
	v_add_f32_e32 v127, v127, v128
	;; [unrolled: 1-line block ×3, first 2 shown]
	s_waitcnt vmcnt(40)
	v_fmac_f32_e32 v130, v110, v194
	v_fmac_f32_e32 v131, v112, v193
	v_add_f32_e32 v127, v127, v130
	v_fmac_f32_e32 v132, v114, v192
	v_add_f32_e32 v127, v127, v131
	;; [unrolled: 2-line block ×3, first 2 shown]
	s_waitcnt vmcnt(36)
	v_fmac_f32_e32 v134, v118, v198
	v_add_f32_e32 v127, v127, v133
	v_fmac_f32_e32 v135, v120, v197
	v_add_f32_e32 v127, v127, v134
	;; [unrolled: 2-line block ×3, first 2 shown]
	v_add_f32_e32 v127, v127, v136
	v_fmac_f32_e32 v137, v124, v195
	v_add_f32_e32 v131, v127, v137
	ds_read2_b64 v[127:130], v102 offset0:73 offset1:74
	buffer_load_dword v235, off, s[0:3], 0 offset:312
	buffer_load_dword v236, off, s[0:3], 0 offset:316
	buffer_load_dword v237, off, s[0:3], 0 offset:324
	buffer_load_dword v238, off, s[0:3], 0 offset:328
	buffer_load_dword v239, off, s[0:3], 0 offset:332
	buffer_load_dword v240, off, s[0:3], 0 offset:320
	s_waitcnt vmcnt(41)
	v_mul_f32_e32 v132, v125, v199
	s_waitcnt vmcnt(34)
	v_fmac_f32_e32 v132, v126, v206
	v_add_f32_e32 v135, v131, v132
	ds_read2_b64 v[131:134], v102 offset0:75 offset1:76
	buffer_load_dword v241, off, s[0:3], 0 offset:336
	buffer_load_dword v242, off, s[0:3], 0 offset:340
	;; [unrolled: 1-line block ×16, first 2 shown]
	v_mul_f32_e32 v3, v104, v3
	v_fma_f32 v3, v103, v190, -v3
	v_mul_f32_e32 v4, v106, v4
	v_add_f32_e32 v3, 0, v3
	v_fma_f32 v4, v105, v189, -v4
	v_add_f32_e32 v3, v3, v4
	v_mul_f32_e32 v4, v108, v5
	v_fma_f32 v4, v107, v188, -v4
	s_waitcnt lgkmcnt(1)
	v_mul_f32_e32 v136, v127, v201
	v_add_f32_e32 v3, v3, v4
	v_mul_f32_e32 v4, v110, v6
	v_fmac_f32_e32 v136, v128, v200
	v_fma_f32 v4, v109, v194, -v4
	v_add_f32_e32 v135, v135, v136
	v_mul_f32_e32 v136, v129, v203
	v_add_f32_e32 v3, v3, v4
	v_mul_f32_e32 v4, v112, v181
	v_fmac_f32_e32 v136, v130, v202
	v_fma_f32 v4, v111, v193, -v4
	v_add_f32_e32 v135, v135, v136
	s_waitcnt lgkmcnt(0)
	v_mul_f32_e32 v136, v131, v205
	v_add_f32_e32 v3, v3, v4
	v_mul_f32_e32 v4, v114, v182
	v_fmac_f32_e32 v136, v132, v204
	v_fma_f32 v4, v113, v192, -v4
	v_add_f32_e32 v139, v135, v136
	ds_read2_b64 v[135:138], v102 offset0:77 offset1:78
	v_add_f32_e32 v3, v3, v4
	v_mul_f32_e32 v4, v116, v183
	v_fma_f32 v4, v115, v191, -v4
	s_waitcnt vmcnt(46)
	v_mul_f32_e32 v8, v133, v210
	v_add_f32_e32 v3, v3, v4
	v_mul_f32_e32 v4, v118, v184
	v_fmac_f32_e32 v8, v134, v209
	v_fma_f32 v4, v117, v198, -v4
	v_add_f32_e32 v8, v139, v8
	ds_read2_b64 v[139:142], v102 offset0:79 offset1:80
	v_add_f32_e32 v3, v3, v4
	v_mul_f32_e32 v4, v120, v185
	s_waitcnt vmcnt(44) lgkmcnt(1)
	v_mul_f32_e32 v143, v135, v212
	v_fma_f32 v4, v119, v197, -v4
	v_fmac_f32_e32 v143, v136, v211
	v_add_f32_e32 v3, v3, v4
	v_mul_f32_e32 v4, v122, v186
	v_add_f32_e32 v8, v8, v143
	s_waitcnt vmcnt(42)
	v_mul_f32_e32 v143, v137, v214
	v_fma_f32 v4, v121, v196, -v4
	v_fmac_f32_e32 v143, v138, v213
	v_add_f32_e32 v3, v3, v4
	v_mul_f32_e32 v4, v124, v187
	v_add_f32_e32 v8, v8, v143
	s_waitcnt vmcnt(40) lgkmcnt(0)
	v_mul_f32_e32 v143, v139, v216
	v_fma_f32 v4, v123, v195, -v4
	v_fmac_f32_e32 v143, v140, v215
	v_add_f32_e32 v3, v3, v4
	v_mul_f32_e32 v4, v126, v199
	v_add_f32_e32 v8, v8, v143
	ds_read2_b64 v[143:146], v102 offset0:81 offset1:82
	v_fma_f32 v4, v125, v206, -v4
	v_add_f32_e32 v3, v3, v4
	v_mul_f32_e32 v4, v128, v201
	s_waitcnt vmcnt(38)
	v_mul_f32_e32 v147, v141, v218
	v_fma_f32 v4, v127, v200, -v4
	v_fmac_f32_e32 v147, v142, v217
	v_add_f32_e32 v3, v3, v4
	v_mul_f32_e32 v4, v130, v203
	v_add_f32_e32 v8, v8, v147
	ds_read2_b64 v[147:150], v102 offset0:83 offset1:84
	v_fma_f32 v4, v129, v202, -v4
	s_waitcnt vmcnt(36) lgkmcnt(1)
	v_mul_f32_e32 v151, v143, v220
	v_add_f32_e32 v3, v3, v4
	v_mul_f32_e32 v4, v132, v205
	v_fmac_f32_e32 v151, v144, v219
	v_fma_f32 v4, v131, v204, -v4
	v_add_f32_e32 v8, v8, v151
	s_waitcnt vmcnt(34)
	v_mul_f32_e32 v151, v145, v222
	v_add_f32_e32 v3, v3, v4
	v_mul_f32_e32 v4, v134, v210
	v_fmac_f32_e32 v151, v146, v221
	v_fma_f32 v4, v133, v209, -v4
	v_add_f32_e32 v8, v8, v151
	s_waitcnt vmcnt(32) lgkmcnt(0)
	v_mul_f32_e32 v151, v147, v224
	v_add_f32_e32 v3, v3, v4
	v_mul_f32_e32 v4, v136, v212
	v_fmac_f32_e32 v151, v148, v223
	v_fma_f32 v4, v135, v211, -v4
	v_add_f32_e32 v8, v8, v151
	ds_read2_b64 v[151:154], v102 offset0:85 offset1:86
	v_add_f32_e32 v3, v3, v4
	v_mul_f32_e32 v4, v138, v214
	v_fma_f32 v4, v137, v213, -v4
	s_waitcnt vmcnt(30)
	v_mul_f32_e32 v155, v149, v226
	v_add_f32_e32 v3, v3, v4
	v_mul_f32_e32 v4, v140, v216
	v_fmac_f32_e32 v155, v150, v225
	v_fma_f32 v4, v139, v215, -v4
	v_add_f32_e32 v8, v8, v155
	ds_read2_b64 v[155:158], v102 offset0:87 offset1:88
	v_add_f32_e32 v3, v3, v4
	v_mul_f32_e32 v4, v142, v218
	s_waitcnt vmcnt(28) lgkmcnt(1)
	v_mul_f32_e32 v159, v151, v228
	v_fma_f32 v4, v141, v217, -v4
	v_fmac_f32_e32 v159, v152, v227
	v_add_f32_e32 v3, v3, v4
	v_mul_f32_e32 v4, v144, v220
	v_add_f32_e32 v8, v8, v159
	s_waitcnt vmcnt(27)
	v_mul_f32_e32 v159, v153, v229
	v_fma_f32 v4, v143, v219, -v4
	s_waitcnt vmcnt(24)
	v_fmac_f32_e32 v159, v154, v232
	v_add_f32_e32 v3, v3, v4
	v_mul_f32_e32 v4, v146, v222
	v_add_f32_e32 v8, v8, v159
	s_waitcnt lgkmcnt(0)
	v_mul_f32_e32 v159, v155, v231
	v_fma_f32 v4, v145, v221, -v4
	v_fmac_f32_e32 v159, v156, v230
	v_add_f32_e32 v3, v3, v4
	v_mul_f32_e32 v4, v148, v224
	v_add_f32_e32 v8, v8, v159
	ds_read2_b64 v[159:162], v102 offset0:89 offset1:90
	v_fma_f32 v4, v147, v223, -v4
	v_add_f32_e32 v3, v3, v4
	v_mul_f32_e32 v4, v150, v226
	s_waitcnt vmcnt(22)
	v_mul_f32_e32 v163, v157, v234
	v_fma_f32 v4, v149, v225, -v4
	v_fmac_f32_e32 v163, v158, v233
	v_add_f32_e32 v3, v3, v4
	v_mul_f32_e32 v4, v152, v228
	v_add_f32_e32 v8, v8, v163
	ds_read2_b64 v[163:166], v102 offset0:91 offset1:92
	v_fma_f32 v4, v151, v227, -v4
	s_waitcnt vmcnt(20) lgkmcnt(1)
	v_mul_f32_e32 v167, v159, v236
	v_add_f32_e32 v3, v3, v4
	v_mul_f32_e32 v4, v154, v229
	v_fmac_f32_e32 v167, v160, v235
	v_fma_f32 v4, v153, v232, -v4
	v_add_f32_e32 v8, v8, v167
	s_waitcnt vmcnt(19)
	v_mul_f32_e32 v167, v161, v237
	v_add_f32_e32 v3, v3, v4
	v_mul_f32_e32 v4, v156, v231
	s_waitcnt vmcnt(16)
	v_fmac_f32_e32 v167, v162, v240
	v_fma_f32 v4, v155, v230, -v4
	v_add_f32_e32 v8, v8, v167
	s_waitcnt lgkmcnt(0)
	v_mul_f32_e32 v167, v163, v239
	v_add_f32_e32 v3, v3, v4
	v_mul_f32_e32 v4, v158, v234
	v_fmac_f32_e32 v167, v164, v238
	v_fma_f32 v4, v157, v233, -v4
	v_add_f32_e32 v8, v8, v167
	ds_read2_b64 v[167:170], v102 offset0:93 offset1:94
	v_add_f32_e32 v3, v3, v4
	v_mul_f32_e32 v4, v160, v236
	v_fma_f32 v4, v159, v235, -v4
	s_waitcnt vmcnt(14)
	v_mul_f32_e32 v171, v165, v242
	v_add_f32_e32 v3, v3, v4
	v_mul_f32_e32 v4, v162, v237
	v_fmac_f32_e32 v171, v166, v241
	v_fma_f32 v4, v161, v240, -v4
	v_add_f32_e32 v8, v8, v171
	ds_read2_b64 v[171:174], v102 offset0:95 offset1:96
	v_add_f32_e32 v3, v3, v4
	v_mul_f32_e32 v4, v164, v239
	s_waitcnt vmcnt(12) lgkmcnt(1)
	v_mul_f32_e32 v175, v167, v244
	v_fma_f32 v4, v163, v238, -v4
	v_fmac_f32_e32 v175, v168, v243
	v_add_f32_e32 v3, v3, v4
	v_mul_f32_e32 v4, v166, v242
	v_add_f32_e32 v8, v8, v175
	s_waitcnt vmcnt(11)
	v_mul_f32_e32 v175, v169, v245
	v_fma_f32 v4, v165, v241, -v4
	s_waitcnt vmcnt(8)
	v_fmac_f32_e32 v175, v170, v248
	v_add_f32_e32 v3, v3, v4
	v_mul_f32_e32 v4, v168, v244
	v_add_f32_e32 v8, v8, v175
	s_waitcnt lgkmcnt(0)
	v_mul_f32_e32 v175, v171, v247
	v_fma_f32 v4, v167, v243, -v4
	v_fmac_f32_e32 v175, v172, v246
	v_add_f32_e32 v3, v3, v4
	v_mul_f32_e32 v4, v170, v245
	v_add_f32_e32 v8, v8, v175
	ds_read2_b64 v[175:178], v102 offset0:97 offset1:98
	v_fma_f32 v4, v169, v248, -v4
	v_add_f32_e32 v3, v3, v4
	v_mul_f32_e32 v4, v172, v247
	s_waitcnt vmcnt(6)
	v_mul_f32_e32 v179, v173, v250
	v_fma_f32 v4, v171, v246, -v4
	v_fmac_f32_e32 v179, v174, v249
	v_add_f32_e32 v3, v3, v4
	v_mul_f32_e32 v4, v174, v250
	v_add_f32_e32 v8, v8, v179
	ds_read_b64 v[179:180], v102 offset:792
	v_fma_f32 v4, v173, v249, -v4
	v_add_f32_e32 v3, v3, v4
	s_waitcnt vmcnt(4) lgkmcnt(1)
	v_mul_f32_e32 v4, v176, v252
	v_mul_f32_e32 v9, v175, v252
	v_fma_f32 v4, v175, v251, -v4
	v_fmac_f32_e32 v9, v176, v251
	v_add_f32_e32 v3, v3, v4
	s_waitcnt vmcnt(3)
	v_mul_f32_e32 v4, v178, v253
	v_add_f32_e32 v8, v8, v9
	v_mul_f32_e32 v9, v177, v253
	s_waitcnt vmcnt(0)
	v_fma_f32 v4, v177, v7, -v4
	v_fmac_f32_e32 v9, v178, v7
	v_add_f32_e32 v3, v3, v4
	s_waitcnt lgkmcnt(0)
	v_mul_f32_e32 v4, v180, v255
	v_add_f32_e32 v8, v8, v9
	v_mul_f32_e32 v9, v179, v255
	v_fma_f32 v4, v179, v254, -v4
	v_fmac_f32_e32 v9, v180, v254
	v_add_f32_e32 v3, v3, v4
	v_add_f32_e32 v8, v8, v9
	v_sub_f32_e32 v3, v207, v3
	v_sub_f32_e32 v4, v208, v8
	buffer_store_dword v3, off, s[0:3], 0 offset:80
	buffer_store_dword v4, off, s[0:3], 0 offset:84
	s_and_saveexec_b64 s[4:5], vcc
	s_cbranch_execz .LBB113_295
; %bb.294:
	buffer_load_dword v103, off, s[0:3], 0 offset:72
	buffer_load_dword v104, off, s[0:3], 0 offset:76
	s_waitcnt vmcnt(0)
	ds_write_b64 v101, v[103:104]
	buffer_store_dword v102, off, s[0:3], 0 offset:72
	buffer_store_dword v102, off, s[0:3], 0 offset:76
.LBB113_295:
	s_or_b64 exec, exec, s[4:5]
	s_waitcnt lgkmcnt(0)
	; wave barrier
	buffer_load_dword v3, off, s[0:3], 0 offset:84
	buffer_load_dword v4, off, s[0:3], 0 offset:92
	;; [unrolled: 1-line block ×32, first 2 shown]
	ds_read_b128 v[103:106], v102 offset:480
	ds_read_b128 v[107:110], v102 offset:496
	;; [unrolled: 1-line block ×6, first 2 shown]
	buffer_load_dword v207, off, s[0:3], 0 offset:200
	buffer_load_dword v208, off, s[0:3], 0 offset:204
	buffer_load_dword v209, off, s[0:3], 0 offset:208
	buffer_load_dword v210, off, s[0:3], 0 offset:212
	buffer_load_dword v211, off, s[0:3], 0 offset:216
	buffer_load_dword v212, off, s[0:3], 0 offset:220
	buffer_load_dword v213, off, s[0:3], 0 offset:224
	buffer_load_dword v214, off, s[0:3], 0 offset:228
	buffer_load_dword v215, off, s[0:3], 0 offset:232
	buffer_load_dword v216, off, s[0:3], 0 offset:236
	buffer_load_dword v217, off, s[0:3], 0 offset:240
	buffer_load_dword v218, off, s[0:3], 0 offset:244
	buffer_load_dword v219, off, s[0:3], 0 offset:248
	buffer_load_dword v220, off, s[0:3], 0 offset:252
	buffer_load_dword v221, off, s[0:3], 0 offset:256
	buffer_load_dword v222, off, s[0:3], 0 offset:260
	buffer_load_dword v223, off, s[0:3], 0 offset:264
	buffer_load_dword v224, off, s[0:3], 0 offset:268
	buffer_load_dword v225, off, s[0:3], 0 offset:272
	buffer_load_dword v226, off, s[0:3], 0 offset:276
	buffer_load_dword v227, off, s[0:3], 0 offset:284
	buffer_load_dword v228, off, s[0:3], 0 offset:288
	buffer_load_dword v229, off, s[0:3], 0 offset:292
	buffer_load_dword v230, off, s[0:3], 0 offset:280
	buffer_load_dword v231, off, s[0:3], 0 offset:296
	buffer_load_dword v232, off, s[0:3], 0 offset:300
	v_cmp_lt_u32_e32 vcc, 8, v0
	s_waitcnt vmcnt(57) lgkmcnt(5)
	v_mul_f32_e32 v127, v103, v3
	s_waitcnt vmcnt(56)
	v_mul_f32_e32 v128, v105, v4
	s_waitcnt vmcnt(55) lgkmcnt(4)
	v_mul_f32_e32 v129, v107, v5
	s_waitcnt vmcnt(54)
	v_mul_f32_e32 v130, v109, v6
	;; [unrolled: 4-line block ×5, first 2 shown]
	s_waitcnt vmcnt(47) lgkmcnt(0)
	v_mul_f32_e32 v137, v123, v185
	s_waitcnt vmcnt(46)
	v_fmac_f32_e32 v129, v108, v186
	s_waitcnt vmcnt(45)
	v_fmac_f32_e32 v128, v106, v187
	;; [unrolled: 2-line block ×3, first 2 shown]
	v_add_f32_e32 v127, 0, v127
	v_add_f32_e32 v127, v127, v128
	;; [unrolled: 1-line block ×3, first 2 shown]
	s_waitcnt vmcnt(40)
	v_fmac_f32_e32 v130, v110, v192
	v_fmac_f32_e32 v131, v112, v191
	v_add_f32_e32 v127, v127, v130
	v_fmac_f32_e32 v132, v114, v190
	v_add_f32_e32 v127, v127, v131
	;; [unrolled: 2-line block ×3, first 2 shown]
	s_waitcnt vmcnt(36)
	v_fmac_f32_e32 v134, v118, v196
	v_add_f32_e32 v127, v127, v133
	v_fmac_f32_e32 v135, v120, v195
	v_add_f32_e32 v127, v127, v134
	;; [unrolled: 2-line block ×4, first 2 shown]
	v_add_f32_e32 v131, v127, v137
	ds_read_b128 v[127:130], v102 offset:576
	buffer_load_dword v233, off, s[0:3], 0 offset:304
	buffer_load_dword v234, off, s[0:3], 0 offset:308
	buffer_load_dword v235, off, s[0:3], 0 offset:316
	buffer_load_dword v236, off, s[0:3], 0 offset:320
	buffer_load_dword v237, off, s[0:3], 0 offset:324
	buffer_load_dword v238, off, s[0:3], 0 offset:312
	s_waitcnt vmcnt(41)
	v_mul_f32_e32 v132, v125, v197
	s_waitcnt vmcnt(35)
	v_fmac_f32_e32 v132, v126, v203
	v_add_f32_e32 v135, v131, v132
	ds_read_b128 v[131:134], v102 offset:592
	buffer_load_dword v239, off, s[0:3], 0 offset:328
	buffer_load_dword v240, off, s[0:3], 0 offset:332
	;; [unrolled: 1-line block ×10, first 2 shown]
	s_waitcnt vmcnt(44) lgkmcnt(1)
	v_mul_f32_e32 v136, v127, v204
	v_fmac_f32_e32 v136, v128, v202
	v_add_f32_e32 v135, v135, v136
	v_mul_f32_e32 v136, v129, v199
	v_fmac_f32_e32 v136, v130, v198
	v_add_f32_e32 v135, v135, v136
	s_waitcnt lgkmcnt(0)
	v_mul_f32_e32 v136, v131, v201
	buffer_load_dword v249, off, s[0:3], 0 offset:368
	buffer_load_dword v250, off, s[0:3], 0 offset:372
	;; [unrolled: 1-line block ×6, first 2 shown]
	v_fmac_f32_e32 v136, v132, v200
	s_waitcnt vmcnt(46)
	v_mul_f32_e32 v140, v133, v208
	v_add_f32_e32 v139, v135, v136
	v_fmac_f32_e32 v140, v134, v207
	ds_read_b128 v[135:138], v102 offset:608
	v_add_f32_e32 v143, v139, v140
	ds_read_b128 v[139:142], v102 offset:624
	buffer_load_dword v255, off, s[0:3], 0 offset:392
	buffer_load_dword v11, off, s[0:3], 0 offset:396
	v_mul_f32_e32 v3, v104, v3
	v_fma_f32 v3, v103, v188, -v3
	v_mul_f32_e32 v4, v106, v4
	v_add_f32_e32 v3, 0, v3
	v_fma_f32 v4, v105, v187, -v4
	v_add_f32_e32 v3, v3, v4
	v_mul_f32_e32 v4, v108, v5
	v_fma_f32 v4, v107, v186, -v4
	v_add_f32_e32 v3, v3, v4
	v_mul_f32_e32 v4, v110, v6
	;; [unrolled: 3-line block ×7, first 2 shown]
	s_waitcnt vmcnt(46) lgkmcnt(1)
	v_mul_f32_e32 v12, v135, v210
	v_fma_f32 v4, v119, v195, -v4
	v_fmac_f32_e32 v12, v136, v209
	v_add_f32_e32 v3, v3, v4
	v_mul_f32_e32 v4, v122, v184
	v_add_f32_e32 v12, v143, v12
	s_waitcnt vmcnt(44)
	v_mul_f32_e32 v143, v137, v212
	v_fma_f32 v4, v121, v194, -v4
	v_fmac_f32_e32 v143, v138, v211
	v_add_f32_e32 v3, v3, v4
	v_mul_f32_e32 v4, v124, v185
	v_add_f32_e32 v12, v12, v143
	s_waitcnt vmcnt(42) lgkmcnt(0)
	v_mul_f32_e32 v143, v139, v214
	v_fma_f32 v4, v123, v193, -v4
	v_fmac_f32_e32 v143, v140, v213
	v_add_f32_e32 v3, v3, v4
	v_mul_f32_e32 v4, v126, v197
	v_add_f32_e32 v12, v12, v143
	ds_read_b128 v[143:146], v102 offset:640
	v_fma_f32 v4, v125, v203, -v4
	v_add_f32_e32 v3, v3, v4
	v_mul_f32_e32 v4, v128, v204
	s_waitcnt vmcnt(40)
	v_mul_f32_e32 v147, v141, v216
	v_fma_f32 v4, v127, v202, -v4
	v_fmac_f32_e32 v147, v142, v215
	v_add_f32_e32 v3, v3, v4
	v_mul_f32_e32 v4, v130, v199
	v_add_f32_e32 v12, v12, v147
	ds_read_b128 v[147:150], v102 offset:656
	v_fma_f32 v4, v129, v198, -v4
	s_waitcnt vmcnt(38) lgkmcnt(1)
	v_mul_f32_e32 v151, v143, v218
	v_add_f32_e32 v3, v3, v4
	v_mul_f32_e32 v4, v132, v201
	v_fmac_f32_e32 v151, v144, v217
	v_fma_f32 v4, v131, v200, -v4
	v_add_f32_e32 v12, v12, v151
	s_waitcnt vmcnt(36)
	v_mul_f32_e32 v151, v145, v220
	v_add_f32_e32 v3, v3, v4
	v_mul_f32_e32 v4, v134, v208
	v_fmac_f32_e32 v151, v146, v219
	v_fma_f32 v4, v133, v207, -v4
	v_add_f32_e32 v12, v12, v151
	s_waitcnt vmcnt(34) lgkmcnt(0)
	v_mul_f32_e32 v151, v147, v222
	v_add_f32_e32 v3, v3, v4
	v_mul_f32_e32 v4, v136, v210
	v_fmac_f32_e32 v151, v148, v221
	v_fma_f32 v4, v135, v209, -v4
	v_add_f32_e32 v12, v12, v151
	ds_read_b128 v[151:154], v102 offset:672
	v_add_f32_e32 v3, v3, v4
	v_mul_f32_e32 v4, v138, v212
	v_fma_f32 v4, v137, v211, -v4
	s_waitcnt vmcnt(32)
	v_mul_f32_e32 v155, v149, v224
	v_add_f32_e32 v3, v3, v4
	v_mul_f32_e32 v4, v140, v214
	v_fmac_f32_e32 v155, v150, v223
	v_fma_f32 v4, v139, v213, -v4
	v_add_f32_e32 v12, v12, v155
	ds_read_b128 v[155:158], v102 offset:688
	v_add_f32_e32 v3, v3, v4
	v_mul_f32_e32 v4, v142, v216
	s_waitcnt vmcnt(30) lgkmcnt(1)
	v_mul_f32_e32 v159, v151, v226
	v_fma_f32 v4, v141, v215, -v4
	v_fmac_f32_e32 v159, v152, v225
	v_add_f32_e32 v3, v3, v4
	v_mul_f32_e32 v4, v144, v218
	v_add_f32_e32 v12, v12, v159
	s_waitcnt vmcnt(29)
	v_mul_f32_e32 v159, v153, v227
	v_fma_f32 v4, v143, v217, -v4
	s_waitcnt vmcnt(26)
	v_fmac_f32_e32 v159, v154, v230
	v_add_f32_e32 v3, v3, v4
	v_mul_f32_e32 v4, v146, v220
	v_add_f32_e32 v12, v12, v159
	s_waitcnt lgkmcnt(0)
	v_mul_f32_e32 v159, v155, v229
	v_fma_f32 v4, v145, v219, -v4
	v_fmac_f32_e32 v159, v156, v228
	v_add_f32_e32 v3, v3, v4
	v_mul_f32_e32 v4, v148, v222
	v_add_f32_e32 v12, v12, v159
	ds_read_b128 v[159:162], v102 offset:704
	v_fma_f32 v4, v147, v221, -v4
	v_add_f32_e32 v3, v3, v4
	v_mul_f32_e32 v4, v150, v224
	s_waitcnt vmcnt(24)
	v_mul_f32_e32 v163, v157, v232
	v_fma_f32 v4, v149, v223, -v4
	v_fmac_f32_e32 v163, v158, v231
	v_add_f32_e32 v3, v3, v4
	v_mul_f32_e32 v4, v152, v226
	v_add_f32_e32 v12, v12, v163
	ds_read_b128 v[163:166], v102 offset:720
	v_fma_f32 v4, v151, v225, -v4
	s_waitcnt vmcnt(22) lgkmcnt(1)
	v_mul_f32_e32 v167, v159, v234
	v_add_f32_e32 v3, v3, v4
	v_mul_f32_e32 v4, v154, v227
	v_fmac_f32_e32 v167, v160, v233
	v_fma_f32 v4, v153, v230, -v4
	v_add_f32_e32 v12, v12, v167
	s_waitcnt vmcnt(21)
	v_mul_f32_e32 v167, v161, v235
	v_add_f32_e32 v3, v3, v4
	v_mul_f32_e32 v4, v156, v229
	s_waitcnt vmcnt(18)
	v_fmac_f32_e32 v167, v162, v238
	v_fma_f32 v4, v155, v228, -v4
	v_add_f32_e32 v12, v12, v167
	s_waitcnt lgkmcnt(0)
	v_mul_f32_e32 v167, v163, v237
	v_add_f32_e32 v3, v3, v4
	v_mul_f32_e32 v4, v158, v232
	v_fmac_f32_e32 v167, v164, v236
	v_fma_f32 v4, v157, v231, -v4
	v_add_f32_e32 v12, v12, v167
	ds_read_b128 v[167:170], v102 offset:736
	v_add_f32_e32 v3, v3, v4
	v_mul_f32_e32 v4, v160, v234
	v_fma_f32 v4, v159, v233, -v4
	s_waitcnt vmcnt(16)
	v_mul_f32_e32 v171, v165, v240
	v_add_f32_e32 v3, v3, v4
	v_mul_f32_e32 v4, v162, v235
	v_fmac_f32_e32 v171, v166, v239
	v_fma_f32 v4, v161, v238, -v4
	v_add_f32_e32 v12, v12, v171
	ds_read_b128 v[171:174], v102 offset:752
	v_add_f32_e32 v3, v3, v4
	v_mul_f32_e32 v4, v164, v237
	s_waitcnt vmcnt(14) lgkmcnt(1)
	v_mul_f32_e32 v175, v167, v242
	v_fma_f32 v4, v163, v236, -v4
	v_fmac_f32_e32 v175, v168, v241
	v_add_f32_e32 v3, v3, v4
	v_mul_f32_e32 v4, v166, v240
	v_add_f32_e32 v12, v12, v175
	s_waitcnt vmcnt(13)
	v_mul_f32_e32 v175, v169, v243
	v_fma_f32 v4, v165, v239, -v4
	s_waitcnt vmcnt(10)
	v_fmac_f32_e32 v175, v170, v246
	v_add_f32_e32 v3, v3, v4
	v_mul_f32_e32 v4, v168, v242
	v_add_f32_e32 v12, v12, v175
	s_waitcnt lgkmcnt(0)
	v_mul_f32_e32 v175, v171, v245
	v_fma_f32 v4, v167, v241, -v4
	v_fmac_f32_e32 v175, v172, v244
	v_add_f32_e32 v3, v3, v4
	v_mul_f32_e32 v4, v170, v243
	v_add_f32_e32 v12, v12, v175
	ds_read_b128 v[175:178], v102 offset:768
	v_fma_f32 v4, v169, v246, -v4
	v_add_f32_e32 v3, v3, v4
	v_mul_f32_e32 v4, v172, v245
	s_waitcnt vmcnt(8)
	v_mul_f32_e32 v179, v173, v248
	v_fma_f32 v4, v171, v244, -v4
	v_fmac_f32_e32 v179, v174, v247
	v_add_f32_e32 v3, v3, v4
	v_mul_f32_e32 v4, v174, v248
	v_add_f32_e32 v12, v12, v179
	ds_read_b128 v[179:182], v102 offset:784
	v_fma_f32 v4, v173, v247, -v4
	v_add_f32_e32 v3, v3, v4
	s_waitcnt vmcnt(6) lgkmcnt(1)
	v_mul_f32_e32 v4, v176, v250
	v_mul_f32_e32 v102, v175, v250
	v_fma_f32 v4, v175, v249, -v4
	v_fmac_f32_e32 v102, v176, v249
	v_add_f32_e32 v3, v3, v4
	s_waitcnt vmcnt(5)
	v_mul_f32_e32 v4, v178, v251
	v_add_f32_e32 v12, v12, v102
	v_mul_f32_e32 v102, v177, v251
	s_waitcnt vmcnt(2)
	v_fma_f32 v4, v177, v254, -v4
	v_fmac_f32_e32 v102, v178, v254
	v_add_f32_e32 v3, v3, v4
	s_waitcnt lgkmcnt(0)
	v_mul_f32_e32 v4, v180, v253
	v_add_f32_e32 v12, v12, v102
	v_mul_f32_e32 v102, v179, v253
	v_fma_f32 v4, v179, v252, -v4
	v_fmac_f32_e32 v102, v180, v252
	v_add_f32_e32 v3, v3, v4
	s_waitcnt vmcnt(0)
	v_mul_f32_e32 v4, v182, v11
	v_add_f32_e32 v12, v12, v102
	v_mul_f32_e32 v102, v181, v11
	v_fma_f32 v4, v181, v255, -v4
	v_fmac_f32_e32 v102, v182, v255
	v_add_f32_e32 v3, v3, v4
	v_add_f32_e32 v12, v12, v102
	v_sub_f32_e32 v3, v205, v3
	v_sub_f32_e32 v4, v206, v12
	buffer_store_dword v3, off, s[0:3], 0 offset:72
	buffer_store_dword v4, off, s[0:3], 0 offset:76
	s_and_saveexec_b64 s[4:5], vcc
	s_cbranch_execz .LBB113_297
; %bb.296:
	buffer_load_dword v102, off, s[0:3], 0 offset:64
	buffer_load_dword v103, off, s[0:3], 0 offset:68
	v_mov_b32_e32 v3, 0
	buffer_store_dword v3, off, s[0:3], 0 offset:64
	buffer_store_dword v3, off, s[0:3], 0 offset:68
	s_waitcnt vmcnt(2)
	ds_write_b64 v101, v[102:103]
.LBB113_297:
	s_or_b64 exec, exec, s[4:5]
	s_waitcnt lgkmcnt(0)
	; wave barrier
	buffer_load_dword v111, off, s[0:3], 0 offset:76
	buffer_load_dword v110, off, s[0:3], 0 offset:84
	;; [unrolled: 1-line block ×50, first 2 shown]
	v_mov_b32_e32 v102, 0
	ds_read2_b64 v[112:115], v102 offset0:59 offset1:60
	ds_read2_b64 v[116:119], v102 offset0:61 offset1:62
	;; [unrolled: 1-line block ×6, first 2 shown]
	buffer_load_dword v225, off, s[0:3], 0 offset:264
	buffer_load_dword v226, off, s[0:3], 0 offset:268
	;; [unrolled: 1-line block ×6, first 2 shown]
	v_cmp_lt_u32_e32 vcc, 7, v0
	s_waitcnt vmcnt(55) lgkmcnt(5)
	v_mul_f32_e32 v136, v112, v111
	s_waitcnt vmcnt(54)
	v_mul_f32_e32 v137, v114, v110
	s_waitcnt vmcnt(53) lgkmcnt(4)
	v_mul_f32_e32 v138, v116, v109
	s_waitcnt vmcnt(52)
	v_mul_f32_e32 v139, v118, v108
	;; [unrolled: 4-line block ×5, first 2 shown]
	s_waitcnt vmcnt(45) lgkmcnt(0)
	v_mul_f32_e32 v146, v132, v6
	s_waitcnt vmcnt(44)
	v_fmac_f32_e32 v138, v117, v7
	s_waitcnt vmcnt(43)
	v_fmac_f32_e32 v137, v115, v8
	;; [unrolled: 2-line block ×3, first 2 shown]
	v_add_f32_e32 v136, 0, v136
	v_add_f32_e32 v136, v136, v137
	;; [unrolled: 1-line block ×3, first 2 shown]
	s_waitcnt vmcnt(38)
	v_fmac_f32_e32 v139, v119, v194
	v_fmac_f32_e32 v140, v121, v12
	v_add_f32_e32 v136, v136, v139
	v_fmac_f32_e32 v141, v123, v11
	v_add_f32_e32 v136, v136, v140
	;; [unrolled: 2-line block ×3, first 2 shown]
	s_waitcnt vmcnt(34)
	v_fmac_f32_e32 v143, v127, v198
	v_add_f32_e32 v136, v136, v142
	v_fmac_f32_e32 v144, v129, v197
	v_add_f32_e32 v136, v136, v143
	v_fmac_f32_e32 v145, v131, v196
	v_add_f32_e32 v136, v136, v144
	v_fmac_f32_e32 v146, v133, v195
	v_add_f32_e32 v136, v136, v145
	v_add_f32_e32 v140, v136, v146
	ds_read2_b64 v[136:139], v102 offset0:71 offset1:72
	buffer_load_dword v231, off, s[0:3], 0 offset:288
	buffer_load_dword v232, off, s[0:3], 0 offset:292
	s_waitcnt vmcnt(35)
	v_mul_f32_e32 v141, v134, v199
	s_waitcnt vmcnt(29)
	v_fmac_f32_e32 v141, v135, v205
	v_add_f32_e32 v144, v140, v141
	ds_read2_b64 v[140:143], v102 offset0:73 offset1:74
	buffer_load_dword v233, off, s[0:3], 0 offset:296
	buffer_load_dword v234, off, s[0:3], 0 offset:300
	;; [unrolled: 1-line block ×14, first 2 shown]
	s_waitcnt vmcnt(42) lgkmcnt(1)
	v_mul_f32_e32 v145, v136, v206
	v_fmac_f32_e32 v145, v137, v204
	buffer_load_dword v247, off, s[0:3], 0 offset:352
	buffer_load_dword v248, off, s[0:3], 0 offset:356
	v_add_f32_e32 v144, v144, v145
	v_mul_f32_e32 v145, v138, v201
	v_fmac_f32_e32 v145, v139, v200
	v_add_f32_e32 v144, v144, v145
	s_waitcnt lgkmcnt(0)
	v_mul_f32_e32 v145, v140, v203
	v_fmac_f32_e32 v145, v141, v202
	v_add_f32_e32 v148, v144, v145
	ds_read2_b64 v[144:147], v102 offset0:75 offset1:76
	buffer_load_dword v249, off, s[0:3], 0 offset:360
	buffer_load_dword v250, off, s[0:3], 0 offset:364
	buffer_load_dword v251, off, s[0:3], 0 offset:372
	buffer_load_dword v252, off, s[0:3], 0 offset:376
	buffer_load_dword v253, off, s[0:3], 0 offset:380
	buffer_load_dword v254, off, s[0:3], 0 offset:368
	s_waitcnt vmcnt(46)
	v_mul_f32_e32 v149, v142, v208
	v_fmac_f32_e32 v149, v143, v207
	v_add_f32_e32 v152, v148, v149
	ds_read2_b64 v[148:151], v102 offset0:77 offset1:78
	buffer_load_dword v255, off, s[0:3], 0 offset:388
	buffer_load_dword v13, off, s[0:3], 0 offset:392
	;; [unrolled: 1-line block ×4, first 2 shown]
	s_waitcnt vmcnt(48) lgkmcnt(1)
	v_mul_f32_e32 v153, v144, v210
	v_fmac_f32_e32 v153, v145, v209
	v_add_f32_e32 v16, v152, v153
	s_waitcnt vmcnt(46)
	v_mul_f32_e32 v152, v146, v212
	v_fmac_f32_e32 v152, v147, v211
	v_add_f32_e32 v16, v16, v152
	s_waitcnt vmcnt(44) lgkmcnt(0)
	v_mul_f32_e32 v152, v148, v214
	v_fmac_f32_e32 v152, v149, v213
	v_add_f32_e32 v16, v16, v152
	ds_read2_b64 v[152:155], v102 offset0:79 offset1:80
	s_waitcnt vmcnt(42)
	v_mul_f32_e32 v156, v150, v216
	v_fmac_f32_e32 v156, v151, v215
	v_add_f32_e32 v16, v16, v156
	ds_read2_b64 v[156:159], v102 offset0:81 offset1:82
	s_waitcnt vmcnt(40) lgkmcnt(1)
	v_mul_f32_e32 v160, v152, v218
	v_fmac_f32_e32 v160, v153, v217
	v_add_f32_e32 v16, v16, v160
	s_waitcnt vmcnt(38)
	v_mul_f32_e32 v160, v154, v220
	v_fmac_f32_e32 v160, v155, v219
	v_add_f32_e32 v16, v16, v160
	s_waitcnt vmcnt(36) lgkmcnt(0)
	v_mul_f32_e32 v160, v156, v222
	v_fmac_f32_e32 v160, v157, v221
	v_add_f32_e32 v16, v16, v160
	ds_read2_b64 v[160:163], v102 offset0:83 offset1:84
	s_waitcnt vmcnt(34)
	v_mul_f32_e32 v164, v158, v224
	v_fmac_f32_e32 v164, v159, v223
	v_add_f32_e32 v16, v16, v164
	ds_read2_b64 v[164:167], v102 offset0:85 offset1:86
	s_waitcnt vmcnt(32) lgkmcnt(1)
	v_mul_f32_e32 v168, v160, v226
	v_fmac_f32_e32 v168, v161, v225
	v_add_f32_e32 v16, v16, v168
	s_waitcnt vmcnt(31)
	v_mul_f32_e32 v168, v162, v227
	s_waitcnt vmcnt(28)
	v_fmac_f32_e32 v168, v163, v230
	v_add_f32_e32 v16, v16, v168
	s_waitcnt lgkmcnt(0)
	v_mul_f32_e32 v168, v164, v229
	v_fmac_f32_e32 v168, v165, v228
	v_add_f32_e32 v16, v16, v168
	ds_read2_b64 v[168:171], v102 offset0:87 offset1:88
	v_mul_f32_e32 v3, v127, v3
	v_fma_f32 v3, v126, v198, -v3
	v_mul_f32_e32 v4, v129, v4
	v_fma_f32 v4, v128, v197, -v4
	s_waitcnt vmcnt(26)
	v_mul_f32_e32 v172, v166, v232
	v_fmac_f32_e32 v172, v167, v231
	v_add_f32_e32 v16, v16, v172
	ds_read2_b64 v[172:175], v102 offset0:89 offset1:90
	s_waitcnt vmcnt(24) lgkmcnt(1)
	v_mul_f32_e32 v176, v168, v234
	v_fmac_f32_e32 v176, v169, v233
	v_add_f32_e32 v16, v16, v176
	s_waitcnt vmcnt(23)
	v_mul_f32_e32 v176, v170, v235
	s_waitcnt vmcnt(20)
	v_fmac_f32_e32 v176, v171, v238
	v_add_f32_e32 v16, v16, v176
	s_waitcnt lgkmcnt(0)
	v_mul_f32_e32 v176, v172, v237
	v_fmac_f32_e32 v176, v173, v236
	v_add_f32_e32 v16, v16, v176
	ds_read2_b64 v[176:179], v102 offset0:91 offset1:92
	s_waitcnt vmcnt(18)
	v_mul_f32_e32 v180, v174, v240
	v_fmac_f32_e32 v180, v175, v239
	v_add_f32_e32 v16, v16, v180
	ds_read2_b64 v[180:183], v102 offset0:93 offset1:94
	s_waitcnt vmcnt(16) lgkmcnt(1)
	v_mul_f32_e32 v184, v176, v242
	v_fmac_f32_e32 v184, v177, v241
	v_add_f32_e32 v16, v16, v184
	s_waitcnt vmcnt(15)
	v_mul_f32_e32 v184, v178, v243
	s_waitcnt vmcnt(12)
	v_fmac_f32_e32 v184, v179, v246
	v_add_f32_e32 v16, v16, v184
	s_waitcnt lgkmcnt(0)
	v_mul_f32_e32 v184, v180, v245
	v_fmac_f32_e32 v184, v181, v244
	v_add_f32_e32 v16, v16, v184
	ds_read2_b64 v[184:187], v102 offset0:95 offset1:96
	s_waitcnt vmcnt(10)
	v_mul_f32_e32 v188, v182, v248
	v_fmac_f32_e32 v188, v183, v247
	v_add_f32_e32 v16, v16, v188
	ds_read2_b64 v[188:191], v102 offset0:97 offset1:98
	s_waitcnt vmcnt(8) lgkmcnt(1)
	v_mul_f32_e32 v192, v184, v250
	v_fmac_f32_e32 v192, v185, v249
	v_add_f32_e32 v16, v16, v192
	s_waitcnt vmcnt(7)
	v_mul_f32_e32 v192, v186, v251
	s_waitcnt vmcnt(4)
	v_fmac_f32_e32 v192, v187, v254
	v_add_f32_e32 v16, v16, v192
	ds_read_b64 v[192:193], v102 offset:792
	s_waitcnt lgkmcnt(1)
	v_mul_f32_e32 v17, v188, v253
	v_fmac_f32_e32 v17, v189, v252
	v_add_f32_e32 v16, v16, v17
	s_waitcnt vmcnt(3)
	v_mul_f32_e32 v17, v190, v255
	s_waitcnt vmcnt(0)
	v_fmac_f32_e32 v17, v191, v15
	v_add_f32_e32 v16, v16, v17
	s_waitcnt lgkmcnt(0)
	v_mul_f32_e32 v17, v192, v14
	v_fmac_f32_e32 v17, v193, v13
	v_add_f32_e32 v16, v16, v17
	v_mul_f32_e32 v17, v113, v111
	v_fma_f32 v9, v112, v9, -v17
	v_mul_f32_e32 v17, v115, v110
	v_add_f32_e32 v9, 0, v9
	v_fma_f32 v8, v114, v8, -v17
	v_add_f32_e32 v8, v9, v8
	v_mul_f32_e32 v9, v117, v109
	v_fma_f32 v7, v116, v7, -v9
	v_add_f32_e32 v7, v8, v7
	v_mul_f32_e32 v8, v119, v108
	v_fma_f32 v8, v118, v194, -v8
	v_add_f32_e32 v7, v7, v8
	v_mul_f32_e32 v8, v121, v107
	v_fma_f32 v8, v120, v12, -v8
	v_add_f32_e32 v7, v7, v8
	v_mul_f32_e32 v8, v123, v104
	v_fma_f32 v8, v122, v11, -v8
	v_add_f32_e32 v7, v7, v8
	v_mul_f32_e32 v8, v125, v103
	v_fma_f32 v8, v124, v10, -v8
	v_add_f32_e32 v7, v7, v8
	v_add_f32_e32 v3, v7, v3
	;; [unrolled: 1-line block ×3, first 2 shown]
	v_mul_f32_e32 v4, v131, v5
	v_fma_f32 v4, v130, v196, -v4
	v_add_f32_e32 v3, v3, v4
	v_mul_f32_e32 v4, v133, v6
	v_fma_f32 v4, v132, v195, -v4
	v_add_f32_e32 v3, v3, v4
	;; [unrolled: 3-line block ×32, first 2 shown]
	v_sub_f32_e32 v3, v105, v3
	v_sub_f32_e32 v4, v106, v16
	buffer_store_dword v3, off, s[0:3], 0 offset:64
	buffer_store_dword v4, off, s[0:3], 0 offset:68
	s_and_saveexec_b64 s[4:5], vcc
	s_cbranch_execz .LBB113_299
; %bb.298:
	buffer_load_dword v103, off, s[0:3], 0 offset:56
	buffer_load_dword v104, off, s[0:3], 0 offset:60
	s_waitcnt vmcnt(0)
	ds_write_b64 v101, v[103:104]
	buffer_store_dword v102, off, s[0:3], 0 offset:56
	buffer_store_dword v102, off, s[0:3], 0 offset:60
.LBB113_299:
	s_or_b64 exec, exec, s[4:5]
	s_waitcnt lgkmcnt(0)
	; wave barrier
	buffer_load_dword v3, off, s[0:3], 0 offset:68
	buffer_load_dword v4, off, s[0:3], 0 offset:76
	;; [unrolled: 1-line block ×32, first 2 shown]
	ds_read_b128 v[103:106], v102 offset:464
	ds_read_b128 v[107:110], v102 offset:480
	;; [unrolled: 1-line block ×6, first 2 shown]
	buffer_load_dword v203, off, s[0:3], 0 offset:184
	buffer_load_dword v204, off, s[0:3], 0 offset:188
	;; [unrolled: 1-line block ×18, first 2 shown]
	v_cmp_lt_u32_e32 vcc, 6, v0
	s_waitcnt vmcnt(49) lgkmcnt(5)
	v_mul_f32_e32 v127, v103, v3
	s_waitcnt vmcnt(48)
	v_mul_f32_e32 v128, v105, v4
	s_waitcnt vmcnt(47) lgkmcnt(4)
	v_mul_f32_e32 v129, v107, v5
	s_waitcnt vmcnt(46)
	v_mul_f32_e32 v130, v109, v6
	;; [unrolled: 4-line block ×6, first 2 shown]
	s_waitcnt vmcnt(37)
	v_fmac_f32_e32 v129, v108, v15
	s_waitcnt vmcnt(36)
	v_fmac_f32_e32 v128, v106, v16
	;; [unrolled: 2-line block ×3, first 2 shown]
	v_add_f32_e32 v127, 0, v127
	v_add_f32_e32 v127, v127, v128
	;; [unrolled: 1-line block ×3, first 2 shown]
	s_waitcnt vmcnt(31)
	v_fmac_f32_e32 v130, v110, v189
	v_fmac_f32_e32 v131, v112, v188
	v_add_f32_e32 v127, v127, v130
	v_fmac_f32_e32 v132, v114, v187
	v_add_f32_e32 v127, v127, v131
	v_fmac_f32_e32 v133, v116, v18
	v_add_f32_e32 v127, v127, v132
	s_waitcnt vmcnt(27)
	v_fmac_f32_e32 v134, v118, v193
	v_add_f32_e32 v127, v127, v133
	v_fmac_f32_e32 v135, v120, v192
	v_add_f32_e32 v127, v127, v134
	;; [unrolled: 2-line block ×3, first 2 shown]
	v_add_f32_e32 v131, v127, v136
	ds_read_b128 v[127:130], v102 offset:560
	buffer_load_dword v221, off, s[0:3], 0 offset:256
	buffer_load_dword v222, off, s[0:3], 0 offset:260
	;; [unrolled: 1-line block ×6, first 2 shown]
	v_fmac_f32_e32 v137, v124, v190
	s_waitcnt vmcnt(27)
	v_fmac_f32_e32 v138, v126, v199
	v_add_f32_e32 v131, v131, v137
	v_add_f32_e32 v135, v131, v138
	ds_read_b128 v[131:134], v102 offset:576
	buffer_load_dword v227, off, s[0:3], 0 offset:280
	buffer_load_dword v228, off, s[0:3], 0 offset:284
	;; [unrolled: 1-line block ×10, first 2 shown]
	s_waitcnt vmcnt(36) lgkmcnt(1)
	v_mul_f32_e32 v136, v127, v200
	buffer_load_dword v237, off, s[0:3], 0 offset:320
	buffer_load_dword v238, off, s[0:3], 0 offset:324
	;; [unrolled: 1-line block ×6, first 2 shown]
	v_fmac_f32_e32 v136, v128, v198
	v_add_f32_e32 v135, v135, v136
	v_mul_f32_e32 v136, v129, v195
	v_fmac_f32_e32 v136, v130, v194
	v_add_f32_e32 v135, v135, v136
	s_waitcnt lgkmcnt(0)
	v_mul_f32_e32 v136, v131, v197
	v_fmac_f32_e32 v136, v132, v196
	v_add_f32_e32 v139, v135, v136
	ds_read_b128 v[135:138], v102 offset:592
	buffer_load_dword v243, off, s[0:3], 0 offset:344
	buffer_load_dword v244, off, s[0:3], 0 offset:348
	s_waitcnt vmcnt(40)
	v_mul_f32_e32 v140, v133, v204
	v_fmac_f32_e32 v140, v134, v203
	v_add_f32_e32 v143, v139, v140
	ds_read_b128 v[139:142], v102 offset:608
	buffer_load_dword v245, off, s[0:3], 0 offset:352
	buffer_load_dword v246, off, s[0:3], 0 offset:356
	;; [unrolled: 1-line block ×12, first 2 shown]
	v_mul_f32_e32 v3, v104, v3
	v_fma_f32 v3, v103, v17, -v3
	v_mul_f32_e32 v4, v106, v4
	v_add_f32_e32 v3, 0, v3
	v_fma_f32 v4, v105, v16, -v4
	v_add_f32_e32 v3, v3, v4
	v_mul_f32_e32 v4, v108, v5
	v_fma_f32 v4, v107, v15, -v4
	v_add_f32_e32 v3, v3, v4
	v_mul_f32_e32 v4, v110, v6
	;; [unrolled: 3-line block ×6, first 2 shown]
	v_fma_f32 v4, v117, v193, -v4
	s_waitcnt vmcnt(50) lgkmcnt(1)
	v_mul_f32_e32 v144, v135, v206
	v_add_f32_e32 v3, v3, v4
	v_mul_f32_e32 v4, v120, v11
	v_fmac_f32_e32 v144, v136, v205
	v_fma_f32 v4, v119, v192, -v4
	v_add_f32_e32 v143, v143, v144
	s_waitcnt vmcnt(48)
	v_mul_f32_e32 v144, v137, v208
	v_add_f32_e32 v3, v3, v4
	v_mul_f32_e32 v4, v122, v12
	v_fmac_f32_e32 v144, v138, v207
	v_fma_f32 v4, v121, v191, -v4
	v_add_f32_e32 v20, v143, v144
	s_waitcnt vmcnt(46) lgkmcnt(0)
	v_mul_f32_e32 v143, v139, v210
	v_add_f32_e32 v3, v3, v4
	v_mul_f32_e32 v4, v124, v13
	v_fmac_f32_e32 v143, v140, v209
	v_fma_f32 v4, v123, v190, -v4
	v_add_f32_e32 v20, v20, v143
	ds_read_b128 v[143:146], v102 offset:624
	v_add_f32_e32 v3, v3, v4
	v_mul_f32_e32 v4, v126, v14
	v_fma_f32 v4, v125, v199, -v4
	s_waitcnt vmcnt(44)
	v_mul_f32_e32 v147, v141, v212
	v_add_f32_e32 v3, v3, v4
	v_mul_f32_e32 v4, v128, v200
	v_fmac_f32_e32 v147, v142, v211
	v_fma_f32 v4, v127, v198, -v4
	v_add_f32_e32 v20, v20, v147
	ds_read_b128 v[147:150], v102 offset:640
	v_add_f32_e32 v3, v3, v4
	v_mul_f32_e32 v4, v130, v195
	s_waitcnt vmcnt(42) lgkmcnt(1)
	v_mul_f32_e32 v151, v143, v214
	v_fma_f32 v4, v129, v194, -v4
	v_fmac_f32_e32 v151, v144, v213
	v_add_f32_e32 v3, v3, v4
	v_mul_f32_e32 v4, v132, v197
	v_add_f32_e32 v20, v20, v151
	s_waitcnt vmcnt(40)
	v_mul_f32_e32 v151, v145, v216
	v_fma_f32 v4, v131, v196, -v4
	v_fmac_f32_e32 v151, v146, v215
	v_add_f32_e32 v3, v3, v4
	v_mul_f32_e32 v4, v134, v204
	v_add_f32_e32 v20, v20, v151
	s_waitcnt vmcnt(38) lgkmcnt(0)
	v_mul_f32_e32 v151, v147, v218
	v_fma_f32 v4, v133, v203, -v4
	v_fmac_f32_e32 v151, v148, v217
	v_add_f32_e32 v3, v3, v4
	v_mul_f32_e32 v4, v136, v206
	v_add_f32_e32 v20, v20, v151
	ds_read_b128 v[151:154], v102 offset:656
	v_fma_f32 v4, v135, v205, -v4
	v_add_f32_e32 v3, v3, v4
	v_mul_f32_e32 v4, v138, v208
	s_waitcnt vmcnt(36)
	v_mul_f32_e32 v155, v149, v220
	v_fma_f32 v4, v137, v207, -v4
	v_fmac_f32_e32 v155, v150, v219
	v_add_f32_e32 v3, v3, v4
	v_mul_f32_e32 v4, v140, v210
	v_add_f32_e32 v20, v20, v155
	ds_read_b128 v[155:158], v102 offset:672
	v_fma_f32 v4, v139, v209, -v4
	s_waitcnt vmcnt(34) lgkmcnt(1)
	v_mul_f32_e32 v159, v151, v222
	v_add_f32_e32 v3, v3, v4
	v_mul_f32_e32 v4, v142, v212
	v_fmac_f32_e32 v159, v152, v221
	v_fma_f32 v4, v141, v211, -v4
	v_add_f32_e32 v20, v20, v159
	s_waitcnt vmcnt(33)
	v_mul_f32_e32 v159, v153, v223
	v_add_f32_e32 v3, v3, v4
	v_mul_f32_e32 v4, v144, v214
	s_waitcnt vmcnt(30)
	v_fmac_f32_e32 v159, v154, v226
	v_fma_f32 v4, v143, v213, -v4
	v_add_f32_e32 v20, v20, v159
	s_waitcnt lgkmcnt(0)
	v_mul_f32_e32 v159, v155, v225
	v_add_f32_e32 v3, v3, v4
	v_mul_f32_e32 v4, v146, v216
	v_fmac_f32_e32 v159, v156, v224
	v_fma_f32 v4, v145, v215, -v4
	v_add_f32_e32 v20, v20, v159
	ds_read_b128 v[159:162], v102 offset:688
	v_add_f32_e32 v3, v3, v4
	v_mul_f32_e32 v4, v148, v218
	v_fma_f32 v4, v147, v217, -v4
	s_waitcnt vmcnt(28)
	v_mul_f32_e32 v163, v157, v228
	v_add_f32_e32 v3, v3, v4
	v_mul_f32_e32 v4, v150, v220
	v_fmac_f32_e32 v163, v158, v227
	v_fma_f32 v4, v149, v219, -v4
	v_add_f32_e32 v20, v20, v163
	ds_read_b128 v[163:166], v102 offset:704
	v_add_f32_e32 v3, v3, v4
	v_mul_f32_e32 v4, v152, v222
	s_waitcnt vmcnt(26) lgkmcnt(1)
	v_mul_f32_e32 v167, v159, v230
	v_fma_f32 v4, v151, v221, -v4
	v_fmac_f32_e32 v167, v160, v229
	v_add_f32_e32 v3, v3, v4
	v_mul_f32_e32 v4, v154, v223
	v_add_f32_e32 v20, v20, v167
	s_waitcnt vmcnt(25)
	v_mul_f32_e32 v167, v161, v231
	v_fma_f32 v4, v153, v226, -v4
	s_waitcnt vmcnt(22)
	v_fmac_f32_e32 v167, v162, v234
	v_add_f32_e32 v3, v3, v4
	v_mul_f32_e32 v4, v156, v225
	v_add_f32_e32 v20, v20, v167
	s_waitcnt lgkmcnt(0)
	v_mul_f32_e32 v167, v163, v233
	v_fma_f32 v4, v155, v224, -v4
	v_fmac_f32_e32 v167, v164, v232
	v_add_f32_e32 v3, v3, v4
	v_mul_f32_e32 v4, v158, v228
	v_add_f32_e32 v20, v20, v167
	ds_read_b128 v[167:170], v102 offset:720
	v_fma_f32 v4, v157, v227, -v4
	v_add_f32_e32 v3, v3, v4
	v_mul_f32_e32 v4, v160, v230
	s_waitcnt vmcnt(20)
	v_mul_f32_e32 v171, v165, v236
	v_fma_f32 v4, v159, v229, -v4
	v_fmac_f32_e32 v171, v166, v235
	v_add_f32_e32 v3, v3, v4
	v_mul_f32_e32 v4, v162, v231
	v_add_f32_e32 v20, v20, v171
	ds_read_b128 v[171:174], v102 offset:736
	v_fma_f32 v4, v161, v234, -v4
	s_waitcnt vmcnt(18) lgkmcnt(1)
	v_mul_f32_e32 v175, v167, v238
	v_add_f32_e32 v3, v3, v4
	v_mul_f32_e32 v4, v164, v233
	v_fmac_f32_e32 v175, v168, v237
	v_fma_f32 v4, v163, v232, -v4
	v_add_f32_e32 v20, v20, v175
	s_waitcnt vmcnt(17)
	v_mul_f32_e32 v175, v169, v239
	v_add_f32_e32 v3, v3, v4
	v_mul_f32_e32 v4, v166, v236
	s_waitcnt vmcnt(14)
	v_fmac_f32_e32 v175, v170, v242
	v_fma_f32 v4, v165, v235, -v4
	v_add_f32_e32 v20, v20, v175
	s_waitcnt lgkmcnt(0)
	v_mul_f32_e32 v175, v171, v241
	v_add_f32_e32 v3, v3, v4
	v_mul_f32_e32 v4, v168, v238
	v_fmac_f32_e32 v175, v172, v240
	v_fma_f32 v4, v167, v237, -v4
	v_add_f32_e32 v20, v20, v175
	ds_read_b128 v[175:178], v102 offset:752
	v_add_f32_e32 v3, v3, v4
	v_mul_f32_e32 v4, v170, v239
	v_fma_f32 v4, v169, v242, -v4
	v_add_f32_e32 v3, v3, v4
	v_mul_f32_e32 v4, v172, v241
	s_waitcnt vmcnt(12)
	v_mul_f32_e32 v179, v173, v244
	v_fma_f32 v4, v171, v240, -v4
	v_fmac_f32_e32 v179, v174, v243
	v_add_f32_e32 v3, v3, v4
	v_mul_f32_e32 v4, v174, v244
	v_add_f32_e32 v20, v20, v179
	ds_read_b128 v[179:182], v102 offset:768
	s_waitcnt vmcnt(10) lgkmcnt(1)
	v_mul_f32_e32 v183, v175, v246
	v_fma_f32 v4, v173, v243, -v4
	v_fmac_f32_e32 v183, v176, v245
	v_add_f32_e32 v3, v3, v4
	v_mul_f32_e32 v4, v176, v246
	v_add_f32_e32 v20, v20, v183
	s_waitcnt vmcnt(9)
	v_mul_f32_e32 v183, v177, v247
	v_fma_f32 v4, v175, v245, -v4
	s_waitcnt vmcnt(6)
	v_fmac_f32_e32 v183, v178, v250
	v_add_f32_e32 v3, v3, v4
	v_mul_f32_e32 v4, v178, v247
	v_add_f32_e32 v20, v20, v183
	ds_read_b128 v[183:186], v102 offset:784
	v_fma_f32 v4, v177, v250, -v4
	v_add_f32_e32 v3, v3, v4
	s_waitcnt lgkmcnt(1)
	v_mul_f32_e32 v4, v180, v249
	v_mul_f32_e32 v21, v179, v249
	v_fma_f32 v4, v179, v248, -v4
	v_fmac_f32_e32 v21, v180, v248
	v_add_f32_e32 v3, v3, v4
	s_waitcnt vmcnt(4)
	v_mul_f32_e32 v4, v182, v252
	v_add_f32_e32 v20, v20, v21
	v_mul_f32_e32 v21, v181, v252
	v_fma_f32 v4, v181, v251, -v4
	v_fmac_f32_e32 v21, v182, v251
	v_add_f32_e32 v3, v3, v4
	s_waitcnt vmcnt(3) lgkmcnt(0)
	v_mul_f32_e32 v4, v184, v253
	v_add_f32_e32 v20, v20, v21
	v_mul_f32_e32 v21, v183, v253
	s_waitcnt vmcnt(0)
	v_fma_f32 v4, v183, v19, -v4
	v_fmac_f32_e32 v21, v184, v19
	v_add_f32_e32 v3, v3, v4
	v_mul_f32_e32 v4, v186, v255
	v_add_f32_e32 v20, v20, v21
	v_mul_f32_e32 v21, v185, v255
	v_fma_f32 v4, v185, v254, -v4
	v_fmac_f32_e32 v21, v186, v254
	v_add_f32_e32 v3, v3, v4
	v_add_f32_e32 v20, v20, v21
	v_sub_f32_e32 v3, v201, v3
	v_sub_f32_e32 v4, v202, v20
	buffer_store_dword v3, off, s[0:3], 0 offset:56
	buffer_store_dword v4, off, s[0:3], 0 offset:60
	s_and_saveexec_b64 s[4:5], vcc
	s_cbranch_execz .LBB113_301
; %bb.300:
	buffer_load_dword v102, off, s[0:3], 0 offset:48
	buffer_load_dword v103, off, s[0:3], 0 offset:52
	v_mov_b32_e32 v3, 0
	buffer_store_dword v3, off, s[0:3], 0 offset:48
	buffer_store_dword v3, off, s[0:3], 0 offset:52
	s_waitcnt vmcnt(2)
	ds_write_b64 v101, v[102:103]
.LBB113_301:
	s_or_b64 exec, exec, s[4:5]
	s_waitcnt lgkmcnt(0)
	; wave barrier
	buffer_load_dword v111, off, s[0:3], 0 offset:60
	buffer_load_dword v110, off, s[0:3], 0 offset:68
	;; [unrolled: 1-line block ×48, first 2 shown]
	v_mov_b32_e32 v102, 0
	ds_read2_b64 v[117:120], v102 offset0:57 offset1:58
	ds_read2_b64 v[121:124], v102 offset0:59 offset1:60
	;; [unrolled: 1-line block ×6, first 2 shown]
	buffer_load_dword v217, off, s[0:3], 0 offset:240
	buffer_load_dword v218, off, s[0:3], 0 offset:244
	v_cmp_lt_u32_e32 vcc, 5, v0
	s_waitcnt vmcnt(49) lgkmcnt(5)
	v_mul_f32_e32 v141, v117, v111
	s_waitcnt vmcnt(48)
	v_mul_f32_e32 v142, v119, v110
	s_waitcnt vmcnt(47) lgkmcnt(4)
	v_mul_f32_e32 v143, v121, v109
	s_waitcnt vmcnt(46)
	v_mul_f32_e32 v144, v123, v108
	;; [unrolled: 4-line block ×6, first 2 shown]
	s_waitcnt vmcnt(37)
	v_fmac_f32_e32 v143, v122, v3
	s_waitcnt vmcnt(36)
	v_fmac_f32_e32 v142, v120, v4
	;; [unrolled: 2-line block ×3, first 2 shown]
	v_add_f32_e32 v141, 0, v141
	v_add_f32_e32 v141, v141, v142
	;; [unrolled: 1-line block ×3, first 2 shown]
	s_waitcnt vmcnt(31)
	v_fmac_f32_e32 v144, v124, v9
	v_fmac_f32_e32 v145, v126, v8
	v_add_f32_e32 v141, v141, v144
	v_fmac_f32_e32 v146, v128, v7
	v_add_f32_e32 v141, v141, v145
	v_fmac_f32_e32 v147, v130, v6
	v_add_f32_e32 v141, v141, v146
	s_waitcnt vmcnt(27)
	v_fmac_f32_e32 v148, v132, v13
	v_add_f32_e32 v141, v141, v147
	v_fmac_f32_e32 v149, v134, v12
	v_add_f32_e32 v141, v141, v148
	;; [unrolled: 2-line block ×4, first 2 shown]
	v_add_f32_e32 v145, v141, v151
	ds_read2_b64 v[141:144], v102 offset0:69 offset1:70
	buffer_load_dword v219, off, s[0:3], 0 offset:248
	buffer_load_dword v220, off, s[0:3], 0 offset:252
	;; [unrolled: 1-line block ×6, first 2 shown]
	s_waitcnt vmcnt(28)
	v_fmac_f32_e32 v152, v140, v18
	v_add_f32_e32 v149, v145, v152
	ds_read2_b64 v[145:148], v102 offset0:71 offset1:72
	buffer_load_dword v225, off, s[0:3], 0 offset:272
	buffer_load_dword v226, off, s[0:3], 0 offset:276
	;; [unrolled: 1-line block ×8, first 2 shown]
	s_waitcnt vmcnt(35) lgkmcnt(1)
	v_mul_f32_e32 v150, v141, v19
	buffer_load_dword v233, off, s[0:3], 0 offset:304
	buffer_load_dword v234, off, s[0:3], 0 offset:308
	v_fmac_f32_e32 v150, v142, v17
	v_add_f32_e32 v149, v149, v150
	s_waitcnt vmcnt(36)
	v_mul_f32_e32 v150, v143, v20
	v_fmac_f32_e32 v150, v144, v16
	v_add_f32_e32 v149, v149, v150
	s_waitcnt lgkmcnt(0)
	v_mul_f32_e32 v150, v145, v15
	v_fmac_f32_e32 v150, v146, v14
	v_add_f32_e32 v153, v149, v150
	ds_read2_b64 v[149:152], v102 offset0:73 offset1:74
	buffer_load_dword v235, off, s[0:3], 0 offset:312
	buffer_load_dword v236, off, s[0:3], 0 offset:316
	;; [unrolled: 1-line block ×6, first 2 shown]
	s_waitcnt vmcnt(38)
	v_mul_f32_e32 v154, v147, v22
	v_fmac_f32_e32 v154, v148, v21
	v_add_f32_e32 v157, v153, v154
	ds_read2_b64 v[153:156], v102 offset0:75 offset1:76
	buffer_load_dword v241, off, s[0:3], 0 offset:336
	buffer_load_dword v242, off, s[0:3], 0 offset:340
	buffer_load_dword v243, off, s[0:3], 0 offset:344
	buffer_load_dword v244, off, s[0:3], 0 offset:348
	buffer_load_dword v245, off, s[0:3], 0 offset:356
	buffer_load_dword v246, off, s[0:3], 0 offset:360
	buffer_load_dword v247, off, s[0:3], 0 offset:364
	buffer_load_dword v248, off, s[0:3], 0 offset:352
	buffer_load_dword v249, off, s[0:3], 0 offset:368
	buffer_load_dword v250, off, s[0:3], 0 offset:372
	buffer_load_dword v251, off, s[0:3], 0 offset:376
	buffer_load_dword v252, off, s[0:3], 0 offset:380
	buffer_load_dword v253, off, s[0:3], 0 offset:388
	buffer_load_dword v254, off, s[0:3], 0 offset:392
	buffer_load_dword v255, off, s[0:3], 0 offset:396
	buffer_load_dword v23, off, s[0:3], 0 offset:384
	s_waitcnt vmcnt(52) lgkmcnt(1)
	v_mul_f32_e32 v158, v149, v204
	v_fmac_f32_e32 v158, v150, v203
	v_add_f32_e32 v157, v157, v158
	s_waitcnt vmcnt(50)
	v_mul_f32_e32 v158, v151, v206
	v_fmac_f32_e32 v158, v152, v205
	v_add_f32_e32 v157, v157, v158
	s_waitcnt vmcnt(48) lgkmcnt(0)
	v_mul_f32_e32 v158, v153, v208
	v_fmac_f32_e32 v158, v154, v207
	v_add_f32_e32 v161, v157, v158
	ds_read2_b64 v[157:160], v102 offset0:77 offset1:78
	s_waitcnt vmcnt(46)
	v_mul_f32_e32 v24, v155, v210
	v_fmac_f32_e32 v24, v156, v209
	v_add_f32_e32 v24, v161, v24
	ds_read2_b64 v[161:164], v102 offset0:79 offset1:80
	s_waitcnt vmcnt(44) lgkmcnt(1)
	v_mul_f32_e32 v165, v157, v212
	v_fmac_f32_e32 v165, v158, v211
	v_add_f32_e32 v24, v24, v165
	s_waitcnt vmcnt(42)
	v_mul_f32_e32 v165, v159, v214
	v_fmac_f32_e32 v165, v160, v213
	v_add_f32_e32 v24, v24, v165
	s_waitcnt vmcnt(40) lgkmcnt(0)
	v_mul_f32_e32 v165, v161, v216
	v_fmac_f32_e32 v165, v162, v215
	v_add_f32_e32 v24, v24, v165
	ds_read2_b64 v[165:168], v102 offset0:81 offset1:82
	s_waitcnt vmcnt(38)
	v_mul_f32_e32 v169, v163, v218
	v_fmac_f32_e32 v169, v164, v217
	v_add_f32_e32 v24, v24, v169
	ds_read2_b64 v[169:172], v102 offset0:83 offset1:84
	s_waitcnt vmcnt(36) lgkmcnt(1)
	v_mul_f32_e32 v173, v165, v220
	v_fmac_f32_e32 v173, v166, v219
	v_add_f32_e32 v24, v24, v173
	s_waitcnt vmcnt(35)
	v_mul_f32_e32 v173, v167, v221
	s_waitcnt vmcnt(32)
	v_fmac_f32_e32 v173, v168, v224
	v_add_f32_e32 v24, v24, v173
	s_waitcnt lgkmcnt(0)
	v_mul_f32_e32 v173, v169, v223
	v_fmac_f32_e32 v173, v170, v222
	v_add_f32_e32 v24, v24, v173
	ds_read2_b64 v[173:176], v102 offset0:85 offset1:86
	s_waitcnt vmcnt(30)
	v_mul_f32_e32 v177, v171, v226
	v_fmac_f32_e32 v177, v172, v225
	v_add_f32_e32 v24, v24, v177
	ds_read2_b64 v[177:180], v102 offset0:87 offset1:88
	s_waitcnt vmcnt(28) lgkmcnt(1)
	v_mul_f32_e32 v181, v173, v228
	v_fmac_f32_e32 v181, v174, v227
	v_add_f32_e32 v24, v24, v181
	s_waitcnt vmcnt(27)
	v_mul_f32_e32 v181, v175, v229
	s_waitcnt vmcnt(24)
	v_fmac_f32_e32 v181, v176, v232
	v_add_f32_e32 v24, v24, v181
	s_waitcnt lgkmcnt(0)
	;; [unrolled: 19-line block ×4, first 2 shown]
	v_mul_f32_e32 v197, v193, v247
	v_fmac_f32_e32 v197, v194, v246
	v_add_f32_e32 v24, v24, v197
	ds_read2_b64 v[197:200], v102 offset0:97 offset1:98
	s_waitcnt vmcnt(6)
	v_mul_f32_e32 v201, v195, v250
	v_fmac_f32_e32 v201, v196, v249
	v_add_f32_e32 v24, v24, v201
	ds_read_b64 v[201:202], v102 offset:792
	s_waitcnt vmcnt(4) lgkmcnt(1)
	v_mul_f32_e32 v25, v197, v252
	v_fmac_f32_e32 v25, v198, v251
	v_add_f32_e32 v24, v24, v25
	s_waitcnt vmcnt(3)
	v_mul_f32_e32 v25, v199, v253
	s_waitcnt vmcnt(0)
	v_fmac_f32_e32 v25, v200, v23
	v_add_f32_e32 v24, v24, v25
	s_waitcnt lgkmcnt(0)
	v_mul_f32_e32 v25, v201, v255
	v_fmac_f32_e32 v25, v202, v254
	v_add_f32_e32 v24, v24, v25
	v_mul_f32_e32 v25, v118, v111
	v_fma_f32 v5, v117, v5, -v25
	v_mul_f32_e32 v25, v120, v110
	v_add_f32_e32 v5, 0, v5
	v_fma_f32 v4, v119, v4, -v25
	v_add_f32_e32 v4, v5, v4
	v_mul_f32_e32 v5, v122, v109
	v_fma_f32 v3, v121, v3, -v5
	v_add_f32_e32 v3, v4, v3
	v_mul_f32_e32 v4, v124, v108
	v_fma_f32 v4, v123, v9, -v4
	v_add_f32_e32 v3, v3, v4
	v_mul_f32_e32 v4, v126, v107
	v_fma_f32 v4, v125, v8, -v4
	v_add_f32_e32 v3, v3, v4
	v_mul_f32_e32 v4, v128, v106
	v_fma_f32 v4, v127, v7, -v4
	v_add_f32_e32 v3, v3, v4
	v_mul_f32_e32 v4, v130, v105
	v_fma_f32 v4, v129, v6, -v4
	v_add_f32_e32 v3, v3, v4
	v_mul_f32_e32 v4, v132, v112
	v_fma_f32 v4, v131, v13, -v4
	v_add_f32_e32 v3, v3, v4
	v_mul_f32_e32 v4, v134, v113
	v_fma_f32 v4, v133, v12, -v4
	v_add_f32_e32 v3, v3, v4
	v_mul_f32_e32 v4, v136, v114
	v_fma_f32 v4, v135, v11, -v4
	v_add_f32_e32 v3, v3, v4
	v_mul_f32_e32 v4, v138, v115
	v_fma_f32 v4, v137, v10, -v4
	v_add_f32_e32 v3, v3, v4
	v_mul_f32_e32 v4, v140, v116
	v_fma_f32 v4, v139, v18, -v4
	v_add_f32_e32 v3, v3, v4
	v_mul_f32_e32 v4, v142, v19
	v_fma_f32 v4, v141, v17, -v4
	v_add_f32_e32 v3, v3, v4
	v_mul_f32_e32 v4, v144, v20
	v_fma_f32 v4, v143, v16, -v4
	v_add_f32_e32 v3, v3, v4
	v_mul_f32_e32 v4, v146, v15
	v_fma_f32 v4, v145, v14, -v4
	v_add_f32_e32 v3, v3, v4
	v_mul_f32_e32 v4, v148, v22
	v_fma_f32 v4, v147, v21, -v4
	v_add_f32_e32 v3, v3, v4
	v_mul_f32_e32 v4, v150, v204
	v_fma_f32 v4, v149, v203, -v4
	v_add_f32_e32 v3, v3, v4
	v_mul_f32_e32 v4, v152, v206
	v_fma_f32 v4, v151, v205, -v4
	v_add_f32_e32 v3, v3, v4
	v_mul_f32_e32 v4, v154, v208
	v_fma_f32 v4, v153, v207, -v4
	v_add_f32_e32 v3, v3, v4
	v_mul_f32_e32 v4, v156, v210
	v_fma_f32 v4, v155, v209, -v4
	v_add_f32_e32 v3, v3, v4
	v_mul_f32_e32 v4, v158, v212
	v_fma_f32 v4, v157, v211, -v4
	v_add_f32_e32 v3, v3, v4
	v_mul_f32_e32 v4, v160, v214
	v_fma_f32 v4, v159, v213, -v4
	v_add_f32_e32 v3, v3, v4
	v_mul_f32_e32 v4, v162, v216
	v_fma_f32 v4, v161, v215, -v4
	v_add_f32_e32 v3, v3, v4
	v_mul_f32_e32 v4, v164, v218
	v_fma_f32 v4, v163, v217, -v4
	v_add_f32_e32 v3, v3, v4
	v_mul_f32_e32 v4, v166, v220
	v_fma_f32 v4, v165, v219, -v4
	v_add_f32_e32 v3, v3, v4
	v_mul_f32_e32 v4, v168, v221
	v_fma_f32 v4, v167, v224, -v4
	v_add_f32_e32 v3, v3, v4
	v_mul_f32_e32 v4, v170, v223
	v_fma_f32 v4, v169, v222, -v4
	v_add_f32_e32 v3, v3, v4
	v_mul_f32_e32 v4, v172, v226
	v_fma_f32 v4, v171, v225, -v4
	v_add_f32_e32 v3, v3, v4
	v_mul_f32_e32 v4, v174, v228
	v_fma_f32 v4, v173, v227, -v4
	v_add_f32_e32 v3, v3, v4
	v_mul_f32_e32 v4, v176, v229
	v_fma_f32 v4, v175, v232, -v4
	v_add_f32_e32 v3, v3, v4
	v_mul_f32_e32 v4, v178, v231
	v_fma_f32 v4, v177, v230, -v4
	v_add_f32_e32 v3, v3, v4
	v_mul_f32_e32 v4, v180, v234
	v_fma_f32 v4, v179, v233, -v4
	v_add_f32_e32 v3, v3, v4
	v_mul_f32_e32 v4, v182, v236
	v_fma_f32 v4, v181, v235, -v4
	v_add_f32_e32 v3, v3, v4
	v_mul_f32_e32 v4, v184, v237
	v_fma_f32 v4, v183, v240, -v4
	v_add_f32_e32 v3, v3, v4
	v_mul_f32_e32 v4, v186, v239
	v_fma_f32 v4, v185, v238, -v4
	v_add_f32_e32 v3, v3, v4
	v_mul_f32_e32 v4, v188, v242
	v_fma_f32 v4, v187, v241, -v4
	v_add_f32_e32 v3, v3, v4
	v_mul_f32_e32 v4, v190, v244
	v_fma_f32 v4, v189, v243, -v4
	v_add_f32_e32 v3, v3, v4
	v_mul_f32_e32 v4, v192, v245
	v_fma_f32 v4, v191, v248, -v4
	v_add_f32_e32 v3, v3, v4
	v_mul_f32_e32 v4, v194, v247
	v_fma_f32 v4, v193, v246, -v4
	v_add_f32_e32 v3, v3, v4
	v_mul_f32_e32 v4, v196, v250
	v_fma_f32 v4, v195, v249, -v4
	v_add_f32_e32 v3, v3, v4
	v_mul_f32_e32 v4, v198, v252
	v_fma_f32 v4, v197, v251, -v4
	v_add_f32_e32 v3, v3, v4
	v_mul_f32_e32 v4, v200, v253
	v_fma_f32 v4, v199, v23, -v4
	v_add_f32_e32 v3, v3, v4
	v_mul_f32_e32 v4, v202, v255
	v_fma_f32 v4, v201, v254, -v4
	v_add_f32_e32 v3, v3, v4
	v_sub_f32_e32 v3, v103, v3
	v_sub_f32_e32 v4, v104, v24
	buffer_store_dword v3, off, s[0:3], 0 offset:48
	buffer_store_dword v4, off, s[0:3], 0 offset:52
	s_and_saveexec_b64 s[4:5], vcc
	s_cbranch_execz .LBB113_303
; %bb.302:
	buffer_load_dword v103, off, s[0:3], 0 offset:40
	buffer_load_dword v104, off, s[0:3], 0 offset:44
	s_waitcnt vmcnt(0)
	ds_write_b64 v101, v[103:104]
	buffer_store_dword v102, off, s[0:3], 0 offset:40
	buffer_store_dword v102, off, s[0:3], 0 offset:44
.LBB113_303:
	s_or_b64 exec, exec, s[4:5]
	s_waitcnt lgkmcnt(0)
	; wave barrier
	buffer_load_dword v111, off, s[0:3], 0 offset:52
	buffer_load_dword v110, off, s[0:3], 0 offset:60
	;; [unrolled: 1-line block ×32, first 2 shown]
	ds_read_b128 v[117:120], v102 offset:448
	ds_read_b128 v[121:124], v102 offset:464
	;; [unrolled: 1-line block ×4, first 2 shown]
	buffer_load_dword v21, off, s[0:3], 0 offset:168
	buffer_load_dword v22, off, s[0:3], 0 offset:172
	ds_read_b128 v[133:136], v102 offset:512
	ds_read_b128 v[137:140], v102 offset:528
	;; [unrolled: 1-line block ×3, first 2 shown]
	buffer_load_dword v23, off, s[0:3], 0 offset:176
	buffer_load_dword v24, off, s[0:3], 0 offset:180
	;; [unrolled: 1-line block ×16, first 2 shown]
	v_cmp_lt_u32_e32 vcc, 4, v0
	s_waitcnt vmcnt(49) lgkmcnt(6)
	v_mul_f32_e32 v145, v117, v111
	s_waitcnt vmcnt(48)
	v_mul_f32_e32 v146, v119, v110
	s_waitcnt vmcnt(47) lgkmcnt(5)
	v_mul_f32_e32 v147, v121, v109
	s_waitcnt vmcnt(46)
	v_mul_f32_e32 v148, v123, v108
	;; [unrolled: 4-line block ×6, first 2 shown]
	s_waitcnt vmcnt(37)
	v_fmac_f32_e32 v147, v122, v3
	s_waitcnt vmcnt(36)
	v_fmac_f32_e32 v146, v120, v4
	;; [unrolled: 2-line block ×3, first 2 shown]
	v_add_f32_e32 v145, 0, v145
	v_add_f32_e32 v145, v145, v146
	;; [unrolled: 1-line block ×3, first 2 shown]
	s_waitcnt vmcnt(31)
	v_fmac_f32_e32 v148, v124, v9
	v_fmac_f32_e32 v149, v126, v8
	v_add_f32_e32 v145, v145, v148
	v_fmac_f32_e32 v150, v128, v7
	v_add_f32_e32 v145, v145, v149
	;; [unrolled: 2-line block ×3, first 2 shown]
	s_waitcnt vmcnt(27)
	v_fmac_f32_e32 v152, v132, v13
	v_add_f32_e32 v145, v145, v151
	v_fmac_f32_e32 v153, v134, v12
	v_add_f32_e32 v145, v145, v152
	;; [unrolled: 2-line block ×4, first 2 shown]
	s_waitcnt vmcnt(23)
	v_fmac_f32_e32 v156, v140, v17
	v_add_f32_e32 v145, v145, v155
	v_add_f32_e32 v149, v145, v156
	ds_read_b128 v[145:148], v102 offset:560
	buffer_load_dword v217, off, s[0:3], 0 offset:240
	buffer_load_dword v218, off, s[0:3], 0 offset:244
	;; [unrolled: 1-line block ×14, first 2 shown]
	s_waitcnt vmcnt(36) lgkmcnt(1)
	v_mul_f32_e32 v150, v141, v18
	buffer_load_dword v231, off, s[0:3], 0 offset:296
	buffer_load_dword v232, off, s[0:3], 0 offset:300
	v_fmac_f32_e32 v150, v142, v16
	v_add_f32_e32 v149, v149, v150
	s_waitcnt vmcnt(37)
	v_mul_f32_e32 v150, v143, v19
	v_fmac_f32_e32 v150, v144, v15
	v_add_f32_e32 v149, v149, v150
	s_waitcnt vmcnt(36) lgkmcnt(0)
	v_mul_f32_e32 v150, v145, v20
	v_fmac_f32_e32 v150, v146, v14
	v_add_f32_e32 v153, v149, v150
	ds_read_b128 v[149:152], v102 offset:576
	buffer_load_dword v233, off, s[0:3], 0 offset:304
	buffer_load_dword v234, off, s[0:3], 0 offset:308
	;; [unrolled: 1-line block ×6, first 2 shown]
	s_waitcnt vmcnt(38)
	v_mul_f32_e32 v154, v147, v22
	v_fmac_f32_e32 v154, v148, v21
	v_add_f32_e32 v157, v153, v154
	ds_read_b128 v[153:156], v102 offset:592
	buffer_load_dword v239, off, s[0:3], 0 offset:328
	buffer_load_dword v240, off, s[0:3], 0 offset:332
	;; [unrolled: 1-line block ×10, first 2 shown]
	s_waitcnt vmcnt(46) lgkmcnt(1)
	v_mul_f32_e32 v158, v149, v24
	v_fmac_f32_e32 v158, v150, v23
	v_add_f32_e32 v157, v157, v158
	s_waitcnt vmcnt(44)
	v_mul_f32_e32 v158, v151, v26
	v_fmac_f32_e32 v158, v152, v25
	v_add_f32_e32 v157, v157, v158
	s_waitcnt vmcnt(42) lgkmcnt(0)
	v_mul_f32_e32 v158, v153, v206
	buffer_load_dword v249, off, s[0:3], 0 offset:368
	buffer_load_dword v250, off, s[0:3], 0 offset:372
	;; [unrolled: 1-line block ×6, first 2 shown]
	v_fmac_f32_e32 v158, v154, v205
	s_waitcnt vmcnt(46)
	v_mul_f32_e32 v162, v155, v208
	v_add_f32_e32 v161, v157, v158
	v_fmac_f32_e32 v162, v156, v207
	ds_read_b128 v[157:160], v102 offset:608
	v_add_f32_e32 v165, v161, v162
	ds_read_b128 v[161:164], v102 offset:624
	buffer_load_dword v255, off, s[0:3], 0 offset:392
	buffer_load_dword v27, off, s[0:3], 0 offset:396
	s_waitcnt vmcnt(46) lgkmcnt(1)
	v_mul_f32_e32 v28, v157, v210
	v_fmac_f32_e32 v28, v158, v209
	v_add_f32_e32 v28, v165, v28
	s_waitcnt vmcnt(44)
	v_mul_f32_e32 v165, v159, v212
	v_fmac_f32_e32 v165, v160, v211
	v_add_f32_e32 v28, v28, v165
	s_waitcnt vmcnt(42) lgkmcnt(0)
	v_mul_f32_e32 v165, v161, v214
	v_fmac_f32_e32 v165, v162, v213
	v_add_f32_e32 v28, v28, v165
	ds_read_b128 v[165:168], v102 offset:640
	s_waitcnt vmcnt(40)
	v_mul_f32_e32 v169, v163, v216
	v_fmac_f32_e32 v169, v164, v215
	v_add_f32_e32 v28, v28, v169
	ds_read_b128 v[169:172], v102 offset:656
	s_waitcnt vmcnt(38) lgkmcnt(1)
	v_mul_f32_e32 v173, v165, v218
	v_fmac_f32_e32 v173, v166, v217
	v_add_f32_e32 v28, v28, v173
	s_waitcnt vmcnt(37)
	v_mul_f32_e32 v173, v167, v219
	s_waitcnt vmcnt(34)
	v_fmac_f32_e32 v173, v168, v222
	v_add_f32_e32 v28, v28, v173
	s_waitcnt lgkmcnt(0)
	v_mul_f32_e32 v173, v169, v221
	v_fmac_f32_e32 v173, v170, v220
	v_add_f32_e32 v28, v28, v173
	ds_read_b128 v[173:176], v102 offset:672
	s_waitcnt vmcnt(32)
	v_mul_f32_e32 v177, v171, v224
	v_fmac_f32_e32 v177, v172, v223
	v_add_f32_e32 v28, v28, v177
	ds_read_b128 v[177:180], v102 offset:688
	s_waitcnt vmcnt(30) lgkmcnt(1)
	v_mul_f32_e32 v181, v173, v226
	v_fmac_f32_e32 v181, v174, v225
	v_add_f32_e32 v28, v28, v181
	s_waitcnt vmcnt(29)
	v_mul_f32_e32 v181, v175, v227
	s_waitcnt vmcnt(26)
	v_fmac_f32_e32 v181, v176, v230
	v_add_f32_e32 v28, v28, v181
	s_waitcnt lgkmcnt(0)
	;; [unrolled: 19-line block ×5, first 2 shown]
	v_mul_f32_e32 v102, v201, v253
	v_fmac_f32_e32 v102, v202, v252
	v_add_f32_e32 v28, v28, v102
	s_waitcnt vmcnt(0)
	v_mul_f32_e32 v102, v203, v27
	v_fmac_f32_e32 v102, v204, v255
	v_add_f32_e32 v28, v28, v102
	v_mul_f32_e32 v102, v118, v111
	v_fma_f32 v5, v117, v5, -v102
	v_mul_f32_e32 v102, v120, v110
	v_add_f32_e32 v5, 0, v5
	v_fma_f32 v4, v119, v4, -v102
	v_add_f32_e32 v4, v5, v4
	v_mul_f32_e32 v5, v122, v109
	v_fma_f32 v3, v121, v3, -v5
	v_add_f32_e32 v3, v4, v3
	v_mul_f32_e32 v4, v124, v108
	;; [unrolled: 3-line block ×42, first 2 shown]
	v_fma_f32 v4, v203, v255, -v4
	v_add_f32_e32 v3, v3, v4
	v_sub_f32_e32 v3, v103, v3
	v_sub_f32_e32 v4, v104, v28
	buffer_store_dword v3, off, s[0:3], 0 offset:40
	buffer_store_dword v4, off, s[0:3], 0 offset:44
	s_and_saveexec_b64 s[4:5], vcc
	s_cbranch_execz .LBB113_305
; %bb.304:
	buffer_load_dword v102, off, s[0:3], 0 offset:32
	buffer_load_dword v103, off, s[0:3], 0 offset:36
	v_mov_b32_e32 v3, 0
	buffer_store_dword v3, off, s[0:3], 0 offset:32
	buffer_store_dword v3, off, s[0:3], 0 offset:36
	s_waitcnt vmcnt(2)
	ds_write_b64 v101, v[102:103]
.LBB113_305:
	s_or_b64 exec, exec, s[4:5]
	s_waitcnt lgkmcnt(0)
	; wave barrier
	buffer_load_dword v3, off, s[0:3], 0 offset:44
	buffer_load_dword v4, off, s[0:3], 0 offset:52
	;; [unrolled: 1-line block ×48, first 2 shown]
	v_mov_b32_e32 v102, 0
	ds_read2_b64 v[105:108], v102 offset0:55 offset1:56
	ds_read2_b64 v[109:112], v102 offset0:57 offset1:58
	;; [unrolled: 1-line block ×7, first 2 shown]
	v_cmp_lt_u32_e32 vcc, 3, v0
	s_waitcnt vmcnt(47) lgkmcnt(6)
	v_mul_f32_e32 v133, v105, v3
	s_waitcnt vmcnt(46)
	v_mul_f32_e32 v134, v107, v4
	s_waitcnt vmcnt(45) lgkmcnt(5)
	v_mul_f32_e32 v135, v109, v5
	s_waitcnt vmcnt(44)
	v_mul_f32_e32 v136, v111, v6
	;; [unrolled: 4-line block ×6, first 2 shown]
	s_waitcnt vmcnt(35)
	v_fmac_f32_e32 v135, v110, v15
	s_waitcnt vmcnt(34)
	v_fmac_f32_e32 v134, v108, v16
	;; [unrolled: 2-line block ×3, first 2 shown]
	v_add_f32_e32 v133, 0, v133
	v_add_f32_e32 v133, v133, v134
	;; [unrolled: 1-line block ×3, first 2 shown]
	s_waitcnt vmcnt(29)
	v_fmac_f32_e32 v136, v112, v21
	v_fmac_f32_e32 v137, v114, v20
	v_add_f32_e32 v133, v133, v136
	v_fmac_f32_e32 v138, v116, v19
	v_add_f32_e32 v133, v133, v137
	;; [unrolled: 2-line block ×3, first 2 shown]
	s_waitcnt vmcnt(25)
	v_fmac_f32_e32 v140, v120, v25
	v_add_f32_e32 v133, v133, v139
	v_fmac_f32_e32 v141, v122, v24
	v_add_f32_e32 v133, v133, v140
	v_fmac_f32_e32 v142, v124, v23
	v_add_f32_e32 v133, v133, v141
	v_fmac_f32_e32 v143, v126, v22
	v_add_f32_e32 v133, v133, v142
	s_waitcnt vmcnt(21)
	v_fmac_f32_e32 v144, v128, v195
	v_add_f32_e32 v133, v133, v143
	v_add_f32_e32 v137, v133, v144
	ds_read2_b64 v[133:136], v102 offset0:69 offset1:70
	buffer_load_dword v215, off, s[0:3], 0 offset:224
	buffer_load_dword v216, off, s[0:3], 0 offset:228
	buffer_load_dword v217, off, s[0:3], 0 offset:232
	buffer_load_dword v218, off, s[0:3], 0 offset:236
	buffer_load_dword v219, off, s[0:3], 0 offset:244
	buffer_load_dword v220, off, s[0:3], 0 offset:248
	buffer_load_dword v221, off, s[0:3], 0 offset:252
	buffer_load_dword v222, off, s[0:3], 0 offset:240
	buffer_load_dword v223, off, s[0:3], 0 offset:256
	buffer_load_dword v224, off, s[0:3], 0 offset:260
	s_waitcnt vmcnt(30) lgkmcnt(1)
	v_mul_f32_e32 v138, v129, v196
	v_fmac_f32_e32 v138, v130, v28
	buffer_load_dword v225, off, s[0:3], 0 offset:264
	buffer_load_dword v226, off, s[0:3], 0 offset:268
	;; [unrolled: 1-line block ×6, first 2 shown]
	v_add_f32_e32 v137, v137, v138
	s_waitcnt vmcnt(35)
	v_mul_f32_e32 v138, v131, v197
	v_fmac_f32_e32 v138, v132, v27
	v_add_f32_e32 v137, v137, v138
	s_waitcnt vmcnt(34) lgkmcnt(0)
	v_mul_f32_e32 v138, v133, v198
	v_fmac_f32_e32 v138, v134, v26
	v_add_f32_e32 v141, v137, v138
	ds_read2_b64 v[137:140], v102 offset0:71 offset1:72
	buffer_load_dword v231, off, s[0:3], 0 offset:288
	buffer_load_dword v232, off, s[0:3], 0 offset:292
	s_waitcnt vmcnt(32)
	v_mul_f32_e32 v142, v135, v200
	v_fmac_f32_e32 v142, v136, v199
	v_add_f32_e32 v145, v141, v142
	ds_read2_b64 v[141:144], v102 offset0:73 offset1:74
	buffer_load_dword v233, off, s[0:3], 0 offset:296
	buffer_load_dword v234, off, s[0:3], 0 offset:300
	;; [unrolled: 1-line block ×14, first 2 shown]
	s_waitcnt vmcnt(44) lgkmcnt(1)
	v_mul_f32_e32 v146, v137, v202
	v_fmac_f32_e32 v146, v138, v201
	buffer_load_dword v247, off, s[0:3], 0 offset:352
	buffer_load_dword v248, off, s[0:3], 0 offset:356
	v_add_f32_e32 v145, v145, v146
	s_waitcnt vmcnt(44)
	v_mul_f32_e32 v146, v139, v204
	v_fmac_f32_e32 v146, v140, v203
	v_add_f32_e32 v145, v145, v146
	s_waitcnt vmcnt(42) lgkmcnt(0)
	v_mul_f32_e32 v146, v141, v206
	v_fmac_f32_e32 v146, v142, v205
	v_mul_f32_e32 v3, v106, v3
	v_add_f32_e32 v149, v145, v146
	ds_read2_b64 v[145:148], v102 offset0:75 offset1:76
	buffer_load_dword v249, off, s[0:3], 0 offset:360
	buffer_load_dword v250, off, s[0:3], 0 offset:364
	;; [unrolled: 1-line block ×6, first 2 shown]
	v_fma_f32 v3, v105, v17, -v3
	v_mul_f32_e32 v4, v108, v4
	v_add_f32_e32 v3, 0, v3
	v_fma_f32 v4, v107, v16, -v4
	v_add_f32_e32 v3, v3, v4
	v_mul_f32_e32 v4, v110, v5
	s_waitcnt vmcnt(46)
	v_mul_f32_e32 v150, v143, v208
	v_fma_f32 v4, v109, v15, -v4
	v_fmac_f32_e32 v150, v144, v207
	v_add_f32_e32 v3, v3, v4
	v_mul_f32_e32 v4, v112, v6
	v_add_f32_e32 v153, v149, v150
	ds_read2_b64 v[149:152], v102 offset0:77 offset1:78
	buffer_load_dword v255, off, s[0:3], 0 offset:388
	buffer_load_dword v29, off, s[0:3], 0 offset:392
	;; [unrolled: 1-line block ×4, first 2 shown]
	v_fma_f32 v4, v111, v21, -v4
	v_add_f32_e32 v3, v3, v4
	v_mul_f32_e32 v4, v114, v7
	v_fma_f32 v4, v113, v20, -v4
	v_add_f32_e32 v3, v3, v4
	v_mul_f32_e32 v4, v116, v8
	;; [unrolled: 3-line block ×8, first 2 shown]
	v_fma_f32 v4, v127, v195, -v4
	s_waitcnt vmcnt(48) lgkmcnt(1)
	v_mul_f32_e32 v154, v145, v210
	v_add_f32_e32 v3, v3, v4
	v_mul_f32_e32 v4, v130, v196
	v_fmac_f32_e32 v154, v146, v209
	v_fma_f32 v4, v129, v28, -v4
	v_add_f32_e32 v32, v153, v154
	s_waitcnt vmcnt(46)
	v_mul_f32_e32 v153, v147, v212
	v_add_f32_e32 v3, v3, v4
	v_mul_f32_e32 v4, v132, v197
	v_fmac_f32_e32 v153, v148, v211
	v_fma_f32 v4, v131, v27, -v4
	v_add_f32_e32 v32, v32, v153
	s_waitcnt vmcnt(44) lgkmcnt(0)
	v_mul_f32_e32 v153, v149, v214
	v_add_f32_e32 v3, v3, v4
	v_mul_f32_e32 v4, v134, v198
	v_fmac_f32_e32 v153, v150, v213
	v_fma_f32 v4, v133, v26, -v4
	v_add_f32_e32 v32, v32, v153
	ds_read2_b64 v[153:156], v102 offset0:79 offset1:80
	v_add_f32_e32 v3, v3, v4
	v_mul_f32_e32 v4, v136, v200
	v_fma_f32 v4, v135, v199, -v4
	s_waitcnt vmcnt(42)
	v_mul_f32_e32 v157, v151, v216
	v_add_f32_e32 v3, v3, v4
	v_mul_f32_e32 v4, v138, v202
	v_fmac_f32_e32 v157, v152, v215
	v_fma_f32 v4, v137, v201, -v4
	v_add_f32_e32 v32, v32, v157
	ds_read2_b64 v[157:160], v102 offset0:81 offset1:82
	v_add_f32_e32 v3, v3, v4
	v_mul_f32_e32 v4, v140, v204
	s_waitcnt vmcnt(40) lgkmcnt(1)
	v_mul_f32_e32 v161, v153, v218
	v_fma_f32 v4, v139, v203, -v4
	v_fmac_f32_e32 v161, v154, v217
	v_add_f32_e32 v3, v3, v4
	v_mul_f32_e32 v4, v142, v206
	v_add_f32_e32 v32, v32, v161
	s_waitcnt vmcnt(39)
	v_mul_f32_e32 v161, v155, v219
	v_fma_f32 v4, v141, v205, -v4
	s_waitcnt vmcnt(36)
	v_fmac_f32_e32 v161, v156, v222
	v_add_f32_e32 v3, v3, v4
	v_mul_f32_e32 v4, v144, v208
	v_add_f32_e32 v32, v32, v161
	s_waitcnt lgkmcnt(0)
	v_mul_f32_e32 v161, v157, v221
	v_fma_f32 v4, v143, v207, -v4
	v_fmac_f32_e32 v161, v158, v220
	v_add_f32_e32 v3, v3, v4
	v_mul_f32_e32 v4, v146, v210
	v_add_f32_e32 v32, v32, v161
	ds_read2_b64 v[161:164], v102 offset0:83 offset1:84
	v_fma_f32 v4, v145, v209, -v4
	v_add_f32_e32 v3, v3, v4
	v_mul_f32_e32 v4, v148, v212
	s_waitcnt vmcnt(34)
	v_mul_f32_e32 v165, v159, v224
	v_fma_f32 v4, v147, v211, -v4
	v_fmac_f32_e32 v165, v160, v223
	v_add_f32_e32 v3, v3, v4
	v_mul_f32_e32 v4, v150, v214
	v_add_f32_e32 v32, v32, v165
	ds_read2_b64 v[165:168], v102 offset0:85 offset1:86
	v_fma_f32 v4, v149, v213, -v4
	s_waitcnt vmcnt(32) lgkmcnt(1)
	v_mul_f32_e32 v169, v161, v226
	v_add_f32_e32 v3, v3, v4
	v_mul_f32_e32 v4, v152, v216
	v_fmac_f32_e32 v169, v162, v225
	v_fma_f32 v4, v151, v215, -v4
	v_add_f32_e32 v32, v32, v169
	s_waitcnt vmcnt(31)
	v_mul_f32_e32 v169, v163, v227
	v_add_f32_e32 v3, v3, v4
	v_mul_f32_e32 v4, v154, v218
	s_waitcnt vmcnt(28)
	v_fmac_f32_e32 v169, v164, v230
	v_fma_f32 v4, v153, v217, -v4
	v_add_f32_e32 v32, v32, v169
	s_waitcnt lgkmcnt(0)
	v_mul_f32_e32 v169, v165, v229
	v_add_f32_e32 v3, v3, v4
	v_mul_f32_e32 v4, v156, v219
	v_fmac_f32_e32 v169, v166, v228
	v_fma_f32 v4, v155, v222, -v4
	v_add_f32_e32 v32, v32, v169
	ds_read2_b64 v[169:172], v102 offset0:87 offset1:88
	v_add_f32_e32 v3, v3, v4
	v_mul_f32_e32 v4, v158, v221
	v_fma_f32 v4, v157, v220, -v4
	s_waitcnt vmcnt(26)
	v_mul_f32_e32 v173, v167, v232
	v_add_f32_e32 v3, v3, v4
	v_mul_f32_e32 v4, v160, v224
	v_fmac_f32_e32 v173, v168, v231
	v_fma_f32 v4, v159, v223, -v4
	v_add_f32_e32 v32, v32, v173
	ds_read2_b64 v[173:176], v102 offset0:89 offset1:90
	v_add_f32_e32 v3, v3, v4
	v_mul_f32_e32 v4, v162, v226
	s_waitcnt vmcnt(24) lgkmcnt(1)
	v_mul_f32_e32 v177, v169, v234
	v_fma_f32 v4, v161, v225, -v4
	v_fmac_f32_e32 v177, v170, v233
	v_add_f32_e32 v3, v3, v4
	v_mul_f32_e32 v4, v164, v227
	v_add_f32_e32 v32, v32, v177
	s_waitcnt vmcnt(23)
	v_mul_f32_e32 v177, v171, v235
	v_fma_f32 v4, v163, v230, -v4
	s_waitcnt vmcnt(20)
	v_fmac_f32_e32 v177, v172, v238
	v_add_f32_e32 v3, v3, v4
	v_mul_f32_e32 v4, v166, v229
	v_add_f32_e32 v32, v32, v177
	s_waitcnt lgkmcnt(0)
	v_mul_f32_e32 v177, v173, v237
	v_fma_f32 v4, v165, v228, -v4
	v_fmac_f32_e32 v177, v174, v236
	v_add_f32_e32 v3, v3, v4
	v_mul_f32_e32 v4, v168, v232
	v_add_f32_e32 v32, v32, v177
	ds_read2_b64 v[177:180], v102 offset0:91 offset1:92
	v_fma_f32 v4, v167, v231, -v4
	v_add_f32_e32 v3, v3, v4
	v_mul_f32_e32 v4, v170, v234
	s_waitcnt vmcnt(18)
	v_mul_f32_e32 v181, v175, v240
	v_fma_f32 v4, v169, v233, -v4
	v_fmac_f32_e32 v181, v176, v239
	v_add_f32_e32 v3, v3, v4
	v_mul_f32_e32 v4, v172, v235
	v_add_f32_e32 v32, v32, v181
	ds_read2_b64 v[181:184], v102 offset0:93 offset1:94
	v_fma_f32 v4, v171, v238, -v4
	s_waitcnt vmcnt(16) lgkmcnt(1)
	v_mul_f32_e32 v185, v177, v242
	v_add_f32_e32 v3, v3, v4
	v_mul_f32_e32 v4, v174, v237
	v_fmac_f32_e32 v185, v178, v241
	v_fma_f32 v4, v173, v236, -v4
	v_add_f32_e32 v32, v32, v185
	s_waitcnt vmcnt(15)
	v_mul_f32_e32 v185, v179, v243
	v_add_f32_e32 v3, v3, v4
	v_mul_f32_e32 v4, v176, v240
	s_waitcnt vmcnt(12)
	v_fmac_f32_e32 v185, v180, v246
	v_fma_f32 v4, v175, v239, -v4
	v_add_f32_e32 v32, v32, v185
	s_waitcnt lgkmcnt(0)
	v_mul_f32_e32 v185, v181, v245
	v_add_f32_e32 v3, v3, v4
	v_mul_f32_e32 v4, v178, v242
	v_fmac_f32_e32 v185, v182, v244
	v_fma_f32 v4, v177, v241, -v4
	v_add_f32_e32 v32, v32, v185
	ds_read2_b64 v[185:188], v102 offset0:95 offset1:96
	v_add_f32_e32 v3, v3, v4
	v_mul_f32_e32 v4, v180, v243
	v_fma_f32 v4, v179, v246, -v4
	v_add_f32_e32 v3, v3, v4
	v_mul_f32_e32 v4, v182, v245
	s_waitcnt vmcnt(10)
	v_mul_f32_e32 v189, v183, v248
	v_fma_f32 v4, v181, v244, -v4
	v_fmac_f32_e32 v189, v184, v247
	v_add_f32_e32 v3, v3, v4
	v_mul_f32_e32 v4, v184, v248
	v_add_f32_e32 v32, v32, v189
	ds_read2_b64 v[189:192], v102 offset0:97 offset1:98
	s_waitcnt vmcnt(8) lgkmcnt(1)
	v_mul_f32_e32 v193, v185, v250
	v_fma_f32 v4, v183, v247, -v4
	v_fmac_f32_e32 v193, v186, v249
	v_add_f32_e32 v3, v3, v4
	v_mul_f32_e32 v4, v186, v250
	v_add_f32_e32 v32, v32, v193
	s_waitcnt vmcnt(7)
	v_mul_f32_e32 v193, v187, v251
	v_fma_f32 v4, v185, v249, -v4
	s_waitcnt vmcnt(4)
	v_fmac_f32_e32 v193, v188, v254
	v_add_f32_e32 v3, v3, v4
	v_mul_f32_e32 v4, v188, v251
	v_add_f32_e32 v32, v32, v193
	ds_read_b64 v[193:194], v102 offset:792
	v_fma_f32 v4, v187, v254, -v4
	v_add_f32_e32 v3, v3, v4
	s_waitcnt lgkmcnt(1)
	v_mul_f32_e32 v4, v190, v253
	v_mul_f32_e32 v33, v189, v253
	v_fma_f32 v4, v189, v252, -v4
	v_fmac_f32_e32 v33, v190, v252
	v_add_f32_e32 v3, v3, v4
	s_waitcnt vmcnt(3)
	v_mul_f32_e32 v4, v192, v255
	v_add_f32_e32 v32, v32, v33
	v_mul_f32_e32 v33, v191, v255
	s_waitcnt vmcnt(0)
	v_fma_f32 v4, v191, v31, -v4
	v_fmac_f32_e32 v33, v192, v31
	v_add_f32_e32 v3, v3, v4
	s_waitcnt lgkmcnt(0)
	v_mul_f32_e32 v4, v194, v30
	v_add_f32_e32 v32, v32, v33
	v_mul_f32_e32 v33, v193, v30
	v_fma_f32 v4, v193, v29, -v4
	v_fmac_f32_e32 v33, v194, v29
	v_add_f32_e32 v3, v3, v4
	v_add_f32_e32 v32, v32, v33
	v_sub_f32_e32 v3, v103, v3
	v_sub_f32_e32 v4, v104, v32
	buffer_store_dword v3, off, s[0:3], 0 offset:32
	buffer_store_dword v4, off, s[0:3], 0 offset:36
	s_and_saveexec_b64 s[4:5], vcc
	s_cbranch_execz .LBB113_307
; %bb.306:
	buffer_load_dword v103, off, s[0:3], 0 offset:24
	buffer_load_dword v104, off, s[0:3], 0 offset:28
	s_waitcnt vmcnt(0)
	ds_write_b64 v101, v[103:104]
	buffer_store_dword v102, off, s[0:3], 0 offset:24
	buffer_store_dword v102, off, s[0:3], 0 offset:28
.LBB113_307:
	s_or_b64 exec, exec, s[4:5]
	s_waitcnt lgkmcnt(0)
	; wave barrier
	buffer_load_dword v111, off, s[0:3], 0 offset:36
	buffer_load_dword v110, off, s[0:3], 0 offset:44
	;; [unrolled: 1-line block ×33, first 2 shown]
	ds_read_b128 v[112:115], v102 offset:432
	ds_read_b128 v[116:119], v102 offset:448
	ds_read_b128 v[120:123], v102 offset:464
	ds_read_b128 v[124:127], v102 offset:480
	ds_read_b128 v[128:131], v102 offset:496
	ds_read_b128 v[132:135], v102 offset:512
	buffer_load_dword v27, off, s[0:3], 0 offset:152
	buffer_load_dword v28, off, s[0:3], 0 offset:164
	;; [unrolled: 1-line block ×7, first 2 shown]
	ds_read_b128 v[136:139], v102 offset:528
	ds_read_b128 v[140:143], v102 offset:544
	buffer_load_dword v34, off, s[0:3], 0 offset:184
	buffer_load_dword v204, off, s[0:3], 0 offset:188
	;; [unrolled: 1-line block ×18, first 2 shown]
	v_cmp_lt_u32_e32 vcc, 2, v0
	s_waitcnt vmcnt(57) lgkmcnt(7)
	v_mul_f32_e32 v144, v112, v111
	s_waitcnt vmcnt(56)
	v_mul_f32_e32 v145, v114, v110
	s_waitcnt vmcnt(55) lgkmcnt(6)
	v_mul_f32_e32 v146, v116, v109
	s_waitcnt vmcnt(54)
	v_mul_f32_e32 v147, v118, v108
	s_waitcnt vmcnt(53) lgkmcnt(5)
	v_mul_f32_e32 v148, v120, v107
	s_waitcnt vmcnt(52)
	v_mul_f32_e32 v149, v122, v106
	s_waitcnt vmcnt(51) lgkmcnt(4)
	v_mul_f32_e32 v150, v124, v105
	s_waitcnt vmcnt(50)
	v_mul_f32_e32 v151, v126, v3
	s_waitcnt vmcnt(49) lgkmcnt(3)
	v_mul_f32_e32 v152, v128, v4
	s_waitcnt vmcnt(48)
	v_mul_f32_e32 v153, v130, v5
	s_waitcnt vmcnt(47) lgkmcnt(2)
	v_mul_f32_e32 v154, v132, v6
	s_waitcnt vmcnt(46)
	v_mul_f32_e32 v155, v134, v7
	s_waitcnt vmcnt(45)
	v_fmac_f32_e32 v146, v117, v8
	s_waitcnt vmcnt(44)
	v_fmac_f32_e32 v145, v115, v9
	;; [unrolled: 2-line block ×3, first 2 shown]
	v_add_f32_e32 v144, 0, v144
	v_add_f32_e32 v144, v144, v145
	;; [unrolled: 1-line block ×3, first 2 shown]
	s_waitcnt vmcnt(39)
	v_fmac_f32_e32 v147, v119, v14
	v_fmac_f32_e32 v148, v121, v13
	v_add_f32_e32 v144, v144, v147
	v_fmac_f32_e32 v149, v123, v12
	v_add_f32_e32 v144, v144, v148
	;; [unrolled: 2-line block ×3, first 2 shown]
	s_waitcnt vmcnt(35)
	v_fmac_f32_e32 v151, v127, v18
	v_add_f32_e32 v144, v144, v150
	v_fmac_f32_e32 v152, v129, v17
	v_add_f32_e32 v144, v144, v151
	;; [unrolled: 2-line block ×4, first 2 shown]
	s_waitcnt vmcnt(31)
	v_fmac_f32_e32 v155, v135, v22
	v_add_f32_e32 v144, v144, v154
	s_waitcnt vmcnt(30) lgkmcnt(1)
	v_mul_f32_e32 v145, v136, v23
	v_add_f32_e32 v144, v144, v155
	v_fmac_f32_e32 v145, v137, v21
	v_add_f32_e32 v144, v144, v145
	s_waitcnt vmcnt(29)
	v_mul_f32_e32 v145, v138, v24
	v_fmac_f32_e32 v145, v139, v20
	v_add_f32_e32 v144, v144, v145
	s_waitcnt vmcnt(28) lgkmcnt(0)
	v_mul_f32_e32 v145, v140, v25
	v_fmac_f32_e32 v145, v141, v19
	v_add_f32_e32 v148, v144, v145
	ds_read_b128 v[144:147], v102 offset:560
	buffer_load_dword v221, off, s[0:3], 0 offset:256
	buffer_load_dword v222, off, s[0:3], 0 offset:260
	;; [unrolled: 1-line block ×6, first 2 shown]
	s_waitcnt vmcnt(33)
	v_mul_f32_e32 v149, v142, v26
	s_waitcnt vmcnt(30)
	v_fmac_f32_e32 v149, v143, v27
	v_add_f32_e32 v152, v148, v149
	ds_read_b128 v[148:151], v102 offset:576
	buffer_load_dword v227, off, s[0:3], 0 offset:280
	buffer_load_dword v228, off, s[0:3], 0 offset:284
	;; [unrolled: 1-line block ×10, first 2 shown]
	s_waitcnt vmcnt(39) lgkmcnt(1)
	v_mul_f32_e32 v153, v144, v28
	buffer_load_dword v237, off, s[0:3], 0 offset:320
	buffer_load_dword v238, off, s[0:3], 0 offset:324
	;; [unrolled: 1-line block ×6, first 2 shown]
	s_waitcnt vmcnt(40)
	v_fmac_f32_e32 v153, v145, v33
	v_add_f32_e32 v152, v152, v153
	v_mul_f32_e32 v153, v146, v30
	v_fmac_f32_e32 v153, v147, v29
	v_add_f32_e32 v152, v152, v153
	s_waitcnt lgkmcnt(0)
	v_mul_f32_e32 v153, v148, v32
	v_fmac_f32_e32 v153, v149, v31
	v_add_f32_e32 v156, v152, v153
	ds_read_b128 v[152:155], v102 offset:592
	buffer_load_dword v243, off, s[0:3], 0 offset:344
	buffer_load_dword v244, off, s[0:3], 0 offset:348
	s_waitcnt vmcnt(40)
	v_mul_f32_e32 v157, v150, v204
	v_fmac_f32_e32 v157, v151, v34
	v_add_f32_e32 v160, v156, v157
	ds_read_b128 v[156:159], v102 offset:608
	buffer_load_dword v245, off, s[0:3], 0 offset:352
	buffer_load_dword v246, off, s[0:3], 0 offset:356
	;; [unrolled: 1-line block ×12, first 2 shown]
	s_waitcnt vmcnt(50) lgkmcnt(1)
	v_mul_f32_e32 v161, v152, v206
	v_fmac_f32_e32 v161, v153, v205
	v_add_f32_e32 v160, v160, v161
	s_waitcnt vmcnt(48)
	v_mul_f32_e32 v161, v154, v208
	v_fmac_f32_e32 v161, v155, v207
	v_add_f32_e32 v36, v160, v161
	s_waitcnt vmcnt(46) lgkmcnt(0)
	v_mul_f32_e32 v160, v156, v210
	v_fmac_f32_e32 v160, v157, v209
	v_add_f32_e32 v36, v36, v160
	ds_read_b128 v[160:163], v102 offset:624
	s_waitcnt vmcnt(44)
	v_mul_f32_e32 v164, v158, v212
	v_fmac_f32_e32 v164, v159, v211
	v_add_f32_e32 v36, v36, v164
	ds_read_b128 v[164:167], v102 offset:640
	s_waitcnt vmcnt(42) lgkmcnt(1)
	v_mul_f32_e32 v168, v160, v214
	v_fmac_f32_e32 v168, v161, v213
	v_add_f32_e32 v36, v36, v168
	s_waitcnt vmcnt(41)
	v_mul_f32_e32 v168, v162, v215
	s_waitcnt vmcnt(38)
	v_fmac_f32_e32 v168, v163, v218
	v_add_f32_e32 v36, v36, v168
	s_waitcnt lgkmcnt(0)
	v_mul_f32_e32 v168, v164, v217
	v_fmac_f32_e32 v168, v165, v216
	v_add_f32_e32 v36, v36, v168
	ds_read_b128 v[168:171], v102 offset:656
	s_waitcnt vmcnt(36)
	v_mul_f32_e32 v172, v166, v220
	v_fmac_f32_e32 v172, v167, v219
	v_add_f32_e32 v36, v36, v172
	ds_read_b128 v[172:175], v102 offset:672
	v_mul_f32_e32 v3, v127, v3
	v_fma_f32 v3, v126, v18, -v3
	v_mul_f32_e32 v4, v129, v4
	v_fma_f32 v4, v128, v17, -v4
	s_waitcnt vmcnt(34) lgkmcnt(1)
	v_mul_f32_e32 v176, v168, v222
	v_fmac_f32_e32 v176, v169, v221
	v_add_f32_e32 v36, v36, v176
	s_waitcnt vmcnt(33)
	v_mul_f32_e32 v176, v170, v223
	s_waitcnt vmcnt(30)
	v_fmac_f32_e32 v176, v171, v226
	v_add_f32_e32 v36, v36, v176
	s_waitcnt lgkmcnt(0)
	v_mul_f32_e32 v176, v172, v225
	v_fmac_f32_e32 v176, v173, v224
	v_add_f32_e32 v36, v36, v176
	ds_read_b128 v[176:179], v102 offset:688
	s_waitcnt vmcnt(28)
	v_mul_f32_e32 v180, v174, v228
	v_fmac_f32_e32 v180, v175, v227
	v_add_f32_e32 v36, v36, v180
	ds_read_b128 v[180:183], v102 offset:704
	s_waitcnt vmcnt(26) lgkmcnt(1)
	v_mul_f32_e32 v184, v176, v230
	v_fmac_f32_e32 v184, v177, v229
	v_add_f32_e32 v36, v36, v184
	s_waitcnt vmcnt(25)
	v_mul_f32_e32 v184, v178, v231
	s_waitcnt vmcnt(22)
	v_fmac_f32_e32 v184, v179, v234
	v_add_f32_e32 v36, v36, v184
	s_waitcnt lgkmcnt(0)
	v_mul_f32_e32 v184, v180, v233
	v_fmac_f32_e32 v184, v181, v232
	v_add_f32_e32 v36, v36, v184
	ds_read_b128 v[184:187], v102 offset:720
	s_waitcnt vmcnt(20)
	v_mul_f32_e32 v188, v182, v236
	v_fmac_f32_e32 v188, v183, v235
	v_add_f32_e32 v36, v36, v188
	ds_read_b128 v[188:191], v102 offset:736
	;; [unrolled: 19-line block ×3, first 2 shown]
	s_waitcnt vmcnt(10) lgkmcnt(1)
	v_mul_f32_e32 v200, v192, v246
	v_fmac_f32_e32 v200, v193, v245
	v_add_f32_e32 v36, v36, v200
	s_waitcnt vmcnt(9)
	v_mul_f32_e32 v200, v194, v247
	s_waitcnt vmcnt(6)
	v_fmac_f32_e32 v200, v195, v250
	v_add_f32_e32 v36, v36, v200
	ds_read_b128 v[200:203], v102 offset:784
	s_waitcnt lgkmcnt(1)
	v_mul_f32_e32 v37, v196, v249
	v_fmac_f32_e32 v37, v197, v248
	v_add_f32_e32 v36, v36, v37
	s_waitcnt vmcnt(4)
	v_mul_f32_e32 v37, v198, v252
	v_fmac_f32_e32 v37, v199, v251
	v_add_f32_e32 v36, v36, v37
	s_waitcnt vmcnt(3) lgkmcnt(0)
	v_mul_f32_e32 v37, v200, v253
	s_waitcnt vmcnt(0)
	v_fmac_f32_e32 v37, v201, v35
	v_add_f32_e32 v36, v36, v37
	v_mul_f32_e32 v37, v202, v255
	v_fmac_f32_e32 v37, v203, v254
	v_add_f32_e32 v36, v36, v37
	v_mul_f32_e32 v37, v113, v111
	v_fma_f32 v10, v112, v10, -v37
	v_mul_f32_e32 v37, v115, v110
	v_add_f32_e32 v10, 0, v10
	v_fma_f32 v9, v114, v9, -v37
	v_add_f32_e32 v9, v10, v9
	v_mul_f32_e32 v10, v117, v109
	v_fma_f32 v8, v116, v8, -v10
	v_add_f32_e32 v8, v9, v8
	v_mul_f32_e32 v9, v119, v108
	;; [unrolled: 3-line block ×5, first 2 shown]
	v_fma_f32 v9, v124, v11, -v9
	v_add_f32_e32 v8, v8, v9
	v_add_f32_e32 v3, v8, v3
	;; [unrolled: 1-line block ×3, first 2 shown]
	v_mul_f32_e32 v4, v131, v5
	v_fma_f32 v4, v130, v16, -v4
	v_add_f32_e32 v3, v3, v4
	v_mul_f32_e32 v4, v133, v6
	v_fma_f32 v4, v132, v15, -v4
	v_add_f32_e32 v3, v3, v4
	v_mul_f32_e32 v4, v135, v7
	v_fma_f32 v4, v134, v22, -v4
	v_add_f32_e32 v3, v3, v4
	v_mul_f32_e32 v4, v137, v23
	v_fma_f32 v4, v136, v21, -v4
	v_add_f32_e32 v3, v3, v4
	v_mul_f32_e32 v4, v139, v24
	v_fma_f32 v4, v138, v20, -v4
	v_add_f32_e32 v3, v3, v4
	v_mul_f32_e32 v4, v141, v25
	v_fma_f32 v4, v140, v19, -v4
	v_add_f32_e32 v3, v3, v4
	v_mul_f32_e32 v4, v143, v26
	v_fma_f32 v4, v142, v27, -v4
	v_add_f32_e32 v3, v3, v4
	v_mul_f32_e32 v4, v145, v28
	v_fma_f32 v4, v144, v33, -v4
	v_add_f32_e32 v3, v3, v4
	v_mul_f32_e32 v4, v147, v30
	v_fma_f32 v4, v146, v29, -v4
	v_add_f32_e32 v3, v3, v4
	v_mul_f32_e32 v4, v149, v32
	v_fma_f32 v4, v148, v31, -v4
	v_add_f32_e32 v3, v3, v4
	v_mul_f32_e32 v4, v151, v204
	v_fma_f32 v4, v150, v34, -v4
	v_add_f32_e32 v3, v3, v4
	v_mul_f32_e32 v4, v153, v206
	v_fma_f32 v4, v152, v205, -v4
	v_add_f32_e32 v3, v3, v4
	v_mul_f32_e32 v4, v155, v208
	v_fma_f32 v4, v154, v207, -v4
	v_add_f32_e32 v3, v3, v4
	v_mul_f32_e32 v4, v157, v210
	v_fma_f32 v4, v156, v209, -v4
	v_add_f32_e32 v3, v3, v4
	v_mul_f32_e32 v4, v159, v212
	v_fma_f32 v4, v158, v211, -v4
	v_add_f32_e32 v3, v3, v4
	v_mul_f32_e32 v4, v161, v214
	v_fma_f32 v4, v160, v213, -v4
	v_add_f32_e32 v3, v3, v4
	v_mul_f32_e32 v4, v163, v215
	v_fma_f32 v4, v162, v218, -v4
	v_add_f32_e32 v3, v3, v4
	v_mul_f32_e32 v4, v165, v217
	v_fma_f32 v4, v164, v216, -v4
	v_add_f32_e32 v3, v3, v4
	v_mul_f32_e32 v4, v167, v220
	v_fma_f32 v4, v166, v219, -v4
	v_add_f32_e32 v3, v3, v4
	v_mul_f32_e32 v4, v169, v222
	v_fma_f32 v4, v168, v221, -v4
	v_add_f32_e32 v3, v3, v4
	v_mul_f32_e32 v4, v171, v223
	v_fma_f32 v4, v170, v226, -v4
	v_add_f32_e32 v3, v3, v4
	v_mul_f32_e32 v4, v173, v225
	v_fma_f32 v4, v172, v224, -v4
	v_add_f32_e32 v3, v3, v4
	v_mul_f32_e32 v4, v175, v228
	v_fma_f32 v4, v174, v227, -v4
	v_add_f32_e32 v3, v3, v4
	v_mul_f32_e32 v4, v177, v230
	v_fma_f32 v4, v176, v229, -v4
	v_add_f32_e32 v3, v3, v4
	v_mul_f32_e32 v4, v179, v231
	v_fma_f32 v4, v178, v234, -v4
	v_add_f32_e32 v3, v3, v4
	v_mul_f32_e32 v4, v181, v233
	v_fma_f32 v4, v180, v232, -v4
	v_add_f32_e32 v3, v3, v4
	v_mul_f32_e32 v4, v183, v236
	v_fma_f32 v4, v182, v235, -v4
	v_add_f32_e32 v3, v3, v4
	v_mul_f32_e32 v4, v185, v238
	v_fma_f32 v4, v184, v237, -v4
	v_add_f32_e32 v3, v3, v4
	v_mul_f32_e32 v4, v187, v239
	v_fma_f32 v4, v186, v242, -v4
	v_add_f32_e32 v3, v3, v4
	v_mul_f32_e32 v4, v189, v241
	v_fma_f32 v4, v188, v240, -v4
	v_add_f32_e32 v3, v3, v4
	v_mul_f32_e32 v4, v191, v244
	v_fma_f32 v4, v190, v243, -v4
	v_add_f32_e32 v3, v3, v4
	v_mul_f32_e32 v4, v193, v246
	v_fma_f32 v4, v192, v245, -v4
	v_add_f32_e32 v3, v3, v4
	v_mul_f32_e32 v4, v195, v247
	v_fma_f32 v4, v194, v250, -v4
	v_add_f32_e32 v3, v3, v4
	v_mul_f32_e32 v4, v197, v249
	v_fma_f32 v4, v196, v248, -v4
	v_add_f32_e32 v3, v3, v4
	v_mul_f32_e32 v4, v199, v252
	v_fma_f32 v4, v198, v251, -v4
	v_add_f32_e32 v3, v3, v4
	v_mul_f32_e32 v4, v201, v253
	v_fma_f32 v4, v200, v35, -v4
	v_add_f32_e32 v3, v3, v4
	v_mul_f32_e32 v4, v203, v255
	v_fma_f32 v4, v202, v254, -v4
	v_add_f32_e32 v3, v3, v4
	v_sub_f32_e32 v3, v103, v3
	v_sub_f32_e32 v4, v104, v36
	buffer_store_dword v3, off, s[0:3], 0 offset:24
	buffer_store_dword v4, off, s[0:3], 0 offset:28
	s_and_saveexec_b64 s[4:5], vcc
	s_cbranch_execz .LBB113_309
; %bb.308:
	buffer_load_dword v102, off, s[0:3], 0 offset:16
	buffer_load_dword v103, off, s[0:3], 0 offset:20
	v_mov_b32_e32 v3, 0
	buffer_store_dword v3, off, s[0:3], 0 offset:16
	buffer_store_dword v3, off, s[0:3], 0 offset:20
	s_waitcnt vmcnt(2)
	ds_write_b64 v101, v[102:103]
.LBB113_309:
	s_or_b64 exec, exec, s[4:5]
	s_waitcnt lgkmcnt(0)
	; wave barrier
	buffer_load_dword v109, off, s[0:3], 0 offset:28
	buffer_load_dword v108, off, s[0:3], 0 offset:36
	;; [unrolled: 1-line block ×48, first 2 shown]
	v_mov_b32_e32 v102, 0
	ds_read2_b64 v[112:115], v102 offset0:53 offset1:54
	ds_read2_b64 v[116:119], v102 offset0:55 offset1:56
	;; [unrolled: 1-line block ×7, first 2 shown]
	v_cmp_lt_u32_e32 vcc, 1, v0
	s_waitcnt vmcnt(47) lgkmcnt(6)
	v_mul_f32_e32 v140, v112, v109
	s_waitcnt vmcnt(46)
	v_mul_f32_e32 v141, v114, v108
	s_waitcnt vmcnt(45) lgkmcnt(5)
	v_mul_f32_e32 v142, v116, v107
	s_waitcnt vmcnt(44)
	v_mul_f32_e32 v143, v118, v106
	;; [unrolled: 4-line block ×6, first 2 shown]
	s_waitcnt vmcnt(35)
	v_fmac_f32_e32 v142, v117, v8
	s_waitcnt vmcnt(34)
	v_fmac_f32_e32 v141, v115, v9
	s_waitcnt vmcnt(33)
	v_fmac_f32_e32 v140, v113, v10
	v_add_f32_e32 v140, 0, v140
	v_add_f32_e32 v140, v140, v141
	;; [unrolled: 1-line block ×3, first 2 shown]
	s_waitcnt vmcnt(29)
	v_fmac_f32_e32 v143, v119, v14
	v_fmac_f32_e32 v144, v121, v13
	v_add_f32_e32 v140, v140, v143
	v_fmac_f32_e32 v145, v123, v12
	v_add_f32_e32 v140, v140, v144
	;; [unrolled: 2-line block ×3, first 2 shown]
	s_waitcnt vmcnt(25)
	v_fmac_f32_e32 v147, v127, v18
	v_add_f32_e32 v140, v140, v146
	v_fmac_f32_e32 v148, v129, v17
	v_add_f32_e32 v140, v140, v147
	;; [unrolled: 2-line block ×4, first 2 shown]
	s_waitcnt vmcnt(21)
	v_fmac_f32_e32 v151, v135, v22
	v_add_f32_e32 v140, v140, v150
	v_add_f32_e32 v144, v140, v151
	ds_read2_b64 v[140:143], v102 offset0:67 offset1:68
	buffer_load_dword v209, off, s[0:3], 0 offset:208
	buffer_load_dword v210, off, s[0:3], 0 offset:212
	;; [unrolled: 1-line block ×8, first 2 shown]
	s_waitcnt vmcnt(28) lgkmcnt(1)
	v_mul_f32_e32 v145, v136, v23
	buffer_load_dword v217, off, s[0:3], 0 offset:240
	buffer_load_dword v218, off, s[0:3], 0 offset:244
	v_fmac_f32_e32 v145, v137, v21
	v_add_f32_e32 v144, v144, v145
	s_waitcnt vmcnt(29)
	v_mul_f32_e32 v145, v138, v24
	v_fmac_f32_e32 v145, v139, v20
	v_add_f32_e32 v144, v144, v145
	s_waitcnt vmcnt(28) lgkmcnt(0)
	v_mul_f32_e32 v145, v140, v25
	v_fmac_f32_e32 v145, v141, v19
	v_add_f32_e32 v148, v144, v145
	ds_read2_b64 v[144:147], v102 offset0:69 offset1:70
	buffer_load_dword v219, off, s[0:3], 0 offset:248
	buffer_load_dword v220, off, s[0:3], 0 offset:252
	;; [unrolled: 1-line block ×6, first 2 shown]
	s_waitcnt vmcnt(33)
	v_mul_f32_e32 v149, v142, v26
	s_waitcnt vmcnt(26)
	v_fmac_f32_e32 v149, v143, v33
	v_add_f32_e32 v152, v148, v149
	ds_read2_b64 v[148:151], v102 offset0:71 offset1:72
	buffer_load_dword v225, off, s[0:3], 0 offset:272
	buffer_load_dword v226, off, s[0:3], 0 offset:276
	buffer_load_dword v227, off, s[0:3], 0 offset:280
	buffer_load_dword v228, off, s[0:3], 0 offset:284
	buffer_load_dword v229, off, s[0:3], 0 offset:292
	buffer_load_dword v230, off, s[0:3], 0 offset:296
	buffer_load_dword v231, off, s[0:3], 0 offset:300
	buffer_load_dword v232, off, s[0:3], 0 offset:288
	s_waitcnt lgkmcnt(1)
	v_mul_f32_e32 v153, v144, v28
	buffer_load_dword v233, off, s[0:3], 0 offset:304
	buffer_load_dword v234, off, s[0:3], 0 offset:308
	v_fmac_f32_e32 v153, v145, v27
	v_add_f32_e32 v152, v152, v153
	v_mul_f32_e32 v153, v146, v30
	v_fmac_f32_e32 v153, v147, v29
	v_add_f32_e32 v152, v152, v153
	s_waitcnt lgkmcnt(0)
	v_mul_f32_e32 v153, v148, v32
	v_fmac_f32_e32 v153, v149, v31
	v_add_f32_e32 v156, v152, v153
	ds_read2_b64 v[152:155], v102 offset0:73 offset1:74
	buffer_load_dword v235, off, s[0:3], 0 offset:312
	buffer_load_dword v236, off, s[0:3], 0 offset:316
	;; [unrolled: 1-line block ×6, first 2 shown]
	s_waitcnt vmcnt(38)
	v_mul_f32_e32 v157, v150, v35
	v_fmac_f32_e32 v157, v151, v34
	v_add_f32_e32 v160, v156, v157
	ds_read2_b64 v[156:159], v102 offset0:75 offset1:76
	buffer_load_dword v241, off, s[0:3], 0 offset:336
	buffer_load_dword v242, off, s[0:3], 0 offset:340
	;; [unrolled: 1-line block ×16, first 2 shown]
	s_waitcnt vmcnt(52) lgkmcnt(1)
	v_mul_f32_e32 v161, v152, v37
	v_fmac_f32_e32 v161, v153, v36
	v_add_f32_e32 v160, v160, v161
	s_waitcnt vmcnt(50)
	v_mul_f32_e32 v161, v154, v206
	v_fmac_f32_e32 v161, v155, v38
	v_add_f32_e32 v160, v160, v161
	s_waitcnt vmcnt(48) lgkmcnt(0)
	v_mul_f32_e32 v161, v156, v208
	v_fmac_f32_e32 v161, v157, v207
	v_add_f32_e32 v164, v160, v161
	ds_read2_b64 v[160:163], v102 offset0:77 offset1:78
	v_mul_f32_e32 v3, v127, v3
	v_fma_f32 v3, v126, v18, -v3
	v_mul_f32_e32 v4, v129, v4
	v_fma_f32 v4, v128, v17, -v4
	s_waitcnt vmcnt(46)
	v_mul_f32_e32 v40, v158, v210
	v_fmac_f32_e32 v40, v159, v209
	v_add_f32_e32 v40, v164, v40
	ds_read2_b64 v[164:167], v102 offset0:79 offset1:80
	s_waitcnt vmcnt(44) lgkmcnt(1)
	v_mul_f32_e32 v168, v160, v212
	v_fmac_f32_e32 v168, v161, v211
	v_add_f32_e32 v40, v40, v168
	s_waitcnt vmcnt(43)
	v_mul_f32_e32 v168, v162, v213
	s_waitcnt vmcnt(40)
	v_fmac_f32_e32 v168, v163, v216
	v_add_f32_e32 v40, v40, v168
	s_waitcnt lgkmcnt(0)
	v_mul_f32_e32 v168, v164, v215
	v_fmac_f32_e32 v168, v165, v214
	v_add_f32_e32 v40, v40, v168
	ds_read2_b64 v[168:171], v102 offset0:81 offset1:82
	s_waitcnt vmcnt(38)
	v_mul_f32_e32 v172, v166, v218
	v_fmac_f32_e32 v172, v167, v217
	v_add_f32_e32 v40, v40, v172
	ds_read2_b64 v[172:175], v102 offset0:83 offset1:84
	s_waitcnt vmcnt(36) lgkmcnt(1)
	v_mul_f32_e32 v176, v168, v220
	v_fmac_f32_e32 v176, v169, v219
	v_add_f32_e32 v40, v40, v176
	s_waitcnt vmcnt(35)
	v_mul_f32_e32 v176, v170, v221
	s_waitcnt vmcnt(32)
	v_fmac_f32_e32 v176, v171, v224
	v_add_f32_e32 v40, v40, v176
	s_waitcnt lgkmcnt(0)
	v_mul_f32_e32 v176, v172, v223
	v_fmac_f32_e32 v176, v173, v222
	v_add_f32_e32 v40, v40, v176
	ds_read2_b64 v[176:179], v102 offset0:85 offset1:86
	s_waitcnt vmcnt(30)
	v_mul_f32_e32 v180, v174, v226
	v_fmac_f32_e32 v180, v175, v225
	v_add_f32_e32 v40, v40, v180
	ds_read2_b64 v[180:183], v102 offset0:87 offset1:88
	s_waitcnt vmcnt(28) lgkmcnt(1)
	v_mul_f32_e32 v184, v176, v228
	v_fmac_f32_e32 v184, v177, v227
	v_add_f32_e32 v40, v40, v184
	s_waitcnt vmcnt(27)
	v_mul_f32_e32 v184, v178, v229
	s_waitcnt vmcnt(24)
	v_fmac_f32_e32 v184, v179, v232
	v_add_f32_e32 v40, v40, v184
	s_waitcnt lgkmcnt(0)
	v_mul_f32_e32 v184, v180, v231
	v_fmac_f32_e32 v184, v181, v230
	v_add_f32_e32 v40, v40, v184
	ds_read2_b64 v[184:187], v102 offset0:89 offset1:90
	s_waitcnt vmcnt(22)
	v_mul_f32_e32 v188, v182, v234
	v_fmac_f32_e32 v188, v183, v233
	v_add_f32_e32 v40, v40, v188
	ds_read2_b64 v[188:191], v102 offset0:91 offset1:92
	s_waitcnt vmcnt(20) lgkmcnt(1)
	v_mul_f32_e32 v192, v184, v236
	v_fmac_f32_e32 v192, v185, v235
	v_add_f32_e32 v40, v40, v192
	s_waitcnt vmcnt(19)
	v_mul_f32_e32 v192, v186, v237
	s_waitcnt vmcnt(16)
	v_fmac_f32_e32 v192, v187, v240
	v_add_f32_e32 v40, v40, v192
	s_waitcnt lgkmcnt(0)
	v_mul_f32_e32 v192, v188, v239
	v_fmac_f32_e32 v192, v189, v238
	v_add_f32_e32 v40, v40, v192
	ds_read2_b64 v[192:195], v102 offset0:93 offset1:94
	s_waitcnt vmcnt(14)
	v_mul_f32_e32 v196, v190, v242
	v_fmac_f32_e32 v196, v191, v241
	v_add_f32_e32 v40, v40, v196
	ds_read2_b64 v[196:199], v102 offset0:95 offset1:96
	s_waitcnt vmcnt(12) lgkmcnt(1)
	v_mul_f32_e32 v200, v192, v244
	v_fmac_f32_e32 v200, v193, v243
	v_add_f32_e32 v40, v40, v200
	s_waitcnt vmcnt(11)
	v_mul_f32_e32 v200, v194, v245
	s_waitcnt vmcnt(8)
	v_fmac_f32_e32 v200, v195, v248
	v_add_f32_e32 v40, v40, v200
	s_waitcnt lgkmcnt(0)
	v_mul_f32_e32 v200, v196, v247
	v_fmac_f32_e32 v200, v197, v246
	v_add_f32_e32 v40, v40, v200
	ds_read2_b64 v[200:203], v102 offset0:97 offset1:98
	s_waitcnt vmcnt(6)
	v_mul_f32_e32 v204, v198, v250
	v_fmac_f32_e32 v204, v199, v249
	v_add_f32_e32 v40, v40, v204
	ds_read_b64 v[204:205], v102 offset:792
	s_waitcnt vmcnt(4) lgkmcnt(1)
	v_mul_f32_e32 v41, v200, v252
	v_fmac_f32_e32 v41, v201, v251
	v_add_f32_e32 v40, v40, v41
	s_waitcnt vmcnt(3)
	v_mul_f32_e32 v41, v202, v253
	s_waitcnt vmcnt(0)
	v_fmac_f32_e32 v41, v203, v39
	v_add_f32_e32 v40, v40, v41
	s_waitcnt lgkmcnt(0)
	v_mul_f32_e32 v41, v204, v255
	v_fmac_f32_e32 v41, v205, v254
	v_add_f32_e32 v40, v40, v41
	v_mul_f32_e32 v41, v113, v109
	v_fma_f32 v10, v112, v10, -v41
	v_mul_f32_e32 v41, v115, v108
	v_add_f32_e32 v10, 0, v10
	v_fma_f32 v9, v114, v9, -v41
	v_add_f32_e32 v9, v10, v9
	v_mul_f32_e32 v10, v117, v107
	v_fma_f32 v8, v116, v8, -v10
	v_add_f32_e32 v8, v9, v8
	v_mul_f32_e32 v9, v119, v106
	;; [unrolled: 3-line block ×5, first 2 shown]
	v_fma_f32 v9, v124, v11, -v9
	v_add_f32_e32 v8, v8, v9
	v_add_f32_e32 v3, v8, v3
	;; [unrolled: 1-line block ×3, first 2 shown]
	v_mul_f32_e32 v4, v131, v5
	v_fma_f32 v4, v130, v16, -v4
	v_add_f32_e32 v3, v3, v4
	v_mul_f32_e32 v4, v133, v6
	v_fma_f32 v4, v132, v15, -v4
	v_add_f32_e32 v3, v3, v4
	;; [unrolled: 3-line block ×38, first 2 shown]
	v_sub_f32_e32 v3, v110, v3
	v_sub_f32_e32 v4, v111, v40
	buffer_store_dword v3, off, s[0:3], 0 offset:16
	buffer_store_dword v4, off, s[0:3], 0 offset:20
	s_and_saveexec_b64 s[4:5], vcc
	s_cbranch_execz .LBB113_311
; %bb.310:
	buffer_load_dword v103, off, s[0:3], 0 offset:8
	buffer_load_dword v104, off, s[0:3], 0 offset:12
	s_waitcnt vmcnt(0)
	ds_write_b64 v101, v[103:104]
	buffer_store_dword v102, off, s[0:3], 0 offset:8
	buffer_store_dword v102, off, s[0:3], 0 offset:12
.LBB113_311:
	s_or_b64 exec, exec, s[4:5]
	s_waitcnt lgkmcnt(0)
	; wave barrier
	buffer_load_dword v109, off, s[0:3], 0 offset:20
	buffer_load_dword v108, off, s[0:3], 0 offset:28
	;; [unrolled: 1-line block ×40, first 2 shown]
	ds_read_b128 v[140:143], v102 offset:416
	ds_read_b128 v[144:147], v102 offset:432
	;; [unrolled: 1-line block ×7, first 2 shown]
	buffer_load_dword v6, off, s[0:3], 0 offset:168
	buffer_load_dword v7, off, s[0:3], 0 offset:172
	;; [unrolled: 1-line block ×8, first 2 shown]
	v_cmp_ne_u32_e32 vcc, 0, v0
	s_waitcnt vmcnt(47) lgkmcnt(6)
	v_mul_f32_e32 v14, v140, v109
	s_waitcnt vmcnt(46)
	v_mul_f32_e32 v15, v142, v108
	s_waitcnt vmcnt(45) lgkmcnt(5)
	v_mul_f32_e32 v16, v144, v107
	s_waitcnt vmcnt(44)
	v_mul_f32_e32 v17, v146, v106
	;; [unrolled: 4-line block ×6, first 2 shown]
	s_waitcnt vmcnt(35)
	v_fmac_f32_e32 v16, v145, v122
	s_waitcnt vmcnt(34)
	v_fmac_f32_e32 v15, v143, v125
	;; [unrolled: 2-line block ×3, first 2 shown]
	v_add_f32_e32 v14, 0, v14
	v_add_f32_e32 v14, v14, v15
	;; [unrolled: 1-line block ×3, first 2 shown]
	buffer_load_dword v15, off, s[0:3], 0 offset:200
	buffer_load_dword v16, off, s[0:3], 0 offset:204
	s_waitcnt vmcnt(31)
	v_fmac_f32_e32 v17, v147, v127
	v_fmac_f32_e32 v18, v149, v124
	v_add_f32_e32 v14, v14, v17
	v_fmac_f32_e32 v19, v151, v121
	v_add_f32_e32 v14, v14, v18
	;; [unrolled: 2-line block ×3, first 2 shown]
	s_waitcnt vmcnt(27)
	v_fmac_f32_e32 v21, v155, v123
	v_add_f32_e32 v14, v14, v20
	v_fmac_f32_e32 v22, v157, v120
	v_add_f32_e32 v14, v14, v21
	;; [unrolled: 2-line block ×4, first 2 shown]
	ds_read_b128 v[168:171], v102 offset:528
	s_waitcnt vmcnt(23)
	v_fmac_f32_e32 v25, v163, v135
	v_add_f32_e32 v14, v14, v24
	s_waitcnt vmcnt(22) lgkmcnt(1)
	v_mul_f32_e32 v17, v164, v134
	v_add_f32_e32 v14, v14, v25
	v_fmac_f32_e32 v17, v165, v131
	v_add_f32_e32 v14, v14, v17
	s_waitcnt vmcnt(21)
	v_mul_f32_e32 v17, v166, v132
	v_fmac_f32_e32 v17, v167, v129
	v_add_f32_e32 v14, v14, v17
	s_waitcnt vmcnt(20) lgkmcnt(0)
	v_mul_f32_e32 v17, v168, v130
	v_fmac_f32_e32 v17, v169, v126
	v_add_f32_e32 v14, v14, v17
	buffer_load_dword v17, off, s[0:3], 0 offset:208
	buffer_load_dword v18, off, s[0:3], 0 offset:212
	;; [unrolled: 1-line block ×6, first 2 shown]
	s_waitcnt vmcnt(25)
	v_mul_f32_e32 v23, v170, v133
	s_waitcnt vmcnt(18)
	v_fmac_f32_e32 v23, v171, v5
	ds_read_b128 v[172:175], v102 offset:544
	v_add_f32_e32 v14, v14, v23
	buffer_load_dword v23, off, s[0:3], 0 offset:232
	buffer_load_dword v24, off, s[0:3], 0 offset:236
	ds_read_b128 v[176:179], v102 offset:560
	buffer_load_dword v26, off, s[0:3], 0 offset:240
	buffer_load_dword v27, off, s[0:3], 0 offset:244
	;; [unrolled: 1-line block ×14, first 2 shown]
	s_waitcnt lgkmcnt(1)
	v_mul_f32_e32 v25, v172, v137
	v_fmac_f32_e32 v25, v173, v136
	v_add_f32_e32 v14, v14, v25
	v_mul_f32_e32 v25, v174, v139
	buffer_load_dword v40, off, s[0:3], 0 offset:296
	buffer_load_dword v41, off, s[0:3], 0 offset:300
	v_fmac_f32_e32 v25, v175, v138
	v_add_f32_e32 v14, v14, v25
	s_waitcnt lgkmcnt(0)
	v_mul_f32_e32 v25, v176, v4
	v_fmac_f32_e32 v25, v177, v3
	v_add_f32_e32 v14, v14, v25
	s_waitcnt vmcnt(32)
	v_mul_f32_e32 v25, v178, v7
	v_fmac_f32_e32 v25, v179, v6
	ds_read_b128 v[180:183], v102 offset:576
	v_add_f32_e32 v14, v14, v25
	buffer_load_dword v25, off, s[0:3], 0 offset:304
	buffer_load_dword v42, off, s[0:3], 0 offset:308
	buffer_load_dword v236, off, s[0:3], 0 offset:316
	buffer_load_dword v237, off, s[0:3], 0 offset:320
	buffer_load_dword v238, off, s[0:3], 0 offset:324
	buffer_load_dword v239, off, s[0:3], 0 offset:312
	ds_read_b128 v[184:187], v102 offset:592
	buffer_load_dword v240, off, s[0:3], 0 offset:328
	buffer_load_dword v241, off, s[0:3], 0 offset:332
	;; [unrolled: 1-line block ×10, first 2 shown]
	s_waitcnt vmcnt(46) lgkmcnt(1)
	v_mul_f32_e32 v188, v180, v9
	v_fmac_f32_e32 v188, v181, v8
	v_add_f32_e32 v14, v14, v188
	s_waitcnt vmcnt(44)
	v_mul_f32_e32 v188, v182, v11
	v_fmac_f32_e32 v188, v183, v10
	v_add_f32_e32 v14, v14, v188
	s_waitcnt vmcnt(42) lgkmcnt(0)
	v_mul_f32_e32 v188, v184, v13
	buffer_load_dword v250, off, s[0:3], 0 offset:368
	buffer_load_dword v251, off, s[0:3], 0 offset:372
	;; [unrolled: 1-line block ×6, first 2 shown]
	v_fmac_f32_e32 v188, v185, v12
	v_add_f32_e32 v14, v14, v188
	ds_read_b128 v[188:191], v102 offset:608
	v_mul_f32_e32 v108, v143, v108
	v_fma_f32 v108, v142, v125, -v108
	v_mul_f32_e32 v107, v145, v107
	v_fma_f32 v107, v144, v122, -v107
	;; [unrolled: 2-line block ×5, first 2 shown]
	v_mul_f32_e32 v103, v153, v103
	s_waitcnt vmcnt(46)
	v_mul_f32_e32 v192, v186, v16
	v_fmac_f32_e32 v192, v187, v15
	v_add_f32_e32 v14, v14, v192
	ds_read_b128 v[192:195], v102 offset:624
	buffer_load_dword v43, off, s[0:3], 0 offset:392
	buffer_load_dword v44, off, s[0:3], 0 offset:396
	v_fma_f32 v103, v152, v119, -v103
	v_mul_f32_e32 v4, v177, v4
	v_fma_f32 v3, v176, v3, -v4
	v_mul_f32_e32 v4, v179, v7
	v_fma_f32 v4, v178, v6, -v4
	s_waitcnt vmcnt(46) lgkmcnt(1)
	v_mul_f32_e32 v196, v188, v18
	v_fmac_f32_e32 v196, v189, v17
	v_add_f32_e32 v14, v14, v196
	s_waitcnt vmcnt(45)
	v_mul_f32_e32 v196, v190, v19
	s_waitcnt vmcnt(42)
	v_fmac_f32_e32 v196, v191, v22
	v_add_f32_e32 v14, v14, v196
	s_waitcnt lgkmcnt(0)
	v_mul_f32_e32 v196, v192, v21
	v_fmac_f32_e32 v196, v193, v20
	v_add_f32_e32 v14, v14, v196
	ds_read_b128 v[196:199], v102 offset:640
	s_waitcnt vmcnt(40)
	v_mul_f32_e32 v200, v194, v24
	v_fmac_f32_e32 v200, v195, v23
	v_add_f32_e32 v14, v14, v200
	ds_read_b128 v[200:203], v102 offset:656
	s_waitcnt vmcnt(38) lgkmcnt(1)
	v_mul_f32_e32 v204, v196, v27
	v_fmac_f32_e32 v204, v197, v26
	v_add_f32_e32 v14, v14, v204
	s_waitcnt vmcnt(37)
	v_mul_f32_e32 v204, v198, v28
	s_waitcnt vmcnt(34)
	v_fmac_f32_e32 v204, v199, v31
	v_add_f32_e32 v14, v14, v204
	s_waitcnt lgkmcnt(0)
	v_mul_f32_e32 v204, v200, v30
	v_fmac_f32_e32 v204, v201, v29
	v_add_f32_e32 v14, v14, v204
	ds_read_b128 v[204:207], v102 offset:672
	s_waitcnt vmcnt(32)
	v_mul_f32_e32 v208, v202, v33
	v_fmac_f32_e32 v208, v203, v32
	v_add_f32_e32 v14, v14, v208
	ds_read_b128 v[208:211], v102 offset:688
	;; [unrolled: 19-line block ×5, first 2 shown]
	s_waitcnt vmcnt(6) lgkmcnt(1)
	v_mul_f32_e32 v102, v228, v251
	v_fmac_f32_e32 v102, v229, v250
	v_add_f32_e32 v14, v14, v102
	s_waitcnt vmcnt(5)
	v_mul_f32_e32 v102, v230, v252
	s_waitcnt vmcnt(2)
	v_fmac_f32_e32 v102, v231, v255
	v_add_f32_e32 v14, v14, v102
	s_waitcnt lgkmcnt(0)
	v_mul_f32_e32 v102, v232, v254
	v_fmac_f32_e32 v102, v233, v253
	v_add_f32_e32 v14, v14, v102
	s_waitcnt vmcnt(0)
	v_mul_f32_e32 v102, v234, v44
	v_fmac_f32_e32 v102, v235, v43
	v_add_f32_e32 v14, v14, v102
	v_mul_f32_e32 v102, v141, v109
	v_fma_f32 v102, v140, v128, -v102
	v_add_f32_e32 v102, 0, v102
	v_add_f32_e32 v102, v102, v108
	;; [unrolled: 1-line block ×7, first 2 shown]
	v_mul_f32_e32 v103, v155, v112
	v_fma_f32 v103, v154, v123, -v103
	v_add_f32_e32 v102, v102, v103
	v_mul_f32_e32 v103, v157, v113
	v_fma_f32 v103, v156, v120, -v103
	v_add_f32_e32 v102, v102, v103
	;; [unrolled: 3-line block ×11, first 2 shown]
	v_add_f32_e32 v3, v5, v3
	v_add_f32_e32 v3, v3, v4
	v_mul_f32_e32 v4, v181, v9
	v_fma_f32 v4, v180, v8, -v4
	v_add_f32_e32 v3, v3, v4
	v_mul_f32_e32 v4, v183, v11
	v_fma_f32 v4, v182, v10, -v4
	;; [unrolled: 3-line block ×28, first 2 shown]
	v_add_f32_e32 v3, v3, v4
	v_sub_f32_e32 v3, v110, v3
	v_sub_f32_e32 v4, v111, v14
	buffer_store_dword v3, off, s[0:3], 0 offset:8
	buffer_store_dword v4, off, s[0:3], 0 offset:12
	s_and_saveexec_b64 s[4:5], vcc
	s_cbranch_execz .LBB113_313
; %bb.312:
	buffer_load_dword v102, off, s[0:3], 0
	buffer_load_dword v103, off, s[0:3], 0 offset:4
	v_mov_b32_e32 v0, 0
	buffer_store_dword v0, off, s[0:3], 0
	buffer_store_dword v0, off, s[0:3], 0 offset:4
	s_waitcnt vmcnt(2)
	ds_write_b64 v101, v[102:103]
.LBB113_313:
	s_or_b64 exec, exec, s[4:5]
	s_waitcnt lgkmcnt(0)
	; wave barrier
	buffer_load_dword v106, off, s[0:3], 0 offset:12
	buffer_load_dword v105, off, s[0:3], 0 offset:20
	;; [unrolled: 1-line block ×38, first 2 shown]
	buffer_load_dword v108, off, s[0:3], 0
	buffer_load_dword v109, off, s[0:3], 0 offset:4
	buffer_load_dword v30, off, s[0:3], 0 offset:160
	;; [unrolled: 1-line block ×11, first 2 shown]
	v_mov_b32_e32 v107, 0
	ds_read2_b64 v[114:117], v107 offset0:51 offset1:52
	ds_read2_b64 v[118:121], v107 offset0:53 offset1:54
	;; [unrolled: 1-line block ×7, first 2 shown]
	s_and_b64 vcc, exec, s[14:15]
	s_waitcnt vmcnt(49) lgkmcnt(6)
	v_mul_f32_e32 v40, v114, v106
	s_waitcnt vmcnt(48)
	v_mul_f32_e32 v41, v116, v105
	s_waitcnt vmcnt(47) lgkmcnt(5)
	v_mul_f32_e32 v42, v118, v104
	s_waitcnt vmcnt(46)
	v_mul_f32_e32 v43, v120, v103
	;; [unrolled: 4-line block ×5, first 2 shown]
	s_waitcnt vmcnt(39) lgkmcnt(1)
	v_mul_f32_e32 v147, v134, v113
	s_waitcnt vmcnt(38)
	v_fmac_f32_e32 v42, v119, v3
	s_waitcnt vmcnt(37)
	v_fmac_f32_e32 v41, v117, v4
	;; [unrolled: 2-line block ×3, first 2 shown]
	v_add_f32_e32 v40, 0, v40
	v_add_f32_e32 v40, v40, v41
	;; [unrolled: 1-line block ×3, first 2 shown]
	s_waitcnt vmcnt(32)
	v_fmac_f32_e32 v43, v121, v9
	v_fmac_f32_e32 v44, v123, v8
	v_add_f32_e32 v40, v40, v43
	v_fmac_f32_e32 v142, v125, v7
	v_add_f32_e32 v40, v40, v44
	;; [unrolled: 2-line block ×3, first 2 shown]
	s_waitcnt vmcnt(28)
	v_fmac_f32_e32 v144, v129, v13
	v_add_f32_e32 v40, v40, v143
	v_fmac_f32_e32 v145, v131, v12
	v_add_f32_e32 v40, v40, v144
	v_fmac_f32_e32 v146, v133, v11
	v_add_f32_e32 v40, v40, v145
	v_fmac_f32_e32 v147, v135, v10
	v_add_f32_e32 v40, v40, v146
	s_waitcnt vmcnt(27)
	v_mul_f32_e32 v41, v136, v14
	v_add_f32_e32 v40, v40, v147
	s_waitcnt vmcnt(23)
	v_fmac_f32_e32 v41, v137, v18
	v_add_f32_e32 v40, v40, v41
	s_waitcnt vmcnt(22) lgkmcnt(0)
	v_mul_f32_e32 v41, v138, v19
	v_fmac_f32_e32 v41, v139, v17
	ds_read2_b64 v[142:145], v107 offset0:65 offset1:66
	v_add_f32_e32 v40, v40, v41
	buffer_load_dword v41, off, s[0:3], 0 offset:200
	buffer_load_dword v42, off, s[0:3], 0 offset:204
	ds_read2_b64 v[146:149], v107 offset0:67 offset1:68
	buffer_load_dword v44, off, s[0:3], 0 offset:212
	buffer_load_dword v212, off, s[0:3], 0 offset:216
	;; [unrolled: 1-line block ×4, first 2 shown]
	s_waitcnt vmcnt(27)
	v_mul_f32_e32 v43, v140, v20
	v_fmac_f32_e32 v43, v141, v16
	v_add_f32_e32 v40, v40, v43
	s_waitcnt vmcnt(26) lgkmcnt(1)
	v_mul_f32_e32 v43, v142, v21
	ds_read2_b64 v[150:153], v107 offset0:69 offset1:70
	buffer_load_dword v215, off, s[0:3], 0 offset:224
	buffer_load_dword v216, off, s[0:3], 0 offset:228
	v_fmac_f32_e32 v43, v143, v15
	v_add_f32_e32 v40, v40, v43
	s_waitcnt vmcnt(27)
	v_mul_f32_e32 v43, v144, v22
	s_waitcnt vmcnt(21)
	v_fmac_f32_e32 v43, v145, v28
	v_add_f32_e32 v40, v40, v43
	s_waitcnt vmcnt(20) lgkmcnt(1)
	v_mul_f32_e32 v43, v146, v29
	v_fmac_f32_e32 v43, v147, v27
	v_add_f32_e32 v40, v40, v43
	buffer_load_dword v43, off, s[0:3], 0 offset:232
	buffer_load_dword v217, off, s[0:3], 0 offset:236
	;; [unrolled: 1-line block ×14, first 2 shown]
	v_mul_f32_e32 v154, v148, v24
	v_fmac_f32_e32 v154, v149, v23
	v_add_f32_e32 v40, v40, v154
	s_waitcnt lgkmcnt(0)
	v_mul_f32_e32 v154, v150, v26
	v_fmac_f32_e32 v154, v151, v25
	v_add_f32_e32 v40, v40, v154
	ds_read2_b64 v[154:157], v107 offset0:71 offset1:72
	buffer_load_dword v230, off, s[0:3], 0 offset:288
	buffer_load_dword v231, off, s[0:3], 0 offset:292
	s_waitcnt vmcnt(32)
	v_mul_f32_e32 v158, v152, v31
	v_fmac_f32_e32 v158, v153, v30
	v_add_f32_e32 v40, v40, v158
	ds_read2_b64 v[158:161], v107 offset0:73 offset1:74
	buffer_load_dword v232, off, s[0:3], 0 offset:296
	buffer_load_dword v233, off, s[0:3], 0 offset:300
	;; [unrolled: 1-line block ×14, first 2 shown]
	s_waitcnt vmcnt(44) lgkmcnt(1)
	v_mul_f32_e32 v162, v154, v33
	v_fmac_f32_e32 v162, v155, v32
	buffer_load_dword v246, off, s[0:3], 0 offset:352
	buffer_load_dword v247, off, s[0:3], 0 offset:356
	v_add_f32_e32 v40, v40, v162
	s_waitcnt vmcnt(44)
	v_mul_f32_e32 v162, v156, v35
	v_fmac_f32_e32 v162, v157, v34
	v_add_f32_e32 v40, v40, v162
	s_waitcnt vmcnt(42) lgkmcnt(0)
	v_mul_f32_e32 v162, v158, v37
	v_fmac_f32_e32 v162, v159, v36
	v_add_f32_e32 v40, v40, v162
	ds_read2_b64 v[162:165], v107 offset0:75 offset1:76
	buffer_load_dword v248, off, s[0:3], 0 offset:360
	buffer_load_dword v249, off, s[0:3], 0 offset:364
	;; [unrolled: 1-line block ×6, first 2 shown]
	s_waitcnt vmcnt(46)
	v_mul_f32_e32 v166, v160, v39
	v_fmac_f32_e32 v166, v161, v38
	v_add_f32_e32 v40, v40, v166
	ds_read2_b64 v[166:169], v107 offset0:77 offset1:78
	buffer_load_dword v254, off, s[0:3], 0 offset:388
	buffer_load_dword v255, off, s[0:3], 0 offset:392
	buffer_load_dword v45, off, s[0:3], 0 offset:396
	buffer_load_dword v46, off, s[0:3], 0 offset:384
	v_mul_f32_e32 v0, v127, v0
	v_fma_f32 v0, v126, v6, -v0
	s_waitcnt vmcnt(48) lgkmcnt(1)
	v_mul_f32_e32 v170, v162, v42
	v_fmac_f32_e32 v170, v163, v41
	v_add_f32_e32 v40, v40, v170
	s_waitcnt vmcnt(47)
	v_mul_f32_e32 v170, v164, v44
	s_waitcnt vmcnt(44)
	v_fmac_f32_e32 v170, v165, v214
	v_add_f32_e32 v40, v40, v170
	s_waitcnt lgkmcnt(0)
	v_mul_f32_e32 v170, v166, v213
	v_fmac_f32_e32 v170, v167, v212
	v_add_f32_e32 v40, v40, v170
	ds_read2_b64 v[170:173], v107 offset0:79 offset1:80
	s_waitcnt vmcnt(42)
	v_mul_f32_e32 v174, v168, v216
	v_fmac_f32_e32 v174, v169, v215
	v_add_f32_e32 v40, v40, v174
	ds_read2_b64 v[174:177], v107 offset0:81 offset1:82
	s_waitcnt vmcnt(40) lgkmcnt(1)
	v_mul_f32_e32 v178, v170, v217
	v_fmac_f32_e32 v178, v171, v43
	v_add_f32_e32 v40, v40, v178
	s_waitcnt vmcnt(39)
	v_mul_f32_e32 v178, v172, v218
	s_waitcnt vmcnt(36)
	v_fmac_f32_e32 v178, v173, v221
	v_add_f32_e32 v40, v40, v178
	s_waitcnt lgkmcnt(0)
	v_mul_f32_e32 v178, v174, v220
	v_fmac_f32_e32 v178, v175, v219
	v_add_f32_e32 v40, v40, v178
	ds_read2_b64 v[178:181], v107 offset0:83 offset1:84
	s_waitcnt vmcnt(34)
	v_mul_f32_e32 v182, v176, v223
	v_fmac_f32_e32 v182, v177, v222
	v_add_f32_e32 v40, v40, v182
	ds_read2_b64 v[182:185], v107 offset0:85 offset1:86
	;; [unrolled: 19-line block ×5, first 2 shown]
	s_waitcnt vmcnt(8) lgkmcnt(1)
	v_mul_f32_e32 v210, v202, v249
	v_fmac_f32_e32 v210, v203, v248
	v_add_f32_e32 v40, v40, v210
	s_waitcnt vmcnt(7)
	v_mul_f32_e32 v210, v204, v250
	s_waitcnt vmcnt(4)
	v_fmac_f32_e32 v210, v205, v253
	v_add_f32_e32 v40, v40, v210
	ds_read_b64 v[210:211], v107 offset:792
	s_waitcnt lgkmcnt(1)
	v_mul_f32_e32 v47, v206, v252
	v_fmac_f32_e32 v47, v207, v251
	v_add_f32_e32 v40, v40, v47
	s_waitcnt vmcnt(3)
	v_mul_f32_e32 v47, v208, v254
	s_waitcnt vmcnt(0)
	v_fmac_f32_e32 v47, v209, v46
	v_add_f32_e32 v40, v40, v47
	s_waitcnt lgkmcnt(0)
	v_mul_f32_e32 v47, v210, v45
	v_fmac_f32_e32 v47, v211, v255
	v_add_f32_e32 v40, v40, v47
	v_mul_f32_e32 v47, v115, v106
	v_fma_f32 v5, v114, v5, -v47
	v_mul_f32_e32 v47, v117, v105
	v_add_f32_e32 v5, 0, v5
	v_fma_f32 v4, v116, v4, -v47
	v_add_f32_e32 v4, v5, v4
	v_mul_f32_e32 v5, v119, v104
	v_fma_f32 v3, v118, v3, -v5
	v_add_f32_e32 v3, v4, v3
	v_mul_f32_e32 v4, v121, v103
	;; [unrolled: 3-line block ×4, first 2 shown]
	v_fma_f32 v4, v124, v7, -v4
	v_add_f32_e32 v3, v3, v4
	v_add_f32_e32 v0, v3, v0
	v_mul_f32_e32 v3, v129, v110
	v_fma_f32 v3, v128, v13, -v3
	v_add_f32_e32 v0, v0, v3
	v_mul_f32_e32 v3, v131, v111
	v_fma_f32 v3, v130, v12, -v3
	;; [unrolled: 3-line block ×42, first 2 shown]
	v_add_f32_e32 v0, v0, v3
	v_sub_f32_e32 v0, v108, v0
	v_sub_f32_e32 v3, v109, v40
	buffer_store_dword v0, off, s[0:3], 0
	buffer_store_dword v3, off, s[0:3], 0 offset:4
	s_cbranch_vccz .LBB113_412
; %bb.314:
	global_load_dword v0, v107, s[12:13] offset:192
	s_waitcnt vmcnt(0)
	v_add_u32_e32 v0, -1, v0
	v_cmp_ne_u32_e32 vcc, 48, v0
	s_cbranch_vccz .LBB113_316
; %bb.315:
	v_lshlrev_b32_e32 v0, 3, v0
	buffer_load_dword v3, v0, s[0:3], 0 offen
	buffer_load_dword v4, v0, s[0:3], 0 offen offset:4
	buffer_load_dword v5, off, s[0:3], 0 offset:388
	buffer_load_dword v6, off, s[0:3], 0 offset:384
	s_waitcnt vmcnt(3)
	buffer_store_dword v3, off, s[0:3], 0 offset:384
	s_waitcnt vmcnt(3)
	buffer_store_dword v4, off, s[0:3], 0 offset:388
	s_waitcnt vmcnt(3)
	buffer_store_dword v5, v0, s[0:3], 0 offen offset:4
	s_waitcnt vmcnt(3)
	buffer_store_dword v6, v0, s[0:3], 0 offen
.LBB113_316:
	v_mov_b32_e32 v0, 0
	global_load_dword v3, v0, s[12:13] offset:188
	s_waitcnt vmcnt(0)
	v_add_u32_e32 v101, -1, v3
	v_cmp_eq_u32_e32 vcc, 47, v101
	s_cbranch_vccnz .LBB113_318
; %bb.317:
	v_lshlrev_b32_e32 v3, 3, v101
	buffer_load_dword v4, v3, s[0:3], 0 offen
	buffer_load_dword v5, v3, s[0:3], 0 offen offset:4
	buffer_load_dword v6, off, s[0:3], 0 offset:376
	buffer_load_dword v7, off, s[0:3], 0 offset:380
	s_waitcnt vmcnt(3)
	buffer_store_dword v4, off, s[0:3], 0 offset:376
	s_waitcnt vmcnt(3)
	buffer_store_dword v5, off, s[0:3], 0 offset:380
	s_waitcnt vmcnt(3)
	buffer_store_dword v6, v3, s[0:3], 0 offen
	s_waitcnt vmcnt(3)
	buffer_store_dword v7, v3, s[0:3], 0 offen offset:4
.LBB113_318:
	global_load_dword v0, v0, s[12:13] offset:184
	s_waitcnt vmcnt(0)
	v_add_u32_e32 v0, -1, v0
	v_cmp_eq_u32_e32 vcc, 46, v0
	s_cbranch_vccnz .LBB113_320
; %bb.319:
	v_lshlrev_b32_e32 v0, 3, v0
	buffer_load_dword v3, v0, s[0:3], 0 offen
	buffer_load_dword v4, v0, s[0:3], 0 offen offset:4
	buffer_load_dword v5, off, s[0:3], 0 offset:372
	buffer_load_dword v6, off, s[0:3], 0 offset:368
	s_waitcnt vmcnt(3)
	buffer_store_dword v3, off, s[0:3], 0 offset:368
	s_waitcnt vmcnt(3)
	buffer_store_dword v4, off, s[0:3], 0 offset:372
	s_waitcnt vmcnt(3)
	buffer_store_dword v5, v0, s[0:3], 0 offen offset:4
	s_waitcnt vmcnt(3)
	buffer_store_dword v6, v0, s[0:3], 0 offen
.LBB113_320:
	v_mov_b32_e32 v0, 0
	global_load_dword v3, v0, s[12:13] offset:180
	s_waitcnt vmcnt(0)
	v_add_u32_e32 v101, -1, v3
	v_cmp_eq_u32_e32 vcc, 45, v101
	s_cbranch_vccnz .LBB113_322
; %bb.321:
	v_lshlrev_b32_e32 v3, 3, v101
	buffer_load_dword v4, v3, s[0:3], 0 offen
	buffer_load_dword v5, v3, s[0:3], 0 offen offset:4
	buffer_load_dword v6, off, s[0:3], 0 offset:360
	buffer_load_dword v7, off, s[0:3], 0 offset:364
	s_waitcnt vmcnt(3)
	buffer_store_dword v4, off, s[0:3], 0 offset:360
	s_waitcnt vmcnt(3)
	buffer_store_dword v5, off, s[0:3], 0 offset:364
	s_waitcnt vmcnt(3)
	buffer_store_dword v6, v3, s[0:3], 0 offen
	s_waitcnt vmcnt(3)
	buffer_store_dword v7, v3, s[0:3], 0 offen offset:4
.LBB113_322:
	global_load_dword v0, v0, s[12:13] offset:176
	s_waitcnt vmcnt(0)
	v_add_u32_e32 v0, -1, v0
	v_cmp_eq_u32_e32 vcc, 44, v0
	s_cbranch_vccnz .LBB113_324
; %bb.323:
	v_lshlrev_b32_e32 v0, 3, v0
	buffer_load_dword v3, v0, s[0:3], 0 offen
	buffer_load_dword v4, v0, s[0:3], 0 offen offset:4
	buffer_load_dword v5, off, s[0:3], 0 offset:356
	buffer_load_dword v6, off, s[0:3], 0 offset:352
	s_waitcnt vmcnt(3)
	buffer_store_dword v3, off, s[0:3], 0 offset:352
	s_waitcnt vmcnt(3)
	buffer_store_dword v4, off, s[0:3], 0 offset:356
	s_waitcnt vmcnt(3)
	buffer_store_dword v5, v0, s[0:3], 0 offen offset:4
	s_waitcnt vmcnt(3)
	buffer_store_dword v6, v0, s[0:3], 0 offen
.LBB113_324:
	;; [unrolled: 41-line block ×23, first 2 shown]
	v_mov_b32_e32 v0, 0
	global_load_dword v3, v0, s[12:13] offset:4
	s_waitcnt vmcnt(0)
	v_add_u32_e32 v101, -1, v3
	v_cmp_eq_u32_e32 vcc, 1, v101
	s_cbranch_vccnz .LBB113_410
; %bb.409:
	v_lshlrev_b32_e32 v3, 3, v101
	buffer_load_dword v4, v3, s[0:3], 0 offen
	buffer_load_dword v5, v3, s[0:3], 0 offen offset:4
	buffer_load_dword v6, off, s[0:3], 0 offset:8
	buffer_load_dword v7, off, s[0:3], 0 offset:12
	s_waitcnt vmcnt(3)
	buffer_store_dword v4, off, s[0:3], 0 offset:8
	s_waitcnt vmcnt(3)
	buffer_store_dword v5, off, s[0:3], 0 offset:12
	s_waitcnt vmcnt(3)
	buffer_store_dword v6, v3, s[0:3], 0 offen
	s_waitcnt vmcnt(3)
	buffer_store_dword v7, v3, s[0:3], 0 offen offset:4
.LBB113_410:
	global_load_dword v0, v0, s[12:13]
	s_waitcnt vmcnt(0)
	v_add_u32_e32 v0, -1, v0
	v_cmp_eq_u32_e32 vcc, 0, v0
	s_cbranch_vccnz .LBB113_412
; %bb.411:
	v_lshlrev_b32_e32 v0, 3, v0
	buffer_load_dword v3, v0, s[0:3], 0 offen
	buffer_load_dword v4, v0, s[0:3], 0 offen offset:4
	buffer_load_dword v5, off, s[0:3], 0 offset:4
	buffer_load_dword v6, off, s[0:3], 0
	s_waitcnt vmcnt(3)
	buffer_store_dword v3, off, s[0:3], 0
	s_waitcnt vmcnt(3)
	buffer_store_dword v4, off, s[0:3], 0 offset:4
	s_waitcnt vmcnt(3)
	buffer_store_dword v5, v0, s[0:3], 0 offen offset:4
	s_waitcnt vmcnt(3)
	buffer_store_dword v6, v0, s[0:3], 0 offen
.LBB113_412:
	buffer_load_dword v101, off, s[0:3], 0
	buffer_load_dword v102, off, s[0:3], 0 offset:4
	s_waitcnt vmcnt(0)
	flat_store_dwordx2 v[1:2], v[101:102]
	buffer_load_dword v0, off, s[0:3], 0 offset:8
	s_nop 0
	buffer_load_dword v1, off, s[0:3], 0 offset:12
	buffer_load_dword v2, off, s[0:3], 0 offset:400 ; 4-byte Folded Reload
	buffer_load_dword v3, off, s[0:3], 0 offset:404 ; 4-byte Folded Reload
	s_waitcnt vmcnt(0)
	flat_store_dwordx2 v[2:3], v[0:1]
	buffer_load_dword v0, off, s[0:3], 0 offset:16
	s_nop 0
	buffer_load_dword v1, off, s[0:3], 0 offset:20
	buffer_load_dword v2, off, s[0:3], 0 offset:408 ; 4-byte Folded Reload
	buffer_load_dword v3, off, s[0:3], 0 offset:412 ; 4-byte Folded Reload
	s_waitcnt vmcnt(0)
	flat_store_dwordx2 v[2:3], v[0:1]
	buffer_load_dword v0, off, s[0:3], 0 offset:24
	s_nop 0
	buffer_load_dword v1, off, s[0:3], 0 offset:28
	buffer_load_dword v2, off, s[0:3], 0 offset:416 ; 4-byte Folded Reload
	buffer_load_dword v3, off, s[0:3], 0 offset:420 ; 4-byte Folded Reload
	s_waitcnt vmcnt(0)
	flat_store_dwordx2 v[2:3], v[0:1]
	buffer_load_dword v0, off, s[0:3], 0 offset:32
	s_nop 0
	buffer_load_dword v1, off, s[0:3], 0 offset:36
	buffer_load_dword v2, off, s[0:3], 0 offset:424 ; 4-byte Folded Reload
	buffer_load_dword v3, off, s[0:3], 0 offset:428 ; 4-byte Folded Reload
	s_waitcnt vmcnt(0)
	flat_store_dwordx2 v[2:3], v[0:1]
	buffer_load_dword v0, off, s[0:3], 0 offset:40
	s_nop 0
	buffer_load_dword v1, off, s[0:3], 0 offset:44
	buffer_load_dword v2, off, s[0:3], 0 offset:432 ; 4-byte Folded Reload
	buffer_load_dword v3, off, s[0:3], 0 offset:436 ; 4-byte Folded Reload
	s_waitcnt vmcnt(0)
	flat_store_dwordx2 v[2:3], v[0:1]
	buffer_load_dword v0, off, s[0:3], 0 offset:48
	s_nop 0
	buffer_load_dword v1, off, s[0:3], 0 offset:52
	buffer_load_dword v2, off, s[0:3], 0 offset:440 ; 4-byte Folded Reload
	buffer_load_dword v3, off, s[0:3], 0 offset:444 ; 4-byte Folded Reload
	s_waitcnt vmcnt(0)
	flat_store_dwordx2 v[2:3], v[0:1]
	buffer_load_dword v0, off, s[0:3], 0 offset:56
	s_nop 0
	buffer_load_dword v1, off, s[0:3], 0 offset:60
	buffer_load_dword v2, off, s[0:3], 0 offset:448 ; 4-byte Folded Reload
	buffer_load_dword v3, off, s[0:3], 0 offset:452 ; 4-byte Folded Reload
	s_waitcnt vmcnt(0)
	flat_store_dwordx2 v[2:3], v[0:1]
	buffer_load_dword v0, off, s[0:3], 0 offset:64
	s_nop 0
	buffer_load_dword v1, off, s[0:3], 0 offset:68
	buffer_load_dword v2, off, s[0:3], 0 offset:456 ; 4-byte Folded Reload
	buffer_load_dword v3, off, s[0:3], 0 offset:460 ; 4-byte Folded Reload
	s_waitcnt vmcnt(0)
	flat_store_dwordx2 v[2:3], v[0:1]
	buffer_load_dword v0, off, s[0:3], 0 offset:72
	s_nop 0
	buffer_load_dword v1, off, s[0:3], 0 offset:76
	buffer_load_dword v2, off, s[0:3], 0 offset:464 ; 4-byte Folded Reload
	buffer_load_dword v3, off, s[0:3], 0 offset:468 ; 4-byte Folded Reload
	s_waitcnt vmcnt(0)
	flat_store_dwordx2 v[2:3], v[0:1]
	buffer_load_dword v0, off, s[0:3], 0 offset:80
	s_nop 0
	buffer_load_dword v1, off, s[0:3], 0 offset:84
	buffer_load_dword v2, off, s[0:3], 0 offset:472 ; 4-byte Folded Reload
	buffer_load_dword v3, off, s[0:3], 0 offset:476 ; 4-byte Folded Reload
	s_waitcnt vmcnt(0)
	flat_store_dwordx2 v[2:3], v[0:1]
	buffer_load_dword v0, off, s[0:3], 0 offset:88
	s_nop 0
	buffer_load_dword v1, off, s[0:3], 0 offset:92
	buffer_load_dword v2, off, s[0:3], 0 offset:480 ; 4-byte Folded Reload
	buffer_load_dword v3, off, s[0:3], 0 offset:484 ; 4-byte Folded Reload
	s_waitcnt vmcnt(0)
	flat_store_dwordx2 v[2:3], v[0:1]
	buffer_load_dword v0, off, s[0:3], 0 offset:96
	s_nop 0
	buffer_load_dword v1, off, s[0:3], 0 offset:100
	buffer_load_dword v2, off, s[0:3], 0 offset:488 ; 4-byte Folded Reload
	buffer_load_dword v3, off, s[0:3], 0 offset:492 ; 4-byte Folded Reload
	s_waitcnt vmcnt(0)
	flat_store_dwordx2 v[2:3], v[0:1]
	buffer_load_dword v0, off, s[0:3], 0 offset:104
	s_nop 0
	buffer_load_dword v1, off, s[0:3], 0 offset:108
	buffer_load_dword v2, off, s[0:3], 0 offset:496 ; 4-byte Folded Reload
	buffer_load_dword v3, off, s[0:3], 0 offset:500 ; 4-byte Folded Reload
	s_waitcnt vmcnt(0)
	flat_store_dwordx2 v[2:3], v[0:1]
	buffer_load_dword v0, off, s[0:3], 0 offset:112
	s_nop 0
	buffer_load_dword v1, off, s[0:3], 0 offset:116
	buffer_load_dword v2, off, s[0:3], 0 offset:504 ; 4-byte Folded Reload
	buffer_load_dword v3, off, s[0:3], 0 offset:508 ; 4-byte Folded Reload
	s_waitcnt vmcnt(0)
	flat_store_dwordx2 v[2:3], v[0:1]
	buffer_load_dword v0, off, s[0:3], 0 offset:120
	s_nop 0
	buffer_load_dword v1, off, s[0:3], 0 offset:124
	buffer_load_dword v2, off, s[0:3], 0 offset:512 ; 4-byte Folded Reload
	buffer_load_dword v3, off, s[0:3], 0 offset:516 ; 4-byte Folded Reload
	s_waitcnt vmcnt(0)
	flat_store_dwordx2 v[2:3], v[0:1]
	buffer_load_dword v0, off, s[0:3], 0 offset:128
	s_nop 0
	buffer_load_dword v1, off, s[0:3], 0 offset:132
	buffer_load_dword v2, off, s[0:3], 0 offset:520 ; 4-byte Folded Reload
	buffer_load_dword v3, off, s[0:3], 0 offset:524 ; 4-byte Folded Reload
	s_waitcnt vmcnt(0)
	flat_store_dwordx2 v[2:3], v[0:1]
	buffer_load_dword v0, off, s[0:3], 0 offset:136
	s_nop 0
	buffer_load_dword v1, off, s[0:3], 0 offset:140
	buffer_load_dword v2, off, s[0:3], 0 offset:528 ; 4-byte Folded Reload
	buffer_load_dword v3, off, s[0:3], 0 offset:532 ; 4-byte Folded Reload
	s_waitcnt vmcnt(0)
	flat_store_dwordx2 v[2:3], v[0:1]
	buffer_load_dword v0, off, s[0:3], 0 offset:144
	s_nop 0
	buffer_load_dword v1, off, s[0:3], 0 offset:148
	buffer_load_dword v2, off, s[0:3], 0 offset:536 ; 4-byte Folded Reload
	buffer_load_dword v3, off, s[0:3], 0 offset:540 ; 4-byte Folded Reload
	s_waitcnt vmcnt(0)
	flat_store_dwordx2 v[2:3], v[0:1]
	buffer_load_dword v0, off, s[0:3], 0 offset:152
	s_nop 0
	buffer_load_dword v1, off, s[0:3], 0 offset:156
	buffer_load_dword v2, off, s[0:3], 0 offset:544 ; 4-byte Folded Reload
	buffer_load_dword v3, off, s[0:3], 0 offset:548 ; 4-byte Folded Reload
	s_waitcnt vmcnt(0)
	flat_store_dwordx2 v[2:3], v[0:1]
	buffer_load_dword v0, off, s[0:3], 0 offset:160
	s_nop 0
	buffer_load_dword v1, off, s[0:3], 0 offset:164
	buffer_load_dword v2, off, s[0:3], 0 offset:552 ; 4-byte Folded Reload
	buffer_load_dword v3, off, s[0:3], 0 offset:556 ; 4-byte Folded Reload
	s_waitcnt vmcnt(0)
	flat_store_dwordx2 v[2:3], v[0:1]
	buffer_load_dword v0, off, s[0:3], 0 offset:168
	s_nop 0
	buffer_load_dword v1, off, s[0:3], 0 offset:172
	buffer_load_dword v2, off, s[0:3], 0 offset:560 ; 4-byte Folded Reload
	buffer_load_dword v3, off, s[0:3], 0 offset:564 ; 4-byte Folded Reload
	s_waitcnt vmcnt(0)
	flat_store_dwordx2 v[2:3], v[0:1]
	buffer_load_dword v0, off, s[0:3], 0 offset:176
	s_nop 0
	buffer_load_dword v1, off, s[0:3], 0 offset:180
	buffer_load_dword v2, off, s[0:3], 0 offset:568 ; 4-byte Folded Reload
	buffer_load_dword v3, off, s[0:3], 0 offset:572 ; 4-byte Folded Reload
	s_waitcnt vmcnt(0)
	flat_store_dwordx2 v[2:3], v[0:1]
	buffer_load_dword v0, off, s[0:3], 0 offset:184
	s_nop 0
	buffer_load_dword v1, off, s[0:3], 0 offset:188
	buffer_load_dword v2, off, s[0:3], 0 offset:576 ; 4-byte Folded Reload
	buffer_load_dword v3, off, s[0:3], 0 offset:580 ; 4-byte Folded Reload
	s_waitcnt vmcnt(0)
	flat_store_dwordx2 v[2:3], v[0:1]
	buffer_load_dword v0, off, s[0:3], 0 offset:192
	s_nop 0
	buffer_load_dword v1, off, s[0:3], 0 offset:196
	s_waitcnt vmcnt(0)
	flat_store_dwordx2 v[49:50], v[0:1]
	buffer_load_dword v0, off, s[0:3], 0 offset:200
	s_nop 0
	buffer_load_dword v1, off, s[0:3], 0 offset:204
	;; [unrolled: 5-line block ×26, first 2 shown]
	s_waitcnt vmcnt(0)
	flat_store_dwordx2 v[99:100], v[0:1]
	s_endpgm
	.section	.rodata,"a",@progbits
	.p2align	6, 0x0
	.amdhsa_kernel _ZN9rocsolver6v33100L18getri_kernel_smallILi50E19rocblas_complex_numIfEPKPS3_EEvT1_iilPiilS8_bb
		.amdhsa_group_segment_fixed_size 804
		.amdhsa_private_segment_fixed_size 592
		.amdhsa_kernarg_size 60
		.amdhsa_user_sgpr_count 6
		.amdhsa_user_sgpr_private_segment_buffer 1
		.amdhsa_user_sgpr_dispatch_ptr 0
		.amdhsa_user_sgpr_queue_ptr 0
		.amdhsa_user_sgpr_kernarg_segment_ptr 1
		.amdhsa_user_sgpr_dispatch_id 0
		.amdhsa_user_sgpr_flat_scratch_init 0
		.amdhsa_user_sgpr_private_segment_size 0
		.amdhsa_uses_dynamic_stack 0
		.amdhsa_system_sgpr_private_segment_wavefront_offset 1
		.amdhsa_system_sgpr_workgroup_id_x 1
		.amdhsa_system_sgpr_workgroup_id_y 0
		.amdhsa_system_sgpr_workgroup_id_z 0
		.amdhsa_system_sgpr_workgroup_info 0
		.amdhsa_system_vgpr_workitem_id 0
		.amdhsa_next_free_vgpr 256
		.amdhsa_next_free_sgpr 21
		.amdhsa_reserve_vcc 1
		.amdhsa_reserve_flat_scratch 0
		.amdhsa_float_round_mode_32 0
		.amdhsa_float_round_mode_16_64 0
		.amdhsa_float_denorm_mode_32 3
		.amdhsa_float_denorm_mode_16_64 3
		.amdhsa_dx10_clamp 1
		.amdhsa_ieee_mode 1
		.amdhsa_fp16_overflow 0
		.amdhsa_exception_fp_ieee_invalid_op 0
		.amdhsa_exception_fp_denorm_src 0
		.amdhsa_exception_fp_ieee_div_zero 0
		.amdhsa_exception_fp_ieee_overflow 0
		.amdhsa_exception_fp_ieee_underflow 0
		.amdhsa_exception_fp_ieee_inexact 0
		.amdhsa_exception_int_div_zero 0
	.end_amdhsa_kernel
	.section	.text._ZN9rocsolver6v33100L18getri_kernel_smallILi50E19rocblas_complex_numIfEPKPS3_EEvT1_iilPiilS8_bb,"axG",@progbits,_ZN9rocsolver6v33100L18getri_kernel_smallILi50E19rocblas_complex_numIfEPKPS3_EEvT1_iilPiilS8_bb,comdat
.Lfunc_end113:
	.size	_ZN9rocsolver6v33100L18getri_kernel_smallILi50E19rocblas_complex_numIfEPKPS3_EEvT1_iilPiilS8_bb, .Lfunc_end113-_ZN9rocsolver6v33100L18getri_kernel_smallILi50E19rocblas_complex_numIfEPKPS3_EEvT1_iilPiilS8_bb
                                        ; -- End function
	.set _ZN9rocsolver6v33100L18getri_kernel_smallILi50E19rocblas_complex_numIfEPKPS3_EEvT1_iilPiilS8_bb.num_vgpr, 256
	.set _ZN9rocsolver6v33100L18getri_kernel_smallILi50E19rocblas_complex_numIfEPKPS3_EEvT1_iilPiilS8_bb.num_agpr, 0
	.set _ZN9rocsolver6v33100L18getri_kernel_smallILi50E19rocblas_complex_numIfEPKPS3_EEvT1_iilPiilS8_bb.numbered_sgpr, 21
	.set _ZN9rocsolver6v33100L18getri_kernel_smallILi50E19rocblas_complex_numIfEPKPS3_EEvT1_iilPiilS8_bb.num_named_barrier, 0
	.set _ZN9rocsolver6v33100L18getri_kernel_smallILi50E19rocblas_complex_numIfEPKPS3_EEvT1_iilPiilS8_bb.private_seg_size, 592
	.set _ZN9rocsolver6v33100L18getri_kernel_smallILi50E19rocblas_complex_numIfEPKPS3_EEvT1_iilPiilS8_bb.uses_vcc, 1
	.set _ZN9rocsolver6v33100L18getri_kernel_smallILi50E19rocblas_complex_numIfEPKPS3_EEvT1_iilPiilS8_bb.uses_flat_scratch, 0
	.set _ZN9rocsolver6v33100L18getri_kernel_smallILi50E19rocblas_complex_numIfEPKPS3_EEvT1_iilPiilS8_bb.has_dyn_sized_stack, 0
	.set _ZN9rocsolver6v33100L18getri_kernel_smallILi50E19rocblas_complex_numIfEPKPS3_EEvT1_iilPiilS8_bb.has_recursion, 0
	.set _ZN9rocsolver6v33100L18getri_kernel_smallILi50E19rocblas_complex_numIfEPKPS3_EEvT1_iilPiilS8_bb.has_indirect_call, 0
	.section	.AMDGPU.csdata,"",@progbits
; Kernel info:
; codeLenInByte = 93840
; TotalNumSgprs: 25
; NumVgprs: 256
; ScratchSize: 592
; MemoryBound: 0
; FloatMode: 240
; IeeeMode: 1
; LDSByteSize: 804 bytes/workgroup (compile time only)
; SGPRBlocks: 3
; VGPRBlocks: 63
; NumSGPRsForWavesPerEU: 25
; NumVGPRsForWavesPerEU: 256
; Occupancy: 1
; WaveLimiterHint : 1
; COMPUTE_PGM_RSRC2:SCRATCH_EN: 1
; COMPUTE_PGM_RSRC2:USER_SGPR: 6
; COMPUTE_PGM_RSRC2:TRAP_HANDLER: 0
; COMPUTE_PGM_RSRC2:TGID_X_EN: 1
; COMPUTE_PGM_RSRC2:TGID_Y_EN: 0
; COMPUTE_PGM_RSRC2:TGID_Z_EN: 0
; COMPUTE_PGM_RSRC2:TIDIG_COMP_CNT: 0
	.section	.text._ZN9rocsolver6v33100L18getri_kernel_smallILi51E19rocblas_complex_numIfEPKPS3_EEvT1_iilPiilS8_bb,"axG",@progbits,_ZN9rocsolver6v33100L18getri_kernel_smallILi51E19rocblas_complex_numIfEPKPS3_EEvT1_iilPiilS8_bb,comdat
	.globl	_ZN9rocsolver6v33100L18getri_kernel_smallILi51E19rocblas_complex_numIfEPKPS3_EEvT1_iilPiilS8_bb ; -- Begin function _ZN9rocsolver6v33100L18getri_kernel_smallILi51E19rocblas_complex_numIfEPKPS3_EEvT1_iilPiilS8_bb
	.p2align	8
	.type	_ZN9rocsolver6v33100L18getri_kernel_smallILi51E19rocblas_complex_numIfEPKPS3_EEvT1_iilPiilS8_bb,@function
_ZN9rocsolver6v33100L18getri_kernel_smallILi51E19rocblas_complex_numIfEPKPS3_EEvT1_iilPiilS8_bb: ; @_ZN9rocsolver6v33100L18getri_kernel_smallILi51E19rocblas_complex_numIfEPKPS3_EEvT1_iilPiilS8_bb
; %bb.0:
	s_add_u32 s0, s0, s7
	s_addc_u32 s1, s1, 0
	v_cmp_gt_u32_e32 vcc, 51, v0
	s_and_saveexec_b64 s[8:9], vcc
	s_cbranch_execz .LBB114_218
; %bb.1:
	s_load_dword s18, s[4:5], 0x38
	s_load_dwordx2 s[12:13], s[4:5], 0x0
	s_load_dwordx4 s[8:11], s[4:5], 0x28
	s_waitcnt lgkmcnt(0)
	s_bitcmp1_b32 s18, 8
	s_cselect_b64 s[14:15], -1, 0
	s_ashr_i32 s7, s6, 31
	s_lshl_b64 s[16:17], s[6:7], 3
	s_add_u32 s12, s12, s16
	s_addc_u32 s13, s13, s17
	s_load_dwordx2 s[16:17], s[12:13], 0x0
	s_bfe_u32 s12, s18, 0x10008
	s_cmp_eq_u32 s12, 0
                                        ; implicit-def: $sgpr12_sgpr13
	s_cbranch_scc1 .LBB114_3
; %bb.2:
	s_load_dword s12, s[4:5], 0x20
	s_load_dwordx2 s[18:19], s[4:5], 0x18
	s_mul_i32 s13, s8, s7
	s_mul_hi_u32 s20, s8, s6
	s_add_i32 s20, s20, s13
	s_mul_i32 s9, s9, s6
	s_add_i32 s9, s20, s9
	s_mul_i32 s8, s8, s6
	s_waitcnt lgkmcnt(0)
	s_ashr_i32 s13, s12, 31
	s_lshl_b64 s[8:9], s[8:9], 2
	s_add_u32 s18, s18, s8
	s_addc_u32 s19, s19, s9
	s_lshl_b64 s[8:9], s[12:13], 2
	s_add_u32 s12, s18, s8
	s_addc_u32 s13, s19, s9
.LBB114_3:
	s_load_dwordx2 s[8:9], s[4:5], 0x8
	s_load_dword s18, s[4:5], 0x38
	v_lshlrev_b32_e32 v105, 3, v0
	s_waitcnt lgkmcnt(0)
	s_ashr_i32 s5, s8, 31
	s_mov_b32 s4, s8
	s_lshl_b64 s[4:5], s[4:5], 3
	s_add_u32 s4, s16, s4
	s_addc_u32 s5, s17, s5
	v_mov_b32_e32 v2, s5
	v_add_co_u32_e32 v1, vcc, s4, v105
	v_addc_co_u32_e32 v2, vcc, 0, v2, vcc
	flat_load_dwordx2 v[5:6], v[1:2]
	s_mov_b32 s16, s9
	s_ashr_i32 s17, s9, 31
	s_lshl_b64 s[16:17], s[16:17], 3
	v_mov_b32_e32 v4, s17
	v_add_co_u32_e32 v3, vcc, s16, v1
	v_addc_co_u32_e32 v4, vcc, v2, v4, vcc
	s_add_i32 s8, s9, s9
	v_add_u32_e32 v9, s8, v0
	v_ashrrev_i32_e32 v10, 31, v9
	v_mov_b32_e32 v11, s5
	v_add_u32_e32 v12, s9, v9
	v_ashrrev_i32_e32 v13, 31, v12
	v_mov_b32_e32 v14, s5
	v_mov_b32_e32 v15, s5
	;; [unrolled: 1-line block ×47, first 2 shown]
	s_bitcmp0_b32 s18, 0
	s_waitcnt vmcnt(0) lgkmcnt(0)
	buffer_store_dword v6, off, s[0:3], 0 offset:4
	buffer_store_dword v5, off, s[0:3], 0
	buffer_store_dword v3, off, s[0:3], 0 offset:408 ; 4-byte Folded Spill
	s_nop 0
	buffer_store_dword v4, off, s[0:3], 0 offset:412 ; 4-byte Folded Spill
	v_lshlrev_b64 v[5:6], 3, v[9:10]
	flat_load_dwordx2 v[7:8], v[3:4]
	v_add_co_u32_e32 v3, vcc, s4, v5
	v_addc_co_u32_e32 v4, vcc, v11, v6, vcc
	s_waitcnt vmcnt(0) lgkmcnt(0)
	buffer_store_dword v8, off, s[0:3], 0 offset:12
	buffer_store_dword v7, off, s[0:3], 0 offset:8
	buffer_store_dword v3, off, s[0:3], 0 offset:416 ; 4-byte Folded Spill
	s_nop 0
	buffer_store_dword v4, off, s[0:3], 0 offset:420 ; 4-byte Folded Spill
	v_lshlrev_b64 v[7:8], 3, v[12:13]
	flat_load_dwordx2 v[10:11], v[3:4]
	v_add_co_u32_e32 v3, vcc, s4, v7
	v_addc_co_u32_e32 v4, vcc, v14, v8, vcc
	s_waitcnt vmcnt(0) lgkmcnt(0)
	buffer_store_dword v11, off, s[0:3], 0 offset:20
	buffer_store_dword v10, off, s[0:3], 0 offset:16
	buffer_store_dword v3, off, s[0:3], 0 offset:424 ; 4-byte Folded Spill
	s_nop 0
	buffer_store_dword v4, off, s[0:3], 0 offset:428 ; 4-byte Folded Spill
	v_add_u32_e32 v11, s9, v12
	v_ashrrev_i32_e32 v12, 31, v11
	v_lshlrev_b64 v[9:10], 3, v[11:12]
	flat_load_dwordx2 v[13:14], v[3:4]
	v_add_co_u32_e32 v3, vcc, s4, v9
	v_addc_co_u32_e32 v4, vcc, v15, v10, vcc
	v_add_u32_e32 v15, s9, v11
	v_ashrrev_i32_e32 v16, 31, v15
	v_lshlrev_b64 v[11:12], 3, v[15:16]
	v_add_u32_e32 v18, s9, v15
	v_ashrrev_i32_e32 v19, 31, v18
	s_waitcnt vmcnt(0) lgkmcnt(0)
	buffer_store_dword v14, off, s[0:3], 0 offset:28
	buffer_store_dword v13, off, s[0:3], 0 offset:24
	buffer_store_dword v3, off, s[0:3], 0 offset:432 ; 4-byte Folded Spill
	s_nop 0
	buffer_store_dword v4, off, s[0:3], 0 offset:436 ; 4-byte Folded Spill
	flat_load_dwordx2 v[13:14], v[3:4]
	v_add_co_u32_e32 v3, vcc, s4, v11
	v_addc_co_u32_e32 v4, vcc, v17, v12, vcc
	s_waitcnt vmcnt(0) lgkmcnt(0)
	buffer_store_dword v14, off, s[0:3], 0 offset:36
	buffer_store_dword v13, off, s[0:3], 0 offset:32
	buffer_store_dword v3, off, s[0:3], 0 offset:440 ; 4-byte Folded Spill
	s_nop 0
	buffer_store_dword v4, off, s[0:3], 0 offset:444 ; 4-byte Folded Spill
	v_lshlrev_b64 v[13:14], 3, v[18:19]
	flat_load_dwordx2 v[16:17], v[3:4]
	v_add_co_u32_e32 v3, vcc, s4, v13
	v_addc_co_u32_e32 v4, vcc, v20, v14, vcc
	s_waitcnt vmcnt(0) lgkmcnt(0)
	buffer_store_dword v17, off, s[0:3], 0 offset:44
	buffer_store_dword v16, off, s[0:3], 0 offset:40
	buffer_store_dword v3, off, s[0:3], 0 offset:448 ; 4-byte Folded Spill
	s_nop 0
	buffer_store_dword v4, off, s[0:3], 0 offset:452 ; 4-byte Folded Spill
	v_add_u32_e32 v17, s9, v18
	v_ashrrev_i32_e32 v18, 31, v17
	v_lshlrev_b64 v[15:16], 3, v[17:18]
	flat_load_dwordx2 v[19:20], v[3:4]
	v_add_co_u32_e32 v3, vcc, s4, v15
	v_addc_co_u32_e32 v4, vcc, v21, v16, vcc
	v_add_u32_e32 v21, s9, v17
	v_ashrrev_i32_e32 v22, 31, v21
	v_lshlrev_b64 v[17:18], 3, v[21:22]
	v_add_u32_e32 v24, s9, v21
	v_ashrrev_i32_e32 v25, 31, v24
	s_waitcnt vmcnt(0) lgkmcnt(0)
	buffer_store_dword v20, off, s[0:3], 0 offset:52
	buffer_store_dword v19, off, s[0:3], 0 offset:48
	buffer_store_dword v3, off, s[0:3], 0 offset:456 ; 4-byte Folded Spill
	s_nop 0
	buffer_store_dword v4, off, s[0:3], 0 offset:460 ; 4-byte Folded Spill
	;; [unrolled: 36-line block ×8, first 2 shown]
	flat_load_dwordx2 v[55:56], v[3:4]
	v_add_co_u32_e32 v3, vcc, s4, v53
	v_addc_co_u32_e32 v4, vcc, v59, v54, vcc
	s_waitcnt vmcnt(0) lgkmcnt(0)
	buffer_store_dword v56, off, s[0:3], 0 offset:204
	buffer_store_dword v55, off, s[0:3], 0 offset:200
	buffer_store_dword v3, off, s[0:3], 0 offset:608 ; 4-byte Folded Spill
	s_nop 0
	buffer_store_dword v4, off, s[0:3], 0 offset:612 ; 4-byte Folded Spill
	v_lshlrev_b64 v[55:56], 3, v[60:61]
	v_add_co_u32_e32 v55, vcc, s4, v55
	v_addc_co_u32_e32 v56, vcc, v62, v56, vcc
	flat_load_dwordx2 v[58:59], v[3:4]
	s_waitcnt vmcnt(0) lgkmcnt(0)
	buffer_store_dword v59, off, s[0:3], 0 offset:212
	buffer_store_dword v58, off, s[0:3], 0 offset:208
	flat_load_dwordx2 v[61:62], v[55:56]
	v_add_u32_e32 v59, s9, v60
	v_ashrrev_i32_e32 v60, 31, v59
	v_lshlrev_b64 v[57:58], 3, v[59:60]
	s_waitcnt vmcnt(0) lgkmcnt(0)
	buffer_store_dword v62, off, s[0:3], 0 offset:220
	buffer_store_dword v61, off, s[0:3], 0 offset:216
	v_add_co_u32_e32 v57, vcc, s4, v57
	v_addc_co_u32_e32 v58, vcc, v63, v58, vcc
	flat_load_dwordx2 v[61:62], v[57:58]
	v_add_u32_e32 v63, s9, v59
	v_ashrrev_i32_e32 v64, 31, v63
	v_lshlrev_b64 v[59:60], 3, v[63:64]
	v_add_u32_e32 v66, s9, v63
	v_add_co_u32_e32 v59, vcc, s4, v59
	v_addc_co_u32_e32 v60, vcc, v65, v60, vcc
	v_ashrrev_i32_e32 v67, 31, v66
	s_waitcnt vmcnt(0) lgkmcnt(0)
	buffer_store_dword v62, off, s[0:3], 0 offset:228
	buffer_store_dword v61, off, s[0:3], 0 offset:224
	flat_load_dwordx2 v[64:65], v[59:60]
	v_lshlrev_b64 v[61:62], 3, v[66:67]
	s_waitcnt vmcnt(0) lgkmcnt(0)
	buffer_store_dword v65, off, s[0:3], 0 offset:236
	buffer_store_dword v64, off, s[0:3], 0 offset:232
	v_add_co_u32_e32 v61, vcc, s4, v61
	v_addc_co_u32_e32 v62, vcc, v68, v62, vcc
	flat_load_dwordx2 v[67:68], v[61:62]
	v_add_u32_e32 v65, s9, v66
	v_ashrrev_i32_e32 v66, 31, v65
	v_lshlrev_b64 v[63:64], 3, v[65:66]
	s_waitcnt vmcnt(0) lgkmcnt(0)
	buffer_store_dword v68, off, s[0:3], 0 offset:244
	buffer_store_dword v67, off, s[0:3], 0 offset:240
	v_add_co_u32_e32 v63, vcc, s4, v63
	v_addc_co_u32_e32 v64, vcc, v69, v64, vcc
	flat_load_dwordx2 v[67:68], v[63:64]
	v_add_u32_e32 v69, s9, v65
	v_ashrrev_i32_e32 v70, 31, v69
	v_lshlrev_b64 v[65:66], 3, v[69:70]
	v_add_u32_e32 v72, s9, v69
	v_add_co_u32_e32 v65, vcc, s4, v65
	v_addc_co_u32_e32 v66, vcc, v71, v66, vcc
	v_ashrrev_i32_e32 v73, 31, v72
	s_waitcnt vmcnt(0) lgkmcnt(0)
	buffer_store_dword v68, off, s[0:3], 0 offset:252
	buffer_store_dword v67, off, s[0:3], 0 offset:248
	flat_load_dwordx2 v[70:71], v[65:66]
	v_lshlrev_b64 v[67:68], 3, v[72:73]
	s_waitcnt vmcnt(0) lgkmcnt(0)
	buffer_store_dword v71, off, s[0:3], 0 offset:260
	buffer_store_dword v70, off, s[0:3], 0 offset:256
	v_add_co_u32_e32 v67, vcc, s4, v67
	v_addc_co_u32_e32 v68, vcc, v74, v68, vcc
	;; [unrolled: 27-line block ×7, first 2 shown]
	flat_load_dwordx2 v[103:104], v[97:98]
	v_add_u32_e32 v101, s9, v102
	v_ashrrev_i32_e32 v102, 31, v101
	v_lshlrev_b64 v[99:100], 3, v[101:102]
	v_add_u32_e32 v101, s9, v101
	v_add_co_u32_e32 v99, vcc, s4, v99
	v_addc_co_u32_e32 v100, vcc, v106, v100, vcc
	v_ashrrev_i32_e32 v102, 31, v101
	v_lshlrev_b64 v[101:102], 3, v[101:102]
	s_mov_b64 s[8:9], -1
	v_add_co_u32_e32 v101, vcc, s4, v101
	v_addc_co_u32_e32 v102, vcc, v106, v102, vcc
	s_waitcnt vmcnt(0) lgkmcnt(0)
	buffer_store_dword v104, off, s[0:3], 0 offset:388
	buffer_store_dword v103, off, s[0:3], 0 offset:384
	flat_load_dwordx2 v[103:104], v[99:100]
	s_waitcnt vmcnt(0) lgkmcnt(0)
	buffer_store_dword v104, off, s[0:3], 0 offset:396
	buffer_store_dword v103, off, s[0:3], 0 offset:392
	flat_load_dwordx2 v[103:104], v[101:102]
	s_waitcnt vmcnt(0) lgkmcnt(0)
	buffer_store_dword v104, off, s[0:3], 0 offset:404
	buffer_store_dword v103, off, s[0:3], 0 offset:400
	s_cbranch_scc1 .LBB114_216
; %bb.4:
	v_cmp_eq_u32_e64 s[4:5], 0, v0
	s_and_saveexec_b64 s[8:9], s[4:5]
; %bb.5:
	v_mov_b32_e32 v103, 0
	ds_write_b32 v103, v103 offset:408
; %bb.6:
	s_or_b64 exec, exec, s[8:9]
	v_mov_b32_e32 v103, 0
	v_lshl_add_u32 v107, v0, 3, v103
	s_waitcnt lgkmcnt(0)
	; wave barrier
	buffer_load_dword v103, v107, s[0:3], 0 offen
	buffer_load_dword v104, v107, s[0:3], 0 offen offset:4
	s_waitcnt vmcnt(1)
	v_cmp_eq_f32_e32 vcc, 0, v103
	s_waitcnt vmcnt(0)
	v_cmp_eq_f32_e64 s[8:9], 0, v104
	s_and_b64 s[8:9], vcc, s[8:9]
	s_and_saveexec_b64 s[16:17], s[8:9]
	s_cbranch_execz .LBB114_10
; %bb.7:
	v_mov_b32_e32 v103, 0
	ds_read_b32 v106, v103 offset:408
	v_add_u32_e32 v104, 1, v0
	s_waitcnt lgkmcnt(0)
	v_readfirstlane_b32 s8, v106
	s_cmp_eq_u32 s8, 0
	s_cselect_b64 s[18:19], -1, 0
	v_cmp_gt_i32_e32 vcc, s8, v104
	s_or_b64 s[18:19], s[18:19], vcc
	s_and_b64 exec, exec, s[18:19]
	s_cbranch_execz .LBB114_10
; %bb.8:
	s_mov_b64 s[18:19], 0
	v_mov_b32_e32 v106, s8
.LBB114_9:                              ; =>This Inner Loop Header: Depth=1
	ds_cmpst_rtn_b32 v106, v103, v106, v104 offset:408
	s_waitcnt lgkmcnt(0)
	v_cmp_ne_u32_e32 vcc, 0, v106
	v_cmp_le_i32_e64 s[8:9], v106, v104
	s_and_b64 s[8:9], vcc, s[8:9]
	s_and_b64 s[8:9], exec, s[8:9]
	s_or_b64 s[18:19], s[8:9], s[18:19]
	s_andn2_b64 exec, exec, s[18:19]
	s_cbranch_execnz .LBB114_9
.LBB114_10:
	s_or_b64 exec, exec, s[16:17]
	v_mov_b32_e32 v104, 0
	; wave barrier
	ds_read_b32 v103, v104 offset:408
	s_and_saveexec_b64 s[8:9], s[4:5]
	s_cbranch_execz .LBB114_12
; %bb.11:
	s_lshl_b64 s[16:17], s[6:7], 2
	s_add_u32 s16, s10, s16
	s_addc_u32 s17, s11, s17
	s_waitcnt lgkmcnt(0)
	global_store_dword v104, v103, s[16:17]
.LBB114_12:
	s_or_b64 exec, exec, s[8:9]
	s_waitcnt lgkmcnt(0)
	v_cmp_ne_u32_e32 vcc, 0, v103
	s_mov_b64 s[8:9], 0
	s_cbranch_vccnz .LBB114_216
; %bb.13:
	buffer_load_dword v104, v107, s[0:3], 0 offen
	buffer_load_dword v106, v107, s[0:3], 0 offen offset:4
                                        ; implicit-def: $vgpr109
                                        ; implicit-def: $vgpr108
                                        ; implicit-def: $vgpr103
	s_waitcnt vmcnt(0)
	v_cmp_ngt_f32_e64 s[8:9], |v104|, |v106|
	s_and_saveexec_b64 s[16:17], s[8:9]
	s_xor_b64 s[8:9], exec, s[16:17]
	s_cbranch_execz .LBB114_15
; %bb.14:
	v_div_scale_f32 v103, s[16:17], v106, v106, v104
	v_div_scale_f32 v108, vcc, v104, v106, v104
	v_rcp_f32_e32 v109, v103
	v_fma_f32 v110, -v103, v109, 1.0
	v_fmac_f32_e32 v109, v110, v109
	v_mul_f32_e32 v110, v108, v109
	v_fma_f32 v111, -v103, v110, v108
	v_fmac_f32_e32 v110, v111, v109
	v_fma_f32 v103, -v103, v110, v108
	v_div_fmas_f32 v103, v103, v109, v110
	v_div_fixup_f32 v103, v103, v106, v104
	v_fmac_f32_e32 v106, v104, v103
	v_div_scale_f32 v104, s[16:17], v106, v106, 1.0
	v_div_scale_f32 v108, vcc, 1.0, v106, 1.0
	v_rcp_f32_e32 v109, v104
	v_fma_f32 v110, -v104, v109, 1.0
	v_fmac_f32_e32 v109, v110, v109
	v_mul_f32_e32 v110, v108, v109
	v_fma_f32 v111, -v104, v110, v108
	v_fmac_f32_e32 v110, v111, v109
	v_fma_f32 v104, -v104, v110, v108
	v_div_fmas_f32 v104, v104, v109, v110
	v_div_fixup_f32 v104, v104, v106, 1.0
	v_mul_f32_e32 v109, v103, v104
	v_xor_b32_e32 v108, 0x80000000, v104
	v_xor_b32_e32 v103, 0x80000000, v109
                                        ; implicit-def: $vgpr104
                                        ; implicit-def: $vgpr106
.LBB114_15:
	s_andn2_saveexec_b64 s[8:9], s[8:9]
	s_cbranch_execz .LBB114_17
; %bb.16:
	v_div_scale_f32 v103, s[16:17], v104, v104, v106
	v_div_scale_f32 v108, vcc, v106, v104, v106
	v_rcp_f32_e32 v109, v103
	v_fma_f32 v110, -v103, v109, 1.0
	v_fmac_f32_e32 v109, v110, v109
	v_mul_f32_e32 v110, v108, v109
	v_fma_f32 v111, -v103, v110, v108
	v_fmac_f32_e32 v110, v111, v109
	v_fma_f32 v103, -v103, v110, v108
	v_div_fmas_f32 v103, v103, v109, v110
	v_div_fixup_f32 v108, v103, v104, v106
	v_fmac_f32_e32 v104, v106, v108
	v_div_scale_f32 v103, s[16:17], v104, v104, 1.0
	v_div_scale_f32 v106, vcc, 1.0, v104, 1.0
	v_rcp_f32_e32 v109, v103
	v_fma_f32 v110, -v103, v109, 1.0
	v_fmac_f32_e32 v109, v110, v109
	v_mul_f32_e32 v110, v106, v109
	v_fma_f32 v111, -v103, v110, v106
	v_fmac_f32_e32 v110, v111, v109
	v_fma_f32 v103, -v103, v110, v106
	v_div_fmas_f32 v103, v103, v109, v110
	v_div_fixup_f32 v109, v103, v104, 1.0
	v_xor_b32_e32 v103, 0x80000000, v109
	v_mul_f32_e64 v108, v108, -v109
.LBB114_17:
	s_or_b64 exec, exec, s[8:9]
	buffer_store_dword v109, v107, s[0:3], 0 offen
	buffer_store_dword v108, v107, s[0:3], 0 offen offset:4
	buffer_load_dword v110, off, s[0:3], 0 offset:12
	s_nop 0
	buffer_load_dword v109, off, s[0:3], 0 offset:8
	v_xor_b32_e32 v104, 0x80000000, v108
	v_add_u32_e32 v106, 0x1a0, v105
	s_waitcnt vmcnt(0)
	ds_write2_b64 v105, v[103:104], v[109:110] offset1:52
	s_waitcnt lgkmcnt(0)
	; wave barrier
	s_and_saveexec_b64 s[8:9], s[4:5]
	s_cbranch_execz .LBB114_19
; %bb.18:
	buffer_load_dword v110, v107, s[0:3], 0 offen offset:4
	buffer_load_dword v111, v107, s[0:3], 0 offen
	ds_read_b64 v[103:104], v106
	v_mov_b32_e32 v108, 0
	ds_read_b64 v[108:109], v108 offset:8
	s_waitcnt vmcnt(1) lgkmcnt(1)
	v_mul_f32_e32 v112, v104, v110
	v_mul_f32_e32 v110, v103, v110
	s_waitcnt vmcnt(0)
	v_fmac_f32_e32 v110, v104, v111
	v_fma_f32 v103, v103, v111, -v112
	v_add_f32_e32 v104, 0, v110
	v_add_f32_e32 v103, 0, v103
	s_waitcnt lgkmcnt(0)
	v_mul_f32_e32 v110, v104, v109
	v_mul_f32_e32 v109, v103, v109
	v_fma_f32 v103, v103, v108, -v110
	v_fmac_f32_e32 v109, v104, v108
	buffer_store_dword v103, off, s[0:3], 0 offset:8
	buffer_store_dword v109, off, s[0:3], 0 offset:12
.LBB114_19:
	s_or_b64 exec, exec, s[8:9]
	; wave barrier
	buffer_load_dword v103, off, s[0:3], 0 offset:16
	buffer_load_dword v104, off, s[0:3], 0 offset:20
	v_cmp_gt_u32_e32 vcc, 2, v0
	s_waitcnt vmcnt(0)
	ds_write_b64 v106, v[103:104]
	s_waitcnt lgkmcnt(0)
	; wave barrier
	s_and_saveexec_b64 s[8:9], vcc
	s_cbranch_execz .LBB114_23
; %bb.20:
	buffer_load_dword v108, v107, s[0:3], 0 offen offset:4
	buffer_load_dword v109, v107, s[0:3], 0 offen
	ds_read_b64 v[103:104], v106
	s_waitcnt vmcnt(1) lgkmcnt(0)
	v_mul_f32_e32 v107, v104, v108
	v_mul_f32_e32 v108, v103, v108
	s_waitcnt vmcnt(0)
	v_fma_f32 v103, v103, v109, -v107
	v_fmac_f32_e32 v108, v104, v109
	v_add_f32_e32 v104, 0, v103
	v_add_f32_e32 v103, 0, v108
	s_and_saveexec_b64 s[16:17], s[4:5]
	s_cbranch_execz .LBB114_22
; %bb.21:
	buffer_load_dword v109, off, s[0:3], 0 offset:12
	buffer_load_dword v110, off, s[0:3], 0 offset:8
	v_mov_b32_e32 v107, 0
	ds_read_b64 v[107:108], v107 offset:424
	s_waitcnt vmcnt(1) lgkmcnt(0)
	v_mul_f32_e32 v111, v107, v109
	v_mul_f32_e32 v109, v108, v109
	s_waitcnt vmcnt(0)
	v_fmac_f32_e32 v111, v108, v110
	v_fma_f32 v107, v107, v110, -v109
	v_add_f32_e32 v103, v103, v111
	v_add_f32_e32 v104, v104, v107
.LBB114_22:
	s_or_b64 exec, exec, s[16:17]
	v_mov_b32_e32 v107, 0
	ds_read_b64 v[107:108], v107 offset:16
	s_waitcnt lgkmcnt(0)
	v_mul_f32_e32 v109, v103, v108
	v_mul_f32_e32 v108, v104, v108
	v_fma_f32 v104, v104, v107, -v109
	v_fmac_f32_e32 v108, v103, v107
	buffer_store_dword v104, off, s[0:3], 0 offset:16
	buffer_store_dword v108, off, s[0:3], 0 offset:20
.LBB114_23:
	s_or_b64 exec, exec, s[8:9]
	; wave barrier
	buffer_load_dword v103, off, s[0:3], 0 offset:24
	buffer_load_dword v104, off, s[0:3], 0 offset:28
	v_cmp_gt_u32_e32 vcc, 3, v0
	s_waitcnt vmcnt(0)
	ds_write_b64 v106, v[103:104]
	v_add_u32_e32 v103, -1, v0
	s_waitcnt lgkmcnt(0)
	; wave barrier
	s_and_saveexec_b64 s[4:5], vcc
	s_cbranch_execz .LBB114_27
; %bb.24:
	v_add_u32_e32 v107, -1, v0
	v_add_u32_e32 v108, 0x1a0, v105
	v_mov_b32_e32 v109, v105
	v_mov_b32_e32 v104, 0
	s_mov_b64 s[8:9], 0
	v_mov_b32_e32 v110, 0
.LBB114_25:                             ; =>This Inner Loop Header: Depth=1
	buffer_load_dword v113, v109, s[0:3], 0 offen offset:4
	buffer_load_dword v114, v109, s[0:3], 0 offen
	ds_read_b64 v[111:112], v108
	v_add_u32_e32 v107, 1, v107
	v_cmp_lt_u32_e32 vcc, 1, v107
	v_add_u32_e32 v108, 8, v108
	v_add_u32_e32 v109, 8, v109
	s_or_b64 s[8:9], vcc, s[8:9]
	s_waitcnt vmcnt(1) lgkmcnt(0)
	v_mul_f32_e32 v115, v112, v113
	v_mul_f32_e32 v113, v111, v113
	s_waitcnt vmcnt(0)
	v_fma_f32 v111, v111, v114, -v115
	v_fmac_f32_e32 v113, v112, v114
	v_add_f32_e32 v110, v110, v111
	v_add_f32_e32 v104, v104, v113
	s_andn2_b64 exec, exec, s[8:9]
	s_cbranch_execnz .LBB114_25
; %bb.26:
	s_or_b64 exec, exec, s[8:9]
	v_mov_b32_e32 v107, 0
	ds_read_b64 v[107:108], v107 offset:24
	s_waitcnt lgkmcnt(0)
	v_mul_f32_e32 v109, v104, v108
	v_mul_f32_e32 v108, v110, v108
	v_fma_f32 v109, v110, v107, -v109
	v_fmac_f32_e32 v108, v104, v107
	buffer_store_dword v109, off, s[0:3], 0 offset:24
	buffer_store_dword v108, off, s[0:3], 0 offset:28
.LBB114_27:
	s_or_b64 exec, exec, s[4:5]
	; wave barrier
	buffer_load_dword v107, off, s[0:3], 0 offset:32
	buffer_load_dword v108, off, s[0:3], 0 offset:36
	v_cmp_gt_u32_e32 vcc, 4, v0
	s_waitcnt vmcnt(0)
	ds_write_b64 v106, v[107:108]
	s_waitcnt lgkmcnt(0)
	; wave barrier
	s_and_saveexec_b64 s[4:5], vcc
	s_cbranch_execz .LBB114_31
; %bb.28:
	v_add_u32_e32 v107, -1, v0
	v_add_u32_e32 v108, 0x1a0, v105
	v_mov_b32_e32 v109, v105
	v_mov_b32_e32 v104, 0
	s_mov_b64 s[8:9], 0
	v_mov_b32_e32 v110, 0
.LBB114_29:                             ; =>This Inner Loop Header: Depth=1
	buffer_load_dword v113, v109, s[0:3], 0 offen offset:4
	buffer_load_dword v114, v109, s[0:3], 0 offen
	ds_read_b64 v[111:112], v108
	v_add_u32_e32 v107, 1, v107
	v_cmp_lt_u32_e32 vcc, 2, v107
	v_add_u32_e32 v108, 8, v108
	v_add_u32_e32 v109, 8, v109
	s_or_b64 s[8:9], vcc, s[8:9]
	s_waitcnt vmcnt(1) lgkmcnt(0)
	v_mul_f32_e32 v115, v112, v113
	v_mul_f32_e32 v113, v111, v113
	s_waitcnt vmcnt(0)
	v_fma_f32 v111, v111, v114, -v115
	v_fmac_f32_e32 v113, v112, v114
	v_add_f32_e32 v110, v110, v111
	v_add_f32_e32 v104, v104, v113
	s_andn2_b64 exec, exec, s[8:9]
	s_cbranch_execnz .LBB114_29
; %bb.30:
	s_or_b64 exec, exec, s[8:9]
	v_mov_b32_e32 v107, 0
	ds_read_b64 v[107:108], v107 offset:32
	s_waitcnt lgkmcnt(0)
	v_mul_f32_e32 v109, v104, v108
	v_mul_f32_e32 v108, v110, v108
	v_fma_f32 v109, v110, v107, -v109
	v_fmac_f32_e32 v108, v104, v107
	buffer_store_dword v109, off, s[0:3], 0 offset:32
	buffer_store_dword v108, off, s[0:3], 0 offset:36
.LBB114_31:
	s_or_b64 exec, exec, s[4:5]
	; wave barrier
	buffer_load_dword v107, off, s[0:3], 0 offset:40
	buffer_load_dword v108, off, s[0:3], 0 offset:44
	v_cmp_gt_u32_e32 vcc, 5, v0
	s_waitcnt vmcnt(0)
	ds_write_b64 v106, v[107:108]
	;; [unrolled: 49-line block ×19, first 2 shown]
	s_waitcnt lgkmcnt(0)
	; wave barrier
	s_and_saveexec_b64 s[4:5], vcc
	s_cbranch_execz .LBB114_103
; %bb.100:
	v_add_u32_e32 v107, -1, v0
	v_add_u32_e32 v108, 0x1a0, v105
	v_mov_b32_e32 v109, v105
	v_mov_b32_e32 v104, 0
	s_mov_b64 s[8:9], 0
	v_mov_b32_e32 v110, 0
.LBB114_101:                            ; =>This Inner Loop Header: Depth=1
	buffer_load_dword v113, v109, s[0:3], 0 offen offset:4
	buffer_load_dword v114, v109, s[0:3], 0 offen
	ds_read_b64 v[111:112], v108
	v_add_u32_e32 v107, 1, v107
	v_cmp_lt_u32_e32 vcc, 20, v107
	v_add_u32_e32 v108, 8, v108
	v_add_u32_e32 v109, 8, v109
	s_or_b64 s[8:9], vcc, s[8:9]
	s_waitcnt vmcnt(1) lgkmcnt(0)
	v_mul_f32_e32 v115, v112, v113
	v_mul_f32_e32 v113, v111, v113
	s_waitcnt vmcnt(0)
	v_fma_f32 v111, v111, v114, -v115
	v_fmac_f32_e32 v113, v112, v114
	v_add_f32_e32 v110, v110, v111
	v_add_f32_e32 v104, v104, v113
	s_andn2_b64 exec, exec, s[8:9]
	s_cbranch_execnz .LBB114_101
; %bb.102:
	s_or_b64 exec, exec, s[8:9]
	v_mov_b32_e32 v107, 0
	ds_read_b64 v[107:108], v107 offset:176
	s_waitcnt lgkmcnt(0)
	v_mul_f32_e32 v109, v104, v108
	v_mul_f32_e32 v108, v110, v108
	v_fma_f32 v109, v110, v107, -v109
	v_fmac_f32_e32 v108, v104, v107
	buffer_store_dword v109, off, s[0:3], 0 offset:176
	buffer_store_dword v108, off, s[0:3], 0 offset:180
.LBB114_103:
	s_or_b64 exec, exec, s[4:5]
	; wave barrier
	buffer_load_dword v107, off, s[0:3], 0 offset:184
	buffer_load_dword v108, off, s[0:3], 0 offset:188
	v_cmp_gt_u32_e32 vcc, 23, v0
	s_waitcnt vmcnt(0)
	ds_write_b64 v106, v[107:108]
	s_waitcnt lgkmcnt(0)
	; wave barrier
	s_and_saveexec_b64 s[4:5], vcc
	s_cbranch_execz .LBB114_107
; %bb.104:
	v_add_u32_e32 v107, -1, v0
	v_add_u32_e32 v108, 0x1a0, v105
	v_mov_b32_e32 v109, v105
	v_mov_b32_e32 v104, 0
	s_mov_b64 s[8:9], 0
	v_mov_b32_e32 v110, 0
.LBB114_105:                            ; =>This Inner Loop Header: Depth=1
	buffer_load_dword v113, v109, s[0:3], 0 offen offset:4
	buffer_load_dword v114, v109, s[0:3], 0 offen
	ds_read_b64 v[111:112], v108
	v_add_u32_e32 v107, 1, v107
	v_cmp_lt_u32_e32 vcc, 21, v107
	v_add_u32_e32 v108, 8, v108
	v_add_u32_e32 v109, 8, v109
	s_or_b64 s[8:9], vcc, s[8:9]
	s_waitcnt vmcnt(1) lgkmcnt(0)
	v_mul_f32_e32 v115, v112, v113
	v_mul_f32_e32 v113, v111, v113
	s_waitcnt vmcnt(0)
	v_fma_f32 v111, v111, v114, -v115
	v_fmac_f32_e32 v113, v112, v114
	v_add_f32_e32 v110, v110, v111
	v_add_f32_e32 v104, v104, v113
	s_andn2_b64 exec, exec, s[8:9]
	s_cbranch_execnz .LBB114_105
; %bb.106:
	s_or_b64 exec, exec, s[8:9]
	v_mov_b32_e32 v107, 0
	ds_read_b64 v[107:108], v107 offset:184
	s_waitcnt lgkmcnt(0)
	v_mul_f32_e32 v109, v104, v108
	v_mul_f32_e32 v108, v110, v108
	v_fma_f32 v109, v110, v107, -v109
	v_fmac_f32_e32 v108, v104, v107
	buffer_store_dword v109, off, s[0:3], 0 offset:184
	buffer_store_dword v108, off, s[0:3], 0 offset:188
.LBB114_107:
	s_or_b64 exec, exec, s[4:5]
	; wave barrier
	buffer_load_dword v107, off, s[0:3], 0 offset:192
	buffer_load_dword v108, off, s[0:3], 0 offset:196
	v_cmp_gt_u32_e32 vcc, 24, v0
	s_waitcnt vmcnt(0)
	ds_write_b64 v106, v[107:108]
	;; [unrolled: 49-line block ×27, first 2 shown]
	s_waitcnt lgkmcnt(0)
	; wave barrier
	s_and_saveexec_b64 s[4:5], vcc
	s_cbranch_execz .LBB114_211
; %bb.208:
	v_add_u32_e32 v107, -1, v0
	v_add_u32_e32 v108, 0x1a0, v105
	v_mov_b32_e32 v109, v105
	v_mov_b32_e32 v104, 0
	s_mov_b64 s[8:9], 0
	v_mov_b32_e32 v110, 0
.LBB114_209:                            ; =>This Inner Loop Header: Depth=1
	buffer_load_dword v113, v109, s[0:3], 0 offen offset:4
	buffer_load_dword v114, v109, s[0:3], 0 offen
	ds_read_b64 v[111:112], v108
	v_add_u32_e32 v107, 1, v107
	v_cmp_lt_u32_e32 vcc, 47, v107
	v_add_u32_e32 v108, 8, v108
	v_add_u32_e32 v109, 8, v109
	s_or_b64 s[8:9], vcc, s[8:9]
	s_waitcnt vmcnt(1) lgkmcnt(0)
	v_mul_f32_e32 v115, v112, v113
	v_mul_f32_e32 v113, v111, v113
	s_waitcnt vmcnt(0)
	v_fma_f32 v111, v111, v114, -v115
	v_fmac_f32_e32 v113, v112, v114
	v_add_f32_e32 v110, v110, v111
	v_add_f32_e32 v104, v104, v113
	s_andn2_b64 exec, exec, s[8:9]
	s_cbranch_execnz .LBB114_209
; %bb.210:
	s_or_b64 exec, exec, s[8:9]
	v_mov_b32_e32 v107, 0
	ds_read_b64 v[107:108], v107 offset:392
	s_waitcnt lgkmcnt(0)
	v_mul_f32_e32 v109, v104, v108
	v_mul_f32_e32 v108, v110, v108
	v_fma_f32 v109, v110, v107, -v109
	v_fmac_f32_e32 v108, v104, v107
	buffer_store_dword v109, off, s[0:3], 0 offset:392
	buffer_store_dword v108, off, s[0:3], 0 offset:396
.LBB114_211:
	s_or_b64 exec, exec, s[4:5]
	; wave barrier
	buffer_load_dword v107, off, s[0:3], 0 offset:400
	buffer_load_dword v108, off, s[0:3], 0 offset:404
	v_cmp_ne_u32_e32 vcc, 50, v0
	s_waitcnt vmcnt(0)
	ds_write_b64 v106, v[107:108]
	s_waitcnt lgkmcnt(0)
	; wave barrier
	s_and_saveexec_b64 s[4:5], vcc
	s_cbranch_execz .LBB114_215
; %bb.212:
	v_add_u32_e32 v106, 0x1a0, v105
	v_mov_b32_e32 v104, 0
	s_mov_b64 s[8:9], 0
	v_mov_b32_e32 v107, 0
.LBB114_213:                            ; =>This Inner Loop Header: Depth=1
	buffer_load_dword v110, v105, s[0:3], 0 offen offset:4
	buffer_load_dword v111, v105, s[0:3], 0 offen
	ds_read_b64 v[108:109], v106
	v_add_u32_e32 v103, 1, v103
	v_cmp_lt_u32_e32 vcc, 48, v103
	v_add_u32_e32 v106, 8, v106
	v_add_u32_e32 v105, 8, v105
	s_or_b64 s[8:9], vcc, s[8:9]
	s_waitcnt vmcnt(1) lgkmcnt(0)
	v_mul_f32_e32 v112, v109, v110
	v_mul_f32_e32 v110, v108, v110
	s_waitcnt vmcnt(0)
	v_fma_f32 v108, v108, v111, -v112
	v_fmac_f32_e32 v110, v109, v111
	v_add_f32_e32 v107, v107, v108
	v_add_f32_e32 v104, v104, v110
	s_andn2_b64 exec, exec, s[8:9]
	s_cbranch_execnz .LBB114_213
; %bb.214:
	s_or_b64 exec, exec, s[8:9]
	v_mov_b32_e32 v103, 0
	ds_read_b64 v[105:106], v103 offset:400
	s_waitcnt lgkmcnt(0)
	v_mul_f32_e32 v103, v104, v106
	v_mul_f32_e32 v106, v107, v106
	v_fma_f32 v103, v107, v105, -v103
	v_fmac_f32_e32 v106, v104, v105
	buffer_store_dword v103, off, s[0:3], 0 offset:400
	buffer_store_dword v106, off, s[0:3], 0 offset:404
.LBB114_215:
	s_or_b64 exec, exec, s[4:5]
	s_mov_b64 s[8:9], -1
	; wave barrier
.LBB114_216:
	s_and_b64 vcc, exec, s[8:9]
	s_cbranch_vccz .LBB114_218
; %bb.217:
	s_lshl_b64 s[4:5], s[6:7], 2
	s_add_u32 s4, s10, s4
	s_addc_u32 s5, s11, s5
	v_mov_b32_e32 v103, 0
	global_load_dword v103, v103, s[4:5]
	s_waitcnt vmcnt(0)
	v_cmp_ne_u32_e32 vcc, 0, v103
	s_cbranch_vccz .LBB114_219
.LBB114_218:
	s_endpgm
.LBB114_219:
	v_mov_b32_e32 v103, 0x1a0
	v_lshl_add_u32 v103, v0, 3, v103
	v_cmp_eq_u32_e32 vcc, 50, v0
	s_and_saveexec_b64 s[4:5], vcc
	s_cbranch_execz .LBB114_221
; %bb.220:
	buffer_load_dword v104, off, s[0:3], 0 offset:392
	buffer_load_dword v105, off, s[0:3], 0 offset:396
	v_mov_b32_e32 v106, 0
	buffer_store_dword v106, off, s[0:3], 0 offset:392
	buffer_store_dword v106, off, s[0:3], 0 offset:396
	s_waitcnt vmcnt(2)
	ds_write_b64 v103, v[104:105]
.LBB114_221:
	s_or_b64 exec, exec, s[4:5]
	s_waitcnt lgkmcnt(0)
	; wave barrier
	buffer_load_dword v107, off, s[0:3], 0 offset:404
	buffer_load_dword v108, off, s[0:3], 0 offset:400
	;; [unrolled: 1-line block ×4, first 2 shown]
	v_mov_b32_e32 v104, 0
	ds_read_b64 v[105:106], v104 offset:816
	v_cmp_lt_u32_e32 vcc, 48, v0
	s_waitcnt vmcnt(3) lgkmcnt(0)
	v_mul_f32_e32 v111, v105, v107
	v_mul_f32_e32 v107, v106, v107
	s_waitcnt vmcnt(2)
	v_fma_f32 v105, v105, v108, -v107
	v_fmac_f32_e32 v111, v106, v108
	v_add_f32_e32 v105, 0, v105
	v_add_f32_e32 v106, 0, v111
	s_waitcnt vmcnt(1)
	v_sub_f32_e32 v105, v109, v105
	s_waitcnt vmcnt(0)
	v_sub_f32_e32 v106, v110, v106
	buffer_store_dword v105, off, s[0:3], 0 offset:392
	buffer_store_dword v106, off, s[0:3], 0 offset:396
	s_and_saveexec_b64 s[4:5], vcc
	s_cbranch_execz .LBB114_223
; %bb.222:
	buffer_load_dword v105, off, s[0:3], 0 offset:384
	buffer_load_dword v106, off, s[0:3], 0 offset:388
	s_waitcnt vmcnt(0)
	ds_write_b64 v103, v[105:106]
	buffer_store_dword v104, off, s[0:3], 0 offset:384
	buffer_store_dword v104, off, s[0:3], 0 offset:388
.LBB114_223:
	s_or_b64 exec, exec, s[4:5]
	s_waitcnt lgkmcnt(0)
	; wave barrier
	buffer_load_dword v108, off, s[0:3], 0 offset:396
	buffer_load_dword v109, off, s[0:3], 0 offset:404
	;; [unrolled: 1-line block ×6, first 2 shown]
	ds_read2_b64 v[104:107], v104 offset0:101 offset1:102
	v_cmp_lt_u32_e32 vcc, 47, v0
	s_waitcnt vmcnt(5) lgkmcnt(0)
	v_mul_f32_e32 v114, v104, v108
	v_mul_f32_e32 v108, v105, v108
	s_waitcnt vmcnt(4)
	v_mul_f32_e32 v115, v106, v109
	v_mul_f32_e32 v109, v107, v109
	s_waitcnt vmcnt(3)
	v_fma_f32 v104, v104, v110, -v108
	v_fmac_f32_e32 v114, v105, v110
	s_waitcnt vmcnt(2)
	v_fma_f32 v105, v106, v111, -v109
	v_add_f32_e32 v104, 0, v104
	v_fmac_f32_e32 v115, v107, v111
	v_add_f32_e32 v106, 0, v114
	v_add_f32_e32 v104, v104, v105
	;; [unrolled: 1-line block ×3, first 2 shown]
	s_waitcnt vmcnt(1)
	v_sub_f32_e32 v104, v112, v104
	s_waitcnt vmcnt(0)
	v_sub_f32_e32 v105, v113, v106
	buffer_store_dword v104, off, s[0:3], 0 offset:384
	buffer_store_dword v105, off, s[0:3], 0 offset:388
	s_and_saveexec_b64 s[4:5], vcc
	s_cbranch_execz .LBB114_225
; %bb.224:
	buffer_load_dword v104, off, s[0:3], 0 offset:376
	buffer_load_dword v105, off, s[0:3], 0 offset:380
	v_mov_b32_e32 v106, 0
	buffer_store_dword v106, off, s[0:3], 0 offset:376
	buffer_store_dword v106, off, s[0:3], 0 offset:380
	s_waitcnt vmcnt(2)
	ds_write_b64 v103, v[104:105]
.LBB114_225:
	s_or_b64 exec, exec, s[4:5]
	s_waitcnt lgkmcnt(0)
	; wave barrier
	buffer_load_dword v111, off, s[0:3], 0 offset:388
	buffer_load_dword v112, off, s[0:3], 0 offset:396
	;; [unrolled: 1-line block ×8, first 2 shown]
	v_mov_b32_e32 v104, 0
	ds_read_b128 v[105:108], v104 offset:800
	ds_read_b64 v[109:110], v104 offset:816
	v_cmp_lt_u32_e32 vcc, 46, v0
	s_waitcnt vmcnt(7) lgkmcnt(1)
	v_mul_f32_e32 v119, v105, v111
	v_mul_f32_e32 v111, v106, v111
	s_waitcnt vmcnt(6)
	v_mul_f32_e32 v120, v107, v112
	v_mul_f32_e32 v112, v108, v112
	s_waitcnt vmcnt(4)
	v_fma_f32 v105, v105, v114, -v111
	s_waitcnt lgkmcnt(0)
	v_mul_f32_e32 v121, v109, v113
	v_mul_f32_e32 v113, v110, v113
	v_fmac_f32_e32 v119, v106, v114
	s_waitcnt vmcnt(3)
	v_fma_f32 v106, v107, v115, -v112
	v_add_f32_e32 v105, 0, v105
	v_fmac_f32_e32 v120, v108, v115
	s_waitcnt vmcnt(2)
	v_fma_f32 v107, v109, v116, -v113
	v_add_f32_e32 v108, 0, v119
	v_add_f32_e32 v105, v105, v106
	v_fmac_f32_e32 v121, v110, v116
	v_add_f32_e32 v108, v108, v120
	v_add_f32_e32 v105, v105, v107
	;; [unrolled: 1-line block ×3, first 2 shown]
	s_waitcnt vmcnt(1)
	v_sub_f32_e32 v105, v117, v105
	s_waitcnt vmcnt(0)
	v_sub_f32_e32 v106, v118, v106
	buffer_store_dword v105, off, s[0:3], 0 offset:376
	buffer_store_dword v106, off, s[0:3], 0 offset:380
	s_and_saveexec_b64 s[4:5], vcc
	s_cbranch_execz .LBB114_227
; %bb.226:
	buffer_load_dword v105, off, s[0:3], 0 offset:368
	buffer_load_dword v106, off, s[0:3], 0 offset:372
	s_waitcnt vmcnt(0)
	ds_write_b64 v103, v[105:106]
	buffer_store_dword v104, off, s[0:3], 0 offset:368
	buffer_store_dword v104, off, s[0:3], 0 offset:372
.LBB114_227:
	s_or_b64 exec, exec, s[4:5]
	s_waitcnt lgkmcnt(0)
	; wave barrier
	buffer_load_dword v113, off, s[0:3], 0 offset:380
	buffer_load_dword v114, off, s[0:3], 0 offset:388
	;; [unrolled: 1-line block ×10, first 2 shown]
	ds_read2_b64 v[105:108], v104 offset0:99 offset1:100
	ds_read2_b64 v[109:112], v104 offset0:101 offset1:102
	v_cmp_lt_u32_e32 vcc, 45, v0
	s_waitcnt vmcnt(9) lgkmcnt(1)
	v_mul_f32_e32 v104, v105, v113
	v_mul_f32_e32 v113, v106, v113
	s_waitcnt vmcnt(8)
	v_mul_f32_e32 v123, v107, v114
	v_mul_f32_e32 v114, v108, v114
	s_waitcnt vmcnt(5)
	v_fma_f32 v105, v105, v117, -v113
	s_waitcnt lgkmcnt(0)
	v_mul_f32_e32 v124, v109, v115
	v_mul_f32_e32 v115, v110, v115
	v_fmac_f32_e32 v104, v106, v117
	s_waitcnt vmcnt(4)
	v_fma_f32 v106, v107, v118, -v114
	v_add_f32_e32 v105, 0, v105
	v_mul_f32_e32 v125, v111, v116
	v_mul_f32_e32 v116, v112, v116
	v_fmac_f32_e32 v123, v108, v118
	s_waitcnt vmcnt(3)
	v_fma_f32 v107, v109, v119, -v115
	v_add_f32_e32 v104, 0, v104
	v_add_f32_e32 v105, v105, v106
	v_fmac_f32_e32 v124, v110, v119
	s_waitcnt vmcnt(2)
	v_fma_f32 v108, v111, v120, -v116
	v_add_f32_e32 v104, v104, v123
	v_add_f32_e32 v105, v105, v107
	v_fmac_f32_e32 v125, v112, v120
	v_add_f32_e32 v104, v104, v124
	v_add_f32_e32 v105, v105, v108
	;; [unrolled: 1-line block ×3, first 2 shown]
	s_waitcnt vmcnt(1)
	v_sub_f32_e32 v105, v121, v105
	s_waitcnt vmcnt(0)
	v_sub_f32_e32 v104, v122, v104
	buffer_store_dword v105, off, s[0:3], 0 offset:368
	buffer_store_dword v104, off, s[0:3], 0 offset:372
	s_and_saveexec_b64 s[4:5], vcc
	s_cbranch_execz .LBB114_229
; %bb.228:
	buffer_load_dword v104, off, s[0:3], 0 offset:360
	buffer_load_dword v105, off, s[0:3], 0 offset:364
	v_mov_b32_e32 v106, 0
	buffer_store_dword v106, off, s[0:3], 0 offset:360
	buffer_store_dword v106, off, s[0:3], 0 offset:364
	s_waitcnt vmcnt(2)
	ds_write_b64 v103, v[104:105]
.LBB114_229:
	s_or_b64 exec, exec, s[4:5]
	s_waitcnt lgkmcnt(0)
	; wave barrier
	buffer_load_dword v115, off, s[0:3], 0 offset:372
	buffer_load_dword v116, off, s[0:3], 0 offset:380
	;; [unrolled: 1-line block ×12, first 2 shown]
	v_mov_b32_e32 v104, 0
	ds_read_b128 v[105:108], v104 offset:784
	ds_read_b128 v[109:112], v104 offset:800
	ds_read_b64 v[113:114], v104 offset:816
	v_cmp_lt_u32_e32 vcc, 44, v0
	s_waitcnt vmcnt(11) lgkmcnt(2)
	v_mul_f32_e32 v127, v105, v115
	v_mul_f32_e32 v115, v106, v115
	s_waitcnt vmcnt(10)
	v_mul_f32_e32 v128, v107, v116
	v_mul_f32_e32 v116, v108, v116
	s_waitcnt vmcnt(9) lgkmcnt(1)
	v_mul_f32_e32 v129, v109, v117
	s_waitcnt vmcnt(6)
	v_fma_f32 v105, v105, v120, -v115
	v_mul_f32_e32 v117, v110, v117
	v_fmac_f32_e32 v127, v106, v120
	s_waitcnt vmcnt(5)
	v_fma_f32 v106, v107, v121, -v116
	v_add_f32_e32 v105, 0, v105
	v_mul_f32_e32 v130, v111, v118
	v_mul_f32_e32 v118, v112, v118
	v_fmac_f32_e32 v128, v108, v121
	s_waitcnt vmcnt(4)
	v_fmac_f32_e32 v129, v110, v122
	v_fma_f32 v107, v109, v122, -v117
	v_add_f32_e32 v110, 0, v127
	v_add_f32_e32 v105, v105, v106
	s_waitcnt lgkmcnt(0)
	v_mul_f32_e32 v131, v113, v119
	v_mul_f32_e32 v119, v114, v119
	s_waitcnt vmcnt(3)
	v_fma_f32 v108, v111, v123, -v118
	v_add_f32_e32 v110, v110, v128
	v_add_f32_e32 v105, v105, v107
	v_fmac_f32_e32 v130, v112, v123
	s_waitcnt vmcnt(2)
	v_fma_f32 v109, v113, v124, -v119
	v_add_f32_e32 v106, v110, v129
	v_add_f32_e32 v105, v105, v108
	v_fmac_f32_e32 v131, v114, v124
	v_add_f32_e32 v106, v106, v130
	v_add_f32_e32 v105, v105, v109
	;; [unrolled: 1-line block ×3, first 2 shown]
	s_waitcnt vmcnt(1)
	v_sub_f32_e32 v105, v125, v105
	s_waitcnt vmcnt(0)
	v_sub_f32_e32 v106, v126, v106
	buffer_store_dword v105, off, s[0:3], 0 offset:360
	buffer_store_dword v106, off, s[0:3], 0 offset:364
	s_and_saveexec_b64 s[4:5], vcc
	s_cbranch_execz .LBB114_231
; %bb.230:
	buffer_load_dword v105, off, s[0:3], 0 offset:352
	buffer_load_dword v106, off, s[0:3], 0 offset:356
	s_waitcnt vmcnt(0)
	ds_write_b64 v103, v[105:106]
	buffer_store_dword v104, off, s[0:3], 0 offset:352
	buffer_store_dword v104, off, s[0:3], 0 offset:356
.LBB114_231:
	s_or_b64 exec, exec, s[4:5]
	s_waitcnt lgkmcnt(0)
	; wave barrier
	buffer_load_dword v117, off, s[0:3], 0 offset:364
	buffer_load_dword v118, off, s[0:3], 0 offset:372
	;; [unrolled: 1-line block ×14, first 2 shown]
	ds_read2_b64 v[105:108], v104 offset0:97 offset1:98
	ds_read2_b64 v[109:112], v104 offset0:99 offset1:100
	;; [unrolled: 1-line block ×3, first 2 shown]
	v_cmp_lt_u32_e32 vcc, 43, v0
	s_waitcnt vmcnt(13) lgkmcnt(2)
	v_mul_f32_e32 v104, v105, v117
	v_mul_f32_e32 v117, v106, v117
	s_waitcnt vmcnt(12)
	v_mul_f32_e32 v131, v107, v118
	v_mul_f32_e32 v118, v108, v118
	s_waitcnt vmcnt(11) lgkmcnt(1)
	v_mul_f32_e32 v132, v109, v119
	v_mul_f32_e32 v119, v110, v119
	s_waitcnt vmcnt(7)
	v_fma_f32 v105, v105, v123, -v117
	v_fmac_f32_e32 v104, v106, v123
	s_waitcnt vmcnt(6)
	v_fma_f32 v106, v107, v124, -v118
	v_add_f32_e32 v105, 0, v105
	v_mul_f32_e32 v133, v111, v120
	v_mul_f32_e32 v120, v112, v120
	v_fmac_f32_e32 v131, v108, v124
	s_waitcnt vmcnt(5)
	v_fma_f32 v107, v109, v125, -v119
	v_add_f32_e32 v104, 0, v104
	v_add_f32_e32 v105, v105, v106
	s_waitcnt lgkmcnt(0)
	v_mul_f32_e32 v134, v113, v121
	v_mul_f32_e32 v121, v114, v121
	v_fmac_f32_e32 v132, v110, v125
	s_waitcnt vmcnt(4)
	v_fma_f32 v108, v111, v126, -v120
	v_add_f32_e32 v104, v104, v131
	v_add_f32_e32 v105, v105, v107
	v_mul_f32_e32 v135, v115, v122
	v_mul_f32_e32 v122, v116, v122
	v_fmac_f32_e32 v133, v112, v126
	s_waitcnt vmcnt(3)
	v_fma_f32 v109, v113, v127, -v121
	v_add_f32_e32 v104, v104, v132
	v_add_f32_e32 v105, v105, v108
	v_fmac_f32_e32 v134, v114, v127
	s_waitcnt vmcnt(2)
	v_fma_f32 v110, v115, v128, -v122
	v_add_f32_e32 v104, v104, v133
	v_add_f32_e32 v105, v105, v109
	v_fmac_f32_e32 v135, v116, v128
	v_add_f32_e32 v104, v104, v134
	v_add_f32_e32 v105, v105, v110
	v_add_f32_e32 v104, v104, v135
	s_waitcnt vmcnt(1)
	v_sub_f32_e32 v105, v129, v105
	s_waitcnt vmcnt(0)
	v_sub_f32_e32 v104, v130, v104
	buffer_store_dword v105, off, s[0:3], 0 offset:352
	buffer_store_dword v104, off, s[0:3], 0 offset:356
	s_and_saveexec_b64 s[4:5], vcc
	s_cbranch_execz .LBB114_233
; %bb.232:
	buffer_load_dword v104, off, s[0:3], 0 offset:344
	buffer_load_dword v105, off, s[0:3], 0 offset:348
	v_mov_b32_e32 v106, 0
	buffer_store_dword v106, off, s[0:3], 0 offset:344
	buffer_store_dword v106, off, s[0:3], 0 offset:348
	s_waitcnt vmcnt(2)
	ds_write_b64 v103, v[104:105]
.LBB114_233:
	s_or_b64 exec, exec, s[4:5]
	s_waitcnt lgkmcnt(0)
	; wave barrier
	buffer_load_dword v119, off, s[0:3], 0 offset:356
	buffer_load_dword v120, off, s[0:3], 0 offset:364
	;; [unrolled: 1-line block ×16, first 2 shown]
	v_mov_b32_e32 v104, 0
	ds_read_b128 v[105:108], v104 offset:768
	ds_read_b128 v[109:112], v104 offset:784
	;; [unrolled: 1-line block ×3, first 2 shown]
	ds_read_b64 v[117:118], v104 offset:816
	v_cmp_lt_u32_e32 vcc, 42, v0
	s_waitcnt vmcnt(15) lgkmcnt(3)
	v_mul_f32_e32 v135, v105, v119
	v_mul_f32_e32 v119, v106, v119
	s_waitcnt vmcnt(14)
	v_mul_f32_e32 v136, v107, v120
	v_mul_f32_e32 v120, v108, v120
	s_waitcnt vmcnt(13) lgkmcnt(2)
	v_mul_f32_e32 v137, v109, v121
	s_waitcnt vmcnt(12)
	v_mul_f32_e32 v138, v111, v122
	v_mul_f32_e32 v121, v110, v121
	s_waitcnt vmcnt(8)
	v_fma_f32 v105, v105, v126, -v119
	v_fmac_f32_e32 v135, v106, v126
	s_waitcnt vmcnt(7)
	v_fma_f32 v106, v107, v127, -v120
	v_add_f32_e32 v105, 0, v105
	v_mul_f32_e32 v122, v112, v122
	v_fmac_f32_e32 v136, v108, v127
	s_waitcnt vmcnt(5)
	v_fmac_f32_e32 v138, v112, v129
	v_fma_f32 v107, v109, v128, -v121
	v_add_f32_e32 v112, 0, v135
	v_add_f32_e32 v105, v105, v106
	s_waitcnt lgkmcnt(1)
	v_mul_f32_e32 v139, v113, v123
	v_mul_f32_e32 v123, v114, v123
	v_fmac_f32_e32 v137, v110, v128
	v_fma_f32 v108, v111, v129, -v122
	v_add_f32_e32 v112, v112, v136
	v_add_f32_e32 v105, v105, v107
	v_mul_f32_e32 v140, v115, v124
	v_mul_f32_e32 v124, v116, v124
	s_waitcnt vmcnt(4)
	v_fma_f32 v109, v113, v130, -v123
	v_add_f32_e32 v106, v112, v137
	v_add_f32_e32 v105, v105, v108
	s_waitcnt lgkmcnt(0)
	v_mul_f32_e32 v141, v117, v125
	v_mul_f32_e32 v125, v118, v125
	v_fmac_f32_e32 v139, v114, v130
	s_waitcnt vmcnt(3)
	v_fma_f32 v110, v115, v131, -v124
	v_add_f32_e32 v106, v106, v138
	v_add_f32_e32 v105, v105, v109
	v_fmac_f32_e32 v140, v116, v131
	s_waitcnt vmcnt(2)
	v_fma_f32 v111, v117, v132, -v125
	v_add_f32_e32 v106, v106, v139
	v_add_f32_e32 v105, v105, v110
	v_fmac_f32_e32 v141, v118, v132
	v_add_f32_e32 v106, v106, v140
	v_add_f32_e32 v105, v105, v111
	;; [unrolled: 1-line block ×3, first 2 shown]
	s_waitcnt vmcnt(1)
	v_sub_f32_e32 v105, v133, v105
	s_waitcnt vmcnt(0)
	v_sub_f32_e32 v106, v134, v106
	buffer_store_dword v105, off, s[0:3], 0 offset:344
	buffer_store_dword v106, off, s[0:3], 0 offset:348
	s_and_saveexec_b64 s[4:5], vcc
	s_cbranch_execz .LBB114_235
; %bb.234:
	buffer_load_dword v105, off, s[0:3], 0 offset:336
	buffer_load_dword v106, off, s[0:3], 0 offset:340
	s_waitcnt vmcnt(0)
	ds_write_b64 v103, v[105:106]
	buffer_store_dword v104, off, s[0:3], 0 offset:336
	buffer_store_dword v104, off, s[0:3], 0 offset:340
.LBB114_235:
	s_or_b64 exec, exec, s[4:5]
	s_waitcnt lgkmcnt(0)
	; wave barrier
	buffer_load_dword v121, off, s[0:3], 0 offset:348
	buffer_load_dword v122, off, s[0:3], 0 offset:356
	;; [unrolled: 1-line block ×18, first 2 shown]
	ds_read2_b64 v[105:108], v104 offset0:95 offset1:96
	ds_read2_b64 v[109:112], v104 offset0:97 offset1:98
	;; [unrolled: 1-line block ×4, first 2 shown]
	v_cmp_lt_u32_e32 vcc, 41, v0
	s_waitcnt vmcnt(17) lgkmcnt(3)
	v_mul_f32_e32 v104, v105, v121
	v_mul_f32_e32 v121, v106, v121
	s_waitcnt vmcnt(16)
	v_mul_f32_e32 v139, v107, v122
	v_mul_f32_e32 v122, v108, v122
	s_waitcnt vmcnt(15) lgkmcnt(2)
	v_mul_f32_e32 v140, v109, v123
	v_mul_f32_e32 v123, v110, v123
	s_waitcnt vmcnt(14)
	v_mul_f32_e32 v141, v111, v124
	v_mul_f32_e32 v124, v112, v124
	s_waitcnt vmcnt(9)
	v_fma_f32 v105, v105, v129, -v121
	v_fmac_f32_e32 v104, v106, v129
	s_waitcnt vmcnt(8)
	v_fma_f32 v106, v107, v130, -v122
	v_add_f32_e32 v105, 0, v105
	v_fmac_f32_e32 v139, v108, v130
	s_waitcnt vmcnt(7)
	v_fma_f32 v107, v109, v131, -v123
	v_add_f32_e32 v104, 0, v104
	v_add_f32_e32 v105, v105, v106
	s_waitcnt lgkmcnt(1)
	v_mul_f32_e32 v142, v113, v125
	v_mul_f32_e32 v125, v114, v125
	v_fmac_f32_e32 v140, v110, v131
	s_waitcnt vmcnt(6)
	v_fma_f32 v108, v111, v132, -v124
	v_add_f32_e32 v104, v104, v139
	v_add_f32_e32 v105, v105, v107
	v_mul_f32_e32 v143, v115, v126
	v_mul_f32_e32 v126, v116, v126
	v_fmac_f32_e32 v141, v112, v132
	s_waitcnt vmcnt(5)
	v_fma_f32 v109, v113, v133, -v125
	v_add_f32_e32 v104, v104, v140
	v_add_f32_e32 v105, v105, v108
	s_waitcnt lgkmcnt(0)
	v_mul_f32_e32 v144, v117, v127
	v_mul_f32_e32 v127, v118, v127
	v_fmac_f32_e32 v142, v114, v133
	s_waitcnt vmcnt(4)
	v_fma_f32 v110, v115, v134, -v126
	v_add_f32_e32 v104, v104, v141
	v_add_f32_e32 v105, v105, v109
	v_mul_f32_e32 v145, v119, v128
	v_mul_f32_e32 v128, v120, v128
	v_fmac_f32_e32 v143, v116, v134
	s_waitcnt vmcnt(3)
	v_fma_f32 v111, v117, v135, -v127
	v_add_f32_e32 v104, v104, v142
	v_add_f32_e32 v105, v105, v110
	v_fmac_f32_e32 v144, v118, v135
	s_waitcnt vmcnt(2)
	v_fma_f32 v112, v119, v136, -v128
	v_add_f32_e32 v104, v104, v143
	v_add_f32_e32 v105, v105, v111
	v_fmac_f32_e32 v145, v120, v136
	v_add_f32_e32 v104, v104, v144
	v_add_f32_e32 v105, v105, v112
	;; [unrolled: 1-line block ×3, first 2 shown]
	s_waitcnt vmcnt(1)
	v_sub_f32_e32 v105, v137, v105
	s_waitcnt vmcnt(0)
	v_sub_f32_e32 v104, v138, v104
	buffer_store_dword v105, off, s[0:3], 0 offset:336
	buffer_store_dword v104, off, s[0:3], 0 offset:340
	s_and_saveexec_b64 s[4:5], vcc
	s_cbranch_execz .LBB114_237
; %bb.236:
	buffer_load_dword v104, off, s[0:3], 0 offset:328
	buffer_load_dword v105, off, s[0:3], 0 offset:332
	v_mov_b32_e32 v106, 0
	buffer_store_dword v106, off, s[0:3], 0 offset:328
	buffer_store_dword v106, off, s[0:3], 0 offset:332
	s_waitcnt vmcnt(2)
	ds_write_b64 v103, v[104:105]
.LBB114_237:
	s_or_b64 exec, exec, s[4:5]
	s_waitcnt lgkmcnt(0)
	; wave barrier
	buffer_load_dword v123, off, s[0:3], 0 offset:340
	buffer_load_dword v124, off, s[0:3], 0 offset:348
	buffer_load_dword v125, off, s[0:3], 0 offset:356
	buffer_load_dword v126, off, s[0:3], 0 offset:364
	buffer_load_dword v127, off, s[0:3], 0 offset:372
	buffer_load_dword v128, off, s[0:3], 0 offset:380
	buffer_load_dword v129, off, s[0:3], 0 offset:388
	buffer_load_dword v130, off, s[0:3], 0 offset:396
	buffer_load_dword v131, off, s[0:3], 0 offset:404
	buffer_load_dword v132, off, s[0:3], 0 offset:336
	buffer_load_dword v133, off, s[0:3], 0 offset:344
	buffer_load_dword v134, off, s[0:3], 0 offset:352
	buffer_load_dword v135, off, s[0:3], 0 offset:360
	buffer_load_dword v136, off, s[0:3], 0 offset:368
	buffer_load_dword v137, off, s[0:3], 0 offset:376
	buffer_load_dword v138, off, s[0:3], 0 offset:384
	buffer_load_dword v139, off, s[0:3], 0 offset:392
	buffer_load_dword v140, off, s[0:3], 0 offset:400
	buffer_load_dword v141, off, s[0:3], 0 offset:328
	buffer_load_dword v142, off, s[0:3], 0 offset:332
	v_mov_b32_e32 v104, 0
	ds_read_b128 v[105:108], v104 offset:752
	ds_read_b128 v[109:112], v104 offset:768
	;; [unrolled: 1-line block ×4, first 2 shown]
	ds_read_b64 v[121:122], v104 offset:816
	v_cmp_lt_u32_e32 vcc, 40, v0
	s_waitcnt vmcnt(19) lgkmcnt(4)
	v_mul_f32_e32 v143, v105, v123
	v_mul_f32_e32 v123, v106, v123
	s_waitcnt vmcnt(18)
	v_mul_f32_e32 v144, v107, v124
	v_mul_f32_e32 v124, v108, v124
	s_waitcnt vmcnt(17) lgkmcnt(3)
	v_mul_f32_e32 v145, v109, v125
	s_waitcnt vmcnt(15) lgkmcnt(2)
	v_mul_f32_e32 v147, v113, v127
	v_mul_f32_e32 v125, v110, v125
	;; [unrolled: 1-line block ×4, first 2 shown]
	s_waitcnt vmcnt(10)
	v_fma_f32 v105, v105, v132, -v123
	v_fmac_f32_e32 v143, v106, v132
	s_waitcnt vmcnt(9)
	v_fma_f32 v106, v107, v133, -v124
	v_add_f32_e32 v105, 0, v105
	v_mul_f32_e32 v127, v114, v127
	v_fmac_f32_e32 v144, v108, v133
	s_waitcnt vmcnt(6)
	v_fmac_f32_e32 v147, v114, v136
	v_fma_f32 v107, v109, v134, -v125
	v_add_f32_e32 v114, 0, v143
	v_add_f32_e32 v105, v105, v106
	v_fmac_f32_e32 v145, v110, v134
	v_fma_f32 v108, v111, v135, -v126
	v_add_f32_e32 v114, v114, v144
	v_add_f32_e32 v105, v105, v107
	v_mul_f32_e32 v148, v115, v128
	v_mul_f32_e32 v128, v116, v128
	v_fmac_f32_e32 v146, v112, v135
	v_fma_f32 v109, v113, v136, -v127
	v_add_f32_e32 v106, v114, v145
	v_add_f32_e32 v105, v105, v108
	s_waitcnt lgkmcnt(1)
	v_mul_f32_e32 v149, v117, v129
	v_mul_f32_e32 v129, v118, v129
	s_waitcnt vmcnt(5)
	v_fma_f32 v110, v115, v137, -v128
	v_add_f32_e32 v106, v106, v146
	v_add_f32_e32 v105, v105, v109
	v_mul_f32_e32 v150, v119, v130
	v_mul_f32_e32 v130, v120, v130
	v_fmac_f32_e32 v148, v116, v137
	s_waitcnt vmcnt(4)
	v_fma_f32 v111, v117, v138, -v129
	v_add_f32_e32 v106, v106, v147
	v_add_f32_e32 v105, v105, v110
	s_waitcnt lgkmcnt(0)
	v_mul_f32_e32 v151, v121, v131
	v_mul_f32_e32 v131, v122, v131
	v_fmac_f32_e32 v149, v118, v138
	s_waitcnt vmcnt(3)
	v_fma_f32 v112, v119, v139, -v130
	v_add_f32_e32 v106, v106, v148
	v_add_f32_e32 v105, v105, v111
	v_fmac_f32_e32 v150, v120, v139
	s_waitcnt vmcnt(2)
	v_fma_f32 v113, v121, v140, -v131
	v_add_f32_e32 v106, v106, v149
	v_add_f32_e32 v105, v105, v112
	v_fmac_f32_e32 v151, v122, v140
	v_add_f32_e32 v106, v106, v150
	v_add_f32_e32 v105, v105, v113
	;; [unrolled: 1-line block ×3, first 2 shown]
	s_waitcnt vmcnt(1)
	v_sub_f32_e32 v105, v141, v105
	s_waitcnt vmcnt(0)
	v_sub_f32_e32 v106, v142, v106
	buffer_store_dword v105, off, s[0:3], 0 offset:328
	buffer_store_dword v106, off, s[0:3], 0 offset:332
	s_and_saveexec_b64 s[4:5], vcc
	s_cbranch_execz .LBB114_239
; %bb.238:
	buffer_load_dword v105, off, s[0:3], 0 offset:320
	buffer_load_dword v106, off, s[0:3], 0 offset:324
	s_waitcnt vmcnt(0)
	ds_write_b64 v103, v[105:106]
	buffer_store_dword v104, off, s[0:3], 0 offset:320
	buffer_store_dword v104, off, s[0:3], 0 offset:324
.LBB114_239:
	s_or_b64 exec, exec, s[4:5]
	s_waitcnt lgkmcnt(0)
	; wave barrier
	buffer_load_dword v125, off, s[0:3], 0 offset:332
	buffer_load_dword v126, off, s[0:3], 0 offset:340
	;; [unrolled: 1-line block ×22, first 2 shown]
	ds_read2_b64 v[105:108], v104 offset0:93 offset1:94
	ds_read2_b64 v[109:112], v104 offset0:95 offset1:96
	;; [unrolled: 1-line block ×5, first 2 shown]
	v_cmp_lt_u32_e32 vcc, 39, v0
	s_waitcnt vmcnt(21) lgkmcnt(4)
	v_mul_f32_e32 v104, v105, v125
	v_mul_f32_e32 v125, v106, v125
	s_waitcnt vmcnt(20)
	v_mul_f32_e32 v147, v107, v126
	v_mul_f32_e32 v126, v108, v126
	s_waitcnt vmcnt(19) lgkmcnt(3)
	v_mul_f32_e32 v148, v109, v127
	v_mul_f32_e32 v127, v110, v127
	s_waitcnt vmcnt(18)
	v_mul_f32_e32 v149, v111, v128
	v_mul_f32_e32 v128, v112, v128
	s_waitcnt vmcnt(17) lgkmcnt(2)
	v_mul_f32_e32 v150, v113, v129
	v_mul_f32_e32 v129, v114, v129
	s_waitcnt vmcnt(11)
	v_fma_f32 v105, v105, v135, -v125
	v_fmac_f32_e32 v104, v106, v135
	s_waitcnt vmcnt(10)
	v_fma_f32 v106, v107, v136, -v126
	v_add_f32_e32 v105, 0, v105
	v_fmac_f32_e32 v147, v108, v136
	s_waitcnt vmcnt(9)
	v_fma_f32 v107, v109, v137, -v127
	v_add_f32_e32 v104, 0, v104
	v_add_f32_e32 v105, v105, v106
	v_fmac_f32_e32 v148, v110, v137
	s_waitcnt vmcnt(8)
	v_fma_f32 v108, v111, v138, -v128
	v_add_f32_e32 v104, v104, v147
	v_add_f32_e32 v105, v105, v107
	v_mul_f32_e32 v151, v115, v130
	v_mul_f32_e32 v130, v116, v130
	v_fmac_f32_e32 v149, v112, v138
	s_waitcnt vmcnt(7)
	v_fma_f32 v109, v113, v139, -v129
	v_add_f32_e32 v104, v104, v148
	v_add_f32_e32 v105, v105, v108
	s_waitcnt lgkmcnt(1)
	v_mul_f32_e32 v152, v117, v131
	v_mul_f32_e32 v131, v118, v131
	v_fmac_f32_e32 v150, v114, v139
	s_waitcnt vmcnt(6)
	v_fma_f32 v110, v115, v140, -v130
	v_add_f32_e32 v104, v104, v149
	v_add_f32_e32 v105, v105, v109
	v_mul_f32_e32 v153, v119, v132
	v_mul_f32_e32 v132, v120, v132
	v_fmac_f32_e32 v151, v116, v140
	s_waitcnt vmcnt(5)
	v_fma_f32 v111, v117, v141, -v131
	v_add_f32_e32 v104, v104, v150
	v_add_f32_e32 v105, v105, v110
	s_waitcnt lgkmcnt(0)
	v_mul_f32_e32 v154, v121, v133
	v_mul_f32_e32 v133, v122, v133
	v_fmac_f32_e32 v152, v118, v141
	s_waitcnt vmcnt(4)
	v_fma_f32 v112, v119, v142, -v132
	v_add_f32_e32 v104, v104, v151
	v_add_f32_e32 v105, v105, v111
	v_mul_f32_e32 v155, v123, v134
	v_mul_f32_e32 v134, v124, v134
	v_fmac_f32_e32 v153, v120, v142
	s_waitcnt vmcnt(3)
	v_fma_f32 v113, v121, v143, -v133
	v_add_f32_e32 v104, v104, v152
	v_add_f32_e32 v105, v105, v112
	v_fmac_f32_e32 v154, v122, v143
	s_waitcnt vmcnt(2)
	v_fma_f32 v114, v123, v144, -v134
	v_add_f32_e32 v104, v104, v153
	v_add_f32_e32 v105, v105, v113
	v_fmac_f32_e32 v155, v124, v144
	v_add_f32_e32 v104, v104, v154
	v_add_f32_e32 v105, v105, v114
	;; [unrolled: 1-line block ×3, first 2 shown]
	s_waitcnt vmcnt(1)
	v_sub_f32_e32 v105, v145, v105
	s_waitcnt vmcnt(0)
	v_sub_f32_e32 v104, v146, v104
	buffer_store_dword v105, off, s[0:3], 0 offset:320
	buffer_store_dword v104, off, s[0:3], 0 offset:324
	s_and_saveexec_b64 s[4:5], vcc
	s_cbranch_execz .LBB114_241
; %bb.240:
	buffer_load_dword v104, off, s[0:3], 0 offset:312
	buffer_load_dword v105, off, s[0:3], 0 offset:316
	v_mov_b32_e32 v106, 0
	buffer_store_dword v106, off, s[0:3], 0 offset:312
	buffer_store_dword v106, off, s[0:3], 0 offset:316
	s_waitcnt vmcnt(2)
	ds_write_b64 v103, v[104:105]
.LBB114_241:
	s_or_b64 exec, exec, s[4:5]
	s_waitcnt lgkmcnt(0)
	; wave barrier
	buffer_load_dword v127, off, s[0:3], 0 offset:324
	buffer_load_dword v128, off, s[0:3], 0 offset:332
	;; [unrolled: 1-line block ×24, first 2 shown]
	v_mov_b32_e32 v104, 0
	ds_read_b128 v[105:108], v104 offset:736
	ds_read_b128 v[109:112], v104 offset:752
	;; [unrolled: 1-line block ×5, first 2 shown]
	ds_read_b64 v[125:126], v104 offset:816
	v_cmp_lt_u32_e32 vcc, 38, v0
	s_waitcnt vmcnt(23) lgkmcnt(5)
	v_mul_f32_e32 v151, v105, v127
	v_mul_f32_e32 v127, v106, v127
	s_waitcnt vmcnt(22)
	v_mul_f32_e32 v152, v107, v128
	v_mul_f32_e32 v128, v108, v128
	s_waitcnt vmcnt(21) lgkmcnt(4)
	v_mul_f32_e32 v153, v109, v129
	v_mul_f32_e32 v129, v110, v129
	s_waitcnt vmcnt(20)
	v_mul_f32_e32 v154, v111, v130
	s_waitcnt vmcnt(19) lgkmcnt(3)
	v_mul_f32_e32 v155, v113, v131
	v_mul_f32_e32 v130, v112, v130
	;; [unrolled: 1-line block ×3, first 2 shown]
	s_waitcnt vmcnt(18)
	v_mul_f32_e32 v156, v115, v132
	s_waitcnt vmcnt(12)
	v_fma_f32 v105, v105, v138, -v127
	v_fmac_f32_e32 v151, v106, v138
	s_waitcnt vmcnt(11)
	v_fma_f32 v106, v107, v139, -v128
	v_add_f32_e32 v105, 0, v105
	s_waitcnt vmcnt(10)
	v_fma_f32 v107, v109, v140, -v129
	v_add_f32_e32 v105, v105, v106
	v_fmac_f32_e32 v152, v108, v139
	s_waitcnt vmcnt(8)
	v_fmac_f32_e32 v155, v114, v142
	v_fma_f32 v108, v111, v141, -v130
	v_add_f32_e32 v114, 0, v151
	v_add_f32_e32 v105, v105, v107
	v_mul_f32_e32 v132, v116, v132
	v_fmac_f32_e32 v153, v110, v140
	v_fma_f32 v109, v113, v142, -v131
	v_add_f32_e32 v114, v114, v152
	v_add_f32_e32 v105, v105, v108
	s_waitcnt lgkmcnt(2)
	v_mul_f32_e32 v157, v117, v133
	v_mul_f32_e32 v133, v118, v133
	v_fmac_f32_e32 v154, v112, v141
	s_waitcnt vmcnt(7)
	v_fma_f32 v110, v115, v143, -v132
	v_add_f32_e32 v106, v114, v153
	v_add_f32_e32 v105, v105, v109
	v_mul_f32_e32 v158, v119, v134
	v_mul_f32_e32 v134, v120, v134
	s_waitcnt vmcnt(6)
	v_fma_f32 v111, v117, v144, -v133
	v_add_f32_e32 v106, v106, v154
	v_add_f32_e32 v105, v105, v110
	s_waitcnt lgkmcnt(1)
	v_mul_f32_e32 v159, v121, v135
	v_mul_f32_e32 v135, v122, v135
	v_fmac_f32_e32 v156, v116, v143
	s_waitcnt vmcnt(5)
	v_fma_f32 v112, v119, v145, -v134
	v_add_f32_e32 v106, v106, v155
	v_add_f32_e32 v105, v105, v111
	v_fmac_f32_e32 v157, v118, v144
	s_waitcnt vmcnt(4)
	v_fma_f32 v113, v121, v146, -v135
	v_add_f32_e32 v106, v106, v156
	v_add_f32_e32 v105, v105, v112
	v_mul_f32_e32 v107, v124, v136
	v_fmac_f32_e32 v158, v120, v145
	v_add_f32_e32 v106, v106, v157
	v_add_f32_e32 v105, v105, v113
	s_waitcnt vmcnt(3)
	v_fma_f32 v107, v123, v147, -v107
	v_mul_f32_e32 v160, v123, v136
	v_fmac_f32_e32 v159, v122, v146
	v_add_f32_e32 v106, v106, v158
	v_add_f32_e32 v105, v105, v107
	s_waitcnt lgkmcnt(0)
	v_mul_f32_e32 v107, v126, v137
	v_mul_f32_e32 v161, v125, v137
	v_fmac_f32_e32 v160, v124, v147
	v_add_f32_e32 v106, v106, v159
	s_waitcnt vmcnt(2)
	v_fma_f32 v107, v125, v148, -v107
	v_fmac_f32_e32 v161, v126, v148
	v_add_f32_e32 v106, v106, v160
	v_add_f32_e32 v105, v105, v107
	;; [unrolled: 1-line block ×3, first 2 shown]
	s_waitcnt vmcnt(1)
	v_sub_f32_e32 v105, v149, v105
	s_waitcnt vmcnt(0)
	v_sub_f32_e32 v106, v150, v106
	buffer_store_dword v105, off, s[0:3], 0 offset:312
	buffer_store_dword v106, off, s[0:3], 0 offset:316
	s_and_saveexec_b64 s[4:5], vcc
	s_cbranch_execz .LBB114_243
; %bb.242:
	buffer_load_dword v105, off, s[0:3], 0 offset:304
	buffer_load_dword v106, off, s[0:3], 0 offset:308
	s_waitcnt vmcnt(0)
	ds_write_b64 v103, v[105:106]
	buffer_store_dword v104, off, s[0:3], 0 offset:304
	buffer_store_dword v104, off, s[0:3], 0 offset:308
.LBB114_243:
	s_or_b64 exec, exec, s[4:5]
	s_waitcnt lgkmcnt(0)
	; wave barrier
	buffer_load_dword v129, off, s[0:3], 0 offset:316
	buffer_load_dword v130, off, s[0:3], 0 offset:324
	;; [unrolled: 1-line block ×26, first 2 shown]
	ds_read2_b64 v[105:108], v104 offset0:91 offset1:92
	ds_read2_b64 v[109:112], v104 offset0:93 offset1:94
	;; [unrolled: 1-line block ×6, first 2 shown]
	v_cmp_lt_u32_e32 vcc, 37, v0
	s_waitcnt vmcnt(25) lgkmcnt(5)
	v_mul_f32_e32 v104, v105, v129
	v_mul_f32_e32 v129, v106, v129
	s_waitcnt vmcnt(24)
	v_mul_f32_e32 v155, v107, v130
	v_mul_f32_e32 v130, v108, v130
	s_waitcnt vmcnt(23) lgkmcnt(4)
	v_mul_f32_e32 v156, v109, v131
	v_mul_f32_e32 v131, v110, v131
	s_waitcnt vmcnt(22)
	v_mul_f32_e32 v157, v111, v132
	v_mul_f32_e32 v132, v112, v132
	;; [unrolled: 6-line block ×3, first 2 shown]
	s_waitcnt vmcnt(13)
	v_fma_f32 v105, v105, v141, -v129
	v_fmac_f32_e32 v104, v106, v141
	s_waitcnt vmcnt(12)
	v_fma_f32 v106, v107, v142, -v130
	v_add_f32_e32 v105, 0, v105
	s_waitcnt vmcnt(11)
	v_fma_f32 v107, v109, v143, -v131
	v_add_f32_e32 v105, v105, v106
	v_fmac_f32_e32 v155, v108, v142
	s_waitcnt vmcnt(10)
	v_fma_f32 v108, v111, v144, -v132
	v_add_f32_e32 v105, v105, v107
	s_waitcnt vmcnt(9)
	v_fma_f32 v109, v113, v145, -v133
	v_add_f32_e32 v105, v105, v108
	s_waitcnt lgkmcnt(2)
	v_mul_f32_e32 v160, v117, v135
	v_mul_f32_e32 v135, v118, v135
	v_fmac_f32_e32 v156, v110, v143
	s_waitcnt vmcnt(8)
	v_fma_f32 v110, v115, v146, -v134
	v_add_f32_e32 v104, 0, v104
	v_add_f32_e32 v105, v105, v109
	v_mul_f32_e32 v161, v119, v136
	v_mul_f32_e32 v136, v120, v136
	s_waitcnt vmcnt(7)
	v_fma_f32 v111, v117, v147, -v135
	v_add_f32_e32 v104, v104, v155
	v_add_f32_e32 v105, v105, v110
	v_fmac_f32_e32 v157, v112, v144
	s_waitcnt vmcnt(6)
	v_fma_f32 v112, v119, v148, -v136
	v_add_f32_e32 v104, v104, v156
	v_add_f32_e32 v105, v105, v111
	s_waitcnt lgkmcnt(1)
	v_mul_f32_e32 v106, v122, v137
	v_fmac_f32_e32 v158, v114, v145
	v_add_f32_e32 v104, v104, v157
	v_add_f32_e32 v105, v105, v112
	s_waitcnt vmcnt(5)
	v_fma_f32 v106, v121, v149, -v106
	v_fmac_f32_e32 v159, v116, v146
	v_add_f32_e32 v104, v104, v158
	v_add_f32_e32 v105, v105, v106
	v_mul_f32_e32 v106, v124, v138
	v_fmac_f32_e32 v160, v118, v147
	v_add_f32_e32 v104, v104, v159
	s_waitcnt vmcnt(4)
	v_fma_f32 v106, v123, v150, -v106
	v_mul_f32_e32 v162, v121, v137
	v_fmac_f32_e32 v161, v120, v148
	v_add_f32_e32 v104, v104, v160
	v_add_f32_e32 v105, v105, v106
	s_waitcnt lgkmcnt(0)
	v_mul_f32_e32 v106, v126, v139
	v_mul_f32_e32 v163, v123, v138
	v_fmac_f32_e32 v162, v122, v149
	v_add_f32_e32 v104, v104, v161
	s_waitcnt vmcnt(3)
	v_fma_f32 v106, v125, v151, -v106
	v_mul_f32_e32 v164, v125, v139
	v_fmac_f32_e32 v163, v124, v150
	v_add_f32_e32 v104, v104, v162
	v_add_f32_e32 v105, v105, v106
	v_mul_f32_e32 v106, v128, v140
	v_mul_f32_e32 v165, v127, v140
	v_fmac_f32_e32 v164, v126, v151
	v_add_f32_e32 v104, v104, v163
	s_waitcnt vmcnt(2)
	v_fma_f32 v106, v127, v152, -v106
	v_fmac_f32_e32 v165, v128, v152
	v_add_f32_e32 v104, v104, v164
	v_add_f32_e32 v105, v105, v106
	;; [unrolled: 1-line block ×3, first 2 shown]
	s_waitcnt vmcnt(1)
	v_sub_f32_e32 v105, v153, v105
	s_waitcnt vmcnt(0)
	v_sub_f32_e32 v104, v154, v104
	buffer_store_dword v105, off, s[0:3], 0 offset:304
	buffer_store_dword v104, off, s[0:3], 0 offset:308
	s_and_saveexec_b64 s[4:5], vcc
	s_cbranch_execz .LBB114_245
; %bb.244:
	buffer_load_dword v104, off, s[0:3], 0 offset:296
	buffer_load_dword v105, off, s[0:3], 0 offset:300
	v_mov_b32_e32 v106, 0
	buffer_store_dword v106, off, s[0:3], 0 offset:296
	buffer_store_dword v106, off, s[0:3], 0 offset:300
	s_waitcnt vmcnt(2)
	ds_write_b64 v103, v[104:105]
.LBB114_245:
	s_or_b64 exec, exec, s[4:5]
	s_waitcnt lgkmcnt(0)
	; wave barrier
	buffer_load_dword v131, off, s[0:3], 0 offset:308
	buffer_load_dword v132, off, s[0:3], 0 offset:316
	;; [unrolled: 1-line block ×28, first 2 shown]
	v_mov_b32_e32 v104, 0
	ds_read_b128 v[105:108], v104 offset:720
	ds_read_b128 v[109:112], v104 offset:736
	;; [unrolled: 1-line block ×6, first 2 shown]
	ds_read_b64 v[129:130], v104 offset:816
	v_cmp_lt_u32_e32 vcc, 36, v0
	s_waitcnt vmcnt(27) lgkmcnt(6)
	v_mul_f32_e32 v159, v105, v131
	v_mul_f32_e32 v131, v106, v131
	s_waitcnt vmcnt(26)
	v_mul_f32_e32 v160, v107, v132
	v_mul_f32_e32 v132, v108, v132
	s_waitcnt vmcnt(25) lgkmcnt(5)
	v_mul_f32_e32 v161, v109, v133
	v_mul_f32_e32 v133, v110, v133
	s_waitcnt vmcnt(24)
	v_mul_f32_e32 v162, v111, v134
	v_mul_f32_e32 v134, v112, v134
	;; [unrolled: 6-line block ×3, first 2 shown]
	s_waitcnt vmcnt(21) lgkmcnt(3)
	v_mul_f32_e32 v165, v117, v137
	s_waitcnt vmcnt(14)
	v_fma_f32 v105, v105, v144, -v131
	v_fmac_f32_e32 v159, v106, v144
	s_waitcnt vmcnt(13)
	v_fma_f32 v106, v107, v145, -v132
	v_add_f32_e32 v105, 0, v105
	s_waitcnt vmcnt(12)
	v_fma_f32 v107, v109, v146, -v133
	v_add_f32_e32 v105, v105, v106
	v_fmac_f32_e32 v160, v108, v145
	s_waitcnt vmcnt(11)
	v_fma_f32 v108, v111, v147, -v134
	v_add_f32_e32 v105, v105, v107
	s_waitcnt vmcnt(10)
	v_fma_f32 v109, v113, v148, -v135
	v_add_f32_e32 v105, v105, v108
	v_fmac_f32_e32 v161, v110, v146
	s_waitcnt vmcnt(9)
	v_fma_f32 v110, v115, v149, -v136
	v_add_f32_e32 v105, v105, v109
	v_mul_f32_e32 v107, v118, v137
	v_add_f32_e32 v105, v105, v110
	s_waitcnt vmcnt(8)
	v_fma_f32 v107, v117, v150, -v107
	v_add_f32_e32 v105, v105, v107
	v_mul_f32_e32 v107, v120, v138
	v_add_f32_e32 v111, 0, v159
	s_waitcnt vmcnt(7)
	v_fma_f32 v107, v119, v151, -v107
	v_add_f32_e32 v111, v111, v160
	v_add_f32_e32 v105, v105, v107
	s_waitcnt lgkmcnt(2)
	v_mul_f32_e32 v107, v122, v139
	v_fmac_f32_e32 v162, v112, v147
	v_add_f32_e32 v106, v111, v161
	s_waitcnt vmcnt(6)
	v_fma_f32 v107, v121, v152, -v107
	v_fmac_f32_e32 v163, v114, v148
	v_add_f32_e32 v106, v106, v162
	v_add_f32_e32 v105, v105, v107
	v_mul_f32_e32 v107, v124, v140
	v_fmac_f32_e32 v164, v116, v149
	v_add_f32_e32 v106, v106, v163
	s_waitcnt vmcnt(5)
	v_fma_f32 v107, v123, v153, -v107
	v_mul_f32_e32 v166, v119, v138
	v_fmac_f32_e32 v165, v118, v150
	v_add_f32_e32 v106, v106, v164
	v_add_f32_e32 v105, v105, v107
	s_waitcnt lgkmcnt(1)
	v_mul_f32_e32 v107, v126, v141
	v_mul_f32_e32 v167, v121, v139
	v_fmac_f32_e32 v166, v120, v151
	v_add_f32_e32 v106, v106, v165
	s_waitcnt vmcnt(4)
	v_fma_f32 v107, v125, v154, -v107
	v_mul_f32_e32 v168, v123, v140
	v_fmac_f32_e32 v167, v122, v152
	v_add_f32_e32 v106, v106, v166
	v_add_f32_e32 v105, v105, v107
	v_mul_f32_e32 v107, v128, v142
	v_mul_f32_e32 v169, v125, v141
	v_fmac_f32_e32 v168, v124, v153
	v_add_f32_e32 v106, v106, v167
	s_waitcnt vmcnt(3)
	v_fma_f32 v107, v127, v155, -v107
	v_mul_f32_e32 v170, v127, v142
	v_fmac_f32_e32 v169, v126, v154
	v_add_f32_e32 v106, v106, v168
	v_add_f32_e32 v105, v105, v107
	s_waitcnt lgkmcnt(0)
	v_mul_f32_e32 v107, v130, v143
	v_mul_f32_e32 v171, v129, v143
	v_fmac_f32_e32 v170, v128, v155
	v_add_f32_e32 v106, v106, v169
	s_waitcnt vmcnt(2)
	v_fma_f32 v107, v129, v156, -v107
	v_fmac_f32_e32 v171, v130, v156
	v_add_f32_e32 v106, v106, v170
	v_add_f32_e32 v105, v105, v107
	v_add_f32_e32 v106, v106, v171
	s_waitcnt vmcnt(1)
	v_sub_f32_e32 v105, v157, v105
	s_waitcnt vmcnt(0)
	v_sub_f32_e32 v106, v158, v106
	buffer_store_dword v105, off, s[0:3], 0 offset:296
	buffer_store_dword v106, off, s[0:3], 0 offset:300
	s_and_saveexec_b64 s[4:5], vcc
	s_cbranch_execz .LBB114_247
; %bb.246:
	buffer_load_dword v105, off, s[0:3], 0 offset:288
	buffer_load_dword v106, off, s[0:3], 0 offset:292
	s_waitcnt vmcnt(0)
	ds_write_b64 v103, v[105:106]
	buffer_store_dword v104, off, s[0:3], 0 offset:288
	buffer_store_dword v104, off, s[0:3], 0 offset:292
.LBB114_247:
	s_or_b64 exec, exec, s[4:5]
	s_waitcnt lgkmcnt(0)
	; wave barrier
	buffer_load_dword v133, off, s[0:3], 0 offset:300
	buffer_load_dword v134, off, s[0:3], 0 offset:308
	;; [unrolled: 1-line block ×30, first 2 shown]
	ds_read2_b64 v[105:108], v104 offset0:89 offset1:90
	ds_read2_b64 v[109:112], v104 offset0:91 offset1:92
	;; [unrolled: 1-line block ×7, first 2 shown]
	v_cmp_lt_u32_e32 vcc, 35, v0
	s_waitcnt vmcnt(29) lgkmcnt(6)
	v_mul_f32_e32 v104, v105, v133
	v_mul_f32_e32 v133, v106, v133
	s_waitcnt vmcnt(28)
	v_mul_f32_e32 v163, v107, v134
	v_mul_f32_e32 v134, v108, v134
	s_waitcnt vmcnt(27) lgkmcnt(5)
	v_mul_f32_e32 v164, v109, v135
	v_mul_f32_e32 v135, v110, v135
	s_waitcnt vmcnt(26)
	v_mul_f32_e32 v165, v111, v136
	v_mul_f32_e32 v136, v112, v136
	s_waitcnt vmcnt(25) lgkmcnt(4)
	v_mul_f32_e32 v166, v113, v137
	v_mul_f32_e32 v137, v114, v137
	s_waitcnt vmcnt(24)
	v_mul_f32_e32 v167, v115, v138
	s_waitcnt vmcnt(23) lgkmcnt(3)
	v_mul_f32_e32 v168, v117, v139
	s_waitcnt vmcnt(22)
	v_mul_f32_e32 v169, v119, v140
	s_waitcnt vmcnt(21) lgkmcnt(2)
	v_mul_f32_e32 v170, v121, v141
	s_waitcnt vmcnt(15)
	v_fma_f32 v105, v105, v147, -v133
	v_fmac_f32_e32 v104, v106, v147
	s_waitcnt vmcnt(14)
	v_fma_f32 v106, v107, v148, -v134
	v_add_f32_e32 v105, 0, v105
	s_waitcnt vmcnt(13)
	v_fma_f32 v107, v109, v149, -v135
	v_add_f32_e32 v105, v105, v106
	v_fmac_f32_e32 v163, v108, v148
	s_waitcnt vmcnt(12)
	v_fma_f32 v108, v111, v150, -v136
	v_add_f32_e32 v105, v105, v107
	s_waitcnt vmcnt(11)
	v_fma_f32 v109, v113, v151, -v137
	v_add_f32_e32 v105, v105, v108
	v_mul_f32_e32 v106, v116, v138
	v_add_f32_e32 v105, v105, v109
	s_waitcnt vmcnt(10)
	v_fma_f32 v106, v115, v152, -v106
	v_add_f32_e32 v105, v105, v106
	v_mul_f32_e32 v106, v118, v139
	s_waitcnt vmcnt(9)
	v_fma_f32 v106, v117, v153, -v106
	v_add_f32_e32 v105, v105, v106
	v_mul_f32_e32 v106, v120, v140
	s_waitcnt vmcnt(8)
	v_fma_f32 v106, v119, v154, -v106
	v_add_f32_e32 v104, 0, v104
	v_add_f32_e32 v105, v105, v106
	v_mul_f32_e32 v106, v122, v141
	v_fmac_f32_e32 v164, v110, v149
	v_add_f32_e32 v104, v104, v163
	s_waitcnt vmcnt(7)
	v_fma_f32 v106, v121, v155, -v106
	v_fmac_f32_e32 v165, v112, v150
	v_add_f32_e32 v104, v104, v164
	v_add_f32_e32 v105, v105, v106
	v_mul_f32_e32 v106, v124, v142
	v_fmac_f32_e32 v166, v114, v151
	v_add_f32_e32 v104, v104, v165
	s_waitcnt vmcnt(6)
	v_fma_f32 v106, v123, v156, -v106
	v_fmac_f32_e32 v167, v116, v152
	v_add_f32_e32 v104, v104, v166
	v_add_f32_e32 v105, v105, v106
	s_waitcnt lgkmcnt(1)
	v_mul_f32_e32 v106, v126, v143
	v_fmac_f32_e32 v168, v118, v153
	v_add_f32_e32 v104, v104, v167
	s_waitcnt vmcnt(5)
	v_fma_f32 v106, v125, v157, -v106
	v_fmac_f32_e32 v169, v120, v154
	v_add_f32_e32 v104, v104, v168
	v_add_f32_e32 v105, v105, v106
	v_mul_f32_e32 v106, v128, v144
	v_mul_f32_e32 v171, v123, v142
	v_fmac_f32_e32 v170, v122, v155
	v_add_f32_e32 v104, v104, v169
	s_waitcnt vmcnt(4)
	v_fma_f32 v106, v127, v158, -v106
	v_mul_f32_e32 v172, v125, v143
	v_fmac_f32_e32 v171, v124, v156
	v_add_f32_e32 v104, v104, v170
	v_add_f32_e32 v105, v105, v106
	s_waitcnt lgkmcnt(0)
	v_mul_f32_e32 v106, v130, v145
	v_mul_f32_e32 v173, v127, v144
	v_fmac_f32_e32 v172, v126, v157
	v_add_f32_e32 v104, v104, v171
	s_waitcnt vmcnt(3)
	v_fma_f32 v106, v129, v159, -v106
	v_mul_f32_e32 v174, v129, v145
	v_fmac_f32_e32 v173, v128, v158
	v_add_f32_e32 v104, v104, v172
	v_add_f32_e32 v105, v105, v106
	v_mul_f32_e32 v106, v132, v146
	v_mul_f32_e32 v175, v131, v146
	v_fmac_f32_e32 v174, v130, v159
	v_add_f32_e32 v104, v104, v173
	s_waitcnt vmcnt(2)
	v_fma_f32 v106, v131, v160, -v106
	v_fmac_f32_e32 v175, v132, v160
	v_add_f32_e32 v104, v104, v174
	v_add_f32_e32 v105, v105, v106
	;; [unrolled: 1-line block ×3, first 2 shown]
	s_waitcnt vmcnt(1)
	v_sub_f32_e32 v105, v161, v105
	s_waitcnt vmcnt(0)
	v_sub_f32_e32 v104, v162, v104
	buffer_store_dword v105, off, s[0:3], 0 offset:288
	buffer_store_dword v104, off, s[0:3], 0 offset:292
	s_and_saveexec_b64 s[4:5], vcc
	s_cbranch_execz .LBB114_249
; %bb.248:
	buffer_load_dword v104, off, s[0:3], 0 offset:280
	buffer_load_dword v105, off, s[0:3], 0 offset:284
	v_mov_b32_e32 v106, 0
	buffer_store_dword v106, off, s[0:3], 0 offset:280
	buffer_store_dword v106, off, s[0:3], 0 offset:284
	s_waitcnt vmcnt(2)
	ds_write_b64 v103, v[104:105]
.LBB114_249:
	s_or_b64 exec, exec, s[4:5]
	s_waitcnt lgkmcnt(0)
	; wave barrier
	buffer_load_dword v135, off, s[0:3], 0 offset:292
	buffer_load_dword v136, off, s[0:3], 0 offset:300
	;; [unrolled: 1-line block ×32, first 2 shown]
	v_mov_b32_e32 v104, 0
	ds_read_b128 v[105:108], v104 offset:704
	ds_read_b128 v[109:112], v104 offset:720
	;; [unrolled: 1-line block ×7, first 2 shown]
	ds_read_b64 v[133:134], v104 offset:816
	v_cmp_lt_u32_e32 vcc, 34, v0
	s_waitcnt vmcnt(31) lgkmcnt(7)
	v_mul_f32_e32 v167, v105, v135
	v_mul_f32_e32 v135, v106, v135
	s_waitcnt vmcnt(30)
	v_mul_f32_e32 v168, v107, v136
	v_mul_f32_e32 v136, v108, v136
	s_waitcnt vmcnt(29) lgkmcnt(6)
	v_mul_f32_e32 v169, v109, v137
	v_mul_f32_e32 v137, v110, v137
	s_waitcnt vmcnt(28)
	v_mul_f32_e32 v170, v111, v138
	s_waitcnt vmcnt(27) lgkmcnt(5)
	v_mul_f32_e32 v171, v113, v139
	s_waitcnt vmcnt(26)
	v_mul_f32_e32 v172, v115, v140
	s_waitcnt vmcnt(25) lgkmcnt(4)
	;; [unrolled: 4-line block ×4, first 2 shown]
	v_mul_f32_e32 v177, v125, v145
	s_waitcnt vmcnt(20)
	v_mul_f32_e32 v178, v127, v146
	s_waitcnt vmcnt(16)
	v_fma_f32 v105, v105, v150, -v135
	v_fmac_f32_e32 v167, v106, v150
	s_waitcnt vmcnt(15)
	v_fma_f32 v106, v107, v151, -v136
	v_add_f32_e32 v105, 0, v105
	s_waitcnt vmcnt(14)
	v_fma_f32 v107, v109, v152, -v137
	v_add_f32_e32 v105, v105, v106
	v_add_f32_e32 v105, v105, v107
	v_mul_f32_e32 v107, v112, v138
	s_waitcnt vmcnt(13)
	v_fma_f32 v107, v111, v153, -v107
	v_add_f32_e32 v105, v105, v107
	v_mul_f32_e32 v107, v114, v139
	s_waitcnt vmcnt(12)
	v_fma_f32 v107, v113, v154, -v107
	v_add_f32_e32 v105, v105, v107
	v_mul_f32_e32 v107, v116, v140
	s_waitcnt vmcnt(11)
	v_fma_f32 v107, v115, v155, -v107
	v_add_f32_e32 v105, v105, v107
	v_mul_f32_e32 v107, v118, v141
	s_waitcnt vmcnt(10)
	v_fma_f32 v107, v117, v156, -v107
	v_add_f32_e32 v105, v105, v107
	v_mul_f32_e32 v107, v120, v142
	s_waitcnt vmcnt(9)
	v_fma_f32 v107, v119, v157, -v107
	v_add_f32_e32 v105, v105, v107
	v_mul_f32_e32 v107, v122, v143
	v_fmac_f32_e32 v168, v108, v151
	v_add_f32_e32 v108, 0, v167
	s_waitcnt vmcnt(8)
	v_fma_f32 v107, v121, v158, -v107
	v_fmac_f32_e32 v169, v110, v152
	v_add_f32_e32 v108, v108, v168
	v_add_f32_e32 v105, v105, v107
	v_mul_f32_e32 v107, v124, v144
	v_fmac_f32_e32 v170, v112, v153
	v_add_f32_e32 v106, v108, v169
	s_waitcnt vmcnt(7)
	v_fma_f32 v107, v123, v159, -v107
	v_fmac_f32_e32 v171, v114, v154
	v_add_f32_e32 v106, v106, v170
	;; [unrolled: 8-line block ×4, first 2 shown]
	v_add_f32_e32 v105, v105, v107
	s_waitcnt lgkmcnt(1)
	v_mul_f32_e32 v107, v130, v147
	v_fmac_f32_e32 v176, v124, v159
	v_add_f32_e32 v106, v106, v175
	s_waitcnt vmcnt(4)
	v_fma_f32 v107, v129, v162, -v107
	v_fmac_f32_e32 v177, v126, v160
	v_add_f32_e32 v106, v106, v176
	v_add_f32_e32 v105, v105, v107
	v_mul_f32_e32 v107, v132, v148
	v_mul_f32_e32 v179, v129, v147
	v_fmac_f32_e32 v178, v128, v161
	v_add_f32_e32 v106, v106, v177
	s_waitcnt vmcnt(3)
	v_fma_f32 v107, v131, v163, -v107
	v_mul_f32_e32 v180, v131, v148
	v_fmac_f32_e32 v179, v130, v162
	v_add_f32_e32 v106, v106, v178
	v_add_f32_e32 v105, v105, v107
	s_waitcnt lgkmcnt(0)
	v_mul_f32_e32 v107, v134, v149
	v_mul_f32_e32 v181, v133, v149
	v_fmac_f32_e32 v180, v132, v163
	v_add_f32_e32 v106, v106, v179
	s_waitcnt vmcnt(2)
	v_fma_f32 v107, v133, v164, -v107
	v_fmac_f32_e32 v181, v134, v164
	v_add_f32_e32 v106, v106, v180
	v_add_f32_e32 v105, v105, v107
	;; [unrolled: 1-line block ×3, first 2 shown]
	s_waitcnt vmcnt(1)
	v_sub_f32_e32 v105, v165, v105
	s_waitcnt vmcnt(0)
	v_sub_f32_e32 v106, v166, v106
	buffer_store_dword v105, off, s[0:3], 0 offset:280
	buffer_store_dword v106, off, s[0:3], 0 offset:284
	s_and_saveexec_b64 s[4:5], vcc
	s_cbranch_execz .LBB114_251
; %bb.250:
	buffer_load_dword v105, off, s[0:3], 0 offset:272
	buffer_load_dword v106, off, s[0:3], 0 offset:276
	s_waitcnt vmcnt(0)
	ds_write_b64 v103, v[105:106]
	buffer_store_dword v104, off, s[0:3], 0 offset:272
	buffer_store_dword v104, off, s[0:3], 0 offset:276
.LBB114_251:
	s_or_b64 exec, exec, s[4:5]
	s_waitcnt lgkmcnt(0)
	; wave barrier
	buffer_load_dword v137, off, s[0:3], 0 offset:284
	buffer_load_dword v138, off, s[0:3], 0 offset:292
	;; [unrolled: 1-line block ×34, first 2 shown]
	ds_read2_b64 v[105:108], v104 offset0:87 offset1:88
	ds_read2_b64 v[109:112], v104 offset0:89 offset1:90
	;; [unrolled: 1-line block ×8, first 2 shown]
	v_cmp_lt_u32_e32 vcc, 33, v0
	s_waitcnt vmcnt(33) lgkmcnt(7)
	v_mul_f32_e32 v104, v105, v137
	v_mul_f32_e32 v137, v106, v137
	s_waitcnt vmcnt(32)
	v_mul_f32_e32 v171, v107, v138
	v_mul_f32_e32 v138, v108, v138
	s_waitcnt vmcnt(31) lgkmcnt(6)
	v_mul_f32_e32 v172, v109, v139
	s_waitcnt vmcnt(30)
	v_mul_f32_e32 v173, v111, v140
	s_waitcnt vmcnt(29) lgkmcnt(5)
	v_mul_f32_e32 v174, v113, v141
	s_waitcnt vmcnt(28)
	;; [unrolled: 4-line block ×6, first 2 shown]
	v_mul_f32_e32 v183, v131, v150
	s_waitcnt vmcnt(17)
	v_fma_f32 v105, v105, v153, -v137
	v_fmac_f32_e32 v104, v106, v153
	s_waitcnt vmcnt(16)
	v_fma_f32 v106, v107, v154, -v138
	v_add_f32_e32 v105, 0, v105
	v_add_f32_e32 v105, v105, v106
	v_mul_f32_e32 v106, v110, v139
	s_waitcnt vmcnt(15)
	v_fma_f32 v106, v109, v155, -v106
	v_add_f32_e32 v105, v105, v106
	v_mul_f32_e32 v106, v112, v140
	s_waitcnt vmcnt(14)
	v_fma_f32 v106, v111, v156, -v106
	;; [unrolled: 4-line block ×7, first 2 shown]
	v_fmac_f32_e32 v171, v108, v154
	v_add_f32_e32 v104, 0, v104
	v_add_f32_e32 v105, v105, v106
	v_mul_f32_e32 v106, v124, v146
	v_fmac_f32_e32 v172, v110, v155
	v_add_f32_e32 v104, v104, v171
	s_waitcnt vmcnt(8)
	v_fma_f32 v106, v123, v162, -v106
	v_fmac_f32_e32 v173, v112, v156
	v_add_f32_e32 v104, v104, v172
	v_add_f32_e32 v105, v105, v106
	v_mul_f32_e32 v106, v126, v147
	v_fmac_f32_e32 v174, v114, v157
	v_add_f32_e32 v104, v104, v173
	s_waitcnt vmcnt(7)
	v_fma_f32 v106, v125, v163, -v106
	;; [unrolled: 8-line block ×5, first 2 shown]
	v_fmac_f32_e32 v181, v128, v164
	v_add_f32_e32 v104, v104, v180
	v_add_f32_e32 v105, v105, v106
	s_waitcnt lgkmcnt(0)
	v_mul_f32_e32 v106, v134, v151
	v_fmac_f32_e32 v182, v130, v165
	v_add_f32_e32 v104, v104, v181
	s_waitcnt vmcnt(3)
	v_fma_f32 v106, v133, v167, -v106
	v_mul_f32_e32 v184, v133, v151
	v_fmac_f32_e32 v183, v132, v166
	v_add_f32_e32 v104, v104, v182
	v_add_f32_e32 v105, v105, v106
	v_mul_f32_e32 v106, v136, v152
	v_mul_f32_e32 v185, v135, v152
	v_fmac_f32_e32 v184, v134, v167
	v_add_f32_e32 v104, v104, v183
	s_waitcnt vmcnt(2)
	v_fma_f32 v106, v135, v168, -v106
	v_fmac_f32_e32 v185, v136, v168
	v_add_f32_e32 v104, v104, v184
	v_add_f32_e32 v105, v105, v106
	;; [unrolled: 1-line block ×3, first 2 shown]
	s_waitcnt vmcnt(1)
	v_sub_f32_e32 v105, v169, v105
	s_waitcnt vmcnt(0)
	v_sub_f32_e32 v104, v170, v104
	buffer_store_dword v105, off, s[0:3], 0 offset:272
	buffer_store_dword v104, off, s[0:3], 0 offset:276
	s_and_saveexec_b64 s[4:5], vcc
	s_cbranch_execz .LBB114_253
; %bb.252:
	buffer_load_dword v104, off, s[0:3], 0 offset:264
	buffer_load_dword v105, off, s[0:3], 0 offset:268
	v_mov_b32_e32 v106, 0
	buffer_store_dword v106, off, s[0:3], 0 offset:264
	buffer_store_dword v106, off, s[0:3], 0 offset:268
	s_waitcnt vmcnt(2)
	ds_write_b64 v103, v[104:105]
.LBB114_253:
	s_or_b64 exec, exec, s[4:5]
	s_waitcnt lgkmcnt(0)
	; wave barrier
	buffer_load_dword v139, off, s[0:3], 0 offset:276
	buffer_load_dword v140, off, s[0:3], 0 offset:284
	;; [unrolled: 1-line block ×36, first 2 shown]
	v_mov_b32_e32 v104, 0
	ds_read_b128 v[105:108], v104 offset:688
	ds_read_b128 v[109:112], v104 offset:704
	;; [unrolled: 1-line block ×8, first 2 shown]
	ds_read_b64 v[137:138], v104 offset:816
	v_cmp_lt_u32_e32 vcc, 32, v0
	s_waitcnt vmcnt(35) lgkmcnt(8)
	v_mul_f32_e32 v175, v105, v139
	s_waitcnt vmcnt(34)
	v_mul_f32_e32 v176, v107, v140
	s_waitcnt vmcnt(33) lgkmcnt(7)
	v_mul_f32_e32 v177, v109, v141
	s_waitcnt vmcnt(32)
	v_mul_f32_e32 v178, v111, v142
	;; [unrolled: 4-line block ×8, first 2 shown]
	s_waitcnt vmcnt(19) lgkmcnt(0)
	v_mul_f32_e32 v191, v137, v155
	s_waitcnt vmcnt(18)
	v_fmac_f32_e32 v175, v106, v156
	v_mul_f32_e32 v106, v106, v139
	v_fma_f32 v105, v105, v156, -v106
	v_mul_f32_e32 v106, v108, v140
	v_add_f32_e32 v105, 0, v105
	s_waitcnt vmcnt(17)
	v_fma_f32 v106, v107, v157, -v106
	v_add_f32_e32 v105, v105, v106
	v_mul_f32_e32 v106, v110, v141
	s_waitcnt vmcnt(16)
	v_fma_f32 v106, v109, v158, -v106
	v_add_f32_e32 v105, v105, v106
	v_mul_f32_e32 v106, v112, v142
	;; [unrolled: 4-line block ×8, first 2 shown]
	v_fmac_f32_e32 v176, v108, v157
	v_add_f32_e32 v175, 0, v175
	s_waitcnt vmcnt(9)
	v_fma_f32 v106, v123, v165, -v106
	v_fmac_f32_e32 v177, v110, v158
	v_add_f32_e32 v175, v175, v176
	v_add_f32_e32 v105, v105, v106
	v_mul_f32_e32 v106, v126, v149
	v_fmac_f32_e32 v178, v112, v159
	v_add_f32_e32 v175, v175, v177
	s_waitcnt vmcnt(8)
	v_fma_f32 v106, v125, v166, -v106
	v_fmac_f32_e32 v179, v114, v160
	v_add_f32_e32 v175, v175, v178
	v_add_f32_e32 v105, v105, v106
	v_mul_f32_e32 v106, v128, v150
	v_fmac_f32_e32 v180, v116, v161
	v_add_f32_e32 v175, v175, v179
	s_waitcnt vmcnt(7)
	v_fma_f32 v106, v127, v167, -v106
	v_fmac_f32_e32 v181, v118, v162
	v_add_f32_e32 v175, v175, v180
	v_add_f32_e32 v105, v105, v106
	v_mul_f32_e32 v106, v130, v151
	v_fmac_f32_e32 v182, v120, v163
	v_add_f32_e32 v175, v175, v181
	s_waitcnt vmcnt(6)
	v_fma_f32 v106, v129, v168, -v106
	v_fmac_f32_e32 v183, v122, v164
	v_add_f32_e32 v175, v175, v182
	v_add_f32_e32 v105, v105, v106
	v_mul_f32_e32 v106, v132, v152
	v_fmac_f32_e32 v184, v124, v165
	v_add_f32_e32 v175, v175, v183
	s_waitcnt vmcnt(5)
	v_fma_f32 v106, v131, v169, -v106
	v_fmac_f32_e32 v185, v126, v166
	v_add_f32_e32 v175, v175, v184
	v_add_f32_e32 v105, v105, v106
	v_mul_f32_e32 v106, v134, v153
	v_fmac_f32_e32 v186, v128, v167
	v_add_f32_e32 v175, v175, v185
	s_waitcnt vmcnt(4)
	v_fma_f32 v106, v133, v170, -v106
	v_fmac_f32_e32 v187, v130, v168
	v_add_f32_e32 v175, v175, v186
	v_add_f32_e32 v105, v105, v106
	v_mul_f32_e32 v106, v136, v154
	v_fmac_f32_e32 v188, v132, v169
	v_add_f32_e32 v175, v175, v187
	s_waitcnt vmcnt(3)
	v_fma_f32 v106, v135, v171, -v106
	v_fmac_f32_e32 v189, v134, v170
	v_add_f32_e32 v175, v175, v188
	v_add_f32_e32 v105, v105, v106
	v_mul_f32_e32 v106, v138, v155
	v_fmac_f32_e32 v190, v136, v171
	v_add_f32_e32 v175, v175, v189
	s_waitcnt vmcnt(2)
	v_fma_f32 v106, v137, v172, -v106
	v_fmac_f32_e32 v191, v138, v172
	v_add_f32_e32 v175, v175, v190
	v_add_f32_e32 v105, v105, v106
	;; [unrolled: 1-line block ×3, first 2 shown]
	s_waitcnt vmcnt(1)
	v_sub_f32_e32 v105, v173, v105
	s_waitcnt vmcnt(0)
	v_sub_f32_e32 v106, v174, v175
	buffer_store_dword v105, off, s[0:3], 0 offset:264
	buffer_store_dword v106, off, s[0:3], 0 offset:268
	s_and_saveexec_b64 s[4:5], vcc
	s_cbranch_execz .LBB114_255
; %bb.254:
	buffer_load_dword v105, off, s[0:3], 0 offset:256
	buffer_load_dword v106, off, s[0:3], 0 offset:260
	s_waitcnt vmcnt(0)
	ds_write_b64 v103, v[105:106]
	buffer_store_dword v104, off, s[0:3], 0 offset:256
	buffer_store_dword v104, off, s[0:3], 0 offset:260
.LBB114_255:
	s_or_b64 exec, exec, s[4:5]
	s_waitcnt lgkmcnt(0)
	; wave barrier
	buffer_load_dword v141, off, s[0:3], 0 offset:268
	buffer_load_dword v142, off, s[0:3], 0 offset:276
	;; [unrolled: 1-line block ×38, first 2 shown]
	ds_read2_b64 v[105:108], v104 offset0:85 offset1:86
	ds_read2_b64 v[109:112], v104 offset0:87 offset1:88
	;; [unrolled: 1-line block ×9, first 2 shown]
	v_cmp_lt_u32_e32 vcc, 31, v0
	s_waitcnt vmcnt(37) lgkmcnt(8)
	v_mul_f32_e32 v104, v105, v141
	s_waitcnt vmcnt(36)
	v_mul_f32_e32 v179, v107, v142
	s_waitcnt vmcnt(35) lgkmcnt(7)
	v_mul_f32_e32 v180, v109, v143
	s_waitcnt vmcnt(34)
	v_mul_f32_e32 v181, v111, v144
	;; [unrolled: 4-line block ×8, first 2 shown]
	s_waitcnt vmcnt(21) lgkmcnt(0)
	v_mul_f32_e32 v194, v137, v157
	s_waitcnt vmcnt(20)
	v_fmac_f32_e32 v104, v106, v158
	v_mul_f32_e32 v106, v106, v141
	v_fma_f32 v105, v105, v158, -v106
	v_mul_f32_e32 v106, v108, v142
	v_add_f32_e32 v105, 0, v105
	s_waitcnt vmcnt(19)
	v_fma_f32 v106, v107, v159, -v106
	v_add_f32_e32 v105, v105, v106
	v_mul_f32_e32 v106, v110, v143
	s_waitcnt vmcnt(18)
	v_fma_f32 v106, v109, v160, -v106
	v_add_f32_e32 v105, v105, v106
	v_mul_f32_e32 v106, v112, v144
	;; [unrolled: 4-line block ×8, first 2 shown]
	s_waitcnt vmcnt(11)
	v_fma_f32 v106, v123, v167, -v106
	v_fmac_f32_e32 v179, v108, v159
	v_add_f32_e32 v104, 0, v104
	v_add_f32_e32 v105, v105, v106
	v_mul_f32_e32 v106, v126, v151
	v_fmac_f32_e32 v180, v110, v160
	v_add_f32_e32 v104, v104, v179
	s_waitcnt vmcnt(10)
	v_fma_f32 v106, v125, v168, -v106
	v_fmac_f32_e32 v181, v112, v161
	v_add_f32_e32 v104, v104, v180
	v_add_f32_e32 v105, v105, v106
	v_mul_f32_e32 v106, v128, v152
	v_fmac_f32_e32 v182, v114, v162
	v_add_f32_e32 v104, v104, v181
	;; [unrolled: 8-line block ×7, first 2 shown]
	s_waitcnt vmcnt(4)
	v_fma_f32 v106, v137, v174, -v106
	v_fmac_f32_e32 v193, v136, v173
	v_add_f32_e32 v104, v104, v192
	v_add_f32_e32 v105, v105, v106
	s_waitcnt vmcnt(3)
	v_mul_f32_e32 v106, v140, v175
	v_add_f32_e32 v104, v104, v193
	v_fmac_f32_e32 v194, v138, v174
	v_mul_f32_e32 v179, v139, v175
	s_waitcnt vmcnt(2)
	v_fma_f32 v106, v139, v176, -v106
	v_add_f32_e32 v104, v104, v194
	v_fmac_f32_e32 v179, v140, v176
	v_add_f32_e32 v105, v105, v106
	v_add_f32_e32 v104, v104, v179
	s_waitcnt vmcnt(1)
	v_sub_f32_e32 v105, v177, v105
	s_waitcnt vmcnt(0)
	v_sub_f32_e32 v104, v178, v104
	buffer_store_dword v105, off, s[0:3], 0 offset:256
	buffer_store_dword v104, off, s[0:3], 0 offset:260
	s_and_saveexec_b64 s[4:5], vcc
	s_cbranch_execz .LBB114_257
; %bb.256:
	buffer_load_dword v104, off, s[0:3], 0 offset:248
	buffer_load_dword v105, off, s[0:3], 0 offset:252
	v_mov_b32_e32 v106, 0
	buffer_store_dword v106, off, s[0:3], 0 offset:248
	buffer_store_dword v106, off, s[0:3], 0 offset:252
	s_waitcnt vmcnt(2)
	ds_write_b64 v103, v[104:105]
.LBB114_257:
	s_or_b64 exec, exec, s[4:5]
	s_waitcnt lgkmcnt(0)
	; wave barrier
	buffer_load_dword v143, off, s[0:3], 0 offset:260
	buffer_load_dword v144, off, s[0:3], 0 offset:268
	;; [unrolled: 1-line block ×40, first 2 shown]
	v_mov_b32_e32 v104, 0
	ds_read_b128 v[105:108], v104 offset:672
	ds_read_b128 v[109:112], v104 offset:688
	ds_read_b128 v[113:116], v104 offset:704
	ds_read_b128 v[117:120], v104 offset:720
	ds_read_b128 v[121:124], v104 offset:736
	ds_read_b128 v[125:128], v104 offset:752
	ds_read_b128 v[129:132], v104 offset:768
	ds_read_b128 v[133:136], v104 offset:784
	ds_read_b128 v[137:140], v104 offset:800
	v_cmp_lt_u32_e32 vcc, 30, v0
	s_waitcnt vmcnt(39) lgkmcnt(8)
	v_mul_f32_e32 v141, v105, v143
	s_waitcnt vmcnt(38)
	v_mul_f32_e32 v142, v107, v144
	s_waitcnt vmcnt(37) lgkmcnt(7)
	v_mul_f32_e32 v183, v109, v145
	s_waitcnt vmcnt(36)
	v_mul_f32_e32 v184, v111, v146
	;; [unrolled: 4-line block ×7, first 2 shown]
	s_waitcnt vmcnt(25) lgkmcnt(1)
	v_mul_f32_e32 v195, v133, v157
	s_waitcnt vmcnt(24)
	v_fmac_f32_e32 v141, v106, v158
	v_mul_f32_e32 v106, v106, v143
	v_fma_f32 v105, v105, v158, -v106
	v_mul_f32_e32 v106, v108, v144
	v_add_f32_e32 v105, 0, v105
	s_waitcnt vmcnt(23)
	v_fma_f32 v106, v107, v159, -v106
	v_add_f32_e32 v105, v105, v106
	v_mul_f32_e32 v106, v110, v145
	s_waitcnt vmcnt(22)
	v_fma_f32 v106, v109, v160, -v106
	v_add_f32_e32 v105, v105, v106
	v_mul_f32_e32 v106, v112, v146
	;; [unrolled: 4-line block ×6, first 2 shown]
	s_waitcnt vmcnt(17)
	v_fma_f32 v106, v119, v165, -v106
	v_fmac_f32_e32 v142, v108, v159
	v_add_f32_e32 v141, 0, v141
	v_add_f32_e32 v105, v105, v106
	v_mul_f32_e32 v106, v122, v151
	v_fmac_f32_e32 v183, v110, v160
	v_add_f32_e32 v141, v141, v142
	s_waitcnt vmcnt(16)
	v_fma_f32 v106, v121, v166, -v106
	v_fmac_f32_e32 v184, v112, v161
	v_add_f32_e32 v141, v141, v183
	v_add_f32_e32 v105, v105, v106
	v_mul_f32_e32 v106, v124, v152
	v_fmac_f32_e32 v185, v114, v162
	v_add_f32_e32 v141, v141, v184
	s_waitcnt vmcnt(15)
	v_fma_f32 v106, v123, v167, -v106
	v_fmac_f32_e32 v186, v116, v163
	v_add_f32_e32 v141, v141, v185
	v_add_f32_e32 v105, v105, v106
	v_mul_f32_e32 v106, v126, v153
	v_fmac_f32_e32 v187, v118, v164
	v_add_f32_e32 v141, v141, v186
	s_waitcnt vmcnt(14)
	v_fma_f32 v106, v125, v168, -v106
	v_fmac_f32_e32 v188, v120, v165
	v_add_f32_e32 v141, v141, v187
	v_add_f32_e32 v105, v105, v106
	v_mul_f32_e32 v106, v128, v154
	v_fmac_f32_e32 v189, v122, v166
	v_add_f32_e32 v141, v141, v188
	s_waitcnt vmcnt(13)
	v_fma_f32 v106, v127, v169, -v106
	v_fmac_f32_e32 v190, v124, v167
	v_add_f32_e32 v141, v141, v189
	v_add_f32_e32 v105, v105, v106
	v_mul_f32_e32 v106, v130, v155
	v_fmac_f32_e32 v191, v126, v168
	v_add_f32_e32 v141, v141, v190
	s_waitcnt vmcnt(12)
	v_fma_f32 v106, v129, v170, -v106
	v_fmac_f32_e32 v192, v128, v169
	v_add_f32_e32 v141, v141, v191
	v_add_f32_e32 v105, v105, v106
	v_mul_f32_e32 v106, v132, v156
	v_fmac_f32_e32 v193, v130, v170
	v_add_f32_e32 v141, v141, v192
	s_waitcnt vmcnt(11)
	v_fma_f32 v106, v131, v171, -v106
	v_fmac_f32_e32 v194, v132, v171
	v_add_f32_e32 v141, v141, v193
	v_add_f32_e32 v105, v105, v106
	v_mul_f32_e32 v106, v134, v157
	s_waitcnt vmcnt(10)
	v_fmac_f32_e32 v195, v134, v172
	v_add_f32_e32 v141, v141, v194
	s_waitcnt vmcnt(9)
	v_mul_f32_e32 v142, v135, v173
	v_fma_f32 v106, v133, v172, -v106
	v_add_f32_e32 v141, v141, v195
	s_waitcnt vmcnt(8)
	v_fmac_f32_e32 v142, v136, v174
	v_add_f32_e32 v105, v105, v106
	v_mul_f32_e32 v106, v136, v173
	v_add_f32_e32 v183, v141, v142
	ds_read_b64 v[141:142], v104 offset:816
	v_fma_f32 v106, v135, v174, -v106
	v_add_f32_e32 v105, v105, v106
	s_waitcnt vmcnt(7) lgkmcnt(1)
	v_mul_f32_e32 v106, v138, v175
	v_mul_f32_e32 v184, v137, v175
	s_waitcnt vmcnt(6)
	v_fma_f32 v106, v137, v176, -v106
	v_fmac_f32_e32 v184, v138, v176
	v_add_f32_e32 v105, v105, v106
	s_waitcnt vmcnt(5)
	v_mul_f32_e32 v106, v140, v177
	v_add_f32_e32 v183, v183, v184
	v_mul_f32_e32 v184, v139, v177
	s_waitcnt vmcnt(4)
	v_fma_f32 v106, v139, v178, -v106
	v_fmac_f32_e32 v184, v140, v178
	v_add_f32_e32 v105, v105, v106
	s_waitcnt vmcnt(3) lgkmcnt(0)
	v_mul_f32_e32 v106, v142, v179
	v_add_f32_e32 v183, v183, v184
	v_mul_f32_e32 v184, v141, v179
	s_waitcnt vmcnt(2)
	v_fma_f32 v106, v141, v180, -v106
	v_fmac_f32_e32 v184, v142, v180
	v_add_f32_e32 v105, v105, v106
	v_add_f32_e32 v183, v183, v184
	s_waitcnt vmcnt(1)
	v_sub_f32_e32 v105, v181, v105
	s_waitcnt vmcnt(0)
	v_sub_f32_e32 v106, v182, v183
	buffer_store_dword v105, off, s[0:3], 0 offset:248
	buffer_store_dword v106, off, s[0:3], 0 offset:252
	s_and_saveexec_b64 s[4:5], vcc
	s_cbranch_execz .LBB114_259
; %bb.258:
	buffer_load_dword v105, off, s[0:3], 0 offset:240
	buffer_load_dword v106, off, s[0:3], 0 offset:244
	s_waitcnt vmcnt(0)
	ds_write_b64 v103, v[105:106]
	buffer_store_dword v104, off, s[0:3], 0 offset:240
	buffer_store_dword v104, off, s[0:3], 0 offset:244
.LBB114_259:
	s_or_b64 exec, exec, s[4:5]
	s_waitcnt lgkmcnt(0)
	; wave barrier
	buffer_load_dword v145, off, s[0:3], 0 offset:252
	buffer_load_dword v146, off, s[0:3], 0 offset:260
	;; [unrolled: 1-line block ×42, first 2 shown]
	ds_read2_b64 v[105:108], v104 offset0:83 offset1:84
	ds_read2_b64 v[109:112], v104 offset0:85 offset1:86
	;; [unrolled: 1-line block ×8, first 2 shown]
	v_cmp_lt_u32_e32 vcc, 29, v0
	s_waitcnt vmcnt(41) lgkmcnt(7)
	v_mul_f32_e32 v137, v105, v145
	s_waitcnt vmcnt(40)
	v_mul_f32_e32 v138, v107, v146
	s_waitcnt vmcnt(39) lgkmcnt(6)
	v_mul_f32_e32 v139, v109, v147
	s_waitcnt vmcnt(38)
	v_mul_f32_e32 v140, v111, v148
	s_waitcnt vmcnt(37) lgkmcnt(5)
	v_mul_f32_e32 v141, v113, v149
	s_waitcnt vmcnt(36)
	v_mul_f32_e32 v142, v115, v150
	s_waitcnt vmcnt(35) lgkmcnt(4)
	v_mul_f32_e32 v143, v117, v151
	s_waitcnt vmcnt(34)
	v_mul_f32_e32 v144, v119, v152
	s_waitcnt vmcnt(33) lgkmcnt(3)
	v_mul_f32_e32 v187, v121, v153
	s_waitcnt vmcnt(32)
	v_mul_f32_e32 v188, v123, v154
	s_waitcnt vmcnt(31) lgkmcnt(2)
	v_mul_f32_e32 v189, v125, v155
	s_waitcnt vmcnt(30)
	v_mul_f32_e32 v190, v127, v156
	s_waitcnt vmcnt(29) lgkmcnt(1)
	v_mul_f32_e32 v191, v129, v157
	s_waitcnt vmcnt(28)
	v_mul_f32_e32 v192, v131, v158
	s_waitcnt vmcnt(27) lgkmcnt(0)
	v_mul_f32_e32 v193, v133, v159
	s_waitcnt vmcnt(26)
	v_fmac_f32_e32 v137, v106, v160
	v_mul_f32_e32 v106, v106, v145
	v_fma_f32 v105, v105, v160, -v106
	v_mul_f32_e32 v106, v108, v146
	v_add_f32_e32 v105, 0, v105
	s_waitcnt vmcnt(25)
	v_fma_f32 v106, v107, v161, -v106
	v_add_f32_e32 v105, v105, v106
	v_mul_f32_e32 v106, v110, v147
	s_waitcnt vmcnt(24)
	v_fma_f32 v106, v109, v162, -v106
	v_add_f32_e32 v105, v105, v106
	v_mul_f32_e32 v106, v112, v148
	;; [unrolled: 4-line block ×5, first 2 shown]
	v_fmac_f32_e32 v138, v108, v161
	v_add_f32_e32 v137, 0, v137
	s_waitcnt vmcnt(20)
	v_fma_f32 v106, v117, v166, -v106
	v_fmac_f32_e32 v139, v110, v162
	v_add_f32_e32 v137, v137, v138
	v_add_f32_e32 v105, v105, v106
	v_mul_f32_e32 v106, v120, v152
	v_fmac_f32_e32 v140, v112, v163
	v_add_f32_e32 v137, v137, v139
	s_waitcnt vmcnt(19)
	v_fma_f32 v106, v119, v167, -v106
	v_fmac_f32_e32 v141, v114, v164
	v_add_f32_e32 v137, v137, v140
	v_add_f32_e32 v105, v105, v106
	v_mul_f32_e32 v106, v122, v153
	;; [unrolled: 8-line block ×5, first 2 shown]
	s_waitcnt vmcnt(15)
	v_fmac_f32_e32 v190, v128, v171
	v_add_f32_e32 v137, v137, v189
	v_fma_f32 v106, v127, v171, -v106
	s_waitcnt vmcnt(14)
	v_fmac_f32_e32 v191, v130, v172
	v_add_f32_e32 v137, v137, v190
	v_add_f32_e32 v105, v105, v106
	v_mul_f32_e32 v106, v130, v157
	s_waitcnt vmcnt(13)
	v_fmac_f32_e32 v192, v132, v173
	v_add_f32_e32 v137, v137, v191
	v_fma_f32 v106, v129, v172, -v106
	s_waitcnt vmcnt(12)
	v_fmac_f32_e32 v193, v134, v174
	v_add_f32_e32 v137, v137, v192
	v_add_f32_e32 v105, v105, v106
	v_mul_f32_e32 v106, v132, v158
	v_add_f32_e32 v141, v137, v193
	ds_read2_b64 v[137:140], v104 offset0:99 offset1:100
	v_fma_f32 v106, v131, v173, -v106
	v_add_f32_e32 v105, v105, v106
	v_mul_f32_e32 v106, v134, v159
	s_waitcnt vmcnt(11)
	v_mul_f32_e32 v142, v135, v175
	v_fma_f32 v106, v133, v174, -v106
	s_waitcnt vmcnt(10)
	v_fmac_f32_e32 v142, v136, v176
	v_add_f32_e32 v105, v105, v106
	v_mul_f32_e32 v106, v136, v175
	v_add_f32_e32 v187, v141, v142
	ds_read2_b64 v[141:144], v104 offset0:101 offset1:102
	v_fma_f32 v106, v135, v176, -v106
	v_add_f32_e32 v105, v105, v106
	s_waitcnt vmcnt(9) lgkmcnt(1)
	v_mul_f32_e32 v106, v138, v177
	v_mul_f32_e32 v104, v137, v177
	s_waitcnt vmcnt(8)
	v_fma_f32 v106, v137, v178, -v106
	v_fmac_f32_e32 v104, v138, v178
	v_add_f32_e32 v105, v105, v106
	s_waitcnt vmcnt(7)
	v_mul_f32_e32 v106, v140, v179
	v_add_f32_e32 v104, v187, v104
	v_mul_f32_e32 v187, v139, v179
	s_waitcnt vmcnt(6)
	v_fma_f32 v106, v139, v180, -v106
	v_fmac_f32_e32 v187, v140, v180
	v_add_f32_e32 v105, v105, v106
	s_waitcnt vmcnt(5) lgkmcnt(0)
	v_mul_f32_e32 v106, v142, v181
	v_add_f32_e32 v104, v104, v187
	v_mul_f32_e32 v187, v141, v181
	s_waitcnt vmcnt(4)
	v_fma_f32 v106, v141, v182, -v106
	v_fmac_f32_e32 v187, v142, v182
	v_add_f32_e32 v105, v105, v106
	s_waitcnt vmcnt(3)
	v_mul_f32_e32 v106, v144, v183
	v_add_f32_e32 v104, v104, v187
	v_mul_f32_e32 v187, v143, v183
	s_waitcnt vmcnt(2)
	v_fma_f32 v106, v143, v184, -v106
	v_fmac_f32_e32 v187, v144, v184
	v_add_f32_e32 v105, v105, v106
	v_add_f32_e32 v104, v104, v187
	s_waitcnt vmcnt(1)
	v_sub_f32_e32 v105, v185, v105
	s_waitcnt vmcnt(0)
	v_sub_f32_e32 v104, v186, v104
	buffer_store_dword v105, off, s[0:3], 0 offset:240
	buffer_store_dword v104, off, s[0:3], 0 offset:244
	s_and_saveexec_b64 s[4:5], vcc
	s_cbranch_execz .LBB114_261
; %bb.260:
	buffer_load_dword v104, off, s[0:3], 0 offset:232
	buffer_load_dword v105, off, s[0:3], 0 offset:236
	v_mov_b32_e32 v106, 0
	buffer_store_dword v106, off, s[0:3], 0 offset:232
	buffer_store_dword v106, off, s[0:3], 0 offset:236
	s_waitcnt vmcnt(2)
	ds_write_b64 v103, v[104:105]
.LBB114_261:
	s_or_b64 exec, exec, s[4:5]
	s_waitcnt lgkmcnt(0)
	; wave barrier
	buffer_load_dword v147, off, s[0:3], 0 offset:244
	buffer_load_dword v148, off, s[0:3], 0 offset:252
	;; [unrolled: 1-line block ×44, first 2 shown]
	v_mov_b32_e32 v104, 0
	ds_read_b128 v[105:108], v104 offset:656
	ds_read_b128 v[109:112], v104 offset:672
	;; [unrolled: 1-line block ×8, first 2 shown]
	v_cmp_lt_u32_e32 vcc, 28, v0
	s_waitcnt vmcnt(43) lgkmcnt(7)
	v_mul_f32_e32 v137, v105, v147
	s_waitcnt vmcnt(42)
	v_mul_f32_e32 v138, v107, v148
	s_waitcnt vmcnt(41) lgkmcnt(6)
	v_mul_f32_e32 v139, v109, v149
	s_waitcnt vmcnt(40)
	v_mul_f32_e32 v140, v111, v150
	;; [unrolled: 4-line block ×7, first 2 shown]
	s_waitcnt vmcnt(29)
	v_fmac_f32_e32 v137, v106, v161
	v_mul_f32_e32 v106, v106, v147
	v_fma_f32 v105, v105, v161, -v106
	v_mul_f32_e32 v106, v108, v148
	v_add_f32_e32 v105, 0, v105
	s_waitcnt vmcnt(28)
	v_fma_f32 v106, v107, v162, -v106
	v_add_f32_e32 v105, v105, v106
	v_mul_f32_e32 v106, v110, v149
	s_waitcnt vmcnt(27)
	v_fma_f32 v106, v109, v163, -v106
	v_add_f32_e32 v105, v105, v106
	v_mul_f32_e32 v106, v112, v150
	;; [unrolled: 4-line block ×4, first 2 shown]
	s_waitcnt vmcnt(24)
	v_fma_f32 v106, v115, v166, -v106
	v_fmac_f32_e32 v138, v108, v162
	v_add_f32_e32 v137, 0, v137
	v_add_f32_e32 v105, v105, v106
	v_mul_f32_e32 v106, v118, v153
	v_fmac_f32_e32 v139, v110, v163
	v_add_f32_e32 v137, v137, v138
	s_waitcnt vmcnt(23)
	v_fma_f32 v106, v117, v167, -v106
	v_fmac_f32_e32 v140, v112, v164
	v_add_f32_e32 v137, v137, v139
	v_add_f32_e32 v105, v105, v106
	v_mul_f32_e32 v106, v120, v154
	v_fmac_f32_e32 v141, v114, v165
	v_add_f32_e32 v137, v137, v140
	;; [unrolled: 8-line block ×4, first 2 shown]
	s_waitcnt vmcnt(20)
	v_fma_f32 v106, v123, v170, -v106
	v_fmac_f32_e32 v146, v124, v170
	v_add_f32_e32 v137, v137, v145
	v_add_f32_e32 v105, v105, v106
	v_mul_f32_e32 v106, v126, v157
	s_waitcnt vmcnt(19)
	v_fmac_f32_e32 v191, v126, v171
	v_add_f32_e32 v137, v137, v146
	v_fma_f32 v106, v125, v171, -v106
	s_waitcnt vmcnt(18)
	v_fmac_f32_e32 v192, v128, v172
	v_add_f32_e32 v137, v137, v191
	v_add_f32_e32 v105, v105, v106
	v_mul_f32_e32 v106, v128, v158
	s_waitcnt vmcnt(17)
	v_fmac_f32_e32 v193, v130, v173
	v_add_f32_e32 v137, v137, v192
	v_fma_f32 v106, v127, v172, -v106
	v_add_f32_e32 v137, v137, v193
	s_waitcnt vmcnt(16)
	v_fmac_f32_e32 v194, v132, v174
	s_waitcnt vmcnt(15) lgkmcnt(0)
	v_mul_f32_e32 v138, v133, v175
	v_add_f32_e32 v105, v105, v106
	v_mul_f32_e32 v106, v130, v159
	v_add_f32_e32 v137, v137, v194
	s_waitcnt vmcnt(14)
	v_fmac_f32_e32 v138, v134, v176
	v_fma_f32 v106, v129, v173, -v106
	v_add_f32_e32 v141, v137, v138
	ds_read_b128 v[137:140], v104 offset:784
	v_add_f32_e32 v105, v105, v106
	v_mul_f32_e32 v106, v132, v160
	v_fma_f32 v106, v131, v174, -v106
	v_add_f32_e32 v105, v105, v106
	v_mul_f32_e32 v106, v134, v175
	s_waitcnt vmcnt(13)
	v_mul_f32_e32 v142, v135, v177
	v_fma_f32 v106, v133, v176, -v106
	s_waitcnt vmcnt(12)
	v_fmac_f32_e32 v142, v136, v178
	v_add_f32_e32 v105, v105, v106
	v_mul_f32_e32 v106, v136, v177
	v_add_f32_e32 v145, v141, v142
	ds_read_b128 v[141:144], v104 offset:800
	s_waitcnt vmcnt(11) lgkmcnt(1)
	v_mul_f32_e32 v146, v137, v179
	v_fma_f32 v106, v135, v178, -v106
	s_waitcnt vmcnt(10)
	v_fmac_f32_e32 v146, v138, v180
	v_add_f32_e32 v105, v105, v106
	v_mul_f32_e32 v106, v138, v179
	v_add_f32_e32 v145, v145, v146
	s_waitcnt vmcnt(9)
	v_mul_f32_e32 v146, v139, v181
	v_fma_f32 v106, v137, v180, -v106
	s_waitcnt vmcnt(8)
	v_fmac_f32_e32 v146, v140, v182
	v_add_f32_e32 v105, v105, v106
	v_mul_f32_e32 v106, v140, v181
	v_add_f32_e32 v191, v145, v146
	ds_read_b64 v[145:146], v104 offset:816
	v_fma_f32 v106, v139, v182, -v106
	v_add_f32_e32 v105, v105, v106
	s_waitcnt vmcnt(7) lgkmcnt(1)
	v_mul_f32_e32 v106, v142, v183
	v_mul_f32_e32 v192, v141, v183
	s_waitcnt vmcnt(6)
	v_fma_f32 v106, v141, v184, -v106
	v_fmac_f32_e32 v192, v142, v184
	v_add_f32_e32 v105, v105, v106
	s_waitcnt vmcnt(5)
	v_mul_f32_e32 v106, v144, v185
	v_add_f32_e32 v191, v191, v192
	v_mul_f32_e32 v192, v143, v185
	s_waitcnt vmcnt(4)
	v_fma_f32 v106, v143, v186, -v106
	v_fmac_f32_e32 v192, v144, v186
	v_add_f32_e32 v105, v105, v106
	s_waitcnt vmcnt(3) lgkmcnt(0)
	v_mul_f32_e32 v106, v146, v187
	v_add_f32_e32 v191, v191, v192
	v_mul_f32_e32 v192, v145, v187
	s_waitcnt vmcnt(2)
	v_fma_f32 v106, v145, v188, -v106
	v_fmac_f32_e32 v192, v146, v188
	v_add_f32_e32 v105, v105, v106
	v_add_f32_e32 v191, v191, v192
	s_waitcnt vmcnt(1)
	v_sub_f32_e32 v105, v189, v105
	s_waitcnt vmcnt(0)
	v_sub_f32_e32 v106, v190, v191
	buffer_store_dword v105, off, s[0:3], 0 offset:232
	buffer_store_dword v106, off, s[0:3], 0 offset:236
	s_and_saveexec_b64 s[4:5], vcc
	s_cbranch_execz .LBB114_263
; %bb.262:
	buffer_load_dword v105, off, s[0:3], 0 offset:224
	buffer_load_dword v106, off, s[0:3], 0 offset:228
	s_waitcnt vmcnt(0)
	ds_write_b64 v103, v[105:106]
	buffer_store_dword v104, off, s[0:3], 0 offset:224
	buffer_store_dword v104, off, s[0:3], 0 offset:228
.LBB114_263:
	s_or_b64 exec, exec, s[4:5]
	s_waitcnt lgkmcnt(0)
	; wave barrier
	buffer_load_dword v149, off, s[0:3], 0 offset:236
	buffer_load_dword v150, off, s[0:3], 0 offset:244
	;; [unrolled: 1-line block ×46, first 2 shown]
	ds_read2_b64 v[105:108], v104 offset0:81 offset1:82
	ds_read2_b64 v[109:112], v104 offset0:83 offset1:84
	ds_read2_b64 v[113:116], v104 offset0:85 offset1:86
	ds_read2_b64 v[117:120], v104 offset0:87 offset1:88
	ds_read2_b64 v[121:124], v104 offset0:89 offset1:90
	ds_read2_b64 v[125:128], v104 offset0:91 offset1:92
	ds_read2_b64 v[129:132], v104 offset0:93 offset1:94
	ds_read2_b64 v[133:136], v104 offset0:95 offset1:96
	v_cmp_lt_u32_e32 vcc, 27, v0
	s_waitcnt vmcnt(45) lgkmcnt(7)
	v_mul_f32_e32 v137, v105, v149
	s_waitcnt vmcnt(44)
	v_mul_f32_e32 v138, v107, v150
	s_waitcnt vmcnt(43) lgkmcnt(6)
	v_mul_f32_e32 v139, v109, v151
	s_waitcnt vmcnt(42)
	v_mul_f32_e32 v140, v111, v152
	;; [unrolled: 4-line block ×6, first 2 shown]
	s_waitcnt vmcnt(33) lgkmcnt(1)
	v_mul_f32_e32 v195, v129, v161
	s_waitcnt vmcnt(32)
	v_fmac_f32_e32 v137, v106, v162
	v_mul_f32_e32 v106, v106, v149
	v_fma_f32 v105, v105, v162, -v106
	v_mul_f32_e32 v106, v108, v150
	v_add_f32_e32 v105, 0, v105
	s_waitcnt vmcnt(31)
	v_fma_f32 v106, v107, v163, -v106
	v_add_f32_e32 v105, v105, v106
	v_mul_f32_e32 v106, v110, v151
	s_waitcnt vmcnt(30)
	v_fma_f32 v106, v109, v164, -v106
	v_add_f32_e32 v105, v105, v106
	v_mul_f32_e32 v106, v112, v152
	;; [unrolled: 4-line block ×4, first 2 shown]
	v_fmac_f32_e32 v138, v108, v163
	v_add_f32_e32 v137, 0, v137
	s_waitcnt vmcnt(27)
	v_fma_f32 v106, v115, v167, -v106
	v_fmac_f32_e32 v139, v110, v164
	v_add_f32_e32 v137, v137, v138
	v_add_f32_e32 v105, v105, v106
	v_mul_f32_e32 v106, v118, v155
	v_fmac_f32_e32 v140, v112, v165
	v_add_f32_e32 v137, v137, v139
	s_waitcnt vmcnt(26)
	v_fma_f32 v106, v117, v168, -v106
	v_fmac_f32_e32 v141, v114, v166
	v_add_f32_e32 v137, v137, v140
	v_add_f32_e32 v105, v105, v106
	v_mul_f32_e32 v106, v120, v156
	;; [unrolled: 8-line block ×4, first 2 shown]
	s_waitcnt vmcnt(23)
	v_fmac_f32_e32 v146, v124, v171
	v_add_f32_e32 v137, v137, v145
	v_fma_f32 v106, v123, v171, -v106
	s_waitcnt vmcnt(22)
	v_fmac_f32_e32 v147, v126, v172
	v_add_f32_e32 v137, v137, v146
	v_add_f32_e32 v105, v105, v106
	v_mul_f32_e32 v106, v126, v159
	s_waitcnt vmcnt(21)
	v_fmac_f32_e32 v148, v128, v173
	v_add_f32_e32 v137, v137, v147
	v_fma_f32 v106, v125, v172, -v106
	s_waitcnt vmcnt(20)
	v_fmac_f32_e32 v195, v130, v174
	v_add_f32_e32 v137, v137, v148
	s_waitcnt vmcnt(19)
	v_mul_f32_e32 v138, v131, v175
	v_add_f32_e32 v105, v105, v106
	v_mul_f32_e32 v106, v128, v160
	v_add_f32_e32 v137, v137, v195
	s_waitcnt vmcnt(18)
	v_fmac_f32_e32 v138, v132, v176
	v_fma_f32 v106, v127, v173, -v106
	v_add_f32_e32 v137, v137, v138
	s_waitcnt vmcnt(17) lgkmcnt(0)
	v_mul_f32_e32 v138, v133, v177
	v_add_f32_e32 v105, v105, v106
	v_mul_f32_e32 v106, v130, v161
	s_waitcnt vmcnt(16)
	v_fmac_f32_e32 v138, v134, v178
	v_fma_f32 v106, v129, v174, -v106
	v_add_f32_e32 v141, v137, v138
	ds_read2_b64 v[137:140], v104 offset0:97 offset1:98
	v_add_f32_e32 v105, v105, v106
	v_mul_f32_e32 v106, v132, v175
	v_fma_f32 v106, v131, v176, -v106
	v_add_f32_e32 v105, v105, v106
	v_mul_f32_e32 v106, v134, v177
	s_waitcnt vmcnt(15)
	v_mul_f32_e32 v142, v135, v179
	v_fma_f32 v106, v133, v178, -v106
	s_waitcnt vmcnt(14)
	v_fmac_f32_e32 v142, v136, v180
	v_add_f32_e32 v105, v105, v106
	v_mul_f32_e32 v106, v136, v179
	v_add_f32_e32 v145, v141, v142
	ds_read2_b64 v[141:144], v104 offset0:99 offset1:100
	s_waitcnt vmcnt(13) lgkmcnt(1)
	v_mul_f32_e32 v146, v137, v181
	v_fma_f32 v106, v135, v180, -v106
	s_waitcnt vmcnt(12)
	v_fmac_f32_e32 v146, v138, v182
	v_add_f32_e32 v105, v105, v106
	v_mul_f32_e32 v106, v138, v181
	v_add_f32_e32 v145, v145, v146
	s_waitcnt vmcnt(11)
	v_mul_f32_e32 v146, v139, v183
	v_fma_f32 v106, v137, v182, -v106
	s_waitcnt vmcnt(10)
	v_fmac_f32_e32 v146, v140, v184
	v_add_f32_e32 v105, v105, v106
	v_mul_f32_e32 v106, v140, v183
	v_add_f32_e32 v195, v145, v146
	ds_read2_b64 v[145:148], v104 offset0:101 offset1:102
	v_fma_f32 v106, v139, v184, -v106
	v_add_f32_e32 v105, v105, v106
	s_waitcnt vmcnt(9) lgkmcnt(1)
	v_mul_f32_e32 v106, v142, v185
	v_mul_f32_e32 v196, v141, v185
	s_waitcnt vmcnt(8)
	v_fma_f32 v106, v141, v186, -v106
	v_fmac_f32_e32 v196, v142, v186
	v_add_f32_e32 v105, v105, v106
	s_waitcnt vmcnt(7)
	v_mul_f32_e32 v106, v144, v187
	v_add_f32_e32 v104, v195, v196
	v_mul_f32_e32 v195, v143, v187
	s_waitcnt vmcnt(6)
	v_fma_f32 v106, v143, v188, -v106
	v_fmac_f32_e32 v195, v144, v188
	v_add_f32_e32 v105, v105, v106
	s_waitcnt vmcnt(5) lgkmcnt(0)
	v_mul_f32_e32 v106, v146, v189
	v_add_f32_e32 v104, v104, v195
	v_mul_f32_e32 v195, v145, v189
	s_waitcnt vmcnt(4)
	v_fma_f32 v106, v145, v190, -v106
	v_fmac_f32_e32 v195, v146, v190
	v_add_f32_e32 v105, v105, v106
	s_waitcnt vmcnt(3)
	v_mul_f32_e32 v106, v148, v191
	v_add_f32_e32 v104, v104, v195
	v_mul_f32_e32 v195, v147, v191
	s_waitcnt vmcnt(2)
	v_fma_f32 v106, v147, v192, -v106
	v_fmac_f32_e32 v195, v148, v192
	v_add_f32_e32 v105, v105, v106
	v_add_f32_e32 v104, v104, v195
	s_waitcnt vmcnt(1)
	v_sub_f32_e32 v105, v193, v105
	s_waitcnt vmcnt(0)
	v_sub_f32_e32 v104, v194, v104
	buffer_store_dword v105, off, s[0:3], 0 offset:224
	buffer_store_dword v104, off, s[0:3], 0 offset:228
	s_and_saveexec_b64 s[4:5], vcc
	s_cbranch_execz .LBB114_265
; %bb.264:
	buffer_load_dword v104, off, s[0:3], 0 offset:216
	buffer_load_dword v105, off, s[0:3], 0 offset:220
	v_mov_b32_e32 v106, 0
	buffer_store_dword v106, off, s[0:3], 0 offset:216
	buffer_store_dword v106, off, s[0:3], 0 offset:220
	s_waitcnt vmcnt(2)
	ds_write_b64 v103, v[104:105]
.LBB114_265:
	s_or_b64 exec, exec, s[4:5]
	s_waitcnt lgkmcnt(0)
	; wave barrier
	buffer_load_dword v151, off, s[0:3], 0 offset:228
	buffer_load_dword v152, off, s[0:3], 0 offset:236
	;; [unrolled: 1-line block ×48, first 2 shown]
	v_mov_b32_e32 v104, 0
	ds_read_b128 v[105:108], v104 offset:640
	ds_read_b128 v[109:112], v104 offset:656
	;; [unrolled: 1-line block ×7, first 2 shown]
	v_cmp_lt_u32_e32 vcc, 26, v0
	s_waitcnt vmcnt(47) lgkmcnt(6)
	v_mul_f32_e32 v133, v105, v151
	s_waitcnt vmcnt(46)
	v_mul_f32_e32 v134, v107, v152
	s_waitcnt vmcnt(45) lgkmcnt(5)
	v_mul_f32_e32 v135, v109, v153
	s_waitcnt vmcnt(44)
	v_mul_f32_e32 v136, v111, v154
	;; [unrolled: 4-line block ×6, first 2 shown]
	s_waitcnt vmcnt(35)
	v_fmac_f32_e32 v133, v106, v163
	v_mul_f32_e32 v106, v106, v151
	v_fma_f32 v105, v105, v163, -v106
	v_mul_f32_e32 v106, v108, v152
	v_add_f32_e32 v105, 0, v105
	s_waitcnt vmcnt(34)
	v_fma_f32 v106, v107, v164, -v106
	v_add_f32_e32 v105, v105, v106
	v_mul_f32_e32 v106, v110, v153
	s_waitcnt vmcnt(33)
	v_fma_f32 v106, v109, v165, -v106
	v_fmac_f32_e32 v134, v108, v164
	v_add_f32_e32 v133, 0, v133
	v_add_f32_e32 v105, v105, v106
	v_mul_f32_e32 v106, v112, v154
	v_fmac_f32_e32 v135, v110, v165
	v_add_f32_e32 v133, v133, v134
	s_waitcnt vmcnt(32)
	v_fma_f32 v106, v111, v166, -v106
	v_fmac_f32_e32 v136, v112, v166
	v_add_f32_e32 v133, v133, v135
	v_add_f32_e32 v105, v105, v106
	v_mul_f32_e32 v106, v114, v155
	s_waitcnt vmcnt(31)
	v_fmac_f32_e32 v137, v114, v167
	v_add_f32_e32 v133, v133, v136
	v_fma_f32 v106, v113, v167, -v106
	s_waitcnt vmcnt(30)
	v_fmac_f32_e32 v138, v116, v168
	v_add_f32_e32 v133, v133, v137
	v_add_f32_e32 v105, v105, v106
	v_mul_f32_e32 v106, v116, v156
	s_waitcnt vmcnt(29)
	v_fmac_f32_e32 v139, v118, v169
	v_add_f32_e32 v133, v133, v138
	v_fma_f32 v106, v115, v168, -v106
	s_waitcnt vmcnt(28)
	;; [unrolled: 9-line block ×4, first 2 shown]
	v_fmac_f32_e32 v144, v128, v174
	v_add_f32_e32 v133, v133, v143
	v_add_f32_e32 v105, v105, v106
	v_mul_f32_e32 v106, v122, v159
	v_add_f32_e32 v137, v133, v144
	ds_read_b128 v[133:136], v104 offset:752
	v_fma_f32 v106, v121, v171, -v106
	s_waitcnt vmcnt(23) lgkmcnt(1)
	v_mul_f32_e32 v138, v129, v175
	v_add_f32_e32 v105, v105, v106
	v_mul_f32_e32 v106, v124, v160
	s_waitcnt vmcnt(22)
	v_fmac_f32_e32 v138, v130, v176
	v_fma_f32 v106, v123, v172, -v106
	v_add_f32_e32 v137, v137, v138
	s_waitcnt vmcnt(21)
	v_mul_f32_e32 v138, v131, v177
	v_add_f32_e32 v105, v105, v106
	v_mul_f32_e32 v106, v126, v161
	s_waitcnt vmcnt(20)
	v_fmac_f32_e32 v138, v132, v178
	v_fma_f32 v106, v125, v173, -v106
	v_add_f32_e32 v137, v137, v138
	s_waitcnt vmcnt(19) lgkmcnt(0)
	v_mul_f32_e32 v138, v133, v179
	v_add_f32_e32 v105, v105, v106
	v_mul_f32_e32 v106, v128, v162
	s_waitcnt vmcnt(18)
	v_fmac_f32_e32 v138, v134, v180
	v_fma_f32 v106, v127, v174, -v106
	v_add_f32_e32 v141, v137, v138
	ds_read_b128 v[137:140], v104 offset:768
	v_add_f32_e32 v105, v105, v106
	v_mul_f32_e32 v106, v130, v175
	v_fma_f32 v106, v129, v176, -v106
	s_waitcnt vmcnt(17)
	v_mul_f32_e32 v142, v135, v181
	v_add_f32_e32 v105, v105, v106
	v_mul_f32_e32 v106, v132, v177
	s_waitcnt vmcnt(16)
	v_fmac_f32_e32 v142, v136, v182
	v_fma_f32 v106, v131, v178, -v106
	v_add_f32_e32 v145, v141, v142
	ds_read_b128 v[141:144], v104 offset:784
	v_add_f32_e32 v105, v105, v106
	v_mul_f32_e32 v106, v134, v179
	s_waitcnt vmcnt(15) lgkmcnt(1)
	v_mul_f32_e32 v146, v137, v183
	v_fma_f32 v106, v133, v180, -v106
	s_waitcnt vmcnt(14)
	v_fmac_f32_e32 v146, v138, v184
	v_add_f32_e32 v105, v105, v106
	v_mul_f32_e32 v106, v136, v181
	v_add_f32_e32 v145, v145, v146
	s_waitcnt vmcnt(13)
	v_mul_f32_e32 v146, v139, v185
	v_fma_f32 v106, v135, v182, -v106
	s_waitcnt vmcnt(12)
	v_fmac_f32_e32 v146, v140, v186
	v_add_f32_e32 v105, v105, v106
	v_mul_f32_e32 v106, v138, v183
	v_add_f32_e32 v145, v145, v146
	s_waitcnt vmcnt(11) lgkmcnt(0)
	v_mul_f32_e32 v146, v141, v187
	v_fma_f32 v106, v137, v184, -v106
	s_waitcnt vmcnt(10)
	v_fmac_f32_e32 v146, v142, v188
	v_add_f32_e32 v105, v105, v106
	v_mul_f32_e32 v106, v140, v185
	v_add_f32_e32 v149, v145, v146
	ds_read_b128 v[145:148], v104 offset:800
	v_fma_f32 v106, v139, v186, -v106
	v_add_f32_e32 v105, v105, v106
	v_mul_f32_e32 v106, v142, v187
	s_waitcnt vmcnt(9)
	v_mul_f32_e32 v150, v143, v189
	v_fma_f32 v106, v141, v188, -v106
	s_waitcnt vmcnt(8)
	v_fmac_f32_e32 v150, v144, v190
	v_add_f32_e32 v105, v105, v106
	v_mul_f32_e32 v106, v144, v189
	v_add_f32_e32 v199, v149, v150
	ds_read_b64 v[149:150], v104 offset:816
	v_fma_f32 v106, v143, v190, -v106
	v_add_f32_e32 v105, v105, v106
	s_waitcnt vmcnt(6) lgkmcnt(1)
	v_mul_f32_e32 v106, v146, v192
	v_mul_f32_e32 v200, v145, v192
	v_fma_f32 v106, v145, v191, -v106
	v_fmac_f32_e32 v200, v146, v191
	v_add_f32_e32 v105, v105, v106
	s_waitcnt vmcnt(3)
	v_mul_f32_e32 v106, v148, v195
	v_add_f32_e32 v199, v199, v200
	v_mul_f32_e32 v200, v147, v195
	s_waitcnt vmcnt(2)
	v_fma_f32 v106, v147, v196, -v106
	v_fmac_f32_e32 v200, v148, v196
	v_add_f32_e32 v105, v105, v106
	s_waitcnt vmcnt(0) lgkmcnt(0)
	v_mul_f32_e32 v106, v150, v198
	v_add_f32_e32 v199, v199, v200
	v_mul_f32_e32 v200, v149, v198
	v_fma_f32 v106, v149, v197, -v106
	v_fmac_f32_e32 v200, v150, v197
	v_add_f32_e32 v105, v105, v106
	v_add_f32_e32 v199, v199, v200
	v_sub_f32_e32 v105, v193, v105
	v_sub_f32_e32 v106, v194, v199
	buffer_store_dword v105, off, s[0:3], 0 offset:216
	buffer_store_dword v106, off, s[0:3], 0 offset:220
	s_and_saveexec_b64 s[4:5], vcc
	s_cbranch_execz .LBB114_267
; %bb.266:
	buffer_load_dword v105, off, s[0:3], 0 offset:208
	buffer_load_dword v106, off, s[0:3], 0 offset:212
	s_waitcnt vmcnt(0)
	ds_write_b64 v103, v[105:106]
	buffer_store_dword v104, off, s[0:3], 0 offset:208
	buffer_store_dword v104, off, s[0:3], 0 offset:212
.LBB114_267:
	s_or_b64 exec, exec, s[4:5]
	s_waitcnt lgkmcnt(0)
	; wave barrier
	buffer_load_dword v153, off, s[0:3], 0 offset:220
	buffer_load_dword v154, off, s[0:3], 0 offset:228
	;; [unrolled: 1-line block ×48, first 2 shown]
	ds_read2_b64 v[105:108], v104 offset0:79 offset1:80
	ds_read2_b64 v[109:112], v104 offset0:81 offset1:82
	buffer_load_dword v201, off, s[0:3], 0 offset:400
	buffer_load_dword v202, off, s[0:3], 0 offset:404
	ds_read2_b64 v[113:116], v104 offset0:83 offset1:84
	ds_read2_b64 v[117:120], v104 offset0:85 offset1:86
	;; [unrolled: 1-line block ×5, first 2 shown]
	v_cmp_lt_u32_e32 vcc, 25, v0
	s_waitcnt vmcnt(49) lgkmcnt(6)
	v_mul_f32_e32 v133, v105, v153
	s_waitcnt vmcnt(48)
	v_mul_f32_e32 v134, v107, v154
	s_waitcnt vmcnt(47) lgkmcnt(5)
	v_mul_f32_e32 v135, v109, v155
	s_waitcnt vmcnt(46)
	v_mul_f32_e32 v136, v111, v156
	;; [unrolled: 4-line block ×6, first 2 shown]
	s_waitcnt vmcnt(37)
	v_fmac_f32_e32 v133, v106, v165
	v_mul_f32_e32 v106, v106, v153
	v_fma_f32 v105, v105, v165, -v106
	v_mul_f32_e32 v106, v108, v154
	v_add_f32_e32 v105, 0, v105
	s_waitcnt vmcnt(36)
	v_fma_f32 v106, v107, v166, -v106
	v_add_f32_e32 v105, v105, v106
	v_mul_f32_e32 v106, v110, v155
	s_waitcnt vmcnt(35)
	v_fma_f32 v106, v109, v167, -v106
	v_fmac_f32_e32 v134, v108, v166
	v_add_f32_e32 v133, 0, v133
	v_add_f32_e32 v105, v105, v106
	v_mul_f32_e32 v106, v112, v156
	v_fmac_f32_e32 v135, v110, v167
	v_add_f32_e32 v133, v133, v134
	s_waitcnt vmcnt(34)
	v_fma_f32 v106, v111, v168, -v106
	v_fmac_f32_e32 v136, v112, v168
	v_add_f32_e32 v133, v133, v135
	v_add_f32_e32 v105, v105, v106
	v_mul_f32_e32 v106, v114, v157
	s_waitcnt vmcnt(33)
	v_fmac_f32_e32 v137, v114, v169
	v_add_f32_e32 v133, v133, v136
	v_fma_f32 v106, v113, v169, -v106
	s_waitcnt vmcnt(32)
	v_fmac_f32_e32 v138, v116, v170
	v_add_f32_e32 v133, v133, v137
	v_add_f32_e32 v105, v105, v106
	v_mul_f32_e32 v106, v116, v158
	s_waitcnt vmcnt(31)
	v_fmac_f32_e32 v139, v118, v171
	v_add_f32_e32 v133, v133, v138
	v_fma_f32 v106, v115, v170, -v106
	s_waitcnt vmcnt(30)
	;; [unrolled: 9-line block ×3, first 2 shown]
	v_fmac_f32_e32 v142, v124, v174
	v_add_f32_e32 v133, v133, v141
	v_add_f32_e32 v105, v105, v106
	v_mul_f32_e32 v106, v120, v160
	s_waitcnt vmcnt(27)
	v_fmac_f32_e32 v143, v126, v175
	v_add_f32_e32 v133, v133, v142
	v_fma_f32 v106, v119, v172, -v106
	v_add_f32_e32 v133, v133, v143
	s_waitcnt vmcnt(26)
	v_fmac_f32_e32 v144, v128, v176
	v_add_f32_e32 v105, v105, v106
	v_mul_f32_e32 v106, v122, v161
	v_add_f32_e32 v137, v133, v144
	ds_read2_b64 v[133:136], v104 offset0:93 offset1:94
	v_fma_f32 v106, v121, v173, -v106
	s_waitcnt vmcnt(25) lgkmcnt(1)
	v_mul_f32_e32 v138, v129, v177
	v_add_f32_e32 v105, v105, v106
	v_mul_f32_e32 v106, v124, v162
	s_waitcnt vmcnt(24)
	v_fmac_f32_e32 v138, v130, v178
	v_fma_f32 v106, v123, v174, -v106
	v_add_f32_e32 v137, v137, v138
	s_waitcnt vmcnt(23)
	v_mul_f32_e32 v138, v131, v179
	v_add_f32_e32 v105, v105, v106
	v_mul_f32_e32 v106, v126, v163
	s_waitcnt vmcnt(22)
	v_fmac_f32_e32 v138, v132, v180
	v_fma_f32 v106, v125, v175, -v106
	v_add_f32_e32 v137, v137, v138
	s_waitcnt vmcnt(21) lgkmcnt(0)
	v_mul_f32_e32 v138, v133, v181
	v_add_f32_e32 v105, v105, v106
	v_mul_f32_e32 v106, v128, v164
	s_waitcnt vmcnt(20)
	v_fmac_f32_e32 v138, v134, v182
	v_fma_f32 v106, v127, v176, -v106
	v_add_f32_e32 v141, v137, v138
	ds_read2_b64 v[137:140], v104 offset0:95 offset1:96
	v_add_f32_e32 v105, v105, v106
	v_mul_f32_e32 v106, v130, v177
	v_fma_f32 v106, v129, v178, -v106
	s_waitcnt vmcnt(19)
	v_mul_f32_e32 v142, v135, v183
	v_add_f32_e32 v105, v105, v106
	v_mul_f32_e32 v106, v132, v179
	s_waitcnt vmcnt(18)
	v_fmac_f32_e32 v142, v136, v184
	v_fma_f32 v106, v131, v180, -v106
	v_add_f32_e32 v145, v141, v142
	ds_read2_b64 v[141:144], v104 offset0:97 offset1:98
	v_add_f32_e32 v105, v105, v106
	v_mul_f32_e32 v106, v134, v181
	s_waitcnt vmcnt(17) lgkmcnt(1)
	v_mul_f32_e32 v146, v137, v185
	v_fma_f32 v106, v133, v182, -v106
	s_waitcnt vmcnt(16)
	v_fmac_f32_e32 v146, v138, v186
	v_add_f32_e32 v105, v105, v106
	v_mul_f32_e32 v106, v136, v183
	v_add_f32_e32 v145, v145, v146
	s_waitcnt vmcnt(15)
	v_mul_f32_e32 v146, v139, v187
	v_fma_f32 v106, v135, v184, -v106
	s_waitcnt vmcnt(14)
	v_fmac_f32_e32 v146, v140, v188
	v_add_f32_e32 v105, v105, v106
	v_mul_f32_e32 v106, v138, v185
	v_add_f32_e32 v145, v145, v146
	s_waitcnt vmcnt(13) lgkmcnt(0)
	v_mul_f32_e32 v146, v141, v189
	v_fma_f32 v106, v137, v186, -v106
	s_waitcnt vmcnt(12)
	v_fmac_f32_e32 v146, v142, v190
	v_add_f32_e32 v105, v105, v106
	v_mul_f32_e32 v106, v140, v187
	v_add_f32_e32 v149, v145, v146
	ds_read2_b64 v[145:148], v104 offset0:99 offset1:100
	v_fma_f32 v106, v139, v188, -v106
	v_add_f32_e32 v105, v105, v106
	v_mul_f32_e32 v106, v142, v189
	s_waitcnt vmcnt(11)
	v_mul_f32_e32 v150, v143, v191
	v_fma_f32 v106, v141, v190, -v106
	s_waitcnt vmcnt(10)
	v_fmac_f32_e32 v150, v144, v192
	v_add_f32_e32 v105, v105, v106
	v_mul_f32_e32 v106, v144, v191
	v_add_f32_e32 v203, v149, v150
	ds_read2_b64 v[149:152], v104 offset0:101 offset1:102
	v_fma_f32 v106, v143, v192, -v106
	v_add_f32_e32 v105, v105, v106
	s_waitcnt vmcnt(7) lgkmcnt(1)
	v_mul_f32_e32 v106, v146, v195
	v_mul_f32_e32 v104, v145, v195
	s_waitcnt vmcnt(6)
	v_fma_f32 v106, v145, v196, -v106
	v_fmac_f32_e32 v104, v146, v196
	v_add_f32_e32 v105, v105, v106
	s_waitcnt vmcnt(4)
	v_mul_f32_e32 v106, v148, v198
	v_add_f32_e32 v104, v203, v104
	v_mul_f32_e32 v203, v147, v198
	v_fma_f32 v106, v147, v197, -v106
	v_fmac_f32_e32 v203, v148, v197
	v_add_f32_e32 v105, v105, v106
	s_waitcnt vmcnt(2) lgkmcnt(0)
	v_mul_f32_e32 v106, v150, v200
	v_add_f32_e32 v104, v104, v203
	v_mul_f32_e32 v203, v149, v200
	v_fma_f32 v106, v149, v199, -v106
	v_fmac_f32_e32 v203, v150, v199
	v_add_f32_e32 v105, v105, v106
	s_waitcnt vmcnt(0)
	v_mul_f32_e32 v106, v152, v202
	v_add_f32_e32 v104, v104, v203
	v_mul_f32_e32 v203, v151, v202
	v_fma_f32 v106, v151, v201, -v106
	v_fmac_f32_e32 v203, v152, v201
	v_add_f32_e32 v105, v105, v106
	v_add_f32_e32 v104, v104, v203
	v_sub_f32_e32 v105, v193, v105
	v_sub_f32_e32 v104, v194, v104
	buffer_store_dword v105, off, s[0:3], 0 offset:208
	buffer_store_dword v104, off, s[0:3], 0 offset:212
	s_and_saveexec_b64 s[4:5], vcc
	s_cbranch_execz .LBB114_269
; %bb.268:
	buffer_load_dword v104, off, s[0:3], 0 offset:200
	buffer_load_dword v105, off, s[0:3], 0 offset:204
	v_mov_b32_e32 v106, 0
	buffer_store_dword v106, off, s[0:3], 0 offset:200
	buffer_store_dword v106, off, s[0:3], 0 offset:204
	s_waitcnt vmcnt(2)
	ds_write_b64 v103, v[104:105]
.LBB114_269:
	s_or_b64 exec, exec, s[4:5]
	s_waitcnt lgkmcnt(0)
	; wave barrier
	buffer_load_dword v155, off, s[0:3], 0 offset:212
	buffer_load_dword v156, off, s[0:3], 0 offset:220
	;; [unrolled: 1-line block ×52, first 2 shown]
	v_mov_b32_e32 v104, 0
	ds_read_b128 v[105:108], v104 offset:624
	ds_read_b128 v[109:112], v104 offset:640
	;; [unrolled: 1-line block ×6, first 2 shown]
	v_cmp_lt_u32_e32 vcc, 24, v0
	s_waitcnt vmcnt(51) lgkmcnt(5)
	v_mul_f32_e32 v129, v105, v155
	s_waitcnt vmcnt(50)
	v_mul_f32_e32 v130, v107, v156
	s_waitcnt vmcnt(49) lgkmcnt(4)
	v_mul_f32_e32 v131, v109, v157
	s_waitcnt vmcnt(48)
	v_mul_f32_e32 v132, v111, v158
	;; [unrolled: 4-line block ×5, first 2 shown]
	s_waitcnt vmcnt(41) lgkmcnt(0)
	v_mul_f32_e32 v139, v125, v165
	s_waitcnt vmcnt(40)
	v_fmac_f32_e32 v129, v106, v166
	v_mul_f32_e32 v106, v106, v155
	s_waitcnt vmcnt(39)
	v_fmac_f32_e32 v130, v108, v167
	v_add_f32_e32 v129, 0, v129
	v_fma_f32 v105, v105, v166, -v106
	v_mul_f32_e32 v106, v108, v156
	s_waitcnt vmcnt(38)
	v_fmac_f32_e32 v131, v110, v168
	v_add_f32_e32 v129, v129, v130
	v_add_f32_e32 v105, 0, v105
	v_fma_f32 v106, v107, v167, -v106
	s_waitcnt vmcnt(37)
	v_fmac_f32_e32 v132, v112, v169
	v_add_f32_e32 v129, v129, v131
	v_add_f32_e32 v105, v105, v106
	v_mul_f32_e32 v106, v110, v157
	s_waitcnt vmcnt(36)
	v_fmac_f32_e32 v133, v114, v170
	v_add_f32_e32 v129, v129, v132
	v_fma_f32 v106, v109, v168, -v106
	s_waitcnt vmcnt(35)
	v_fmac_f32_e32 v134, v116, v171
	v_add_f32_e32 v129, v129, v133
	v_add_f32_e32 v105, v105, v106
	v_mul_f32_e32 v106, v112, v158
	s_waitcnt vmcnt(34)
	v_fmac_f32_e32 v135, v118, v172
	;; [unrolled: 9-line block ×3, first 2 shown]
	v_add_f32_e32 v129, v129, v136
	v_fma_f32 v106, v113, v170, -v106
	s_waitcnt vmcnt(31)
	v_fmac_f32_e32 v138, v124, v175
	v_add_f32_e32 v129, v129, v137
	v_add_f32_e32 v105, v105, v106
	v_mul_f32_e32 v106, v116, v160
	v_add_f32_e32 v129, v129, v138
	s_waitcnt vmcnt(30)
	v_fmac_f32_e32 v139, v126, v176
	v_fma_f32 v106, v115, v171, -v106
	v_add_f32_e32 v133, v129, v139
	ds_read_b128 v[129:132], v104 offset:720
	v_add_f32_e32 v105, v105, v106
	v_mul_f32_e32 v106, v118, v161
	v_fma_f32 v106, v117, v172, -v106
	s_waitcnt vmcnt(29)
	v_mul_f32_e32 v134, v127, v177
	v_add_f32_e32 v105, v105, v106
	v_mul_f32_e32 v106, v120, v162
	s_waitcnt vmcnt(28)
	v_fmac_f32_e32 v134, v128, v178
	v_fma_f32 v106, v119, v173, -v106
	v_add_f32_e32 v137, v133, v134
	ds_read_b128 v[133:136], v104 offset:736
	v_add_f32_e32 v105, v105, v106
	v_mul_f32_e32 v106, v122, v163
	s_waitcnt vmcnt(27) lgkmcnt(1)
	v_mul_f32_e32 v138, v129, v179
	v_fma_f32 v106, v121, v174, -v106
	s_waitcnt vmcnt(26)
	v_fmac_f32_e32 v138, v130, v180
	v_add_f32_e32 v105, v105, v106
	v_mul_f32_e32 v106, v124, v164
	v_add_f32_e32 v137, v137, v138
	s_waitcnt vmcnt(25)
	v_mul_f32_e32 v138, v131, v181
	v_fma_f32 v106, v123, v175, -v106
	s_waitcnt vmcnt(24)
	v_fmac_f32_e32 v138, v132, v182
	v_add_f32_e32 v105, v105, v106
	v_mul_f32_e32 v106, v126, v165
	v_add_f32_e32 v137, v137, v138
	s_waitcnt vmcnt(23) lgkmcnt(0)
	v_mul_f32_e32 v138, v133, v183
	v_fma_f32 v106, v125, v176, -v106
	s_waitcnt vmcnt(22)
	v_fmac_f32_e32 v138, v134, v184
	v_add_f32_e32 v105, v105, v106
	v_mul_f32_e32 v106, v128, v177
	v_add_f32_e32 v141, v137, v138
	ds_read_b128 v[137:140], v104 offset:752
	v_fma_f32 v106, v127, v178, -v106
	v_add_f32_e32 v105, v105, v106
	v_mul_f32_e32 v106, v130, v179
	s_waitcnt vmcnt(21)
	v_mul_f32_e32 v142, v135, v185
	v_fma_f32 v106, v129, v180, -v106
	s_waitcnt vmcnt(20)
	v_fmac_f32_e32 v142, v136, v186
	v_add_f32_e32 v105, v105, v106
	v_mul_f32_e32 v106, v132, v181
	v_add_f32_e32 v145, v141, v142
	ds_read_b128 v[141:144], v104 offset:768
	v_fma_f32 v106, v131, v182, -v106
	s_waitcnt vmcnt(19) lgkmcnt(1)
	v_mul_f32_e32 v146, v137, v187
	v_add_f32_e32 v105, v105, v106
	v_mul_f32_e32 v106, v134, v183
	s_waitcnt vmcnt(18)
	v_fmac_f32_e32 v146, v138, v188
	v_fma_f32 v106, v133, v184, -v106
	v_add_f32_e32 v145, v145, v146
	s_waitcnt vmcnt(17)
	v_mul_f32_e32 v146, v139, v189
	v_add_f32_e32 v105, v105, v106
	v_mul_f32_e32 v106, v136, v185
	s_waitcnt vmcnt(16)
	v_fmac_f32_e32 v146, v140, v190
	v_fma_f32 v106, v135, v186, -v106
	v_add_f32_e32 v145, v145, v146
	s_waitcnt vmcnt(14) lgkmcnt(0)
	v_mul_f32_e32 v146, v141, v192
	v_add_f32_e32 v105, v105, v106
	v_mul_f32_e32 v106, v138, v187
	v_fmac_f32_e32 v146, v142, v191
	v_fma_f32 v106, v137, v188, -v106
	v_add_f32_e32 v149, v145, v146
	ds_read_b128 v[145:148], v104 offset:784
	v_add_f32_e32 v105, v105, v106
	v_mul_f32_e32 v106, v140, v189
	v_fma_f32 v106, v139, v190, -v106
	v_add_f32_e32 v105, v105, v106
	v_mul_f32_e32 v106, v142, v192
	s_waitcnt vmcnt(11)
	v_mul_f32_e32 v150, v143, v195
	v_fma_f32 v106, v141, v191, -v106
	s_waitcnt vmcnt(10)
	v_fmac_f32_e32 v150, v144, v196
	v_add_f32_e32 v105, v105, v106
	v_mul_f32_e32 v106, v144, v195
	v_add_f32_e32 v153, v149, v150
	ds_read_b128 v[149:152], v104 offset:800
	s_waitcnt vmcnt(8) lgkmcnt(1)
	v_mul_f32_e32 v154, v145, v198
	v_fma_f32 v106, v143, v196, -v106
	v_fmac_f32_e32 v154, v146, v197
	v_add_f32_e32 v105, v105, v106
	v_mul_f32_e32 v106, v146, v198
	v_add_f32_e32 v153, v153, v154
	s_waitcnt vmcnt(6)
	v_mul_f32_e32 v154, v147, v200
	v_fma_f32 v106, v145, v197, -v106
	v_fmac_f32_e32 v154, v148, v199
	v_add_f32_e32 v105, v105, v106
	v_mul_f32_e32 v106, v148, v200
	v_add_f32_e32 v207, v153, v154
	ds_read_b64 v[153:154], v104 offset:816
	v_fma_f32 v106, v147, v199, -v106
	v_add_f32_e32 v105, v105, v106
	s_waitcnt vmcnt(4) lgkmcnt(1)
	v_mul_f32_e32 v106, v150, v202
	v_mul_f32_e32 v208, v149, v202
	v_fma_f32 v106, v149, v201, -v106
	v_fmac_f32_e32 v208, v150, v201
	v_add_f32_e32 v105, v105, v106
	s_waitcnt vmcnt(2)
	v_mul_f32_e32 v106, v152, v204
	v_add_f32_e32 v207, v207, v208
	v_mul_f32_e32 v208, v151, v204
	v_fma_f32 v106, v151, v203, -v106
	v_fmac_f32_e32 v208, v152, v203
	v_add_f32_e32 v105, v105, v106
	s_waitcnt vmcnt(0) lgkmcnt(0)
	v_mul_f32_e32 v106, v154, v206
	v_add_f32_e32 v207, v207, v208
	v_mul_f32_e32 v208, v153, v206
	v_fma_f32 v106, v153, v205, -v106
	v_fmac_f32_e32 v208, v154, v205
	v_add_f32_e32 v105, v105, v106
	v_add_f32_e32 v207, v207, v208
	v_sub_f32_e32 v105, v193, v105
	v_sub_f32_e32 v106, v194, v207
	buffer_store_dword v105, off, s[0:3], 0 offset:200
	buffer_store_dword v106, off, s[0:3], 0 offset:204
	s_and_saveexec_b64 s[4:5], vcc
	s_cbranch_execz .LBB114_271
; %bb.270:
	buffer_load_dword v105, off, s[0:3], 0 offset:192
	buffer_load_dword v106, off, s[0:3], 0 offset:196
	s_waitcnt vmcnt(0)
	ds_write_b64 v103, v[105:106]
	buffer_store_dword v104, off, s[0:3], 0 offset:192
	buffer_store_dword v104, off, s[0:3], 0 offset:196
.LBB114_271:
	s_or_b64 exec, exec, s[4:5]
	s_waitcnt lgkmcnt(0)
	; wave barrier
	buffer_load_dword v157, off, s[0:3], 0 offset:204
	buffer_load_dword v158, off, s[0:3], 0 offset:212
	;; [unrolled: 1-line block ×42, first 2 shown]
	ds_read2_b64 v[105:108], v104 offset0:77 offset1:78
	ds_read2_b64 v[109:112], v104 offset0:79 offset1:80
	;; [unrolled: 1-line block ×4, first 2 shown]
	buffer_load_dword v199, off, s[0:3], 0 offset:364
	buffer_load_dword v200, off, s[0:3], 0 offset:360
	;; [unrolled: 1-line block ×6, first 2 shown]
	ds_read2_b64 v[121:124], v104 offset0:85 offset1:86
	ds_read2_b64 v[125:128], v104 offset0:87 offset1:88
	buffer_load_dword v205, off, s[0:3], 0 offset:384
	buffer_load_dword v206, off, s[0:3], 0 offset:388
	;; [unrolled: 1-line block ×6, first 2 shown]
	v_cmp_lt_u32_e32 vcc, 23, v0
	s_waitcnt vmcnt(53) lgkmcnt(5)
	v_mul_f32_e32 v129, v105, v157
	s_waitcnt vmcnt(52)
	v_mul_f32_e32 v130, v107, v158
	s_waitcnt vmcnt(51) lgkmcnt(4)
	v_mul_f32_e32 v131, v109, v159
	s_waitcnt vmcnt(50)
	v_mul_f32_e32 v132, v111, v160
	;; [unrolled: 4-line block ×5, first 2 shown]
	s_waitcnt vmcnt(43)
	v_fmac_f32_e32 v129, v106, v167
	v_mul_f32_e32 v106, v106, v157
	s_waitcnt vmcnt(42)
	v_fmac_f32_e32 v130, v108, v168
	v_add_f32_e32 v129, 0, v129
	v_fma_f32 v105, v105, v167, -v106
	v_mul_f32_e32 v106, v108, v158
	s_waitcnt vmcnt(41)
	v_fmac_f32_e32 v131, v110, v169
	v_add_f32_e32 v129, v129, v130
	v_add_f32_e32 v105, 0, v105
	v_fma_f32 v106, v107, v168, -v106
	s_waitcnt vmcnt(40)
	v_fmac_f32_e32 v132, v112, v170
	v_add_f32_e32 v129, v129, v131
	v_add_f32_e32 v105, v105, v106
	v_mul_f32_e32 v106, v110, v159
	s_waitcnt vmcnt(39)
	v_fmac_f32_e32 v133, v114, v171
	v_add_f32_e32 v129, v129, v132
	v_fma_f32 v106, v109, v169, -v106
	s_waitcnt vmcnt(38)
	v_fmac_f32_e32 v134, v116, v172
	v_add_f32_e32 v129, v129, v133
	v_add_f32_e32 v105, v105, v106
	v_mul_f32_e32 v106, v112, v160
	s_waitcnt vmcnt(37)
	v_fmac_f32_e32 v135, v118, v173
	;; [unrolled: 9-line block ×3, first 2 shown]
	v_add_f32_e32 v129, v129, v136
	v_fma_f32 v106, v113, v171, -v106
	s_waitcnt vmcnt(34)
	v_fmac_f32_e32 v138, v124, v176
	v_add_f32_e32 v129, v129, v137
	s_waitcnt vmcnt(33) lgkmcnt(0)
	v_mul_f32_e32 v130, v125, v177
	v_add_f32_e32 v105, v105, v106
	v_mul_f32_e32 v106, v116, v162
	v_add_f32_e32 v129, v129, v138
	s_waitcnt vmcnt(32)
	v_fmac_f32_e32 v130, v126, v178
	v_fma_f32 v106, v115, v172, -v106
	v_add_f32_e32 v133, v129, v130
	ds_read2_b64 v[129:132], v104 offset0:89 offset1:90
	v_add_f32_e32 v105, v105, v106
	v_mul_f32_e32 v106, v118, v163
	v_fma_f32 v106, v117, v173, -v106
	s_waitcnt vmcnt(31)
	v_mul_f32_e32 v134, v127, v179
	v_add_f32_e32 v105, v105, v106
	v_mul_f32_e32 v106, v120, v164
	s_waitcnt vmcnt(30)
	v_fmac_f32_e32 v134, v128, v180
	v_fma_f32 v106, v119, v174, -v106
	v_add_f32_e32 v137, v133, v134
	ds_read2_b64 v[133:136], v104 offset0:91 offset1:92
	v_add_f32_e32 v105, v105, v106
	v_mul_f32_e32 v106, v122, v165
	s_waitcnt vmcnt(29) lgkmcnt(1)
	v_mul_f32_e32 v138, v129, v181
	v_fma_f32 v106, v121, v175, -v106
	s_waitcnt vmcnt(28)
	v_fmac_f32_e32 v138, v130, v182
	v_add_f32_e32 v105, v105, v106
	v_mul_f32_e32 v106, v124, v166
	v_add_f32_e32 v137, v137, v138
	s_waitcnt vmcnt(27)
	v_mul_f32_e32 v138, v131, v183
	v_fma_f32 v106, v123, v176, -v106
	s_waitcnt vmcnt(26)
	v_fmac_f32_e32 v138, v132, v184
	v_add_f32_e32 v105, v105, v106
	v_mul_f32_e32 v106, v126, v177
	v_add_f32_e32 v137, v137, v138
	s_waitcnt vmcnt(25) lgkmcnt(0)
	v_mul_f32_e32 v138, v133, v185
	v_fma_f32 v106, v125, v178, -v106
	s_waitcnt vmcnt(24)
	v_fmac_f32_e32 v138, v134, v186
	v_add_f32_e32 v105, v105, v106
	v_mul_f32_e32 v106, v128, v179
	v_add_f32_e32 v141, v137, v138
	ds_read2_b64 v[137:140], v104 offset0:93 offset1:94
	v_fma_f32 v106, v127, v180, -v106
	v_add_f32_e32 v105, v105, v106
	v_mul_f32_e32 v106, v130, v181
	s_waitcnt vmcnt(23)
	v_mul_f32_e32 v142, v135, v187
	v_fma_f32 v106, v129, v182, -v106
	s_waitcnt vmcnt(22)
	v_fmac_f32_e32 v142, v136, v188
	v_add_f32_e32 v105, v105, v106
	v_mul_f32_e32 v106, v132, v183
	v_add_f32_e32 v145, v141, v142
	ds_read2_b64 v[141:144], v104 offset0:95 offset1:96
	v_fma_f32 v106, v131, v184, -v106
	s_waitcnt vmcnt(21) lgkmcnt(1)
	v_mul_f32_e32 v146, v137, v189
	v_add_f32_e32 v105, v105, v106
	v_mul_f32_e32 v106, v134, v185
	s_waitcnt vmcnt(20)
	v_fmac_f32_e32 v146, v138, v190
	v_fma_f32 v106, v133, v186, -v106
	v_add_f32_e32 v145, v145, v146
	s_waitcnt vmcnt(18)
	v_mul_f32_e32 v146, v139, v192
	v_add_f32_e32 v105, v105, v106
	v_mul_f32_e32 v106, v136, v187
	v_fmac_f32_e32 v146, v140, v191
	v_fma_f32 v106, v135, v188, -v106
	v_add_f32_e32 v145, v145, v146
	s_waitcnt vmcnt(15) lgkmcnt(0)
	v_mul_f32_e32 v146, v141, v195
	v_add_f32_e32 v105, v105, v106
	v_mul_f32_e32 v106, v138, v189
	s_waitcnt vmcnt(14)
	v_fmac_f32_e32 v146, v142, v196
	v_fma_f32 v106, v137, v190, -v106
	v_add_f32_e32 v149, v145, v146
	ds_read2_b64 v[145:148], v104 offset0:97 offset1:98
	v_add_f32_e32 v105, v105, v106
	v_mul_f32_e32 v106, v140, v192
	v_fma_f32 v106, v139, v191, -v106
	v_add_f32_e32 v105, v105, v106
	v_mul_f32_e32 v106, v142, v195
	s_waitcnt vmcnt(12)
	v_mul_f32_e32 v150, v143, v198
	v_fma_f32 v106, v141, v196, -v106
	v_fmac_f32_e32 v150, v144, v197
	v_add_f32_e32 v105, v105, v106
	v_mul_f32_e32 v106, v144, v198
	v_add_f32_e32 v153, v149, v150
	ds_read2_b64 v[149:152], v104 offset0:99 offset1:100
	s_waitcnt vmcnt(11) lgkmcnt(1)
	v_mul_f32_e32 v154, v145, v199
	v_fma_f32 v106, v143, v197, -v106
	s_waitcnt vmcnt(10)
	v_fmac_f32_e32 v154, v146, v200
	v_add_f32_e32 v105, v105, v106
	v_mul_f32_e32 v106, v146, v199
	v_add_f32_e32 v153, v153, v154
	s_waitcnt vmcnt(8)
	v_mul_f32_e32 v154, v147, v202
	v_fma_f32 v106, v145, v200, -v106
	v_fmac_f32_e32 v154, v148, v201
	v_add_f32_e32 v105, v105, v106
	v_mul_f32_e32 v106, v148, v202
	v_add_f32_e32 v211, v153, v154
	ds_read2_b64 v[153:156], v104 offset0:101 offset1:102
	v_fma_f32 v106, v147, v201, -v106
	v_add_f32_e32 v105, v105, v106
	s_waitcnt vmcnt(6) lgkmcnt(1)
	v_mul_f32_e32 v106, v150, v204
	v_mul_f32_e32 v212, v149, v204
	v_fma_f32 v106, v149, v203, -v106
	v_fmac_f32_e32 v212, v150, v203
	v_add_f32_e32 v105, v105, v106
	s_waitcnt vmcnt(4)
	v_mul_f32_e32 v106, v152, v206
	v_add_f32_e32 v104, v211, v212
	v_mul_f32_e32 v211, v151, v206
	v_fma_f32 v106, v151, v205, -v106
	v_fmac_f32_e32 v211, v152, v205
	v_add_f32_e32 v105, v105, v106
	s_waitcnt vmcnt(2) lgkmcnt(0)
	v_mul_f32_e32 v106, v154, v208
	v_add_f32_e32 v104, v104, v211
	v_mul_f32_e32 v211, v153, v208
	v_fma_f32 v106, v153, v207, -v106
	v_fmac_f32_e32 v211, v154, v207
	v_add_f32_e32 v105, v105, v106
	s_waitcnt vmcnt(0)
	v_mul_f32_e32 v106, v156, v210
	v_add_f32_e32 v104, v104, v211
	v_mul_f32_e32 v211, v155, v210
	v_fma_f32 v106, v155, v209, -v106
	v_fmac_f32_e32 v211, v156, v209
	v_add_f32_e32 v105, v105, v106
	v_add_f32_e32 v104, v104, v211
	v_sub_f32_e32 v105, v193, v105
	v_sub_f32_e32 v104, v194, v104
	buffer_store_dword v105, off, s[0:3], 0 offset:192
	buffer_store_dword v104, off, s[0:3], 0 offset:196
	s_and_saveexec_b64 s[4:5], vcc
	s_cbranch_execz .LBB114_273
; %bb.272:
	buffer_load_dword v104, off, s[0:3], 0 offset:184
	buffer_load_dword v105, off, s[0:3], 0 offset:188
	v_mov_b32_e32 v106, 0
	buffer_store_dword v106, off, s[0:3], 0 offset:184
	buffer_store_dword v106, off, s[0:3], 0 offset:188
	s_waitcnt vmcnt(2)
	ds_write_b64 v103, v[104:105]
.LBB114_273:
	s_or_b64 exec, exec, s[4:5]
	s_waitcnt lgkmcnt(0)
	; wave barrier
	buffer_load_dword v159, off, s[0:3], 0 offset:196
	buffer_load_dword v160, off, s[0:3], 0 offset:204
	;; [unrolled: 1-line block ×56, first 2 shown]
	v_mov_b32_e32 v104, 0
	ds_read_b128 v[105:108], v104 offset:608
	ds_read_b128 v[109:112], v104 offset:624
	ds_read_b128 v[113:116], v104 offset:640
	ds_read_b128 v[117:120], v104 offset:656
	ds_read_b128 v[121:124], v104 offset:672
	ds_read_b128 v[125:128], v104 offset:688
	v_cmp_lt_u32_e32 vcc, 22, v0
	s_waitcnt vmcnt(55) lgkmcnt(5)
	v_mul_f32_e32 v129, v105, v159
	s_waitcnt vmcnt(54)
	v_mul_f32_e32 v130, v107, v160
	s_waitcnt vmcnt(53) lgkmcnt(4)
	v_mul_f32_e32 v131, v109, v161
	s_waitcnt vmcnt(52)
	v_mul_f32_e32 v132, v111, v162
	;; [unrolled: 4-line block ×4, first 2 shown]
	s_waitcnt vmcnt(47) lgkmcnt(1)
	v_mul_f32_e32 v137, v121, v167
	s_waitcnt vmcnt(46)
	v_fmac_f32_e32 v129, v106, v168
	s_waitcnt vmcnt(45)
	v_fmac_f32_e32 v130, v108, v169
	v_add_f32_e32 v129, 0, v129
	s_waitcnt vmcnt(44)
	v_fmac_f32_e32 v131, v110, v170
	v_add_f32_e32 v129, v129, v130
	;; [unrolled: 3-line block ×3, first 2 shown]
	v_mul_f32_e32 v106, v106, v159
	s_waitcnt vmcnt(42)
	v_fmac_f32_e32 v133, v114, v172
	v_add_f32_e32 v129, v129, v132
	v_fma_f32 v105, v105, v168, -v106
	v_mul_f32_e32 v106, v108, v160
	s_waitcnt vmcnt(41)
	v_fmac_f32_e32 v134, v116, v173
	v_add_f32_e32 v129, v129, v133
	v_add_f32_e32 v105, 0, v105
	v_fma_f32 v106, v107, v169, -v106
	s_waitcnt vmcnt(40)
	v_fmac_f32_e32 v135, v118, v174
	v_add_f32_e32 v129, v129, v134
	v_add_f32_e32 v105, v105, v106
	v_mul_f32_e32 v106, v110, v161
	s_waitcnt vmcnt(39)
	v_fmac_f32_e32 v136, v120, v175
	v_add_f32_e32 v129, v129, v135
	v_fma_f32 v106, v109, v170, -v106
	v_add_f32_e32 v129, v129, v136
	s_waitcnt vmcnt(38)
	v_fmac_f32_e32 v137, v122, v176
	s_waitcnt vmcnt(37)
	v_mul_f32_e32 v130, v123, v177
	v_add_f32_e32 v105, v105, v106
	v_mul_f32_e32 v106, v112, v162
	v_add_f32_e32 v129, v129, v137
	s_waitcnt vmcnt(36)
	v_fmac_f32_e32 v130, v124, v178
	v_fma_f32 v106, v111, v171, -v106
	v_add_f32_e32 v129, v129, v130
	s_waitcnt vmcnt(35) lgkmcnt(0)
	v_mul_f32_e32 v130, v125, v179
	v_add_f32_e32 v105, v105, v106
	v_mul_f32_e32 v106, v114, v163
	s_waitcnt vmcnt(34)
	v_fmac_f32_e32 v130, v126, v180
	v_fma_f32 v106, v113, v172, -v106
	v_add_f32_e32 v133, v129, v130
	ds_read_b128 v[129:132], v104 offset:704
	v_add_f32_e32 v105, v105, v106
	v_mul_f32_e32 v106, v116, v164
	v_fma_f32 v106, v115, v173, -v106
	s_waitcnt vmcnt(33)
	v_mul_f32_e32 v134, v127, v181
	v_add_f32_e32 v105, v105, v106
	v_mul_f32_e32 v106, v118, v165
	s_waitcnt vmcnt(32)
	v_fmac_f32_e32 v134, v128, v182
	v_fma_f32 v106, v117, v174, -v106
	v_add_f32_e32 v137, v133, v134
	ds_read_b128 v[133:136], v104 offset:720
	v_add_f32_e32 v105, v105, v106
	v_mul_f32_e32 v106, v120, v166
	s_waitcnt vmcnt(31) lgkmcnt(1)
	v_mul_f32_e32 v138, v129, v183
	v_fma_f32 v106, v119, v175, -v106
	s_waitcnt vmcnt(30)
	v_fmac_f32_e32 v138, v130, v184
	v_add_f32_e32 v105, v105, v106
	v_mul_f32_e32 v106, v122, v167
	v_add_f32_e32 v137, v137, v138
	s_waitcnt vmcnt(29)
	v_mul_f32_e32 v138, v131, v185
	v_fma_f32 v106, v121, v176, -v106
	s_waitcnt vmcnt(28)
	v_fmac_f32_e32 v138, v132, v186
	v_add_f32_e32 v105, v105, v106
	v_mul_f32_e32 v106, v124, v177
	v_add_f32_e32 v137, v137, v138
	s_waitcnt vmcnt(27) lgkmcnt(0)
	v_mul_f32_e32 v138, v133, v187
	v_fma_f32 v106, v123, v178, -v106
	s_waitcnt vmcnt(26)
	v_fmac_f32_e32 v138, v134, v188
	v_add_f32_e32 v105, v105, v106
	v_mul_f32_e32 v106, v126, v179
	v_add_f32_e32 v141, v137, v138
	ds_read_b128 v[137:140], v104 offset:736
	v_fma_f32 v106, v125, v180, -v106
	v_add_f32_e32 v105, v105, v106
	v_mul_f32_e32 v106, v128, v181
	s_waitcnt vmcnt(24)
	v_mul_f32_e32 v142, v135, v190
	v_fma_f32 v106, v127, v182, -v106
	v_fmac_f32_e32 v142, v136, v189
	v_add_f32_e32 v105, v105, v106
	v_mul_f32_e32 v106, v130, v183
	v_add_f32_e32 v145, v141, v142
	ds_read_b128 v[141:144], v104 offset:752
	v_fma_f32 v106, v129, v184, -v106
	s_waitcnt vmcnt(21) lgkmcnt(1)
	v_mul_f32_e32 v146, v137, v193
	v_add_f32_e32 v105, v105, v106
	v_mul_f32_e32 v106, v132, v185
	s_waitcnt vmcnt(20)
	v_fmac_f32_e32 v146, v138, v194
	v_fma_f32 v106, v131, v186, -v106
	v_add_f32_e32 v145, v145, v146
	s_waitcnt vmcnt(18)
	v_mul_f32_e32 v146, v139, v196
	v_add_f32_e32 v105, v105, v106
	v_mul_f32_e32 v106, v134, v187
	v_fmac_f32_e32 v146, v140, v195
	v_fma_f32 v106, v133, v188, -v106
	v_add_f32_e32 v145, v145, v146
	s_waitcnt vmcnt(16) lgkmcnt(0)
	v_mul_f32_e32 v146, v141, v198
	v_add_f32_e32 v105, v105, v106
	v_mul_f32_e32 v106, v136, v190
	v_fmac_f32_e32 v146, v142, v197
	v_fma_f32 v106, v135, v189, -v106
	v_add_f32_e32 v149, v145, v146
	ds_read_b128 v[145:148], v104 offset:768
	v_add_f32_e32 v105, v105, v106
	v_mul_f32_e32 v106, v138, v193
	v_fma_f32 v106, v137, v194, -v106
	s_waitcnt vmcnt(14)
	v_mul_f32_e32 v150, v143, v200
	v_add_f32_e32 v105, v105, v106
	v_mul_f32_e32 v106, v140, v196
	v_fmac_f32_e32 v150, v144, v199
	v_fma_f32 v106, v139, v195, -v106
	v_add_f32_e32 v153, v149, v150
	ds_read_b128 v[149:152], v104 offset:784
	v_add_f32_e32 v105, v105, v106
	v_mul_f32_e32 v106, v142, v198
	s_waitcnt vmcnt(12) lgkmcnt(1)
	v_mul_f32_e32 v154, v145, v202
	v_fma_f32 v106, v141, v197, -v106
	v_fmac_f32_e32 v154, v146, v201
	v_add_f32_e32 v105, v105, v106
	v_mul_f32_e32 v106, v144, v200
	v_add_f32_e32 v153, v153, v154
	s_waitcnt vmcnt(10)
	v_mul_f32_e32 v154, v147, v204
	v_fma_f32 v106, v143, v199, -v106
	v_fmac_f32_e32 v154, v148, v203
	v_add_f32_e32 v105, v105, v106
	v_mul_f32_e32 v106, v146, v202
	v_add_f32_e32 v153, v153, v154
	s_waitcnt vmcnt(8) lgkmcnt(0)
	v_mul_f32_e32 v154, v149, v206
	v_fma_f32 v106, v145, v201, -v106
	v_fmac_f32_e32 v154, v150, v205
	v_add_f32_e32 v105, v105, v106
	v_mul_f32_e32 v106, v148, v204
	v_add_f32_e32 v157, v153, v154
	ds_read_b128 v[153:156], v104 offset:800
	v_fma_f32 v106, v147, v203, -v106
	v_add_f32_e32 v105, v105, v106
	v_mul_f32_e32 v106, v150, v206
	s_waitcnt vmcnt(6)
	v_mul_f32_e32 v158, v151, v208
	v_fma_f32 v106, v149, v205, -v106
	v_fmac_f32_e32 v158, v152, v207
	v_add_f32_e32 v105, v105, v106
	v_mul_f32_e32 v106, v152, v208
	v_add_f32_e32 v215, v157, v158
	ds_read_b64 v[157:158], v104 offset:816
	v_fma_f32 v106, v151, v207, -v106
	v_add_f32_e32 v105, v105, v106
	s_waitcnt vmcnt(4) lgkmcnt(1)
	v_mul_f32_e32 v106, v154, v210
	v_mul_f32_e32 v216, v153, v210
	v_fma_f32 v106, v153, v209, -v106
	v_fmac_f32_e32 v216, v154, v209
	v_add_f32_e32 v105, v105, v106
	s_waitcnt vmcnt(2)
	v_mul_f32_e32 v106, v156, v212
	v_add_f32_e32 v215, v215, v216
	v_mul_f32_e32 v216, v155, v212
	v_fma_f32 v106, v155, v211, -v106
	v_fmac_f32_e32 v216, v156, v211
	v_add_f32_e32 v105, v105, v106
	s_waitcnt vmcnt(0) lgkmcnt(0)
	v_mul_f32_e32 v106, v158, v214
	v_add_f32_e32 v215, v215, v216
	v_mul_f32_e32 v216, v157, v214
	v_fma_f32 v106, v157, v213, -v106
	v_fmac_f32_e32 v216, v158, v213
	v_add_f32_e32 v105, v105, v106
	v_add_f32_e32 v215, v215, v216
	v_sub_f32_e32 v105, v191, v105
	v_sub_f32_e32 v106, v192, v215
	buffer_store_dword v105, off, s[0:3], 0 offset:184
	buffer_store_dword v106, off, s[0:3], 0 offset:188
	s_and_saveexec_b64 s[4:5], vcc
	s_cbranch_execz .LBB114_275
; %bb.274:
	buffer_load_dword v105, off, s[0:3], 0 offset:176
	buffer_load_dword v106, off, s[0:3], 0 offset:180
	s_waitcnt vmcnt(0)
	ds_write_b64 v103, v[105:106]
	buffer_store_dword v104, off, s[0:3], 0 offset:176
	buffer_store_dword v104, off, s[0:3], 0 offset:180
.LBB114_275:
	s_or_b64 exec, exec, s[4:5]
	s_waitcnt lgkmcnt(0)
	; wave barrier
	buffer_load_dword v161, off, s[0:3], 0 offset:188
	buffer_load_dword v162, off, s[0:3], 0 offset:196
	;; [unrolled: 1-line block ×34, first 2 shown]
	ds_read2_b64 v[105:108], v104 offset0:75 offset1:76
	ds_read2_b64 v[109:112], v104 offset0:77 offset1:78
	buffer_load_dword v195, off, s[0:3], 0 offset:316
	buffer_load_dword v196, off, s[0:3], 0 offset:312
	;; [unrolled: 1-line block ×6, first 2 shown]
	ds_read2_b64 v[113:116], v104 offset0:79 offset1:80
	ds_read2_b64 v[117:120], v104 offset0:81 offset1:82
	;; [unrolled: 1-line block ×4, first 2 shown]
	buffer_load_dword v201, off, s[0:3], 0 offset:340
	buffer_load_dword v202, off, s[0:3], 0 offset:336
	;; [unrolled: 1-line block ×18, first 2 shown]
	v_cmp_lt_u32_e32 vcc, 21, v0
	s_waitcnt vmcnt(57) lgkmcnt(5)
	v_mul_f32_e32 v129, v105, v161
	s_waitcnt vmcnt(56)
	v_mul_f32_e32 v130, v107, v162
	s_waitcnt vmcnt(55) lgkmcnt(4)
	v_mul_f32_e32 v131, v109, v163
	s_waitcnt vmcnt(54)
	v_mul_f32_e32 v132, v111, v164
	;; [unrolled: 4-line block ×4, first 2 shown]
	s_waitcnt vmcnt(49)
	v_fmac_f32_e32 v129, v106, v169
	s_waitcnt vmcnt(48)
	v_fmac_f32_e32 v130, v108, v170
	v_add_f32_e32 v129, 0, v129
	s_waitcnt vmcnt(47)
	v_fmac_f32_e32 v131, v110, v171
	v_add_f32_e32 v129, v129, v130
	;; [unrolled: 3-line block ×4, first 2 shown]
	v_mul_f32_e32 v106, v106, v161
	s_waitcnt vmcnt(44)
	v_fmac_f32_e32 v134, v116, v174
	v_add_f32_e32 v129, v129, v133
	v_fma_f32 v105, v105, v169, -v106
	v_mul_f32_e32 v106, v108, v162
	s_waitcnt vmcnt(43)
	v_fmac_f32_e32 v135, v118, v175
	v_add_f32_e32 v129, v129, v134
	v_add_f32_e32 v105, 0, v105
	v_fma_f32 v106, v107, v170, -v106
	s_waitcnt vmcnt(42)
	v_fmac_f32_e32 v136, v120, v176
	v_add_f32_e32 v129, v129, v135
	s_waitcnt vmcnt(41) lgkmcnt(1)
	v_mul_f32_e32 v130, v121, v177
	v_add_f32_e32 v105, v105, v106
	v_mul_f32_e32 v106, v110, v163
	v_add_f32_e32 v129, v129, v136
	s_waitcnt vmcnt(40)
	v_fmac_f32_e32 v130, v122, v178
	v_fma_f32 v106, v109, v171, -v106
	v_add_f32_e32 v129, v129, v130
	s_waitcnt vmcnt(39)
	v_mul_f32_e32 v130, v123, v179
	v_add_f32_e32 v105, v105, v106
	v_mul_f32_e32 v106, v112, v164
	s_waitcnt vmcnt(38)
	v_fmac_f32_e32 v130, v124, v180
	v_fma_f32 v106, v111, v172, -v106
	v_add_f32_e32 v129, v129, v130
	s_waitcnt vmcnt(37) lgkmcnt(0)
	v_mul_f32_e32 v130, v125, v181
	v_add_f32_e32 v105, v105, v106
	v_mul_f32_e32 v106, v114, v165
	s_waitcnt vmcnt(36)
	v_fmac_f32_e32 v130, v126, v182
	v_fma_f32 v106, v113, v173, -v106
	v_add_f32_e32 v133, v129, v130
	ds_read2_b64 v[129:132], v104 offset0:87 offset1:88
	v_add_f32_e32 v105, v105, v106
	v_mul_f32_e32 v106, v116, v166
	v_fma_f32 v106, v115, v174, -v106
	s_waitcnt vmcnt(35)
	v_mul_f32_e32 v134, v127, v183
	v_add_f32_e32 v105, v105, v106
	v_mul_f32_e32 v106, v118, v167
	s_waitcnt vmcnt(34)
	v_fmac_f32_e32 v134, v128, v184
	v_fma_f32 v106, v117, v175, -v106
	v_add_f32_e32 v137, v133, v134
	ds_read2_b64 v[133:136], v104 offset0:89 offset1:90
	v_add_f32_e32 v105, v105, v106
	v_mul_f32_e32 v106, v120, v168
	s_waitcnt vmcnt(33) lgkmcnt(1)
	v_mul_f32_e32 v138, v129, v185
	v_fma_f32 v106, v119, v176, -v106
	s_waitcnt vmcnt(32)
	v_fmac_f32_e32 v138, v130, v186
	v_add_f32_e32 v105, v105, v106
	v_mul_f32_e32 v106, v122, v177
	v_add_f32_e32 v137, v137, v138
	s_waitcnt vmcnt(31)
	v_mul_f32_e32 v138, v131, v187
	v_fma_f32 v106, v121, v178, -v106
	s_waitcnt vmcnt(30)
	v_fmac_f32_e32 v138, v132, v188
	v_add_f32_e32 v105, v105, v106
	v_mul_f32_e32 v106, v124, v179
	v_add_f32_e32 v137, v137, v138
	s_waitcnt vmcnt(29) lgkmcnt(0)
	v_mul_f32_e32 v138, v133, v189
	v_fma_f32 v106, v123, v180, -v106
	s_waitcnt vmcnt(28)
	v_fmac_f32_e32 v138, v134, v190
	v_add_f32_e32 v105, v105, v106
	v_mul_f32_e32 v106, v126, v181
	v_add_f32_e32 v141, v137, v138
	ds_read2_b64 v[137:140], v104 offset0:91 offset1:92
	v_fma_f32 v106, v125, v182, -v106
	v_add_f32_e32 v105, v105, v106
	v_mul_f32_e32 v106, v128, v183
	s_waitcnt vmcnt(25)
	v_mul_f32_e32 v142, v135, v193
	v_fma_f32 v106, v127, v184, -v106
	s_waitcnt vmcnt(24)
	v_fmac_f32_e32 v142, v136, v194
	v_add_f32_e32 v105, v105, v106
	v_mul_f32_e32 v106, v130, v185
	v_add_f32_e32 v145, v141, v142
	ds_read2_b64 v[141:144], v104 offset0:93 offset1:94
	v_fma_f32 v106, v129, v186, -v106
	s_waitcnt vmcnt(23) lgkmcnt(1)
	v_mul_f32_e32 v146, v137, v195
	v_add_f32_e32 v105, v105, v106
	v_mul_f32_e32 v106, v132, v187
	s_waitcnt vmcnt(22)
	v_fmac_f32_e32 v146, v138, v196
	v_fma_f32 v106, v131, v188, -v106
	v_add_f32_e32 v145, v145, v146
	s_waitcnt vmcnt(20)
	v_mul_f32_e32 v146, v139, v198
	v_add_f32_e32 v105, v105, v106
	v_mul_f32_e32 v106, v134, v189
	v_fmac_f32_e32 v146, v140, v197
	v_fma_f32 v106, v133, v190, -v106
	v_add_f32_e32 v145, v145, v146
	s_waitcnt vmcnt(18) lgkmcnt(0)
	v_mul_f32_e32 v146, v141, v200
	v_add_f32_e32 v105, v105, v106
	v_mul_f32_e32 v106, v136, v193
	v_fmac_f32_e32 v146, v142, v199
	v_fma_f32 v106, v135, v194, -v106
	v_add_f32_e32 v149, v145, v146
	ds_read2_b64 v[145:148], v104 offset0:95 offset1:96
	v_add_f32_e32 v105, v105, v106
	v_mul_f32_e32 v106, v138, v195
	v_fma_f32 v106, v137, v196, -v106
	s_waitcnt vmcnt(17)
	v_mul_f32_e32 v150, v143, v201
	v_add_f32_e32 v105, v105, v106
	v_mul_f32_e32 v106, v140, v198
	s_waitcnt vmcnt(16)
	v_fmac_f32_e32 v150, v144, v202
	v_fma_f32 v106, v139, v197, -v106
	v_add_f32_e32 v153, v149, v150
	ds_read2_b64 v[149:152], v104 offset0:97 offset1:98
	v_add_f32_e32 v105, v105, v106
	v_mul_f32_e32 v106, v142, v200
	s_waitcnt vmcnt(14) lgkmcnt(1)
	v_mul_f32_e32 v154, v145, v204
	v_fma_f32 v106, v141, v199, -v106
	v_fmac_f32_e32 v154, v146, v203
	v_add_f32_e32 v105, v105, v106
	v_mul_f32_e32 v106, v144, v201
	v_add_f32_e32 v153, v153, v154
	s_waitcnt vmcnt(12)
	v_mul_f32_e32 v154, v147, v206
	v_fma_f32 v106, v143, v202, -v106
	v_fmac_f32_e32 v154, v148, v205
	v_add_f32_e32 v105, v105, v106
	v_mul_f32_e32 v106, v146, v204
	v_add_f32_e32 v153, v153, v154
	s_waitcnt vmcnt(10) lgkmcnt(0)
	v_mul_f32_e32 v154, v149, v208
	v_fma_f32 v106, v145, v203, -v106
	v_fmac_f32_e32 v154, v150, v207
	v_add_f32_e32 v105, v105, v106
	v_mul_f32_e32 v106, v148, v206
	v_add_f32_e32 v157, v153, v154
	ds_read2_b64 v[153:156], v104 offset0:99 offset1:100
	v_fma_f32 v106, v147, v205, -v106
	v_add_f32_e32 v105, v105, v106
	v_mul_f32_e32 v106, v150, v208
	s_waitcnt vmcnt(8)
	v_mul_f32_e32 v158, v151, v210
	v_fma_f32 v106, v149, v207, -v106
	v_fmac_f32_e32 v158, v152, v209
	v_add_f32_e32 v105, v105, v106
	v_mul_f32_e32 v106, v152, v210
	v_add_f32_e32 v219, v157, v158
	ds_read2_b64 v[157:160], v104 offset0:101 offset1:102
	v_fma_f32 v106, v151, v209, -v106
	v_add_f32_e32 v105, v105, v106
	s_waitcnt vmcnt(6) lgkmcnt(1)
	v_mul_f32_e32 v106, v154, v212
	v_mul_f32_e32 v104, v153, v212
	v_fma_f32 v106, v153, v211, -v106
	v_fmac_f32_e32 v104, v154, v211
	v_add_f32_e32 v105, v105, v106
	s_waitcnt vmcnt(4)
	v_mul_f32_e32 v106, v156, v214
	v_add_f32_e32 v104, v219, v104
	v_mul_f32_e32 v219, v155, v214
	v_fma_f32 v106, v155, v213, -v106
	v_fmac_f32_e32 v219, v156, v213
	v_add_f32_e32 v105, v105, v106
	s_waitcnt vmcnt(2) lgkmcnt(0)
	v_mul_f32_e32 v106, v158, v216
	v_add_f32_e32 v104, v104, v219
	v_mul_f32_e32 v219, v157, v216
	v_fma_f32 v106, v157, v215, -v106
	v_fmac_f32_e32 v219, v158, v215
	v_add_f32_e32 v105, v105, v106
	s_waitcnt vmcnt(0)
	v_mul_f32_e32 v106, v160, v218
	v_add_f32_e32 v104, v104, v219
	v_mul_f32_e32 v219, v159, v218
	v_fma_f32 v106, v159, v217, -v106
	v_fmac_f32_e32 v219, v160, v217
	v_add_f32_e32 v105, v105, v106
	v_add_f32_e32 v104, v104, v219
	v_sub_f32_e32 v105, v191, v105
	v_sub_f32_e32 v104, v192, v104
	buffer_store_dword v105, off, s[0:3], 0 offset:176
	buffer_store_dword v104, off, s[0:3], 0 offset:180
	s_and_saveexec_b64 s[4:5], vcc
	s_cbranch_execz .LBB114_277
; %bb.276:
	buffer_load_dword v104, off, s[0:3], 0 offset:168
	buffer_load_dword v105, off, s[0:3], 0 offset:172
	v_mov_b32_e32 v106, 0
	buffer_store_dword v106, off, s[0:3], 0 offset:168
	buffer_store_dword v106, off, s[0:3], 0 offset:172
	s_waitcnt vmcnt(2)
	ds_write_b64 v103, v[104:105]
.LBB114_277:
	s_or_b64 exec, exec, s[4:5]
	s_waitcnt lgkmcnt(0)
	; wave barrier
	buffer_load_dword v163, off, s[0:3], 0 offset:180
	buffer_load_dword v164, off, s[0:3], 0 offset:188
	;; [unrolled: 1-line block ×60, first 2 shown]
	v_mov_b32_e32 v104, 0
	ds_read_b128 v[105:108], v104 offset:592
	ds_read_b128 v[109:112], v104 offset:608
	;; [unrolled: 1-line block ×5, first 2 shown]
	v_cmp_lt_u32_e32 vcc, 20, v0
	s_waitcnt vmcnt(59) lgkmcnt(4)
	v_mul_f32_e32 v125, v105, v163
	s_waitcnt vmcnt(58)
	v_mul_f32_e32 v126, v107, v164
	s_waitcnt vmcnt(57) lgkmcnt(3)
	v_mul_f32_e32 v127, v109, v165
	s_waitcnt vmcnt(56)
	v_mul_f32_e32 v128, v111, v166
	;; [unrolled: 4-line block ×3, first 2 shown]
	s_waitcnt vmcnt(53) lgkmcnt(1)
	v_mul_f32_e32 v131, v117, v169
	s_waitcnt vmcnt(52)
	v_fmac_f32_e32 v125, v106, v170
	s_waitcnt vmcnt(51)
	v_fmac_f32_e32 v126, v108, v171
	v_add_f32_e32 v125, 0, v125
	s_waitcnt vmcnt(50)
	v_fmac_f32_e32 v127, v110, v172
	v_add_f32_e32 v125, v125, v126
	;; [unrolled: 3-line block ×6, first 2 shown]
	s_waitcnt vmcnt(45)
	v_mul_f32_e32 v126, v119, v177
	v_add_f32_e32 v125, v125, v131
	s_waitcnt vmcnt(44)
	v_fmac_f32_e32 v126, v120, v178
	v_mul_f32_e32 v106, v106, v163
	v_add_f32_e32 v129, v125, v126
	ds_read_b128 v[125:128], v104 offset:672
	v_fma_f32 v105, v105, v170, -v106
	v_mul_f32_e32 v106, v108, v164
	s_waitcnt vmcnt(43) lgkmcnt(1)
	v_mul_f32_e32 v130, v121, v179
	v_add_f32_e32 v105, 0, v105
	v_fma_f32 v106, v107, v171, -v106
	s_waitcnt vmcnt(42)
	v_fmac_f32_e32 v130, v122, v180
	v_add_f32_e32 v105, v105, v106
	v_mul_f32_e32 v106, v110, v165
	v_add_f32_e32 v129, v129, v130
	s_waitcnt vmcnt(41)
	v_mul_f32_e32 v130, v123, v181
	v_fma_f32 v106, v109, v172, -v106
	s_waitcnt vmcnt(40)
	v_fmac_f32_e32 v130, v124, v182
	v_add_f32_e32 v105, v105, v106
	v_mul_f32_e32 v106, v112, v166
	v_add_f32_e32 v129, v129, v130
	s_waitcnt vmcnt(39) lgkmcnt(0)
	v_mul_f32_e32 v130, v125, v183
	v_fma_f32 v106, v111, v173, -v106
	s_waitcnt vmcnt(38)
	v_fmac_f32_e32 v130, v126, v184
	v_add_f32_e32 v105, v105, v106
	v_mul_f32_e32 v106, v114, v167
	v_add_f32_e32 v133, v129, v130
	ds_read_b128 v[129:132], v104 offset:688
	v_fma_f32 v106, v113, v174, -v106
	v_add_f32_e32 v105, v105, v106
	v_mul_f32_e32 v106, v116, v168
	s_waitcnt vmcnt(37)
	v_mul_f32_e32 v134, v127, v185
	v_fma_f32 v106, v115, v175, -v106
	s_waitcnt vmcnt(36)
	v_fmac_f32_e32 v134, v128, v186
	v_add_f32_e32 v105, v105, v106
	v_mul_f32_e32 v106, v118, v169
	v_add_f32_e32 v137, v133, v134
	ds_read_b128 v[133:136], v104 offset:704
	v_fma_f32 v106, v117, v176, -v106
	s_waitcnt vmcnt(34) lgkmcnt(1)
	v_mul_f32_e32 v138, v129, v188
	v_add_f32_e32 v105, v105, v106
	v_mul_f32_e32 v106, v120, v177
	v_fmac_f32_e32 v138, v130, v187
	v_fma_f32 v106, v119, v178, -v106
	v_add_f32_e32 v137, v137, v138
	s_waitcnt vmcnt(31)
	v_mul_f32_e32 v138, v131, v191
	v_add_f32_e32 v105, v105, v106
	v_mul_f32_e32 v106, v122, v179
	s_waitcnt vmcnt(30)
	v_fmac_f32_e32 v138, v132, v192
	v_fma_f32 v106, v121, v180, -v106
	v_add_f32_e32 v137, v137, v138
	s_waitcnt vmcnt(28) lgkmcnt(0)
	v_mul_f32_e32 v138, v133, v194
	v_add_f32_e32 v105, v105, v106
	v_mul_f32_e32 v106, v124, v181
	v_fmac_f32_e32 v138, v134, v193
	v_fma_f32 v106, v123, v182, -v106
	v_add_f32_e32 v141, v137, v138
	ds_read_b128 v[137:140], v104 offset:720
	v_add_f32_e32 v105, v105, v106
	v_mul_f32_e32 v106, v126, v183
	v_fma_f32 v106, v125, v184, -v106
	s_waitcnt vmcnt(26)
	v_mul_f32_e32 v142, v135, v196
	v_add_f32_e32 v105, v105, v106
	v_mul_f32_e32 v106, v128, v185
	v_fmac_f32_e32 v142, v136, v195
	v_fma_f32 v106, v127, v186, -v106
	v_add_f32_e32 v145, v141, v142
	ds_read_b128 v[141:144], v104 offset:736
	v_add_f32_e32 v105, v105, v106
	v_mul_f32_e32 v106, v130, v188
	s_waitcnt vmcnt(24) lgkmcnt(1)
	v_mul_f32_e32 v146, v137, v198
	v_fma_f32 v106, v129, v187, -v106
	v_fmac_f32_e32 v146, v138, v197
	v_add_f32_e32 v105, v105, v106
	v_mul_f32_e32 v106, v132, v191
	v_add_f32_e32 v145, v145, v146
	s_waitcnt vmcnt(22)
	v_mul_f32_e32 v146, v139, v200
	v_fma_f32 v106, v131, v192, -v106
	v_fmac_f32_e32 v146, v140, v199
	v_add_f32_e32 v105, v105, v106
	v_mul_f32_e32 v106, v134, v194
	v_add_f32_e32 v145, v145, v146
	s_waitcnt vmcnt(20) lgkmcnt(0)
	v_mul_f32_e32 v146, v141, v202
	v_fma_f32 v106, v133, v193, -v106
	v_fmac_f32_e32 v146, v142, v201
	v_add_f32_e32 v105, v105, v106
	v_mul_f32_e32 v106, v136, v196
	v_add_f32_e32 v149, v145, v146
	ds_read_b128 v[145:148], v104 offset:752
	v_fma_f32 v106, v135, v195, -v106
	v_add_f32_e32 v105, v105, v106
	v_mul_f32_e32 v106, v138, v198
	s_waitcnt vmcnt(18)
	v_mul_f32_e32 v150, v143, v204
	v_fma_f32 v106, v137, v197, -v106
	v_fmac_f32_e32 v150, v144, v203
	v_add_f32_e32 v105, v105, v106
	v_mul_f32_e32 v106, v140, v200
	v_add_f32_e32 v153, v149, v150
	ds_read_b128 v[149:152], v104 offset:768
	v_fma_f32 v106, v139, v199, -v106
	s_waitcnt vmcnt(16) lgkmcnt(1)
	v_mul_f32_e32 v154, v145, v206
	v_add_f32_e32 v105, v105, v106
	v_mul_f32_e32 v106, v142, v202
	v_fmac_f32_e32 v154, v146, v205
	v_fma_f32 v106, v141, v201, -v106
	v_add_f32_e32 v153, v153, v154
	s_waitcnt vmcnt(14)
	v_mul_f32_e32 v154, v147, v208
	v_add_f32_e32 v105, v105, v106
	v_mul_f32_e32 v106, v144, v204
	v_fmac_f32_e32 v154, v148, v207
	v_fma_f32 v106, v143, v203, -v106
	v_add_f32_e32 v153, v153, v154
	s_waitcnt vmcnt(12) lgkmcnt(0)
	v_mul_f32_e32 v154, v149, v210
	v_add_f32_e32 v105, v105, v106
	v_mul_f32_e32 v106, v146, v206
	v_fmac_f32_e32 v154, v150, v209
	v_fma_f32 v106, v145, v205, -v106
	v_add_f32_e32 v157, v153, v154
	ds_read_b128 v[153:156], v104 offset:784
	v_add_f32_e32 v105, v105, v106
	v_mul_f32_e32 v106, v148, v208
	v_fma_f32 v106, v147, v207, -v106
	v_add_f32_e32 v105, v105, v106
	v_mul_f32_e32 v106, v150, v210
	s_waitcnt vmcnt(10)
	v_mul_f32_e32 v158, v151, v212
	v_fma_f32 v106, v149, v209, -v106
	v_fmac_f32_e32 v158, v152, v211
	v_add_f32_e32 v105, v105, v106
	v_mul_f32_e32 v106, v152, v212
	v_add_f32_e32 v161, v157, v158
	ds_read_b128 v[157:160], v104 offset:800
	s_waitcnt vmcnt(8) lgkmcnt(1)
	v_mul_f32_e32 v162, v153, v214
	v_fma_f32 v106, v151, v211, -v106
	v_fmac_f32_e32 v162, v154, v213
	v_add_f32_e32 v105, v105, v106
	v_mul_f32_e32 v106, v154, v214
	v_add_f32_e32 v161, v161, v162
	s_waitcnt vmcnt(6)
	v_mul_f32_e32 v162, v155, v216
	v_fma_f32 v106, v153, v213, -v106
	v_fmac_f32_e32 v162, v156, v215
	v_add_f32_e32 v105, v105, v106
	v_mul_f32_e32 v106, v156, v216
	v_add_f32_e32 v223, v161, v162
	ds_read_b64 v[161:162], v104 offset:816
	v_fma_f32 v106, v155, v215, -v106
	v_add_f32_e32 v105, v105, v106
	s_waitcnt vmcnt(4) lgkmcnt(1)
	v_mul_f32_e32 v106, v158, v218
	v_mul_f32_e32 v224, v157, v218
	v_fma_f32 v106, v157, v217, -v106
	v_fmac_f32_e32 v224, v158, v217
	v_add_f32_e32 v105, v105, v106
	s_waitcnt vmcnt(2)
	v_mul_f32_e32 v106, v160, v220
	v_add_f32_e32 v223, v223, v224
	v_mul_f32_e32 v224, v159, v220
	v_fma_f32 v106, v159, v219, -v106
	v_fmac_f32_e32 v224, v160, v219
	v_add_f32_e32 v105, v105, v106
	s_waitcnt vmcnt(0) lgkmcnt(0)
	v_mul_f32_e32 v106, v162, v222
	v_add_f32_e32 v223, v223, v224
	v_mul_f32_e32 v224, v161, v222
	v_fma_f32 v106, v161, v221, -v106
	v_fmac_f32_e32 v224, v162, v221
	v_add_f32_e32 v105, v105, v106
	v_add_f32_e32 v223, v223, v224
	v_sub_f32_e32 v105, v189, v105
	v_sub_f32_e32 v106, v190, v223
	buffer_store_dword v105, off, s[0:3], 0 offset:168
	buffer_store_dword v106, off, s[0:3], 0 offset:172
	s_and_saveexec_b64 s[4:5], vcc
	s_cbranch_execz .LBB114_279
; %bb.278:
	buffer_load_dword v105, off, s[0:3], 0 offset:160
	buffer_load_dword v106, off, s[0:3], 0 offset:164
	s_waitcnt vmcnt(0)
	ds_write_b64 v103, v[105:106]
	buffer_store_dword v104, off, s[0:3], 0 offset:160
	buffer_store_dword v104, off, s[0:3], 0 offset:164
.LBB114_279:
	s_or_b64 exec, exec, s[4:5]
	s_waitcnt lgkmcnt(0)
	; wave barrier
	buffer_load_dword v165, off, s[0:3], 0 offset:172
	buffer_load_dword v166, off, s[0:3], 0 offset:180
	;; [unrolled: 1-line block ×32, first 2 shown]
	ds_read2_b64 v[105:108], v104 offset0:73 offset1:74
	ds_read2_b64 v[109:112], v104 offset0:75 offset1:76
	;; [unrolled: 1-line block ×4, first 2 shown]
	buffer_load_dword v197, off, s[0:3], 0 offset:292
	buffer_load_dword v198, off, s[0:3], 0 offset:288
	;; [unrolled: 1-line block ×30, first 2 shown]
	v_cmp_lt_u32_e32 vcc, 19, v0
	s_waitcnt vmcnt(61) lgkmcnt(3)
	v_mul_f32_e32 v121, v105, v165
	s_waitcnt vmcnt(60)
	v_mul_f32_e32 v122, v107, v166
	s_waitcnt vmcnt(59) lgkmcnt(2)
	v_mul_f32_e32 v123, v109, v167
	s_waitcnt vmcnt(58)
	v_mul_f32_e32 v124, v111, v168
	s_waitcnt vmcnt(57) lgkmcnt(1)
	v_mul_f32_e32 v125, v113, v169
	s_waitcnt vmcnt(56)
	v_mul_f32_e32 v126, v115, v170
	s_waitcnt vmcnt(55) lgkmcnt(0)
	v_mul_f32_e32 v127, v117, v171
	s_waitcnt vmcnt(54)
	v_fmac_f32_e32 v121, v106, v172
	s_waitcnt vmcnt(53)
	v_fmac_f32_e32 v122, v108, v173
	v_add_f32_e32 v121, 0, v121
	s_waitcnt vmcnt(52)
	v_fmac_f32_e32 v123, v110, v174
	v_add_f32_e32 v121, v121, v122
	;; [unrolled: 3-line block ×6, first 2 shown]
	v_add_f32_e32 v125, v121, v127
	ds_read2_b64 v[121:124], v104 offset0:81 offset1:82
	s_waitcnt vmcnt(47)
	v_mul_f32_e32 v126, v119, v179
	s_waitcnt vmcnt(46)
	v_fmac_f32_e32 v126, v120, v180
	v_mul_f32_e32 v106, v106, v165
	v_add_f32_e32 v129, v125, v126
	ds_read2_b64 v[125:128], v104 offset0:83 offset1:84
	v_fma_f32 v105, v105, v172, -v106
	v_mul_f32_e32 v106, v108, v166
	s_waitcnt vmcnt(45) lgkmcnt(1)
	v_mul_f32_e32 v130, v121, v181
	v_add_f32_e32 v105, 0, v105
	v_fma_f32 v106, v107, v173, -v106
	s_waitcnt vmcnt(44)
	v_fmac_f32_e32 v130, v122, v182
	v_add_f32_e32 v105, v105, v106
	v_mul_f32_e32 v106, v110, v167
	v_add_f32_e32 v129, v129, v130
	s_waitcnt vmcnt(43)
	v_mul_f32_e32 v130, v123, v183
	v_fma_f32 v106, v109, v174, -v106
	s_waitcnt vmcnt(42)
	v_fmac_f32_e32 v130, v124, v184
	v_add_f32_e32 v105, v105, v106
	v_mul_f32_e32 v106, v112, v168
	v_add_f32_e32 v129, v129, v130
	s_waitcnt vmcnt(41) lgkmcnt(0)
	v_mul_f32_e32 v130, v125, v185
	v_fma_f32 v106, v111, v175, -v106
	s_waitcnt vmcnt(40)
	v_fmac_f32_e32 v130, v126, v186
	v_add_f32_e32 v105, v105, v106
	v_mul_f32_e32 v106, v114, v169
	v_add_f32_e32 v133, v129, v130
	ds_read2_b64 v[129:132], v104 offset0:85 offset1:86
	v_fma_f32 v106, v113, v176, -v106
	v_add_f32_e32 v105, v105, v106
	v_mul_f32_e32 v106, v116, v170
	s_waitcnt vmcnt(39)
	v_mul_f32_e32 v134, v127, v187
	v_fma_f32 v106, v115, v177, -v106
	s_waitcnt vmcnt(38)
	v_fmac_f32_e32 v134, v128, v188
	v_add_f32_e32 v105, v105, v106
	v_mul_f32_e32 v106, v118, v171
	v_add_f32_e32 v137, v133, v134
	ds_read2_b64 v[133:136], v104 offset0:87 offset1:88
	v_fma_f32 v106, v117, v178, -v106
	s_waitcnt vmcnt(35) lgkmcnt(1)
	v_mul_f32_e32 v138, v129, v191
	v_add_f32_e32 v105, v105, v106
	v_mul_f32_e32 v106, v120, v179
	s_waitcnt vmcnt(34)
	v_fmac_f32_e32 v138, v130, v192
	v_fma_f32 v106, v119, v180, -v106
	v_add_f32_e32 v137, v137, v138
	s_waitcnt vmcnt(32)
	v_mul_f32_e32 v138, v131, v194
	v_add_f32_e32 v105, v105, v106
	v_mul_f32_e32 v106, v122, v181
	v_fmac_f32_e32 v138, v132, v193
	v_fma_f32 v106, v121, v182, -v106
	v_add_f32_e32 v137, v137, v138
	s_waitcnt vmcnt(30) lgkmcnt(0)
	v_mul_f32_e32 v138, v133, v196
	v_add_f32_e32 v105, v105, v106
	v_mul_f32_e32 v106, v124, v183
	v_fmac_f32_e32 v138, v134, v195
	v_fma_f32 v106, v123, v184, -v106
	v_add_f32_e32 v141, v137, v138
	ds_read2_b64 v[137:140], v104 offset0:89 offset1:90
	v_add_f32_e32 v105, v105, v106
	v_mul_f32_e32 v106, v126, v185
	v_fma_f32 v106, v125, v186, -v106
	s_waitcnt vmcnt(29)
	v_mul_f32_e32 v142, v135, v197
	v_add_f32_e32 v105, v105, v106
	v_mul_f32_e32 v106, v128, v187
	s_waitcnt vmcnt(28)
	v_fmac_f32_e32 v142, v136, v198
	v_fma_f32 v106, v127, v188, -v106
	v_add_f32_e32 v145, v141, v142
	ds_read2_b64 v[141:144], v104 offset0:91 offset1:92
	v_add_f32_e32 v105, v105, v106
	v_mul_f32_e32 v106, v130, v191
	s_waitcnt vmcnt(26) lgkmcnt(1)
	v_mul_f32_e32 v146, v137, v200
	v_fma_f32 v106, v129, v192, -v106
	v_fmac_f32_e32 v146, v138, v199
	v_add_f32_e32 v105, v105, v106
	v_mul_f32_e32 v106, v132, v194
	v_add_f32_e32 v145, v145, v146
	s_waitcnt vmcnt(24)
	v_mul_f32_e32 v146, v139, v202
	v_fma_f32 v106, v131, v193, -v106
	v_fmac_f32_e32 v146, v140, v201
	v_add_f32_e32 v105, v105, v106
	v_mul_f32_e32 v106, v134, v196
	v_add_f32_e32 v145, v145, v146
	s_waitcnt vmcnt(22) lgkmcnt(0)
	v_mul_f32_e32 v146, v141, v204
	v_fma_f32 v106, v133, v195, -v106
	v_fmac_f32_e32 v146, v142, v203
	v_add_f32_e32 v105, v105, v106
	v_mul_f32_e32 v106, v136, v197
	v_add_f32_e32 v149, v145, v146
	ds_read2_b64 v[145:148], v104 offset0:93 offset1:94
	v_fma_f32 v106, v135, v198, -v106
	v_add_f32_e32 v105, v105, v106
	v_mul_f32_e32 v106, v138, v200
	s_waitcnt vmcnt(20)
	v_mul_f32_e32 v150, v143, v206
	v_fma_f32 v106, v137, v199, -v106
	v_fmac_f32_e32 v150, v144, v205
	v_add_f32_e32 v105, v105, v106
	v_mul_f32_e32 v106, v140, v202
	v_add_f32_e32 v153, v149, v150
	ds_read2_b64 v[149:152], v104 offset0:95 offset1:96
	v_fma_f32 v106, v139, v201, -v106
	s_waitcnt vmcnt(18) lgkmcnt(1)
	v_mul_f32_e32 v154, v145, v208
	v_add_f32_e32 v105, v105, v106
	v_mul_f32_e32 v106, v142, v204
	v_fmac_f32_e32 v154, v146, v207
	v_fma_f32 v106, v141, v203, -v106
	v_add_f32_e32 v153, v153, v154
	s_waitcnt vmcnt(16)
	v_mul_f32_e32 v154, v147, v210
	v_add_f32_e32 v105, v105, v106
	v_mul_f32_e32 v106, v144, v206
	v_fmac_f32_e32 v154, v148, v209
	v_fma_f32 v106, v143, v205, -v106
	v_add_f32_e32 v153, v153, v154
	s_waitcnt vmcnt(14) lgkmcnt(0)
	v_mul_f32_e32 v154, v149, v212
	v_add_f32_e32 v105, v105, v106
	v_mul_f32_e32 v106, v146, v208
	v_fmac_f32_e32 v154, v150, v211
	v_fma_f32 v106, v145, v207, -v106
	v_add_f32_e32 v157, v153, v154
	ds_read2_b64 v[153:156], v104 offset0:97 offset1:98
	v_add_f32_e32 v105, v105, v106
	v_mul_f32_e32 v106, v148, v210
	v_fma_f32 v106, v147, v209, -v106
	v_add_f32_e32 v105, v105, v106
	v_mul_f32_e32 v106, v150, v212
	s_waitcnt vmcnt(12)
	v_mul_f32_e32 v158, v151, v214
	v_fma_f32 v106, v149, v211, -v106
	v_fmac_f32_e32 v158, v152, v213
	v_add_f32_e32 v105, v105, v106
	v_mul_f32_e32 v106, v152, v214
	v_add_f32_e32 v161, v157, v158
	ds_read2_b64 v[157:160], v104 offset0:99 offset1:100
	s_waitcnt vmcnt(10) lgkmcnt(1)
	v_mul_f32_e32 v162, v153, v216
	v_fma_f32 v106, v151, v213, -v106
	v_fmac_f32_e32 v162, v154, v215
	v_add_f32_e32 v105, v105, v106
	v_mul_f32_e32 v106, v154, v216
	v_add_f32_e32 v161, v161, v162
	s_waitcnt vmcnt(8)
	v_mul_f32_e32 v162, v155, v218
	v_fma_f32 v106, v153, v215, -v106
	v_fmac_f32_e32 v162, v156, v217
	v_add_f32_e32 v105, v105, v106
	v_mul_f32_e32 v106, v156, v218
	v_add_f32_e32 v227, v161, v162
	ds_read2_b64 v[161:164], v104 offset0:101 offset1:102
	v_fma_f32 v106, v155, v217, -v106
	v_add_f32_e32 v105, v105, v106
	s_waitcnt vmcnt(6) lgkmcnt(1)
	v_mul_f32_e32 v106, v158, v220
	v_mul_f32_e32 v228, v157, v220
	v_fma_f32 v106, v157, v219, -v106
	v_fmac_f32_e32 v228, v158, v219
	v_add_f32_e32 v105, v105, v106
	s_waitcnt vmcnt(4)
	v_mul_f32_e32 v106, v160, v222
	v_add_f32_e32 v104, v227, v228
	v_mul_f32_e32 v227, v159, v222
	v_fma_f32 v106, v159, v221, -v106
	v_fmac_f32_e32 v227, v160, v221
	v_add_f32_e32 v105, v105, v106
	s_waitcnt vmcnt(2) lgkmcnt(0)
	v_mul_f32_e32 v106, v162, v224
	v_add_f32_e32 v104, v104, v227
	v_mul_f32_e32 v227, v161, v224
	v_fma_f32 v106, v161, v223, -v106
	v_fmac_f32_e32 v227, v162, v223
	v_add_f32_e32 v105, v105, v106
	s_waitcnt vmcnt(0)
	v_mul_f32_e32 v106, v164, v226
	v_add_f32_e32 v104, v104, v227
	v_mul_f32_e32 v227, v163, v226
	v_fma_f32 v106, v163, v225, -v106
	v_fmac_f32_e32 v227, v164, v225
	v_add_f32_e32 v105, v105, v106
	v_add_f32_e32 v104, v104, v227
	v_sub_f32_e32 v105, v189, v105
	v_sub_f32_e32 v104, v190, v104
	buffer_store_dword v105, off, s[0:3], 0 offset:160
	buffer_store_dword v104, off, s[0:3], 0 offset:164
	s_and_saveexec_b64 s[4:5], vcc
	s_cbranch_execz .LBB114_281
; %bb.280:
	buffer_load_dword v104, off, s[0:3], 0 offset:152
	buffer_load_dword v105, off, s[0:3], 0 offset:156
	v_mov_b32_e32 v106, 0
	buffer_store_dword v106, off, s[0:3], 0 offset:152
	buffer_store_dword v106, off, s[0:3], 0 offset:156
	s_waitcnt vmcnt(2)
	ds_write_b64 v103, v[104:105]
.LBB114_281:
	s_or_b64 exec, exec, s[4:5]
	s_waitcnt lgkmcnt(0)
	; wave barrier
	buffer_load_dword v167, off, s[0:3], 0 offset:164
	buffer_load_dword v168, off, s[0:3], 0 offset:172
	;; [unrolled: 1-line block ×56, first 2 shown]
	v_mov_b32_e32 v104, 0
	ds_read_b128 v[105:108], v104 offset:576
	buffer_load_dword v223, off, s[0:3], 0 offset:376
	buffer_load_dword v224, off, s[0:3], 0 offset:380
	;; [unrolled: 1-line block ×4, first 2 shown]
	ds_read_b128 v[109:112], v104 offset:592
	ds_read_b128 v[113:116], v104 offset:608
	ds_read_b128 v[117:120], v104 offset:624
	v_cmp_lt_u32_e32 vcc, 18, v0
	s_waitcnt vmcnt(59) lgkmcnt(3)
	v_mul_f32_e32 v121, v105, v167
	s_waitcnt vmcnt(58)
	v_mul_f32_e32 v122, v107, v168
	s_waitcnt vmcnt(57) lgkmcnt(2)
	v_mul_f32_e32 v123, v109, v169
	s_waitcnt vmcnt(56)
	v_mul_f32_e32 v124, v111, v170
	s_waitcnt vmcnt(55) lgkmcnt(1)
	v_mul_f32_e32 v125, v113, v171
	s_waitcnt vmcnt(54)
	v_mul_f32_e32 v126, v115, v172
	s_waitcnt vmcnt(53) lgkmcnt(0)
	v_mul_f32_e32 v127, v117, v173
	s_waitcnt vmcnt(52)
	v_mul_f32_e32 v128, v119, v174
	s_waitcnt vmcnt(51)
	v_fmac_f32_e32 v121, v106, v175
	s_waitcnt vmcnt(50)
	v_fmac_f32_e32 v122, v108, v176
	v_add_f32_e32 v121, 0, v121
	s_waitcnt vmcnt(49)
	v_fmac_f32_e32 v123, v110, v177
	v_add_f32_e32 v121, v121, v122
	;; [unrolled: 3-line block ×6, first 2 shown]
	v_add_f32_e32 v125, v121, v127
	ds_read_b128 v[121:124], v104 offset:640
	buffer_load_dword v227, off, s[0:3], 0 offset:396
	buffer_load_dword v228, off, s[0:3], 0 offset:392
	;; [unrolled: 1-line block ×4, first 2 shown]
	s_waitcnt vmcnt(48)
	v_fmac_f32_e32 v128, v120, v182
	v_add_f32_e32 v129, v125, v128
	ds_read_b128 v[125:128], v104 offset:656
	s_waitcnt vmcnt(47) lgkmcnt(1)
	v_mul_f32_e32 v130, v121, v183
	v_mul_f32_e32 v106, v106, v167
	s_waitcnt vmcnt(46)
	v_fmac_f32_e32 v130, v122, v184
	v_fma_f32 v105, v105, v175, -v106
	v_mul_f32_e32 v106, v108, v168
	v_add_f32_e32 v129, v129, v130
	s_waitcnt vmcnt(45)
	v_mul_f32_e32 v130, v123, v185
	v_add_f32_e32 v105, 0, v105
	v_fma_f32 v106, v107, v176, -v106
	s_waitcnt vmcnt(44)
	v_fmac_f32_e32 v130, v124, v186
	v_add_f32_e32 v105, v105, v106
	v_mul_f32_e32 v106, v110, v169
	v_add_f32_e32 v129, v129, v130
	s_waitcnt vmcnt(42) lgkmcnt(0)
	v_mul_f32_e32 v130, v125, v188
	v_fma_f32 v106, v109, v177, -v106
	v_fmac_f32_e32 v130, v126, v187
	v_add_f32_e32 v105, v105, v106
	v_mul_f32_e32 v106, v112, v170
	v_add_f32_e32 v133, v129, v130
	ds_read_b128 v[129:132], v104 offset:672
	v_fma_f32 v106, v111, v178, -v106
	v_add_f32_e32 v105, v105, v106
	v_mul_f32_e32 v106, v114, v171
	s_waitcnt vmcnt(39)
	v_mul_f32_e32 v134, v127, v191
	v_fma_f32 v106, v113, v179, -v106
	s_waitcnt vmcnt(38)
	v_fmac_f32_e32 v134, v128, v192
	v_add_f32_e32 v105, v105, v106
	v_mul_f32_e32 v106, v116, v172
	v_add_f32_e32 v137, v133, v134
	ds_read_b128 v[133:136], v104 offset:688
	v_fma_f32 v106, v115, v180, -v106
	s_waitcnt vmcnt(36) lgkmcnt(1)
	v_mul_f32_e32 v138, v129, v194
	v_add_f32_e32 v105, v105, v106
	v_mul_f32_e32 v106, v118, v173
	v_fmac_f32_e32 v138, v130, v193
	v_fma_f32 v106, v117, v181, -v106
	v_add_f32_e32 v137, v137, v138
	s_waitcnt vmcnt(34)
	v_mul_f32_e32 v138, v131, v196
	v_add_f32_e32 v105, v105, v106
	v_mul_f32_e32 v106, v120, v174
	v_fmac_f32_e32 v138, v132, v195
	v_fma_f32 v106, v119, v182, -v106
	v_add_f32_e32 v137, v137, v138
	s_waitcnt vmcnt(32) lgkmcnt(0)
	v_mul_f32_e32 v138, v133, v198
	v_add_f32_e32 v105, v105, v106
	v_mul_f32_e32 v106, v122, v183
	v_fmac_f32_e32 v138, v134, v197
	v_fma_f32 v106, v121, v184, -v106
	v_add_f32_e32 v141, v137, v138
	ds_read_b128 v[137:140], v104 offset:704
	v_add_f32_e32 v105, v105, v106
	v_mul_f32_e32 v106, v124, v185
	v_fma_f32 v106, v123, v186, -v106
	s_waitcnt vmcnt(30)
	v_mul_f32_e32 v142, v135, v200
	v_add_f32_e32 v105, v105, v106
	v_mul_f32_e32 v106, v126, v188
	v_fmac_f32_e32 v142, v136, v199
	v_fma_f32 v106, v125, v187, -v106
	v_add_f32_e32 v145, v141, v142
	ds_read_b128 v[141:144], v104 offset:720
	v_add_f32_e32 v105, v105, v106
	v_mul_f32_e32 v106, v128, v191
	s_waitcnt vmcnt(28) lgkmcnt(1)
	v_mul_f32_e32 v146, v137, v202
	v_fma_f32 v106, v127, v192, -v106
	v_fmac_f32_e32 v146, v138, v201
	v_add_f32_e32 v105, v105, v106
	v_mul_f32_e32 v106, v130, v194
	v_add_f32_e32 v145, v145, v146
	s_waitcnt vmcnt(26)
	v_mul_f32_e32 v146, v139, v204
	v_fma_f32 v106, v129, v193, -v106
	v_fmac_f32_e32 v146, v140, v203
	v_add_f32_e32 v105, v105, v106
	v_mul_f32_e32 v106, v132, v196
	v_add_f32_e32 v145, v145, v146
	s_waitcnt vmcnt(24) lgkmcnt(0)
	v_mul_f32_e32 v146, v141, v206
	v_fma_f32 v106, v131, v195, -v106
	v_fmac_f32_e32 v146, v142, v205
	v_add_f32_e32 v105, v105, v106
	v_mul_f32_e32 v106, v134, v198
	v_add_f32_e32 v149, v145, v146
	ds_read_b128 v[145:148], v104 offset:736
	v_fma_f32 v106, v133, v197, -v106
	v_add_f32_e32 v105, v105, v106
	v_mul_f32_e32 v106, v136, v200
	s_waitcnt vmcnt(22)
	v_mul_f32_e32 v150, v143, v208
	v_fma_f32 v106, v135, v199, -v106
	v_fmac_f32_e32 v150, v144, v207
	v_add_f32_e32 v105, v105, v106
	v_mul_f32_e32 v106, v138, v202
	v_add_f32_e32 v153, v149, v150
	ds_read_b128 v[149:152], v104 offset:752
	v_fma_f32 v106, v137, v201, -v106
	s_waitcnt vmcnt(20) lgkmcnt(1)
	v_mul_f32_e32 v154, v145, v210
	v_add_f32_e32 v105, v105, v106
	v_mul_f32_e32 v106, v140, v204
	v_fmac_f32_e32 v154, v146, v209
	v_fma_f32 v106, v139, v203, -v106
	v_add_f32_e32 v153, v153, v154
	s_waitcnt vmcnt(18)
	v_mul_f32_e32 v154, v147, v212
	v_add_f32_e32 v105, v105, v106
	v_mul_f32_e32 v106, v142, v206
	v_fmac_f32_e32 v154, v148, v211
	v_fma_f32 v106, v141, v205, -v106
	v_add_f32_e32 v153, v153, v154
	s_waitcnt vmcnt(16) lgkmcnt(0)
	v_mul_f32_e32 v154, v149, v214
	v_add_f32_e32 v105, v105, v106
	v_mul_f32_e32 v106, v144, v208
	v_fmac_f32_e32 v154, v150, v213
	v_fma_f32 v106, v143, v207, -v106
	v_add_f32_e32 v157, v153, v154
	ds_read_b128 v[153:156], v104 offset:768
	v_add_f32_e32 v105, v105, v106
	v_mul_f32_e32 v106, v146, v210
	v_fma_f32 v106, v145, v209, -v106
	s_waitcnt vmcnt(14)
	v_mul_f32_e32 v158, v151, v216
	v_add_f32_e32 v105, v105, v106
	v_mul_f32_e32 v106, v148, v212
	v_fmac_f32_e32 v158, v152, v215
	v_fma_f32 v106, v147, v211, -v106
	v_add_f32_e32 v161, v157, v158
	ds_read_b128 v[157:160], v104 offset:784
	v_add_f32_e32 v105, v105, v106
	v_mul_f32_e32 v106, v150, v214
	s_waitcnt vmcnt(12) lgkmcnt(1)
	v_mul_f32_e32 v162, v153, v218
	v_fma_f32 v106, v149, v213, -v106
	v_fmac_f32_e32 v162, v154, v217
	v_add_f32_e32 v105, v105, v106
	v_mul_f32_e32 v106, v152, v216
	v_add_f32_e32 v161, v161, v162
	s_waitcnt vmcnt(10)
	v_mul_f32_e32 v162, v155, v220
	v_fma_f32 v106, v151, v215, -v106
	v_fmac_f32_e32 v162, v156, v219
	v_add_f32_e32 v105, v105, v106
	v_mul_f32_e32 v106, v154, v218
	v_add_f32_e32 v161, v161, v162
	s_waitcnt vmcnt(8) lgkmcnt(0)
	v_mul_f32_e32 v162, v157, v222
	v_fma_f32 v106, v153, v217, -v106
	v_fmac_f32_e32 v162, v158, v221
	v_add_f32_e32 v105, v105, v106
	v_mul_f32_e32 v106, v156, v220
	v_add_f32_e32 v165, v161, v162
	ds_read_b128 v[161:164], v104 offset:800
	v_fma_f32 v106, v155, v219, -v106
	v_add_f32_e32 v105, v105, v106
	v_mul_f32_e32 v106, v158, v222
	s_waitcnt vmcnt(6)
	v_mul_f32_e32 v166, v159, v224
	v_fma_f32 v106, v157, v221, -v106
	v_fmac_f32_e32 v166, v160, v223
	v_add_f32_e32 v105, v105, v106
	v_mul_f32_e32 v106, v160, v224
	v_add_f32_e32 v231, v165, v166
	ds_read_b64 v[165:166], v104 offset:816
	v_fma_f32 v106, v159, v223, -v106
	v_add_f32_e32 v105, v105, v106
	s_waitcnt vmcnt(4) lgkmcnt(1)
	v_mul_f32_e32 v106, v162, v226
	v_mul_f32_e32 v232, v161, v226
	v_fma_f32 v106, v161, v225, -v106
	v_fmac_f32_e32 v232, v162, v225
	v_add_f32_e32 v105, v105, v106
	s_waitcnt vmcnt(3)
	v_mul_f32_e32 v106, v164, v227
	v_add_f32_e32 v231, v231, v232
	v_mul_f32_e32 v232, v163, v227
	s_waitcnt vmcnt(2)
	v_fma_f32 v106, v163, v228, -v106
	v_fmac_f32_e32 v232, v164, v228
	v_add_f32_e32 v105, v105, v106
	s_waitcnt vmcnt(0) lgkmcnt(0)
	v_mul_f32_e32 v106, v166, v230
	v_add_f32_e32 v231, v231, v232
	v_mul_f32_e32 v232, v165, v230
	v_fma_f32 v106, v165, v229, -v106
	v_fmac_f32_e32 v232, v166, v229
	v_add_f32_e32 v105, v105, v106
	v_add_f32_e32 v231, v231, v232
	v_sub_f32_e32 v105, v189, v105
	v_sub_f32_e32 v106, v190, v231
	buffer_store_dword v105, off, s[0:3], 0 offset:152
	buffer_store_dword v106, off, s[0:3], 0 offset:156
	s_and_saveexec_b64 s[4:5], vcc
	s_cbranch_execz .LBB114_283
; %bb.282:
	buffer_load_dword v105, off, s[0:3], 0 offset:144
	buffer_load_dword v106, off, s[0:3], 0 offset:148
	s_waitcnt vmcnt(0)
	ds_write_b64 v103, v[105:106]
	buffer_store_dword v104, off, s[0:3], 0 offset:144
	buffer_store_dword v104, off, s[0:3], 0 offset:148
.LBB114_283:
	s_or_b64 exec, exec, s[4:5]
	s_waitcnt lgkmcnt(0)
	; wave barrier
	buffer_load_dword v169, off, s[0:3], 0 offset:156
	buffer_load_dword v170, off, s[0:3], 0 offset:164
	buffer_load_dword v171, off, s[0:3], 0 offset:172
	buffer_load_dword v172, off, s[0:3], 0 offset:180
	buffer_load_dword v173, off, s[0:3], 0 offset:188
	buffer_load_dword v174, off, s[0:3], 0 offset:196
	buffer_load_dword v175, off, s[0:3], 0 offset:204
	buffer_load_dword v176, off, s[0:3], 0 offset:212
	buffer_load_dword v177, off, s[0:3], 0 offset:152
	buffer_load_dword v178, off, s[0:3], 0 offset:160
	buffer_load_dword v179, off, s[0:3], 0 offset:168
	buffer_load_dword v180, off, s[0:3], 0 offset:176
	buffer_load_dword v181, off, s[0:3], 0 offset:184
	buffer_load_dword v182, off, s[0:3], 0 offset:192
	buffer_load_dword v183, off, s[0:3], 0 offset:200
	buffer_load_dword v184, off, s[0:3], 0 offset:208
	buffer_load_dword v185, off, s[0:3], 0 offset:220
	buffer_load_dword v186, off, s[0:3], 0 offset:216
	buffer_load_dword v187, off, s[0:3], 0 offset:224
	buffer_load_dword v188, off, s[0:3], 0 offset:228
	buffer_load_dword v189, off, s[0:3], 0 offset:144
	buffer_load_dword v190, off, s[0:3], 0 offset:148
	buffer_load_dword v191, off, s[0:3], 0 offset:236
	buffer_load_dword v192, off, s[0:3], 0 offset:232
	buffer_load_dword v193, off, s[0:3], 0 offset:240
	buffer_load_dword v194, off, s[0:3], 0 offset:244
	ds_read2_b64 v[105:108], v104 offset0:71 offset1:72
	ds_read2_b64 v[109:112], v104 offset0:73 offset1:74
	;; [unrolled: 1-line block ×4, first 2 shown]
	buffer_load_dword v195, off, s[0:3], 0 offset:252
	buffer_load_dword v196, off, s[0:3], 0 offset:248
	;; [unrolled: 1-line block ×34, first 2 shown]
	v_cmp_lt_u32_e32 vcc, 17, v0
	s_waitcnt vmcnt(59) lgkmcnt(3)
	v_mul_f32_e32 v121, v105, v169
	s_waitcnt vmcnt(58)
	v_mul_f32_e32 v122, v107, v170
	s_waitcnt vmcnt(57) lgkmcnt(2)
	v_mul_f32_e32 v123, v109, v171
	s_waitcnt vmcnt(56)
	v_mul_f32_e32 v124, v111, v172
	;; [unrolled: 4-line block ×4, first 2 shown]
	s_waitcnt vmcnt(51)
	v_fmac_f32_e32 v121, v106, v177
	s_waitcnt vmcnt(50)
	v_fmac_f32_e32 v122, v108, v178
	v_add_f32_e32 v121, 0, v121
	s_waitcnt vmcnt(49)
	v_fmac_f32_e32 v123, v110, v179
	v_add_f32_e32 v121, v121, v122
	;; [unrolled: 3-line block ×7, first 2 shown]
	v_add_f32_e32 v129, v121, v128
	ds_read2_b64 v[121:124], v104 offset0:79 offset1:80
	buffer_load_dword v229, off, s[0:3], 0 offset:388
	buffer_load_dword v230, off, s[0:3], 0 offset:384
	;; [unrolled: 1-line block ×4, first 2 shown]
	ds_read2_b64 v[125:128], v104 offset0:81 offset1:82
	buffer_load_dword v233, off, s[0:3], 0 offset:400
	buffer_load_dword v234, off, s[0:3], 0 offset:404
	v_mul_f32_e32 v106, v106, v169
	s_waitcnt vmcnt(49) lgkmcnt(1)
	v_mul_f32_e32 v130, v121, v185
	s_waitcnt vmcnt(48)
	v_fmac_f32_e32 v130, v122, v186
	v_fma_f32 v105, v105, v177, -v106
	v_mul_f32_e32 v106, v108, v170
	v_add_f32_e32 v129, v129, v130
	s_waitcnt vmcnt(46)
	v_mul_f32_e32 v130, v123, v188
	v_add_f32_e32 v105, 0, v105
	v_fma_f32 v106, v107, v178, -v106
	v_fmac_f32_e32 v130, v124, v187
	v_add_f32_e32 v105, v105, v106
	v_mul_f32_e32 v106, v110, v171
	v_add_f32_e32 v129, v129, v130
	s_waitcnt vmcnt(43) lgkmcnt(0)
	v_mul_f32_e32 v130, v125, v191
	v_fma_f32 v106, v109, v179, -v106
	s_waitcnt vmcnt(42)
	v_fmac_f32_e32 v130, v126, v192
	v_add_f32_e32 v105, v105, v106
	v_mul_f32_e32 v106, v112, v172
	v_add_f32_e32 v133, v129, v130
	ds_read2_b64 v[129:132], v104 offset0:83 offset1:84
	v_fma_f32 v106, v111, v180, -v106
	v_add_f32_e32 v105, v105, v106
	v_mul_f32_e32 v106, v114, v173
	s_waitcnt vmcnt(40)
	v_mul_f32_e32 v134, v127, v194
	v_fma_f32 v106, v113, v181, -v106
	v_fmac_f32_e32 v134, v128, v193
	v_add_f32_e32 v105, v105, v106
	v_mul_f32_e32 v106, v116, v174
	v_add_f32_e32 v137, v133, v134
	ds_read2_b64 v[133:136], v104 offset0:85 offset1:86
	v_fma_f32 v106, v115, v182, -v106
	s_waitcnt vmcnt(39) lgkmcnt(1)
	v_mul_f32_e32 v138, v129, v195
	v_add_f32_e32 v105, v105, v106
	v_mul_f32_e32 v106, v118, v175
	s_waitcnt vmcnt(38)
	v_fmac_f32_e32 v138, v130, v196
	v_fma_f32 v106, v117, v183, -v106
	v_add_f32_e32 v137, v137, v138
	s_waitcnt vmcnt(36)
	v_mul_f32_e32 v138, v131, v198
	v_add_f32_e32 v105, v105, v106
	v_mul_f32_e32 v106, v120, v176
	v_fmac_f32_e32 v138, v132, v197
	v_fma_f32 v106, v119, v184, -v106
	v_add_f32_e32 v137, v137, v138
	s_waitcnt vmcnt(34) lgkmcnt(0)
	v_mul_f32_e32 v138, v133, v200
	v_add_f32_e32 v105, v105, v106
	v_mul_f32_e32 v106, v122, v185
	v_fmac_f32_e32 v138, v134, v199
	v_fma_f32 v106, v121, v186, -v106
	v_add_f32_e32 v141, v137, v138
	ds_read2_b64 v[137:140], v104 offset0:87 offset1:88
	v_add_f32_e32 v105, v105, v106
	v_mul_f32_e32 v106, v124, v188
	v_fma_f32 v106, v123, v187, -v106
	s_waitcnt vmcnt(32)
	v_mul_f32_e32 v142, v135, v202
	v_add_f32_e32 v105, v105, v106
	v_mul_f32_e32 v106, v126, v191
	v_fmac_f32_e32 v142, v136, v201
	v_fma_f32 v106, v125, v192, -v106
	v_add_f32_e32 v145, v141, v142
	ds_read2_b64 v[141:144], v104 offset0:89 offset1:90
	v_add_f32_e32 v105, v105, v106
	v_mul_f32_e32 v106, v128, v194
	s_waitcnt vmcnt(30) lgkmcnt(1)
	v_mul_f32_e32 v146, v137, v204
	v_fma_f32 v106, v127, v193, -v106
	v_fmac_f32_e32 v146, v138, v203
	v_add_f32_e32 v105, v105, v106
	v_mul_f32_e32 v106, v130, v195
	v_add_f32_e32 v145, v145, v146
	s_waitcnt vmcnt(28)
	v_mul_f32_e32 v146, v139, v206
	v_fma_f32 v106, v129, v196, -v106
	v_fmac_f32_e32 v146, v140, v205
	v_add_f32_e32 v105, v105, v106
	v_mul_f32_e32 v106, v132, v198
	v_add_f32_e32 v145, v145, v146
	s_waitcnt vmcnt(26) lgkmcnt(0)
	v_mul_f32_e32 v146, v141, v208
	v_fma_f32 v106, v131, v197, -v106
	v_fmac_f32_e32 v146, v142, v207
	v_add_f32_e32 v105, v105, v106
	v_mul_f32_e32 v106, v134, v200
	v_add_f32_e32 v149, v145, v146
	ds_read2_b64 v[145:148], v104 offset0:91 offset1:92
	v_fma_f32 v106, v133, v199, -v106
	v_add_f32_e32 v105, v105, v106
	v_mul_f32_e32 v106, v136, v202
	s_waitcnt vmcnt(24)
	v_mul_f32_e32 v150, v143, v210
	v_fma_f32 v106, v135, v201, -v106
	v_fmac_f32_e32 v150, v144, v209
	v_add_f32_e32 v105, v105, v106
	v_mul_f32_e32 v106, v138, v204
	v_add_f32_e32 v153, v149, v150
	ds_read2_b64 v[149:152], v104 offset0:93 offset1:94
	v_fma_f32 v106, v137, v203, -v106
	s_waitcnt vmcnt(22) lgkmcnt(1)
	v_mul_f32_e32 v154, v145, v212
	v_add_f32_e32 v105, v105, v106
	v_mul_f32_e32 v106, v140, v206
	v_fmac_f32_e32 v154, v146, v211
	v_fma_f32 v106, v139, v205, -v106
	v_add_f32_e32 v153, v153, v154
	s_waitcnt vmcnt(20)
	v_mul_f32_e32 v154, v147, v214
	v_add_f32_e32 v105, v105, v106
	v_mul_f32_e32 v106, v142, v208
	v_fmac_f32_e32 v154, v148, v213
	v_fma_f32 v106, v141, v207, -v106
	v_add_f32_e32 v153, v153, v154
	s_waitcnt vmcnt(18) lgkmcnt(0)
	v_mul_f32_e32 v154, v149, v216
	v_add_f32_e32 v105, v105, v106
	v_mul_f32_e32 v106, v144, v210
	v_fmac_f32_e32 v154, v150, v215
	v_fma_f32 v106, v143, v209, -v106
	v_add_f32_e32 v157, v153, v154
	ds_read2_b64 v[153:156], v104 offset0:95 offset1:96
	v_add_f32_e32 v105, v105, v106
	v_mul_f32_e32 v106, v146, v212
	v_fma_f32 v106, v145, v211, -v106
	s_waitcnt vmcnt(16)
	v_mul_f32_e32 v158, v151, v218
	v_add_f32_e32 v105, v105, v106
	v_mul_f32_e32 v106, v148, v214
	v_fmac_f32_e32 v158, v152, v217
	v_fma_f32 v106, v147, v213, -v106
	v_add_f32_e32 v161, v157, v158
	ds_read2_b64 v[157:160], v104 offset0:97 offset1:98
	v_add_f32_e32 v105, v105, v106
	v_mul_f32_e32 v106, v150, v216
	s_waitcnt vmcnt(14) lgkmcnt(1)
	v_mul_f32_e32 v162, v153, v220
	v_fma_f32 v106, v149, v215, -v106
	v_fmac_f32_e32 v162, v154, v219
	v_add_f32_e32 v105, v105, v106
	v_mul_f32_e32 v106, v152, v218
	v_add_f32_e32 v161, v161, v162
	s_waitcnt vmcnt(12)
	v_mul_f32_e32 v162, v155, v222
	v_fma_f32 v106, v151, v217, -v106
	v_fmac_f32_e32 v162, v156, v221
	v_add_f32_e32 v105, v105, v106
	v_mul_f32_e32 v106, v154, v220
	v_add_f32_e32 v161, v161, v162
	s_waitcnt vmcnt(10) lgkmcnt(0)
	v_mul_f32_e32 v162, v157, v224
	v_fma_f32 v106, v153, v219, -v106
	v_fmac_f32_e32 v162, v158, v223
	v_add_f32_e32 v105, v105, v106
	v_mul_f32_e32 v106, v156, v222
	v_add_f32_e32 v165, v161, v162
	ds_read2_b64 v[161:164], v104 offset0:99 offset1:100
	v_fma_f32 v106, v155, v221, -v106
	v_add_f32_e32 v105, v105, v106
	v_mul_f32_e32 v106, v158, v224
	s_waitcnt vmcnt(8)
	v_mul_f32_e32 v166, v159, v226
	v_fma_f32 v106, v157, v223, -v106
	v_fmac_f32_e32 v166, v160, v225
	v_add_f32_e32 v105, v105, v106
	v_mul_f32_e32 v106, v160, v226
	v_add_f32_e32 v235, v165, v166
	ds_read2_b64 v[165:168], v104 offset0:101 offset1:102
	v_fma_f32 v106, v159, v225, -v106
	v_add_f32_e32 v105, v105, v106
	s_waitcnt vmcnt(6) lgkmcnt(1)
	v_mul_f32_e32 v106, v162, v228
	v_mul_f32_e32 v104, v161, v228
	v_fma_f32 v106, v161, v227, -v106
	v_fmac_f32_e32 v104, v162, v227
	v_add_f32_e32 v105, v105, v106
	s_waitcnt vmcnt(5)
	v_mul_f32_e32 v106, v164, v229
	v_add_f32_e32 v104, v235, v104
	v_mul_f32_e32 v235, v163, v229
	s_waitcnt vmcnt(4)
	v_fma_f32 v106, v163, v230, -v106
	v_fmac_f32_e32 v235, v164, v230
	v_add_f32_e32 v105, v105, v106
	s_waitcnt vmcnt(2) lgkmcnt(0)
	v_mul_f32_e32 v106, v166, v232
	v_add_f32_e32 v104, v104, v235
	v_mul_f32_e32 v235, v165, v232
	v_fma_f32 v106, v165, v231, -v106
	v_fmac_f32_e32 v235, v166, v231
	v_add_f32_e32 v105, v105, v106
	s_waitcnt vmcnt(0)
	v_mul_f32_e32 v106, v168, v234
	v_add_f32_e32 v104, v104, v235
	v_mul_f32_e32 v235, v167, v234
	v_fma_f32 v106, v167, v233, -v106
	v_fmac_f32_e32 v235, v168, v233
	v_add_f32_e32 v105, v105, v106
	v_add_f32_e32 v104, v104, v235
	v_sub_f32_e32 v105, v189, v105
	v_sub_f32_e32 v104, v190, v104
	buffer_store_dword v105, off, s[0:3], 0 offset:144
	buffer_store_dword v104, off, s[0:3], 0 offset:148
	s_and_saveexec_b64 s[4:5], vcc
	s_cbranch_execz .LBB114_285
; %bb.284:
	buffer_load_dword v104, off, s[0:3], 0 offset:136
	buffer_load_dword v105, off, s[0:3], 0 offset:140
	v_mov_b32_e32 v106, 0
	buffer_store_dword v106, off, s[0:3], 0 offset:136
	buffer_store_dword v106, off, s[0:3], 0 offset:140
	s_waitcnt vmcnt(2)
	ds_write_b64 v103, v[104:105]
.LBB114_285:
	s_or_b64 exec, exec, s[4:5]
	s_waitcnt lgkmcnt(0)
	; wave barrier
	buffer_load_dword v171, off, s[0:3], 0 offset:148
	buffer_load_dword v172, off, s[0:3], 0 offset:156
	;; [unrolled: 1-line block ×58, first 2 shown]
	v_mov_b32_e32 v104, 0
	ds_read_b128 v[105:108], v104 offset:560
	ds_read_b128 v[109:112], v104 offset:576
	;; [unrolled: 1-line block ×5, first 2 shown]
	buffer_load_dword v229, off, s[0:3], 0 offset:368
	buffer_load_dword v230, off, s[0:3], 0 offset:372
	v_cmp_lt_u32_e32 vcc, 16, v0
	s_waitcnt vmcnt(59) lgkmcnt(4)
	v_mul_f32_e32 v125, v105, v171
	s_waitcnt vmcnt(58)
	v_mul_f32_e32 v126, v107, v172
	s_waitcnt vmcnt(57) lgkmcnt(3)
	v_mul_f32_e32 v127, v109, v173
	s_waitcnt vmcnt(56)
	v_mul_f32_e32 v128, v111, v174
	;; [unrolled: 4-line block ×4, first 2 shown]
	s_waitcnt vmcnt(51)
	v_fmac_f32_e32 v125, v106, v179
	s_waitcnt vmcnt(50)
	v_fmac_f32_e32 v126, v108, v180
	v_add_f32_e32 v125, 0, v125
	s_waitcnt vmcnt(49)
	v_fmac_f32_e32 v127, v110, v181
	v_add_f32_e32 v125, v125, v126
	;; [unrolled: 3-line block ×7, first 2 shown]
	v_add_f32_e32 v129, v125, v132
	ds_read_b128 v[125:128], v104 offset:640
	buffer_load_dword v231, off, s[0:3], 0 offset:380
	buffer_load_dword v232, off, s[0:3], 0 offset:376
	;; [unrolled: 1-line block ×8, first 2 shown]
	s_waitcnt vmcnt(51) lgkmcnt(1)
	v_mul_f32_e32 v130, v121, v187
	s_waitcnt vmcnt(50)
	v_fmac_f32_e32 v130, v122, v188
	v_mul_f32_e32 v106, v106, v171
	v_add_f32_e32 v129, v129, v130
	s_waitcnt vmcnt(49)
	v_mul_f32_e32 v130, v123, v189
	v_fma_f32 v105, v105, v179, -v106
	v_mul_f32_e32 v106, v108, v172
	s_waitcnt vmcnt(46)
	v_fmac_f32_e32 v130, v124, v192
	v_add_f32_e32 v105, 0, v105
	v_fma_f32 v106, v107, v180, -v106
	v_add_f32_e32 v129, v129, v130
	s_waitcnt vmcnt(44) lgkmcnt(0)
	v_mul_f32_e32 v130, v125, v194
	v_add_f32_e32 v105, v105, v106
	v_mul_f32_e32 v106, v110, v173
	v_fmac_f32_e32 v130, v126, v193
	v_fma_f32 v106, v109, v181, -v106
	v_add_f32_e32 v133, v129, v130
	ds_read_b128 v[129:132], v104 offset:656
	v_add_f32_e32 v105, v105, v106
	v_mul_f32_e32 v106, v112, v174
	v_fma_f32 v106, v111, v182, -v106
	s_waitcnt vmcnt(42)
	v_mul_f32_e32 v134, v127, v196
	v_add_f32_e32 v105, v105, v106
	v_mul_f32_e32 v106, v114, v175
	v_fmac_f32_e32 v134, v128, v195
	v_fma_f32 v106, v113, v183, -v106
	v_add_f32_e32 v137, v133, v134
	ds_read_b128 v[133:136], v104 offset:672
	v_add_f32_e32 v105, v105, v106
	v_mul_f32_e32 v106, v116, v176
	s_waitcnt vmcnt(40) lgkmcnt(1)
	v_mul_f32_e32 v138, v129, v198
	v_fma_f32 v106, v115, v184, -v106
	v_fmac_f32_e32 v138, v130, v197
	v_add_f32_e32 v105, v105, v106
	v_mul_f32_e32 v106, v118, v177
	v_add_f32_e32 v137, v137, v138
	s_waitcnt vmcnt(38)
	v_mul_f32_e32 v138, v131, v200
	v_fma_f32 v106, v117, v185, -v106
	v_fmac_f32_e32 v138, v132, v199
	v_add_f32_e32 v105, v105, v106
	v_mul_f32_e32 v106, v120, v178
	v_add_f32_e32 v137, v137, v138
	s_waitcnt vmcnt(36) lgkmcnt(0)
	v_mul_f32_e32 v138, v133, v202
	v_fma_f32 v106, v119, v186, -v106
	v_fmac_f32_e32 v138, v134, v201
	v_add_f32_e32 v105, v105, v106
	v_mul_f32_e32 v106, v122, v187
	v_add_f32_e32 v141, v137, v138
	ds_read_b128 v[137:140], v104 offset:688
	v_fma_f32 v106, v121, v188, -v106
	v_add_f32_e32 v105, v105, v106
	v_mul_f32_e32 v106, v124, v189
	s_waitcnt vmcnt(34)
	v_mul_f32_e32 v142, v135, v204
	v_fma_f32 v106, v123, v192, -v106
	v_fmac_f32_e32 v142, v136, v203
	v_add_f32_e32 v105, v105, v106
	v_mul_f32_e32 v106, v126, v194
	v_add_f32_e32 v145, v141, v142
	ds_read_b128 v[141:144], v104 offset:704
	v_fma_f32 v106, v125, v193, -v106
	s_waitcnt vmcnt(32) lgkmcnt(1)
	v_mul_f32_e32 v146, v137, v206
	v_add_f32_e32 v105, v105, v106
	v_mul_f32_e32 v106, v128, v196
	v_fmac_f32_e32 v146, v138, v205
	v_fma_f32 v106, v127, v195, -v106
	v_add_f32_e32 v145, v145, v146
	s_waitcnt vmcnt(30)
	v_mul_f32_e32 v146, v139, v208
	v_add_f32_e32 v105, v105, v106
	v_mul_f32_e32 v106, v130, v198
	v_fmac_f32_e32 v146, v140, v207
	v_fma_f32 v106, v129, v197, -v106
	v_add_f32_e32 v145, v145, v146
	s_waitcnt vmcnt(28) lgkmcnt(0)
	v_mul_f32_e32 v146, v141, v210
	v_add_f32_e32 v105, v105, v106
	v_mul_f32_e32 v106, v132, v200
	v_fmac_f32_e32 v146, v142, v209
	v_fma_f32 v106, v131, v199, -v106
	v_add_f32_e32 v149, v145, v146
	ds_read_b128 v[145:148], v104 offset:720
	v_add_f32_e32 v105, v105, v106
	v_mul_f32_e32 v106, v134, v202
	v_fma_f32 v106, v133, v201, -v106
	s_waitcnt vmcnt(26)
	v_mul_f32_e32 v150, v143, v212
	v_add_f32_e32 v105, v105, v106
	v_mul_f32_e32 v106, v136, v204
	v_fmac_f32_e32 v150, v144, v211
	v_fma_f32 v106, v135, v203, -v106
	v_add_f32_e32 v153, v149, v150
	ds_read_b128 v[149:152], v104 offset:736
	v_add_f32_e32 v105, v105, v106
	v_mul_f32_e32 v106, v138, v206
	s_waitcnt vmcnt(24) lgkmcnt(1)
	v_mul_f32_e32 v154, v145, v214
	v_fma_f32 v106, v137, v205, -v106
	v_fmac_f32_e32 v154, v146, v213
	v_add_f32_e32 v105, v105, v106
	v_mul_f32_e32 v106, v140, v208
	v_add_f32_e32 v153, v153, v154
	s_waitcnt vmcnt(22)
	v_mul_f32_e32 v154, v147, v216
	v_fma_f32 v106, v139, v207, -v106
	v_fmac_f32_e32 v154, v148, v215
	v_add_f32_e32 v105, v105, v106
	v_mul_f32_e32 v106, v142, v210
	v_add_f32_e32 v153, v153, v154
	s_waitcnt vmcnt(20) lgkmcnt(0)
	v_mul_f32_e32 v154, v149, v218
	v_fma_f32 v106, v141, v209, -v106
	v_fmac_f32_e32 v154, v150, v217
	v_add_f32_e32 v105, v105, v106
	v_mul_f32_e32 v106, v144, v212
	v_add_f32_e32 v157, v153, v154
	ds_read_b128 v[153:156], v104 offset:752
	v_fma_f32 v106, v143, v211, -v106
	v_add_f32_e32 v105, v105, v106
	v_mul_f32_e32 v106, v146, v214
	s_waitcnt vmcnt(18)
	v_mul_f32_e32 v158, v151, v220
	v_fma_f32 v106, v145, v213, -v106
	v_fmac_f32_e32 v158, v152, v219
	v_add_f32_e32 v105, v105, v106
	v_mul_f32_e32 v106, v148, v216
	v_add_f32_e32 v161, v157, v158
	ds_read_b128 v[157:160], v104 offset:768
	v_fma_f32 v106, v147, v215, -v106
	s_waitcnt vmcnt(16) lgkmcnt(1)
	v_mul_f32_e32 v162, v153, v222
	v_add_f32_e32 v105, v105, v106
	v_mul_f32_e32 v106, v150, v218
	v_fmac_f32_e32 v162, v154, v221
	v_fma_f32 v106, v149, v217, -v106
	v_add_f32_e32 v161, v161, v162
	s_waitcnt vmcnt(14)
	v_mul_f32_e32 v162, v155, v224
	v_add_f32_e32 v105, v105, v106
	v_mul_f32_e32 v106, v152, v220
	v_fmac_f32_e32 v162, v156, v223
	v_fma_f32 v106, v151, v219, -v106
	v_add_f32_e32 v161, v161, v162
	s_waitcnt vmcnt(12) lgkmcnt(0)
	v_mul_f32_e32 v162, v157, v226
	v_add_f32_e32 v105, v105, v106
	v_mul_f32_e32 v106, v154, v222
	v_fmac_f32_e32 v162, v158, v225
	v_fma_f32 v106, v153, v221, -v106
	v_add_f32_e32 v165, v161, v162
	ds_read_b128 v[161:164], v104 offset:784
	v_add_f32_e32 v105, v105, v106
	v_mul_f32_e32 v106, v156, v224
	v_fma_f32 v106, v155, v223, -v106
	v_add_f32_e32 v105, v105, v106
	v_mul_f32_e32 v106, v158, v226
	s_waitcnt vmcnt(10)
	v_mul_f32_e32 v166, v159, v228
	v_fma_f32 v106, v157, v225, -v106
	v_fmac_f32_e32 v166, v160, v227
	v_add_f32_e32 v105, v105, v106
	v_mul_f32_e32 v106, v160, v228
	v_add_f32_e32 v169, v165, v166
	ds_read_b128 v[165:168], v104 offset:800
	s_waitcnt vmcnt(8) lgkmcnt(1)
	v_mul_f32_e32 v170, v161, v230
	v_fma_f32 v106, v159, v227, -v106
	v_fmac_f32_e32 v170, v162, v229
	v_add_f32_e32 v105, v105, v106
	v_mul_f32_e32 v106, v162, v230
	v_add_f32_e32 v169, v169, v170
	s_waitcnt vmcnt(7)
	v_mul_f32_e32 v170, v163, v231
	v_fma_f32 v106, v161, v229, -v106
	s_waitcnt vmcnt(6)
	v_fmac_f32_e32 v170, v164, v232
	v_add_f32_e32 v105, v105, v106
	v_mul_f32_e32 v106, v164, v231
	v_add_f32_e32 v239, v169, v170
	ds_read_b64 v[169:170], v104 offset:816
	v_fma_f32 v106, v163, v232, -v106
	v_add_f32_e32 v105, v105, v106
	s_waitcnt vmcnt(4) lgkmcnt(1)
	v_mul_f32_e32 v106, v166, v234
	v_mul_f32_e32 v240, v165, v234
	v_fma_f32 v106, v165, v233, -v106
	v_fmac_f32_e32 v240, v166, v233
	v_add_f32_e32 v105, v105, v106
	s_waitcnt vmcnt(3)
	v_mul_f32_e32 v106, v168, v235
	v_add_f32_e32 v239, v239, v240
	v_mul_f32_e32 v240, v167, v235
	s_waitcnt vmcnt(2)
	v_fma_f32 v106, v167, v236, -v106
	v_fmac_f32_e32 v240, v168, v236
	v_add_f32_e32 v105, v105, v106
	s_waitcnt vmcnt(0) lgkmcnt(0)
	v_mul_f32_e32 v106, v170, v238
	v_add_f32_e32 v239, v239, v240
	v_mul_f32_e32 v240, v169, v238
	v_fma_f32 v106, v169, v237, -v106
	v_fmac_f32_e32 v240, v170, v237
	v_add_f32_e32 v105, v105, v106
	v_add_f32_e32 v239, v239, v240
	v_sub_f32_e32 v105, v190, v105
	v_sub_f32_e32 v106, v191, v239
	buffer_store_dword v105, off, s[0:3], 0 offset:136
	buffer_store_dword v106, off, s[0:3], 0 offset:140
	s_and_saveexec_b64 s[4:5], vcc
	s_cbranch_execz .LBB114_287
; %bb.286:
	buffer_load_dword v105, off, s[0:3], 0 offset:128
	buffer_load_dword v106, off, s[0:3], 0 offset:132
	s_waitcnt vmcnt(0)
	ds_write_b64 v103, v[105:106]
	buffer_store_dword v104, off, s[0:3], 0 offset:128
	buffer_store_dword v104, off, s[0:3], 0 offset:132
.LBB114_287:
	s_or_b64 exec, exec, s[4:5]
	s_waitcnt lgkmcnt(0)
	; wave barrier
	buffer_load_dword v173, off, s[0:3], 0 offset:140
	buffer_load_dword v174, off, s[0:3], 0 offset:148
	;; [unrolled: 1-line block ×24, first 2 shown]
	ds_read2_b64 v[105:108], v104 offset0:69 offset1:70
	ds_read2_b64 v[109:112], v104 offset0:71 offset1:72
	;; [unrolled: 1-line block ×6, first 2 shown]
	buffer_load_dword v197, off, s[0:3], 0 offset:228
	buffer_load_dword v198, off, s[0:3], 0 offset:224
	;; [unrolled: 1-line block ×46, first 2 shown]
	v_cmp_lt_u32_e32 vcc, 15, v0
	s_waitcnt vmcnt(62) lgkmcnt(5)
	v_mul_f32_e32 v129, v105, v173
	v_mul_f32_e32 v130, v107, v174
	s_waitcnt lgkmcnt(4)
	v_mul_f32_e32 v131, v109, v175
	v_mul_f32_e32 v132, v111, v176
	s_waitcnt lgkmcnt(3)
	;; [unrolled: 3-line block ×3, first 2 shown]
	v_mul_f32_e32 v135, v117, v179
	v_mul_f32_e32 v136, v119, v180
	s_waitcnt vmcnt(61)
	v_fmac_f32_e32 v129, v106, v181
	s_waitcnt vmcnt(60)
	v_fmac_f32_e32 v130, v108, v182
	v_add_f32_e32 v129, 0, v129
	s_waitcnt vmcnt(59)
	v_fmac_f32_e32 v131, v110, v183
	v_add_f32_e32 v129, v129, v130
	;; [unrolled: 3-line block ×7, first 2 shown]
	s_waitcnt vmcnt(53) lgkmcnt(1)
	v_mul_f32_e32 v130, v121, v189
	v_add_f32_e32 v129, v129, v136
	s_waitcnt vmcnt(52)
	v_fmac_f32_e32 v130, v122, v190
	v_mul_f32_e32 v106, v106, v173
	v_add_f32_e32 v129, v129, v130
	s_waitcnt vmcnt(51)
	v_mul_f32_e32 v130, v123, v191
	v_fma_f32 v105, v105, v181, -v106
	v_mul_f32_e32 v106, v108, v174
	s_waitcnt vmcnt(50)
	v_fmac_f32_e32 v130, v124, v192
	v_add_f32_e32 v105, 0, v105
	v_fma_f32 v106, v107, v182, -v106
	v_add_f32_e32 v129, v129, v130
	s_waitcnt vmcnt(47) lgkmcnt(0)
	v_mul_f32_e32 v130, v125, v195
	v_add_f32_e32 v105, v105, v106
	v_mul_f32_e32 v106, v110, v175
	s_waitcnt vmcnt(46)
	v_fmac_f32_e32 v130, v126, v196
	v_fma_f32 v106, v109, v183, -v106
	v_add_f32_e32 v133, v129, v130
	ds_read2_b64 v[129:132], v104 offset0:81 offset1:82
	v_add_f32_e32 v105, v105, v106
	v_mul_f32_e32 v106, v112, v176
	v_fma_f32 v106, v111, v184, -v106
	s_waitcnt vmcnt(45)
	v_mul_f32_e32 v134, v127, v197
	v_add_f32_e32 v105, v105, v106
	v_mul_f32_e32 v106, v114, v177
	s_waitcnt vmcnt(44)
	v_fmac_f32_e32 v134, v128, v198
	v_fma_f32 v106, v113, v185, -v106
	v_add_f32_e32 v137, v133, v134
	ds_read2_b64 v[133:136], v104 offset0:83 offset1:84
	v_add_f32_e32 v105, v105, v106
	v_mul_f32_e32 v106, v116, v178
	s_waitcnt vmcnt(42) lgkmcnt(1)
	v_mul_f32_e32 v138, v129, v200
	v_fma_f32 v106, v115, v186, -v106
	v_fmac_f32_e32 v138, v130, v199
	v_add_f32_e32 v105, v105, v106
	v_mul_f32_e32 v106, v118, v179
	v_add_f32_e32 v137, v137, v138
	s_waitcnt vmcnt(40)
	v_mul_f32_e32 v138, v131, v202
	v_fma_f32 v106, v117, v187, -v106
	v_fmac_f32_e32 v138, v132, v201
	v_add_f32_e32 v105, v105, v106
	v_mul_f32_e32 v106, v120, v180
	v_add_f32_e32 v137, v137, v138
	s_waitcnt vmcnt(38) lgkmcnt(0)
	v_mul_f32_e32 v138, v133, v204
	v_fma_f32 v106, v119, v188, -v106
	v_fmac_f32_e32 v138, v134, v203
	v_add_f32_e32 v105, v105, v106
	v_mul_f32_e32 v106, v122, v189
	v_add_f32_e32 v141, v137, v138
	ds_read2_b64 v[137:140], v104 offset0:85 offset1:86
	v_fma_f32 v106, v121, v190, -v106
	v_add_f32_e32 v105, v105, v106
	v_mul_f32_e32 v106, v124, v191
	s_waitcnt vmcnt(36)
	v_mul_f32_e32 v142, v135, v206
	v_fma_f32 v106, v123, v192, -v106
	v_fmac_f32_e32 v142, v136, v205
	v_add_f32_e32 v105, v105, v106
	v_mul_f32_e32 v106, v126, v195
	v_add_f32_e32 v145, v141, v142
	ds_read2_b64 v[141:144], v104 offset0:87 offset1:88
	v_fma_f32 v106, v125, v196, -v106
	s_waitcnt vmcnt(34) lgkmcnt(1)
	v_mul_f32_e32 v146, v137, v208
	v_add_f32_e32 v105, v105, v106
	v_mul_f32_e32 v106, v128, v197
	v_fmac_f32_e32 v146, v138, v207
	v_fma_f32 v106, v127, v198, -v106
	v_add_f32_e32 v145, v145, v146
	s_waitcnt vmcnt(32)
	v_mul_f32_e32 v146, v139, v210
	v_add_f32_e32 v105, v105, v106
	v_mul_f32_e32 v106, v130, v200
	v_fmac_f32_e32 v146, v140, v209
	v_fma_f32 v106, v129, v199, -v106
	v_add_f32_e32 v145, v145, v146
	s_waitcnt vmcnt(30) lgkmcnt(0)
	v_mul_f32_e32 v146, v141, v212
	v_add_f32_e32 v105, v105, v106
	v_mul_f32_e32 v106, v132, v202
	v_fmac_f32_e32 v146, v142, v211
	v_fma_f32 v106, v131, v201, -v106
	v_add_f32_e32 v149, v145, v146
	ds_read2_b64 v[145:148], v104 offset0:89 offset1:90
	v_add_f32_e32 v105, v105, v106
	v_mul_f32_e32 v106, v134, v204
	v_fma_f32 v106, v133, v203, -v106
	s_waitcnt vmcnt(28)
	v_mul_f32_e32 v150, v143, v214
	v_add_f32_e32 v105, v105, v106
	v_mul_f32_e32 v106, v136, v206
	v_fmac_f32_e32 v150, v144, v213
	v_fma_f32 v106, v135, v205, -v106
	v_add_f32_e32 v153, v149, v150
	ds_read2_b64 v[149:152], v104 offset0:91 offset1:92
	v_add_f32_e32 v105, v105, v106
	v_mul_f32_e32 v106, v138, v208
	s_waitcnt vmcnt(26) lgkmcnt(1)
	v_mul_f32_e32 v154, v145, v216
	v_fma_f32 v106, v137, v207, -v106
	v_fmac_f32_e32 v154, v146, v215
	v_add_f32_e32 v105, v105, v106
	v_mul_f32_e32 v106, v140, v210
	v_add_f32_e32 v153, v153, v154
	s_waitcnt vmcnt(24)
	v_mul_f32_e32 v154, v147, v218
	v_fma_f32 v106, v139, v209, -v106
	v_fmac_f32_e32 v154, v148, v217
	v_add_f32_e32 v105, v105, v106
	v_mul_f32_e32 v106, v142, v212
	v_add_f32_e32 v153, v153, v154
	s_waitcnt vmcnt(22) lgkmcnt(0)
	v_mul_f32_e32 v154, v149, v220
	v_fma_f32 v106, v141, v211, -v106
	v_fmac_f32_e32 v154, v150, v219
	v_add_f32_e32 v105, v105, v106
	v_mul_f32_e32 v106, v144, v214
	v_add_f32_e32 v157, v153, v154
	ds_read2_b64 v[153:156], v104 offset0:93 offset1:94
	v_fma_f32 v106, v143, v213, -v106
	v_add_f32_e32 v105, v105, v106
	v_mul_f32_e32 v106, v146, v216
	s_waitcnt vmcnt(20)
	v_mul_f32_e32 v158, v151, v222
	v_fma_f32 v106, v145, v215, -v106
	v_fmac_f32_e32 v158, v152, v221
	v_add_f32_e32 v105, v105, v106
	v_mul_f32_e32 v106, v148, v218
	v_add_f32_e32 v161, v157, v158
	ds_read2_b64 v[157:160], v104 offset0:95 offset1:96
	v_fma_f32 v106, v147, v217, -v106
	s_waitcnt vmcnt(18) lgkmcnt(1)
	v_mul_f32_e32 v162, v153, v224
	v_add_f32_e32 v105, v105, v106
	v_mul_f32_e32 v106, v150, v220
	v_fmac_f32_e32 v162, v154, v223
	v_fma_f32 v106, v149, v219, -v106
	v_add_f32_e32 v161, v161, v162
	s_waitcnt vmcnt(16)
	v_mul_f32_e32 v162, v155, v226
	v_add_f32_e32 v105, v105, v106
	v_mul_f32_e32 v106, v152, v222
	v_fmac_f32_e32 v162, v156, v225
	v_fma_f32 v106, v151, v221, -v106
	v_add_f32_e32 v161, v161, v162
	s_waitcnt vmcnt(14) lgkmcnt(0)
	v_mul_f32_e32 v162, v157, v228
	v_add_f32_e32 v105, v105, v106
	v_mul_f32_e32 v106, v154, v224
	v_fmac_f32_e32 v162, v158, v227
	v_fma_f32 v106, v153, v223, -v106
	v_add_f32_e32 v165, v161, v162
	ds_read2_b64 v[161:164], v104 offset0:97 offset1:98
	v_add_f32_e32 v105, v105, v106
	v_mul_f32_e32 v106, v156, v226
	v_fma_f32 v106, v155, v225, -v106
	v_add_f32_e32 v105, v105, v106
	v_mul_f32_e32 v106, v158, v228
	s_waitcnt vmcnt(12)
	v_mul_f32_e32 v166, v159, v230
	v_fma_f32 v106, v157, v227, -v106
	v_fmac_f32_e32 v166, v160, v229
	v_add_f32_e32 v105, v105, v106
	v_mul_f32_e32 v106, v160, v230
	v_add_f32_e32 v169, v165, v166
	ds_read2_b64 v[165:168], v104 offset0:99 offset1:100
	s_waitcnt vmcnt(10) lgkmcnt(1)
	v_mul_f32_e32 v170, v161, v232
	v_fma_f32 v106, v159, v229, -v106
	v_fmac_f32_e32 v170, v162, v231
	v_add_f32_e32 v105, v105, v106
	v_mul_f32_e32 v106, v162, v232
	v_add_f32_e32 v169, v169, v170
	s_waitcnt vmcnt(9)
	v_mul_f32_e32 v170, v163, v233
	v_fma_f32 v106, v161, v231, -v106
	s_waitcnt vmcnt(8)
	v_fmac_f32_e32 v170, v164, v234
	v_add_f32_e32 v105, v105, v106
	v_mul_f32_e32 v106, v164, v233
	v_add_f32_e32 v243, v169, v170
	ds_read2_b64 v[169:172], v104 offset0:101 offset1:102
	v_fma_f32 v106, v163, v234, -v106
	v_add_f32_e32 v105, v105, v106
	s_waitcnt vmcnt(6) lgkmcnt(1)
	v_mul_f32_e32 v106, v166, v236
	v_mul_f32_e32 v244, v165, v236
	v_fma_f32 v106, v165, v235, -v106
	v_fmac_f32_e32 v244, v166, v235
	v_add_f32_e32 v105, v105, v106
	s_waitcnt vmcnt(4)
	v_mul_f32_e32 v106, v168, v238
	v_add_f32_e32 v104, v243, v244
	v_mul_f32_e32 v243, v167, v238
	v_fma_f32 v106, v167, v237, -v106
	v_fmac_f32_e32 v243, v168, v237
	v_add_f32_e32 v105, v105, v106
	s_waitcnt vmcnt(3) lgkmcnt(0)
	v_mul_f32_e32 v106, v170, v239
	v_add_f32_e32 v104, v104, v243
	v_mul_f32_e32 v243, v169, v239
	s_waitcnt vmcnt(2)
	v_fma_f32 v106, v169, v240, -v106
	v_fmac_f32_e32 v243, v170, v240
	v_add_f32_e32 v105, v105, v106
	s_waitcnt vmcnt(0)
	v_mul_f32_e32 v106, v172, v242
	v_add_f32_e32 v104, v104, v243
	v_mul_f32_e32 v243, v171, v242
	v_fma_f32 v106, v171, v241, -v106
	v_fmac_f32_e32 v243, v172, v241
	v_add_f32_e32 v105, v105, v106
	v_add_f32_e32 v104, v104, v243
	v_sub_f32_e32 v105, v193, v105
	v_sub_f32_e32 v104, v194, v104
	buffer_store_dword v105, off, s[0:3], 0 offset:128
	buffer_store_dword v104, off, s[0:3], 0 offset:132
	s_and_saveexec_b64 s[4:5], vcc
	s_cbranch_execz .LBB114_289
; %bb.288:
	buffer_load_dword v104, off, s[0:3], 0 offset:120
	buffer_load_dword v105, off, s[0:3], 0 offset:124
	v_mov_b32_e32 v106, 0
	buffer_store_dword v106, off, s[0:3], 0 offset:120
	buffer_store_dword v106, off, s[0:3], 0 offset:124
	s_waitcnt vmcnt(2)
	ds_write_b64 v103, v[104:105]
.LBB114_289:
	s_or_b64 exec, exec, s[4:5]
	s_waitcnt lgkmcnt(0)
	; wave barrier
	buffer_load_dword v175, off, s[0:3], 0 offset:132
	buffer_load_dword v176, off, s[0:3], 0 offset:140
	;; [unrolled: 1-line block ×56, first 2 shown]
	v_mov_b32_e32 v104, 0
	ds_read_b128 v[105:108], v104 offset:544
	ds_read_b128 v[109:112], v104 offset:560
	;; [unrolled: 1-line block ×6, first 2 shown]
	buffer_load_dword v231, off, s[0:3], 0 offset:344
	buffer_load_dword v232, off, s[0:3], 0 offset:348
	;; [unrolled: 1-line block ×12, first 2 shown]
	v_cmp_lt_u32_e32 vcc, 14, v0
	s_waitcnt vmcnt(62) lgkmcnt(5)
	v_mul_f32_e32 v129, v105, v175
	v_mul_f32_e32 v130, v107, v176
	s_waitcnt lgkmcnt(4)
	v_mul_f32_e32 v131, v109, v177
	v_mul_f32_e32 v132, v111, v178
	s_waitcnt lgkmcnt(3)
	v_mul_f32_e32 v133, v113, v179
	v_mul_f32_e32 v134, v115, v180
	s_waitcnt vmcnt(61) lgkmcnt(2)
	v_mul_f32_e32 v135, v117, v181
	s_waitcnt vmcnt(60)
	v_mul_f32_e32 v136, v119, v182
	s_waitcnt vmcnt(59) lgkmcnt(1)
	v_mul_f32_e32 v137, v121, v183
	s_waitcnt vmcnt(58)
	v_fmac_f32_e32 v129, v106, v184
	s_waitcnt vmcnt(57)
	v_fmac_f32_e32 v130, v108, v185
	v_add_f32_e32 v129, 0, v129
	s_waitcnt vmcnt(56)
	v_fmac_f32_e32 v131, v110, v186
	v_add_f32_e32 v129, v129, v130
	;; [unrolled: 3-line block ×7, first 2 shown]
	v_add_f32_e32 v129, v129, v136
	s_waitcnt vmcnt(50)
	v_fmac_f32_e32 v137, v122, v192
	s_waitcnt vmcnt(49)
	v_mul_f32_e32 v130, v123, v193
	v_add_f32_e32 v129, v129, v137
	s_waitcnt vmcnt(48)
	v_fmac_f32_e32 v130, v124, v194
	v_add_f32_e32 v129, v129, v130
	s_waitcnt vmcnt(47) lgkmcnt(0)
	v_mul_f32_e32 v130, v125, v195
	s_waitcnt vmcnt(44)
	v_fmac_f32_e32 v130, v126, v198
	v_add_f32_e32 v133, v129, v130
	ds_read_b128 v[129:132], v104 offset:640
	buffer_load_dword v243, off, s[0:3], 0 offset:396
	buffer_load_dword v244, off, s[0:3], 0 offset:392
	;; [unrolled: 1-line block ×4, first 2 shown]
	v_mul_f32_e32 v106, v106, v175
	v_fma_f32 v105, v105, v184, -v106
	v_mul_f32_e32 v106, v108, v176
	v_add_f32_e32 v105, 0, v105
	v_fma_f32 v106, v107, v185, -v106
	v_add_f32_e32 v105, v105, v106
	v_mul_f32_e32 v106, v110, v177
	v_fma_f32 v106, v109, v186, -v106
	s_waitcnt vmcnt(46)
	v_mul_f32_e32 v134, v127, v200
	v_add_f32_e32 v105, v105, v106
	v_mul_f32_e32 v106, v112, v178
	v_fmac_f32_e32 v134, v128, v199
	v_fma_f32 v106, v111, v187, -v106
	v_add_f32_e32 v137, v133, v134
	ds_read_b128 v[133:136], v104 offset:656
	v_add_f32_e32 v105, v105, v106
	v_mul_f32_e32 v106, v114, v179
	s_waitcnt vmcnt(44) lgkmcnt(1)
	v_mul_f32_e32 v138, v129, v202
	v_fma_f32 v106, v113, v188, -v106
	v_fmac_f32_e32 v138, v130, v201
	v_add_f32_e32 v105, v105, v106
	v_mul_f32_e32 v106, v116, v180
	v_add_f32_e32 v137, v137, v138
	s_waitcnt vmcnt(42)
	v_mul_f32_e32 v138, v131, v204
	v_fma_f32 v106, v115, v189, -v106
	v_fmac_f32_e32 v138, v132, v203
	v_add_f32_e32 v105, v105, v106
	v_mul_f32_e32 v106, v118, v181
	v_add_f32_e32 v137, v137, v138
	s_waitcnt vmcnt(40) lgkmcnt(0)
	v_mul_f32_e32 v138, v133, v206
	v_fma_f32 v106, v117, v190, -v106
	v_fmac_f32_e32 v138, v134, v205
	v_add_f32_e32 v105, v105, v106
	v_mul_f32_e32 v106, v120, v182
	v_add_f32_e32 v141, v137, v138
	ds_read_b128 v[137:140], v104 offset:672
	v_fma_f32 v106, v119, v191, -v106
	v_add_f32_e32 v105, v105, v106
	v_mul_f32_e32 v106, v122, v183
	s_waitcnt vmcnt(38)
	v_mul_f32_e32 v142, v135, v208
	v_fma_f32 v106, v121, v192, -v106
	v_fmac_f32_e32 v142, v136, v207
	v_add_f32_e32 v105, v105, v106
	v_mul_f32_e32 v106, v124, v193
	v_add_f32_e32 v145, v141, v142
	ds_read_b128 v[141:144], v104 offset:688
	v_fma_f32 v106, v123, v194, -v106
	s_waitcnt vmcnt(36) lgkmcnt(1)
	v_mul_f32_e32 v146, v137, v210
	v_add_f32_e32 v105, v105, v106
	v_mul_f32_e32 v106, v126, v195
	v_fmac_f32_e32 v146, v138, v209
	v_fma_f32 v106, v125, v198, -v106
	v_add_f32_e32 v145, v145, v146
	s_waitcnt vmcnt(34)
	v_mul_f32_e32 v146, v139, v212
	v_add_f32_e32 v105, v105, v106
	v_mul_f32_e32 v106, v128, v200
	v_fmac_f32_e32 v146, v140, v211
	v_fma_f32 v106, v127, v199, -v106
	v_add_f32_e32 v145, v145, v146
	s_waitcnt vmcnt(32) lgkmcnt(0)
	v_mul_f32_e32 v146, v141, v214
	v_add_f32_e32 v105, v105, v106
	v_mul_f32_e32 v106, v130, v202
	v_fmac_f32_e32 v146, v142, v213
	v_fma_f32 v106, v129, v201, -v106
	v_add_f32_e32 v149, v145, v146
	ds_read_b128 v[145:148], v104 offset:704
	v_add_f32_e32 v105, v105, v106
	v_mul_f32_e32 v106, v132, v204
	v_fma_f32 v106, v131, v203, -v106
	s_waitcnt vmcnt(30)
	v_mul_f32_e32 v150, v143, v216
	v_add_f32_e32 v105, v105, v106
	v_mul_f32_e32 v106, v134, v206
	v_fmac_f32_e32 v150, v144, v215
	v_fma_f32 v106, v133, v205, -v106
	v_add_f32_e32 v153, v149, v150
	ds_read_b128 v[149:152], v104 offset:720
	v_add_f32_e32 v105, v105, v106
	v_mul_f32_e32 v106, v136, v208
	s_waitcnt vmcnt(28) lgkmcnt(1)
	v_mul_f32_e32 v154, v145, v218
	v_fma_f32 v106, v135, v207, -v106
	v_fmac_f32_e32 v154, v146, v217
	v_add_f32_e32 v105, v105, v106
	v_mul_f32_e32 v106, v138, v210
	v_add_f32_e32 v153, v153, v154
	s_waitcnt vmcnt(26)
	v_mul_f32_e32 v154, v147, v220
	v_fma_f32 v106, v137, v209, -v106
	v_fmac_f32_e32 v154, v148, v219
	v_add_f32_e32 v105, v105, v106
	v_mul_f32_e32 v106, v140, v212
	v_add_f32_e32 v153, v153, v154
	s_waitcnt vmcnt(24) lgkmcnt(0)
	v_mul_f32_e32 v154, v149, v222
	v_fma_f32 v106, v139, v211, -v106
	v_fmac_f32_e32 v154, v150, v221
	v_add_f32_e32 v105, v105, v106
	v_mul_f32_e32 v106, v142, v214
	v_add_f32_e32 v157, v153, v154
	ds_read_b128 v[153:156], v104 offset:736
	v_fma_f32 v106, v141, v213, -v106
	v_add_f32_e32 v105, v105, v106
	v_mul_f32_e32 v106, v144, v216
	s_waitcnt vmcnt(22)
	v_mul_f32_e32 v158, v151, v224
	v_fma_f32 v106, v143, v215, -v106
	v_fmac_f32_e32 v158, v152, v223
	v_add_f32_e32 v105, v105, v106
	v_mul_f32_e32 v106, v146, v218
	v_add_f32_e32 v161, v157, v158
	ds_read_b128 v[157:160], v104 offset:752
	v_fma_f32 v106, v145, v217, -v106
	s_waitcnt vmcnt(20) lgkmcnt(1)
	v_mul_f32_e32 v162, v153, v226
	v_add_f32_e32 v105, v105, v106
	v_mul_f32_e32 v106, v148, v220
	v_fmac_f32_e32 v162, v154, v225
	v_fma_f32 v106, v147, v219, -v106
	v_add_f32_e32 v161, v161, v162
	s_waitcnt vmcnt(18)
	v_mul_f32_e32 v162, v155, v228
	v_add_f32_e32 v105, v105, v106
	v_mul_f32_e32 v106, v150, v222
	v_fmac_f32_e32 v162, v156, v227
	v_fma_f32 v106, v149, v221, -v106
	v_add_f32_e32 v161, v161, v162
	s_waitcnt vmcnt(16) lgkmcnt(0)
	v_mul_f32_e32 v162, v157, v230
	v_add_f32_e32 v105, v105, v106
	v_mul_f32_e32 v106, v152, v224
	v_fmac_f32_e32 v162, v158, v229
	v_fma_f32 v106, v151, v223, -v106
	v_add_f32_e32 v165, v161, v162
	ds_read_b128 v[161:164], v104 offset:768
	v_add_f32_e32 v105, v105, v106
	v_mul_f32_e32 v106, v154, v226
	v_fma_f32 v106, v153, v225, -v106
	s_waitcnt vmcnt(14)
	v_mul_f32_e32 v166, v159, v232
	v_add_f32_e32 v105, v105, v106
	v_mul_f32_e32 v106, v156, v228
	v_fmac_f32_e32 v166, v160, v231
	v_fma_f32 v106, v155, v227, -v106
	v_add_f32_e32 v169, v165, v166
	ds_read_b128 v[165:168], v104 offset:784
	v_add_f32_e32 v105, v105, v106
	v_mul_f32_e32 v106, v158, v230
	s_waitcnt vmcnt(12) lgkmcnt(1)
	v_mul_f32_e32 v170, v161, v234
	v_fma_f32 v106, v157, v229, -v106
	v_fmac_f32_e32 v170, v162, v233
	v_add_f32_e32 v105, v105, v106
	v_mul_f32_e32 v106, v160, v232
	v_add_f32_e32 v169, v169, v170
	s_waitcnt vmcnt(11)
	v_mul_f32_e32 v170, v163, v235
	v_fma_f32 v106, v159, v231, -v106
	s_waitcnt vmcnt(10)
	v_fmac_f32_e32 v170, v164, v236
	v_add_f32_e32 v105, v105, v106
	v_mul_f32_e32 v106, v162, v234
	v_add_f32_e32 v169, v169, v170
	s_waitcnt vmcnt(8) lgkmcnt(0)
	v_mul_f32_e32 v170, v165, v238
	v_fma_f32 v106, v161, v233, -v106
	v_fmac_f32_e32 v170, v166, v237
	v_add_f32_e32 v105, v105, v106
	v_mul_f32_e32 v106, v164, v235
	v_add_f32_e32 v173, v169, v170
	ds_read_b128 v[169:172], v104 offset:800
	v_fma_f32 v106, v163, v236, -v106
	v_add_f32_e32 v105, v105, v106
	v_mul_f32_e32 v106, v166, v238
	s_waitcnt vmcnt(6)
	v_mul_f32_e32 v174, v167, v240
	v_fma_f32 v106, v165, v237, -v106
	v_fmac_f32_e32 v174, v168, v239
	v_add_f32_e32 v105, v105, v106
	v_mul_f32_e32 v106, v168, v240
	v_add_f32_e32 v247, v173, v174
	ds_read_b64 v[173:174], v104 offset:816
	v_fma_f32 v106, v167, v239, -v106
	v_add_f32_e32 v105, v105, v106
	s_waitcnt vmcnt(4) lgkmcnt(1)
	v_mul_f32_e32 v106, v170, v242
	v_mul_f32_e32 v248, v169, v242
	v_fma_f32 v106, v169, v241, -v106
	v_fmac_f32_e32 v248, v170, v241
	v_add_f32_e32 v105, v105, v106
	s_waitcnt vmcnt(3)
	v_mul_f32_e32 v106, v172, v243
	v_add_f32_e32 v247, v247, v248
	v_mul_f32_e32 v248, v171, v243
	s_waitcnt vmcnt(2)
	v_fma_f32 v106, v171, v244, -v106
	v_fmac_f32_e32 v248, v172, v244
	v_add_f32_e32 v105, v105, v106
	s_waitcnt vmcnt(0) lgkmcnt(0)
	v_mul_f32_e32 v106, v174, v246
	v_add_f32_e32 v247, v247, v248
	v_mul_f32_e32 v248, v173, v246
	v_fma_f32 v106, v173, v245, -v106
	v_fmac_f32_e32 v248, v174, v245
	v_add_f32_e32 v105, v105, v106
	v_add_f32_e32 v247, v247, v248
	v_sub_f32_e32 v105, v196, v105
	v_sub_f32_e32 v106, v197, v247
	buffer_store_dword v105, off, s[0:3], 0 offset:120
	buffer_store_dword v106, off, s[0:3], 0 offset:124
	s_and_saveexec_b64 s[4:5], vcc
	s_cbranch_execz .LBB114_291
; %bb.290:
	buffer_load_dword v105, off, s[0:3], 0 offset:112
	buffer_load_dword v106, off, s[0:3], 0 offset:116
	s_waitcnt vmcnt(0)
	ds_write_b64 v103, v[105:106]
	buffer_store_dword v104, off, s[0:3], 0 offset:112
	buffer_store_dword v104, off, s[0:3], 0 offset:116
.LBB114_291:
	s_or_b64 exec, exec, s[4:5]
	s_waitcnt lgkmcnt(0)
	; wave barrier
	buffer_load_dword v177, off, s[0:3], 0 offset:124
	buffer_load_dword v178, off, s[0:3], 0 offset:132
	;; [unrolled: 1-line block ×26, first 2 shown]
	ds_read2_b64 v[105:108], v104 offset0:67 offset1:68
	ds_read2_b64 v[109:112], v104 offset0:69 offset1:70
	ds_read2_b64 v[113:116], v104 offset0:71 offset1:72
	ds_read2_b64 v[117:120], v104 offset0:73 offset1:74
	ds_read2_b64 v[121:124], v104 offset0:75 offset1:76
	ds_read2_b64 v[125:128], v104 offset0:77 offset1:78
	buffer_load_dword v203, off, s[0:3], 0 offset:216
	buffer_load_dword v204, off, s[0:3], 0 offset:220
	buffer_load_dword v205, off, s[0:3], 0 offset:224
	buffer_load_dword v206, off, s[0:3], 0 offset:228
	buffer_load_dword v207, off, s[0:3], 0 offset:232
	buffer_load_dword v208, off, s[0:3], 0 offset:236
	buffer_load_dword v209, off, s[0:3], 0 offset:240
	buffer_load_dword v210, off, s[0:3], 0 offset:244
	buffer_load_dword v211, off, s[0:3], 0 offset:248
	buffer_load_dword v212, off, s[0:3], 0 offset:252
	buffer_load_dword v213, off, s[0:3], 0 offset:256
	buffer_load_dword v214, off, s[0:3], 0 offset:260
	buffer_load_dword v215, off, s[0:3], 0 offset:264
	buffer_load_dword v216, off, s[0:3], 0 offset:268
	buffer_load_dword v217, off, s[0:3], 0 offset:272
	buffer_load_dword v218, off, s[0:3], 0 offset:276
	buffer_load_dword v219, off, s[0:3], 0 offset:280
	buffer_load_dword v220, off, s[0:3], 0 offset:284
	buffer_load_dword v221, off, s[0:3], 0 offset:288
	buffer_load_dword v222, off, s[0:3], 0 offset:292
	buffer_load_dword v223, off, s[0:3], 0 offset:296
	buffer_load_dword v224, off, s[0:3], 0 offset:300
	buffer_load_dword v225, off, s[0:3], 0 offset:304
	buffer_load_dword v226, off, s[0:3], 0 offset:308
	buffer_load_dword v227, off, s[0:3], 0 offset:312
	buffer_load_dword v228, off, s[0:3], 0 offset:316
	buffer_load_dword v229, off, s[0:3], 0 offset:320
	buffer_load_dword v230, off, s[0:3], 0 offset:324
	buffer_load_dword v231, off, s[0:3], 0 offset:328
	buffer_load_dword v232, off, s[0:3], 0 offset:332
	buffer_load_dword v233, off, s[0:3], 0 offset:336
	buffer_load_dword v234, off, s[0:3], 0 offset:340
	buffer_load_dword v235, off, s[0:3], 0 offset:344
	buffer_load_dword v236, off, s[0:3], 0 offset:348
	buffer_load_dword v237, off, s[0:3], 0 offset:356
	buffer_load_dword v238, off, s[0:3], 0 offset:352
	buffer_load_dword v239, off, s[0:3], 0 offset:360
	buffer_load_dword v240, off, s[0:3], 0 offset:364
	buffer_load_dword v241, off, s[0:3], 0 offset:368
	buffer_load_dword v242, off, s[0:3], 0 offset:372
	buffer_load_dword v243, off, s[0:3], 0 offset:376
	buffer_load_dword v244, off, s[0:3], 0 offset:380
	v_cmp_lt_u32_e32 vcc, 13, v0
	s_waitcnt vmcnt(62) lgkmcnt(5)
	v_mul_f32_e32 v129, v105, v177
	v_mul_f32_e32 v130, v107, v178
	s_waitcnt lgkmcnt(4)
	v_mul_f32_e32 v131, v109, v179
	v_mul_f32_e32 v132, v111, v180
	s_waitcnt lgkmcnt(3)
	v_mul_f32_e32 v133, v113, v181
	v_mul_f32_e32 v134, v115, v182
	s_waitcnt vmcnt(61) lgkmcnt(2)
	v_mul_f32_e32 v135, v117, v183
	s_waitcnt vmcnt(60)
	v_mul_f32_e32 v136, v119, v184
	s_waitcnt vmcnt(59) lgkmcnt(1)
	v_mul_f32_e32 v137, v121, v185
	s_waitcnt vmcnt(58)
	v_fmac_f32_e32 v129, v106, v186
	s_waitcnt vmcnt(57)
	v_fmac_f32_e32 v130, v108, v187
	v_add_f32_e32 v129, 0, v129
	s_waitcnt vmcnt(56)
	v_fmac_f32_e32 v131, v110, v188
	v_add_f32_e32 v129, v129, v130
	;; [unrolled: 3-line block ×8, first 2 shown]
	s_waitcnt vmcnt(49)
	v_mul_f32_e32 v130, v123, v195
	v_add_f32_e32 v129, v129, v137
	s_waitcnt vmcnt(48)
	v_fmac_f32_e32 v130, v124, v196
	v_add_f32_e32 v129, v129, v130
	s_waitcnt vmcnt(47) lgkmcnt(0)
	v_mul_f32_e32 v130, v125, v197
	s_waitcnt vmcnt(46)
	v_fmac_f32_e32 v130, v126, v198
	v_add_f32_e32 v129, v129, v130
	s_waitcnt vmcnt(42)
	v_mul_f32_e32 v130, v127, v202
	v_fmac_f32_e32 v130, v128, v201
	v_add_f32_e32 v137, v129, v130
	ds_read2_b64 v[129:132], v104 offset0:79 offset1:80
	buffer_load_dword v245, off, s[0:3], 0 offset:388
	buffer_load_dword v246, off, s[0:3], 0 offset:384
	;; [unrolled: 1-line block ×4, first 2 shown]
	ds_read2_b64 v[133:136], v104 offset0:81 offset1:82
	buffer_load_dword v249, off, s[0:3], 0 offset:400
	buffer_load_dword v250, off, s[0:3], 0 offset:404
	v_mul_f32_e32 v106, v106, v177
	v_fma_f32 v105, v105, v186, -v106
	v_mul_f32_e32 v106, v108, v178
	v_add_f32_e32 v105, 0, v105
	v_fma_f32 v106, v107, v187, -v106
	v_add_f32_e32 v105, v105, v106
	v_mul_f32_e32 v106, v110, v179
	v_fma_f32 v106, v109, v188, -v106
	v_add_f32_e32 v105, v105, v106
	v_mul_f32_e32 v106, v112, v180
	;; [unrolled: 3-line block ×3, first 2 shown]
	s_waitcnt vmcnt(46) lgkmcnt(1)
	v_mul_f32_e32 v138, v129, v204
	v_fma_f32 v106, v113, v190, -v106
	v_fmac_f32_e32 v138, v130, v203
	v_add_f32_e32 v105, v105, v106
	v_mul_f32_e32 v106, v116, v182
	v_add_f32_e32 v137, v137, v138
	s_waitcnt vmcnt(44)
	v_mul_f32_e32 v138, v131, v206
	v_fma_f32 v106, v115, v191, -v106
	v_fmac_f32_e32 v138, v132, v205
	v_add_f32_e32 v105, v105, v106
	v_mul_f32_e32 v106, v118, v183
	v_add_f32_e32 v137, v137, v138
	s_waitcnt vmcnt(42) lgkmcnt(0)
	v_mul_f32_e32 v138, v133, v208
	v_fma_f32 v106, v117, v192, -v106
	v_fmac_f32_e32 v138, v134, v207
	v_add_f32_e32 v105, v105, v106
	v_mul_f32_e32 v106, v120, v184
	v_add_f32_e32 v141, v137, v138
	ds_read2_b64 v[137:140], v104 offset0:83 offset1:84
	v_fma_f32 v106, v119, v193, -v106
	v_add_f32_e32 v105, v105, v106
	v_mul_f32_e32 v106, v122, v185
	s_waitcnt vmcnt(40)
	v_mul_f32_e32 v142, v135, v210
	v_fma_f32 v106, v121, v194, -v106
	v_fmac_f32_e32 v142, v136, v209
	v_add_f32_e32 v105, v105, v106
	v_mul_f32_e32 v106, v124, v195
	v_add_f32_e32 v145, v141, v142
	ds_read2_b64 v[141:144], v104 offset0:85 offset1:86
	v_fma_f32 v106, v123, v196, -v106
	s_waitcnt vmcnt(38) lgkmcnt(1)
	v_mul_f32_e32 v146, v137, v212
	v_add_f32_e32 v105, v105, v106
	v_mul_f32_e32 v106, v126, v197
	v_fmac_f32_e32 v146, v138, v211
	v_fma_f32 v106, v125, v198, -v106
	v_add_f32_e32 v145, v145, v146
	s_waitcnt vmcnt(36)
	v_mul_f32_e32 v146, v139, v214
	v_add_f32_e32 v105, v105, v106
	v_mul_f32_e32 v106, v128, v202
	v_fmac_f32_e32 v146, v140, v213
	v_fma_f32 v106, v127, v201, -v106
	v_add_f32_e32 v145, v145, v146
	s_waitcnt vmcnt(34) lgkmcnt(0)
	v_mul_f32_e32 v146, v141, v216
	v_add_f32_e32 v105, v105, v106
	v_mul_f32_e32 v106, v130, v204
	v_fmac_f32_e32 v146, v142, v215
	v_fma_f32 v106, v129, v203, -v106
	v_add_f32_e32 v149, v145, v146
	ds_read2_b64 v[145:148], v104 offset0:87 offset1:88
	v_add_f32_e32 v105, v105, v106
	v_mul_f32_e32 v106, v132, v206
	v_fma_f32 v106, v131, v205, -v106
	s_waitcnt vmcnt(32)
	v_mul_f32_e32 v150, v143, v218
	v_add_f32_e32 v105, v105, v106
	v_mul_f32_e32 v106, v134, v208
	v_fmac_f32_e32 v150, v144, v217
	v_fma_f32 v106, v133, v207, -v106
	v_add_f32_e32 v153, v149, v150
	ds_read2_b64 v[149:152], v104 offset0:89 offset1:90
	v_add_f32_e32 v105, v105, v106
	v_mul_f32_e32 v106, v136, v210
	s_waitcnt vmcnt(30) lgkmcnt(1)
	v_mul_f32_e32 v154, v145, v220
	v_fma_f32 v106, v135, v209, -v106
	v_fmac_f32_e32 v154, v146, v219
	v_add_f32_e32 v105, v105, v106
	v_mul_f32_e32 v106, v138, v212
	v_add_f32_e32 v153, v153, v154
	s_waitcnt vmcnt(28)
	v_mul_f32_e32 v154, v147, v222
	v_fma_f32 v106, v137, v211, -v106
	v_fmac_f32_e32 v154, v148, v221
	v_add_f32_e32 v105, v105, v106
	v_mul_f32_e32 v106, v140, v214
	v_add_f32_e32 v153, v153, v154
	s_waitcnt vmcnt(26) lgkmcnt(0)
	v_mul_f32_e32 v154, v149, v224
	v_fma_f32 v106, v139, v213, -v106
	v_fmac_f32_e32 v154, v150, v223
	v_add_f32_e32 v105, v105, v106
	v_mul_f32_e32 v106, v142, v216
	v_add_f32_e32 v157, v153, v154
	ds_read2_b64 v[153:156], v104 offset0:91 offset1:92
	v_fma_f32 v106, v141, v215, -v106
	v_add_f32_e32 v105, v105, v106
	v_mul_f32_e32 v106, v144, v218
	s_waitcnt vmcnt(24)
	v_mul_f32_e32 v158, v151, v226
	v_fma_f32 v106, v143, v217, -v106
	v_fmac_f32_e32 v158, v152, v225
	v_add_f32_e32 v105, v105, v106
	v_mul_f32_e32 v106, v146, v220
	v_add_f32_e32 v161, v157, v158
	ds_read2_b64 v[157:160], v104 offset0:93 offset1:94
	v_fma_f32 v106, v145, v219, -v106
	s_waitcnt vmcnt(22) lgkmcnt(1)
	v_mul_f32_e32 v162, v153, v228
	v_add_f32_e32 v105, v105, v106
	v_mul_f32_e32 v106, v148, v222
	v_fmac_f32_e32 v162, v154, v227
	v_fma_f32 v106, v147, v221, -v106
	v_add_f32_e32 v161, v161, v162
	s_waitcnt vmcnt(20)
	v_mul_f32_e32 v162, v155, v230
	v_add_f32_e32 v105, v105, v106
	v_mul_f32_e32 v106, v150, v224
	v_fmac_f32_e32 v162, v156, v229
	v_fma_f32 v106, v149, v223, -v106
	v_add_f32_e32 v161, v161, v162
	s_waitcnt vmcnt(18) lgkmcnt(0)
	v_mul_f32_e32 v162, v157, v232
	v_add_f32_e32 v105, v105, v106
	v_mul_f32_e32 v106, v152, v226
	v_fmac_f32_e32 v162, v158, v231
	v_fma_f32 v106, v151, v225, -v106
	v_add_f32_e32 v165, v161, v162
	ds_read2_b64 v[161:164], v104 offset0:95 offset1:96
	v_add_f32_e32 v105, v105, v106
	v_mul_f32_e32 v106, v154, v228
	v_fma_f32 v106, v153, v227, -v106
	s_waitcnt vmcnt(16)
	v_mul_f32_e32 v166, v159, v234
	v_add_f32_e32 v105, v105, v106
	v_mul_f32_e32 v106, v156, v230
	v_fmac_f32_e32 v166, v160, v233
	v_fma_f32 v106, v155, v229, -v106
	v_add_f32_e32 v169, v165, v166
	ds_read2_b64 v[165:168], v104 offset0:97 offset1:98
	v_add_f32_e32 v105, v105, v106
	v_mul_f32_e32 v106, v158, v232
	s_waitcnt vmcnt(14) lgkmcnt(1)
	v_mul_f32_e32 v170, v161, v236
	v_fma_f32 v106, v157, v231, -v106
	v_fmac_f32_e32 v170, v162, v235
	v_add_f32_e32 v105, v105, v106
	v_mul_f32_e32 v106, v160, v234
	v_add_f32_e32 v169, v169, v170
	s_waitcnt vmcnt(13)
	v_mul_f32_e32 v170, v163, v237
	v_fma_f32 v106, v159, v233, -v106
	s_waitcnt vmcnt(12)
	v_fmac_f32_e32 v170, v164, v238
	v_add_f32_e32 v105, v105, v106
	v_mul_f32_e32 v106, v162, v236
	v_add_f32_e32 v169, v169, v170
	s_waitcnt vmcnt(10) lgkmcnt(0)
	v_mul_f32_e32 v170, v165, v240
	v_fma_f32 v106, v161, v235, -v106
	v_fmac_f32_e32 v170, v166, v239
	v_add_f32_e32 v105, v105, v106
	v_mul_f32_e32 v106, v164, v237
	v_add_f32_e32 v173, v169, v170
	ds_read2_b64 v[169:172], v104 offset0:99 offset1:100
	v_fma_f32 v106, v163, v238, -v106
	v_add_f32_e32 v105, v105, v106
	v_mul_f32_e32 v106, v166, v240
	s_waitcnt vmcnt(8)
	v_mul_f32_e32 v174, v167, v242
	v_fma_f32 v106, v165, v239, -v106
	v_fmac_f32_e32 v174, v168, v241
	v_add_f32_e32 v105, v105, v106
	v_mul_f32_e32 v106, v168, v242
	v_add_f32_e32 v251, v173, v174
	ds_read2_b64 v[173:176], v104 offset0:101 offset1:102
	v_fma_f32 v106, v167, v241, -v106
	v_add_f32_e32 v105, v105, v106
	s_waitcnt vmcnt(6) lgkmcnt(1)
	v_mul_f32_e32 v106, v170, v244
	v_mul_f32_e32 v104, v169, v244
	v_fma_f32 v106, v169, v243, -v106
	v_fmac_f32_e32 v104, v170, v243
	v_add_f32_e32 v105, v105, v106
	s_waitcnt vmcnt(5)
	v_mul_f32_e32 v106, v172, v245
	v_add_f32_e32 v104, v251, v104
	v_mul_f32_e32 v251, v171, v245
	s_waitcnt vmcnt(4)
	v_fma_f32 v106, v171, v246, -v106
	v_fmac_f32_e32 v251, v172, v246
	v_add_f32_e32 v105, v105, v106
	s_waitcnt vmcnt(2) lgkmcnt(0)
	v_mul_f32_e32 v106, v174, v248
	v_add_f32_e32 v104, v104, v251
	v_mul_f32_e32 v251, v173, v248
	v_fma_f32 v106, v173, v247, -v106
	v_fmac_f32_e32 v251, v174, v247
	v_add_f32_e32 v105, v105, v106
	s_waitcnt vmcnt(0)
	v_mul_f32_e32 v106, v176, v250
	v_add_f32_e32 v104, v104, v251
	v_mul_f32_e32 v251, v175, v250
	v_fma_f32 v106, v175, v249, -v106
	v_fmac_f32_e32 v251, v176, v249
	v_add_f32_e32 v105, v105, v106
	v_add_f32_e32 v104, v104, v251
	v_sub_f32_e32 v105, v199, v105
	v_sub_f32_e32 v104, v200, v104
	buffer_store_dword v105, off, s[0:3], 0 offset:112
	buffer_store_dword v104, off, s[0:3], 0 offset:116
	s_and_saveexec_b64 s[4:5], vcc
	s_cbranch_execz .LBB114_293
; %bb.292:
	buffer_load_dword v104, off, s[0:3], 0 offset:104
	buffer_load_dword v105, off, s[0:3], 0 offset:108
	v_mov_b32_e32 v106, 0
	buffer_store_dword v106, off, s[0:3], 0 offset:104
	buffer_store_dword v106, off, s[0:3], 0 offset:108
	s_waitcnt vmcnt(2)
	ds_write_b64 v103, v[104:105]
.LBB114_293:
	s_or_b64 exec, exec, s[4:5]
	s_waitcnt lgkmcnt(0)
	; wave barrier
	buffer_load_dword v179, off, s[0:3], 0 offset:116
	buffer_load_dword v180, off, s[0:3], 0 offset:124
	;; [unrolled: 1-line block ×50, first 2 shown]
	v_mov_b32_e32 v104, 0
	ds_read_b128 v[105:108], v104 offset:528
	ds_read_b128 v[109:112], v104 offset:544
	;; [unrolled: 1-line block ×6, first 2 shown]
	buffer_load_dword v229, off, s[0:3], 0 offset:304
	buffer_load_dword v230, off, s[0:3], 0 offset:308
	;; [unrolled: 1-line block ×16, first 2 shown]
	v_cmp_lt_u32_e32 vcc, 12, v0
	s_waitcnt vmcnt(62) lgkmcnt(5)
	v_mul_f32_e32 v129, v105, v179
	v_mul_f32_e32 v130, v107, v180
	s_waitcnt lgkmcnt(4)
	v_mul_f32_e32 v131, v109, v181
	v_mul_f32_e32 v132, v111, v182
	s_waitcnt vmcnt(61) lgkmcnt(3)
	v_mul_f32_e32 v133, v113, v183
	s_waitcnt vmcnt(60)
	v_mul_f32_e32 v134, v115, v184
	s_waitcnt vmcnt(59) lgkmcnt(2)
	v_mul_f32_e32 v135, v117, v185
	s_waitcnt vmcnt(58)
	;; [unrolled: 4-line block ×3, first 2 shown]
	v_fmac_f32_e32 v131, v110, v188
	s_waitcnt vmcnt(55)
	v_fmac_f32_e32 v130, v108, v189
	s_waitcnt vmcnt(54)
	v_fmac_f32_e32 v129, v106, v190
	v_add_f32_e32 v129, 0, v129
	v_add_f32_e32 v129, v129, v130
	;; [unrolled: 1-line block ×3, first 2 shown]
	s_waitcnt vmcnt(50)
	v_fmac_f32_e32 v132, v112, v194
	v_fmac_f32_e32 v133, v114, v193
	v_add_f32_e32 v129, v129, v132
	v_fmac_f32_e32 v134, v116, v192
	v_add_f32_e32 v129, v129, v133
	;; [unrolled: 2-line block ×3, first 2 shown]
	s_waitcnt vmcnt(46)
	v_fmac_f32_e32 v136, v120, v198
	v_add_f32_e32 v129, v129, v135
	v_fmac_f32_e32 v137, v122, v197
	v_add_f32_e32 v129, v129, v136
	s_waitcnt vmcnt(45)
	v_mul_f32_e32 v130, v123, v199
	v_add_f32_e32 v129, v129, v137
	v_fmac_f32_e32 v130, v124, v196
	v_add_f32_e32 v129, v129, v130
	s_waitcnt vmcnt(44) lgkmcnt(0)
	v_mul_f32_e32 v130, v125, v200
	v_fmac_f32_e32 v130, v126, v195
	v_add_f32_e32 v133, v129, v130
	ds_read_b128 v[129:132], v104 offset:624
	buffer_load_dword v245, off, s[0:3], 0 offset:368
	buffer_load_dword v246, off, s[0:3], 0 offset:372
	;; [unrolled: 1-line block ×6, first 2 shown]
	s_waitcnt vmcnt(49)
	v_mul_f32_e32 v134, v127, v201
	s_waitcnt vmcnt(42)
	v_fmac_f32_e32 v134, v128, v208
	v_add_f32_e32 v137, v133, v134
	ds_read_b128 v[133:136], v104 offset:640
	buffer_load_dword v251, off, s[0:3], 0 offset:396
	buffer_load_dword v252, off, s[0:3], 0 offset:400
	;; [unrolled: 1-line block ×4, first 2 shown]
	s_waitcnt lgkmcnt(1)
	v_mul_f32_e32 v138, v129, v203
	v_fmac_f32_e32 v138, v130, v202
	v_add_f32_e32 v137, v137, v138
	v_mul_f32_e32 v138, v131, v205
	v_fmac_f32_e32 v138, v132, v204
	v_add_f32_e32 v137, v137, v138
	s_waitcnt lgkmcnt(0)
	v_mul_f32_e32 v138, v133, v207
	v_fmac_f32_e32 v138, v134, v206
	v_add_f32_e32 v141, v137, v138
	ds_read_b128 v[137:140], v104 offset:656
	s_waitcnt vmcnt(42)
	v_mul_f32_e32 v142, v135, v212
	v_fmac_f32_e32 v142, v136, v211
	v_add_f32_e32 v145, v141, v142
	ds_read_b128 v[141:144], v104 offset:672
	s_waitcnt vmcnt(40) lgkmcnt(1)
	v_mul_f32_e32 v146, v137, v214
	v_fmac_f32_e32 v146, v138, v213
	v_add_f32_e32 v145, v145, v146
	s_waitcnt vmcnt(38)
	v_mul_f32_e32 v146, v139, v216
	v_fmac_f32_e32 v146, v140, v215
	v_add_f32_e32 v145, v145, v146
	s_waitcnt vmcnt(36) lgkmcnt(0)
	v_mul_f32_e32 v146, v141, v218
	v_fmac_f32_e32 v146, v142, v217
	v_add_f32_e32 v149, v145, v146
	ds_read_b128 v[145:148], v104 offset:688
	s_waitcnt vmcnt(34)
	v_mul_f32_e32 v150, v143, v220
	v_fmac_f32_e32 v150, v144, v219
	v_add_f32_e32 v153, v149, v150
	ds_read_b128 v[149:152], v104 offset:704
	s_waitcnt vmcnt(32) lgkmcnt(1)
	v_mul_f32_e32 v154, v145, v222
	v_fmac_f32_e32 v154, v146, v221
	v_add_f32_e32 v153, v153, v154
	s_waitcnt vmcnt(30)
	v_mul_f32_e32 v154, v147, v224
	v_fmac_f32_e32 v154, v148, v223
	v_add_f32_e32 v153, v153, v154
	s_waitcnt vmcnt(28) lgkmcnt(0)
	v_mul_f32_e32 v154, v149, v226
	v_fmac_f32_e32 v154, v150, v225
	v_add_f32_e32 v157, v153, v154
	ds_read_b128 v[153:156], v104 offset:720
	s_waitcnt vmcnt(26)
	v_mul_f32_e32 v158, v151, v228
	v_fmac_f32_e32 v158, v152, v227
	v_add_f32_e32 v161, v157, v158
	ds_read_b128 v[157:160], v104 offset:736
	s_waitcnt vmcnt(24) lgkmcnt(1)
	v_mul_f32_e32 v162, v153, v230
	v_fmac_f32_e32 v162, v154, v229
	v_add_f32_e32 v161, v161, v162
	s_waitcnt vmcnt(23)
	v_mul_f32_e32 v162, v155, v231
	s_waitcnt vmcnt(20)
	v_fmac_f32_e32 v162, v156, v234
	v_add_f32_e32 v161, v161, v162
	s_waitcnt lgkmcnt(0)
	v_mul_f32_e32 v162, v157, v233
	v_fmac_f32_e32 v162, v158, v232
	v_add_f32_e32 v165, v161, v162
	ds_read_b128 v[161:164], v104 offset:752
	s_waitcnt vmcnt(18)
	v_mul_f32_e32 v166, v159, v236
	v_fmac_f32_e32 v166, v160, v235
	v_add_f32_e32 v169, v165, v166
	ds_read_b128 v[165:168], v104 offset:768
	s_waitcnt vmcnt(16) lgkmcnt(1)
	v_mul_f32_e32 v170, v161, v238
	v_fmac_f32_e32 v170, v162, v237
	v_add_f32_e32 v169, v169, v170
	s_waitcnt vmcnt(15)
	v_mul_f32_e32 v170, v163, v239
	s_waitcnt vmcnt(12)
	v_fmac_f32_e32 v170, v164, v242
	v_add_f32_e32 v169, v169, v170
	s_waitcnt lgkmcnt(0)
	v_mul_f32_e32 v170, v165, v241
	v_fmac_f32_e32 v170, v166, v240
	v_add_f32_e32 v173, v169, v170
	ds_read_b128 v[169:172], v104 offset:784
	s_waitcnt vmcnt(10)
	v_mul_f32_e32 v174, v167, v244
	v_fmac_f32_e32 v174, v168, v243
	v_add_f32_e32 v177, v173, v174
	ds_read_b128 v[173:176], v104 offset:800
	s_waitcnt vmcnt(8) lgkmcnt(1)
	v_mul_f32_e32 v178, v169, v246
	v_fmac_f32_e32 v178, v170, v245
	v_add_f32_e32 v177, v177, v178
	s_waitcnt vmcnt(7)
	v_mul_f32_e32 v178, v171, v247
	s_waitcnt vmcnt(4)
	v_fmac_f32_e32 v178, v172, v250
	v_add_f32_e32 v255, v177, v178
	ds_read_b64 v[177:178], v104 offset:816
	s_waitcnt lgkmcnt(1)
	v_mul_f32_e32 v3, v173, v249
	v_fmac_f32_e32 v3, v174, v248
	s_waitcnt vmcnt(3)
	v_mul_f32_e32 v4, v175, v251
	v_add_f32_e32 v3, v255, v3
	s_waitcnt vmcnt(0)
	v_fmac_f32_e32 v4, v176, v254
	v_add_f32_e32 v3, v3, v4
	s_waitcnt lgkmcnt(0)
	v_mul_f32_e32 v4, v177, v253
	v_fmac_f32_e32 v4, v178, v252
	v_add_f32_e32 v3, v3, v4
	v_mul_f32_e32 v4, v106, v179
	v_fma_f32 v4, v105, v190, -v4
	v_mul_f32_e32 v105, v108, v180
	v_add_f32_e32 v4, 0, v4
	v_fma_f32 v105, v107, v189, -v105
	v_add_f32_e32 v4, v4, v105
	v_mul_f32_e32 v105, v110, v181
	v_fma_f32 v105, v109, v188, -v105
	v_add_f32_e32 v4, v4, v105
	v_mul_f32_e32 v105, v112, v182
	;; [unrolled: 3-line block ×35, first 2 shown]
	v_fma_f32 v105, v177, v252, -v105
	v_add_f32_e32 v4, v4, v105
	v_sub_f32_e32 v4, v209, v4
	v_sub_f32_e32 v3, v210, v3
	buffer_store_dword v4, off, s[0:3], 0 offset:104
	buffer_store_dword v3, off, s[0:3], 0 offset:108
	s_and_saveexec_b64 s[4:5], vcc
	s_cbranch_execz .LBB114_295
; %bb.294:
	buffer_load_dword v105, off, s[0:3], 0 offset:96
	buffer_load_dword v106, off, s[0:3], 0 offset:100
	s_waitcnt vmcnt(0)
	ds_write_b64 v103, v[105:106]
	buffer_store_dword v104, off, s[0:3], 0 offset:96
	buffer_store_dword v104, off, s[0:3], 0 offset:100
.LBB114_295:
	s_or_b64 exec, exec, s[4:5]
	s_waitcnt lgkmcnt(0)
	; wave barrier
	buffer_load_dword v3, off, s[0:3], 0 offset:108
	buffer_load_dword v4, off, s[0:3], 0 offset:116
	;; [unrolled: 1-line block ×32, first 2 shown]
	ds_read2_b64 v[105:108], v104 offset0:65 offset1:66
	ds_read2_b64 v[109:112], v104 offset0:67 offset1:68
	;; [unrolled: 1-line block ×6, first 2 shown]
	buffer_load_dword v211, off, s[0:3], 0 offset:224
	buffer_load_dword v212, off, s[0:3], 0 offset:228
	;; [unrolled: 1-line block ×32, first 2 shown]
	v_cmp_lt_u32_e32 vcc, 11, v0
	s_waitcnt vmcnt(62) lgkmcnt(5)
	v_mul_f32_e32 v129, v105, v3
	v_mul_f32_e32 v130, v107, v4
	s_waitcnt vmcnt(61) lgkmcnt(4)
	v_mul_f32_e32 v131, v109, v181
	s_waitcnt vmcnt(60)
	v_mul_f32_e32 v132, v111, v182
	s_waitcnt vmcnt(59) lgkmcnt(3)
	v_mul_f32_e32 v133, v113, v183
	s_waitcnt vmcnt(58)
	;; [unrolled: 4-line block ×4, first 2 shown]
	v_mul_f32_e32 v138, v123, v188
	s_waitcnt vmcnt(53)
	v_fmac_f32_e32 v131, v110, v189
	s_waitcnt vmcnt(52)
	v_fmac_f32_e32 v130, v108, v190
	;; [unrolled: 2-line block ×3, first 2 shown]
	v_add_f32_e32 v129, 0, v129
	v_add_f32_e32 v129, v129, v130
	;; [unrolled: 1-line block ×3, first 2 shown]
	s_waitcnt vmcnt(47)
	v_fmac_f32_e32 v132, v112, v195
	v_fmac_f32_e32 v133, v114, v194
	v_add_f32_e32 v129, v129, v132
	v_fmac_f32_e32 v134, v116, v193
	v_add_f32_e32 v129, v129, v133
	;; [unrolled: 2-line block ×3, first 2 shown]
	s_waitcnt vmcnt(43)
	v_fmac_f32_e32 v136, v120, v199
	v_add_f32_e32 v129, v129, v135
	v_fmac_f32_e32 v137, v122, v198
	v_add_f32_e32 v129, v129, v136
	v_fmac_f32_e32 v138, v124, v197
	v_add_f32_e32 v129, v129, v137
	s_waitcnt vmcnt(42) lgkmcnt(0)
	v_mul_f32_e32 v130, v125, v200
	v_add_f32_e32 v129, v129, v138
	v_fmac_f32_e32 v130, v126, v196
	v_add_f32_e32 v133, v129, v130
	ds_read2_b64 v[129:132], v104 offset0:77 offset1:78
	buffer_load_dword v243, off, s[0:3], 0 offset:352
	buffer_load_dword v244, off, s[0:3], 0 offset:356
	s_waitcnt vmcnt(43)
	v_mul_f32_e32 v134, v127, v201
	s_waitcnt vmcnt(37)
	v_fmac_f32_e32 v134, v128, v207
	v_add_f32_e32 v137, v133, v134
	ds_read2_b64 v[133:136], v104 offset0:79 offset1:80
	buffer_load_dword v245, off, s[0:3], 0 offset:360
	buffer_load_dword v246, off, s[0:3], 0 offset:364
	;; [unrolled: 1-line block ×12, first 2 shown]
	v_mul_f32_e32 v3, v106, v3
	v_fma_f32 v3, v105, v191, -v3
	v_mul_f32_e32 v4, v108, v4
	v_add_f32_e32 v3, 0, v3
	v_fma_f32 v4, v107, v190, -v4
	v_add_f32_e32 v3, v3, v4
	v_mul_f32_e32 v4, v110, v181
	v_fma_f32 v4, v109, v189, -v4
	v_add_f32_e32 v3, v3, v4
	v_mul_f32_e32 v4, v112, v182
	v_fma_f32 v4, v111, v195, -v4
	s_waitcnt vmcnt(48) lgkmcnt(1)
	v_mul_f32_e32 v138, v129, v208
	v_add_f32_e32 v3, v3, v4
	v_mul_f32_e32 v4, v114, v183
	v_fmac_f32_e32 v138, v130, v206
	v_fma_f32 v4, v113, v194, -v4
	v_add_f32_e32 v137, v137, v138
	v_mul_f32_e32 v138, v131, v203
	v_add_f32_e32 v3, v3, v4
	v_mul_f32_e32 v4, v116, v184
	v_fmac_f32_e32 v138, v132, v202
	v_fma_f32 v4, v115, v193, -v4
	v_add_f32_e32 v6, v137, v138
	s_waitcnt lgkmcnt(0)
	v_mul_f32_e32 v137, v133, v205
	v_add_f32_e32 v3, v3, v4
	v_mul_f32_e32 v4, v118, v185
	v_fmac_f32_e32 v137, v134, v204
	v_fma_f32 v4, v117, v192, -v4
	v_add_f32_e32 v6, v6, v137
	ds_read2_b64 v[137:140], v104 offset0:81 offset1:82
	v_add_f32_e32 v3, v3, v4
	v_mul_f32_e32 v4, v120, v186
	v_fma_f32 v4, v119, v199, -v4
	s_waitcnt vmcnt(44)
	v_mul_f32_e32 v141, v135, v212
	v_add_f32_e32 v3, v3, v4
	v_mul_f32_e32 v4, v122, v187
	v_fmac_f32_e32 v141, v136, v211
	v_fma_f32 v4, v121, v198, -v4
	v_add_f32_e32 v6, v6, v141
	ds_read2_b64 v[141:144], v104 offset0:83 offset1:84
	v_add_f32_e32 v3, v3, v4
	v_mul_f32_e32 v4, v124, v188
	s_waitcnt vmcnt(42) lgkmcnt(1)
	v_mul_f32_e32 v145, v137, v214
	v_fma_f32 v4, v123, v197, -v4
	v_fmac_f32_e32 v145, v138, v213
	v_add_f32_e32 v3, v3, v4
	v_mul_f32_e32 v4, v126, v200
	v_add_f32_e32 v6, v6, v145
	s_waitcnt vmcnt(40)
	v_mul_f32_e32 v145, v139, v216
	v_fma_f32 v4, v125, v196, -v4
	v_fmac_f32_e32 v145, v140, v215
	v_add_f32_e32 v3, v3, v4
	v_mul_f32_e32 v4, v128, v201
	v_add_f32_e32 v6, v6, v145
	s_waitcnt vmcnt(38) lgkmcnt(0)
	v_mul_f32_e32 v145, v141, v218
	v_fma_f32 v4, v127, v207, -v4
	v_fmac_f32_e32 v145, v142, v217
	v_add_f32_e32 v3, v3, v4
	v_mul_f32_e32 v4, v130, v208
	v_add_f32_e32 v6, v6, v145
	ds_read2_b64 v[145:148], v104 offset0:85 offset1:86
	v_fma_f32 v4, v129, v206, -v4
	v_add_f32_e32 v3, v3, v4
	v_mul_f32_e32 v4, v132, v203
	s_waitcnt vmcnt(36)
	v_mul_f32_e32 v149, v143, v220
	v_fma_f32 v4, v131, v202, -v4
	v_fmac_f32_e32 v149, v144, v219
	v_add_f32_e32 v3, v3, v4
	v_mul_f32_e32 v4, v134, v205
	v_add_f32_e32 v6, v6, v149
	ds_read2_b64 v[149:152], v104 offset0:87 offset1:88
	v_fma_f32 v4, v133, v204, -v4
	s_waitcnt vmcnt(34) lgkmcnt(1)
	v_mul_f32_e32 v153, v145, v222
	v_add_f32_e32 v3, v3, v4
	v_mul_f32_e32 v4, v136, v212
	v_fmac_f32_e32 v153, v146, v221
	v_fma_f32 v4, v135, v211, -v4
	v_add_f32_e32 v6, v6, v153
	s_waitcnt vmcnt(32)
	v_mul_f32_e32 v153, v147, v224
	v_add_f32_e32 v3, v3, v4
	v_mul_f32_e32 v4, v138, v214
	v_fmac_f32_e32 v153, v148, v223
	v_fma_f32 v4, v137, v213, -v4
	v_add_f32_e32 v6, v6, v153
	s_waitcnt vmcnt(30) lgkmcnt(0)
	v_mul_f32_e32 v153, v149, v226
	v_add_f32_e32 v3, v3, v4
	v_mul_f32_e32 v4, v140, v216
	v_fmac_f32_e32 v153, v150, v225
	v_fma_f32 v4, v139, v215, -v4
	v_add_f32_e32 v6, v6, v153
	ds_read2_b64 v[153:156], v104 offset0:89 offset1:90
	v_add_f32_e32 v3, v3, v4
	v_mul_f32_e32 v4, v142, v218
	v_fma_f32 v4, v141, v217, -v4
	s_waitcnt vmcnt(28)
	v_mul_f32_e32 v157, v151, v228
	v_add_f32_e32 v3, v3, v4
	v_mul_f32_e32 v4, v144, v220
	v_fmac_f32_e32 v157, v152, v227
	v_fma_f32 v4, v143, v219, -v4
	v_add_f32_e32 v6, v6, v157
	ds_read2_b64 v[157:160], v104 offset0:91 offset1:92
	v_add_f32_e32 v3, v3, v4
	v_mul_f32_e32 v4, v146, v222
	s_waitcnt vmcnt(26) lgkmcnt(1)
	v_mul_f32_e32 v161, v153, v230
	v_fma_f32 v4, v145, v221, -v4
	v_fmac_f32_e32 v161, v154, v229
	v_add_f32_e32 v3, v3, v4
	v_mul_f32_e32 v4, v148, v224
	v_add_f32_e32 v6, v6, v161
	s_waitcnt vmcnt(25)
	v_mul_f32_e32 v161, v155, v231
	v_fma_f32 v4, v147, v223, -v4
	s_waitcnt vmcnt(22)
	v_fmac_f32_e32 v161, v156, v234
	v_add_f32_e32 v3, v3, v4
	v_mul_f32_e32 v4, v150, v226
	v_add_f32_e32 v6, v6, v161
	s_waitcnt lgkmcnt(0)
	v_mul_f32_e32 v161, v157, v233
	v_fma_f32 v4, v149, v225, -v4
	v_fmac_f32_e32 v161, v158, v232
	v_add_f32_e32 v3, v3, v4
	v_mul_f32_e32 v4, v152, v228
	v_add_f32_e32 v6, v6, v161
	ds_read2_b64 v[161:164], v104 offset0:93 offset1:94
	v_fma_f32 v4, v151, v227, -v4
	v_add_f32_e32 v3, v3, v4
	v_mul_f32_e32 v4, v154, v230
	s_waitcnt vmcnt(20)
	v_mul_f32_e32 v165, v159, v236
	v_fma_f32 v4, v153, v229, -v4
	v_fmac_f32_e32 v165, v160, v235
	v_add_f32_e32 v3, v3, v4
	v_mul_f32_e32 v4, v156, v231
	v_add_f32_e32 v6, v6, v165
	ds_read2_b64 v[165:168], v104 offset0:95 offset1:96
	v_fma_f32 v4, v155, v234, -v4
	s_waitcnt vmcnt(18) lgkmcnt(1)
	v_mul_f32_e32 v169, v161, v238
	v_add_f32_e32 v3, v3, v4
	v_mul_f32_e32 v4, v158, v233
	v_fmac_f32_e32 v169, v162, v237
	v_fma_f32 v4, v157, v232, -v4
	v_add_f32_e32 v6, v6, v169
	s_waitcnt vmcnt(17)
	v_mul_f32_e32 v169, v163, v239
	v_add_f32_e32 v3, v3, v4
	v_mul_f32_e32 v4, v160, v236
	s_waitcnt vmcnt(14)
	v_fmac_f32_e32 v169, v164, v242
	v_fma_f32 v4, v159, v235, -v4
	v_add_f32_e32 v6, v6, v169
	s_waitcnt lgkmcnt(0)
	v_mul_f32_e32 v169, v165, v241
	v_add_f32_e32 v3, v3, v4
	v_mul_f32_e32 v4, v162, v238
	v_fmac_f32_e32 v169, v166, v240
	v_fma_f32 v4, v161, v237, -v4
	v_add_f32_e32 v6, v6, v169
	ds_read2_b64 v[169:172], v104 offset0:97 offset1:98
	v_add_f32_e32 v3, v3, v4
	v_mul_f32_e32 v4, v164, v239
	v_fma_f32 v4, v163, v242, -v4
	v_add_f32_e32 v3, v3, v4
	v_mul_f32_e32 v4, v166, v241
	s_waitcnt vmcnt(12)
	v_mul_f32_e32 v173, v167, v244
	v_fma_f32 v4, v165, v240, -v4
	v_fmac_f32_e32 v173, v168, v243
	v_add_f32_e32 v3, v3, v4
	v_mul_f32_e32 v4, v168, v244
	v_add_f32_e32 v6, v6, v173
	ds_read2_b64 v[173:176], v104 offset0:99 offset1:100
	s_waitcnt vmcnt(10) lgkmcnt(1)
	v_mul_f32_e32 v177, v169, v246
	v_fma_f32 v4, v167, v243, -v4
	v_fmac_f32_e32 v177, v170, v245
	v_add_f32_e32 v3, v3, v4
	v_mul_f32_e32 v4, v170, v246
	v_add_f32_e32 v6, v6, v177
	s_waitcnt vmcnt(9)
	v_mul_f32_e32 v177, v171, v247
	v_fma_f32 v4, v169, v245, -v4
	s_waitcnt vmcnt(6)
	v_fmac_f32_e32 v177, v172, v250
	v_add_f32_e32 v3, v3, v4
	v_mul_f32_e32 v4, v172, v247
	v_add_f32_e32 v6, v6, v177
	ds_read2_b64 v[177:180], v104 offset0:101 offset1:102
	v_fma_f32 v4, v171, v250, -v4
	v_add_f32_e32 v3, v3, v4
	s_waitcnt lgkmcnt(1)
	v_mul_f32_e32 v4, v174, v249
	v_mul_f32_e32 v7, v173, v249
	v_fma_f32 v4, v173, v248, -v4
	v_fmac_f32_e32 v7, v174, v248
	v_add_f32_e32 v3, v3, v4
	s_waitcnt vmcnt(4)
	v_mul_f32_e32 v4, v176, v252
	v_add_f32_e32 v6, v6, v7
	v_mul_f32_e32 v7, v175, v252
	v_fma_f32 v4, v175, v251, -v4
	v_fmac_f32_e32 v7, v176, v251
	v_add_f32_e32 v3, v3, v4
	s_waitcnt vmcnt(3) lgkmcnt(0)
	v_mul_f32_e32 v4, v178, v253
	v_add_f32_e32 v6, v6, v7
	v_mul_f32_e32 v7, v177, v253
	s_waitcnt vmcnt(0)
	v_fma_f32 v4, v177, v5, -v4
	v_fmac_f32_e32 v7, v178, v5
	v_add_f32_e32 v3, v3, v4
	v_mul_f32_e32 v4, v180, v255
	v_add_f32_e32 v6, v6, v7
	v_mul_f32_e32 v7, v179, v255
	v_fma_f32 v4, v179, v254, -v4
	v_fmac_f32_e32 v7, v180, v254
	v_add_f32_e32 v3, v3, v4
	v_add_f32_e32 v6, v6, v7
	v_sub_f32_e32 v3, v209, v3
	v_sub_f32_e32 v4, v210, v6
	buffer_store_dword v3, off, s[0:3], 0 offset:96
	buffer_store_dword v4, off, s[0:3], 0 offset:100
	s_and_saveexec_b64 s[4:5], vcc
	s_cbranch_execz .LBB114_297
; %bb.296:
	buffer_load_dword v104, off, s[0:3], 0 offset:88
	buffer_load_dword v105, off, s[0:3], 0 offset:92
	v_mov_b32_e32 v3, 0
	buffer_store_dword v3, off, s[0:3], 0 offset:88
	buffer_store_dword v3, off, s[0:3], 0 offset:92
	s_waitcnt vmcnt(2)
	ds_write_b64 v103, v[104:105]
.LBB114_297:
	s_or_b64 exec, exec, s[4:5]
	s_waitcnt lgkmcnt(0)
	; wave barrier
	buffer_load_dword v3, off, s[0:3], 0 offset:100
	buffer_load_dword v4, off, s[0:3], 0 offset:108
	;; [unrolled: 1-line block ×50, first 2 shown]
	v_mov_b32_e32 v104, 0
	ds_read_b128 v[105:108], v104 offset:512
	ds_read_b128 v[109:112], v104 offset:528
	;; [unrolled: 1-line block ×6, first 2 shown]
	buffer_load_dword v227, off, s[0:3], 0 offset:288
	buffer_load_dword v228, off, s[0:3], 0 offset:292
	;; [unrolled: 1-line block ×8, first 2 shown]
	v_cmp_lt_u32_e32 vcc, 10, v0
	s_waitcnt vmcnt(57) lgkmcnt(5)
	v_mul_f32_e32 v129, v105, v3
	s_waitcnt vmcnt(56)
	v_mul_f32_e32 v130, v107, v4
	s_waitcnt vmcnt(55) lgkmcnt(4)
	v_mul_f32_e32 v131, v109, v5
	s_waitcnt vmcnt(54)
	v_mul_f32_e32 v132, v111, v6
	;; [unrolled: 4-line block ×5, first 2 shown]
	s_waitcnt vmcnt(47) lgkmcnt(0)
	v_mul_f32_e32 v139, v125, v187
	s_waitcnt vmcnt(46)
	v_fmac_f32_e32 v131, v110, v188
	s_waitcnt vmcnt(45)
	v_fmac_f32_e32 v130, v108, v189
	;; [unrolled: 2-line block ×3, first 2 shown]
	v_add_f32_e32 v129, 0, v129
	v_add_f32_e32 v129, v129, v130
	;; [unrolled: 1-line block ×3, first 2 shown]
	s_waitcnt vmcnt(40)
	v_fmac_f32_e32 v132, v112, v194
	v_fmac_f32_e32 v133, v114, v193
	v_add_f32_e32 v129, v129, v132
	v_fmac_f32_e32 v134, v116, v192
	v_add_f32_e32 v129, v129, v133
	;; [unrolled: 2-line block ×3, first 2 shown]
	s_waitcnt vmcnt(36)
	v_fmac_f32_e32 v136, v120, v198
	v_add_f32_e32 v129, v129, v135
	v_fmac_f32_e32 v137, v122, v197
	v_add_f32_e32 v129, v129, v136
	;; [unrolled: 2-line block ×3, first 2 shown]
	v_add_f32_e32 v129, v129, v138
	v_fmac_f32_e32 v139, v126, v195
	v_add_f32_e32 v133, v129, v139
	ds_read_b128 v[129:132], v104 offset:608
	buffer_load_dword v235, off, s[0:3], 0 offset:320
	buffer_load_dword v236, off, s[0:3], 0 offset:324
	;; [unrolled: 1-line block ×6, first 2 shown]
	s_waitcnt vmcnt(41)
	v_mul_f32_e32 v134, v127, v199
	s_waitcnt vmcnt(34)
	v_fmac_f32_e32 v134, v128, v206
	v_add_f32_e32 v137, v133, v134
	ds_read_b128 v[133:136], v104 offset:624
	buffer_load_dword v241, off, s[0:3], 0 offset:344
	buffer_load_dword v242, off, s[0:3], 0 offset:348
	;; [unrolled: 1-line block ×16, first 2 shown]
	v_mul_f32_e32 v3, v106, v3
	v_fma_f32 v3, v105, v190, -v3
	v_mul_f32_e32 v4, v108, v4
	v_add_f32_e32 v3, 0, v3
	v_fma_f32 v4, v107, v189, -v4
	v_add_f32_e32 v3, v3, v4
	v_mul_f32_e32 v4, v110, v5
	v_fma_f32 v4, v109, v188, -v4
	s_waitcnt lgkmcnt(1)
	v_mul_f32_e32 v138, v129, v201
	v_add_f32_e32 v3, v3, v4
	v_mul_f32_e32 v4, v112, v6
	v_fmac_f32_e32 v138, v130, v200
	v_fma_f32 v4, v111, v194, -v4
	v_add_f32_e32 v137, v137, v138
	v_mul_f32_e32 v138, v131, v203
	v_add_f32_e32 v3, v3, v4
	v_mul_f32_e32 v4, v114, v7
	v_fmac_f32_e32 v138, v132, v202
	v_fma_f32 v4, v113, v193, -v4
	v_add_f32_e32 v137, v137, v138
	s_waitcnt lgkmcnt(0)
	v_mul_f32_e32 v138, v133, v205
	v_add_f32_e32 v3, v3, v4
	v_mul_f32_e32 v4, v116, v8
	v_fmac_f32_e32 v138, v134, v204
	v_fma_f32 v4, v115, v192, -v4
	v_add_f32_e32 v141, v137, v138
	ds_read_b128 v[137:140], v104 offset:640
	v_add_f32_e32 v3, v3, v4
	v_mul_f32_e32 v4, v118, v183
	v_fma_f32 v4, v117, v191, -v4
	s_waitcnt vmcnt(46)
	v_mul_f32_e32 v10, v135, v210
	v_add_f32_e32 v3, v3, v4
	v_mul_f32_e32 v4, v120, v184
	v_fmac_f32_e32 v10, v136, v209
	v_fma_f32 v4, v119, v198, -v4
	v_add_f32_e32 v10, v141, v10
	ds_read_b128 v[141:144], v104 offset:656
	v_add_f32_e32 v3, v3, v4
	v_mul_f32_e32 v4, v122, v185
	s_waitcnt vmcnt(44) lgkmcnt(1)
	v_mul_f32_e32 v145, v137, v212
	v_fma_f32 v4, v121, v197, -v4
	v_fmac_f32_e32 v145, v138, v211
	v_add_f32_e32 v3, v3, v4
	v_mul_f32_e32 v4, v124, v186
	v_add_f32_e32 v10, v10, v145
	s_waitcnt vmcnt(42)
	v_mul_f32_e32 v145, v139, v214
	v_fma_f32 v4, v123, v196, -v4
	v_fmac_f32_e32 v145, v140, v213
	v_add_f32_e32 v3, v3, v4
	v_mul_f32_e32 v4, v126, v187
	v_add_f32_e32 v10, v10, v145
	s_waitcnt vmcnt(40) lgkmcnt(0)
	v_mul_f32_e32 v145, v141, v216
	v_fma_f32 v4, v125, v195, -v4
	v_fmac_f32_e32 v145, v142, v215
	v_add_f32_e32 v3, v3, v4
	v_mul_f32_e32 v4, v128, v199
	v_add_f32_e32 v10, v10, v145
	ds_read_b128 v[145:148], v104 offset:672
	v_fma_f32 v4, v127, v206, -v4
	v_add_f32_e32 v3, v3, v4
	v_mul_f32_e32 v4, v130, v201
	s_waitcnt vmcnt(38)
	v_mul_f32_e32 v149, v143, v218
	v_fma_f32 v4, v129, v200, -v4
	v_fmac_f32_e32 v149, v144, v217
	v_add_f32_e32 v3, v3, v4
	v_mul_f32_e32 v4, v132, v203
	v_add_f32_e32 v10, v10, v149
	ds_read_b128 v[149:152], v104 offset:688
	v_fma_f32 v4, v131, v202, -v4
	s_waitcnt vmcnt(36) lgkmcnt(1)
	v_mul_f32_e32 v153, v145, v220
	v_add_f32_e32 v3, v3, v4
	v_mul_f32_e32 v4, v134, v205
	v_fmac_f32_e32 v153, v146, v219
	v_fma_f32 v4, v133, v204, -v4
	v_add_f32_e32 v10, v10, v153
	s_waitcnt vmcnt(34)
	v_mul_f32_e32 v153, v147, v222
	v_add_f32_e32 v3, v3, v4
	v_mul_f32_e32 v4, v136, v210
	v_fmac_f32_e32 v153, v148, v221
	v_fma_f32 v4, v135, v209, -v4
	v_add_f32_e32 v10, v10, v153
	s_waitcnt vmcnt(32) lgkmcnt(0)
	v_mul_f32_e32 v153, v149, v224
	v_add_f32_e32 v3, v3, v4
	v_mul_f32_e32 v4, v138, v212
	v_fmac_f32_e32 v153, v150, v223
	v_fma_f32 v4, v137, v211, -v4
	v_add_f32_e32 v10, v10, v153
	ds_read_b128 v[153:156], v104 offset:704
	v_add_f32_e32 v3, v3, v4
	v_mul_f32_e32 v4, v140, v214
	v_fma_f32 v4, v139, v213, -v4
	s_waitcnt vmcnt(30)
	v_mul_f32_e32 v157, v151, v226
	v_add_f32_e32 v3, v3, v4
	v_mul_f32_e32 v4, v142, v216
	v_fmac_f32_e32 v157, v152, v225
	v_fma_f32 v4, v141, v215, -v4
	v_add_f32_e32 v10, v10, v157
	ds_read_b128 v[157:160], v104 offset:720
	v_add_f32_e32 v3, v3, v4
	v_mul_f32_e32 v4, v144, v218
	s_waitcnt vmcnt(28) lgkmcnt(1)
	v_mul_f32_e32 v161, v153, v228
	v_fma_f32 v4, v143, v217, -v4
	v_fmac_f32_e32 v161, v154, v227
	v_add_f32_e32 v3, v3, v4
	v_mul_f32_e32 v4, v146, v220
	v_add_f32_e32 v10, v10, v161
	s_waitcnt vmcnt(27)
	v_mul_f32_e32 v161, v155, v229
	v_fma_f32 v4, v145, v219, -v4
	s_waitcnt vmcnt(24)
	v_fmac_f32_e32 v161, v156, v232
	v_add_f32_e32 v3, v3, v4
	v_mul_f32_e32 v4, v148, v222
	v_add_f32_e32 v10, v10, v161
	s_waitcnt lgkmcnt(0)
	v_mul_f32_e32 v161, v157, v231
	v_fma_f32 v4, v147, v221, -v4
	v_fmac_f32_e32 v161, v158, v230
	v_add_f32_e32 v3, v3, v4
	v_mul_f32_e32 v4, v150, v224
	v_add_f32_e32 v10, v10, v161
	ds_read_b128 v[161:164], v104 offset:736
	v_fma_f32 v4, v149, v223, -v4
	v_add_f32_e32 v3, v3, v4
	v_mul_f32_e32 v4, v152, v226
	s_waitcnt vmcnt(22)
	v_mul_f32_e32 v165, v159, v234
	v_fma_f32 v4, v151, v225, -v4
	v_fmac_f32_e32 v165, v160, v233
	v_add_f32_e32 v3, v3, v4
	v_mul_f32_e32 v4, v154, v228
	v_add_f32_e32 v10, v10, v165
	ds_read_b128 v[165:168], v104 offset:752
	v_fma_f32 v4, v153, v227, -v4
	s_waitcnt vmcnt(20) lgkmcnt(1)
	v_mul_f32_e32 v169, v161, v236
	v_add_f32_e32 v3, v3, v4
	v_mul_f32_e32 v4, v156, v229
	v_fmac_f32_e32 v169, v162, v235
	v_fma_f32 v4, v155, v232, -v4
	v_add_f32_e32 v10, v10, v169
	s_waitcnt vmcnt(19)
	v_mul_f32_e32 v169, v163, v237
	v_add_f32_e32 v3, v3, v4
	v_mul_f32_e32 v4, v158, v231
	s_waitcnt vmcnt(16)
	v_fmac_f32_e32 v169, v164, v240
	v_fma_f32 v4, v157, v230, -v4
	v_add_f32_e32 v10, v10, v169
	s_waitcnt lgkmcnt(0)
	v_mul_f32_e32 v169, v165, v239
	v_add_f32_e32 v3, v3, v4
	v_mul_f32_e32 v4, v160, v234
	v_fmac_f32_e32 v169, v166, v238
	v_fma_f32 v4, v159, v233, -v4
	v_add_f32_e32 v10, v10, v169
	ds_read_b128 v[169:172], v104 offset:768
	v_add_f32_e32 v3, v3, v4
	v_mul_f32_e32 v4, v162, v236
	v_fma_f32 v4, v161, v235, -v4
	s_waitcnt vmcnt(14)
	v_mul_f32_e32 v173, v167, v242
	v_add_f32_e32 v3, v3, v4
	v_mul_f32_e32 v4, v164, v237
	v_fmac_f32_e32 v173, v168, v241
	v_fma_f32 v4, v163, v240, -v4
	v_add_f32_e32 v10, v10, v173
	ds_read_b128 v[173:176], v104 offset:784
	v_add_f32_e32 v3, v3, v4
	v_mul_f32_e32 v4, v166, v239
	s_waitcnt vmcnt(12) lgkmcnt(1)
	v_mul_f32_e32 v177, v169, v244
	v_fma_f32 v4, v165, v238, -v4
	v_fmac_f32_e32 v177, v170, v243
	v_add_f32_e32 v3, v3, v4
	v_mul_f32_e32 v4, v168, v242
	v_add_f32_e32 v10, v10, v177
	s_waitcnt vmcnt(11)
	v_mul_f32_e32 v177, v171, v245
	v_fma_f32 v4, v167, v241, -v4
	s_waitcnt vmcnt(8)
	v_fmac_f32_e32 v177, v172, v248
	v_add_f32_e32 v3, v3, v4
	v_mul_f32_e32 v4, v170, v244
	v_add_f32_e32 v10, v10, v177
	s_waitcnt lgkmcnt(0)
	v_mul_f32_e32 v177, v173, v247
	v_fma_f32 v4, v169, v243, -v4
	v_fmac_f32_e32 v177, v174, v246
	v_add_f32_e32 v3, v3, v4
	v_mul_f32_e32 v4, v172, v245
	v_add_f32_e32 v10, v10, v177
	ds_read_b128 v[177:180], v104 offset:800
	v_fma_f32 v4, v171, v248, -v4
	v_add_f32_e32 v3, v3, v4
	v_mul_f32_e32 v4, v174, v247
	s_waitcnt vmcnt(6)
	v_mul_f32_e32 v181, v175, v250
	v_fma_f32 v4, v173, v246, -v4
	v_fmac_f32_e32 v181, v176, v249
	v_add_f32_e32 v3, v3, v4
	v_mul_f32_e32 v4, v176, v250
	v_add_f32_e32 v10, v10, v181
	ds_read_b64 v[181:182], v104 offset:816
	v_fma_f32 v4, v175, v249, -v4
	v_add_f32_e32 v3, v3, v4
	s_waitcnt vmcnt(4) lgkmcnt(1)
	v_mul_f32_e32 v4, v178, v252
	v_mul_f32_e32 v11, v177, v252
	v_fma_f32 v4, v177, v251, -v4
	v_fmac_f32_e32 v11, v178, v251
	v_add_f32_e32 v3, v3, v4
	s_waitcnt vmcnt(3)
	v_mul_f32_e32 v4, v180, v253
	v_add_f32_e32 v10, v10, v11
	v_mul_f32_e32 v11, v179, v253
	s_waitcnt vmcnt(0)
	v_fma_f32 v4, v179, v9, -v4
	v_fmac_f32_e32 v11, v180, v9
	v_add_f32_e32 v3, v3, v4
	s_waitcnt lgkmcnt(0)
	v_mul_f32_e32 v4, v182, v255
	v_add_f32_e32 v10, v10, v11
	v_mul_f32_e32 v11, v181, v255
	v_fma_f32 v4, v181, v254, -v4
	v_fmac_f32_e32 v11, v182, v254
	v_add_f32_e32 v3, v3, v4
	v_add_f32_e32 v10, v10, v11
	v_sub_f32_e32 v3, v207, v3
	v_sub_f32_e32 v4, v208, v10
	buffer_store_dword v3, off, s[0:3], 0 offset:88
	buffer_store_dword v4, off, s[0:3], 0 offset:92
	s_and_saveexec_b64 s[4:5], vcc
	s_cbranch_execz .LBB114_299
; %bb.298:
	buffer_load_dword v105, off, s[0:3], 0 offset:80
	buffer_load_dword v106, off, s[0:3], 0 offset:84
	s_waitcnt vmcnt(0)
	ds_write_b64 v103, v[105:106]
	buffer_store_dword v104, off, s[0:3], 0 offset:80
	buffer_store_dword v104, off, s[0:3], 0 offset:84
.LBB114_299:
	s_or_b64 exec, exec, s[4:5]
	s_waitcnt lgkmcnt(0)
	; wave barrier
	buffer_load_dword v3, off, s[0:3], 0 offset:92
	buffer_load_dword v4, off, s[0:3], 0 offset:100
	;; [unrolled: 1-line block ×32, first 2 shown]
	ds_read2_b64 v[105:108], v104 offset0:63 offset1:64
	ds_read2_b64 v[109:112], v104 offset0:65 offset1:66
	;; [unrolled: 1-line block ×6, first 2 shown]
	buffer_load_dword v207, off, s[0:3], 0 offset:208
	buffer_load_dword v208, off, s[0:3], 0 offset:212
	;; [unrolled: 1-line block ×26, first 2 shown]
	v_cmp_lt_u32_e32 vcc, 9, v0
	s_waitcnt vmcnt(57) lgkmcnt(5)
	v_mul_f32_e32 v129, v105, v3
	s_waitcnt vmcnt(56)
	v_mul_f32_e32 v130, v107, v4
	s_waitcnt vmcnt(55) lgkmcnt(4)
	v_mul_f32_e32 v131, v109, v5
	s_waitcnt vmcnt(54)
	v_mul_f32_e32 v132, v111, v6
	;; [unrolled: 4-line block ×5, first 2 shown]
	s_waitcnt vmcnt(47) lgkmcnt(0)
	v_mul_f32_e32 v139, v125, v185
	s_waitcnt vmcnt(46)
	v_fmac_f32_e32 v131, v110, v186
	s_waitcnt vmcnt(45)
	v_fmac_f32_e32 v130, v108, v187
	;; [unrolled: 2-line block ×3, first 2 shown]
	v_add_f32_e32 v129, 0, v129
	v_add_f32_e32 v129, v129, v130
	;; [unrolled: 1-line block ×3, first 2 shown]
	s_waitcnt vmcnt(40)
	v_fmac_f32_e32 v132, v112, v192
	v_fmac_f32_e32 v133, v114, v191
	v_add_f32_e32 v129, v129, v132
	v_fmac_f32_e32 v134, v116, v190
	v_add_f32_e32 v129, v129, v133
	;; [unrolled: 2-line block ×3, first 2 shown]
	s_waitcnt vmcnt(36)
	v_fmac_f32_e32 v136, v120, v196
	v_add_f32_e32 v129, v129, v135
	v_fmac_f32_e32 v137, v122, v195
	v_add_f32_e32 v129, v129, v136
	;; [unrolled: 2-line block ×4, first 2 shown]
	v_add_f32_e32 v133, v129, v139
	ds_read2_b64 v[129:132], v104 offset0:75 offset1:76
	buffer_load_dword v233, off, s[0:3], 0 offset:312
	buffer_load_dword v234, off, s[0:3], 0 offset:316
	;; [unrolled: 1-line block ×6, first 2 shown]
	s_waitcnt vmcnt(41)
	v_mul_f32_e32 v134, v127, v197
	s_waitcnt vmcnt(35)
	v_fmac_f32_e32 v134, v128, v203
	v_add_f32_e32 v137, v133, v134
	ds_read2_b64 v[133:136], v104 offset0:77 offset1:78
	buffer_load_dword v239, off, s[0:3], 0 offset:336
	buffer_load_dword v240, off, s[0:3], 0 offset:340
	;; [unrolled: 1-line block ×10, first 2 shown]
	s_waitcnt vmcnt(44) lgkmcnt(1)
	v_mul_f32_e32 v138, v129, v204
	v_fmac_f32_e32 v138, v130, v202
	v_add_f32_e32 v137, v137, v138
	v_mul_f32_e32 v138, v131, v199
	v_fmac_f32_e32 v138, v132, v198
	v_add_f32_e32 v137, v137, v138
	s_waitcnt lgkmcnt(0)
	v_mul_f32_e32 v138, v133, v201
	buffer_load_dword v249, off, s[0:3], 0 offset:376
	buffer_load_dword v250, off, s[0:3], 0 offset:380
	;; [unrolled: 1-line block ×6, first 2 shown]
	v_fmac_f32_e32 v138, v134, v200
	s_waitcnt vmcnt(46)
	v_mul_f32_e32 v142, v135, v208
	v_add_f32_e32 v141, v137, v138
	v_fmac_f32_e32 v142, v136, v207
	ds_read2_b64 v[137:140], v104 offset0:79 offset1:80
	v_add_f32_e32 v145, v141, v142
	ds_read2_b64 v[141:144], v104 offset0:81 offset1:82
	buffer_load_dword v255, off, s[0:3], 0 offset:400
	buffer_load_dword v13, off, s[0:3], 0 offset:404
	v_mul_f32_e32 v3, v106, v3
	v_fma_f32 v3, v105, v188, -v3
	v_mul_f32_e32 v4, v108, v4
	v_add_f32_e32 v3, 0, v3
	v_fma_f32 v4, v107, v187, -v4
	v_add_f32_e32 v3, v3, v4
	v_mul_f32_e32 v4, v110, v5
	v_fma_f32 v4, v109, v186, -v4
	v_add_f32_e32 v3, v3, v4
	v_mul_f32_e32 v4, v112, v6
	;; [unrolled: 3-line block ×7, first 2 shown]
	s_waitcnt vmcnt(46) lgkmcnt(1)
	v_mul_f32_e32 v14, v137, v210
	v_fma_f32 v4, v121, v195, -v4
	v_fmac_f32_e32 v14, v138, v209
	v_add_f32_e32 v3, v3, v4
	v_mul_f32_e32 v4, v124, v12
	v_add_f32_e32 v14, v145, v14
	s_waitcnt vmcnt(44)
	v_mul_f32_e32 v145, v139, v212
	v_fma_f32 v4, v123, v194, -v4
	v_fmac_f32_e32 v145, v140, v211
	v_add_f32_e32 v3, v3, v4
	v_mul_f32_e32 v4, v126, v185
	v_add_f32_e32 v14, v14, v145
	s_waitcnt vmcnt(42) lgkmcnt(0)
	v_mul_f32_e32 v145, v141, v214
	v_fma_f32 v4, v125, v193, -v4
	v_fmac_f32_e32 v145, v142, v213
	v_add_f32_e32 v3, v3, v4
	v_mul_f32_e32 v4, v128, v197
	v_add_f32_e32 v14, v14, v145
	ds_read2_b64 v[145:148], v104 offset0:83 offset1:84
	v_fma_f32 v4, v127, v203, -v4
	v_add_f32_e32 v3, v3, v4
	v_mul_f32_e32 v4, v130, v204
	s_waitcnt vmcnt(40)
	v_mul_f32_e32 v149, v143, v216
	v_fma_f32 v4, v129, v202, -v4
	v_fmac_f32_e32 v149, v144, v215
	v_add_f32_e32 v3, v3, v4
	v_mul_f32_e32 v4, v132, v199
	v_add_f32_e32 v14, v14, v149
	ds_read2_b64 v[149:152], v104 offset0:85 offset1:86
	v_fma_f32 v4, v131, v198, -v4
	s_waitcnt vmcnt(38) lgkmcnt(1)
	v_mul_f32_e32 v153, v145, v218
	v_add_f32_e32 v3, v3, v4
	v_mul_f32_e32 v4, v134, v201
	v_fmac_f32_e32 v153, v146, v217
	v_fma_f32 v4, v133, v200, -v4
	v_add_f32_e32 v14, v14, v153
	s_waitcnt vmcnt(36)
	v_mul_f32_e32 v153, v147, v220
	v_add_f32_e32 v3, v3, v4
	v_mul_f32_e32 v4, v136, v208
	v_fmac_f32_e32 v153, v148, v219
	v_fma_f32 v4, v135, v207, -v4
	v_add_f32_e32 v14, v14, v153
	s_waitcnt vmcnt(34) lgkmcnt(0)
	v_mul_f32_e32 v153, v149, v222
	v_add_f32_e32 v3, v3, v4
	v_mul_f32_e32 v4, v138, v210
	v_fmac_f32_e32 v153, v150, v221
	v_fma_f32 v4, v137, v209, -v4
	v_add_f32_e32 v14, v14, v153
	ds_read2_b64 v[153:156], v104 offset0:87 offset1:88
	v_add_f32_e32 v3, v3, v4
	v_mul_f32_e32 v4, v140, v212
	v_fma_f32 v4, v139, v211, -v4
	s_waitcnt vmcnt(32)
	v_mul_f32_e32 v157, v151, v224
	v_add_f32_e32 v3, v3, v4
	v_mul_f32_e32 v4, v142, v214
	v_fmac_f32_e32 v157, v152, v223
	v_fma_f32 v4, v141, v213, -v4
	v_add_f32_e32 v14, v14, v157
	ds_read2_b64 v[157:160], v104 offset0:89 offset1:90
	v_add_f32_e32 v3, v3, v4
	v_mul_f32_e32 v4, v144, v216
	s_waitcnt vmcnt(30) lgkmcnt(1)
	v_mul_f32_e32 v161, v153, v226
	v_fma_f32 v4, v143, v215, -v4
	v_fmac_f32_e32 v161, v154, v225
	v_add_f32_e32 v3, v3, v4
	v_mul_f32_e32 v4, v146, v218
	v_add_f32_e32 v14, v14, v161
	s_waitcnt vmcnt(29)
	v_mul_f32_e32 v161, v155, v227
	v_fma_f32 v4, v145, v217, -v4
	s_waitcnt vmcnt(26)
	v_fmac_f32_e32 v161, v156, v230
	v_add_f32_e32 v3, v3, v4
	v_mul_f32_e32 v4, v148, v220
	v_add_f32_e32 v14, v14, v161
	s_waitcnt lgkmcnt(0)
	v_mul_f32_e32 v161, v157, v229
	v_fma_f32 v4, v147, v219, -v4
	v_fmac_f32_e32 v161, v158, v228
	v_add_f32_e32 v3, v3, v4
	v_mul_f32_e32 v4, v150, v222
	v_add_f32_e32 v14, v14, v161
	ds_read2_b64 v[161:164], v104 offset0:91 offset1:92
	v_fma_f32 v4, v149, v221, -v4
	v_add_f32_e32 v3, v3, v4
	v_mul_f32_e32 v4, v152, v224
	s_waitcnt vmcnt(24)
	v_mul_f32_e32 v165, v159, v232
	v_fma_f32 v4, v151, v223, -v4
	v_fmac_f32_e32 v165, v160, v231
	v_add_f32_e32 v3, v3, v4
	v_mul_f32_e32 v4, v154, v226
	v_add_f32_e32 v14, v14, v165
	ds_read2_b64 v[165:168], v104 offset0:93 offset1:94
	v_fma_f32 v4, v153, v225, -v4
	s_waitcnt vmcnt(22) lgkmcnt(1)
	v_mul_f32_e32 v169, v161, v234
	v_add_f32_e32 v3, v3, v4
	v_mul_f32_e32 v4, v156, v227
	v_fmac_f32_e32 v169, v162, v233
	v_fma_f32 v4, v155, v230, -v4
	v_add_f32_e32 v14, v14, v169
	s_waitcnt vmcnt(21)
	v_mul_f32_e32 v169, v163, v235
	v_add_f32_e32 v3, v3, v4
	v_mul_f32_e32 v4, v158, v229
	s_waitcnt vmcnt(18)
	v_fmac_f32_e32 v169, v164, v238
	v_fma_f32 v4, v157, v228, -v4
	v_add_f32_e32 v14, v14, v169
	s_waitcnt lgkmcnt(0)
	v_mul_f32_e32 v169, v165, v237
	v_add_f32_e32 v3, v3, v4
	v_mul_f32_e32 v4, v160, v232
	v_fmac_f32_e32 v169, v166, v236
	v_fma_f32 v4, v159, v231, -v4
	v_add_f32_e32 v14, v14, v169
	ds_read2_b64 v[169:172], v104 offset0:95 offset1:96
	v_add_f32_e32 v3, v3, v4
	v_mul_f32_e32 v4, v162, v234
	v_fma_f32 v4, v161, v233, -v4
	s_waitcnt vmcnt(16)
	v_mul_f32_e32 v173, v167, v240
	v_add_f32_e32 v3, v3, v4
	v_mul_f32_e32 v4, v164, v235
	v_fmac_f32_e32 v173, v168, v239
	v_fma_f32 v4, v163, v238, -v4
	v_add_f32_e32 v14, v14, v173
	ds_read2_b64 v[173:176], v104 offset0:97 offset1:98
	v_add_f32_e32 v3, v3, v4
	v_mul_f32_e32 v4, v166, v237
	s_waitcnt vmcnt(14) lgkmcnt(1)
	v_mul_f32_e32 v177, v169, v242
	v_fma_f32 v4, v165, v236, -v4
	v_fmac_f32_e32 v177, v170, v241
	v_add_f32_e32 v3, v3, v4
	v_mul_f32_e32 v4, v168, v240
	v_add_f32_e32 v14, v14, v177
	s_waitcnt vmcnt(13)
	v_mul_f32_e32 v177, v171, v243
	v_fma_f32 v4, v167, v239, -v4
	s_waitcnt vmcnt(10)
	v_fmac_f32_e32 v177, v172, v246
	v_add_f32_e32 v3, v3, v4
	v_mul_f32_e32 v4, v170, v242
	v_add_f32_e32 v14, v14, v177
	s_waitcnt lgkmcnt(0)
	v_mul_f32_e32 v177, v173, v245
	v_fma_f32 v4, v169, v241, -v4
	v_fmac_f32_e32 v177, v174, v244
	v_add_f32_e32 v3, v3, v4
	v_mul_f32_e32 v4, v172, v243
	v_add_f32_e32 v14, v14, v177
	ds_read2_b64 v[177:180], v104 offset0:99 offset1:100
	v_fma_f32 v4, v171, v246, -v4
	v_add_f32_e32 v3, v3, v4
	v_mul_f32_e32 v4, v174, v245
	s_waitcnt vmcnt(8)
	v_mul_f32_e32 v181, v175, v248
	v_fma_f32 v4, v173, v244, -v4
	v_fmac_f32_e32 v181, v176, v247
	v_add_f32_e32 v3, v3, v4
	v_mul_f32_e32 v4, v176, v248
	v_add_f32_e32 v14, v14, v181
	ds_read2_b64 v[181:184], v104 offset0:101 offset1:102
	v_fma_f32 v4, v175, v247, -v4
	v_add_f32_e32 v3, v3, v4
	s_waitcnt vmcnt(6) lgkmcnt(1)
	v_mul_f32_e32 v4, v178, v250
	v_mul_f32_e32 v104, v177, v250
	v_fma_f32 v4, v177, v249, -v4
	v_fmac_f32_e32 v104, v178, v249
	v_add_f32_e32 v3, v3, v4
	s_waitcnt vmcnt(5)
	v_mul_f32_e32 v4, v180, v251
	v_add_f32_e32 v14, v14, v104
	v_mul_f32_e32 v104, v179, v251
	s_waitcnt vmcnt(2)
	v_fma_f32 v4, v179, v254, -v4
	v_fmac_f32_e32 v104, v180, v254
	v_add_f32_e32 v3, v3, v4
	s_waitcnt lgkmcnt(0)
	v_mul_f32_e32 v4, v182, v253
	v_add_f32_e32 v14, v14, v104
	v_mul_f32_e32 v104, v181, v253
	v_fma_f32 v4, v181, v252, -v4
	v_fmac_f32_e32 v104, v182, v252
	v_add_f32_e32 v3, v3, v4
	s_waitcnt vmcnt(0)
	v_mul_f32_e32 v4, v184, v13
	v_add_f32_e32 v14, v14, v104
	v_mul_f32_e32 v104, v183, v13
	v_fma_f32 v4, v183, v255, -v4
	v_fmac_f32_e32 v104, v184, v255
	v_add_f32_e32 v3, v3, v4
	v_add_f32_e32 v14, v14, v104
	v_sub_f32_e32 v3, v205, v3
	v_sub_f32_e32 v4, v206, v14
	buffer_store_dword v3, off, s[0:3], 0 offset:80
	buffer_store_dword v4, off, s[0:3], 0 offset:84
	s_and_saveexec_b64 s[4:5], vcc
	s_cbranch_execz .LBB114_301
; %bb.300:
	buffer_load_dword v104, off, s[0:3], 0 offset:72
	buffer_load_dword v105, off, s[0:3], 0 offset:76
	v_mov_b32_e32 v3, 0
	buffer_store_dword v3, off, s[0:3], 0 offset:72
	buffer_store_dword v3, off, s[0:3], 0 offset:76
	s_waitcnt vmcnt(2)
	ds_write_b64 v103, v[104:105]
.LBB114_301:
	s_or_b64 exec, exec, s[4:5]
	s_waitcnt lgkmcnt(0)
	; wave barrier
	buffer_load_dword v113, off, s[0:3], 0 offset:84
	buffer_load_dword v112, off, s[0:3], 0 offset:92
	;; [unrolled: 1-line block ×50, first 2 shown]
	v_mov_b32_e32 v104, 0
	ds_read_b128 v[114:117], v104 offset:496
	ds_read_b128 v[118:121], v104 offset:512
	;; [unrolled: 1-line block ×6, first 2 shown]
	buffer_load_dword v225, off, s[0:3], 0 offset:272
	buffer_load_dword v226, off, s[0:3], 0 offset:276
	;; [unrolled: 1-line block ×6, first 2 shown]
	v_cmp_lt_u32_e32 vcc, 8, v0
	s_waitcnt vmcnt(55) lgkmcnt(5)
	v_mul_f32_e32 v138, v114, v113
	s_waitcnt vmcnt(54)
	v_mul_f32_e32 v139, v116, v112
	s_waitcnt vmcnt(53) lgkmcnt(4)
	v_mul_f32_e32 v140, v118, v111
	s_waitcnt vmcnt(52)
	v_mul_f32_e32 v141, v120, v110
	s_waitcnt vmcnt(51) lgkmcnt(3)
	v_mul_f32_e32 v142, v122, v109
	s_waitcnt vmcnt(50)
	v_mul_f32_e32 v143, v124, v108
	s_waitcnt vmcnt(49) lgkmcnt(2)
	v_mul_f32_e32 v144, v126, v107
	s_waitcnt vmcnt(48)
	v_mul_f32_e32 v145, v128, v3
	s_waitcnt vmcnt(47) lgkmcnt(1)
	v_mul_f32_e32 v146, v130, v4
	s_waitcnt vmcnt(46)
	v_mul_f32_e32 v147, v132, v5
	s_waitcnt vmcnt(45) lgkmcnt(0)
	v_mul_f32_e32 v148, v134, v6
	s_waitcnt vmcnt(44)
	v_fmac_f32_e32 v140, v119, v7
	s_waitcnt vmcnt(43)
	v_fmac_f32_e32 v139, v117, v8
	;; [unrolled: 2-line block ×3, first 2 shown]
	v_add_f32_e32 v138, 0, v138
	v_add_f32_e32 v138, v138, v139
	;; [unrolled: 1-line block ×3, first 2 shown]
	s_waitcnt vmcnt(38)
	v_fmac_f32_e32 v141, v121, v13
	v_fmac_f32_e32 v142, v123, v12
	v_add_f32_e32 v138, v138, v141
	v_fmac_f32_e32 v143, v125, v11
	v_add_f32_e32 v138, v138, v142
	;; [unrolled: 2-line block ×3, first 2 shown]
	s_waitcnt vmcnt(34)
	v_fmac_f32_e32 v145, v129, v198
	v_add_f32_e32 v138, v138, v144
	v_fmac_f32_e32 v146, v131, v197
	v_add_f32_e32 v138, v138, v145
	;; [unrolled: 2-line block ×4, first 2 shown]
	v_add_f32_e32 v142, v138, v148
	ds_read_b128 v[138:141], v104 offset:592
	buffer_load_dword v231, off, s[0:3], 0 offset:296
	buffer_load_dword v232, off, s[0:3], 0 offset:300
	s_waitcnt vmcnt(35)
	v_mul_f32_e32 v143, v136, v199
	s_waitcnt vmcnt(29)
	v_fmac_f32_e32 v143, v137, v205
	v_add_f32_e32 v146, v142, v143
	ds_read_b128 v[142:145], v104 offset:608
	buffer_load_dword v233, off, s[0:3], 0 offset:304
	buffer_load_dword v234, off, s[0:3], 0 offset:308
	;; [unrolled: 1-line block ×14, first 2 shown]
	s_waitcnt vmcnt(42) lgkmcnt(1)
	v_mul_f32_e32 v147, v138, v206
	v_fmac_f32_e32 v147, v139, v204
	buffer_load_dword v247, off, s[0:3], 0 offset:360
	buffer_load_dword v248, off, s[0:3], 0 offset:364
	v_add_f32_e32 v146, v146, v147
	v_mul_f32_e32 v147, v140, v201
	v_fmac_f32_e32 v147, v141, v200
	v_add_f32_e32 v146, v146, v147
	s_waitcnt lgkmcnt(0)
	v_mul_f32_e32 v147, v142, v203
	v_fmac_f32_e32 v147, v143, v202
	v_add_f32_e32 v150, v146, v147
	ds_read_b128 v[146:149], v104 offset:624
	buffer_load_dword v249, off, s[0:3], 0 offset:368
	buffer_load_dword v250, off, s[0:3], 0 offset:372
	;; [unrolled: 1-line block ×6, first 2 shown]
	s_waitcnt vmcnt(46)
	v_mul_f32_e32 v151, v144, v208
	v_fmac_f32_e32 v151, v145, v207
	v_add_f32_e32 v154, v150, v151
	ds_read_b128 v[150:153], v104 offset:640
	buffer_load_dword v255, off, s[0:3], 0 offset:396
	buffer_load_dword v15, off, s[0:3], 0 offset:400
	;; [unrolled: 1-line block ×4, first 2 shown]
	s_waitcnt vmcnt(48) lgkmcnt(1)
	v_mul_f32_e32 v155, v146, v210
	v_fmac_f32_e32 v155, v147, v209
	v_add_f32_e32 v18, v154, v155
	s_waitcnt vmcnt(46)
	v_mul_f32_e32 v154, v148, v212
	v_fmac_f32_e32 v154, v149, v211
	v_add_f32_e32 v18, v18, v154
	s_waitcnt vmcnt(44) lgkmcnt(0)
	v_mul_f32_e32 v154, v150, v214
	v_fmac_f32_e32 v154, v151, v213
	v_add_f32_e32 v18, v18, v154
	ds_read_b128 v[154:157], v104 offset:656
	s_waitcnt vmcnt(42)
	v_mul_f32_e32 v158, v152, v216
	v_fmac_f32_e32 v158, v153, v215
	v_add_f32_e32 v18, v18, v158
	ds_read_b128 v[158:161], v104 offset:672
	s_waitcnt vmcnt(40) lgkmcnt(1)
	v_mul_f32_e32 v162, v154, v218
	v_fmac_f32_e32 v162, v155, v217
	v_add_f32_e32 v18, v18, v162
	s_waitcnt vmcnt(38)
	v_mul_f32_e32 v162, v156, v220
	v_fmac_f32_e32 v162, v157, v219
	v_add_f32_e32 v18, v18, v162
	s_waitcnt vmcnt(36) lgkmcnt(0)
	v_mul_f32_e32 v162, v158, v222
	v_fmac_f32_e32 v162, v159, v221
	v_add_f32_e32 v18, v18, v162
	ds_read_b128 v[162:165], v104 offset:688
	s_waitcnt vmcnt(34)
	v_mul_f32_e32 v166, v160, v224
	v_fmac_f32_e32 v166, v161, v223
	v_add_f32_e32 v18, v18, v166
	ds_read_b128 v[166:169], v104 offset:704
	s_waitcnt vmcnt(32) lgkmcnt(1)
	v_mul_f32_e32 v170, v162, v226
	v_fmac_f32_e32 v170, v163, v225
	v_add_f32_e32 v18, v18, v170
	s_waitcnt vmcnt(31)
	v_mul_f32_e32 v170, v164, v227
	s_waitcnt vmcnt(28)
	v_fmac_f32_e32 v170, v165, v230
	v_add_f32_e32 v18, v18, v170
	s_waitcnt lgkmcnt(0)
	v_mul_f32_e32 v170, v166, v229
	v_fmac_f32_e32 v170, v167, v228
	v_add_f32_e32 v18, v18, v170
	ds_read_b128 v[170:173], v104 offset:720
	v_mul_f32_e32 v3, v129, v3
	v_fma_f32 v3, v128, v198, -v3
	v_mul_f32_e32 v4, v131, v4
	v_fma_f32 v4, v130, v197, -v4
	s_waitcnt vmcnt(26)
	v_mul_f32_e32 v174, v168, v232
	v_fmac_f32_e32 v174, v169, v231
	v_add_f32_e32 v18, v18, v174
	ds_read_b128 v[174:177], v104 offset:736
	s_waitcnt vmcnt(24) lgkmcnt(1)
	v_mul_f32_e32 v178, v170, v234
	v_fmac_f32_e32 v178, v171, v233
	v_add_f32_e32 v18, v18, v178
	s_waitcnt vmcnt(23)
	v_mul_f32_e32 v178, v172, v235
	s_waitcnt vmcnt(20)
	v_fmac_f32_e32 v178, v173, v238
	v_add_f32_e32 v18, v18, v178
	s_waitcnt lgkmcnt(0)
	v_mul_f32_e32 v178, v174, v237
	v_fmac_f32_e32 v178, v175, v236
	v_add_f32_e32 v18, v18, v178
	ds_read_b128 v[178:181], v104 offset:752
	s_waitcnt vmcnt(18)
	v_mul_f32_e32 v182, v176, v240
	v_fmac_f32_e32 v182, v177, v239
	v_add_f32_e32 v18, v18, v182
	ds_read_b128 v[182:185], v104 offset:768
	s_waitcnt vmcnt(16) lgkmcnt(1)
	v_mul_f32_e32 v186, v178, v242
	v_fmac_f32_e32 v186, v179, v241
	v_add_f32_e32 v18, v18, v186
	s_waitcnt vmcnt(15)
	v_mul_f32_e32 v186, v180, v243
	s_waitcnt vmcnt(12)
	v_fmac_f32_e32 v186, v181, v246
	v_add_f32_e32 v18, v18, v186
	s_waitcnt lgkmcnt(0)
	v_mul_f32_e32 v186, v182, v245
	v_fmac_f32_e32 v186, v183, v244
	v_add_f32_e32 v18, v18, v186
	ds_read_b128 v[186:189], v104 offset:784
	s_waitcnt vmcnt(10)
	v_mul_f32_e32 v190, v184, v248
	v_fmac_f32_e32 v190, v185, v247
	v_add_f32_e32 v18, v18, v190
	ds_read_b128 v[190:193], v104 offset:800
	s_waitcnt vmcnt(8) lgkmcnt(1)
	v_mul_f32_e32 v194, v186, v250
	v_fmac_f32_e32 v194, v187, v249
	v_add_f32_e32 v18, v18, v194
	s_waitcnt vmcnt(7)
	v_mul_f32_e32 v194, v188, v251
	s_waitcnt vmcnt(4)
	v_fmac_f32_e32 v194, v189, v254
	v_add_f32_e32 v18, v18, v194
	ds_read_b64 v[194:195], v104 offset:816
	s_waitcnt lgkmcnt(1)
	v_mul_f32_e32 v19, v190, v253
	v_fmac_f32_e32 v19, v191, v252
	v_add_f32_e32 v18, v18, v19
	s_waitcnt vmcnt(3)
	v_mul_f32_e32 v19, v192, v255
	s_waitcnt vmcnt(0)
	v_fmac_f32_e32 v19, v193, v17
	v_add_f32_e32 v18, v18, v19
	s_waitcnt lgkmcnt(0)
	v_mul_f32_e32 v19, v194, v16
	v_fmac_f32_e32 v19, v195, v15
	v_add_f32_e32 v18, v18, v19
	v_mul_f32_e32 v19, v115, v113
	v_fma_f32 v9, v114, v9, -v19
	v_mul_f32_e32 v19, v117, v112
	v_add_f32_e32 v9, 0, v9
	v_fma_f32 v8, v116, v8, -v19
	v_add_f32_e32 v8, v9, v8
	v_mul_f32_e32 v9, v119, v111
	v_fma_f32 v7, v118, v7, -v9
	v_add_f32_e32 v7, v8, v7
	v_mul_f32_e32 v8, v121, v110
	;; [unrolled: 3-line block ×5, first 2 shown]
	v_fma_f32 v8, v126, v10, -v8
	v_add_f32_e32 v7, v7, v8
	v_add_f32_e32 v3, v7, v3
	;; [unrolled: 1-line block ×3, first 2 shown]
	v_mul_f32_e32 v4, v133, v5
	v_fma_f32 v4, v132, v196, -v4
	v_add_f32_e32 v3, v3, v4
	v_mul_f32_e32 v4, v135, v6
	v_fma_f32 v4, v134, v14, -v4
	v_add_f32_e32 v3, v3, v4
	;; [unrolled: 3-line block ×32, first 2 shown]
	v_sub_f32_e32 v3, v105, v3
	v_sub_f32_e32 v4, v106, v18
	buffer_store_dword v3, off, s[0:3], 0 offset:72
	buffer_store_dword v4, off, s[0:3], 0 offset:76
	s_and_saveexec_b64 s[4:5], vcc
	s_cbranch_execz .LBB114_303
; %bb.302:
	buffer_load_dword v105, off, s[0:3], 0 offset:64
	buffer_load_dword v106, off, s[0:3], 0 offset:68
	s_waitcnt vmcnt(0)
	ds_write_b64 v103, v[105:106]
	buffer_store_dword v104, off, s[0:3], 0 offset:64
	buffer_store_dword v104, off, s[0:3], 0 offset:68
.LBB114_303:
	s_or_b64 exec, exec, s[4:5]
	s_waitcnt lgkmcnt(0)
	; wave barrier
	buffer_load_dword v3, off, s[0:3], 0 offset:76
	buffer_load_dword v4, off, s[0:3], 0 offset:84
	;; [unrolled: 1-line block ×32, first 2 shown]
	ds_read2_b64 v[105:108], v104 offset0:61 offset1:62
	ds_read2_b64 v[109:112], v104 offset0:63 offset1:64
	;; [unrolled: 1-line block ×6, first 2 shown]
	buffer_load_dword v203, off, s[0:3], 0 offset:192
	buffer_load_dword v204, off, s[0:3], 0 offset:196
	;; [unrolled: 1-line block ×18, first 2 shown]
	v_cmp_lt_u32_e32 vcc, 7, v0
	s_waitcnt vmcnt(49) lgkmcnt(5)
	v_mul_f32_e32 v129, v105, v3
	s_waitcnt vmcnt(48)
	v_mul_f32_e32 v130, v107, v4
	s_waitcnt vmcnt(47) lgkmcnt(4)
	v_mul_f32_e32 v131, v109, v5
	s_waitcnt vmcnt(46)
	v_mul_f32_e32 v132, v111, v6
	;; [unrolled: 4-line block ×6, first 2 shown]
	s_waitcnt vmcnt(37)
	v_fmac_f32_e32 v131, v110, v15
	s_waitcnt vmcnt(36)
	v_fmac_f32_e32 v130, v108, v16
	;; [unrolled: 2-line block ×3, first 2 shown]
	v_add_f32_e32 v129, 0, v129
	v_add_f32_e32 v129, v129, v130
	;; [unrolled: 1-line block ×3, first 2 shown]
	s_waitcnt vmcnt(31)
	v_fmac_f32_e32 v132, v112, v189
	v_fmac_f32_e32 v133, v114, v20
	v_add_f32_e32 v129, v129, v132
	v_fmac_f32_e32 v134, v116, v19
	v_add_f32_e32 v129, v129, v133
	;; [unrolled: 2-line block ×3, first 2 shown]
	s_waitcnt vmcnt(27)
	v_fmac_f32_e32 v136, v120, v193
	v_add_f32_e32 v129, v129, v135
	v_fmac_f32_e32 v137, v122, v192
	v_add_f32_e32 v129, v129, v136
	;; [unrolled: 2-line block ×3, first 2 shown]
	v_add_f32_e32 v133, v129, v138
	ds_read2_b64 v[129:132], v104 offset0:73 offset1:74
	buffer_load_dword v221, off, s[0:3], 0 offset:264
	buffer_load_dword v222, off, s[0:3], 0 offset:268
	;; [unrolled: 1-line block ×6, first 2 shown]
	v_fmac_f32_e32 v139, v126, v190
	s_waitcnt vmcnt(27)
	v_fmac_f32_e32 v140, v128, v199
	v_add_f32_e32 v133, v133, v139
	v_add_f32_e32 v137, v133, v140
	ds_read2_b64 v[133:136], v104 offset0:75 offset1:76
	buffer_load_dword v227, off, s[0:3], 0 offset:288
	buffer_load_dword v228, off, s[0:3], 0 offset:292
	;; [unrolled: 1-line block ×10, first 2 shown]
	s_waitcnt vmcnt(36) lgkmcnt(1)
	v_mul_f32_e32 v138, v129, v200
	buffer_load_dword v237, off, s[0:3], 0 offset:328
	buffer_load_dword v238, off, s[0:3], 0 offset:332
	;; [unrolled: 1-line block ×6, first 2 shown]
	v_fmac_f32_e32 v138, v130, v198
	v_add_f32_e32 v137, v137, v138
	v_mul_f32_e32 v138, v131, v195
	v_fmac_f32_e32 v138, v132, v194
	v_add_f32_e32 v137, v137, v138
	s_waitcnt lgkmcnt(0)
	v_mul_f32_e32 v138, v133, v197
	v_fmac_f32_e32 v138, v134, v196
	v_add_f32_e32 v141, v137, v138
	ds_read2_b64 v[137:140], v104 offset0:77 offset1:78
	buffer_load_dword v243, off, s[0:3], 0 offset:352
	buffer_load_dword v244, off, s[0:3], 0 offset:356
	s_waitcnt vmcnt(40)
	v_mul_f32_e32 v142, v135, v204
	v_fmac_f32_e32 v142, v136, v203
	v_add_f32_e32 v145, v141, v142
	ds_read2_b64 v[141:144], v104 offset0:79 offset1:80
	buffer_load_dword v245, off, s[0:3], 0 offset:360
	buffer_load_dword v246, off, s[0:3], 0 offset:364
	;; [unrolled: 1-line block ×12, first 2 shown]
	v_mul_f32_e32 v3, v106, v3
	v_fma_f32 v3, v105, v17, -v3
	v_mul_f32_e32 v4, v108, v4
	v_add_f32_e32 v3, 0, v3
	v_fma_f32 v4, v107, v16, -v4
	v_add_f32_e32 v3, v3, v4
	v_mul_f32_e32 v4, v110, v5
	v_fma_f32 v4, v109, v15, -v4
	v_add_f32_e32 v3, v3, v4
	v_mul_f32_e32 v4, v112, v6
	;; [unrolled: 3-line block ×6, first 2 shown]
	v_fma_f32 v4, v119, v193, -v4
	s_waitcnt vmcnt(50) lgkmcnt(1)
	v_mul_f32_e32 v146, v137, v206
	v_add_f32_e32 v3, v3, v4
	v_mul_f32_e32 v4, v122, v11
	v_fmac_f32_e32 v146, v138, v205
	v_fma_f32 v4, v121, v192, -v4
	v_add_f32_e32 v145, v145, v146
	s_waitcnt vmcnt(48)
	v_mul_f32_e32 v146, v139, v208
	v_add_f32_e32 v3, v3, v4
	v_mul_f32_e32 v4, v124, v12
	v_fmac_f32_e32 v146, v140, v207
	v_fma_f32 v4, v123, v191, -v4
	v_add_f32_e32 v22, v145, v146
	s_waitcnt vmcnt(46) lgkmcnt(0)
	v_mul_f32_e32 v145, v141, v210
	v_add_f32_e32 v3, v3, v4
	v_mul_f32_e32 v4, v126, v13
	v_fmac_f32_e32 v145, v142, v209
	v_fma_f32 v4, v125, v190, -v4
	v_add_f32_e32 v22, v22, v145
	ds_read2_b64 v[145:148], v104 offset0:81 offset1:82
	v_add_f32_e32 v3, v3, v4
	v_mul_f32_e32 v4, v128, v14
	v_fma_f32 v4, v127, v199, -v4
	s_waitcnt vmcnt(44)
	v_mul_f32_e32 v149, v143, v212
	v_add_f32_e32 v3, v3, v4
	v_mul_f32_e32 v4, v130, v200
	v_fmac_f32_e32 v149, v144, v211
	v_fma_f32 v4, v129, v198, -v4
	v_add_f32_e32 v22, v22, v149
	ds_read2_b64 v[149:152], v104 offset0:83 offset1:84
	v_add_f32_e32 v3, v3, v4
	v_mul_f32_e32 v4, v132, v195
	s_waitcnt vmcnt(42) lgkmcnt(1)
	v_mul_f32_e32 v153, v145, v214
	v_fma_f32 v4, v131, v194, -v4
	v_fmac_f32_e32 v153, v146, v213
	v_add_f32_e32 v3, v3, v4
	v_mul_f32_e32 v4, v134, v197
	v_add_f32_e32 v22, v22, v153
	s_waitcnt vmcnt(40)
	v_mul_f32_e32 v153, v147, v216
	v_fma_f32 v4, v133, v196, -v4
	v_fmac_f32_e32 v153, v148, v215
	v_add_f32_e32 v3, v3, v4
	v_mul_f32_e32 v4, v136, v204
	v_add_f32_e32 v22, v22, v153
	s_waitcnt vmcnt(38) lgkmcnt(0)
	v_mul_f32_e32 v153, v149, v218
	v_fma_f32 v4, v135, v203, -v4
	v_fmac_f32_e32 v153, v150, v217
	v_add_f32_e32 v3, v3, v4
	v_mul_f32_e32 v4, v138, v206
	v_add_f32_e32 v22, v22, v153
	ds_read2_b64 v[153:156], v104 offset0:85 offset1:86
	v_fma_f32 v4, v137, v205, -v4
	v_add_f32_e32 v3, v3, v4
	v_mul_f32_e32 v4, v140, v208
	s_waitcnt vmcnt(36)
	v_mul_f32_e32 v157, v151, v220
	v_fma_f32 v4, v139, v207, -v4
	v_fmac_f32_e32 v157, v152, v219
	v_add_f32_e32 v3, v3, v4
	v_mul_f32_e32 v4, v142, v210
	v_add_f32_e32 v22, v22, v157
	ds_read2_b64 v[157:160], v104 offset0:87 offset1:88
	v_fma_f32 v4, v141, v209, -v4
	s_waitcnt vmcnt(34) lgkmcnt(1)
	v_mul_f32_e32 v161, v153, v222
	v_add_f32_e32 v3, v3, v4
	v_mul_f32_e32 v4, v144, v212
	v_fmac_f32_e32 v161, v154, v221
	v_fma_f32 v4, v143, v211, -v4
	v_add_f32_e32 v22, v22, v161
	s_waitcnt vmcnt(33)
	v_mul_f32_e32 v161, v155, v223
	v_add_f32_e32 v3, v3, v4
	v_mul_f32_e32 v4, v146, v214
	s_waitcnt vmcnt(30)
	v_fmac_f32_e32 v161, v156, v226
	v_fma_f32 v4, v145, v213, -v4
	v_add_f32_e32 v22, v22, v161
	s_waitcnt lgkmcnt(0)
	v_mul_f32_e32 v161, v157, v225
	v_add_f32_e32 v3, v3, v4
	v_mul_f32_e32 v4, v148, v216
	v_fmac_f32_e32 v161, v158, v224
	v_fma_f32 v4, v147, v215, -v4
	v_add_f32_e32 v22, v22, v161
	ds_read2_b64 v[161:164], v104 offset0:89 offset1:90
	v_add_f32_e32 v3, v3, v4
	v_mul_f32_e32 v4, v150, v218
	v_fma_f32 v4, v149, v217, -v4
	s_waitcnt vmcnt(28)
	v_mul_f32_e32 v165, v159, v228
	v_add_f32_e32 v3, v3, v4
	v_mul_f32_e32 v4, v152, v220
	v_fmac_f32_e32 v165, v160, v227
	v_fma_f32 v4, v151, v219, -v4
	v_add_f32_e32 v22, v22, v165
	ds_read2_b64 v[165:168], v104 offset0:91 offset1:92
	v_add_f32_e32 v3, v3, v4
	v_mul_f32_e32 v4, v154, v222
	s_waitcnt vmcnt(26) lgkmcnt(1)
	v_mul_f32_e32 v169, v161, v230
	v_fma_f32 v4, v153, v221, -v4
	v_fmac_f32_e32 v169, v162, v229
	v_add_f32_e32 v3, v3, v4
	v_mul_f32_e32 v4, v156, v223
	v_add_f32_e32 v22, v22, v169
	s_waitcnt vmcnt(25)
	v_mul_f32_e32 v169, v163, v231
	v_fma_f32 v4, v155, v226, -v4
	s_waitcnt vmcnt(22)
	v_fmac_f32_e32 v169, v164, v234
	v_add_f32_e32 v3, v3, v4
	v_mul_f32_e32 v4, v158, v225
	v_add_f32_e32 v22, v22, v169
	s_waitcnt lgkmcnt(0)
	v_mul_f32_e32 v169, v165, v233
	v_fma_f32 v4, v157, v224, -v4
	v_fmac_f32_e32 v169, v166, v232
	v_add_f32_e32 v3, v3, v4
	v_mul_f32_e32 v4, v160, v228
	v_add_f32_e32 v22, v22, v169
	ds_read2_b64 v[169:172], v104 offset0:93 offset1:94
	v_fma_f32 v4, v159, v227, -v4
	v_add_f32_e32 v3, v3, v4
	v_mul_f32_e32 v4, v162, v230
	s_waitcnt vmcnt(20)
	v_mul_f32_e32 v173, v167, v236
	v_fma_f32 v4, v161, v229, -v4
	v_fmac_f32_e32 v173, v168, v235
	v_add_f32_e32 v3, v3, v4
	v_mul_f32_e32 v4, v164, v231
	v_add_f32_e32 v22, v22, v173
	ds_read2_b64 v[173:176], v104 offset0:95 offset1:96
	v_fma_f32 v4, v163, v234, -v4
	s_waitcnt vmcnt(18) lgkmcnt(1)
	v_mul_f32_e32 v177, v169, v238
	v_add_f32_e32 v3, v3, v4
	v_mul_f32_e32 v4, v166, v233
	v_fmac_f32_e32 v177, v170, v237
	v_fma_f32 v4, v165, v232, -v4
	v_add_f32_e32 v22, v22, v177
	s_waitcnt vmcnt(17)
	v_mul_f32_e32 v177, v171, v239
	v_add_f32_e32 v3, v3, v4
	v_mul_f32_e32 v4, v168, v236
	s_waitcnt vmcnt(14)
	v_fmac_f32_e32 v177, v172, v242
	v_fma_f32 v4, v167, v235, -v4
	v_add_f32_e32 v22, v22, v177
	s_waitcnt lgkmcnt(0)
	v_mul_f32_e32 v177, v173, v241
	v_add_f32_e32 v3, v3, v4
	v_mul_f32_e32 v4, v170, v238
	v_fmac_f32_e32 v177, v174, v240
	v_fma_f32 v4, v169, v237, -v4
	v_add_f32_e32 v22, v22, v177
	ds_read2_b64 v[177:180], v104 offset0:97 offset1:98
	v_add_f32_e32 v3, v3, v4
	v_mul_f32_e32 v4, v172, v239
	v_fma_f32 v4, v171, v242, -v4
	v_add_f32_e32 v3, v3, v4
	v_mul_f32_e32 v4, v174, v241
	s_waitcnt vmcnt(12)
	v_mul_f32_e32 v181, v175, v244
	v_fma_f32 v4, v173, v240, -v4
	v_fmac_f32_e32 v181, v176, v243
	v_add_f32_e32 v3, v3, v4
	v_mul_f32_e32 v4, v176, v244
	v_add_f32_e32 v22, v22, v181
	ds_read2_b64 v[181:184], v104 offset0:99 offset1:100
	s_waitcnt vmcnt(10) lgkmcnt(1)
	v_mul_f32_e32 v185, v177, v246
	v_fma_f32 v4, v175, v243, -v4
	v_fmac_f32_e32 v185, v178, v245
	v_add_f32_e32 v3, v3, v4
	v_mul_f32_e32 v4, v178, v246
	v_add_f32_e32 v22, v22, v185
	s_waitcnt vmcnt(9)
	v_mul_f32_e32 v185, v179, v247
	v_fma_f32 v4, v177, v245, -v4
	s_waitcnt vmcnt(6)
	v_fmac_f32_e32 v185, v180, v250
	v_add_f32_e32 v3, v3, v4
	v_mul_f32_e32 v4, v180, v247
	v_add_f32_e32 v22, v22, v185
	ds_read2_b64 v[185:188], v104 offset0:101 offset1:102
	v_fma_f32 v4, v179, v250, -v4
	v_add_f32_e32 v3, v3, v4
	s_waitcnt lgkmcnt(1)
	v_mul_f32_e32 v4, v182, v249
	v_mul_f32_e32 v23, v181, v249
	v_fma_f32 v4, v181, v248, -v4
	v_fmac_f32_e32 v23, v182, v248
	v_add_f32_e32 v3, v3, v4
	s_waitcnt vmcnt(4)
	v_mul_f32_e32 v4, v184, v252
	v_add_f32_e32 v22, v22, v23
	v_mul_f32_e32 v23, v183, v252
	v_fma_f32 v4, v183, v251, -v4
	v_fmac_f32_e32 v23, v184, v251
	v_add_f32_e32 v3, v3, v4
	s_waitcnt vmcnt(3) lgkmcnt(0)
	v_mul_f32_e32 v4, v186, v253
	v_add_f32_e32 v22, v22, v23
	v_mul_f32_e32 v23, v185, v253
	s_waitcnt vmcnt(0)
	v_fma_f32 v4, v185, v21, -v4
	v_fmac_f32_e32 v23, v186, v21
	v_add_f32_e32 v3, v3, v4
	v_mul_f32_e32 v4, v188, v255
	v_add_f32_e32 v22, v22, v23
	v_mul_f32_e32 v23, v187, v255
	v_fma_f32 v4, v187, v254, -v4
	v_fmac_f32_e32 v23, v188, v254
	v_add_f32_e32 v3, v3, v4
	v_add_f32_e32 v22, v22, v23
	v_sub_f32_e32 v3, v201, v3
	v_sub_f32_e32 v4, v202, v22
	buffer_store_dword v3, off, s[0:3], 0 offset:64
	buffer_store_dword v4, off, s[0:3], 0 offset:68
	s_and_saveexec_b64 s[4:5], vcc
	s_cbranch_execz .LBB114_305
; %bb.304:
	buffer_load_dword v104, off, s[0:3], 0 offset:56
	buffer_load_dword v105, off, s[0:3], 0 offset:60
	v_mov_b32_e32 v3, 0
	buffer_store_dword v3, off, s[0:3], 0 offset:56
	buffer_store_dword v3, off, s[0:3], 0 offset:60
	s_waitcnt vmcnt(2)
	ds_write_b64 v103, v[104:105]
.LBB114_305:
	s_or_b64 exec, exec, s[4:5]
	s_waitcnt lgkmcnt(0)
	; wave barrier
	buffer_load_dword v113, off, s[0:3], 0 offset:68
	buffer_load_dword v112, off, s[0:3], 0 offset:76
	;; [unrolled: 1-line block ×48, first 2 shown]
	v_mov_b32_e32 v104, 0
	ds_read_b128 v[119:122], v104 offset:480
	ds_read_b128 v[123:126], v104 offset:496
	;; [unrolled: 1-line block ×6, first 2 shown]
	buffer_load_dword v217, off, s[0:3], 0 offset:248
	buffer_load_dword v218, off, s[0:3], 0 offset:252
	v_cmp_lt_u32_e32 vcc, 6, v0
	s_waitcnt vmcnt(49) lgkmcnt(5)
	v_mul_f32_e32 v143, v119, v113
	s_waitcnt vmcnt(48)
	v_mul_f32_e32 v144, v121, v112
	s_waitcnt vmcnt(47) lgkmcnt(4)
	v_mul_f32_e32 v145, v123, v111
	s_waitcnt vmcnt(46)
	v_mul_f32_e32 v146, v125, v110
	s_waitcnt vmcnt(45) lgkmcnt(3)
	v_mul_f32_e32 v147, v127, v109
	s_waitcnt vmcnt(44)
	v_mul_f32_e32 v148, v129, v108
	s_waitcnt vmcnt(43) lgkmcnt(2)
	v_mul_f32_e32 v149, v131, v107
	s_waitcnt vmcnt(42)
	v_mul_f32_e32 v150, v133, v114
	s_waitcnt vmcnt(41) lgkmcnt(1)
	v_mul_f32_e32 v151, v135, v115
	s_waitcnt vmcnt(40)
	v_mul_f32_e32 v152, v137, v116
	s_waitcnt vmcnt(39) lgkmcnt(0)
	v_mul_f32_e32 v153, v139, v117
	s_waitcnt vmcnt(38)
	v_mul_f32_e32 v154, v141, v118
	s_waitcnt vmcnt(37)
	v_fmac_f32_e32 v145, v124, v3
	s_waitcnt vmcnt(36)
	v_fmac_f32_e32 v144, v122, v4
	;; [unrolled: 2-line block ×3, first 2 shown]
	v_add_f32_e32 v143, 0, v143
	v_add_f32_e32 v143, v143, v144
	;; [unrolled: 1-line block ×3, first 2 shown]
	s_waitcnt vmcnt(31)
	v_fmac_f32_e32 v146, v126, v9
	v_fmac_f32_e32 v147, v128, v8
	v_add_f32_e32 v143, v143, v146
	v_fmac_f32_e32 v148, v130, v7
	v_add_f32_e32 v143, v143, v147
	;; [unrolled: 2-line block ×3, first 2 shown]
	s_waitcnt vmcnt(27)
	v_fmac_f32_e32 v150, v134, v13
	v_add_f32_e32 v143, v143, v149
	v_fmac_f32_e32 v151, v136, v12
	v_add_f32_e32 v143, v143, v150
	;; [unrolled: 2-line block ×4, first 2 shown]
	v_add_f32_e32 v147, v143, v153
	ds_read_b128 v[143:146], v104 offset:576
	buffer_load_dword v219, off, s[0:3], 0 offset:256
	buffer_load_dword v220, off, s[0:3], 0 offset:260
	;; [unrolled: 1-line block ×6, first 2 shown]
	s_waitcnt vmcnt(28)
	v_fmac_f32_e32 v154, v142, v18
	v_add_f32_e32 v151, v147, v154
	ds_read_b128 v[147:150], v104 offset:592
	buffer_load_dword v225, off, s[0:3], 0 offset:280
	buffer_load_dword v226, off, s[0:3], 0 offset:284
	buffer_load_dword v227, off, s[0:3], 0 offset:288
	buffer_load_dword v228, off, s[0:3], 0 offset:292
	buffer_load_dword v229, off, s[0:3], 0 offset:300
	buffer_load_dword v230, off, s[0:3], 0 offset:304
	buffer_load_dword v231, off, s[0:3], 0 offset:308
	buffer_load_dword v232, off, s[0:3], 0 offset:296
	s_waitcnt vmcnt(35) lgkmcnt(1)
	v_mul_f32_e32 v152, v143, v19
	buffer_load_dword v233, off, s[0:3], 0 offset:312
	buffer_load_dword v234, off, s[0:3], 0 offset:316
	v_fmac_f32_e32 v152, v144, v17
	v_add_f32_e32 v151, v151, v152
	s_waitcnt vmcnt(36)
	v_mul_f32_e32 v152, v145, v20
	v_fmac_f32_e32 v152, v146, v16
	v_add_f32_e32 v151, v151, v152
	s_waitcnt lgkmcnt(0)
	v_mul_f32_e32 v152, v147, v15
	v_fmac_f32_e32 v152, v148, v14
	v_add_f32_e32 v155, v151, v152
	ds_read_b128 v[151:154], v104 offset:608
	buffer_load_dword v235, off, s[0:3], 0 offset:320
	buffer_load_dword v236, off, s[0:3], 0 offset:324
	;; [unrolled: 1-line block ×6, first 2 shown]
	s_waitcnt vmcnt(38)
	v_mul_f32_e32 v156, v149, v22
	v_fmac_f32_e32 v156, v150, v21
	v_add_f32_e32 v159, v155, v156
	ds_read_b128 v[155:158], v104 offset:624
	buffer_load_dword v241, off, s[0:3], 0 offset:344
	buffer_load_dword v242, off, s[0:3], 0 offset:348
	;; [unrolled: 1-line block ×16, first 2 shown]
	s_waitcnt vmcnt(52) lgkmcnt(1)
	v_mul_f32_e32 v160, v151, v24
	v_fmac_f32_e32 v160, v152, v23
	v_add_f32_e32 v159, v159, v160
	s_waitcnt vmcnt(50)
	v_mul_f32_e32 v160, v153, v206
	v_fmac_f32_e32 v160, v154, v205
	v_add_f32_e32 v159, v159, v160
	s_waitcnt vmcnt(48) lgkmcnt(0)
	v_mul_f32_e32 v160, v155, v208
	v_fmac_f32_e32 v160, v156, v207
	v_add_f32_e32 v163, v159, v160
	ds_read_b128 v[159:162], v104 offset:640
	s_waitcnt vmcnt(46)
	v_mul_f32_e32 v26, v157, v210
	v_fmac_f32_e32 v26, v158, v209
	v_add_f32_e32 v26, v163, v26
	ds_read_b128 v[163:166], v104 offset:656
	s_waitcnt vmcnt(44) lgkmcnt(1)
	v_mul_f32_e32 v167, v159, v212
	v_fmac_f32_e32 v167, v160, v211
	v_add_f32_e32 v26, v26, v167
	s_waitcnt vmcnt(42)
	v_mul_f32_e32 v167, v161, v214
	v_fmac_f32_e32 v167, v162, v213
	v_add_f32_e32 v26, v26, v167
	s_waitcnt vmcnt(40) lgkmcnt(0)
	v_mul_f32_e32 v167, v163, v216
	v_fmac_f32_e32 v167, v164, v215
	v_add_f32_e32 v26, v26, v167
	ds_read_b128 v[167:170], v104 offset:672
	s_waitcnt vmcnt(38)
	v_mul_f32_e32 v171, v165, v218
	v_fmac_f32_e32 v171, v166, v217
	v_add_f32_e32 v26, v26, v171
	ds_read_b128 v[171:174], v104 offset:688
	s_waitcnt vmcnt(36) lgkmcnt(1)
	v_mul_f32_e32 v175, v167, v220
	v_fmac_f32_e32 v175, v168, v219
	v_add_f32_e32 v26, v26, v175
	s_waitcnt vmcnt(35)
	v_mul_f32_e32 v175, v169, v221
	s_waitcnt vmcnt(32)
	v_fmac_f32_e32 v175, v170, v224
	v_add_f32_e32 v26, v26, v175
	s_waitcnt lgkmcnt(0)
	v_mul_f32_e32 v175, v171, v223
	v_fmac_f32_e32 v175, v172, v222
	v_add_f32_e32 v26, v26, v175
	ds_read_b128 v[175:178], v104 offset:704
	s_waitcnt vmcnt(30)
	v_mul_f32_e32 v179, v173, v226
	v_fmac_f32_e32 v179, v174, v225
	v_add_f32_e32 v26, v26, v179
	ds_read_b128 v[179:182], v104 offset:720
	s_waitcnt vmcnt(28) lgkmcnt(1)
	v_mul_f32_e32 v183, v175, v228
	v_fmac_f32_e32 v183, v176, v227
	v_add_f32_e32 v26, v26, v183
	s_waitcnt vmcnt(27)
	v_mul_f32_e32 v183, v177, v229
	s_waitcnt vmcnt(24)
	v_fmac_f32_e32 v183, v178, v232
	v_add_f32_e32 v26, v26, v183
	s_waitcnt lgkmcnt(0)
	;; [unrolled: 19-line block ×4, first 2 shown]
	v_mul_f32_e32 v199, v195, v247
	v_fmac_f32_e32 v199, v196, v246
	v_add_f32_e32 v26, v26, v199
	ds_read_b128 v[199:202], v104 offset:800
	s_waitcnt vmcnt(6)
	v_mul_f32_e32 v203, v197, v250
	v_fmac_f32_e32 v203, v198, v249
	v_add_f32_e32 v26, v26, v203
	ds_read_b64 v[203:204], v104 offset:816
	s_waitcnt vmcnt(4) lgkmcnt(1)
	v_mul_f32_e32 v27, v199, v252
	v_fmac_f32_e32 v27, v200, v251
	v_add_f32_e32 v26, v26, v27
	s_waitcnt vmcnt(3)
	v_mul_f32_e32 v27, v201, v253
	s_waitcnt vmcnt(0)
	v_fmac_f32_e32 v27, v202, v25
	v_add_f32_e32 v26, v26, v27
	s_waitcnt lgkmcnt(0)
	v_mul_f32_e32 v27, v203, v255
	v_fmac_f32_e32 v27, v204, v254
	v_add_f32_e32 v26, v26, v27
	v_mul_f32_e32 v27, v120, v113
	v_fma_f32 v5, v119, v5, -v27
	v_mul_f32_e32 v27, v122, v112
	v_add_f32_e32 v5, 0, v5
	v_fma_f32 v4, v121, v4, -v27
	v_add_f32_e32 v4, v5, v4
	v_mul_f32_e32 v5, v124, v111
	v_fma_f32 v3, v123, v3, -v5
	v_add_f32_e32 v3, v4, v3
	v_mul_f32_e32 v4, v126, v110
	;; [unrolled: 3-line block ×41, first 2 shown]
	v_fma_f32 v4, v203, v254, -v4
	v_add_f32_e32 v3, v3, v4
	v_sub_f32_e32 v3, v105, v3
	v_sub_f32_e32 v4, v106, v26
	buffer_store_dword v3, off, s[0:3], 0 offset:56
	buffer_store_dword v4, off, s[0:3], 0 offset:60
	s_and_saveexec_b64 s[4:5], vcc
	s_cbranch_execz .LBB114_307
; %bb.306:
	buffer_load_dword v105, off, s[0:3], 0 offset:48
	buffer_load_dword v106, off, s[0:3], 0 offset:52
	s_waitcnt vmcnt(0)
	ds_write_b64 v103, v[105:106]
	buffer_store_dword v104, off, s[0:3], 0 offset:48
	buffer_store_dword v104, off, s[0:3], 0 offset:52
.LBB114_307:
	s_or_b64 exec, exec, s[4:5]
	s_waitcnt lgkmcnt(0)
	; wave barrier
	buffer_load_dword v113, off, s[0:3], 0 offset:60
	buffer_load_dword v112, off, s[0:3], 0 offset:68
	;; [unrolled: 1-line block ×32, first 2 shown]
	ds_read2_b64 v[119:122], v104 offset0:59 offset1:60
	ds_read2_b64 v[123:126], v104 offset0:61 offset1:62
	;; [unrolled: 1-line block ×4, first 2 shown]
	buffer_load_dword v21, off, s[0:3], 0 offset:176
	buffer_load_dword v22, off, s[0:3], 0 offset:180
	ds_read2_b64 v[135:138], v104 offset0:67 offset1:68
	ds_read2_b64 v[139:142], v104 offset0:69 offset1:70
	;; [unrolled: 1-line block ×3, first 2 shown]
	buffer_load_dword v23, off, s[0:3], 0 offset:184
	buffer_load_dword v24, off, s[0:3], 0 offset:188
	;; [unrolled: 1-line block ×16, first 2 shown]
	v_cmp_lt_u32_e32 vcc, 5, v0
	s_waitcnt vmcnt(49) lgkmcnt(6)
	v_mul_f32_e32 v147, v119, v113
	s_waitcnt vmcnt(48)
	v_mul_f32_e32 v148, v121, v112
	s_waitcnt vmcnt(47) lgkmcnt(5)
	v_mul_f32_e32 v149, v123, v111
	s_waitcnt vmcnt(46)
	v_mul_f32_e32 v150, v125, v110
	;; [unrolled: 4-line block ×6, first 2 shown]
	s_waitcnt vmcnt(37)
	v_fmac_f32_e32 v149, v124, v3
	s_waitcnt vmcnt(36)
	v_fmac_f32_e32 v148, v122, v4
	;; [unrolled: 2-line block ×3, first 2 shown]
	v_add_f32_e32 v147, 0, v147
	v_add_f32_e32 v147, v147, v148
	;; [unrolled: 1-line block ×3, first 2 shown]
	s_waitcnt vmcnt(31)
	v_fmac_f32_e32 v150, v126, v9
	v_fmac_f32_e32 v151, v128, v8
	v_add_f32_e32 v147, v147, v150
	v_fmac_f32_e32 v152, v130, v7
	v_add_f32_e32 v147, v147, v151
	;; [unrolled: 2-line block ×3, first 2 shown]
	s_waitcnt vmcnt(27)
	v_fmac_f32_e32 v154, v134, v13
	v_add_f32_e32 v147, v147, v153
	v_fmac_f32_e32 v155, v136, v12
	v_add_f32_e32 v147, v147, v154
	;; [unrolled: 2-line block ×4, first 2 shown]
	s_waitcnt vmcnt(23)
	v_fmac_f32_e32 v158, v142, v17
	v_add_f32_e32 v147, v147, v157
	v_add_f32_e32 v151, v147, v158
	ds_read2_b64 v[147:150], v104 offset0:73 offset1:74
	buffer_load_dword v217, off, s[0:3], 0 offset:248
	buffer_load_dword v218, off, s[0:3], 0 offset:252
	;; [unrolled: 1-line block ×14, first 2 shown]
	s_waitcnt vmcnt(36) lgkmcnt(1)
	v_mul_f32_e32 v152, v143, v18
	buffer_load_dword v231, off, s[0:3], 0 offset:304
	buffer_load_dword v232, off, s[0:3], 0 offset:308
	v_fmac_f32_e32 v152, v144, v16
	v_add_f32_e32 v151, v151, v152
	s_waitcnt vmcnt(37)
	v_mul_f32_e32 v152, v145, v19
	v_fmac_f32_e32 v152, v146, v15
	v_add_f32_e32 v151, v151, v152
	s_waitcnt vmcnt(36) lgkmcnt(0)
	v_mul_f32_e32 v152, v147, v20
	v_fmac_f32_e32 v152, v148, v14
	v_add_f32_e32 v155, v151, v152
	ds_read2_b64 v[151:154], v104 offset0:75 offset1:76
	buffer_load_dword v233, off, s[0:3], 0 offset:312
	buffer_load_dword v234, off, s[0:3], 0 offset:316
	;; [unrolled: 1-line block ×6, first 2 shown]
	s_waitcnt vmcnt(38)
	v_mul_f32_e32 v156, v149, v22
	v_fmac_f32_e32 v156, v150, v21
	v_add_f32_e32 v159, v155, v156
	ds_read2_b64 v[155:158], v104 offset0:77 offset1:78
	buffer_load_dword v239, off, s[0:3], 0 offset:336
	buffer_load_dword v240, off, s[0:3], 0 offset:340
	;; [unrolled: 1-line block ×10, first 2 shown]
	s_waitcnt vmcnt(46) lgkmcnt(1)
	v_mul_f32_e32 v160, v151, v24
	v_fmac_f32_e32 v160, v152, v23
	v_add_f32_e32 v159, v159, v160
	s_waitcnt vmcnt(44)
	v_mul_f32_e32 v160, v153, v26
	v_fmac_f32_e32 v160, v154, v25
	v_add_f32_e32 v159, v159, v160
	s_waitcnt vmcnt(42) lgkmcnt(0)
	v_mul_f32_e32 v160, v155, v28
	buffer_load_dword v249, off, s[0:3], 0 offset:376
	buffer_load_dword v250, off, s[0:3], 0 offset:380
	;; [unrolled: 1-line block ×6, first 2 shown]
	v_fmac_f32_e32 v160, v156, v27
	s_waitcnt vmcnt(46)
	v_mul_f32_e32 v164, v157, v208
	v_add_f32_e32 v163, v159, v160
	v_fmac_f32_e32 v164, v158, v207
	ds_read2_b64 v[159:162], v104 offset0:79 offset1:80
	v_add_f32_e32 v167, v163, v164
	ds_read2_b64 v[163:166], v104 offset0:81 offset1:82
	buffer_load_dword v255, off, s[0:3], 0 offset:400
	buffer_load_dword v29, off, s[0:3], 0 offset:404
	s_waitcnt vmcnt(46) lgkmcnt(1)
	v_mul_f32_e32 v30, v159, v210
	v_fmac_f32_e32 v30, v160, v209
	v_add_f32_e32 v30, v167, v30
	s_waitcnt vmcnt(44)
	v_mul_f32_e32 v167, v161, v212
	v_fmac_f32_e32 v167, v162, v211
	v_add_f32_e32 v30, v30, v167
	s_waitcnt vmcnt(42) lgkmcnt(0)
	v_mul_f32_e32 v167, v163, v214
	v_fmac_f32_e32 v167, v164, v213
	v_add_f32_e32 v30, v30, v167
	ds_read2_b64 v[167:170], v104 offset0:83 offset1:84
	s_waitcnt vmcnt(40)
	v_mul_f32_e32 v171, v165, v216
	v_fmac_f32_e32 v171, v166, v215
	v_add_f32_e32 v30, v30, v171
	ds_read2_b64 v[171:174], v104 offset0:85 offset1:86
	s_waitcnt vmcnt(38) lgkmcnt(1)
	v_mul_f32_e32 v175, v167, v218
	v_fmac_f32_e32 v175, v168, v217
	v_add_f32_e32 v30, v30, v175
	s_waitcnt vmcnt(37)
	v_mul_f32_e32 v175, v169, v219
	s_waitcnt vmcnt(34)
	v_fmac_f32_e32 v175, v170, v222
	v_add_f32_e32 v30, v30, v175
	s_waitcnt lgkmcnt(0)
	v_mul_f32_e32 v175, v171, v221
	v_fmac_f32_e32 v175, v172, v220
	v_add_f32_e32 v30, v30, v175
	ds_read2_b64 v[175:178], v104 offset0:87 offset1:88
	s_waitcnt vmcnt(32)
	v_mul_f32_e32 v179, v173, v224
	v_fmac_f32_e32 v179, v174, v223
	v_add_f32_e32 v30, v30, v179
	ds_read2_b64 v[179:182], v104 offset0:89 offset1:90
	s_waitcnt vmcnt(30) lgkmcnt(1)
	v_mul_f32_e32 v183, v175, v226
	v_fmac_f32_e32 v183, v176, v225
	v_add_f32_e32 v30, v30, v183
	s_waitcnt vmcnt(29)
	v_mul_f32_e32 v183, v177, v227
	s_waitcnt vmcnt(26)
	v_fmac_f32_e32 v183, v178, v230
	v_add_f32_e32 v30, v30, v183
	s_waitcnt lgkmcnt(0)
	;; [unrolled: 19-line block ×5, first 2 shown]
	v_mul_f32_e32 v104, v203, v253
	v_fmac_f32_e32 v104, v204, v252
	v_add_f32_e32 v30, v30, v104
	s_waitcnt vmcnt(0)
	v_mul_f32_e32 v104, v205, v29
	v_fmac_f32_e32 v104, v206, v255
	v_add_f32_e32 v30, v30, v104
	v_mul_f32_e32 v104, v120, v113
	v_fma_f32 v5, v119, v5, -v104
	v_mul_f32_e32 v104, v122, v112
	v_add_f32_e32 v5, 0, v5
	v_fma_f32 v4, v121, v4, -v104
	v_add_f32_e32 v4, v5, v4
	v_mul_f32_e32 v5, v124, v111
	v_fma_f32 v3, v123, v3, -v5
	v_add_f32_e32 v3, v4, v3
	v_mul_f32_e32 v4, v126, v110
	;; [unrolled: 3-line block ×42, first 2 shown]
	v_fma_f32 v4, v205, v255, -v4
	v_add_f32_e32 v3, v3, v4
	v_sub_f32_e32 v3, v105, v3
	v_sub_f32_e32 v4, v106, v30
	buffer_store_dword v3, off, s[0:3], 0 offset:48
	buffer_store_dword v4, off, s[0:3], 0 offset:52
	s_and_saveexec_b64 s[4:5], vcc
	s_cbranch_execz .LBB114_309
; %bb.308:
	buffer_load_dword v104, off, s[0:3], 0 offset:40
	buffer_load_dword v105, off, s[0:3], 0 offset:44
	v_mov_b32_e32 v3, 0
	buffer_store_dword v3, off, s[0:3], 0 offset:40
	buffer_store_dword v3, off, s[0:3], 0 offset:44
	s_waitcnt vmcnt(2)
	ds_write_b64 v103, v[104:105]
.LBB114_309:
	s_or_b64 exec, exec, s[4:5]
	s_waitcnt lgkmcnt(0)
	; wave barrier
	buffer_load_dword v3, off, s[0:3], 0 offset:52
	buffer_load_dword v4, off, s[0:3], 0 offset:60
	;; [unrolled: 1-line block ×48, first 2 shown]
	v_mov_b32_e32 v104, 0
	ds_read_b128 v[107:110], v104 offset:464
	ds_read_b128 v[111:114], v104 offset:480
	;; [unrolled: 1-line block ×7, first 2 shown]
	v_cmp_lt_u32_e32 vcc, 4, v0
	s_waitcnt vmcnt(47) lgkmcnt(6)
	v_mul_f32_e32 v135, v107, v3
	s_waitcnt vmcnt(46)
	v_mul_f32_e32 v136, v109, v4
	s_waitcnt vmcnt(45) lgkmcnt(5)
	v_mul_f32_e32 v137, v111, v5
	s_waitcnt vmcnt(44)
	v_mul_f32_e32 v138, v113, v6
	;; [unrolled: 4-line block ×6, first 2 shown]
	s_waitcnt vmcnt(35)
	v_fmac_f32_e32 v137, v112, v15
	s_waitcnt vmcnt(34)
	v_fmac_f32_e32 v136, v110, v16
	;; [unrolled: 2-line block ×3, first 2 shown]
	v_add_f32_e32 v135, 0, v135
	v_add_f32_e32 v135, v135, v136
	;; [unrolled: 1-line block ×3, first 2 shown]
	s_waitcnt vmcnt(29)
	v_fmac_f32_e32 v138, v114, v21
	v_fmac_f32_e32 v139, v116, v20
	v_add_f32_e32 v135, v135, v138
	v_fmac_f32_e32 v140, v118, v19
	v_add_f32_e32 v135, v135, v139
	;; [unrolled: 2-line block ×3, first 2 shown]
	s_waitcnt vmcnt(25)
	v_fmac_f32_e32 v142, v122, v25
	v_add_f32_e32 v135, v135, v141
	v_fmac_f32_e32 v143, v124, v24
	v_add_f32_e32 v135, v135, v142
	v_fmac_f32_e32 v144, v126, v23
	v_add_f32_e32 v135, v135, v143
	v_fmac_f32_e32 v145, v128, v22
	v_add_f32_e32 v135, v135, v144
	s_waitcnt vmcnt(21)
	v_fmac_f32_e32 v146, v130, v29
	v_add_f32_e32 v135, v135, v145
	v_add_f32_e32 v139, v135, v146
	ds_read_b128 v[135:138], v104 offset:576
	buffer_load_dword v215, off, s[0:3], 0 offset:232
	buffer_load_dword v216, off, s[0:3], 0 offset:236
	;; [unrolled: 1-line block ×10, first 2 shown]
	s_waitcnt vmcnt(30) lgkmcnt(1)
	v_mul_f32_e32 v140, v131, v30
	v_fmac_f32_e32 v140, v132, v28
	buffer_load_dword v225, off, s[0:3], 0 offset:272
	buffer_load_dword v226, off, s[0:3], 0 offset:276
	;; [unrolled: 1-line block ×6, first 2 shown]
	v_add_f32_e32 v139, v139, v140
	s_waitcnt vmcnt(35)
	v_mul_f32_e32 v140, v133, v197
	v_fmac_f32_e32 v140, v134, v27
	v_add_f32_e32 v139, v139, v140
	s_waitcnt vmcnt(34) lgkmcnt(0)
	v_mul_f32_e32 v140, v135, v198
	v_fmac_f32_e32 v140, v136, v26
	v_add_f32_e32 v143, v139, v140
	ds_read_b128 v[139:142], v104 offset:592
	buffer_load_dword v231, off, s[0:3], 0 offset:296
	buffer_load_dword v232, off, s[0:3], 0 offset:300
	s_waitcnt vmcnt(32)
	v_mul_f32_e32 v144, v137, v200
	v_fmac_f32_e32 v144, v138, v199
	v_add_f32_e32 v147, v143, v144
	ds_read_b128 v[143:146], v104 offset:608
	buffer_load_dword v233, off, s[0:3], 0 offset:304
	buffer_load_dword v234, off, s[0:3], 0 offset:308
	;; [unrolled: 1-line block ×14, first 2 shown]
	s_waitcnt vmcnt(44) lgkmcnt(1)
	v_mul_f32_e32 v148, v139, v202
	v_fmac_f32_e32 v148, v140, v201
	buffer_load_dword v247, off, s[0:3], 0 offset:360
	buffer_load_dword v248, off, s[0:3], 0 offset:364
	v_add_f32_e32 v147, v147, v148
	s_waitcnt vmcnt(44)
	v_mul_f32_e32 v148, v141, v204
	v_fmac_f32_e32 v148, v142, v203
	v_add_f32_e32 v147, v147, v148
	s_waitcnt vmcnt(42) lgkmcnt(0)
	v_mul_f32_e32 v148, v143, v206
	v_fmac_f32_e32 v148, v144, v205
	v_mul_f32_e32 v3, v108, v3
	v_add_f32_e32 v151, v147, v148
	ds_read_b128 v[147:150], v104 offset:624
	buffer_load_dword v249, off, s[0:3], 0 offset:368
	buffer_load_dword v250, off, s[0:3], 0 offset:372
	;; [unrolled: 1-line block ×6, first 2 shown]
	v_fma_f32 v3, v107, v17, -v3
	v_mul_f32_e32 v4, v110, v4
	v_add_f32_e32 v3, 0, v3
	v_fma_f32 v4, v109, v16, -v4
	v_add_f32_e32 v3, v3, v4
	v_mul_f32_e32 v4, v112, v5
	s_waitcnt vmcnt(46)
	v_mul_f32_e32 v152, v145, v208
	v_fma_f32 v4, v111, v15, -v4
	v_fmac_f32_e32 v152, v146, v207
	v_add_f32_e32 v3, v3, v4
	v_mul_f32_e32 v4, v114, v6
	v_add_f32_e32 v155, v151, v152
	ds_read_b128 v[151:154], v104 offset:640
	buffer_load_dword v255, off, s[0:3], 0 offset:396
	buffer_load_dword v31, off, s[0:3], 0 offset:400
	;; [unrolled: 1-line block ×4, first 2 shown]
	v_fma_f32 v4, v113, v21, -v4
	v_add_f32_e32 v3, v3, v4
	v_mul_f32_e32 v4, v116, v7
	v_fma_f32 v4, v115, v20, -v4
	v_add_f32_e32 v3, v3, v4
	v_mul_f32_e32 v4, v118, v8
	;; [unrolled: 3-line block ×8, first 2 shown]
	v_fma_f32 v4, v129, v29, -v4
	s_waitcnt vmcnt(48) lgkmcnt(1)
	v_mul_f32_e32 v156, v147, v210
	v_add_f32_e32 v3, v3, v4
	v_mul_f32_e32 v4, v132, v30
	v_fmac_f32_e32 v156, v148, v209
	v_fma_f32 v4, v131, v28, -v4
	v_add_f32_e32 v34, v155, v156
	s_waitcnt vmcnt(46)
	v_mul_f32_e32 v155, v149, v212
	v_add_f32_e32 v3, v3, v4
	v_mul_f32_e32 v4, v134, v197
	v_fmac_f32_e32 v155, v150, v211
	v_fma_f32 v4, v133, v27, -v4
	v_add_f32_e32 v34, v34, v155
	s_waitcnt vmcnt(44) lgkmcnt(0)
	v_mul_f32_e32 v155, v151, v214
	v_add_f32_e32 v3, v3, v4
	v_mul_f32_e32 v4, v136, v198
	v_fmac_f32_e32 v155, v152, v213
	v_fma_f32 v4, v135, v26, -v4
	v_add_f32_e32 v34, v34, v155
	ds_read_b128 v[155:158], v104 offset:656
	v_add_f32_e32 v3, v3, v4
	v_mul_f32_e32 v4, v138, v200
	v_fma_f32 v4, v137, v199, -v4
	s_waitcnt vmcnt(42)
	v_mul_f32_e32 v159, v153, v216
	v_add_f32_e32 v3, v3, v4
	v_mul_f32_e32 v4, v140, v202
	v_fmac_f32_e32 v159, v154, v215
	v_fma_f32 v4, v139, v201, -v4
	v_add_f32_e32 v34, v34, v159
	ds_read_b128 v[159:162], v104 offset:672
	v_add_f32_e32 v3, v3, v4
	v_mul_f32_e32 v4, v142, v204
	s_waitcnt vmcnt(40) lgkmcnt(1)
	v_mul_f32_e32 v163, v155, v218
	v_fma_f32 v4, v141, v203, -v4
	v_fmac_f32_e32 v163, v156, v217
	v_add_f32_e32 v3, v3, v4
	v_mul_f32_e32 v4, v144, v206
	v_add_f32_e32 v34, v34, v163
	s_waitcnt vmcnt(39)
	v_mul_f32_e32 v163, v157, v219
	v_fma_f32 v4, v143, v205, -v4
	s_waitcnt vmcnt(36)
	v_fmac_f32_e32 v163, v158, v222
	v_add_f32_e32 v3, v3, v4
	v_mul_f32_e32 v4, v146, v208
	v_add_f32_e32 v34, v34, v163
	s_waitcnt lgkmcnt(0)
	v_mul_f32_e32 v163, v159, v221
	v_fma_f32 v4, v145, v207, -v4
	v_fmac_f32_e32 v163, v160, v220
	v_add_f32_e32 v3, v3, v4
	v_mul_f32_e32 v4, v148, v210
	v_add_f32_e32 v34, v34, v163
	ds_read_b128 v[163:166], v104 offset:688
	v_fma_f32 v4, v147, v209, -v4
	v_add_f32_e32 v3, v3, v4
	v_mul_f32_e32 v4, v150, v212
	s_waitcnt vmcnt(34)
	v_mul_f32_e32 v167, v161, v224
	v_fma_f32 v4, v149, v211, -v4
	v_fmac_f32_e32 v167, v162, v223
	v_add_f32_e32 v3, v3, v4
	v_mul_f32_e32 v4, v152, v214
	v_add_f32_e32 v34, v34, v167
	ds_read_b128 v[167:170], v104 offset:704
	v_fma_f32 v4, v151, v213, -v4
	s_waitcnt vmcnt(32) lgkmcnt(1)
	v_mul_f32_e32 v171, v163, v226
	v_add_f32_e32 v3, v3, v4
	v_mul_f32_e32 v4, v154, v216
	v_fmac_f32_e32 v171, v164, v225
	v_fma_f32 v4, v153, v215, -v4
	v_add_f32_e32 v34, v34, v171
	s_waitcnt vmcnt(31)
	v_mul_f32_e32 v171, v165, v227
	v_add_f32_e32 v3, v3, v4
	v_mul_f32_e32 v4, v156, v218
	s_waitcnt vmcnt(28)
	v_fmac_f32_e32 v171, v166, v230
	v_fma_f32 v4, v155, v217, -v4
	v_add_f32_e32 v34, v34, v171
	s_waitcnt lgkmcnt(0)
	v_mul_f32_e32 v171, v167, v229
	v_add_f32_e32 v3, v3, v4
	v_mul_f32_e32 v4, v158, v219
	v_fmac_f32_e32 v171, v168, v228
	v_fma_f32 v4, v157, v222, -v4
	v_add_f32_e32 v34, v34, v171
	ds_read_b128 v[171:174], v104 offset:720
	v_add_f32_e32 v3, v3, v4
	v_mul_f32_e32 v4, v160, v221
	v_fma_f32 v4, v159, v220, -v4
	s_waitcnt vmcnt(26)
	v_mul_f32_e32 v175, v169, v232
	v_add_f32_e32 v3, v3, v4
	v_mul_f32_e32 v4, v162, v224
	v_fmac_f32_e32 v175, v170, v231
	v_fma_f32 v4, v161, v223, -v4
	v_add_f32_e32 v34, v34, v175
	ds_read_b128 v[175:178], v104 offset:736
	v_add_f32_e32 v3, v3, v4
	v_mul_f32_e32 v4, v164, v226
	s_waitcnt vmcnt(24) lgkmcnt(1)
	v_mul_f32_e32 v179, v171, v234
	v_fma_f32 v4, v163, v225, -v4
	v_fmac_f32_e32 v179, v172, v233
	v_add_f32_e32 v3, v3, v4
	v_mul_f32_e32 v4, v166, v227
	v_add_f32_e32 v34, v34, v179
	s_waitcnt vmcnt(23)
	v_mul_f32_e32 v179, v173, v235
	v_fma_f32 v4, v165, v230, -v4
	s_waitcnt vmcnt(20)
	v_fmac_f32_e32 v179, v174, v238
	v_add_f32_e32 v3, v3, v4
	v_mul_f32_e32 v4, v168, v229
	v_add_f32_e32 v34, v34, v179
	s_waitcnt lgkmcnt(0)
	v_mul_f32_e32 v179, v175, v237
	v_fma_f32 v4, v167, v228, -v4
	v_fmac_f32_e32 v179, v176, v236
	v_add_f32_e32 v3, v3, v4
	v_mul_f32_e32 v4, v170, v232
	v_add_f32_e32 v34, v34, v179
	ds_read_b128 v[179:182], v104 offset:752
	v_fma_f32 v4, v169, v231, -v4
	v_add_f32_e32 v3, v3, v4
	v_mul_f32_e32 v4, v172, v234
	s_waitcnt vmcnt(18)
	v_mul_f32_e32 v183, v177, v240
	v_fma_f32 v4, v171, v233, -v4
	v_fmac_f32_e32 v183, v178, v239
	v_add_f32_e32 v3, v3, v4
	v_mul_f32_e32 v4, v174, v235
	v_add_f32_e32 v34, v34, v183
	ds_read_b128 v[183:186], v104 offset:768
	v_fma_f32 v4, v173, v238, -v4
	s_waitcnt vmcnt(16) lgkmcnt(1)
	v_mul_f32_e32 v187, v179, v242
	v_add_f32_e32 v3, v3, v4
	v_mul_f32_e32 v4, v176, v237
	v_fmac_f32_e32 v187, v180, v241
	v_fma_f32 v4, v175, v236, -v4
	v_add_f32_e32 v34, v34, v187
	s_waitcnt vmcnt(15)
	v_mul_f32_e32 v187, v181, v243
	v_add_f32_e32 v3, v3, v4
	v_mul_f32_e32 v4, v178, v240
	s_waitcnt vmcnt(12)
	v_fmac_f32_e32 v187, v182, v246
	v_fma_f32 v4, v177, v239, -v4
	v_add_f32_e32 v34, v34, v187
	s_waitcnt lgkmcnt(0)
	v_mul_f32_e32 v187, v183, v245
	v_add_f32_e32 v3, v3, v4
	v_mul_f32_e32 v4, v180, v242
	v_fmac_f32_e32 v187, v184, v244
	v_fma_f32 v4, v179, v241, -v4
	v_add_f32_e32 v34, v34, v187
	ds_read_b128 v[187:190], v104 offset:784
	v_add_f32_e32 v3, v3, v4
	v_mul_f32_e32 v4, v182, v243
	v_fma_f32 v4, v181, v246, -v4
	v_add_f32_e32 v3, v3, v4
	v_mul_f32_e32 v4, v184, v245
	s_waitcnt vmcnt(10)
	v_mul_f32_e32 v191, v185, v248
	v_fma_f32 v4, v183, v244, -v4
	v_fmac_f32_e32 v191, v186, v247
	v_add_f32_e32 v3, v3, v4
	v_mul_f32_e32 v4, v186, v248
	v_add_f32_e32 v34, v34, v191
	ds_read_b128 v[191:194], v104 offset:800
	s_waitcnt vmcnt(8) lgkmcnt(1)
	v_mul_f32_e32 v195, v187, v250
	v_fma_f32 v4, v185, v247, -v4
	v_fmac_f32_e32 v195, v188, v249
	v_add_f32_e32 v3, v3, v4
	v_mul_f32_e32 v4, v188, v250
	v_add_f32_e32 v34, v34, v195
	s_waitcnt vmcnt(7)
	v_mul_f32_e32 v195, v189, v251
	v_fma_f32 v4, v187, v249, -v4
	s_waitcnt vmcnt(4)
	v_fmac_f32_e32 v195, v190, v254
	v_add_f32_e32 v3, v3, v4
	v_mul_f32_e32 v4, v190, v251
	v_add_f32_e32 v34, v34, v195
	ds_read_b64 v[195:196], v104 offset:816
	v_fma_f32 v4, v189, v254, -v4
	v_add_f32_e32 v3, v3, v4
	s_waitcnt lgkmcnt(1)
	v_mul_f32_e32 v4, v192, v253
	v_mul_f32_e32 v35, v191, v253
	v_fma_f32 v4, v191, v252, -v4
	v_fmac_f32_e32 v35, v192, v252
	v_add_f32_e32 v3, v3, v4
	s_waitcnt vmcnt(3)
	v_mul_f32_e32 v4, v194, v255
	v_add_f32_e32 v34, v34, v35
	v_mul_f32_e32 v35, v193, v255
	s_waitcnt vmcnt(0)
	v_fma_f32 v4, v193, v33, -v4
	v_fmac_f32_e32 v35, v194, v33
	v_add_f32_e32 v3, v3, v4
	s_waitcnt lgkmcnt(0)
	v_mul_f32_e32 v4, v196, v32
	v_add_f32_e32 v34, v34, v35
	v_mul_f32_e32 v35, v195, v32
	v_fma_f32 v4, v195, v31, -v4
	v_fmac_f32_e32 v35, v196, v31
	v_add_f32_e32 v3, v3, v4
	v_add_f32_e32 v34, v34, v35
	v_sub_f32_e32 v3, v105, v3
	v_sub_f32_e32 v4, v106, v34
	buffer_store_dword v3, off, s[0:3], 0 offset:40
	buffer_store_dword v4, off, s[0:3], 0 offset:44
	s_and_saveexec_b64 s[4:5], vcc
	s_cbranch_execz .LBB114_311
; %bb.310:
	buffer_load_dword v105, off, s[0:3], 0 offset:32
	buffer_load_dword v106, off, s[0:3], 0 offset:36
	s_waitcnt vmcnt(0)
	ds_write_b64 v103, v[105:106]
	buffer_store_dword v104, off, s[0:3], 0 offset:32
	buffer_store_dword v104, off, s[0:3], 0 offset:36
.LBB114_311:
	s_or_b64 exec, exec, s[4:5]
	s_waitcnt lgkmcnt(0)
	; wave barrier
	buffer_load_dword v113, off, s[0:3], 0 offset:44
	buffer_load_dword v112, off, s[0:3], 0 offset:52
	;; [unrolled: 1-line block ×33, first 2 shown]
	ds_read2_b64 v[114:117], v104 offset0:57 offset1:58
	ds_read2_b64 v[118:121], v104 offset0:59 offset1:60
	;; [unrolled: 1-line block ×6, first 2 shown]
	buffer_load_dword v27, off, s[0:3], 0 offset:160
	buffer_load_dword v28, off, s[0:3], 0 offset:172
	;; [unrolled: 1-line block ×7, first 2 shown]
	ds_read2_b64 v[138:141], v104 offset0:69 offset1:70
	ds_read2_b64 v[142:145], v104 offset0:71 offset1:72
	buffer_load_dword v34, off, s[0:3], 0 offset:192
	buffer_load_dword v35, off, s[0:3], 0 offset:196
	;; [unrolled: 1-line block ×18, first 2 shown]
	v_cmp_lt_u32_e32 vcc, 3, v0
	s_waitcnt vmcnt(57) lgkmcnt(7)
	v_mul_f32_e32 v146, v114, v113
	s_waitcnt vmcnt(56)
	v_mul_f32_e32 v147, v116, v112
	s_waitcnt vmcnt(55) lgkmcnt(6)
	v_mul_f32_e32 v148, v118, v111
	s_waitcnt vmcnt(54)
	v_mul_f32_e32 v149, v120, v110
	;; [unrolled: 4-line block ×6, first 2 shown]
	s_waitcnt vmcnt(45)
	v_fmac_f32_e32 v148, v119, v8
	s_waitcnt vmcnt(44)
	v_fmac_f32_e32 v147, v117, v9
	;; [unrolled: 2-line block ×3, first 2 shown]
	v_add_f32_e32 v146, 0, v146
	v_add_f32_e32 v146, v146, v147
	;; [unrolled: 1-line block ×3, first 2 shown]
	s_waitcnt vmcnt(39)
	v_fmac_f32_e32 v149, v121, v14
	v_fmac_f32_e32 v150, v123, v13
	v_add_f32_e32 v146, v146, v149
	v_fmac_f32_e32 v151, v125, v12
	v_add_f32_e32 v146, v146, v150
	;; [unrolled: 2-line block ×3, first 2 shown]
	s_waitcnt vmcnt(35)
	v_fmac_f32_e32 v153, v129, v18
	v_add_f32_e32 v146, v146, v152
	v_fmac_f32_e32 v154, v131, v17
	v_add_f32_e32 v146, v146, v153
	;; [unrolled: 2-line block ×4, first 2 shown]
	s_waitcnt vmcnt(31)
	v_fmac_f32_e32 v157, v137, v22
	v_add_f32_e32 v146, v146, v156
	s_waitcnt vmcnt(30) lgkmcnt(1)
	v_mul_f32_e32 v147, v138, v23
	v_add_f32_e32 v146, v146, v157
	v_fmac_f32_e32 v147, v139, v21
	v_add_f32_e32 v146, v146, v147
	s_waitcnt vmcnt(29)
	v_mul_f32_e32 v147, v140, v24
	v_fmac_f32_e32 v147, v141, v20
	v_add_f32_e32 v146, v146, v147
	s_waitcnt vmcnt(28) lgkmcnt(0)
	v_mul_f32_e32 v147, v142, v25
	v_fmac_f32_e32 v147, v143, v19
	v_add_f32_e32 v150, v146, v147
	ds_read2_b64 v[146:149], v104 offset0:73 offset1:74
	buffer_load_dword v221, off, s[0:3], 0 offset:264
	buffer_load_dword v222, off, s[0:3], 0 offset:268
	;; [unrolled: 1-line block ×6, first 2 shown]
	s_waitcnt vmcnt(33)
	v_mul_f32_e32 v151, v144, v26
	s_waitcnt vmcnt(30)
	v_fmac_f32_e32 v151, v145, v27
	v_add_f32_e32 v154, v150, v151
	ds_read2_b64 v[150:153], v104 offset0:75 offset1:76
	buffer_load_dword v227, off, s[0:3], 0 offset:288
	buffer_load_dword v228, off, s[0:3], 0 offset:292
	;; [unrolled: 1-line block ×10, first 2 shown]
	s_waitcnt vmcnt(39) lgkmcnt(1)
	v_mul_f32_e32 v155, v146, v28
	buffer_load_dword v237, off, s[0:3], 0 offset:328
	buffer_load_dword v238, off, s[0:3], 0 offset:332
	buffer_load_dword v239, off, s[0:3], 0 offset:340
	buffer_load_dword v240, off, s[0:3], 0 offset:344
	buffer_load_dword v241, off, s[0:3], 0 offset:348
	buffer_load_dword v242, off, s[0:3], 0 offset:336
	s_waitcnt vmcnt(40)
	v_fmac_f32_e32 v155, v147, v33
	v_add_f32_e32 v154, v154, v155
	v_mul_f32_e32 v155, v148, v30
	v_fmac_f32_e32 v155, v149, v29
	v_add_f32_e32 v154, v154, v155
	s_waitcnt lgkmcnt(0)
	v_mul_f32_e32 v155, v150, v32
	v_fmac_f32_e32 v155, v151, v31
	v_add_f32_e32 v158, v154, v155
	ds_read2_b64 v[154:157], v104 offset0:77 offset1:78
	buffer_load_dword v243, off, s[0:3], 0 offset:352
	buffer_load_dword v244, off, s[0:3], 0 offset:356
	s_waitcnt vmcnt(40)
	v_mul_f32_e32 v159, v152, v35
	v_fmac_f32_e32 v159, v153, v34
	v_add_f32_e32 v162, v158, v159
	ds_read2_b64 v[158:161], v104 offset0:79 offset1:80
	buffer_load_dword v245, off, s[0:3], 0 offset:360
	buffer_load_dword v246, off, s[0:3], 0 offset:364
	;; [unrolled: 1-line block ×12, first 2 shown]
	s_waitcnt vmcnt(50) lgkmcnt(1)
	v_mul_f32_e32 v163, v154, v206
	v_fmac_f32_e32 v163, v155, v36
	v_add_f32_e32 v162, v162, v163
	s_waitcnt vmcnt(48)
	v_mul_f32_e32 v163, v156, v208
	v_fmac_f32_e32 v163, v157, v207
	v_add_f32_e32 v38, v162, v163
	s_waitcnt vmcnt(46) lgkmcnt(0)
	v_mul_f32_e32 v162, v158, v210
	v_fmac_f32_e32 v162, v159, v209
	v_add_f32_e32 v38, v38, v162
	ds_read2_b64 v[162:165], v104 offset0:81 offset1:82
	s_waitcnt vmcnt(44)
	v_mul_f32_e32 v166, v160, v212
	v_fmac_f32_e32 v166, v161, v211
	v_add_f32_e32 v38, v38, v166
	ds_read2_b64 v[166:169], v104 offset0:83 offset1:84
	s_waitcnt vmcnt(42) lgkmcnt(1)
	v_mul_f32_e32 v170, v162, v214
	v_fmac_f32_e32 v170, v163, v213
	v_add_f32_e32 v38, v38, v170
	s_waitcnt vmcnt(41)
	v_mul_f32_e32 v170, v164, v215
	s_waitcnt vmcnt(38)
	v_fmac_f32_e32 v170, v165, v218
	v_add_f32_e32 v38, v38, v170
	s_waitcnt lgkmcnt(0)
	v_mul_f32_e32 v170, v166, v217
	v_fmac_f32_e32 v170, v167, v216
	v_add_f32_e32 v38, v38, v170
	ds_read2_b64 v[170:173], v104 offset0:85 offset1:86
	s_waitcnt vmcnt(36)
	v_mul_f32_e32 v174, v168, v220
	v_fmac_f32_e32 v174, v169, v219
	v_add_f32_e32 v38, v38, v174
	ds_read2_b64 v[174:177], v104 offset0:87 offset1:88
	v_mul_f32_e32 v3, v129, v3
	v_fma_f32 v3, v128, v18, -v3
	v_mul_f32_e32 v4, v131, v4
	v_fma_f32 v4, v130, v17, -v4
	s_waitcnt vmcnt(34) lgkmcnt(1)
	v_mul_f32_e32 v178, v170, v222
	v_fmac_f32_e32 v178, v171, v221
	v_add_f32_e32 v38, v38, v178
	s_waitcnt vmcnt(33)
	v_mul_f32_e32 v178, v172, v223
	s_waitcnt vmcnt(30)
	v_fmac_f32_e32 v178, v173, v226
	v_add_f32_e32 v38, v38, v178
	s_waitcnt lgkmcnt(0)
	v_mul_f32_e32 v178, v174, v225
	v_fmac_f32_e32 v178, v175, v224
	v_add_f32_e32 v38, v38, v178
	ds_read2_b64 v[178:181], v104 offset0:89 offset1:90
	s_waitcnt vmcnt(28)
	v_mul_f32_e32 v182, v176, v228
	v_fmac_f32_e32 v182, v177, v227
	v_add_f32_e32 v38, v38, v182
	ds_read2_b64 v[182:185], v104 offset0:91 offset1:92
	s_waitcnt vmcnt(26) lgkmcnt(1)
	v_mul_f32_e32 v186, v178, v230
	v_fmac_f32_e32 v186, v179, v229
	v_add_f32_e32 v38, v38, v186
	s_waitcnt vmcnt(25)
	v_mul_f32_e32 v186, v180, v231
	s_waitcnt vmcnt(22)
	v_fmac_f32_e32 v186, v181, v234
	v_add_f32_e32 v38, v38, v186
	s_waitcnt lgkmcnt(0)
	v_mul_f32_e32 v186, v182, v233
	v_fmac_f32_e32 v186, v183, v232
	v_add_f32_e32 v38, v38, v186
	ds_read2_b64 v[186:189], v104 offset0:93 offset1:94
	s_waitcnt vmcnt(20)
	v_mul_f32_e32 v190, v184, v236
	v_fmac_f32_e32 v190, v185, v235
	v_add_f32_e32 v38, v38, v190
	ds_read2_b64 v[190:193], v104 offset0:95 offset1:96
	;; [unrolled: 19-line block ×3, first 2 shown]
	s_waitcnt vmcnt(10) lgkmcnt(1)
	v_mul_f32_e32 v202, v194, v246
	v_fmac_f32_e32 v202, v195, v245
	v_add_f32_e32 v38, v38, v202
	s_waitcnt vmcnt(9)
	v_mul_f32_e32 v202, v196, v247
	s_waitcnt vmcnt(6)
	v_fmac_f32_e32 v202, v197, v250
	v_add_f32_e32 v38, v38, v202
	ds_read2_b64 v[202:205], v104 offset0:101 offset1:102
	s_waitcnt lgkmcnt(1)
	v_mul_f32_e32 v39, v198, v249
	v_fmac_f32_e32 v39, v199, v248
	v_add_f32_e32 v38, v38, v39
	s_waitcnt vmcnt(4)
	v_mul_f32_e32 v39, v200, v252
	v_fmac_f32_e32 v39, v201, v251
	v_add_f32_e32 v38, v38, v39
	s_waitcnt vmcnt(3) lgkmcnt(0)
	v_mul_f32_e32 v39, v202, v253
	s_waitcnt vmcnt(0)
	v_fmac_f32_e32 v39, v203, v37
	v_add_f32_e32 v38, v38, v39
	v_mul_f32_e32 v39, v204, v255
	v_fmac_f32_e32 v39, v205, v254
	v_add_f32_e32 v38, v38, v39
	v_mul_f32_e32 v39, v115, v113
	v_fma_f32 v10, v114, v10, -v39
	v_mul_f32_e32 v39, v117, v112
	v_add_f32_e32 v10, 0, v10
	v_fma_f32 v9, v116, v9, -v39
	v_add_f32_e32 v9, v10, v9
	v_mul_f32_e32 v10, v119, v111
	v_fma_f32 v8, v118, v8, -v10
	v_add_f32_e32 v8, v9, v8
	v_mul_f32_e32 v9, v121, v110
	;; [unrolled: 3-line block ×5, first 2 shown]
	v_fma_f32 v9, v126, v11, -v9
	v_add_f32_e32 v8, v8, v9
	v_add_f32_e32 v3, v8, v3
	;; [unrolled: 1-line block ×3, first 2 shown]
	v_mul_f32_e32 v4, v133, v5
	v_fma_f32 v4, v132, v16, -v4
	v_add_f32_e32 v3, v3, v4
	v_mul_f32_e32 v4, v135, v6
	v_fma_f32 v4, v134, v15, -v4
	v_add_f32_e32 v3, v3, v4
	;; [unrolled: 3-line block ×37, first 2 shown]
	v_sub_f32_e32 v3, v105, v3
	v_sub_f32_e32 v4, v106, v38
	buffer_store_dword v3, off, s[0:3], 0 offset:32
	buffer_store_dword v4, off, s[0:3], 0 offset:36
	s_and_saveexec_b64 s[4:5], vcc
	s_cbranch_execz .LBB114_313
; %bb.312:
	buffer_load_dword v104, off, s[0:3], 0 offset:24
	buffer_load_dword v105, off, s[0:3], 0 offset:28
	v_mov_b32_e32 v3, 0
	buffer_store_dword v3, off, s[0:3], 0 offset:24
	buffer_store_dword v3, off, s[0:3], 0 offset:28
	s_waitcnt vmcnt(2)
	ds_write_b64 v103, v[104:105]
.LBB114_313:
	s_or_b64 exec, exec, s[4:5]
	s_waitcnt lgkmcnt(0)
	; wave barrier
	buffer_load_dword v111, off, s[0:3], 0 offset:36
	buffer_load_dword v110, off, s[0:3], 0 offset:44
	;; [unrolled: 1-line block ×48, first 2 shown]
	v_mov_b32_e32 v104, 0
	ds_read_b128 v[114:117], v104 offset:448
	ds_read_b128 v[118:121], v104 offset:464
	;; [unrolled: 1-line block ×7, first 2 shown]
	v_cmp_lt_u32_e32 vcc, 2, v0
	s_waitcnt vmcnt(47) lgkmcnt(6)
	v_mul_f32_e32 v142, v114, v111
	s_waitcnt vmcnt(46)
	v_mul_f32_e32 v143, v116, v110
	s_waitcnt vmcnt(45) lgkmcnt(5)
	v_mul_f32_e32 v144, v118, v109
	s_waitcnt vmcnt(44)
	v_mul_f32_e32 v145, v120, v108
	;; [unrolled: 4-line block ×6, first 2 shown]
	s_waitcnt vmcnt(35)
	v_fmac_f32_e32 v144, v119, v8
	s_waitcnt vmcnt(34)
	v_fmac_f32_e32 v143, v117, v9
	;; [unrolled: 2-line block ×3, first 2 shown]
	v_add_f32_e32 v142, 0, v142
	v_add_f32_e32 v142, v142, v143
	;; [unrolled: 1-line block ×3, first 2 shown]
	s_waitcnt vmcnt(29)
	v_fmac_f32_e32 v145, v121, v14
	v_fmac_f32_e32 v146, v123, v13
	v_add_f32_e32 v142, v142, v145
	v_fmac_f32_e32 v147, v125, v12
	v_add_f32_e32 v142, v142, v146
	v_fmac_f32_e32 v148, v127, v11
	v_add_f32_e32 v142, v142, v147
	s_waitcnt vmcnt(25)
	v_fmac_f32_e32 v149, v129, v18
	v_add_f32_e32 v142, v142, v148
	v_fmac_f32_e32 v150, v131, v17
	v_add_f32_e32 v142, v142, v149
	;; [unrolled: 2-line block ×4, first 2 shown]
	s_waitcnt vmcnt(21)
	v_fmac_f32_e32 v153, v137, v22
	v_add_f32_e32 v142, v142, v152
	v_add_f32_e32 v146, v142, v153
	ds_read_b128 v[142:145], v104 offset:560
	buffer_load_dword v209, off, s[0:3], 0 offset:216
	buffer_load_dword v210, off, s[0:3], 0 offset:220
	;; [unrolled: 1-line block ×8, first 2 shown]
	s_waitcnt vmcnt(28) lgkmcnt(1)
	v_mul_f32_e32 v147, v138, v23
	buffer_load_dword v217, off, s[0:3], 0 offset:248
	buffer_load_dword v218, off, s[0:3], 0 offset:252
	v_fmac_f32_e32 v147, v139, v21
	v_add_f32_e32 v146, v146, v147
	s_waitcnt vmcnt(29)
	v_mul_f32_e32 v147, v140, v24
	v_fmac_f32_e32 v147, v141, v20
	v_add_f32_e32 v146, v146, v147
	s_waitcnt vmcnt(28) lgkmcnt(0)
	v_mul_f32_e32 v147, v142, v25
	v_fmac_f32_e32 v147, v143, v19
	v_add_f32_e32 v150, v146, v147
	ds_read_b128 v[146:149], v104 offset:576
	buffer_load_dword v219, off, s[0:3], 0 offset:256
	buffer_load_dword v220, off, s[0:3], 0 offset:260
	;; [unrolled: 1-line block ×6, first 2 shown]
	s_waitcnt vmcnt(33)
	v_mul_f32_e32 v151, v144, v26
	s_waitcnt vmcnt(26)
	v_fmac_f32_e32 v151, v145, v33
	v_add_f32_e32 v154, v150, v151
	ds_read_b128 v[150:153], v104 offset:592
	buffer_load_dword v225, off, s[0:3], 0 offset:280
	buffer_load_dword v226, off, s[0:3], 0 offset:284
	;; [unrolled: 1-line block ×8, first 2 shown]
	s_waitcnt lgkmcnt(1)
	v_mul_f32_e32 v155, v146, v28
	buffer_load_dword v233, off, s[0:3], 0 offset:312
	buffer_load_dword v234, off, s[0:3], 0 offset:316
	v_fmac_f32_e32 v155, v147, v27
	v_add_f32_e32 v154, v154, v155
	v_mul_f32_e32 v155, v148, v30
	v_fmac_f32_e32 v155, v149, v29
	v_add_f32_e32 v154, v154, v155
	s_waitcnt lgkmcnt(0)
	v_mul_f32_e32 v155, v150, v32
	v_fmac_f32_e32 v155, v151, v31
	v_add_f32_e32 v158, v154, v155
	ds_read_b128 v[154:157], v104 offset:608
	buffer_load_dword v235, off, s[0:3], 0 offset:320
	buffer_load_dword v236, off, s[0:3], 0 offset:324
	;; [unrolled: 1-line block ×6, first 2 shown]
	s_waitcnt vmcnt(38)
	v_mul_f32_e32 v159, v152, v35
	v_fmac_f32_e32 v159, v153, v34
	v_add_f32_e32 v162, v158, v159
	ds_read_b128 v[158:161], v104 offset:624
	buffer_load_dword v241, off, s[0:3], 0 offset:344
	buffer_load_dword v242, off, s[0:3], 0 offset:348
	buffer_load_dword v243, off, s[0:3], 0 offset:352
	buffer_load_dword v244, off, s[0:3], 0 offset:356
	buffer_load_dword v245, off, s[0:3], 0 offset:364
	buffer_load_dword v246, off, s[0:3], 0 offset:368
	buffer_load_dword v247, off, s[0:3], 0 offset:372
	buffer_load_dword v248, off, s[0:3], 0 offset:360
	buffer_load_dword v249, off, s[0:3], 0 offset:376
	buffer_load_dword v250, off, s[0:3], 0 offset:380
	buffer_load_dword v251, off, s[0:3], 0 offset:384
	buffer_load_dword v252, off, s[0:3], 0 offset:388
	buffer_load_dword v253, off, s[0:3], 0 offset:396
	buffer_load_dword v254, off, s[0:3], 0 offset:400
	buffer_load_dword v255, off, s[0:3], 0 offset:404
	buffer_load_dword v41, off, s[0:3], 0 offset:392
	s_waitcnt vmcnt(52) lgkmcnt(1)
	v_mul_f32_e32 v163, v154, v37
	v_fmac_f32_e32 v163, v155, v36
	v_add_f32_e32 v162, v162, v163
	s_waitcnt vmcnt(50)
	v_mul_f32_e32 v163, v156, v39
	v_fmac_f32_e32 v163, v157, v38
	v_add_f32_e32 v162, v162, v163
	s_waitcnt vmcnt(48) lgkmcnt(0)
	v_mul_f32_e32 v163, v158, v208
	v_fmac_f32_e32 v163, v159, v40
	v_add_f32_e32 v166, v162, v163
	ds_read_b128 v[162:165], v104 offset:640
	v_mul_f32_e32 v3, v129, v3
	v_fma_f32 v3, v128, v18, -v3
	v_mul_f32_e32 v4, v131, v4
	v_fma_f32 v4, v130, v17, -v4
	s_waitcnt vmcnt(46)
	v_mul_f32_e32 v42, v160, v210
	v_fmac_f32_e32 v42, v161, v209
	v_add_f32_e32 v42, v166, v42
	ds_read_b128 v[166:169], v104 offset:656
	s_waitcnt vmcnt(44) lgkmcnt(1)
	v_mul_f32_e32 v170, v162, v212
	v_fmac_f32_e32 v170, v163, v211
	v_add_f32_e32 v42, v42, v170
	s_waitcnt vmcnt(43)
	v_mul_f32_e32 v170, v164, v213
	s_waitcnt vmcnt(40)
	v_fmac_f32_e32 v170, v165, v216
	v_add_f32_e32 v42, v42, v170
	s_waitcnt lgkmcnt(0)
	v_mul_f32_e32 v170, v166, v215
	v_fmac_f32_e32 v170, v167, v214
	v_add_f32_e32 v42, v42, v170
	ds_read_b128 v[170:173], v104 offset:672
	s_waitcnt vmcnt(38)
	v_mul_f32_e32 v174, v168, v218
	v_fmac_f32_e32 v174, v169, v217
	v_add_f32_e32 v42, v42, v174
	ds_read_b128 v[174:177], v104 offset:688
	s_waitcnt vmcnt(36) lgkmcnt(1)
	v_mul_f32_e32 v178, v170, v220
	v_fmac_f32_e32 v178, v171, v219
	v_add_f32_e32 v42, v42, v178
	s_waitcnt vmcnt(35)
	v_mul_f32_e32 v178, v172, v221
	s_waitcnt vmcnt(32)
	v_fmac_f32_e32 v178, v173, v224
	v_add_f32_e32 v42, v42, v178
	s_waitcnt lgkmcnt(0)
	v_mul_f32_e32 v178, v174, v223
	v_fmac_f32_e32 v178, v175, v222
	v_add_f32_e32 v42, v42, v178
	ds_read_b128 v[178:181], v104 offset:704
	;; [unrolled: 19-line block ×5, first 2 shown]
	s_waitcnt vmcnt(6)
	v_mul_f32_e32 v206, v200, v250
	v_fmac_f32_e32 v206, v201, v249
	v_add_f32_e32 v42, v42, v206
	ds_read_b64 v[206:207], v104 offset:816
	s_waitcnt vmcnt(4) lgkmcnt(1)
	v_mul_f32_e32 v43, v202, v252
	v_fmac_f32_e32 v43, v203, v251
	v_add_f32_e32 v42, v42, v43
	s_waitcnt vmcnt(3)
	v_mul_f32_e32 v43, v204, v253
	s_waitcnt vmcnt(0)
	v_fmac_f32_e32 v43, v205, v41
	v_add_f32_e32 v42, v42, v43
	s_waitcnt lgkmcnt(0)
	v_mul_f32_e32 v43, v206, v255
	v_fmac_f32_e32 v43, v207, v254
	v_add_f32_e32 v42, v42, v43
	v_mul_f32_e32 v43, v115, v111
	v_fma_f32 v10, v114, v10, -v43
	v_mul_f32_e32 v43, v117, v110
	v_add_f32_e32 v10, 0, v10
	v_fma_f32 v9, v116, v9, -v43
	v_add_f32_e32 v9, v10, v9
	v_mul_f32_e32 v10, v119, v109
	v_fma_f32 v8, v118, v8, -v10
	v_add_f32_e32 v8, v9, v8
	v_mul_f32_e32 v9, v121, v108
	;; [unrolled: 3-line block ×5, first 2 shown]
	v_fma_f32 v9, v126, v11, -v9
	v_add_f32_e32 v8, v8, v9
	v_add_f32_e32 v3, v8, v3
	;; [unrolled: 1-line block ×3, first 2 shown]
	v_mul_f32_e32 v4, v133, v5
	v_fma_f32 v4, v132, v16, -v4
	v_add_f32_e32 v3, v3, v4
	v_mul_f32_e32 v4, v135, v6
	v_fma_f32 v4, v134, v15, -v4
	v_add_f32_e32 v3, v3, v4
	;; [unrolled: 3-line block ×38, first 2 shown]
	v_sub_f32_e32 v3, v112, v3
	v_sub_f32_e32 v4, v113, v42
	buffer_store_dword v3, off, s[0:3], 0 offset:24
	buffer_store_dword v4, off, s[0:3], 0 offset:28
	s_and_saveexec_b64 s[4:5], vcc
	s_cbranch_execz .LBB114_315
; %bb.314:
	buffer_load_dword v105, off, s[0:3], 0 offset:16
	buffer_load_dword v106, off, s[0:3], 0 offset:20
	s_waitcnt vmcnt(0)
	ds_write_b64 v103, v[105:106]
	buffer_store_dword v104, off, s[0:3], 0 offset:16
	buffer_store_dword v104, off, s[0:3], 0 offset:20
.LBB114_315:
	s_or_b64 exec, exec, s[4:5]
	s_waitcnt lgkmcnt(0)
	; wave barrier
	buffer_load_dword v111, off, s[0:3], 0 offset:28
	buffer_load_dword v110, off, s[0:3], 0 offset:36
	;; [unrolled: 1-line block ×40, first 2 shown]
	ds_read2_b64 v[142:145], v104 offset0:55 offset1:56
	ds_read2_b64 v[146:149], v104 offset0:57 offset1:58
	;; [unrolled: 1-line block ×7, first 2 shown]
	buffer_load_dword v6, off, s[0:3], 0 offset:176
	buffer_load_dword v7, off, s[0:3], 0 offset:180
	;; [unrolled: 1-line block ×8, first 2 shown]
	v_cmp_lt_u32_e32 vcc, 1, v0
	s_waitcnt vmcnt(47) lgkmcnt(6)
	v_mul_f32_e32 v14, v142, v111
	s_waitcnt vmcnt(46)
	v_mul_f32_e32 v15, v144, v110
	s_waitcnt vmcnt(45) lgkmcnt(5)
	v_mul_f32_e32 v16, v146, v109
	s_waitcnt vmcnt(44)
	v_mul_f32_e32 v17, v148, v108
	;; [unrolled: 4-line block ×6, first 2 shown]
	s_waitcnt vmcnt(35)
	v_fmac_f32_e32 v16, v147, v124
	s_waitcnt vmcnt(34)
	v_fmac_f32_e32 v15, v145, v127
	;; [unrolled: 2-line block ×3, first 2 shown]
	v_add_f32_e32 v14, 0, v14
	v_add_f32_e32 v14, v14, v15
	;; [unrolled: 1-line block ×3, first 2 shown]
	buffer_load_dword v15, off, s[0:3], 0 offset:208
	buffer_load_dword v16, off, s[0:3], 0 offset:212
	s_waitcnt vmcnt(31)
	v_fmac_f32_e32 v17, v149, v129
	v_fmac_f32_e32 v18, v151, v126
	v_add_f32_e32 v14, v14, v17
	v_fmac_f32_e32 v19, v153, v123
	v_add_f32_e32 v14, v14, v18
	;; [unrolled: 2-line block ×3, first 2 shown]
	s_waitcnt vmcnt(27)
	v_fmac_f32_e32 v21, v157, v125
	v_add_f32_e32 v14, v14, v20
	v_fmac_f32_e32 v22, v159, v122
	v_add_f32_e32 v14, v14, v21
	;; [unrolled: 2-line block ×4, first 2 shown]
	ds_read2_b64 v[170:173], v104 offset0:69 offset1:70
	s_waitcnt vmcnt(23)
	v_fmac_f32_e32 v25, v165, v137
	v_add_f32_e32 v14, v14, v24
	s_waitcnt vmcnt(22) lgkmcnt(1)
	v_mul_f32_e32 v17, v166, v136
	v_add_f32_e32 v14, v14, v25
	v_fmac_f32_e32 v17, v167, v133
	v_add_f32_e32 v14, v14, v17
	s_waitcnt vmcnt(21)
	v_mul_f32_e32 v17, v168, v134
	v_fmac_f32_e32 v17, v169, v131
	v_add_f32_e32 v14, v14, v17
	s_waitcnt vmcnt(20) lgkmcnt(0)
	v_mul_f32_e32 v17, v170, v132
	v_fmac_f32_e32 v17, v171, v128
	v_add_f32_e32 v14, v14, v17
	buffer_load_dword v17, off, s[0:3], 0 offset:216
	buffer_load_dword v18, off, s[0:3], 0 offset:220
	;; [unrolled: 1-line block ×6, first 2 shown]
	s_waitcnt vmcnt(25)
	v_mul_f32_e32 v23, v172, v135
	s_waitcnt vmcnt(18)
	v_fmac_f32_e32 v23, v173, v5
	ds_read2_b64 v[174:177], v104 offset0:71 offset1:72
	v_add_f32_e32 v14, v14, v23
	buffer_load_dword v23, off, s[0:3], 0 offset:240
	buffer_load_dword v24, off, s[0:3], 0 offset:244
	ds_read2_b64 v[178:181], v104 offset0:73 offset1:74
	buffer_load_dword v26, off, s[0:3], 0 offset:248
	buffer_load_dword v27, off, s[0:3], 0 offset:252
	;; [unrolled: 1-line block ×14, first 2 shown]
	s_waitcnt lgkmcnt(1)
	v_mul_f32_e32 v25, v174, v139
	v_fmac_f32_e32 v25, v175, v138
	v_add_f32_e32 v14, v14, v25
	v_mul_f32_e32 v25, v176, v141
	buffer_load_dword v40, off, s[0:3], 0 offset:304
	buffer_load_dword v41, off, s[0:3], 0 offset:308
	v_fmac_f32_e32 v25, v177, v140
	v_add_f32_e32 v14, v14, v25
	s_waitcnt lgkmcnt(0)
	v_mul_f32_e32 v25, v178, v4
	v_fmac_f32_e32 v25, v179, v3
	v_add_f32_e32 v14, v14, v25
	s_waitcnt vmcnt(32)
	v_mul_f32_e32 v25, v180, v7
	v_fmac_f32_e32 v25, v181, v6
	ds_read2_b64 v[182:185], v104 offset0:75 offset1:76
	v_add_f32_e32 v14, v14, v25
	buffer_load_dword v25, off, s[0:3], 0 offset:312
	buffer_load_dword v42, off, s[0:3], 0 offset:316
	;; [unrolled: 1-line block ×6, first 2 shown]
	ds_read2_b64 v[186:189], v104 offset0:77 offset1:78
	buffer_load_dword v240, off, s[0:3], 0 offset:336
	buffer_load_dword v241, off, s[0:3], 0 offset:340
	;; [unrolled: 1-line block ×10, first 2 shown]
	s_waitcnt vmcnt(46) lgkmcnt(1)
	v_mul_f32_e32 v190, v182, v9
	v_fmac_f32_e32 v190, v183, v8
	v_add_f32_e32 v14, v14, v190
	s_waitcnt vmcnt(44)
	v_mul_f32_e32 v190, v184, v11
	v_fmac_f32_e32 v190, v185, v10
	v_add_f32_e32 v14, v14, v190
	s_waitcnt vmcnt(42) lgkmcnt(0)
	v_mul_f32_e32 v190, v186, v13
	buffer_load_dword v250, off, s[0:3], 0 offset:376
	buffer_load_dword v251, off, s[0:3], 0 offset:380
	buffer_load_dword v252, off, s[0:3], 0 offset:388
	buffer_load_dword v253, off, s[0:3], 0 offset:392
	buffer_load_dword v254, off, s[0:3], 0 offset:396
	buffer_load_dword v255, off, s[0:3], 0 offset:384
	v_fmac_f32_e32 v190, v187, v12
	v_add_f32_e32 v14, v14, v190
	ds_read2_b64 v[190:193], v104 offset0:79 offset1:80
	v_mul_f32_e32 v110, v145, v110
	v_fma_f32 v110, v144, v127, -v110
	v_mul_f32_e32 v109, v147, v109
	v_fma_f32 v109, v146, v124, -v109
	;; [unrolled: 2-line block ×5, first 2 shown]
	v_mul_f32_e32 v105, v155, v105
	s_waitcnt vmcnt(46)
	v_mul_f32_e32 v194, v188, v16
	v_fmac_f32_e32 v194, v189, v15
	v_add_f32_e32 v14, v14, v194
	ds_read2_b64 v[194:197], v104 offset0:81 offset1:82
	buffer_load_dword v45, off, s[0:3], 0 offset:400
	buffer_load_dword v46, off, s[0:3], 0 offset:404
	v_fma_f32 v105, v154, v121, -v105
	v_mul_f32_e32 v4, v179, v4
	v_fma_f32 v3, v178, v3, -v4
	v_mul_f32_e32 v4, v181, v7
	v_fma_f32 v4, v180, v6, -v4
	s_waitcnt vmcnt(46) lgkmcnt(1)
	v_mul_f32_e32 v198, v190, v18
	v_fmac_f32_e32 v198, v191, v17
	v_add_f32_e32 v14, v14, v198
	s_waitcnt vmcnt(45)
	v_mul_f32_e32 v198, v192, v19
	s_waitcnt vmcnt(42)
	v_fmac_f32_e32 v198, v193, v22
	v_add_f32_e32 v14, v14, v198
	s_waitcnt lgkmcnt(0)
	v_mul_f32_e32 v198, v194, v21
	v_fmac_f32_e32 v198, v195, v20
	v_add_f32_e32 v14, v14, v198
	ds_read2_b64 v[198:201], v104 offset0:83 offset1:84
	s_waitcnt vmcnt(40)
	v_mul_f32_e32 v202, v196, v24
	v_fmac_f32_e32 v202, v197, v23
	v_add_f32_e32 v14, v14, v202
	ds_read2_b64 v[202:205], v104 offset0:85 offset1:86
	s_waitcnt vmcnt(38) lgkmcnt(1)
	v_mul_f32_e32 v206, v198, v27
	v_fmac_f32_e32 v206, v199, v26
	v_add_f32_e32 v14, v14, v206
	s_waitcnt vmcnt(37)
	v_mul_f32_e32 v206, v200, v28
	s_waitcnt vmcnt(34)
	v_fmac_f32_e32 v206, v201, v31
	v_add_f32_e32 v14, v14, v206
	s_waitcnt lgkmcnt(0)
	v_mul_f32_e32 v206, v202, v30
	v_fmac_f32_e32 v206, v203, v29
	v_add_f32_e32 v14, v14, v206
	ds_read2_b64 v[206:209], v104 offset0:87 offset1:88
	s_waitcnt vmcnt(32)
	v_mul_f32_e32 v210, v204, v33
	v_fmac_f32_e32 v210, v205, v32
	v_add_f32_e32 v14, v14, v210
	ds_read2_b64 v[210:213], v104 offset0:89 offset1:90
	;; [unrolled: 19-line block ×5, first 2 shown]
	s_waitcnt vmcnt(6) lgkmcnt(1)
	v_mul_f32_e32 v104, v230, v251
	v_fmac_f32_e32 v104, v231, v250
	v_add_f32_e32 v14, v14, v104
	s_waitcnt vmcnt(5)
	v_mul_f32_e32 v104, v232, v252
	s_waitcnt vmcnt(2)
	v_fmac_f32_e32 v104, v233, v255
	v_add_f32_e32 v14, v14, v104
	s_waitcnt lgkmcnt(0)
	v_mul_f32_e32 v104, v234, v254
	v_fmac_f32_e32 v104, v235, v253
	v_add_f32_e32 v14, v14, v104
	s_waitcnt vmcnt(0)
	v_mul_f32_e32 v104, v236, v46
	v_fmac_f32_e32 v104, v237, v45
	v_add_f32_e32 v14, v14, v104
	v_mul_f32_e32 v104, v143, v111
	v_fma_f32 v104, v142, v130, -v104
	v_add_f32_e32 v104, 0, v104
	v_add_f32_e32 v104, v104, v110
	;; [unrolled: 1-line block ×7, first 2 shown]
	v_mul_f32_e32 v105, v157, v114
	v_fma_f32 v105, v156, v125, -v105
	v_add_f32_e32 v104, v104, v105
	v_mul_f32_e32 v105, v159, v115
	v_fma_f32 v105, v158, v122, -v105
	v_add_f32_e32 v104, v104, v105
	;; [unrolled: 3-line block ×11, first 2 shown]
	v_add_f32_e32 v3, v5, v3
	v_add_f32_e32 v3, v3, v4
	v_mul_f32_e32 v4, v183, v9
	v_fma_f32 v4, v182, v8, -v4
	v_add_f32_e32 v3, v3, v4
	v_mul_f32_e32 v4, v185, v11
	v_fma_f32 v4, v184, v10, -v4
	v_add_f32_e32 v3, v3, v4
	v_mul_f32_e32 v4, v187, v13
	v_fma_f32 v4, v186, v12, -v4
	v_add_f32_e32 v3, v3, v4
	v_mul_f32_e32 v4, v189, v16
	v_fma_f32 v4, v188, v15, -v4
	v_add_f32_e32 v3, v3, v4
	v_mul_f32_e32 v4, v191, v18
	v_fma_f32 v4, v190, v17, -v4
	v_add_f32_e32 v3, v3, v4
	v_mul_f32_e32 v4, v193, v19
	v_fma_f32 v4, v192, v22, -v4
	v_add_f32_e32 v3, v3, v4
	v_mul_f32_e32 v4, v195, v21
	v_fma_f32 v4, v194, v20, -v4
	v_add_f32_e32 v3, v3, v4
	v_mul_f32_e32 v4, v197, v24
	v_fma_f32 v4, v196, v23, -v4
	v_add_f32_e32 v3, v3, v4
	v_mul_f32_e32 v4, v199, v27
	v_fma_f32 v4, v198, v26, -v4
	v_add_f32_e32 v3, v3, v4
	v_mul_f32_e32 v4, v201, v28
	v_fma_f32 v4, v200, v31, -v4
	v_add_f32_e32 v3, v3, v4
	v_mul_f32_e32 v4, v203, v30
	v_fma_f32 v4, v202, v29, -v4
	v_add_f32_e32 v3, v3, v4
	v_mul_f32_e32 v4, v205, v33
	v_fma_f32 v4, v204, v32, -v4
	v_add_f32_e32 v3, v3, v4
	v_mul_f32_e32 v4, v207, v35
	v_fma_f32 v4, v206, v34, -v4
	v_add_f32_e32 v3, v3, v4
	v_mul_f32_e32 v4, v209, v36
	v_fma_f32 v4, v208, v39, -v4
	v_add_f32_e32 v3, v3, v4
	v_mul_f32_e32 v4, v211, v38
	v_fma_f32 v4, v210, v37, -v4
	v_add_f32_e32 v3, v3, v4
	v_mul_f32_e32 v4, v213, v41
	v_fma_f32 v4, v212, v40, -v4
	v_add_f32_e32 v3, v3, v4
	v_mul_f32_e32 v4, v215, v42
	v_fma_f32 v4, v214, v25, -v4
	v_add_f32_e32 v3, v3, v4
	v_mul_f32_e32 v4, v217, v43
	v_fma_f32 v4, v216, v239, -v4
	v_add_f32_e32 v3, v3, v4
	v_mul_f32_e32 v4, v219, v238
	v_fma_f32 v4, v218, v44, -v4
	v_add_f32_e32 v3, v3, v4
	v_mul_f32_e32 v4, v221, v241
	v_fma_f32 v4, v220, v240, -v4
	v_add_f32_e32 v3, v3, v4
	v_mul_f32_e32 v4, v223, v243
	v_fma_f32 v4, v222, v242, -v4
	v_add_f32_e32 v3, v3, v4
	v_mul_f32_e32 v4, v225, v244
	v_fma_f32 v4, v224, v247, -v4
	v_add_f32_e32 v3, v3, v4
	v_mul_f32_e32 v4, v227, v246
	v_fma_f32 v4, v226, v245, -v4
	v_add_f32_e32 v3, v3, v4
	v_mul_f32_e32 v4, v229, v249
	v_fma_f32 v4, v228, v248, -v4
	v_add_f32_e32 v3, v3, v4
	v_mul_f32_e32 v4, v231, v251
	v_fma_f32 v4, v230, v250, -v4
	v_add_f32_e32 v3, v3, v4
	v_mul_f32_e32 v4, v233, v252
	v_fma_f32 v4, v232, v255, -v4
	v_add_f32_e32 v3, v3, v4
	v_mul_f32_e32 v4, v235, v254
	v_fma_f32 v4, v234, v253, -v4
	v_add_f32_e32 v3, v3, v4
	v_mul_f32_e32 v4, v237, v46
	v_fma_f32 v4, v236, v45, -v4
	v_add_f32_e32 v3, v3, v4
	v_sub_f32_e32 v3, v112, v3
	v_sub_f32_e32 v4, v113, v14
	buffer_store_dword v3, off, s[0:3], 0 offset:16
	buffer_store_dword v4, off, s[0:3], 0 offset:20
	s_and_saveexec_b64 s[4:5], vcc
	s_cbranch_execz .LBB114_317
; %bb.316:
	buffer_load_dword v104, off, s[0:3], 0 offset:8
	buffer_load_dword v105, off, s[0:3], 0 offset:12
	v_mov_b32_e32 v3, 0
	buffer_store_dword v3, off, s[0:3], 0 offset:8
	buffer_store_dword v3, off, s[0:3], 0 offset:12
	s_waitcnt vmcnt(2)
	ds_write_b64 v103, v[104:105]
.LBB114_317:
	s_or_b64 exec, exec, s[4:5]
	s_waitcnt lgkmcnt(0)
	; wave barrier
	buffer_load_dword v111, off, s[0:3], 0 offset:20
	buffer_load_dword v110, off, s[0:3], 0 offset:28
	;; [unrolled: 1-line block ×50, first 2 shown]
	v_mov_b32_e32 v104, 0
	ds_read_b128 v[118:121], v104 offset:432
	ds_read_b128 v[122:125], v104 offset:448
	;; [unrolled: 1-line block ×7, first 2 shown]
	v_cmp_ne_u32_e32 vcc, 0, v0
	s_waitcnt vmcnt(49) lgkmcnt(6)
	v_mul_f32_e32 v40, v118, v111
	s_waitcnt vmcnt(48)
	v_mul_f32_e32 v41, v120, v110
	s_waitcnt vmcnt(47) lgkmcnt(5)
	v_mul_f32_e32 v42, v122, v109
	s_waitcnt vmcnt(46)
	v_mul_f32_e32 v43, v124, v108
	;; [unrolled: 4-line block ×5, first 2 shown]
	s_waitcnt vmcnt(39) lgkmcnt(1)
	v_mul_f32_e32 v149, v138, v117
	s_waitcnt vmcnt(38)
	v_fmac_f32_e32 v42, v123, v3
	s_waitcnt vmcnt(37)
	v_fmac_f32_e32 v41, v121, v4
	;; [unrolled: 2-line block ×3, first 2 shown]
	v_add_f32_e32 v40, 0, v40
	v_add_f32_e32 v40, v40, v41
	;; [unrolled: 1-line block ×3, first 2 shown]
	s_waitcnt vmcnt(32)
	v_fmac_f32_e32 v43, v125, v9
	v_fmac_f32_e32 v44, v127, v8
	v_add_f32_e32 v40, v40, v43
	v_fmac_f32_e32 v45, v129, v7
	v_add_f32_e32 v40, v40, v44
	;; [unrolled: 2-line block ×3, first 2 shown]
	s_waitcnt vmcnt(28)
	v_fmac_f32_e32 v146, v133, v13
	v_add_f32_e32 v40, v40, v46
	v_fmac_f32_e32 v147, v135, v12
	v_add_f32_e32 v40, v40, v146
	;; [unrolled: 2-line block ×4, first 2 shown]
	s_waitcnt vmcnt(27)
	v_mul_f32_e32 v41, v140, v14
	v_add_f32_e32 v40, v40, v149
	s_waitcnt vmcnt(23)
	v_fmac_f32_e32 v41, v141, v18
	v_add_f32_e32 v40, v40, v41
	s_waitcnt vmcnt(22) lgkmcnt(0)
	v_mul_f32_e32 v41, v142, v19
	v_fmac_f32_e32 v41, v143, v17
	ds_read_b128 v[146:149], v104 offset:544
	v_add_f32_e32 v40, v40, v41
	buffer_load_dword v41, off, s[0:3], 0 offset:208
	buffer_load_dword v42, off, s[0:3], 0 offset:212
	ds_read_b128 v[150:153], v104 offset:560
	buffer_load_dword v44, off, s[0:3], 0 offset:220
	buffer_load_dword v45, off, s[0:3], 0 offset:224
	;; [unrolled: 1-line block ×4, first 2 shown]
	s_waitcnt vmcnt(27)
	v_mul_f32_e32 v43, v144, v20
	v_fmac_f32_e32 v43, v145, v16
	v_add_f32_e32 v40, v40, v43
	s_waitcnt vmcnt(26) lgkmcnt(1)
	v_mul_f32_e32 v43, v146, v21
	ds_read_b128 v[154:157], v104 offset:576
	buffer_load_dword v217, off, s[0:3], 0 offset:232
	buffer_load_dword v218, off, s[0:3], 0 offset:236
	v_fmac_f32_e32 v43, v147, v15
	v_add_f32_e32 v40, v40, v43
	s_waitcnt vmcnt(27)
	v_mul_f32_e32 v43, v148, v22
	s_waitcnt vmcnt(21)
	v_fmac_f32_e32 v43, v149, v28
	v_add_f32_e32 v40, v40, v43
	s_waitcnt vmcnt(20) lgkmcnt(1)
	v_mul_f32_e32 v43, v150, v29
	v_fmac_f32_e32 v43, v151, v27
	v_add_f32_e32 v40, v40, v43
	buffer_load_dword v43, off, s[0:3], 0 offset:240
	buffer_load_dword v219, off, s[0:3], 0 offset:244
	buffer_load_dword v220, off, s[0:3], 0 offset:252
	buffer_load_dword v221, off, s[0:3], 0 offset:256
	buffer_load_dword v222, off, s[0:3], 0 offset:260
	buffer_load_dword v223, off, s[0:3], 0 offset:248
	buffer_load_dword v224, off, s[0:3], 0 offset:264
	buffer_load_dword v225, off, s[0:3], 0 offset:268
	buffer_load_dword v226, off, s[0:3], 0 offset:272
	buffer_load_dword v227, off, s[0:3], 0 offset:276
	buffer_load_dword v228, off, s[0:3], 0 offset:284
	buffer_load_dword v229, off, s[0:3], 0 offset:288
	buffer_load_dword v230, off, s[0:3], 0 offset:292
	buffer_load_dword v231, off, s[0:3], 0 offset:280
	v_mul_f32_e32 v158, v152, v24
	v_fmac_f32_e32 v158, v153, v23
	v_add_f32_e32 v40, v40, v158
	s_waitcnt lgkmcnt(0)
	v_mul_f32_e32 v158, v154, v26
	v_fmac_f32_e32 v158, v155, v25
	v_add_f32_e32 v40, v40, v158
	ds_read_b128 v[158:161], v104 offset:592
	buffer_load_dword v232, off, s[0:3], 0 offset:296
	buffer_load_dword v233, off, s[0:3], 0 offset:300
	s_waitcnt vmcnt(32)
	v_mul_f32_e32 v162, v156, v31
	v_fmac_f32_e32 v162, v157, v30
	v_add_f32_e32 v40, v40, v162
	ds_read_b128 v[162:165], v104 offset:608
	buffer_load_dword v234, off, s[0:3], 0 offset:304
	buffer_load_dword v235, off, s[0:3], 0 offset:308
	buffer_load_dword v236, off, s[0:3], 0 offset:316
	buffer_load_dword v237, off, s[0:3], 0 offset:320
	buffer_load_dword v238, off, s[0:3], 0 offset:324
	buffer_load_dword v239, off, s[0:3], 0 offset:312
	buffer_load_dword v240, off, s[0:3], 0 offset:328
	buffer_load_dword v241, off, s[0:3], 0 offset:332
	buffer_load_dword v242, off, s[0:3], 0 offset:336
	buffer_load_dword v243, off, s[0:3], 0 offset:340
	buffer_load_dword v244, off, s[0:3], 0 offset:348
	buffer_load_dword v245, off, s[0:3], 0 offset:352
	buffer_load_dword v246, off, s[0:3], 0 offset:356
	buffer_load_dword v247, off, s[0:3], 0 offset:344
	s_waitcnt vmcnt(44) lgkmcnt(1)
	v_mul_f32_e32 v166, v158, v33
	v_fmac_f32_e32 v166, v159, v32
	buffer_load_dword v248, off, s[0:3], 0 offset:360
	buffer_load_dword v249, off, s[0:3], 0 offset:364
	v_add_f32_e32 v40, v40, v166
	s_waitcnt vmcnt(44)
	v_mul_f32_e32 v166, v160, v35
	v_fmac_f32_e32 v166, v161, v34
	v_add_f32_e32 v40, v40, v166
	s_waitcnt vmcnt(42) lgkmcnt(0)
	v_mul_f32_e32 v166, v162, v37
	v_fmac_f32_e32 v166, v163, v36
	v_add_f32_e32 v40, v40, v166
	ds_read_b128 v[166:169], v104 offset:624
	buffer_load_dword v250, off, s[0:3], 0 offset:368
	buffer_load_dword v251, off, s[0:3], 0 offset:372
	buffer_load_dword v252, off, s[0:3], 0 offset:380
	buffer_load_dword v253, off, s[0:3], 0 offset:384
	buffer_load_dword v254, off, s[0:3], 0 offset:388
	buffer_load_dword v255, off, s[0:3], 0 offset:376
	s_waitcnt vmcnt(46)
	v_mul_f32_e32 v170, v164, v39
	v_fmac_f32_e32 v170, v165, v38
	v_add_f32_e32 v40, v40, v170
	ds_read_b128 v[170:173], v104 offset:640
	buffer_load_dword v47, off, s[0:3], 0 offset:396
	buffer_load_dword v48, off, s[0:3], 0 offset:400
	;; [unrolled: 1-line block ×4, first 2 shown]
	s_waitcnt vmcnt(48) lgkmcnt(1)
	v_mul_f32_e32 v174, v166, v42
	v_fmac_f32_e32 v174, v167, v41
	v_add_f32_e32 v40, v40, v174
	s_waitcnt vmcnt(47)
	v_mul_f32_e32 v174, v168, v44
	s_waitcnt vmcnt(44)
	v_fmac_f32_e32 v174, v169, v216
	v_add_f32_e32 v40, v40, v174
	s_waitcnt lgkmcnt(0)
	v_mul_f32_e32 v174, v170, v46
	v_fmac_f32_e32 v174, v171, v45
	v_add_f32_e32 v40, v40, v174
	ds_read_b128 v[174:177], v104 offset:656
	s_waitcnt vmcnt(42)
	v_mul_f32_e32 v178, v172, v218
	v_fmac_f32_e32 v178, v173, v217
	v_add_f32_e32 v40, v40, v178
	ds_read_b128 v[178:181], v104 offset:672
	s_waitcnt vmcnt(40) lgkmcnt(1)
	v_mul_f32_e32 v182, v174, v219
	v_fmac_f32_e32 v182, v175, v43
	v_add_f32_e32 v40, v40, v182
	s_waitcnt vmcnt(39)
	v_mul_f32_e32 v182, v176, v220
	s_waitcnt vmcnt(36)
	v_fmac_f32_e32 v182, v177, v223
	v_add_f32_e32 v40, v40, v182
	s_waitcnt lgkmcnt(0)
	v_mul_f32_e32 v182, v178, v222
	v_fmac_f32_e32 v182, v179, v221
	v_add_f32_e32 v40, v40, v182
	ds_read_b128 v[182:185], v104 offset:688
	s_waitcnt vmcnt(34)
	v_mul_f32_e32 v186, v180, v225
	v_fmac_f32_e32 v186, v181, v224
	v_add_f32_e32 v40, v40, v186
	ds_read_b128 v[186:189], v104 offset:704
	;; [unrolled: 19-line block ×5, first 2 shown]
	s_waitcnt vmcnt(8) lgkmcnt(1)
	v_mul_f32_e32 v214, v206, v251
	v_fmac_f32_e32 v214, v207, v250
	v_add_f32_e32 v40, v40, v214
	s_waitcnt vmcnt(7)
	v_mul_f32_e32 v214, v208, v252
	s_waitcnt vmcnt(4)
	v_fmac_f32_e32 v214, v209, v255
	v_add_f32_e32 v40, v40, v214
	ds_read_b64 v[214:215], v104 offset:816
	s_waitcnt lgkmcnt(1)
	v_mul_f32_e32 v51, v210, v254
	v_fmac_f32_e32 v51, v211, v253
	v_add_f32_e32 v40, v40, v51
	s_waitcnt vmcnt(3)
	v_mul_f32_e32 v51, v212, v47
	s_waitcnt vmcnt(0)
	v_fmac_f32_e32 v51, v213, v50
	v_add_f32_e32 v40, v40, v51
	s_waitcnt lgkmcnt(0)
	v_mul_f32_e32 v51, v214, v49
	v_fmac_f32_e32 v51, v215, v48
	v_add_f32_e32 v40, v40, v51
	v_mul_f32_e32 v51, v119, v111
	v_fma_f32 v5, v118, v5, -v51
	v_mul_f32_e32 v51, v121, v110
	v_add_f32_e32 v5, 0, v5
	v_fma_f32 v4, v120, v4, -v51
	v_add_f32_e32 v4, v5, v4
	v_mul_f32_e32 v5, v123, v109
	v_fma_f32 v3, v122, v3, -v5
	v_add_f32_e32 v3, v4, v3
	v_mul_f32_e32 v4, v125, v108
	v_fma_f32 v4, v124, v9, -v4
	v_add_f32_e32 v3, v3, v4
	v_mul_f32_e32 v4, v127, v107
	v_fma_f32 v4, v126, v8, -v4
	v_add_f32_e32 v3, v3, v4
	v_mul_f32_e32 v4, v129, v106
	v_fma_f32 v4, v128, v7, -v4
	v_add_f32_e32 v3, v3, v4
	v_mul_f32_e32 v4, v131, v105
	v_fma_f32 v4, v130, v6, -v4
	v_add_f32_e32 v3, v3, v4
	v_mul_f32_e32 v4, v133, v114
	v_fma_f32 v4, v132, v13, -v4
	v_add_f32_e32 v3, v3, v4
	v_mul_f32_e32 v4, v135, v115
	v_fma_f32 v4, v134, v12, -v4
	v_add_f32_e32 v3, v3, v4
	v_mul_f32_e32 v4, v137, v116
	v_fma_f32 v4, v136, v11, -v4
	v_add_f32_e32 v3, v3, v4
	v_mul_f32_e32 v4, v139, v117
	v_fma_f32 v4, v138, v10, -v4
	v_add_f32_e32 v3, v3, v4
	v_mul_f32_e32 v4, v141, v14
	v_fma_f32 v4, v140, v18, -v4
	v_add_f32_e32 v3, v3, v4
	v_mul_f32_e32 v4, v143, v19
	v_fma_f32 v4, v142, v17, -v4
	v_add_f32_e32 v3, v3, v4
	v_mul_f32_e32 v4, v145, v20
	v_fma_f32 v4, v144, v16, -v4
	v_add_f32_e32 v3, v3, v4
	v_mul_f32_e32 v4, v147, v21
	v_fma_f32 v4, v146, v15, -v4
	v_add_f32_e32 v3, v3, v4
	v_mul_f32_e32 v4, v149, v22
	v_fma_f32 v4, v148, v28, -v4
	v_add_f32_e32 v3, v3, v4
	v_mul_f32_e32 v4, v151, v29
	v_fma_f32 v4, v150, v27, -v4
	v_add_f32_e32 v3, v3, v4
	v_mul_f32_e32 v4, v153, v24
	v_fma_f32 v4, v152, v23, -v4
	v_add_f32_e32 v3, v3, v4
	v_mul_f32_e32 v4, v155, v26
	v_fma_f32 v4, v154, v25, -v4
	v_add_f32_e32 v3, v3, v4
	v_mul_f32_e32 v4, v157, v31
	v_fma_f32 v4, v156, v30, -v4
	v_add_f32_e32 v3, v3, v4
	v_mul_f32_e32 v4, v159, v33
	v_fma_f32 v4, v158, v32, -v4
	v_add_f32_e32 v3, v3, v4
	v_mul_f32_e32 v4, v161, v35
	v_fma_f32 v4, v160, v34, -v4
	v_add_f32_e32 v3, v3, v4
	v_mul_f32_e32 v4, v163, v37
	v_fma_f32 v4, v162, v36, -v4
	v_add_f32_e32 v3, v3, v4
	v_mul_f32_e32 v4, v165, v39
	v_fma_f32 v4, v164, v38, -v4
	v_add_f32_e32 v3, v3, v4
	v_mul_f32_e32 v4, v167, v42
	v_fma_f32 v4, v166, v41, -v4
	v_add_f32_e32 v3, v3, v4
	v_mul_f32_e32 v4, v169, v44
	v_fma_f32 v4, v168, v216, -v4
	v_add_f32_e32 v3, v3, v4
	v_mul_f32_e32 v4, v171, v46
	v_fma_f32 v4, v170, v45, -v4
	v_add_f32_e32 v3, v3, v4
	v_mul_f32_e32 v4, v173, v218
	v_fma_f32 v4, v172, v217, -v4
	v_add_f32_e32 v3, v3, v4
	v_mul_f32_e32 v4, v175, v219
	v_fma_f32 v4, v174, v43, -v4
	v_add_f32_e32 v3, v3, v4
	v_mul_f32_e32 v4, v177, v220
	v_fma_f32 v4, v176, v223, -v4
	v_add_f32_e32 v3, v3, v4
	v_mul_f32_e32 v4, v179, v222
	v_fma_f32 v4, v178, v221, -v4
	v_add_f32_e32 v3, v3, v4
	v_mul_f32_e32 v4, v181, v225
	v_fma_f32 v4, v180, v224, -v4
	v_add_f32_e32 v3, v3, v4
	v_mul_f32_e32 v4, v183, v227
	v_fma_f32 v4, v182, v226, -v4
	v_add_f32_e32 v3, v3, v4
	v_mul_f32_e32 v4, v185, v228
	v_fma_f32 v4, v184, v231, -v4
	v_add_f32_e32 v3, v3, v4
	v_mul_f32_e32 v4, v187, v230
	v_fma_f32 v4, v186, v229, -v4
	v_add_f32_e32 v3, v3, v4
	v_mul_f32_e32 v4, v189, v233
	v_fma_f32 v4, v188, v232, -v4
	v_add_f32_e32 v3, v3, v4
	v_mul_f32_e32 v4, v191, v235
	v_fma_f32 v4, v190, v234, -v4
	v_add_f32_e32 v3, v3, v4
	v_mul_f32_e32 v4, v193, v236
	v_fma_f32 v4, v192, v239, -v4
	v_add_f32_e32 v3, v3, v4
	v_mul_f32_e32 v4, v195, v238
	v_fma_f32 v4, v194, v237, -v4
	v_add_f32_e32 v3, v3, v4
	v_mul_f32_e32 v4, v197, v241
	v_fma_f32 v4, v196, v240, -v4
	v_add_f32_e32 v3, v3, v4
	v_mul_f32_e32 v4, v199, v243
	v_fma_f32 v4, v198, v242, -v4
	v_add_f32_e32 v3, v3, v4
	v_mul_f32_e32 v4, v201, v244
	v_fma_f32 v4, v200, v247, -v4
	v_add_f32_e32 v3, v3, v4
	v_mul_f32_e32 v4, v203, v246
	v_fma_f32 v4, v202, v245, -v4
	v_add_f32_e32 v3, v3, v4
	v_mul_f32_e32 v4, v205, v249
	v_fma_f32 v4, v204, v248, -v4
	v_add_f32_e32 v3, v3, v4
	v_mul_f32_e32 v4, v207, v251
	v_fma_f32 v4, v206, v250, -v4
	v_add_f32_e32 v3, v3, v4
	v_mul_f32_e32 v4, v209, v252
	v_fma_f32 v4, v208, v255, -v4
	v_add_f32_e32 v3, v3, v4
	v_mul_f32_e32 v4, v211, v254
	v_fma_f32 v4, v210, v253, -v4
	v_add_f32_e32 v3, v3, v4
	v_mul_f32_e32 v4, v213, v47
	v_fma_f32 v4, v212, v50, -v4
	v_add_f32_e32 v3, v3, v4
	v_mul_f32_e32 v4, v215, v49
	v_fma_f32 v4, v214, v48, -v4
	v_add_f32_e32 v3, v3, v4
	v_sub_f32_e32 v3, v112, v3
	v_sub_f32_e32 v4, v113, v40
	buffer_store_dword v3, off, s[0:3], 0 offset:8
	buffer_store_dword v4, off, s[0:3], 0 offset:12
	s_and_saveexec_b64 s[4:5], vcc
	s_cbranch_execz .LBB114_319
; %bb.318:
	buffer_load_dword v105, off, s[0:3], 0
	buffer_load_dword v106, off, s[0:3], 0 offset:4
	s_waitcnt vmcnt(0)
	ds_write_b64 v103, v[105:106]
	buffer_store_dword v104, off, s[0:3], 0
	buffer_store_dword v104, off, s[0:3], 0 offset:4
.LBB114_319:
	s_or_b64 exec, exec, s[4:5]
	s_waitcnt lgkmcnt(0)
	; wave barrier
	buffer_load_dword v109, off, s[0:3], 0 offset:12
	buffer_load_dword v108, off, s[0:3], 0 offset:20
	;; [unrolled: 1-line block ×38, first 2 shown]
	buffer_load_dword v110, off, s[0:3], 0
	buffer_load_dword v111, off, s[0:3], 0 offset:4
	ds_read2_b64 v[117:120], v104 offset0:53 offset1:54
	ds_read2_b64 v[121:124], v104 offset0:55 offset1:56
	;; [unrolled: 1-line block ×7, first 2 shown]
	buffer_load_dword v29, off, s[0:3], 0 offset:160
	buffer_load_dword v30, off, s[0:3], 0 offset:164
	;; [unrolled: 1-line block ×10, first 2 shown]
	ds_read2_b64 v[145:148], v104 offset0:67 offset1:68
	s_and_b64 vcc, exec, s[14:15]
	s_waitcnt vmcnt(49) lgkmcnt(7)
	v_mul_f32_e32 v39, v117, v109
	s_waitcnt vmcnt(48)
	v_mul_f32_e32 v40, v119, v108
	s_waitcnt vmcnt(47) lgkmcnt(6)
	v_mul_f32_e32 v41, v121, v107
	s_waitcnt vmcnt(46)
	v_mul_f32_e32 v42, v123, v106
	;; [unrolled: 4-line block ×6, first 2 shown]
	s_waitcnt vmcnt(37)
	v_fmac_f32_e32 v41, v122, v3
	s_waitcnt vmcnt(36)
	v_fmac_f32_e32 v40, v120, v4
	;; [unrolled: 2-line block ×3, first 2 shown]
	v_add_f32_e32 v39, 0, v39
	v_add_f32_e32 v39, v39, v40
	;; [unrolled: 1-line block ×3, first 2 shown]
	s_waitcnt vmcnt(31)
	v_fmac_f32_e32 v42, v124, v9
	v_fmac_f32_e32 v43, v126, v8
	v_add_f32_e32 v39, v39, v42
	v_fmac_f32_e32 v44, v128, v7
	v_add_f32_e32 v39, v39, v43
	;; [unrolled: 2-line block ×3, first 2 shown]
	s_waitcnt vmcnt(27)
	v_fmac_f32_e32 v46, v132, v13
	v_add_f32_e32 v39, v39, v45
	v_fmac_f32_e32 v47, v134, v12
	v_add_f32_e32 v39, v39, v46
	;; [unrolled: 2-line block ×4, first 2 shown]
	v_add_f32_e32 v39, v39, v49
	s_waitcnt vmcnt(23)
	v_fmac_f32_e32 v50, v140, v17
	s_waitcnt vmcnt(22) lgkmcnt(1)
	v_mul_f32_e32 v40, v141, v18
	v_add_f32_e32 v39, v39, v50
	v_fmac_f32_e32 v40, v142, v16
	buffer_load_dword v41, off, s[0:3], 0 offset:204
	v_add_f32_e32 v39, v39, v40
	s_waitcnt vmcnt(22)
	v_mul_f32_e32 v40, v143, v19
	v_fmac_f32_e32 v40, v144, v15
	buffer_load_dword v42, off, s[0:3], 0 offset:200
	buffer_load_dword v43, off, s[0:3], 0 offset:208
	;; [unrolled: 1-line block ×3, first 2 shown]
	ds_read2_b64 v[149:152], v104 offset0:69 offset1:70
	v_add_f32_e32 v39, v39, v40
	s_waitcnt vmcnt(24) lgkmcnt(1)
	v_mul_f32_e32 v40, v145, v20
	v_fmac_f32_e32 v40, v146, v14
	v_add_f32_e32 v39, v39, v40
	s_waitcnt vmcnt(23)
	v_mul_f32_e32 v40, v147, v21
	buffer_load_dword v45, off, s[0:3], 0 offset:216
	buffer_load_dword v46, off, s[0:3], 0 offset:220
	s_waitcnt vmcnt(19)
	v_fmac_f32_e32 v40, v148, v27
	v_add_f32_e32 v39, v39, v40
	s_waitcnt vmcnt(18) lgkmcnt(0)
	v_mul_f32_e32 v40, v149, v28
	v_fmac_f32_e32 v40, v150, v26
	ds_read2_b64 v[153:156], v104 offset0:71 offset1:72
	v_add_f32_e32 v39, v39, v40
	buffer_load_dword v40, off, s[0:3], 0 offset:224
	buffer_load_dword v47, off, s[0:3], 0 offset:228
	;; [unrolled: 1-line block ×8, first 2 shown]
	v_mul_f32_e32 v48, v151, v23
	v_fmac_f32_e32 v48, v152, v22
	v_add_f32_e32 v39, v39, v48
	s_waitcnt lgkmcnt(0)
	v_mul_f32_e32 v48, v153, v25
	v_fmac_f32_e32 v48, v154, v24
	v_add_f32_e32 v39, v39, v48
	buffer_load_dword v48, off, s[0:3], 0 offset:256
	buffer_load_dword v219, off, s[0:3], 0 offset:260
	ds_read2_b64 v[157:160], v104 offset0:73 offset1:74
	buffer_load_dword v220, off, s[0:3], 0 offset:264
	buffer_load_dword v221, off, s[0:3], 0 offset:268
	;; [unrolled: 1-line block ×6, first 2 shown]
	s_waitcnt vmcnt(30)
	v_mul_f32_e32 v161, v155, v30
	v_fmac_f32_e32 v161, v156, v29
	v_add_f32_e32 v39, v39, v161
	ds_read2_b64 v[161:164], v104 offset0:75 offset1:76
	buffer_load_dword v226, off, s[0:3], 0 offset:288
	buffer_load_dword v227, off, s[0:3], 0 offset:292
	;; [unrolled: 1-line block ×10, first 2 shown]
	s_waitcnt vmcnt(38) lgkmcnt(1)
	v_mul_f32_e32 v165, v157, v32
	buffer_load_dword v236, off, s[0:3], 0 offset:328
	buffer_load_dword v237, off, s[0:3], 0 offset:332
	;; [unrolled: 1-line block ×6, first 2 shown]
	v_fmac_f32_e32 v165, v158, v31
	v_add_f32_e32 v39, v39, v165
	s_waitcnt vmcnt(42)
	v_mul_f32_e32 v165, v159, v34
	v_fmac_f32_e32 v165, v160, v33
	v_add_f32_e32 v39, v39, v165
	s_waitcnt vmcnt(40) lgkmcnt(0)
	v_mul_f32_e32 v165, v161, v36
	v_fmac_f32_e32 v165, v162, v35
	v_add_f32_e32 v39, v39, v165
	ds_read2_b64 v[165:168], v104 offset0:77 offset1:78
	buffer_load_dword v242, off, s[0:3], 0 offset:352
	buffer_load_dword v243, off, s[0:3], 0 offset:356
	s_waitcnt vmcnt(40)
	v_mul_f32_e32 v169, v163, v38
	v_fmac_f32_e32 v169, v164, v37
	v_add_f32_e32 v39, v39, v169
	ds_read2_b64 v[169:172], v104 offset0:79 offset1:80
	buffer_load_dword v244, off, s[0:3], 0 offset:360
	buffer_load_dword v245, off, s[0:3], 0 offset:364
	;; [unrolled: 1-line block ×12, first 2 shown]
	v_mul_f32_e32 v0, v130, v0
	v_fma_f32 v0, v129, v6, -v0
	s_waitcnt vmcnt(51) lgkmcnt(1)
	v_mul_f32_e32 v173, v165, v41
	s_waitcnt vmcnt(50)
	v_fmac_f32_e32 v173, v166, v42
	v_add_f32_e32 v39, v39, v173
	s_waitcnt vmcnt(48)
	v_mul_f32_e32 v173, v167, v44
	v_fmac_f32_e32 v173, v168, v43
	v_add_f32_e32 v39, v39, v173
	s_waitcnt vmcnt(46) lgkmcnt(0)
	v_mul_f32_e32 v173, v169, v46
	v_fmac_f32_e32 v173, v170, v45
	v_add_f32_e32 v39, v39, v173
	ds_read2_b64 v[173:176], v104 offset0:81 offset1:82
	s_waitcnt vmcnt(44)
	v_mul_f32_e32 v177, v171, v47
	v_fmac_f32_e32 v177, v172, v40
	v_add_f32_e32 v39, v39, v177
	ds_read2_b64 v[177:180], v104 offset0:83 offset1:84
	s_waitcnt vmcnt(42) lgkmcnt(1)
	v_mul_f32_e32 v181, v173, v50
	v_fmac_f32_e32 v181, v174, v49
	v_add_f32_e32 v39, v39, v181
	s_waitcnt vmcnt(41)
	v_mul_f32_e32 v181, v175, v51
	s_waitcnt vmcnt(38)
	v_fmac_f32_e32 v181, v176, v218
	v_add_f32_e32 v39, v39, v181
	s_waitcnt lgkmcnt(0)
	v_mul_f32_e32 v181, v177, v217
	v_fmac_f32_e32 v181, v178, v52
	v_add_f32_e32 v39, v39, v181
	ds_read2_b64 v[181:184], v104 offset0:85 offset1:86
	s_waitcnt vmcnt(36)
	v_mul_f32_e32 v185, v179, v219
	v_fmac_f32_e32 v185, v180, v48
	v_add_f32_e32 v39, v39, v185
	ds_read2_b64 v[185:188], v104 offset0:87 offset1:88
	s_waitcnt vmcnt(34) lgkmcnt(1)
	v_mul_f32_e32 v189, v181, v221
	v_fmac_f32_e32 v189, v182, v220
	v_add_f32_e32 v39, v39, v189
	s_waitcnt vmcnt(33)
	v_mul_f32_e32 v189, v183, v222
	s_waitcnt vmcnt(30)
	v_fmac_f32_e32 v189, v184, v225
	v_add_f32_e32 v39, v39, v189
	s_waitcnt lgkmcnt(0)
	;; [unrolled: 19-line block ×4, first 2 shown]
	v_mul_f32_e32 v205, v201, v240
	v_fmac_f32_e32 v205, v202, v239
	v_add_f32_e32 v39, v39, v205
	ds_read2_b64 v[205:208], v104 offset0:97 offset1:98
	s_waitcnt vmcnt(12)
	v_mul_f32_e32 v209, v203, v243
	v_fmac_f32_e32 v209, v204, v242
	v_add_f32_e32 v39, v39, v209
	ds_read2_b64 v[209:212], v104 offset0:99 offset1:100
	s_waitcnt vmcnt(10) lgkmcnt(1)
	v_mul_f32_e32 v213, v205, v245
	v_fmac_f32_e32 v213, v206, v244
	v_add_f32_e32 v39, v39, v213
	s_waitcnt vmcnt(9)
	v_mul_f32_e32 v213, v207, v246
	s_waitcnt vmcnt(6)
	v_fmac_f32_e32 v213, v208, v249
	v_add_f32_e32 v39, v39, v213
	ds_read2_b64 v[213:216], v104 offset0:101 offset1:102
	s_waitcnt lgkmcnt(1)
	v_mul_f32_e32 v53, v209, v248
	v_fmac_f32_e32 v53, v210, v247
	v_add_f32_e32 v39, v39, v53
	s_waitcnt vmcnt(4)
	v_mul_f32_e32 v53, v211, v251
	v_fmac_f32_e32 v53, v212, v250
	v_add_f32_e32 v39, v39, v53
	s_waitcnt vmcnt(3) lgkmcnt(0)
	v_mul_f32_e32 v53, v213, v252
	s_waitcnt vmcnt(0)
	v_fmac_f32_e32 v53, v214, v255
	v_add_f32_e32 v39, v39, v53
	v_mul_f32_e32 v53, v215, v254
	v_fmac_f32_e32 v53, v216, v253
	v_add_f32_e32 v39, v39, v53
	v_mul_f32_e32 v53, v118, v109
	v_fma_f32 v5, v117, v5, -v53
	v_mul_f32_e32 v53, v120, v108
	v_add_f32_e32 v5, 0, v5
	v_fma_f32 v4, v119, v4, -v53
	v_add_f32_e32 v4, v5, v4
	v_mul_f32_e32 v5, v122, v107
	v_fma_f32 v3, v121, v3, -v5
	v_add_f32_e32 v3, v4, v3
	v_mul_f32_e32 v4, v124, v106
	;; [unrolled: 3-line block ×4, first 2 shown]
	v_fma_f32 v4, v127, v7, -v4
	v_add_f32_e32 v3, v3, v4
	v_add_f32_e32 v0, v3, v0
	v_mul_f32_e32 v3, v132, v112
	v_fma_f32 v3, v131, v13, -v3
	v_add_f32_e32 v0, v0, v3
	v_mul_f32_e32 v3, v134, v113
	v_fma_f32 v3, v133, v12, -v3
	;; [unrolled: 3-line block ×43, first 2 shown]
	v_add_f32_e32 v0, v0, v3
	v_sub_f32_e32 v0, v110, v0
	v_sub_f32_e32 v3, v111, v39
	buffer_store_dword v0, off, s[0:3], 0
	buffer_store_dword v3, off, s[0:3], 0 offset:4
	s_cbranch_vccz .LBB114_420
; %bb.320:
	v_mov_b32_e32 v0, 0
	global_load_dword v103, v0, s[12:13] offset:196
	s_waitcnt vmcnt(0)
	v_add_u32_e32 v103, -1, v103
	v_cmp_ne_u32_e32 vcc, 49, v103
	s_cbranch_vccz .LBB114_322
; %bb.321:
	v_lshlrev_b32_e32 v3, 3, v103
	buffer_load_dword v4, v3, s[0:3], 0 offen
	buffer_load_dword v5, v3, s[0:3], 0 offen offset:4
	buffer_load_dword v6, off, s[0:3], 0 offset:392
	buffer_load_dword v7, off, s[0:3], 0 offset:396
	s_waitcnt vmcnt(3)
	buffer_store_dword v4, off, s[0:3], 0 offset:392
	s_waitcnt vmcnt(3)
	buffer_store_dword v5, off, s[0:3], 0 offset:396
	s_waitcnt vmcnt(3)
	buffer_store_dword v6, v3, s[0:3], 0 offen
	s_waitcnt vmcnt(3)
	buffer_store_dword v7, v3, s[0:3], 0 offen offset:4
.LBB114_322:
	global_load_dword v0, v0, s[12:13] offset:192
	s_waitcnt vmcnt(0)
	v_add_u32_e32 v0, -1, v0
	v_cmp_eq_u32_e32 vcc, 48, v0
	s_cbranch_vccnz .LBB114_324
; %bb.323:
	v_lshlrev_b32_e32 v0, 3, v0
	buffer_load_dword v3, v0, s[0:3], 0 offen
	buffer_load_dword v4, v0, s[0:3], 0 offen offset:4
	buffer_load_dword v5, off, s[0:3], 0 offset:388
	buffer_load_dword v6, off, s[0:3], 0 offset:384
	s_waitcnt vmcnt(3)
	buffer_store_dword v3, off, s[0:3], 0 offset:384
	s_waitcnt vmcnt(3)
	buffer_store_dword v4, off, s[0:3], 0 offset:388
	s_waitcnt vmcnt(3)
	buffer_store_dword v5, v0, s[0:3], 0 offen offset:4
	s_waitcnt vmcnt(3)
	buffer_store_dword v6, v0, s[0:3], 0 offen
.LBB114_324:
	v_mov_b32_e32 v0, 0
	global_load_dword v3, v0, s[12:13] offset:188
	s_waitcnt vmcnt(0)
	v_add_u32_e32 v103, -1, v3
	v_cmp_eq_u32_e32 vcc, 47, v103
	s_cbranch_vccnz .LBB114_326
; %bb.325:
	v_lshlrev_b32_e32 v3, 3, v103
	buffer_load_dword v4, v3, s[0:3], 0 offen
	buffer_load_dword v5, v3, s[0:3], 0 offen offset:4
	buffer_load_dword v6, off, s[0:3], 0 offset:376
	buffer_load_dword v7, off, s[0:3], 0 offset:380
	s_waitcnt vmcnt(3)
	buffer_store_dword v4, off, s[0:3], 0 offset:376
	s_waitcnt vmcnt(3)
	buffer_store_dword v5, off, s[0:3], 0 offset:380
	s_waitcnt vmcnt(3)
	buffer_store_dword v6, v3, s[0:3], 0 offen
	s_waitcnt vmcnt(3)
	buffer_store_dword v7, v3, s[0:3], 0 offen offset:4
.LBB114_326:
	global_load_dword v0, v0, s[12:13] offset:184
	s_waitcnt vmcnt(0)
	v_add_u32_e32 v0, -1, v0
	v_cmp_eq_u32_e32 vcc, 46, v0
	s_cbranch_vccnz .LBB114_328
; %bb.327:
	v_lshlrev_b32_e32 v0, 3, v0
	buffer_load_dword v3, v0, s[0:3], 0 offen
	buffer_load_dword v4, v0, s[0:3], 0 offen offset:4
	buffer_load_dword v5, off, s[0:3], 0 offset:372
	buffer_load_dword v6, off, s[0:3], 0 offset:368
	s_waitcnt vmcnt(3)
	buffer_store_dword v3, off, s[0:3], 0 offset:368
	s_waitcnt vmcnt(3)
	buffer_store_dword v4, off, s[0:3], 0 offset:372
	s_waitcnt vmcnt(3)
	buffer_store_dword v5, v0, s[0:3], 0 offen offset:4
	s_waitcnt vmcnt(3)
	buffer_store_dword v6, v0, s[0:3], 0 offen
.LBB114_328:
	v_mov_b32_e32 v0, 0
	global_load_dword v3, v0, s[12:13] offset:180
	s_waitcnt vmcnt(0)
	v_add_u32_e32 v103, -1, v3
	v_cmp_eq_u32_e32 vcc, 45, v103
	s_cbranch_vccnz .LBB114_330
; %bb.329:
	v_lshlrev_b32_e32 v3, 3, v103
	buffer_load_dword v4, v3, s[0:3], 0 offen
	buffer_load_dword v5, v3, s[0:3], 0 offen offset:4
	buffer_load_dword v6, off, s[0:3], 0 offset:360
	buffer_load_dword v7, off, s[0:3], 0 offset:364
	s_waitcnt vmcnt(3)
	buffer_store_dword v4, off, s[0:3], 0 offset:360
	s_waitcnt vmcnt(3)
	buffer_store_dword v5, off, s[0:3], 0 offset:364
	s_waitcnt vmcnt(3)
	buffer_store_dword v6, v3, s[0:3], 0 offen
	s_waitcnt vmcnt(3)
	buffer_store_dword v7, v3, s[0:3], 0 offen offset:4
.LBB114_330:
	;; [unrolled: 41-line block ×24, first 2 shown]
	global_load_dword v0, v0, s[12:13]
	s_waitcnt vmcnt(0)
	v_add_u32_e32 v0, -1, v0
	v_cmp_eq_u32_e32 vcc, 0, v0
	s_cbranch_vccnz .LBB114_420
; %bb.419:
	v_lshlrev_b32_e32 v0, 3, v0
	buffer_load_dword v3, v0, s[0:3], 0 offen
	buffer_load_dword v4, v0, s[0:3], 0 offen offset:4
	buffer_load_dword v5, off, s[0:3], 0 offset:4
	buffer_load_dword v6, off, s[0:3], 0
	s_waitcnt vmcnt(3)
	buffer_store_dword v3, off, s[0:3], 0
	s_waitcnt vmcnt(3)
	buffer_store_dword v4, off, s[0:3], 0 offset:4
	s_waitcnt vmcnt(3)
	buffer_store_dword v5, v0, s[0:3], 0 offen offset:4
	s_waitcnt vmcnt(3)
	buffer_store_dword v6, v0, s[0:3], 0 offen
.LBB114_420:
	buffer_load_dword v103, off, s[0:3], 0
	buffer_load_dword v104, off, s[0:3], 0 offset:4
	s_waitcnt vmcnt(0)
	flat_store_dwordx2 v[1:2], v[103:104]
	buffer_load_dword v0, off, s[0:3], 0 offset:8
	s_nop 0
	buffer_load_dword v1, off, s[0:3], 0 offset:12
	buffer_load_dword v2, off, s[0:3], 0 offset:408 ; 4-byte Folded Reload
	buffer_load_dword v3, off, s[0:3], 0 offset:412 ; 4-byte Folded Reload
	s_waitcnt vmcnt(0)
	flat_store_dwordx2 v[2:3], v[0:1]
	buffer_load_dword v0, off, s[0:3], 0 offset:16
	s_nop 0
	buffer_load_dword v1, off, s[0:3], 0 offset:20
	buffer_load_dword v2, off, s[0:3], 0 offset:416 ; 4-byte Folded Reload
	buffer_load_dword v3, off, s[0:3], 0 offset:420 ; 4-byte Folded Reload
	;; [unrolled: 7-line block ×26, first 2 shown]
	s_waitcnt vmcnt(0)
	flat_store_dwordx2 v[2:3], v[0:1]
	buffer_load_dword v0, off, s[0:3], 0 offset:216
	s_nop 0
	buffer_load_dword v1, off, s[0:3], 0 offset:220
	s_waitcnt vmcnt(0)
	flat_store_dwordx2 v[55:56], v[0:1]
	buffer_load_dword v0, off, s[0:3], 0 offset:224
	s_nop 0
	buffer_load_dword v1, off, s[0:3], 0 offset:228
	;; [unrolled: 5-line block ×24, first 2 shown]
	s_waitcnt vmcnt(0)
	flat_store_dwordx2 v[101:102], v[0:1]
	s_endpgm
	.section	.rodata,"a",@progbits
	.p2align	6, 0x0
	.amdhsa_kernel _ZN9rocsolver6v33100L18getri_kernel_smallILi51E19rocblas_complex_numIfEPKPS3_EEvT1_iilPiilS8_bb
		.amdhsa_group_segment_fixed_size 824
		.amdhsa_private_segment_fixed_size 624
		.amdhsa_kernarg_size 60
		.amdhsa_user_sgpr_count 6
		.amdhsa_user_sgpr_private_segment_buffer 1
		.amdhsa_user_sgpr_dispatch_ptr 0
		.amdhsa_user_sgpr_queue_ptr 0
		.amdhsa_user_sgpr_kernarg_segment_ptr 1
		.amdhsa_user_sgpr_dispatch_id 0
		.amdhsa_user_sgpr_flat_scratch_init 0
		.amdhsa_user_sgpr_private_segment_size 0
		.amdhsa_uses_dynamic_stack 0
		.amdhsa_system_sgpr_private_segment_wavefront_offset 1
		.amdhsa_system_sgpr_workgroup_id_x 1
		.amdhsa_system_sgpr_workgroup_id_y 0
		.amdhsa_system_sgpr_workgroup_id_z 0
		.amdhsa_system_sgpr_workgroup_info 0
		.amdhsa_system_vgpr_workitem_id 0
		.amdhsa_next_free_vgpr 256
		.amdhsa_next_free_sgpr 21
		.amdhsa_reserve_vcc 1
		.amdhsa_reserve_flat_scratch 0
		.amdhsa_float_round_mode_32 0
		.amdhsa_float_round_mode_16_64 0
		.amdhsa_float_denorm_mode_32 3
		.amdhsa_float_denorm_mode_16_64 3
		.amdhsa_dx10_clamp 1
		.amdhsa_ieee_mode 1
		.amdhsa_fp16_overflow 0
		.amdhsa_exception_fp_ieee_invalid_op 0
		.amdhsa_exception_fp_denorm_src 0
		.amdhsa_exception_fp_ieee_div_zero 0
		.amdhsa_exception_fp_ieee_overflow 0
		.amdhsa_exception_fp_ieee_underflow 0
		.amdhsa_exception_fp_ieee_inexact 0
		.amdhsa_exception_int_div_zero 0
	.end_amdhsa_kernel
	.section	.text._ZN9rocsolver6v33100L18getri_kernel_smallILi51E19rocblas_complex_numIfEPKPS3_EEvT1_iilPiilS8_bb,"axG",@progbits,_ZN9rocsolver6v33100L18getri_kernel_smallILi51E19rocblas_complex_numIfEPKPS3_EEvT1_iilPiilS8_bb,comdat
.Lfunc_end114:
	.size	_ZN9rocsolver6v33100L18getri_kernel_smallILi51E19rocblas_complex_numIfEPKPS3_EEvT1_iilPiilS8_bb, .Lfunc_end114-_ZN9rocsolver6v33100L18getri_kernel_smallILi51E19rocblas_complex_numIfEPKPS3_EEvT1_iilPiilS8_bb
                                        ; -- End function
	.set _ZN9rocsolver6v33100L18getri_kernel_smallILi51E19rocblas_complex_numIfEPKPS3_EEvT1_iilPiilS8_bb.num_vgpr, 256
	.set _ZN9rocsolver6v33100L18getri_kernel_smallILi51E19rocblas_complex_numIfEPKPS3_EEvT1_iilPiilS8_bb.num_agpr, 0
	.set _ZN9rocsolver6v33100L18getri_kernel_smallILi51E19rocblas_complex_numIfEPKPS3_EEvT1_iilPiilS8_bb.numbered_sgpr, 21
	.set _ZN9rocsolver6v33100L18getri_kernel_smallILi51E19rocblas_complex_numIfEPKPS3_EEvT1_iilPiilS8_bb.num_named_barrier, 0
	.set _ZN9rocsolver6v33100L18getri_kernel_smallILi51E19rocblas_complex_numIfEPKPS3_EEvT1_iilPiilS8_bb.private_seg_size, 624
	.set _ZN9rocsolver6v33100L18getri_kernel_smallILi51E19rocblas_complex_numIfEPKPS3_EEvT1_iilPiilS8_bb.uses_vcc, 1
	.set _ZN9rocsolver6v33100L18getri_kernel_smallILi51E19rocblas_complex_numIfEPKPS3_EEvT1_iilPiilS8_bb.uses_flat_scratch, 0
	.set _ZN9rocsolver6v33100L18getri_kernel_smallILi51E19rocblas_complex_numIfEPKPS3_EEvT1_iilPiilS8_bb.has_dyn_sized_stack, 0
	.set _ZN9rocsolver6v33100L18getri_kernel_smallILi51E19rocblas_complex_numIfEPKPS3_EEvT1_iilPiilS8_bb.has_recursion, 0
	.set _ZN9rocsolver6v33100L18getri_kernel_smallILi51E19rocblas_complex_numIfEPKPS3_EEvT1_iilPiilS8_bb.has_indirect_call, 0
	.section	.AMDGPU.csdata,"",@progbits
; Kernel info:
; codeLenInByte = 97112
; TotalNumSgprs: 25
; NumVgprs: 256
; ScratchSize: 624
; MemoryBound: 0
; FloatMode: 240
; IeeeMode: 1
; LDSByteSize: 824 bytes/workgroup (compile time only)
; SGPRBlocks: 3
; VGPRBlocks: 63
; NumSGPRsForWavesPerEU: 25
; NumVGPRsForWavesPerEU: 256
; Occupancy: 1
; WaveLimiterHint : 1
; COMPUTE_PGM_RSRC2:SCRATCH_EN: 1
; COMPUTE_PGM_RSRC2:USER_SGPR: 6
; COMPUTE_PGM_RSRC2:TRAP_HANDLER: 0
; COMPUTE_PGM_RSRC2:TGID_X_EN: 1
; COMPUTE_PGM_RSRC2:TGID_Y_EN: 0
; COMPUTE_PGM_RSRC2:TGID_Z_EN: 0
; COMPUTE_PGM_RSRC2:TIDIG_COMP_CNT: 0
	.section	.text._ZN9rocsolver6v33100L18getri_kernel_smallILi52E19rocblas_complex_numIfEPKPS3_EEvT1_iilPiilS8_bb,"axG",@progbits,_ZN9rocsolver6v33100L18getri_kernel_smallILi52E19rocblas_complex_numIfEPKPS3_EEvT1_iilPiilS8_bb,comdat
	.globl	_ZN9rocsolver6v33100L18getri_kernel_smallILi52E19rocblas_complex_numIfEPKPS3_EEvT1_iilPiilS8_bb ; -- Begin function _ZN9rocsolver6v33100L18getri_kernel_smallILi52E19rocblas_complex_numIfEPKPS3_EEvT1_iilPiilS8_bb
	.p2align	8
	.type	_ZN9rocsolver6v33100L18getri_kernel_smallILi52E19rocblas_complex_numIfEPKPS3_EEvT1_iilPiilS8_bb,@function
_ZN9rocsolver6v33100L18getri_kernel_smallILi52E19rocblas_complex_numIfEPKPS3_EEvT1_iilPiilS8_bb: ; @_ZN9rocsolver6v33100L18getri_kernel_smallILi52E19rocblas_complex_numIfEPKPS3_EEvT1_iilPiilS8_bb
; %bb.0:
	s_add_u32 s0, s0, s7
	s_addc_u32 s1, s1, 0
	v_cmp_gt_u32_e32 vcc, 52, v0
	s_and_saveexec_b64 s[8:9], vcc
	s_cbranch_execz .LBB115_222
; %bb.1:
	s_load_dword s18, s[4:5], 0x38
	s_load_dwordx2 s[12:13], s[4:5], 0x0
	s_load_dwordx4 s[8:11], s[4:5], 0x28
	s_waitcnt lgkmcnt(0)
	s_bitcmp1_b32 s18, 8
	s_cselect_b64 s[14:15], -1, 0
	s_ashr_i32 s7, s6, 31
	s_lshl_b64 s[16:17], s[6:7], 3
	s_add_u32 s12, s12, s16
	s_addc_u32 s13, s13, s17
	s_load_dwordx2 s[16:17], s[12:13], 0x0
	s_bfe_u32 s12, s18, 0x10008
	s_cmp_eq_u32 s12, 0
                                        ; implicit-def: $sgpr12_sgpr13
	s_cbranch_scc1 .LBB115_3
; %bb.2:
	s_load_dword s12, s[4:5], 0x20
	s_load_dwordx2 s[18:19], s[4:5], 0x18
	s_mul_i32 s13, s8, s7
	s_mul_hi_u32 s20, s8, s6
	s_add_i32 s20, s20, s13
	s_mul_i32 s9, s9, s6
	s_add_i32 s9, s20, s9
	s_mul_i32 s8, s8, s6
	s_waitcnt lgkmcnt(0)
	s_ashr_i32 s13, s12, 31
	s_lshl_b64 s[8:9], s[8:9], 2
	s_add_u32 s18, s18, s8
	s_addc_u32 s19, s19, s9
	s_lshl_b64 s[8:9], s[12:13], 2
	s_add_u32 s12, s18, s8
	s_addc_u32 s13, s19, s9
.LBB115_3:
	s_load_dwordx2 s[8:9], s[4:5], 0x8
	s_load_dword s18, s[4:5], 0x38
	v_lshlrev_b32_e32 v107, 3, v0
	s_waitcnt lgkmcnt(0)
	s_ashr_i32 s5, s8, 31
	s_mov_b32 s4, s8
	s_lshl_b64 s[4:5], s[4:5], 3
	s_add_u32 s4, s16, s4
	s_addc_u32 s5, s17, s5
	v_mov_b32_e32 v2, s5
	v_add_co_u32_e32 v1, vcc, s4, v107
	v_addc_co_u32_e32 v2, vcc, 0, v2, vcc
	flat_load_dwordx2 v[5:6], v[1:2]
	s_mov_b32 s16, s9
	s_ashr_i32 s17, s9, 31
	s_lshl_b64 s[16:17], s[16:17], 3
	v_mov_b32_e32 v4, s17
	v_add_co_u32_e32 v3, vcc, s16, v1
	v_addc_co_u32_e32 v4, vcc, v2, v4, vcc
	s_add_i32 s8, s9, s9
	v_add_u32_e32 v9, s8, v0
	v_ashrrev_i32_e32 v10, 31, v9
	v_mov_b32_e32 v11, s5
	v_add_u32_e32 v12, s9, v9
	v_ashrrev_i32_e32 v13, 31, v12
	v_mov_b32_e32 v14, s5
	v_mov_b32_e32 v15, s5
	;; [unrolled: 1-line block ×48, first 2 shown]
	s_bitcmp0_b32 s18, 0
	s_waitcnt vmcnt(0) lgkmcnt(0)
	buffer_store_dword v6, off, s[0:3], 0 offset:4
	buffer_store_dword v5, off, s[0:3], 0
	buffer_store_dword v3, off, s[0:3], 0 offset:416 ; 4-byte Folded Spill
	s_nop 0
	buffer_store_dword v4, off, s[0:3], 0 offset:420 ; 4-byte Folded Spill
	v_lshlrev_b64 v[5:6], 3, v[9:10]
	flat_load_dwordx2 v[7:8], v[3:4]
	v_add_co_u32_e32 v3, vcc, s4, v5
	v_addc_co_u32_e32 v4, vcc, v11, v6, vcc
	s_waitcnt vmcnt(0) lgkmcnt(0)
	buffer_store_dword v8, off, s[0:3], 0 offset:12
	buffer_store_dword v7, off, s[0:3], 0 offset:8
	buffer_store_dword v3, off, s[0:3], 0 offset:424 ; 4-byte Folded Spill
	s_nop 0
	buffer_store_dword v4, off, s[0:3], 0 offset:428 ; 4-byte Folded Spill
	v_lshlrev_b64 v[7:8], 3, v[12:13]
	flat_load_dwordx2 v[10:11], v[3:4]
	v_add_co_u32_e32 v3, vcc, s4, v7
	v_addc_co_u32_e32 v4, vcc, v14, v8, vcc
	s_waitcnt vmcnt(0) lgkmcnt(0)
	buffer_store_dword v11, off, s[0:3], 0 offset:20
	buffer_store_dword v10, off, s[0:3], 0 offset:16
	buffer_store_dword v3, off, s[0:3], 0 offset:432 ; 4-byte Folded Spill
	s_nop 0
	buffer_store_dword v4, off, s[0:3], 0 offset:436 ; 4-byte Folded Spill
	v_add_u32_e32 v11, s9, v12
	v_ashrrev_i32_e32 v12, 31, v11
	v_lshlrev_b64 v[9:10], 3, v[11:12]
	flat_load_dwordx2 v[13:14], v[3:4]
	v_add_co_u32_e32 v3, vcc, s4, v9
	v_addc_co_u32_e32 v4, vcc, v15, v10, vcc
	v_add_u32_e32 v15, s9, v11
	v_ashrrev_i32_e32 v16, 31, v15
	v_lshlrev_b64 v[11:12], 3, v[15:16]
	v_add_u32_e32 v18, s9, v15
	v_ashrrev_i32_e32 v19, 31, v18
	s_waitcnt vmcnt(0) lgkmcnt(0)
	buffer_store_dword v14, off, s[0:3], 0 offset:28
	buffer_store_dword v13, off, s[0:3], 0 offset:24
	buffer_store_dword v3, off, s[0:3], 0 offset:440 ; 4-byte Folded Spill
	s_nop 0
	buffer_store_dword v4, off, s[0:3], 0 offset:444 ; 4-byte Folded Spill
	flat_load_dwordx2 v[13:14], v[3:4]
	v_add_co_u32_e32 v3, vcc, s4, v11
	v_addc_co_u32_e32 v4, vcc, v17, v12, vcc
	s_waitcnt vmcnt(0) lgkmcnt(0)
	buffer_store_dword v14, off, s[0:3], 0 offset:36
	buffer_store_dword v13, off, s[0:3], 0 offset:32
	buffer_store_dword v3, off, s[0:3], 0 offset:448 ; 4-byte Folded Spill
	s_nop 0
	buffer_store_dword v4, off, s[0:3], 0 offset:452 ; 4-byte Folded Spill
	v_lshlrev_b64 v[13:14], 3, v[18:19]
	flat_load_dwordx2 v[16:17], v[3:4]
	v_add_co_u32_e32 v3, vcc, s4, v13
	v_addc_co_u32_e32 v4, vcc, v20, v14, vcc
	s_waitcnt vmcnt(0) lgkmcnt(0)
	buffer_store_dword v17, off, s[0:3], 0 offset:44
	buffer_store_dword v16, off, s[0:3], 0 offset:40
	buffer_store_dword v3, off, s[0:3], 0 offset:456 ; 4-byte Folded Spill
	s_nop 0
	buffer_store_dword v4, off, s[0:3], 0 offset:460 ; 4-byte Folded Spill
	v_add_u32_e32 v17, s9, v18
	v_ashrrev_i32_e32 v18, 31, v17
	v_lshlrev_b64 v[15:16], 3, v[17:18]
	flat_load_dwordx2 v[19:20], v[3:4]
	v_add_co_u32_e32 v3, vcc, s4, v15
	v_addc_co_u32_e32 v4, vcc, v21, v16, vcc
	v_add_u32_e32 v21, s9, v17
	v_ashrrev_i32_e32 v22, 31, v21
	v_lshlrev_b64 v[17:18], 3, v[21:22]
	v_add_u32_e32 v24, s9, v21
	v_ashrrev_i32_e32 v25, 31, v24
	s_waitcnt vmcnt(0) lgkmcnt(0)
	buffer_store_dword v20, off, s[0:3], 0 offset:52
	buffer_store_dword v19, off, s[0:3], 0 offset:48
	buffer_store_dword v3, off, s[0:3], 0 offset:464 ; 4-byte Folded Spill
	s_nop 0
	buffer_store_dword v4, off, s[0:3], 0 offset:468 ; 4-byte Folded Spill
	flat_load_dwordx2 v[19:20], v[3:4]
	v_add_co_u32_e32 v3, vcc, s4, v17
	v_addc_co_u32_e32 v4, vcc, v23, v18, vcc
	s_waitcnt vmcnt(0) lgkmcnt(0)
	buffer_store_dword v20, off, s[0:3], 0 offset:60
	buffer_store_dword v19, off, s[0:3], 0 offset:56
	buffer_store_dword v3, off, s[0:3], 0 offset:472 ; 4-byte Folded Spill
	s_nop 0
	buffer_store_dword v4, off, s[0:3], 0 offset:476 ; 4-byte Folded Spill
	v_lshlrev_b64 v[19:20], 3, v[24:25]
	flat_load_dwordx2 v[22:23], v[3:4]
	v_add_co_u32_e32 v3, vcc, s4, v19
	v_addc_co_u32_e32 v4, vcc, v26, v20, vcc
	s_waitcnt vmcnt(0) lgkmcnt(0)
	buffer_store_dword v23, off, s[0:3], 0 offset:68
	buffer_store_dword v22, off, s[0:3], 0 offset:64
	buffer_store_dword v3, off, s[0:3], 0 offset:480 ; 4-byte Folded Spill
	s_nop 0
	buffer_store_dword v4, off, s[0:3], 0 offset:484 ; 4-byte Folded Spill
	v_add_u32_e32 v23, s9, v24
	v_ashrrev_i32_e32 v24, 31, v23
	v_lshlrev_b64 v[21:22], 3, v[23:24]
	flat_load_dwordx2 v[25:26], v[3:4]
	v_add_co_u32_e32 v3, vcc, s4, v21
	v_addc_co_u32_e32 v4, vcc, v27, v22, vcc
	v_add_u32_e32 v27, s9, v23
	v_ashrrev_i32_e32 v28, 31, v27
	v_lshlrev_b64 v[23:24], 3, v[27:28]
	v_add_u32_e32 v30, s9, v27
	v_ashrrev_i32_e32 v31, 31, v30
	s_waitcnt vmcnt(0) lgkmcnt(0)
	buffer_store_dword v26, off, s[0:3], 0 offset:76
	buffer_store_dword v25, off, s[0:3], 0 offset:72
	buffer_store_dword v3, off, s[0:3], 0 offset:488 ; 4-byte Folded Spill
	s_nop 0
	buffer_store_dword v4, off, s[0:3], 0 offset:492 ; 4-byte Folded Spill
	flat_load_dwordx2 v[25:26], v[3:4]
	v_add_co_u32_e32 v3, vcc, s4, v23
	v_addc_co_u32_e32 v4, vcc, v29, v24, vcc
	s_waitcnt vmcnt(0) lgkmcnt(0)
	buffer_store_dword v26, off, s[0:3], 0 offset:84
	buffer_store_dword v25, off, s[0:3], 0 offset:80
	buffer_store_dword v3, off, s[0:3], 0 offset:496 ; 4-byte Folded Spill
	s_nop 0
	buffer_store_dword v4, off, s[0:3], 0 offset:500 ; 4-byte Folded Spill
	v_lshlrev_b64 v[25:26], 3, v[30:31]
	flat_load_dwordx2 v[28:29], v[3:4]
	v_add_co_u32_e32 v3, vcc, s4, v25
	v_addc_co_u32_e32 v4, vcc, v32, v26, vcc
	s_waitcnt vmcnt(0) lgkmcnt(0)
	buffer_store_dword v29, off, s[0:3], 0 offset:92
	buffer_store_dword v28, off, s[0:3], 0 offset:88
	buffer_store_dword v3, off, s[0:3], 0 offset:504 ; 4-byte Folded Spill
	s_nop 0
	buffer_store_dword v4, off, s[0:3], 0 offset:508 ; 4-byte Folded Spill
	v_add_u32_e32 v29, s9, v30
	v_ashrrev_i32_e32 v30, 31, v29
	v_lshlrev_b64 v[27:28], 3, v[29:30]
	flat_load_dwordx2 v[31:32], v[3:4]
	v_add_co_u32_e32 v3, vcc, s4, v27
	v_addc_co_u32_e32 v4, vcc, v33, v28, vcc
	v_add_u32_e32 v33, s9, v29
	v_ashrrev_i32_e32 v34, 31, v33
	v_lshlrev_b64 v[29:30], 3, v[33:34]
	v_add_u32_e32 v36, s9, v33
	v_ashrrev_i32_e32 v37, 31, v36
	s_waitcnt vmcnt(0) lgkmcnt(0)
	buffer_store_dword v32, off, s[0:3], 0 offset:100
	buffer_store_dword v31, off, s[0:3], 0 offset:96
	buffer_store_dword v3, off, s[0:3], 0 offset:512 ; 4-byte Folded Spill
	s_nop 0
	buffer_store_dword v4, off, s[0:3], 0 offset:516 ; 4-byte Folded Spill
	flat_load_dwordx2 v[31:32], v[3:4]
	v_add_co_u32_e32 v3, vcc, s4, v29
	v_addc_co_u32_e32 v4, vcc, v35, v30, vcc
	s_waitcnt vmcnt(0) lgkmcnt(0)
	buffer_store_dword v32, off, s[0:3], 0 offset:108
	buffer_store_dword v31, off, s[0:3], 0 offset:104
	buffer_store_dword v3, off, s[0:3], 0 offset:520 ; 4-byte Folded Spill
	s_nop 0
	buffer_store_dword v4, off, s[0:3], 0 offset:524 ; 4-byte Folded Spill
	v_lshlrev_b64 v[31:32], 3, v[36:37]
	flat_load_dwordx2 v[34:35], v[3:4]
	v_add_co_u32_e32 v3, vcc, s4, v31
	v_addc_co_u32_e32 v4, vcc, v38, v32, vcc
	s_waitcnt vmcnt(0) lgkmcnt(0)
	buffer_store_dword v35, off, s[0:3], 0 offset:116
	buffer_store_dword v34, off, s[0:3], 0 offset:112
	buffer_store_dword v3, off, s[0:3], 0 offset:528 ; 4-byte Folded Spill
	s_nop 0
	buffer_store_dword v4, off, s[0:3], 0 offset:532 ; 4-byte Folded Spill
	v_add_u32_e32 v35, s9, v36
	v_ashrrev_i32_e32 v36, 31, v35
	v_lshlrev_b64 v[33:34], 3, v[35:36]
	flat_load_dwordx2 v[37:38], v[3:4]
	v_add_co_u32_e32 v3, vcc, s4, v33
	v_addc_co_u32_e32 v4, vcc, v39, v34, vcc
	v_add_u32_e32 v39, s9, v35
	v_ashrrev_i32_e32 v40, 31, v39
	v_lshlrev_b64 v[35:36], 3, v[39:40]
	v_add_u32_e32 v42, s9, v39
	v_ashrrev_i32_e32 v43, 31, v42
	s_waitcnt vmcnt(0) lgkmcnt(0)
	buffer_store_dword v38, off, s[0:3], 0 offset:124
	buffer_store_dword v37, off, s[0:3], 0 offset:120
	buffer_store_dword v3, off, s[0:3], 0 offset:536 ; 4-byte Folded Spill
	s_nop 0
	buffer_store_dword v4, off, s[0:3], 0 offset:540 ; 4-byte Folded Spill
	flat_load_dwordx2 v[37:38], v[3:4]
	v_add_co_u32_e32 v3, vcc, s4, v35
	v_addc_co_u32_e32 v4, vcc, v41, v36, vcc
	s_waitcnt vmcnt(0) lgkmcnt(0)
	buffer_store_dword v38, off, s[0:3], 0 offset:132
	buffer_store_dword v37, off, s[0:3], 0 offset:128
	buffer_store_dword v3, off, s[0:3], 0 offset:544 ; 4-byte Folded Spill
	s_nop 0
	buffer_store_dword v4, off, s[0:3], 0 offset:548 ; 4-byte Folded Spill
	v_lshlrev_b64 v[37:38], 3, v[42:43]
	flat_load_dwordx2 v[40:41], v[3:4]
	v_add_co_u32_e32 v3, vcc, s4, v37
	v_addc_co_u32_e32 v4, vcc, v44, v38, vcc
	s_waitcnt vmcnt(0) lgkmcnt(0)
	buffer_store_dword v41, off, s[0:3], 0 offset:140
	buffer_store_dword v40, off, s[0:3], 0 offset:136
	buffer_store_dword v3, off, s[0:3], 0 offset:552 ; 4-byte Folded Spill
	s_nop 0
	buffer_store_dword v4, off, s[0:3], 0 offset:556 ; 4-byte Folded Spill
	v_add_u32_e32 v41, s9, v42
	v_ashrrev_i32_e32 v42, 31, v41
	v_lshlrev_b64 v[39:40], 3, v[41:42]
	flat_load_dwordx2 v[43:44], v[3:4]
	v_add_co_u32_e32 v3, vcc, s4, v39
	v_addc_co_u32_e32 v4, vcc, v45, v40, vcc
	v_add_u32_e32 v45, s9, v41
	v_ashrrev_i32_e32 v46, 31, v45
	v_lshlrev_b64 v[41:42], 3, v[45:46]
	v_add_u32_e32 v48, s9, v45
	v_ashrrev_i32_e32 v49, 31, v48
	s_waitcnt vmcnt(0) lgkmcnt(0)
	buffer_store_dword v44, off, s[0:3], 0 offset:148
	buffer_store_dword v43, off, s[0:3], 0 offset:144
	buffer_store_dword v3, off, s[0:3], 0 offset:560 ; 4-byte Folded Spill
	s_nop 0
	buffer_store_dword v4, off, s[0:3], 0 offset:564 ; 4-byte Folded Spill
	flat_load_dwordx2 v[43:44], v[3:4]
	v_add_co_u32_e32 v3, vcc, s4, v41
	v_addc_co_u32_e32 v4, vcc, v47, v42, vcc
	s_waitcnt vmcnt(0) lgkmcnt(0)
	buffer_store_dword v44, off, s[0:3], 0 offset:156
	buffer_store_dword v43, off, s[0:3], 0 offset:152
	buffer_store_dword v3, off, s[0:3], 0 offset:568 ; 4-byte Folded Spill
	s_nop 0
	buffer_store_dword v4, off, s[0:3], 0 offset:572 ; 4-byte Folded Spill
	v_lshlrev_b64 v[43:44], 3, v[48:49]
	flat_load_dwordx2 v[46:47], v[3:4]
	v_add_co_u32_e32 v3, vcc, s4, v43
	v_addc_co_u32_e32 v4, vcc, v50, v44, vcc
	s_waitcnt vmcnt(0) lgkmcnt(0)
	buffer_store_dword v47, off, s[0:3], 0 offset:164
	buffer_store_dword v46, off, s[0:3], 0 offset:160
	buffer_store_dword v3, off, s[0:3], 0 offset:576 ; 4-byte Folded Spill
	s_nop 0
	buffer_store_dword v4, off, s[0:3], 0 offset:580 ; 4-byte Folded Spill
	v_add_u32_e32 v47, s9, v48
	v_ashrrev_i32_e32 v48, 31, v47
	v_lshlrev_b64 v[45:46], 3, v[47:48]
	flat_load_dwordx2 v[49:50], v[3:4]
	v_add_co_u32_e32 v3, vcc, s4, v45
	v_addc_co_u32_e32 v4, vcc, v51, v46, vcc
	v_add_u32_e32 v51, s9, v47
	v_ashrrev_i32_e32 v52, 31, v51
	v_lshlrev_b64 v[47:48], 3, v[51:52]
	v_add_u32_e32 v54, s9, v51
	v_ashrrev_i32_e32 v55, 31, v54
	s_waitcnt vmcnt(0) lgkmcnt(0)
	buffer_store_dword v50, off, s[0:3], 0 offset:172
	buffer_store_dword v49, off, s[0:3], 0 offset:168
	buffer_store_dword v3, off, s[0:3], 0 offset:584 ; 4-byte Folded Spill
	s_nop 0
	buffer_store_dword v4, off, s[0:3], 0 offset:588 ; 4-byte Folded Spill
	flat_load_dwordx2 v[49:50], v[3:4]
	v_add_co_u32_e32 v3, vcc, s4, v47
	v_addc_co_u32_e32 v4, vcc, v53, v48, vcc
	s_waitcnt vmcnt(0) lgkmcnt(0)
	buffer_store_dword v50, off, s[0:3], 0 offset:180
	buffer_store_dword v49, off, s[0:3], 0 offset:176
	buffer_store_dword v3, off, s[0:3], 0 offset:592 ; 4-byte Folded Spill
	s_nop 0
	buffer_store_dword v4, off, s[0:3], 0 offset:596 ; 4-byte Folded Spill
	v_lshlrev_b64 v[49:50], 3, v[54:55]
	flat_load_dwordx2 v[52:53], v[3:4]
	v_add_co_u32_e32 v3, vcc, s4, v49
	v_addc_co_u32_e32 v4, vcc, v56, v50, vcc
	s_waitcnt vmcnt(0) lgkmcnt(0)
	buffer_store_dword v53, off, s[0:3], 0 offset:188
	buffer_store_dword v52, off, s[0:3], 0 offset:184
	buffer_store_dword v3, off, s[0:3], 0 offset:600 ; 4-byte Folded Spill
	s_nop 0
	buffer_store_dword v4, off, s[0:3], 0 offset:604 ; 4-byte Folded Spill
	v_add_u32_e32 v53, s9, v54
	v_ashrrev_i32_e32 v54, 31, v53
	v_lshlrev_b64 v[51:52], 3, v[53:54]
	flat_load_dwordx2 v[55:56], v[3:4]
	v_add_co_u32_e32 v3, vcc, s4, v51
	v_addc_co_u32_e32 v4, vcc, v57, v52, vcc
	v_add_u32_e32 v57, s9, v53
	v_ashrrev_i32_e32 v58, 31, v57
	v_lshlrev_b64 v[53:54], 3, v[57:58]
	v_add_u32_e32 v60, s9, v57
	v_ashrrev_i32_e32 v61, 31, v60
	s_waitcnt vmcnt(0) lgkmcnt(0)
	buffer_store_dword v56, off, s[0:3], 0 offset:196
	buffer_store_dword v55, off, s[0:3], 0 offset:192
	buffer_store_dword v3, off, s[0:3], 0 offset:608 ; 4-byte Folded Spill
	s_nop 0
	buffer_store_dword v4, off, s[0:3], 0 offset:612 ; 4-byte Folded Spill
	flat_load_dwordx2 v[55:56], v[3:4]
	v_add_co_u32_e32 v3, vcc, s4, v53
	v_addc_co_u32_e32 v4, vcc, v59, v54, vcc
	s_waitcnt vmcnt(0) lgkmcnt(0)
	buffer_store_dword v56, off, s[0:3], 0 offset:204
	buffer_store_dword v55, off, s[0:3], 0 offset:200
	buffer_store_dword v3, off, s[0:3], 0 offset:616 ; 4-byte Folded Spill
	s_nop 0
	buffer_store_dword v4, off, s[0:3], 0 offset:620 ; 4-byte Folded Spill
	v_lshlrev_b64 v[55:56], 3, v[60:61]
	flat_load_dwordx2 v[58:59], v[3:4]
	v_add_co_u32_e32 v3, vcc, s4, v55
	v_addc_co_u32_e32 v4, vcc, v62, v56, vcc
	s_waitcnt vmcnt(0) lgkmcnt(0)
	buffer_store_dword v59, off, s[0:3], 0 offset:212
	buffer_store_dword v58, off, s[0:3], 0 offset:208
	buffer_store_dword v3, off, s[0:3], 0 offset:624 ; 4-byte Folded Spill
	s_nop 0
	buffer_store_dword v4, off, s[0:3], 0 offset:628 ; 4-byte Folded Spill
	v_add_u32_e32 v59, s9, v60
	v_ashrrev_i32_e32 v60, 31, v59
	v_lshlrev_b64 v[57:58], 3, v[59:60]
	flat_load_dwordx2 v[61:62], v[3:4]
	v_add_co_u32_e32 v3, vcc, s4, v57
	v_addc_co_u32_e32 v4, vcc, v63, v58, vcc
	v_add_u32_e32 v63, s9, v59
	v_ashrrev_i32_e32 v64, 31, v63
	v_lshlrev_b64 v[59:60], 3, v[63:64]
	v_add_u32_e32 v66, s9, v63
	v_ashrrev_i32_e32 v67, 31, v66
	s_waitcnt vmcnt(0) lgkmcnt(0)
	buffer_store_dword v62, off, s[0:3], 0 offset:220
	buffer_store_dword v61, off, s[0:3], 0 offset:216
	buffer_store_dword v3, off, s[0:3], 0 offset:632 ; 4-byte Folded Spill
	s_nop 0
	buffer_store_dword v4, off, s[0:3], 0 offset:636 ; 4-byte Folded Spill
	flat_load_dwordx2 v[61:62], v[3:4]
	v_add_co_u32_e32 v3, vcc, s4, v59
	v_addc_co_u32_e32 v4, vcc, v65, v60, vcc
	s_waitcnt vmcnt(0) lgkmcnt(0)
	buffer_store_dword v62, off, s[0:3], 0 offset:228
	buffer_store_dword v61, off, s[0:3], 0 offset:224
	buffer_store_dword v3, off, s[0:3], 0 offset:640 ; 4-byte Folded Spill
	s_nop 0
	buffer_store_dword v4, off, s[0:3], 0 offset:644 ; 4-byte Folded Spill
	v_lshlrev_b64 v[61:62], 3, v[66:67]
	v_add_co_u32_e32 v61, vcc, s4, v61
	v_addc_co_u32_e32 v62, vcc, v68, v62, vcc
	flat_load_dwordx2 v[64:65], v[3:4]
	s_waitcnt vmcnt(0) lgkmcnt(0)
	buffer_store_dword v65, off, s[0:3], 0 offset:236
	buffer_store_dword v64, off, s[0:3], 0 offset:232
	flat_load_dwordx2 v[67:68], v[61:62]
	v_add_u32_e32 v65, s9, v66
	v_ashrrev_i32_e32 v66, 31, v65
	v_lshlrev_b64 v[63:64], 3, v[65:66]
	s_waitcnt vmcnt(0) lgkmcnt(0)
	buffer_store_dword v68, off, s[0:3], 0 offset:244
	buffer_store_dword v67, off, s[0:3], 0 offset:240
	v_add_co_u32_e32 v63, vcc, s4, v63
	v_addc_co_u32_e32 v64, vcc, v69, v64, vcc
	flat_load_dwordx2 v[67:68], v[63:64]
	v_add_u32_e32 v69, s9, v65
	v_ashrrev_i32_e32 v70, 31, v69
	v_lshlrev_b64 v[65:66], 3, v[69:70]
	v_add_u32_e32 v72, s9, v69
	v_add_co_u32_e32 v65, vcc, s4, v65
	v_addc_co_u32_e32 v66, vcc, v71, v66, vcc
	v_ashrrev_i32_e32 v73, 31, v72
	s_waitcnt vmcnt(0) lgkmcnt(0)
	buffer_store_dword v68, off, s[0:3], 0 offset:252
	buffer_store_dword v67, off, s[0:3], 0 offset:248
	flat_load_dwordx2 v[70:71], v[65:66]
	v_lshlrev_b64 v[67:68], 3, v[72:73]
	s_waitcnt vmcnt(0) lgkmcnt(0)
	buffer_store_dword v71, off, s[0:3], 0 offset:260
	buffer_store_dword v70, off, s[0:3], 0 offset:256
	v_add_co_u32_e32 v67, vcc, s4, v67
	v_addc_co_u32_e32 v68, vcc, v74, v68, vcc
	flat_load_dwordx2 v[73:74], v[67:68]
	v_add_u32_e32 v71, s9, v72
	v_ashrrev_i32_e32 v72, 31, v71
	v_lshlrev_b64 v[69:70], 3, v[71:72]
	s_waitcnt vmcnt(0) lgkmcnt(0)
	buffer_store_dword v74, off, s[0:3], 0 offset:268
	buffer_store_dword v73, off, s[0:3], 0 offset:264
	v_add_co_u32_e32 v69, vcc, s4, v69
	v_addc_co_u32_e32 v70, vcc, v75, v70, vcc
	flat_load_dwordx2 v[73:74], v[69:70]
	v_add_u32_e32 v75, s9, v71
	v_ashrrev_i32_e32 v76, 31, v75
	v_lshlrev_b64 v[71:72], 3, v[75:76]
	v_add_u32_e32 v78, s9, v75
	v_add_co_u32_e32 v71, vcc, s4, v71
	v_addc_co_u32_e32 v72, vcc, v77, v72, vcc
	v_ashrrev_i32_e32 v79, 31, v78
	s_waitcnt vmcnt(0) lgkmcnt(0)
	buffer_store_dword v74, off, s[0:3], 0 offset:276
	buffer_store_dword v73, off, s[0:3], 0 offset:272
	flat_load_dwordx2 v[76:77], v[71:72]
	v_lshlrev_b64 v[73:74], 3, v[78:79]
	s_waitcnt vmcnt(0) lgkmcnt(0)
	buffer_store_dword v77, off, s[0:3], 0 offset:284
	buffer_store_dword v76, off, s[0:3], 0 offset:280
	v_add_co_u32_e32 v73, vcc, s4, v73
	v_addc_co_u32_e32 v74, vcc, v80, v74, vcc
	;; [unrolled: 27-line block ×6, first 2 shown]
	flat_load_dwordx2 v[103:104], v[97:98]
	v_add_u32_e32 v101, s9, v102
	v_ashrrev_i32_e32 v102, 31, v101
	v_lshlrev_b64 v[99:100], 3, v[101:102]
	s_waitcnt vmcnt(0) lgkmcnt(0)
	buffer_store_dword v104, off, s[0:3], 0 offset:388
	buffer_store_dword v103, off, s[0:3], 0 offset:384
	v_add_co_u32_e32 v99, vcc, s4, v99
	v_addc_co_u32_e32 v100, vcc, v105, v100, vcc
	flat_load_dwordx2 v[103:104], v[99:100]
	v_add_u32_e32 v105, s9, v101
	v_ashrrev_i32_e32 v106, 31, v105
	v_lshlrev_b64 v[101:102], 3, v[105:106]
	v_mov_b32_e32 v106, s5
	v_add_co_u32_e32 v101, vcc, s4, v101
	v_addc_co_u32_e32 v102, vcc, v108, v102, vcc
	s_waitcnt vmcnt(0) lgkmcnt(0)
	buffer_store_dword v104, off, s[0:3], 0 offset:396
	buffer_store_dword v103, off, s[0:3], 0 offset:392
	flat_load_dwordx2 v[108:109], v[101:102]
	v_add_u32_e32 v103, s9, v105
	v_ashrrev_i32_e32 v104, 31, v103
	v_lshlrev_b64 v[103:104], 3, v[103:104]
	s_mov_b64 s[8:9], -1
	v_add_co_u32_e32 v103, vcc, s4, v103
	v_addc_co_u32_e32 v104, vcc, v106, v104, vcc
	s_waitcnt vmcnt(0) lgkmcnt(0)
	buffer_store_dword v109, off, s[0:3], 0 offset:404
	buffer_store_dword v108, off, s[0:3], 0 offset:400
	flat_load_dwordx2 v[105:106], v[103:104]
	s_waitcnt vmcnt(0) lgkmcnt(0)
	buffer_store_dword v106, off, s[0:3], 0 offset:412
	buffer_store_dword v105, off, s[0:3], 0 offset:408
	s_cbranch_scc1 .LBB115_220
; %bb.4:
	v_cmp_eq_u32_e64 s[4:5], 0, v0
	s_and_saveexec_b64 s[8:9], s[4:5]
; %bb.5:
	v_mov_b32_e32 v105, 0
	ds_write_b32 v105, v105 offset:832
; %bb.6:
	s_or_b64 exec, exec, s[8:9]
	v_mov_b32_e32 v105, 0
	v_lshl_add_u32 v109, v0, 3, v105
	s_waitcnt lgkmcnt(0)
	; wave barrier
	buffer_load_dword v105, v109, s[0:3], 0 offen
	buffer_load_dword v106, v109, s[0:3], 0 offen offset:4
	s_waitcnt vmcnt(1)
	v_cmp_eq_f32_e32 vcc, 0, v105
	s_waitcnt vmcnt(0)
	v_cmp_eq_f32_e64 s[8:9], 0, v106
	s_and_b64 s[8:9], vcc, s[8:9]
	s_and_saveexec_b64 s[16:17], s[8:9]
	s_cbranch_execz .LBB115_10
; %bb.7:
	v_mov_b32_e32 v105, 0
	ds_read_b32 v108, v105 offset:832
	v_add_u32_e32 v106, 1, v0
	s_waitcnt lgkmcnt(0)
	v_readfirstlane_b32 s8, v108
	s_cmp_eq_u32 s8, 0
	s_cselect_b64 s[18:19], -1, 0
	v_cmp_gt_i32_e32 vcc, s8, v106
	s_or_b64 s[18:19], s[18:19], vcc
	s_and_b64 exec, exec, s[18:19]
	s_cbranch_execz .LBB115_10
; %bb.8:
	s_mov_b64 s[18:19], 0
	v_mov_b32_e32 v108, s8
.LBB115_9:                              ; =>This Inner Loop Header: Depth=1
	ds_cmpst_rtn_b32 v108, v105, v108, v106 offset:832
	s_waitcnt lgkmcnt(0)
	v_cmp_ne_u32_e32 vcc, 0, v108
	v_cmp_le_i32_e64 s[8:9], v108, v106
	s_and_b64 s[8:9], vcc, s[8:9]
	s_and_b64 s[8:9], exec, s[8:9]
	s_or_b64 s[18:19], s[8:9], s[18:19]
	s_andn2_b64 exec, exec, s[18:19]
	s_cbranch_execnz .LBB115_9
.LBB115_10:
	s_or_b64 exec, exec, s[16:17]
	v_mov_b32_e32 v106, 0
	; wave barrier
	ds_read_b32 v105, v106 offset:832
	s_and_saveexec_b64 s[8:9], s[4:5]
	s_cbranch_execz .LBB115_12
; %bb.11:
	s_lshl_b64 s[16:17], s[6:7], 2
	s_add_u32 s16, s10, s16
	s_addc_u32 s17, s11, s17
	s_waitcnt lgkmcnt(0)
	global_store_dword v106, v105, s[16:17]
.LBB115_12:
	s_or_b64 exec, exec, s[8:9]
	s_waitcnt lgkmcnt(0)
	v_cmp_ne_u32_e32 vcc, 0, v105
	s_mov_b64 s[8:9], 0
	s_cbranch_vccnz .LBB115_220
; %bb.13:
	buffer_load_dword v106, v109, s[0:3], 0 offen
	buffer_load_dword v108, v109, s[0:3], 0 offen offset:4
                                        ; implicit-def: $vgpr111
                                        ; implicit-def: $vgpr110
                                        ; implicit-def: $vgpr105
	s_waitcnt vmcnt(0)
	v_cmp_ngt_f32_e64 s[8:9], |v106|, |v108|
	s_and_saveexec_b64 s[16:17], s[8:9]
	s_xor_b64 s[8:9], exec, s[16:17]
	s_cbranch_execz .LBB115_15
; %bb.14:
	v_div_scale_f32 v105, s[16:17], v108, v108, v106
	v_div_scale_f32 v110, vcc, v106, v108, v106
	v_rcp_f32_e32 v111, v105
	v_fma_f32 v112, -v105, v111, 1.0
	v_fmac_f32_e32 v111, v112, v111
	v_mul_f32_e32 v112, v110, v111
	v_fma_f32 v113, -v105, v112, v110
	v_fmac_f32_e32 v112, v113, v111
	v_fma_f32 v105, -v105, v112, v110
	v_div_fmas_f32 v105, v105, v111, v112
	v_div_fixup_f32 v105, v105, v108, v106
	v_fmac_f32_e32 v108, v106, v105
	v_div_scale_f32 v106, s[16:17], v108, v108, 1.0
	v_div_scale_f32 v110, vcc, 1.0, v108, 1.0
	v_rcp_f32_e32 v111, v106
	v_fma_f32 v112, -v106, v111, 1.0
	v_fmac_f32_e32 v111, v112, v111
	v_mul_f32_e32 v112, v110, v111
	v_fma_f32 v113, -v106, v112, v110
	v_fmac_f32_e32 v112, v113, v111
	v_fma_f32 v106, -v106, v112, v110
	v_div_fmas_f32 v106, v106, v111, v112
	v_div_fixup_f32 v106, v106, v108, 1.0
	v_mul_f32_e32 v111, v105, v106
	v_xor_b32_e32 v110, 0x80000000, v106
	v_xor_b32_e32 v105, 0x80000000, v111
                                        ; implicit-def: $vgpr106
                                        ; implicit-def: $vgpr108
.LBB115_15:
	s_andn2_saveexec_b64 s[8:9], s[8:9]
	s_cbranch_execz .LBB115_17
; %bb.16:
	v_div_scale_f32 v105, s[16:17], v106, v106, v108
	v_div_scale_f32 v110, vcc, v108, v106, v108
	v_rcp_f32_e32 v111, v105
	v_fma_f32 v112, -v105, v111, 1.0
	v_fmac_f32_e32 v111, v112, v111
	v_mul_f32_e32 v112, v110, v111
	v_fma_f32 v113, -v105, v112, v110
	v_fmac_f32_e32 v112, v113, v111
	v_fma_f32 v105, -v105, v112, v110
	v_div_fmas_f32 v105, v105, v111, v112
	v_div_fixup_f32 v110, v105, v106, v108
	v_fmac_f32_e32 v106, v108, v110
	v_div_scale_f32 v105, s[16:17], v106, v106, 1.0
	v_div_scale_f32 v108, vcc, 1.0, v106, 1.0
	v_rcp_f32_e32 v111, v105
	v_fma_f32 v112, -v105, v111, 1.0
	v_fmac_f32_e32 v111, v112, v111
	v_mul_f32_e32 v112, v108, v111
	v_fma_f32 v113, -v105, v112, v108
	v_fmac_f32_e32 v112, v113, v111
	v_fma_f32 v105, -v105, v112, v108
	v_div_fmas_f32 v105, v105, v111, v112
	v_div_fixup_f32 v111, v105, v106, 1.0
	v_xor_b32_e32 v105, 0x80000000, v111
	v_mul_f32_e64 v110, v110, -v111
.LBB115_17:
	s_or_b64 exec, exec, s[8:9]
	buffer_store_dword v111, v109, s[0:3], 0 offen
	buffer_store_dword v110, v109, s[0:3], 0 offen offset:4
	buffer_load_dword v112, off, s[0:3], 0 offset:12
	s_nop 0
	buffer_load_dword v111, off, s[0:3], 0 offset:8
	v_xor_b32_e32 v106, 0x80000000, v110
	v_add_u32_e32 v108, 0x1a0, v107
	s_waitcnt vmcnt(0)
	ds_write2_b64 v107, v[105:106], v[111:112] offset1:52
	s_waitcnt lgkmcnt(0)
	; wave barrier
	s_and_saveexec_b64 s[8:9], s[4:5]
	s_cbranch_execz .LBB115_19
; %bb.18:
	buffer_load_dword v112, v109, s[0:3], 0 offen offset:4
	buffer_load_dword v113, v109, s[0:3], 0 offen
	ds_read_b64 v[105:106], v108
	v_mov_b32_e32 v110, 0
	ds_read_b64 v[110:111], v110 offset:8
	s_waitcnt vmcnt(1) lgkmcnt(1)
	v_mul_f32_e32 v114, v106, v112
	v_mul_f32_e32 v112, v105, v112
	s_waitcnt vmcnt(0)
	v_fmac_f32_e32 v112, v106, v113
	v_fma_f32 v105, v105, v113, -v114
	v_add_f32_e32 v106, 0, v112
	v_add_f32_e32 v105, 0, v105
	s_waitcnt lgkmcnt(0)
	v_mul_f32_e32 v112, v106, v111
	v_mul_f32_e32 v111, v105, v111
	v_fma_f32 v105, v105, v110, -v112
	v_fmac_f32_e32 v111, v106, v110
	buffer_store_dword v105, off, s[0:3], 0 offset:8
	buffer_store_dword v111, off, s[0:3], 0 offset:12
.LBB115_19:
	s_or_b64 exec, exec, s[8:9]
	; wave barrier
	buffer_load_dword v105, off, s[0:3], 0 offset:16
	buffer_load_dword v106, off, s[0:3], 0 offset:20
	v_cmp_gt_u32_e32 vcc, 2, v0
	s_waitcnt vmcnt(0)
	ds_write_b64 v108, v[105:106]
	s_waitcnt lgkmcnt(0)
	; wave barrier
	s_and_saveexec_b64 s[8:9], vcc
	s_cbranch_execz .LBB115_23
; %bb.20:
	buffer_load_dword v110, v109, s[0:3], 0 offen offset:4
	buffer_load_dword v111, v109, s[0:3], 0 offen
	ds_read_b64 v[105:106], v108
	s_waitcnt vmcnt(1) lgkmcnt(0)
	v_mul_f32_e32 v109, v106, v110
	v_mul_f32_e32 v110, v105, v110
	s_waitcnt vmcnt(0)
	v_fma_f32 v105, v105, v111, -v109
	v_fmac_f32_e32 v110, v106, v111
	v_add_f32_e32 v106, 0, v105
	v_add_f32_e32 v105, 0, v110
	s_and_saveexec_b64 s[16:17], s[4:5]
	s_cbranch_execz .LBB115_22
; %bb.21:
	buffer_load_dword v111, off, s[0:3], 0 offset:12
	buffer_load_dword v112, off, s[0:3], 0 offset:8
	v_mov_b32_e32 v109, 0
	ds_read_b64 v[109:110], v109 offset:424
	s_waitcnt vmcnt(1) lgkmcnt(0)
	v_mul_f32_e32 v113, v109, v111
	v_mul_f32_e32 v111, v110, v111
	s_waitcnt vmcnt(0)
	v_fmac_f32_e32 v113, v110, v112
	v_fma_f32 v109, v109, v112, -v111
	v_add_f32_e32 v105, v105, v113
	v_add_f32_e32 v106, v106, v109
.LBB115_22:
	s_or_b64 exec, exec, s[16:17]
	v_mov_b32_e32 v109, 0
	ds_read_b64 v[109:110], v109 offset:16
	s_waitcnt lgkmcnt(0)
	v_mul_f32_e32 v111, v105, v110
	v_mul_f32_e32 v110, v106, v110
	v_fma_f32 v106, v106, v109, -v111
	v_fmac_f32_e32 v110, v105, v109
	buffer_store_dword v106, off, s[0:3], 0 offset:16
	buffer_store_dword v110, off, s[0:3], 0 offset:20
.LBB115_23:
	s_or_b64 exec, exec, s[8:9]
	; wave barrier
	buffer_load_dword v105, off, s[0:3], 0 offset:24
	buffer_load_dword v106, off, s[0:3], 0 offset:28
	v_cmp_gt_u32_e32 vcc, 3, v0
	s_waitcnt vmcnt(0)
	ds_write_b64 v108, v[105:106]
	v_add_u32_e32 v105, -1, v0
	s_waitcnt lgkmcnt(0)
	; wave barrier
	s_and_saveexec_b64 s[4:5], vcc
	s_cbranch_execz .LBB115_27
; %bb.24:
	v_add_u32_e32 v109, -1, v0
	v_add_u32_e32 v110, 0x1a0, v107
	v_mov_b32_e32 v111, v107
	v_mov_b32_e32 v106, 0
	s_mov_b64 s[8:9], 0
	v_mov_b32_e32 v112, 0
.LBB115_25:                             ; =>This Inner Loop Header: Depth=1
	buffer_load_dword v115, v111, s[0:3], 0 offen offset:4
	buffer_load_dword v116, v111, s[0:3], 0 offen
	ds_read_b64 v[113:114], v110
	v_add_u32_e32 v109, 1, v109
	v_cmp_lt_u32_e32 vcc, 1, v109
	v_add_u32_e32 v110, 8, v110
	v_add_u32_e32 v111, 8, v111
	s_or_b64 s[8:9], vcc, s[8:9]
	s_waitcnt vmcnt(1) lgkmcnt(0)
	v_mul_f32_e32 v117, v114, v115
	v_mul_f32_e32 v115, v113, v115
	s_waitcnt vmcnt(0)
	v_fma_f32 v113, v113, v116, -v117
	v_fmac_f32_e32 v115, v114, v116
	v_add_f32_e32 v112, v112, v113
	v_add_f32_e32 v106, v106, v115
	s_andn2_b64 exec, exec, s[8:9]
	s_cbranch_execnz .LBB115_25
; %bb.26:
	s_or_b64 exec, exec, s[8:9]
	v_mov_b32_e32 v109, 0
	ds_read_b64 v[109:110], v109 offset:24
	s_waitcnt lgkmcnt(0)
	v_mul_f32_e32 v111, v106, v110
	v_mul_f32_e32 v110, v112, v110
	v_fma_f32 v111, v112, v109, -v111
	v_fmac_f32_e32 v110, v106, v109
	buffer_store_dword v111, off, s[0:3], 0 offset:24
	buffer_store_dword v110, off, s[0:3], 0 offset:28
.LBB115_27:
	s_or_b64 exec, exec, s[4:5]
	; wave barrier
	buffer_load_dword v109, off, s[0:3], 0 offset:32
	buffer_load_dword v110, off, s[0:3], 0 offset:36
	v_cmp_gt_u32_e32 vcc, 4, v0
	s_waitcnt vmcnt(0)
	ds_write_b64 v108, v[109:110]
	s_waitcnt lgkmcnt(0)
	; wave barrier
	s_and_saveexec_b64 s[4:5], vcc
	s_cbranch_execz .LBB115_31
; %bb.28:
	v_add_u32_e32 v109, -1, v0
	v_add_u32_e32 v110, 0x1a0, v107
	v_mov_b32_e32 v111, v107
	v_mov_b32_e32 v106, 0
	s_mov_b64 s[8:9], 0
	v_mov_b32_e32 v112, 0
.LBB115_29:                             ; =>This Inner Loop Header: Depth=1
	buffer_load_dword v115, v111, s[0:3], 0 offen offset:4
	buffer_load_dword v116, v111, s[0:3], 0 offen
	ds_read_b64 v[113:114], v110
	v_add_u32_e32 v109, 1, v109
	v_cmp_lt_u32_e32 vcc, 2, v109
	v_add_u32_e32 v110, 8, v110
	v_add_u32_e32 v111, 8, v111
	s_or_b64 s[8:9], vcc, s[8:9]
	s_waitcnt vmcnt(1) lgkmcnt(0)
	v_mul_f32_e32 v117, v114, v115
	v_mul_f32_e32 v115, v113, v115
	s_waitcnt vmcnt(0)
	v_fma_f32 v113, v113, v116, -v117
	v_fmac_f32_e32 v115, v114, v116
	v_add_f32_e32 v112, v112, v113
	v_add_f32_e32 v106, v106, v115
	s_andn2_b64 exec, exec, s[8:9]
	s_cbranch_execnz .LBB115_29
; %bb.30:
	s_or_b64 exec, exec, s[8:9]
	v_mov_b32_e32 v109, 0
	ds_read_b64 v[109:110], v109 offset:32
	s_waitcnt lgkmcnt(0)
	v_mul_f32_e32 v111, v106, v110
	v_mul_f32_e32 v110, v112, v110
	v_fma_f32 v111, v112, v109, -v111
	v_fmac_f32_e32 v110, v106, v109
	buffer_store_dword v111, off, s[0:3], 0 offset:32
	buffer_store_dword v110, off, s[0:3], 0 offset:36
.LBB115_31:
	s_or_b64 exec, exec, s[4:5]
	; wave barrier
	buffer_load_dword v109, off, s[0:3], 0 offset:40
	buffer_load_dword v110, off, s[0:3], 0 offset:44
	v_cmp_gt_u32_e32 vcc, 5, v0
	s_waitcnt vmcnt(0)
	ds_write_b64 v108, v[109:110]
	;; [unrolled: 49-line block ×19, first 2 shown]
	s_waitcnt lgkmcnt(0)
	; wave barrier
	s_and_saveexec_b64 s[4:5], vcc
	s_cbranch_execz .LBB115_103
; %bb.100:
	v_add_u32_e32 v109, -1, v0
	v_add_u32_e32 v110, 0x1a0, v107
	v_mov_b32_e32 v111, v107
	v_mov_b32_e32 v106, 0
	s_mov_b64 s[8:9], 0
	v_mov_b32_e32 v112, 0
.LBB115_101:                            ; =>This Inner Loop Header: Depth=1
	buffer_load_dword v115, v111, s[0:3], 0 offen offset:4
	buffer_load_dword v116, v111, s[0:3], 0 offen
	ds_read_b64 v[113:114], v110
	v_add_u32_e32 v109, 1, v109
	v_cmp_lt_u32_e32 vcc, 20, v109
	v_add_u32_e32 v110, 8, v110
	v_add_u32_e32 v111, 8, v111
	s_or_b64 s[8:9], vcc, s[8:9]
	s_waitcnt vmcnt(1) lgkmcnt(0)
	v_mul_f32_e32 v117, v114, v115
	v_mul_f32_e32 v115, v113, v115
	s_waitcnt vmcnt(0)
	v_fma_f32 v113, v113, v116, -v117
	v_fmac_f32_e32 v115, v114, v116
	v_add_f32_e32 v112, v112, v113
	v_add_f32_e32 v106, v106, v115
	s_andn2_b64 exec, exec, s[8:9]
	s_cbranch_execnz .LBB115_101
; %bb.102:
	s_or_b64 exec, exec, s[8:9]
	v_mov_b32_e32 v109, 0
	ds_read_b64 v[109:110], v109 offset:176
	s_waitcnt lgkmcnt(0)
	v_mul_f32_e32 v111, v106, v110
	v_mul_f32_e32 v110, v112, v110
	v_fma_f32 v111, v112, v109, -v111
	v_fmac_f32_e32 v110, v106, v109
	buffer_store_dword v111, off, s[0:3], 0 offset:176
	buffer_store_dword v110, off, s[0:3], 0 offset:180
.LBB115_103:
	s_or_b64 exec, exec, s[4:5]
	; wave barrier
	buffer_load_dword v109, off, s[0:3], 0 offset:184
	buffer_load_dword v110, off, s[0:3], 0 offset:188
	v_cmp_gt_u32_e32 vcc, 23, v0
	s_waitcnt vmcnt(0)
	ds_write_b64 v108, v[109:110]
	s_waitcnt lgkmcnt(0)
	; wave barrier
	s_and_saveexec_b64 s[4:5], vcc
	s_cbranch_execz .LBB115_107
; %bb.104:
	v_add_u32_e32 v109, -1, v0
	v_add_u32_e32 v110, 0x1a0, v107
	v_mov_b32_e32 v111, v107
	v_mov_b32_e32 v106, 0
	s_mov_b64 s[8:9], 0
	v_mov_b32_e32 v112, 0
.LBB115_105:                            ; =>This Inner Loop Header: Depth=1
	buffer_load_dword v115, v111, s[0:3], 0 offen offset:4
	buffer_load_dword v116, v111, s[0:3], 0 offen
	ds_read_b64 v[113:114], v110
	v_add_u32_e32 v109, 1, v109
	v_cmp_lt_u32_e32 vcc, 21, v109
	v_add_u32_e32 v110, 8, v110
	v_add_u32_e32 v111, 8, v111
	s_or_b64 s[8:9], vcc, s[8:9]
	s_waitcnt vmcnt(1) lgkmcnt(0)
	v_mul_f32_e32 v117, v114, v115
	v_mul_f32_e32 v115, v113, v115
	s_waitcnt vmcnt(0)
	v_fma_f32 v113, v113, v116, -v117
	v_fmac_f32_e32 v115, v114, v116
	v_add_f32_e32 v112, v112, v113
	v_add_f32_e32 v106, v106, v115
	s_andn2_b64 exec, exec, s[8:9]
	s_cbranch_execnz .LBB115_105
; %bb.106:
	s_or_b64 exec, exec, s[8:9]
	v_mov_b32_e32 v109, 0
	ds_read_b64 v[109:110], v109 offset:184
	s_waitcnt lgkmcnt(0)
	v_mul_f32_e32 v111, v106, v110
	v_mul_f32_e32 v110, v112, v110
	v_fma_f32 v111, v112, v109, -v111
	v_fmac_f32_e32 v110, v106, v109
	buffer_store_dword v111, off, s[0:3], 0 offset:184
	buffer_store_dword v110, off, s[0:3], 0 offset:188
.LBB115_107:
	s_or_b64 exec, exec, s[4:5]
	; wave barrier
	buffer_load_dword v109, off, s[0:3], 0 offset:192
	buffer_load_dword v110, off, s[0:3], 0 offset:196
	v_cmp_gt_u32_e32 vcc, 24, v0
	s_waitcnt vmcnt(0)
	ds_write_b64 v108, v[109:110]
	;; [unrolled: 49-line block ×28, first 2 shown]
	s_waitcnt lgkmcnt(0)
	; wave barrier
	s_and_saveexec_b64 s[4:5], vcc
	s_cbranch_execz .LBB115_215
; %bb.212:
	v_add_u32_e32 v109, -1, v0
	v_add_u32_e32 v110, 0x1a0, v107
	v_mov_b32_e32 v111, v107
	v_mov_b32_e32 v106, 0
	s_mov_b64 s[8:9], 0
	v_mov_b32_e32 v112, 0
.LBB115_213:                            ; =>This Inner Loop Header: Depth=1
	buffer_load_dword v115, v111, s[0:3], 0 offen offset:4
	buffer_load_dword v116, v111, s[0:3], 0 offen
	ds_read_b64 v[113:114], v110
	v_add_u32_e32 v109, 1, v109
	v_cmp_lt_u32_e32 vcc, 48, v109
	v_add_u32_e32 v110, 8, v110
	v_add_u32_e32 v111, 8, v111
	s_or_b64 s[8:9], vcc, s[8:9]
	s_waitcnt vmcnt(1) lgkmcnt(0)
	v_mul_f32_e32 v117, v114, v115
	v_mul_f32_e32 v115, v113, v115
	s_waitcnt vmcnt(0)
	v_fma_f32 v113, v113, v116, -v117
	v_fmac_f32_e32 v115, v114, v116
	v_add_f32_e32 v112, v112, v113
	v_add_f32_e32 v106, v106, v115
	s_andn2_b64 exec, exec, s[8:9]
	s_cbranch_execnz .LBB115_213
; %bb.214:
	s_or_b64 exec, exec, s[8:9]
	v_mov_b32_e32 v109, 0
	ds_read_b64 v[109:110], v109 offset:400
	s_waitcnt lgkmcnt(0)
	v_mul_f32_e32 v111, v106, v110
	v_mul_f32_e32 v110, v112, v110
	v_fma_f32 v111, v112, v109, -v111
	v_fmac_f32_e32 v110, v106, v109
	buffer_store_dword v111, off, s[0:3], 0 offset:400
	buffer_store_dword v110, off, s[0:3], 0 offset:404
.LBB115_215:
	s_or_b64 exec, exec, s[4:5]
	; wave barrier
	buffer_load_dword v109, off, s[0:3], 0 offset:408
	buffer_load_dword v110, off, s[0:3], 0 offset:412
	v_cmp_ne_u32_e32 vcc, 51, v0
	s_waitcnt vmcnt(0)
	ds_write_b64 v108, v[109:110]
	s_waitcnt lgkmcnt(0)
	; wave barrier
	s_and_saveexec_b64 s[4:5], vcc
	s_cbranch_execz .LBB115_219
; %bb.216:
	v_add_u32_e32 v108, 0x1a0, v107
	v_mov_b32_e32 v106, 0
	s_mov_b64 s[8:9], 0
	v_mov_b32_e32 v109, 0
.LBB115_217:                            ; =>This Inner Loop Header: Depth=1
	buffer_load_dword v112, v107, s[0:3], 0 offen offset:4
	buffer_load_dword v113, v107, s[0:3], 0 offen
	ds_read_b64 v[110:111], v108
	v_add_u32_e32 v105, 1, v105
	v_cmp_lt_u32_e32 vcc, 49, v105
	v_add_u32_e32 v108, 8, v108
	v_add_u32_e32 v107, 8, v107
	s_or_b64 s[8:9], vcc, s[8:9]
	s_waitcnt vmcnt(1) lgkmcnt(0)
	v_mul_f32_e32 v114, v111, v112
	v_mul_f32_e32 v112, v110, v112
	s_waitcnt vmcnt(0)
	v_fma_f32 v110, v110, v113, -v114
	v_fmac_f32_e32 v112, v111, v113
	v_add_f32_e32 v109, v109, v110
	v_add_f32_e32 v106, v106, v112
	s_andn2_b64 exec, exec, s[8:9]
	s_cbranch_execnz .LBB115_217
; %bb.218:
	s_or_b64 exec, exec, s[8:9]
	v_mov_b32_e32 v105, 0
	ds_read_b64 v[107:108], v105 offset:408
	s_waitcnt lgkmcnt(0)
	v_mul_f32_e32 v105, v106, v108
	v_mul_f32_e32 v108, v109, v108
	v_fma_f32 v105, v109, v107, -v105
	v_fmac_f32_e32 v108, v106, v107
	buffer_store_dword v105, off, s[0:3], 0 offset:408
	buffer_store_dword v108, off, s[0:3], 0 offset:412
.LBB115_219:
	s_or_b64 exec, exec, s[4:5]
	s_mov_b64 s[8:9], -1
	; wave barrier
.LBB115_220:
	s_and_b64 vcc, exec, s[8:9]
	s_cbranch_vccz .LBB115_222
; %bb.221:
	s_lshl_b64 s[4:5], s[6:7], 2
	s_add_u32 s4, s10, s4
	s_addc_u32 s5, s11, s5
	v_mov_b32_e32 v105, 0
	global_load_dword v105, v105, s[4:5]
	s_waitcnt vmcnt(0)
	v_cmp_ne_u32_e32 vcc, 0, v105
	s_cbranch_vccz .LBB115_223
.LBB115_222:
	s_endpgm
.LBB115_223:
	v_mov_b32_e32 v105, 0x1a0
	v_lshl_add_u32 v105, v0, 3, v105
	v_cmp_eq_u32_e32 vcc, 51, v0
	s_and_saveexec_b64 s[4:5], vcc
	s_cbranch_execz .LBB115_225
; %bb.224:
	buffer_load_dword v106, off, s[0:3], 0 offset:400
	buffer_load_dword v107, off, s[0:3], 0 offset:404
	v_mov_b32_e32 v108, 0
	buffer_store_dword v108, off, s[0:3], 0 offset:400
	buffer_store_dword v108, off, s[0:3], 0 offset:404
	s_waitcnt vmcnt(2)
	ds_write_b64 v105, v[106:107]
.LBB115_225:
	s_or_b64 exec, exec, s[4:5]
	s_waitcnt lgkmcnt(0)
	; wave barrier
	buffer_load_dword v109, off, s[0:3], 0 offset:412
	buffer_load_dword v110, off, s[0:3], 0 offset:408
	buffer_load_dword v111, off, s[0:3], 0 offset:400
	buffer_load_dword v112, off, s[0:3], 0 offset:404
	v_mov_b32_e32 v106, 0
	ds_read_b64 v[107:108], v106 offset:824
	v_cmp_lt_u32_e32 vcc, 49, v0
	s_waitcnt vmcnt(3) lgkmcnt(0)
	v_mul_f32_e32 v113, v107, v109
	v_mul_f32_e32 v109, v108, v109
	s_waitcnt vmcnt(2)
	v_fma_f32 v107, v107, v110, -v109
	v_fmac_f32_e32 v113, v108, v110
	v_add_f32_e32 v107, 0, v107
	v_add_f32_e32 v108, 0, v113
	s_waitcnt vmcnt(1)
	v_sub_f32_e32 v107, v111, v107
	s_waitcnt vmcnt(0)
	v_sub_f32_e32 v108, v112, v108
	buffer_store_dword v107, off, s[0:3], 0 offset:400
	buffer_store_dword v108, off, s[0:3], 0 offset:404
	s_and_saveexec_b64 s[4:5], vcc
	s_cbranch_execz .LBB115_227
; %bb.226:
	buffer_load_dword v107, off, s[0:3], 0 offset:392
	buffer_load_dword v108, off, s[0:3], 0 offset:396
	s_waitcnt vmcnt(0)
	ds_write_b64 v105, v[107:108]
	buffer_store_dword v106, off, s[0:3], 0 offset:392
	buffer_store_dword v106, off, s[0:3], 0 offset:396
.LBB115_227:
	s_or_b64 exec, exec, s[4:5]
	s_waitcnt lgkmcnt(0)
	; wave barrier
	buffer_load_dword v110, off, s[0:3], 0 offset:404
	buffer_load_dword v111, off, s[0:3], 0 offset:412
	;; [unrolled: 1-line block ×6, first 2 shown]
	ds_read_b128 v[106:109], v106 offset:816
	v_cmp_lt_u32_e32 vcc, 48, v0
	s_waitcnt vmcnt(5) lgkmcnt(0)
	v_mul_f32_e32 v116, v106, v110
	v_mul_f32_e32 v110, v107, v110
	s_waitcnt vmcnt(4)
	v_mul_f32_e32 v117, v108, v111
	v_mul_f32_e32 v111, v109, v111
	s_waitcnt vmcnt(3)
	v_fma_f32 v106, v106, v112, -v110
	v_fmac_f32_e32 v116, v107, v112
	s_waitcnt vmcnt(2)
	v_fma_f32 v107, v108, v113, -v111
	v_add_f32_e32 v106, 0, v106
	v_fmac_f32_e32 v117, v109, v113
	v_add_f32_e32 v108, 0, v116
	v_add_f32_e32 v106, v106, v107
	;; [unrolled: 1-line block ×3, first 2 shown]
	s_waitcnt vmcnt(1)
	v_sub_f32_e32 v106, v114, v106
	s_waitcnt vmcnt(0)
	v_sub_f32_e32 v107, v115, v108
	buffer_store_dword v106, off, s[0:3], 0 offset:392
	buffer_store_dword v107, off, s[0:3], 0 offset:396
	s_and_saveexec_b64 s[4:5], vcc
	s_cbranch_execz .LBB115_229
; %bb.228:
	buffer_load_dword v106, off, s[0:3], 0 offset:384
	buffer_load_dword v107, off, s[0:3], 0 offset:388
	v_mov_b32_e32 v108, 0
	buffer_store_dword v108, off, s[0:3], 0 offset:384
	buffer_store_dword v108, off, s[0:3], 0 offset:388
	s_waitcnt vmcnt(2)
	ds_write_b64 v105, v[106:107]
.LBB115_229:
	s_or_b64 exec, exec, s[4:5]
	s_waitcnt lgkmcnt(0)
	; wave barrier
	buffer_load_dword v113, off, s[0:3], 0 offset:396
	buffer_load_dword v114, off, s[0:3], 0 offset:404
	;; [unrolled: 1-line block ×8, first 2 shown]
	v_mov_b32_e32 v106, 0
	ds_read2_b64 v[107:110], v106 offset0:101 offset1:102
	ds_read_b64 v[111:112], v106 offset:824
	v_cmp_lt_u32_e32 vcc, 47, v0
	s_waitcnt vmcnt(7) lgkmcnt(1)
	v_mul_f32_e32 v121, v107, v113
	v_mul_f32_e32 v113, v108, v113
	s_waitcnt vmcnt(6)
	v_mul_f32_e32 v122, v109, v114
	v_mul_f32_e32 v114, v110, v114
	s_waitcnt vmcnt(4)
	v_fma_f32 v107, v107, v116, -v113
	s_waitcnt lgkmcnt(0)
	v_mul_f32_e32 v123, v111, v115
	v_mul_f32_e32 v115, v112, v115
	v_fmac_f32_e32 v121, v108, v116
	s_waitcnt vmcnt(3)
	v_fma_f32 v108, v109, v117, -v114
	v_add_f32_e32 v107, 0, v107
	v_fmac_f32_e32 v122, v110, v117
	s_waitcnt vmcnt(2)
	v_fma_f32 v109, v111, v118, -v115
	v_add_f32_e32 v110, 0, v121
	v_add_f32_e32 v107, v107, v108
	v_fmac_f32_e32 v123, v112, v118
	v_add_f32_e32 v110, v110, v122
	v_add_f32_e32 v107, v107, v109
	;; [unrolled: 1-line block ×3, first 2 shown]
	s_waitcnt vmcnt(1)
	v_sub_f32_e32 v107, v119, v107
	s_waitcnt vmcnt(0)
	v_sub_f32_e32 v108, v120, v108
	buffer_store_dword v107, off, s[0:3], 0 offset:384
	buffer_store_dword v108, off, s[0:3], 0 offset:388
	s_and_saveexec_b64 s[4:5], vcc
	s_cbranch_execz .LBB115_231
; %bb.230:
	buffer_load_dword v107, off, s[0:3], 0 offset:376
	buffer_load_dword v108, off, s[0:3], 0 offset:380
	s_waitcnt vmcnt(0)
	ds_write_b64 v105, v[107:108]
	buffer_store_dword v106, off, s[0:3], 0 offset:376
	buffer_store_dword v106, off, s[0:3], 0 offset:380
.LBB115_231:
	s_or_b64 exec, exec, s[4:5]
	s_waitcnt lgkmcnt(0)
	; wave barrier
	ds_read_b128 v[107:110], v106 offset:800
	ds_read_b128 v[111:114], v106 offset:816
	buffer_load_dword v106, off, s[0:3], 0 offset:376
	buffer_load_dword v115, off, s[0:3], 0 offset:380
	buffer_load_dword v116, off, s[0:3], 0 offset:384
	buffer_load_dword v117, off, s[0:3], 0 offset:388
	buffer_load_dword v118, off, s[0:3], 0 offset:392
	buffer_load_dword v119, off, s[0:3], 0 offset:396
	buffer_load_dword v120, off, s[0:3], 0 offset:400
	buffer_load_dword v121, off, s[0:3], 0 offset:404
	buffer_load_dword v122, off, s[0:3], 0 offset:408
	buffer_load_dword v123, off, s[0:3], 0 offset:412
	v_cmp_lt_u32_e32 vcc, 46, v0
	s_waitcnt vmcnt(6) lgkmcnt(1)
	v_mul_f32_e32 v124, v107, v117
	v_fmac_f32_e32 v124, v108, v116
	v_mul_f32_e32 v108, v108, v117
	v_fma_f32 v107, v107, v116, -v108
	s_waitcnt vmcnt(4)
	v_mul_f32_e32 v108, v110, v119
	v_mul_f32_e32 v125, v109, v119
	v_add_f32_e32 v107, 0, v107
	v_fma_f32 v108, v109, v118, -v108
	v_add_f32_e32 v124, 0, v124
	v_fmac_f32_e32 v125, v110, v118
	v_add_f32_e32 v107, v107, v108
	s_waitcnt vmcnt(2) lgkmcnt(0)
	v_mul_f32_e32 v108, v112, v121
	v_add_f32_e32 v124, v124, v125
	v_mul_f32_e32 v125, v111, v121
	v_fma_f32 v108, v111, v120, -v108
	v_fmac_f32_e32 v125, v112, v120
	v_add_f32_e32 v107, v107, v108
	s_waitcnt vmcnt(0)
	v_mul_f32_e32 v108, v114, v123
	v_add_f32_e32 v124, v124, v125
	v_mul_f32_e32 v125, v113, v123
	v_fma_f32 v108, v113, v122, -v108
	v_fmac_f32_e32 v125, v114, v122
	v_add_f32_e32 v107, v107, v108
	v_add_f32_e32 v124, v124, v125
	v_sub_f32_e32 v106, v106, v107
	v_sub_f32_e32 v107, v115, v124
	buffer_store_dword v106, off, s[0:3], 0 offset:376
	buffer_store_dword v107, off, s[0:3], 0 offset:380
	s_and_saveexec_b64 s[4:5], vcc
	s_cbranch_execz .LBB115_233
; %bb.232:
	buffer_load_dword v106, off, s[0:3], 0 offset:368
	buffer_load_dword v107, off, s[0:3], 0 offset:372
	v_mov_b32_e32 v108, 0
	buffer_store_dword v108, off, s[0:3], 0 offset:368
	buffer_store_dword v108, off, s[0:3], 0 offset:372
	s_waitcnt vmcnt(2)
	ds_write_b64 v105, v[106:107]
.LBB115_233:
	s_or_b64 exec, exec, s[4:5]
	s_waitcnt lgkmcnt(0)
	; wave barrier
	buffer_load_dword v117, off, s[0:3], 0 offset:380
	buffer_load_dword v118, off, s[0:3], 0 offset:388
	;; [unrolled: 1-line block ×12, first 2 shown]
	v_mov_b32_e32 v106, 0
	ds_read2_b64 v[107:110], v106 offset0:99 offset1:100
	ds_read2_b64 v[111:114], v106 offset0:101 offset1:102
	ds_read_b64 v[115:116], v106 offset:824
	v_cmp_lt_u32_e32 vcc, 45, v0
	s_waitcnt vmcnt(11) lgkmcnt(2)
	v_mul_f32_e32 v129, v107, v117
	v_mul_f32_e32 v117, v108, v117
	s_waitcnt vmcnt(10)
	v_mul_f32_e32 v130, v109, v118
	v_mul_f32_e32 v118, v110, v118
	s_waitcnt vmcnt(9) lgkmcnt(1)
	v_mul_f32_e32 v131, v111, v119
	s_waitcnt vmcnt(6)
	v_fma_f32 v107, v107, v122, -v117
	v_mul_f32_e32 v119, v112, v119
	v_fmac_f32_e32 v129, v108, v122
	s_waitcnt vmcnt(5)
	v_fma_f32 v108, v109, v123, -v118
	v_add_f32_e32 v107, 0, v107
	v_mul_f32_e32 v132, v113, v120
	v_mul_f32_e32 v120, v114, v120
	v_fmac_f32_e32 v130, v110, v123
	s_waitcnt vmcnt(4)
	v_fmac_f32_e32 v131, v112, v124
	v_fma_f32 v109, v111, v124, -v119
	v_add_f32_e32 v112, 0, v129
	v_add_f32_e32 v107, v107, v108
	s_waitcnt lgkmcnt(0)
	v_mul_f32_e32 v133, v115, v121
	v_mul_f32_e32 v121, v116, v121
	s_waitcnt vmcnt(3)
	v_fma_f32 v110, v113, v125, -v120
	v_add_f32_e32 v112, v112, v130
	v_add_f32_e32 v107, v107, v109
	v_fmac_f32_e32 v132, v114, v125
	s_waitcnt vmcnt(2)
	v_fma_f32 v111, v115, v126, -v121
	v_add_f32_e32 v108, v112, v131
	v_add_f32_e32 v107, v107, v110
	v_fmac_f32_e32 v133, v116, v126
	v_add_f32_e32 v108, v108, v132
	v_add_f32_e32 v107, v107, v111
	;; [unrolled: 1-line block ×3, first 2 shown]
	s_waitcnt vmcnt(1)
	v_sub_f32_e32 v107, v127, v107
	s_waitcnt vmcnt(0)
	v_sub_f32_e32 v108, v128, v108
	buffer_store_dword v107, off, s[0:3], 0 offset:368
	buffer_store_dword v108, off, s[0:3], 0 offset:372
	s_and_saveexec_b64 s[4:5], vcc
	s_cbranch_execz .LBB115_235
; %bb.234:
	buffer_load_dword v107, off, s[0:3], 0 offset:360
	buffer_load_dword v108, off, s[0:3], 0 offset:364
	s_waitcnt vmcnt(0)
	ds_write_b64 v105, v[107:108]
	buffer_store_dword v106, off, s[0:3], 0 offset:360
	buffer_store_dword v106, off, s[0:3], 0 offset:364
.LBB115_235:
	s_or_b64 exec, exec, s[4:5]
	s_waitcnt lgkmcnt(0)
	; wave barrier
	buffer_load_dword v119, off, s[0:3], 0 offset:372
	buffer_load_dword v120, off, s[0:3], 0 offset:380
	;; [unrolled: 1-line block ×14, first 2 shown]
	ds_read_b128 v[107:110], v106 offset:784
	ds_read_b128 v[111:114], v106 offset:800
	;; [unrolled: 1-line block ×3, first 2 shown]
	v_cmp_lt_u32_e32 vcc, 44, v0
	s_waitcnt vmcnt(13) lgkmcnt(2)
	v_mul_f32_e32 v106, v107, v119
	v_mul_f32_e32 v119, v108, v119
	s_waitcnt vmcnt(12)
	v_mul_f32_e32 v133, v109, v120
	v_mul_f32_e32 v120, v110, v120
	s_waitcnt vmcnt(11) lgkmcnt(1)
	v_mul_f32_e32 v134, v111, v121
	v_mul_f32_e32 v121, v112, v121
	s_waitcnt vmcnt(7)
	v_fma_f32 v107, v107, v125, -v119
	v_fmac_f32_e32 v106, v108, v125
	s_waitcnt vmcnt(6)
	v_fma_f32 v108, v109, v126, -v120
	v_add_f32_e32 v107, 0, v107
	v_mul_f32_e32 v135, v113, v122
	v_mul_f32_e32 v122, v114, v122
	v_fmac_f32_e32 v133, v110, v126
	s_waitcnt vmcnt(5)
	v_fma_f32 v109, v111, v127, -v121
	v_add_f32_e32 v106, 0, v106
	v_add_f32_e32 v107, v107, v108
	s_waitcnt lgkmcnt(0)
	v_mul_f32_e32 v136, v115, v123
	v_mul_f32_e32 v123, v116, v123
	v_fmac_f32_e32 v134, v112, v127
	s_waitcnt vmcnt(4)
	v_fma_f32 v110, v113, v128, -v122
	v_add_f32_e32 v106, v106, v133
	v_add_f32_e32 v107, v107, v109
	v_mul_f32_e32 v137, v117, v124
	v_mul_f32_e32 v124, v118, v124
	v_fmac_f32_e32 v135, v114, v128
	s_waitcnt vmcnt(3)
	v_fma_f32 v111, v115, v129, -v123
	v_add_f32_e32 v106, v106, v134
	v_add_f32_e32 v107, v107, v110
	v_fmac_f32_e32 v136, v116, v129
	s_waitcnt vmcnt(2)
	v_fma_f32 v112, v117, v130, -v124
	v_add_f32_e32 v106, v106, v135
	v_add_f32_e32 v107, v107, v111
	v_fmac_f32_e32 v137, v118, v130
	v_add_f32_e32 v106, v106, v136
	v_add_f32_e32 v107, v107, v112
	;; [unrolled: 1-line block ×3, first 2 shown]
	s_waitcnt vmcnt(1)
	v_sub_f32_e32 v107, v131, v107
	s_waitcnt vmcnt(0)
	v_sub_f32_e32 v106, v132, v106
	buffer_store_dword v107, off, s[0:3], 0 offset:360
	buffer_store_dword v106, off, s[0:3], 0 offset:364
	s_and_saveexec_b64 s[4:5], vcc
	s_cbranch_execz .LBB115_237
; %bb.236:
	buffer_load_dword v106, off, s[0:3], 0 offset:352
	buffer_load_dword v107, off, s[0:3], 0 offset:356
	v_mov_b32_e32 v108, 0
	buffer_store_dword v108, off, s[0:3], 0 offset:352
	buffer_store_dword v108, off, s[0:3], 0 offset:356
	s_waitcnt vmcnt(2)
	ds_write_b64 v105, v[106:107]
.LBB115_237:
	s_or_b64 exec, exec, s[4:5]
	s_waitcnt lgkmcnt(0)
	; wave barrier
	buffer_load_dword v121, off, s[0:3], 0 offset:364
	buffer_load_dword v122, off, s[0:3], 0 offset:372
	;; [unrolled: 1-line block ×16, first 2 shown]
	v_mov_b32_e32 v106, 0
	ds_read2_b64 v[107:110], v106 offset0:97 offset1:98
	ds_read2_b64 v[111:114], v106 offset0:99 offset1:100
	;; [unrolled: 1-line block ×3, first 2 shown]
	ds_read_b64 v[119:120], v106 offset:824
	v_cmp_lt_u32_e32 vcc, 43, v0
	s_waitcnt vmcnt(15) lgkmcnt(3)
	v_mul_f32_e32 v137, v107, v121
	v_mul_f32_e32 v121, v108, v121
	s_waitcnt vmcnt(14)
	v_mul_f32_e32 v138, v109, v122
	v_mul_f32_e32 v122, v110, v122
	s_waitcnt vmcnt(13) lgkmcnt(2)
	v_mul_f32_e32 v139, v111, v123
	s_waitcnt vmcnt(12)
	v_mul_f32_e32 v140, v113, v124
	v_mul_f32_e32 v123, v112, v123
	s_waitcnt vmcnt(8)
	v_fma_f32 v107, v107, v128, -v121
	v_fmac_f32_e32 v137, v108, v128
	s_waitcnt vmcnt(7)
	v_fma_f32 v108, v109, v129, -v122
	v_add_f32_e32 v107, 0, v107
	v_mul_f32_e32 v124, v114, v124
	v_fmac_f32_e32 v138, v110, v129
	s_waitcnt vmcnt(5)
	v_fmac_f32_e32 v140, v114, v131
	v_fma_f32 v109, v111, v130, -v123
	v_add_f32_e32 v114, 0, v137
	v_add_f32_e32 v107, v107, v108
	s_waitcnt lgkmcnt(1)
	v_mul_f32_e32 v141, v115, v125
	v_mul_f32_e32 v125, v116, v125
	v_fmac_f32_e32 v139, v112, v130
	v_fma_f32 v110, v113, v131, -v124
	v_add_f32_e32 v114, v114, v138
	v_add_f32_e32 v107, v107, v109
	v_mul_f32_e32 v142, v117, v126
	v_mul_f32_e32 v126, v118, v126
	s_waitcnt vmcnt(4)
	v_fma_f32 v111, v115, v132, -v125
	v_add_f32_e32 v108, v114, v139
	v_add_f32_e32 v107, v107, v110
	s_waitcnt lgkmcnt(0)
	v_mul_f32_e32 v143, v119, v127
	v_mul_f32_e32 v127, v120, v127
	v_fmac_f32_e32 v141, v116, v132
	s_waitcnt vmcnt(3)
	v_fma_f32 v112, v117, v133, -v126
	v_add_f32_e32 v108, v108, v140
	v_add_f32_e32 v107, v107, v111
	v_fmac_f32_e32 v142, v118, v133
	s_waitcnt vmcnt(2)
	v_fma_f32 v113, v119, v134, -v127
	v_add_f32_e32 v108, v108, v141
	v_add_f32_e32 v107, v107, v112
	v_fmac_f32_e32 v143, v120, v134
	v_add_f32_e32 v108, v108, v142
	v_add_f32_e32 v107, v107, v113
	;; [unrolled: 1-line block ×3, first 2 shown]
	s_waitcnt vmcnt(1)
	v_sub_f32_e32 v107, v135, v107
	s_waitcnt vmcnt(0)
	v_sub_f32_e32 v108, v136, v108
	buffer_store_dword v107, off, s[0:3], 0 offset:352
	buffer_store_dword v108, off, s[0:3], 0 offset:356
	s_and_saveexec_b64 s[4:5], vcc
	s_cbranch_execz .LBB115_239
; %bb.238:
	buffer_load_dword v107, off, s[0:3], 0 offset:344
	buffer_load_dword v108, off, s[0:3], 0 offset:348
	s_waitcnt vmcnt(0)
	ds_write_b64 v105, v[107:108]
	buffer_store_dword v106, off, s[0:3], 0 offset:344
	buffer_store_dword v106, off, s[0:3], 0 offset:348
.LBB115_239:
	s_or_b64 exec, exec, s[4:5]
	s_waitcnt lgkmcnt(0)
	; wave barrier
	buffer_load_dword v123, off, s[0:3], 0 offset:356
	buffer_load_dword v124, off, s[0:3], 0 offset:364
	;; [unrolled: 1-line block ×18, first 2 shown]
	ds_read_b128 v[107:110], v106 offset:768
	ds_read_b128 v[111:114], v106 offset:784
	;; [unrolled: 1-line block ×4, first 2 shown]
	v_cmp_lt_u32_e32 vcc, 42, v0
	s_waitcnt vmcnt(17) lgkmcnt(3)
	v_mul_f32_e32 v106, v107, v123
	v_mul_f32_e32 v123, v108, v123
	s_waitcnt vmcnt(16)
	v_mul_f32_e32 v141, v109, v124
	v_mul_f32_e32 v124, v110, v124
	s_waitcnt vmcnt(15) lgkmcnt(2)
	v_mul_f32_e32 v142, v111, v125
	v_mul_f32_e32 v125, v112, v125
	s_waitcnt vmcnt(14)
	v_mul_f32_e32 v143, v113, v126
	v_mul_f32_e32 v126, v114, v126
	s_waitcnt vmcnt(9)
	v_fma_f32 v107, v107, v131, -v123
	v_fmac_f32_e32 v106, v108, v131
	s_waitcnt vmcnt(8)
	v_fma_f32 v108, v109, v132, -v124
	v_add_f32_e32 v107, 0, v107
	v_fmac_f32_e32 v141, v110, v132
	s_waitcnt vmcnt(7)
	v_fma_f32 v109, v111, v133, -v125
	v_add_f32_e32 v106, 0, v106
	v_add_f32_e32 v107, v107, v108
	s_waitcnt lgkmcnt(1)
	v_mul_f32_e32 v144, v115, v127
	v_mul_f32_e32 v127, v116, v127
	v_fmac_f32_e32 v142, v112, v133
	s_waitcnt vmcnt(6)
	v_fma_f32 v110, v113, v134, -v126
	v_add_f32_e32 v106, v106, v141
	v_add_f32_e32 v107, v107, v109
	v_mul_f32_e32 v145, v117, v128
	v_mul_f32_e32 v128, v118, v128
	v_fmac_f32_e32 v143, v114, v134
	s_waitcnt vmcnt(5)
	v_fma_f32 v111, v115, v135, -v127
	v_add_f32_e32 v106, v106, v142
	v_add_f32_e32 v107, v107, v110
	s_waitcnt lgkmcnt(0)
	v_mul_f32_e32 v146, v119, v129
	v_mul_f32_e32 v129, v120, v129
	v_fmac_f32_e32 v144, v116, v135
	s_waitcnt vmcnt(4)
	v_fma_f32 v112, v117, v136, -v128
	v_add_f32_e32 v106, v106, v143
	v_add_f32_e32 v107, v107, v111
	v_mul_f32_e32 v147, v121, v130
	v_mul_f32_e32 v130, v122, v130
	v_fmac_f32_e32 v145, v118, v136
	s_waitcnt vmcnt(3)
	v_fma_f32 v113, v119, v137, -v129
	v_add_f32_e32 v106, v106, v144
	v_add_f32_e32 v107, v107, v112
	v_fmac_f32_e32 v146, v120, v137
	s_waitcnt vmcnt(2)
	v_fma_f32 v114, v121, v138, -v130
	v_add_f32_e32 v106, v106, v145
	v_add_f32_e32 v107, v107, v113
	v_fmac_f32_e32 v147, v122, v138
	v_add_f32_e32 v106, v106, v146
	v_add_f32_e32 v107, v107, v114
	;; [unrolled: 1-line block ×3, first 2 shown]
	s_waitcnt vmcnt(1)
	v_sub_f32_e32 v107, v139, v107
	s_waitcnt vmcnt(0)
	v_sub_f32_e32 v106, v140, v106
	buffer_store_dword v107, off, s[0:3], 0 offset:344
	buffer_store_dword v106, off, s[0:3], 0 offset:348
	s_and_saveexec_b64 s[4:5], vcc
	s_cbranch_execz .LBB115_241
; %bb.240:
	buffer_load_dword v106, off, s[0:3], 0 offset:336
	buffer_load_dword v107, off, s[0:3], 0 offset:340
	v_mov_b32_e32 v108, 0
	buffer_store_dword v108, off, s[0:3], 0 offset:336
	buffer_store_dword v108, off, s[0:3], 0 offset:340
	s_waitcnt vmcnt(2)
	ds_write_b64 v105, v[106:107]
.LBB115_241:
	s_or_b64 exec, exec, s[4:5]
	s_waitcnt lgkmcnt(0)
	; wave barrier
	buffer_load_dword v125, off, s[0:3], 0 offset:348
	buffer_load_dword v126, off, s[0:3], 0 offset:356
	;; [unrolled: 1-line block ×20, first 2 shown]
	v_mov_b32_e32 v106, 0
	ds_read2_b64 v[107:110], v106 offset0:95 offset1:96
	ds_read2_b64 v[111:114], v106 offset0:97 offset1:98
	;; [unrolled: 1-line block ×4, first 2 shown]
	ds_read_b64 v[123:124], v106 offset:824
	v_cmp_lt_u32_e32 vcc, 41, v0
	s_waitcnt vmcnt(19) lgkmcnt(4)
	v_mul_f32_e32 v145, v107, v125
	v_mul_f32_e32 v125, v108, v125
	s_waitcnt vmcnt(18)
	v_mul_f32_e32 v146, v109, v126
	v_mul_f32_e32 v126, v110, v126
	s_waitcnt vmcnt(17) lgkmcnt(3)
	v_mul_f32_e32 v147, v111, v127
	s_waitcnt vmcnt(15) lgkmcnt(2)
	v_mul_f32_e32 v149, v115, v129
	v_mul_f32_e32 v127, v112, v127
	;; [unrolled: 1-line block ×4, first 2 shown]
	s_waitcnt vmcnt(10)
	v_fma_f32 v107, v107, v134, -v125
	v_fmac_f32_e32 v145, v108, v134
	s_waitcnt vmcnt(9)
	v_fma_f32 v108, v109, v135, -v126
	v_add_f32_e32 v107, 0, v107
	v_mul_f32_e32 v129, v116, v129
	v_fmac_f32_e32 v146, v110, v135
	s_waitcnt vmcnt(6)
	v_fmac_f32_e32 v149, v116, v138
	v_fma_f32 v109, v111, v136, -v127
	v_add_f32_e32 v116, 0, v145
	v_add_f32_e32 v107, v107, v108
	v_fmac_f32_e32 v147, v112, v136
	v_fma_f32 v110, v113, v137, -v128
	v_add_f32_e32 v116, v116, v146
	v_add_f32_e32 v107, v107, v109
	v_mul_f32_e32 v150, v117, v130
	v_mul_f32_e32 v130, v118, v130
	v_fmac_f32_e32 v148, v114, v137
	v_fma_f32 v111, v115, v138, -v129
	v_add_f32_e32 v108, v116, v147
	v_add_f32_e32 v107, v107, v110
	s_waitcnt lgkmcnt(1)
	v_mul_f32_e32 v151, v119, v131
	v_mul_f32_e32 v131, v120, v131
	s_waitcnt vmcnt(5)
	v_fma_f32 v112, v117, v139, -v130
	v_add_f32_e32 v108, v108, v148
	v_add_f32_e32 v107, v107, v111
	v_mul_f32_e32 v152, v121, v132
	v_mul_f32_e32 v132, v122, v132
	v_fmac_f32_e32 v150, v118, v139
	s_waitcnt vmcnt(4)
	v_fma_f32 v113, v119, v140, -v131
	v_add_f32_e32 v108, v108, v149
	v_add_f32_e32 v107, v107, v112
	s_waitcnt lgkmcnt(0)
	v_mul_f32_e32 v153, v123, v133
	v_mul_f32_e32 v133, v124, v133
	v_fmac_f32_e32 v151, v120, v140
	s_waitcnt vmcnt(3)
	v_fma_f32 v114, v121, v141, -v132
	v_add_f32_e32 v108, v108, v150
	v_add_f32_e32 v107, v107, v113
	v_fmac_f32_e32 v152, v122, v141
	s_waitcnt vmcnt(2)
	v_fma_f32 v115, v123, v142, -v133
	v_add_f32_e32 v108, v108, v151
	v_add_f32_e32 v107, v107, v114
	v_fmac_f32_e32 v153, v124, v142
	v_add_f32_e32 v108, v108, v152
	v_add_f32_e32 v107, v107, v115
	;; [unrolled: 1-line block ×3, first 2 shown]
	s_waitcnt vmcnt(1)
	v_sub_f32_e32 v107, v143, v107
	s_waitcnt vmcnt(0)
	v_sub_f32_e32 v108, v144, v108
	buffer_store_dword v107, off, s[0:3], 0 offset:336
	buffer_store_dword v108, off, s[0:3], 0 offset:340
	s_and_saveexec_b64 s[4:5], vcc
	s_cbranch_execz .LBB115_243
; %bb.242:
	buffer_load_dword v107, off, s[0:3], 0 offset:328
	buffer_load_dword v108, off, s[0:3], 0 offset:332
	s_waitcnt vmcnt(0)
	ds_write_b64 v105, v[107:108]
	buffer_store_dword v106, off, s[0:3], 0 offset:328
	buffer_store_dword v106, off, s[0:3], 0 offset:332
.LBB115_243:
	s_or_b64 exec, exec, s[4:5]
	s_waitcnt lgkmcnt(0)
	; wave barrier
	buffer_load_dword v127, off, s[0:3], 0 offset:340
	buffer_load_dword v128, off, s[0:3], 0 offset:348
	;; [unrolled: 1-line block ×22, first 2 shown]
	ds_read_b128 v[107:110], v106 offset:752
	ds_read_b128 v[111:114], v106 offset:768
	;; [unrolled: 1-line block ×5, first 2 shown]
	v_cmp_lt_u32_e32 vcc, 40, v0
	s_waitcnt vmcnt(21) lgkmcnt(4)
	v_mul_f32_e32 v106, v107, v127
	v_mul_f32_e32 v127, v108, v127
	s_waitcnt vmcnt(20)
	v_mul_f32_e32 v149, v109, v128
	v_mul_f32_e32 v128, v110, v128
	s_waitcnt vmcnt(19) lgkmcnt(3)
	v_mul_f32_e32 v150, v111, v129
	v_mul_f32_e32 v129, v112, v129
	s_waitcnt vmcnt(18)
	v_mul_f32_e32 v151, v113, v130
	v_mul_f32_e32 v130, v114, v130
	s_waitcnt vmcnt(17) lgkmcnt(2)
	v_mul_f32_e32 v152, v115, v131
	v_mul_f32_e32 v131, v116, v131
	s_waitcnt vmcnt(11)
	v_fma_f32 v107, v107, v137, -v127
	v_fmac_f32_e32 v106, v108, v137
	s_waitcnt vmcnt(10)
	v_fma_f32 v108, v109, v138, -v128
	v_add_f32_e32 v107, 0, v107
	v_fmac_f32_e32 v149, v110, v138
	s_waitcnt vmcnt(9)
	v_fma_f32 v109, v111, v139, -v129
	v_add_f32_e32 v106, 0, v106
	v_add_f32_e32 v107, v107, v108
	v_fmac_f32_e32 v150, v112, v139
	s_waitcnt vmcnt(8)
	v_fma_f32 v110, v113, v140, -v130
	v_add_f32_e32 v106, v106, v149
	v_add_f32_e32 v107, v107, v109
	v_mul_f32_e32 v153, v117, v132
	v_mul_f32_e32 v132, v118, v132
	v_fmac_f32_e32 v151, v114, v140
	s_waitcnt vmcnt(7)
	v_fma_f32 v111, v115, v141, -v131
	v_add_f32_e32 v106, v106, v150
	v_add_f32_e32 v107, v107, v110
	s_waitcnt lgkmcnt(1)
	v_mul_f32_e32 v154, v119, v133
	v_mul_f32_e32 v133, v120, v133
	v_fmac_f32_e32 v152, v116, v141
	s_waitcnt vmcnt(6)
	v_fma_f32 v112, v117, v142, -v132
	v_add_f32_e32 v106, v106, v151
	v_add_f32_e32 v107, v107, v111
	v_mul_f32_e32 v155, v121, v134
	v_mul_f32_e32 v134, v122, v134
	v_fmac_f32_e32 v153, v118, v142
	s_waitcnt vmcnt(5)
	v_fma_f32 v113, v119, v143, -v133
	v_add_f32_e32 v106, v106, v152
	v_add_f32_e32 v107, v107, v112
	s_waitcnt lgkmcnt(0)
	v_mul_f32_e32 v156, v123, v135
	v_mul_f32_e32 v135, v124, v135
	v_fmac_f32_e32 v154, v120, v143
	s_waitcnt vmcnt(4)
	v_fma_f32 v114, v121, v144, -v134
	v_add_f32_e32 v106, v106, v153
	v_add_f32_e32 v107, v107, v113
	v_mul_f32_e32 v157, v125, v136
	v_mul_f32_e32 v136, v126, v136
	v_fmac_f32_e32 v155, v122, v144
	s_waitcnt vmcnt(3)
	v_fma_f32 v115, v123, v145, -v135
	v_add_f32_e32 v106, v106, v154
	v_add_f32_e32 v107, v107, v114
	v_fmac_f32_e32 v156, v124, v145
	s_waitcnt vmcnt(2)
	v_fma_f32 v116, v125, v146, -v136
	v_add_f32_e32 v106, v106, v155
	v_add_f32_e32 v107, v107, v115
	v_fmac_f32_e32 v157, v126, v146
	v_add_f32_e32 v106, v106, v156
	v_add_f32_e32 v107, v107, v116
	;; [unrolled: 1-line block ×3, first 2 shown]
	s_waitcnt vmcnt(1)
	v_sub_f32_e32 v107, v147, v107
	s_waitcnt vmcnt(0)
	v_sub_f32_e32 v106, v148, v106
	buffer_store_dword v107, off, s[0:3], 0 offset:328
	buffer_store_dword v106, off, s[0:3], 0 offset:332
	s_and_saveexec_b64 s[4:5], vcc
	s_cbranch_execz .LBB115_245
; %bb.244:
	buffer_load_dword v106, off, s[0:3], 0 offset:320
	buffer_load_dword v107, off, s[0:3], 0 offset:324
	v_mov_b32_e32 v108, 0
	buffer_store_dword v108, off, s[0:3], 0 offset:320
	buffer_store_dword v108, off, s[0:3], 0 offset:324
	s_waitcnt vmcnt(2)
	ds_write_b64 v105, v[106:107]
.LBB115_245:
	s_or_b64 exec, exec, s[4:5]
	s_waitcnt lgkmcnt(0)
	; wave barrier
	buffer_load_dword v129, off, s[0:3], 0 offset:332
	buffer_load_dword v130, off, s[0:3], 0 offset:340
	;; [unrolled: 1-line block ×24, first 2 shown]
	v_mov_b32_e32 v106, 0
	ds_read2_b64 v[107:110], v106 offset0:93 offset1:94
	ds_read2_b64 v[111:114], v106 offset0:95 offset1:96
	;; [unrolled: 1-line block ×5, first 2 shown]
	ds_read_b64 v[127:128], v106 offset:824
	v_cmp_lt_u32_e32 vcc, 39, v0
	s_waitcnt vmcnt(23) lgkmcnt(5)
	v_mul_f32_e32 v153, v107, v129
	v_mul_f32_e32 v129, v108, v129
	s_waitcnt vmcnt(22)
	v_mul_f32_e32 v154, v109, v130
	v_mul_f32_e32 v130, v110, v130
	s_waitcnt vmcnt(21) lgkmcnt(4)
	v_mul_f32_e32 v155, v111, v131
	v_mul_f32_e32 v131, v112, v131
	s_waitcnt vmcnt(20)
	v_mul_f32_e32 v156, v113, v132
	s_waitcnt vmcnt(19) lgkmcnt(3)
	v_mul_f32_e32 v157, v115, v133
	v_mul_f32_e32 v132, v114, v132
	;; [unrolled: 1-line block ×3, first 2 shown]
	s_waitcnt vmcnt(18)
	v_mul_f32_e32 v158, v117, v134
	s_waitcnt vmcnt(12)
	v_fma_f32 v107, v107, v140, -v129
	v_fmac_f32_e32 v153, v108, v140
	s_waitcnt vmcnt(11)
	v_fma_f32 v108, v109, v141, -v130
	v_add_f32_e32 v107, 0, v107
	s_waitcnt vmcnt(10)
	v_fma_f32 v109, v111, v142, -v131
	v_add_f32_e32 v107, v107, v108
	v_fmac_f32_e32 v154, v110, v141
	s_waitcnt vmcnt(8)
	v_fmac_f32_e32 v157, v116, v144
	v_fma_f32 v110, v113, v143, -v132
	v_add_f32_e32 v116, 0, v153
	v_add_f32_e32 v107, v107, v109
	v_mul_f32_e32 v134, v118, v134
	v_fmac_f32_e32 v155, v112, v142
	v_fma_f32 v111, v115, v144, -v133
	v_add_f32_e32 v116, v116, v154
	v_add_f32_e32 v107, v107, v110
	s_waitcnt lgkmcnt(2)
	v_mul_f32_e32 v159, v119, v135
	v_mul_f32_e32 v135, v120, v135
	v_fmac_f32_e32 v156, v114, v143
	s_waitcnt vmcnt(7)
	v_fma_f32 v112, v117, v145, -v134
	v_add_f32_e32 v108, v116, v155
	v_add_f32_e32 v107, v107, v111
	v_mul_f32_e32 v160, v121, v136
	v_mul_f32_e32 v136, v122, v136
	s_waitcnt vmcnt(6)
	v_fma_f32 v113, v119, v146, -v135
	v_add_f32_e32 v108, v108, v156
	v_add_f32_e32 v107, v107, v112
	s_waitcnt lgkmcnt(1)
	v_mul_f32_e32 v161, v123, v137
	v_mul_f32_e32 v137, v124, v137
	v_fmac_f32_e32 v158, v118, v145
	s_waitcnt vmcnt(5)
	v_fma_f32 v114, v121, v147, -v136
	v_add_f32_e32 v108, v108, v157
	v_add_f32_e32 v107, v107, v113
	v_fmac_f32_e32 v159, v120, v146
	s_waitcnt vmcnt(4)
	v_fma_f32 v115, v123, v148, -v137
	v_add_f32_e32 v108, v108, v158
	v_add_f32_e32 v107, v107, v114
	v_mul_f32_e32 v109, v126, v138
	v_fmac_f32_e32 v160, v122, v147
	v_add_f32_e32 v108, v108, v159
	v_add_f32_e32 v107, v107, v115
	s_waitcnt vmcnt(3)
	v_fma_f32 v109, v125, v149, -v109
	v_mul_f32_e32 v162, v125, v138
	v_fmac_f32_e32 v161, v124, v148
	v_add_f32_e32 v108, v108, v160
	v_add_f32_e32 v107, v107, v109
	s_waitcnt lgkmcnt(0)
	v_mul_f32_e32 v109, v128, v139
	v_mul_f32_e32 v163, v127, v139
	v_fmac_f32_e32 v162, v126, v149
	v_add_f32_e32 v108, v108, v161
	s_waitcnt vmcnt(2)
	v_fma_f32 v109, v127, v150, -v109
	v_fmac_f32_e32 v163, v128, v150
	v_add_f32_e32 v108, v108, v162
	v_add_f32_e32 v107, v107, v109
	;; [unrolled: 1-line block ×3, first 2 shown]
	s_waitcnt vmcnt(1)
	v_sub_f32_e32 v107, v151, v107
	s_waitcnt vmcnt(0)
	v_sub_f32_e32 v108, v152, v108
	buffer_store_dword v107, off, s[0:3], 0 offset:320
	buffer_store_dword v108, off, s[0:3], 0 offset:324
	s_and_saveexec_b64 s[4:5], vcc
	s_cbranch_execz .LBB115_247
; %bb.246:
	buffer_load_dword v107, off, s[0:3], 0 offset:312
	buffer_load_dword v108, off, s[0:3], 0 offset:316
	s_waitcnt vmcnt(0)
	ds_write_b64 v105, v[107:108]
	buffer_store_dword v106, off, s[0:3], 0 offset:312
	buffer_store_dword v106, off, s[0:3], 0 offset:316
.LBB115_247:
	s_or_b64 exec, exec, s[4:5]
	s_waitcnt lgkmcnt(0)
	; wave barrier
	buffer_load_dword v131, off, s[0:3], 0 offset:324
	buffer_load_dword v132, off, s[0:3], 0 offset:332
	buffer_load_dword v133, off, s[0:3], 0 offset:340
	buffer_load_dword v134, off, s[0:3], 0 offset:348
	buffer_load_dword v135, off, s[0:3], 0 offset:356
	buffer_load_dword v136, off, s[0:3], 0 offset:364
	buffer_load_dword v137, off, s[0:3], 0 offset:372
	buffer_load_dword v138, off, s[0:3], 0 offset:380
	buffer_load_dword v139, off, s[0:3], 0 offset:388
	buffer_load_dword v140, off, s[0:3], 0 offset:396
	buffer_load_dword v141, off, s[0:3], 0 offset:404
	buffer_load_dword v142, off, s[0:3], 0 offset:412
	buffer_load_dword v143, off, s[0:3], 0 offset:320
	buffer_load_dword v144, off, s[0:3], 0 offset:328
	buffer_load_dword v145, off, s[0:3], 0 offset:336
	buffer_load_dword v146, off, s[0:3], 0 offset:344
	buffer_load_dword v147, off, s[0:3], 0 offset:352
	buffer_load_dword v148, off, s[0:3], 0 offset:360
	buffer_load_dword v149, off, s[0:3], 0 offset:368
	buffer_load_dword v150, off, s[0:3], 0 offset:376
	buffer_load_dword v151, off, s[0:3], 0 offset:384
	buffer_load_dword v152, off, s[0:3], 0 offset:392
	buffer_load_dword v153, off, s[0:3], 0 offset:400
	buffer_load_dword v154, off, s[0:3], 0 offset:408
	buffer_load_dword v155, off, s[0:3], 0 offset:312
	buffer_load_dword v156, off, s[0:3], 0 offset:316
	ds_read_b128 v[107:110], v106 offset:736
	ds_read_b128 v[111:114], v106 offset:752
	;; [unrolled: 1-line block ×6, first 2 shown]
	v_cmp_lt_u32_e32 vcc, 38, v0
	s_waitcnt vmcnt(25) lgkmcnt(5)
	v_mul_f32_e32 v106, v107, v131
	v_mul_f32_e32 v131, v108, v131
	s_waitcnt vmcnt(24)
	v_mul_f32_e32 v157, v109, v132
	v_mul_f32_e32 v132, v110, v132
	s_waitcnt vmcnt(23) lgkmcnt(4)
	v_mul_f32_e32 v158, v111, v133
	v_mul_f32_e32 v133, v112, v133
	s_waitcnt vmcnt(22)
	v_mul_f32_e32 v159, v113, v134
	v_mul_f32_e32 v134, v114, v134
	;; [unrolled: 6-line block ×3, first 2 shown]
	s_waitcnt vmcnt(13)
	v_fma_f32 v107, v107, v143, -v131
	v_fmac_f32_e32 v106, v108, v143
	s_waitcnt vmcnt(12)
	v_fma_f32 v108, v109, v144, -v132
	v_add_f32_e32 v107, 0, v107
	s_waitcnt vmcnt(11)
	v_fma_f32 v109, v111, v145, -v133
	v_add_f32_e32 v107, v107, v108
	v_fmac_f32_e32 v157, v110, v144
	s_waitcnt vmcnt(10)
	v_fma_f32 v110, v113, v146, -v134
	v_add_f32_e32 v107, v107, v109
	s_waitcnt vmcnt(9)
	v_fma_f32 v111, v115, v147, -v135
	v_add_f32_e32 v107, v107, v110
	s_waitcnt lgkmcnt(2)
	v_mul_f32_e32 v162, v119, v137
	v_mul_f32_e32 v137, v120, v137
	v_fmac_f32_e32 v158, v112, v145
	s_waitcnt vmcnt(8)
	v_fma_f32 v112, v117, v148, -v136
	v_add_f32_e32 v106, 0, v106
	v_add_f32_e32 v107, v107, v111
	v_mul_f32_e32 v163, v121, v138
	v_mul_f32_e32 v138, v122, v138
	s_waitcnt vmcnt(7)
	v_fma_f32 v113, v119, v149, -v137
	v_add_f32_e32 v106, v106, v157
	v_add_f32_e32 v107, v107, v112
	v_fmac_f32_e32 v159, v114, v146
	s_waitcnt vmcnt(6)
	v_fma_f32 v114, v121, v150, -v138
	v_add_f32_e32 v106, v106, v158
	v_add_f32_e32 v107, v107, v113
	s_waitcnt lgkmcnt(1)
	v_mul_f32_e32 v108, v124, v139
	v_fmac_f32_e32 v160, v116, v147
	v_add_f32_e32 v106, v106, v159
	v_add_f32_e32 v107, v107, v114
	s_waitcnt vmcnt(5)
	v_fma_f32 v108, v123, v151, -v108
	v_fmac_f32_e32 v161, v118, v148
	v_add_f32_e32 v106, v106, v160
	v_add_f32_e32 v107, v107, v108
	v_mul_f32_e32 v108, v126, v140
	v_fmac_f32_e32 v162, v120, v149
	v_add_f32_e32 v106, v106, v161
	s_waitcnt vmcnt(4)
	v_fma_f32 v108, v125, v152, -v108
	v_mul_f32_e32 v164, v123, v139
	v_fmac_f32_e32 v163, v122, v150
	v_add_f32_e32 v106, v106, v162
	v_add_f32_e32 v107, v107, v108
	s_waitcnt lgkmcnt(0)
	v_mul_f32_e32 v108, v128, v141
	v_mul_f32_e32 v165, v125, v140
	v_fmac_f32_e32 v164, v124, v151
	v_add_f32_e32 v106, v106, v163
	s_waitcnt vmcnt(3)
	v_fma_f32 v108, v127, v153, -v108
	v_mul_f32_e32 v166, v127, v141
	v_fmac_f32_e32 v165, v126, v152
	v_add_f32_e32 v106, v106, v164
	v_add_f32_e32 v107, v107, v108
	v_mul_f32_e32 v108, v130, v142
	v_mul_f32_e32 v167, v129, v142
	v_fmac_f32_e32 v166, v128, v153
	v_add_f32_e32 v106, v106, v165
	s_waitcnt vmcnt(2)
	v_fma_f32 v108, v129, v154, -v108
	v_fmac_f32_e32 v167, v130, v154
	v_add_f32_e32 v106, v106, v166
	v_add_f32_e32 v107, v107, v108
	;; [unrolled: 1-line block ×3, first 2 shown]
	s_waitcnt vmcnt(1)
	v_sub_f32_e32 v107, v155, v107
	s_waitcnt vmcnt(0)
	v_sub_f32_e32 v106, v156, v106
	buffer_store_dword v107, off, s[0:3], 0 offset:312
	buffer_store_dword v106, off, s[0:3], 0 offset:316
	s_and_saveexec_b64 s[4:5], vcc
	s_cbranch_execz .LBB115_249
; %bb.248:
	buffer_load_dword v106, off, s[0:3], 0 offset:304
	buffer_load_dword v107, off, s[0:3], 0 offset:308
	v_mov_b32_e32 v108, 0
	buffer_store_dword v108, off, s[0:3], 0 offset:304
	buffer_store_dword v108, off, s[0:3], 0 offset:308
	s_waitcnt vmcnt(2)
	ds_write_b64 v105, v[106:107]
.LBB115_249:
	s_or_b64 exec, exec, s[4:5]
	s_waitcnt lgkmcnt(0)
	; wave barrier
	buffer_load_dword v133, off, s[0:3], 0 offset:316
	buffer_load_dword v134, off, s[0:3], 0 offset:324
	;; [unrolled: 1-line block ×28, first 2 shown]
	v_mov_b32_e32 v106, 0
	ds_read2_b64 v[107:110], v106 offset0:91 offset1:92
	ds_read2_b64 v[111:114], v106 offset0:93 offset1:94
	;; [unrolled: 1-line block ×6, first 2 shown]
	ds_read_b64 v[131:132], v106 offset:824
	v_cmp_lt_u32_e32 vcc, 37, v0
	s_waitcnt vmcnt(27) lgkmcnt(6)
	v_mul_f32_e32 v161, v107, v133
	v_mul_f32_e32 v133, v108, v133
	s_waitcnt vmcnt(26)
	v_mul_f32_e32 v162, v109, v134
	v_mul_f32_e32 v134, v110, v134
	s_waitcnt vmcnt(25) lgkmcnt(5)
	v_mul_f32_e32 v163, v111, v135
	v_mul_f32_e32 v135, v112, v135
	s_waitcnt vmcnt(24)
	v_mul_f32_e32 v164, v113, v136
	v_mul_f32_e32 v136, v114, v136
	s_waitcnt vmcnt(23) lgkmcnt(4)
	v_mul_f32_e32 v165, v115, v137
	v_mul_f32_e32 v137, v116, v137
	s_waitcnt vmcnt(22)
	v_mul_f32_e32 v166, v117, v138
	v_mul_f32_e32 v138, v118, v138
	s_waitcnt vmcnt(21) lgkmcnt(3)
	v_mul_f32_e32 v167, v119, v139
	s_waitcnt vmcnt(14)
	v_fma_f32 v107, v107, v146, -v133
	v_fmac_f32_e32 v161, v108, v146
	s_waitcnt vmcnt(13)
	v_fma_f32 v108, v109, v147, -v134
	v_add_f32_e32 v107, 0, v107
	s_waitcnt vmcnt(12)
	v_fma_f32 v109, v111, v148, -v135
	v_add_f32_e32 v107, v107, v108
	v_fmac_f32_e32 v162, v110, v147
	s_waitcnt vmcnt(11)
	v_fma_f32 v110, v113, v149, -v136
	v_add_f32_e32 v107, v107, v109
	s_waitcnt vmcnt(10)
	v_fma_f32 v111, v115, v150, -v137
	v_add_f32_e32 v107, v107, v110
	v_fmac_f32_e32 v163, v112, v148
	s_waitcnt vmcnt(9)
	v_fma_f32 v112, v117, v151, -v138
	v_add_f32_e32 v107, v107, v111
	v_mul_f32_e32 v109, v120, v139
	v_add_f32_e32 v107, v107, v112
	s_waitcnt vmcnt(8)
	v_fma_f32 v109, v119, v152, -v109
	v_add_f32_e32 v107, v107, v109
	v_mul_f32_e32 v109, v122, v140
	v_add_f32_e32 v113, 0, v161
	s_waitcnt vmcnt(7)
	v_fma_f32 v109, v121, v153, -v109
	v_add_f32_e32 v113, v113, v162
	v_add_f32_e32 v107, v107, v109
	s_waitcnt lgkmcnt(2)
	v_mul_f32_e32 v109, v124, v141
	v_fmac_f32_e32 v164, v114, v149
	v_add_f32_e32 v108, v113, v163
	s_waitcnt vmcnt(6)
	v_fma_f32 v109, v123, v154, -v109
	v_fmac_f32_e32 v165, v116, v150
	v_add_f32_e32 v108, v108, v164
	v_add_f32_e32 v107, v107, v109
	v_mul_f32_e32 v109, v126, v142
	v_fmac_f32_e32 v166, v118, v151
	v_add_f32_e32 v108, v108, v165
	s_waitcnt vmcnt(5)
	v_fma_f32 v109, v125, v155, -v109
	v_mul_f32_e32 v168, v121, v140
	v_fmac_f32_e32 v167, v120, v152
	v_add_f32_e32 v108, v108, v166
	v_add_f32_e32 v107, v107, v109
	s_waitcnt lgkmcnt(1)
	v_mul_f32_e32 v109, v128, v143
	v_mul_f32_e32 v169, v123, v141
	v_fmac_f32_e32 v168, v122, v153
	v_add_f32_e32 v108, v108, v167
	s_waitcnt vmcnt(4)
	v_fma_f32 v109, v127, v156, -v109
	v_mul_f32_e32 v170, v125, v142
	v_fmac_f32_e32 v169, v124, v154
	v_add_f32_e32 v108, v108, v168
	v_add_f32_e32 v107, v107, v109
	v_mul_f32_e32 v109, v130, v144
	v_mul_f32_e32 v171, v127, v143
	v_fmac_f32_e32 v170, v126, v155
	v_add_f32_e32 v108, v108, v169
	s_waitcnt vmcnt(3)
	v_fma_f32 v109, v129, v157, -v109
	v_mul_f32_e32 v172, v129, v144
	v_fmac_f32_e32 v171, v128, v156
	v_add_f32_e32 v108, v108, v170
	v_add_f32_e32 v107, v107, v109
	s_waitcnt lgkmcnt(0)
	v_mul_f32_e32 v109, v132, v145
	v_mul_f32_e32 v173, v131, v145
	v_fmac_f32_e32 v172, v130, v157
	v_add_f32_e32 v108, v108, v171
	s_waitcnt vmcnt(2)
	v_fma_f32 v109, v131, v158, -v109
	v_fmac_f32_e32 v173, v132, v158
	v_add_f32_e32 v108, v108, v172
	v_add_f32_e32 v107, v107, v109
	;; [unrolled: 1-line block ×3, first 2 shown]
	s_waitcnt vmcnt(1)
	v_sub_f32_e32 v107, v159, v107
	s_waitcnt vmcnt(0)
	v_sub_f32_e32 v108, v160, v108
	buffer_store_dword v107, off, s[0:3], 0 offset:304
	buffer_store_dword v108, off, s[0:3], 0 offset:308
	s_and_saveexec_b64 s[4:5], vcc
	s_cbranch_execz .LBB115_251
; %bb.250:
	buffer_load_dword v107, off, s[0:3], 0 offset:296
	buffer_load_dword v108, off, s[0:3], 0 offset:300
	s_waitcnt vmcnt(0)
	ds_write_b64 v105, v[107:108]
	buffer_store_dword v106, off, s[0:3], 0 offset:296
	buffer_store_dword v106, off, s[0:3], 0 offset:300
.LBB115_251:
	s_or_b64 exec, exec, s[4:5]
	s_waitcnt lgkmcnt(0)
	; wave barrier
	buffer_load_dword v135, off, s[0:3], 0 offset:308
	buffer_load_dword v136, off, s[0:3], 0 offset:316
	;; [unrolled: 1-line block ×30, first 2 shown]
	ds_read_b128 v[107:110], v106 offset:720
	ds_read_b128 v[111:114], v106 offset:736
	;; [unrolled: 1-line block ×7, first 2 shown]
	v_cmp_lt_u32_e32 vcc, 36, v0
	s_waitcnt vmcnt(29) lgkmcnt(6)
	v_mul_f32_e32 v106, v107, v135
	v_mul_f32_e32 v135, v108, v135
	s_waitcnt vmcnt(28)
	v_mul_f32_e32 v165, v109, v136
	v_mul_f32_e32 v136, v110, v136
	s_waitcnt vmcnt(27) lgkmcnt(5)
	v_mul_f32_e32 v166, v111, v137
	v_mul_f32_e32 v137, v112, v137
	s_waitcnt vmcnt(26)
	v_mul_f32_e32 v167, v113, v138
	v_mul_f32_e32 v138, v114, v138
	s_waitcnt vmcnt(25) lgkmcnt(4)
	v_mul_f32_e32 v168, v115, v139
	v_mul_f32_e32 v139, v116, v139
	s_waitcnt vmcnt(24)
	v_mul_f32_e32 v169, v117, v140
	s_waitcnt vmcnt(23) lgkmcnt(3)
	v_mul_f32_e32 v170, v119, v141
	s_waitcnt vmcnt(22)
	v_mul_f32_e32 v171, v121, v142
	s_waitcnt vmcnt(21) lgkmcnt(2)
	v_mul_f32_e32 v172, v123, v143
	s_waitcnt vmcnt(15)
	v_fma_f32 v107, v107, v149, -v135
	v_fmac_f32_e32 v106, v108, v149
	s_waitcnt vmcnt(14)
	v_fma_f32 v108, v109, v150, -v136
	v_add_f32_e32 v107, 0, v107
	s_waitcnt vmcnt(13)
	v_fma_f32 v109, v111, v151, -v137
	v_add_f32_e32 v107, v107, v108
	v_fmac_f32_e32 v165, v110, v150
	s_waitcnt vmcnt(12)
	v_fma_f32 v110, v113, v152, -v138
	v_add_f32_e32 v107, v107, v109
	s_waitcnt vmcnt(11)
	v_fma_f32 v111, v115, v153, -v139
	v_add_f32_e32 v107, v107, v110
	v_mul_f32_e32 v108, v118, v140
	v_add_f32_e32 v107, v107, v111
	s_waitcnt vmcnt(10)
	v_fma_f32 v108, v117, v154, -v108
	v_add_f32_e32 v107, v107, v108
	v_mul_f32_e32 v108, v120, v141
	s_waitcnt vmcnt(9)
	v_fma_f32 v108, v119, v155, -v108
	v_add_f32_e32 v107, v107, v108
	v_mul_f32_e32 v108, v122, v142
	s_waitcnt vmcnt(8)
	v_fma_f32 v108, v121, v156, -v108
	v_add_f32_e32 v106, 0, v106
	v_add_f32_e32 v107, v107, v108
	v_mul_f32_e32 v108, v124, v143
	v_fmac_f32_e32 v166, v112, v151
	v_add_f32_e32 v106, v106, v165
	s_waitcnt vmcnt(7)
	v_fma_f32 v108, v123, v157, -v108
	v_fmac_f32_e32 v167, v114, v152
	v_add_f32_e32 v106, v106, v166
	v_add_f32_e32 v107, v107, v108
	v_mul_f32_e32 v108, v126, v144
	v_fmac_f32_e32 v168, v116, v153
	v_add_f32_e32 v106, v106, v167
	s_waitcnt vmcnt(6)
	v_fma_f32 v108, v125, v158, -v108
	v_fmac_f32_e32 v169, v118, v154
	v_add_f32_e32 v106, v106, v168
	v_add_f32_e32 v107, v107, v108
	s_waitcnt lgkmcnt(1)
	v_mul_f32_e32 v108, v128, v145
	v_fmac_f32_e32 v170, v120, v155
	v_add_f32_e32 v106, v106, v169
	s_waitcnt vmcnt(5)
	v_fma_f32 v108, v127, v159, -v108
	v_fmac_f32_e32 v171, v122, v156
	v_add_f32_e32 v106, v106, v170
	v_add_f32_e32 v107, v107, v108
	v_mul_f32_e32 v108, v130, v146
	v_mul_f32_e32 v173, v125, v144
	v_fmac_f32_e32 v172, v124, v157
	v_add_f32_e32 v106, v106, v171
	s_waitcnt vmcnt(4)
	v_fma_f32 v108, v129, v160, -v108
	v_mul_f32_e32 v174, v127, v145
	v_fmac_f32_e32 v173, v126, v158
	v_add_f32_e32 v106, v106, v172
	v_add_f32_e32 v107, v107, v108
	s_waitcnt lgkmcnt(0)
	v_mul_f32_e32 v108, v132, v147
	v_mul_f32_e32 v175, v129, v146
	v_fmac_f32_e32 v174, v128, v159
	v_add_f32_e32 v106, v106, v173
	s_waitcnt vmcnt(3)
	v_fma_f32 v108, v131, v161, -v108
	v_mul_f32_e32 v176, v131, v147
	v_fmac_f32_e32 v175, v130, v160
	v_add_f32_e32 v106, v106, v174
	v_add_f32_e32 v107, v107, v108
	v_mul_f32_e32 v108, v134, v148
	v_mul_f32_e32 v177, v133, v148
	v_fmac_f32_e32 v176, v132, v161
	v_add_f32_e32 v106, v106, v175
	s_waitcnt vmcnt(2)
	v_fma_f32 v108, v133, v162, -v108
	v_fmac_f32_e32 v177, v134, v162
	v_add_f32_e32 v106, v106, v176
	v_add_f32_e32 v107, v107, v108
	;; [unrolled: 1-line block ×3, first 2 shown]
	s_waitcnt vmcnt(1)
	v_sub_f32_e32 v107, v163, v107
	s_waitcnt vmcnt(0)
	v_sub_f32_e32 v106, v164, v106
	buffer_store_dword v107, off, s[0:3], 0 offset:296
	buffer_store_dword v106, off, s[0:3], 0 offset:300
	s_and_saveexec_b64 s[4:5], vcc
	s_cbranch_execz .LBB115_253
; %bb.252:
	buffer_load_dword v106, off, s[0:3], 0 offset:288
	buffer_load_dword v107, off, s[0:3], 0 offset:292
	v_mov_b32_e32 v108, 0
	buffer_store_dword v108, off, s[0:3], 0 offset:288
	buffer_store_dword v108, off, s[0:3], 0 offset:292
	s_waitcnt vmcnt(2)
	ds_write_b64 v105, v[106:107]
.LBB115_253:
	s_or_b64 exec, exec, s[4:5]
	s_waitcnt lgkmcnt(0)
	; wave barrier
	buffer_load_dword v137, off, s[0:3], 0 offset:300
	buffer_load_dword v138, off, s[0:3], 0 offset:308
	;; [unrolled: 1-line block ×32, first 2 shown]
	v_mov_b32_e32 v106, 0
	ds_read2_b64 v[107:110], v106 offset0:89 offset1:90
	ds_read2_b64 v[111:114], v106 offset0:91 offset1:92
	;; [unrolled: 1-line block ×7, first 2 shown]
	ds_read_b64 v[135:136], v106 offset:824
	v_cmp_lt_u32_e32 vcc, 35, v0
	s_waitcnt vmcnt(31) lgkmcnt(7)
	v_mul_f32_e32 v169, v107, v137
	v_mul_f32_e32 v137, v108, v137
	s_waitcnt vmcnt(30)
	v_mul_f32_e32 v170, v109, v138
	v_mul_f32_e32 v138, v110, v138
	s_waitcnt vmcnt(29) lgkmcnt(6)
	v_mul_f32_e32 v171, v111, v139
	v_mul_f32_e32 v139, v112, v139
	s_waitcnt vmcnt(28)
	v_mul_f32_e32 v172, v113, v140
	s_waitcnt vmcnt(27) lgkmcnt(5)
	v_mul_f32_e32 v173, v115, v141
	s_waitcnt vmcnt(26)
	v_mul_f32_e32 v174, v117, v142
	s_waitcnt vmcnt(25) lgkmcnt(4)
	;; [unrolled: 4-line block ×4, first 2 shown]
	v_mul_f32_e32 v179, v127, v147
	s_waitcnt vmcnt(20)
	v_mul_f32_e32 v180, v129, v148
	s_waitcnt vmcnt(16)
	v_fma_f32 v107, v107, v152, -v137
	v_fmac_f32_e32 v169, v108, v152
	s_waitcnt vmcnt(15)
	v_fma_f32 v108, v109, v153, -v138
	v_add_f32_e32 v107, 0, v107
	s_waitcnt vmcnt(14)
	v_fma_f32 v109, v111, v154, -v139
	v_add_f32_e32 v107, v107, v108
	v_add_f32_e32 v107, v107, v109
	v_mul_f32_e32 v109, v114, v140
	s_waitcnt vmcnt(13)
	v_fma_f32 v109, v113, v155, -v109
	v_add_f32_e32 v107, v107, v109
	v_mul_f32_e32 v109, v116, v141
	s_waitcnt vmcnt(12)
	v_fma_f32 v109, v115, v156, -v109
	;; [unrolled: 4-line block ×5, first 2 shown]
	v_add_f32_e32 v107, v107, v109
	v_mul_f32_e32 v109, v124, v145
	v_fmac_f32_e32 v170, v110, v153
	v_add_f32_e32 v110, 0, v169
	s_waitcnt vmcnt(8)
	v_fma_f32 v109, v123, v160, -v109
	v_fmac_f32_e32 v171, v112, v154
	v_add_f32_e32 v110, v110, v170
	v_add_f32_e32 v107, v107, v109
	v_mul_f32_e32 v109, v126, v146
	v_fmac_f32_e32 v172, v114, v155
	v_add_f32_e32 v108, v110, v171
	s_waitcnt vmcnt(7)
	v_fma_f32 v109, v125, v161, -v109
	v_fmac_f32_e32 v173, v116, v156
	v_add_f32_e32 v108, v108, v172
	;; [unrolled: 8-line block ×4, first 2 shown]
	v_add_f32_e32 v107, v107, v109
	s_waitcnt lgkmcnt(1)
	v_mul_f32_e32 v109, v132, v149
	v_fmac_f32_e32 v178, v126, v161
	v_add_f32_e32 v108, v108, v177
	s_waitcnt vmcnt(4)
	v_fma_f32 v109, v131, v164, -v109
	v_fmac_f32_e32 v179, v128, v162
	v_add_f32_e32 v108, v108, v178
	v_add_f32_e32 v107, v107, v109
	v_mul_f32_e32 v109, v134, v150
	v_mul_f32_e32 v181, v131, v149
	v_fmac_f32_e32 v180, v130, v163
	v_add_f32_e32 v108, v108, v179
	s_waitcnt vmcnt(3)
	v_fma_f32 v109, v133, v165, -v109
	v_mul_f32_e32 v182, v133, v150
	v_fmac_f32_e32 v181, v132, v164
	v_add_f32_e32 v108, v108, v180
	v_add_f32_e32 v107, v107, v109
	s_waitcnt lgkmcnt(0)
	v_mul_f32_e32 v109, v136, v151
	v_mul_f32_e32 v183, v135, v151
	v_fmac_f32_e32 v182, v134, v165
	v_add_f32_e32 v108, v108, v181
	s_waitcnt vmcnt(2)
	v_fma_f32 v109, v135, v166, -v109
	v_fmac_f32_e32 v183, v136, v166
	v_add_f32_e32 v108, v108, v182
	v_add_f32_e32 v107, v107, v109
	;; [unrolled: 1-line block ×3, first 2 shown]
	s_waitcnt vmcnt(1)
	v_sub_f32_e32 v107, v167, v107
	s_waitcnt vmcnt(0)
	v_sub_f32_e32 v108, v168, v108
	buffer_store_dword v107, off, s[0:3], 0 offset:288
	buffer_store_dword v108, off, s[0:3], 0 offset:292
	s_and_saveexec_b64 s[4:5], vcc
	s_cbranch_execz .LBB115_255
; %bb.254:
	buffer_load_dword v107, off, s[0:3], 0 offset:280
	buffer_load_dword v108, off, s[0:3], 0 offset:284
	s_waitcnt vmcnt(0)
	ds_write_b64 v105, v[107:108]
	buffer_store_dword v106, off, s[0:3], 0 offset:280
	buffer_store_dword v106, off, s[0:3], 0 offset:284
.LBB115_255:
	s_or_b64 exec, exec, s[4:5]
	s_waitcnt lgkmcnt(0)
	; wave barrier
	buffer_load_dword v139, off, s[0:3], 0 offset:292
	buffer_load_dword v140, off, s[0:3], 0 offset:300
	;; [unrolled: 1-line block ×34, first 2 shown]
	ds_read_b128 v[107:110], v106 offset:704
	ds_read_b128 v[111:114], v106 offset:720
	;; [unrolled: 1-line block ×8, first 2 shown]
	v_cmp_lt_u32_e32 vcc, 34, v0
	s_waitcnt vmcnt(33) lgkmcnt(7)
	v_mul_f32_e32 v106, v107, v139
	v_mul_f32_e32 v139, v108, v139
	s_waitcnt vmcnt(32)
	v_mul_f32_e32 v173, v109, v140
	v_mul_f32_e32 v140, v110, v140
	s_waitcnt vmcnt(31) lgkmcnt(6)
	v_mul_f32_e32 v174, v111, v141
	s_waitcnt vmcnt(30)
	v_mul_f32_e32 v175, v113, v142
	s_waitcnt vmcnt(29) lgkmcnt(5)
	v_mul_f32_e32 v176, v115, v143
	s_waitcnt vmcnt(28)
	;; [unrolled: 4-line block ×6, first 2 shown]
	v_mul_f32_e32 v185, v133, v152
	s_waitcnt vmcnt(17)
	v_fma_f32 v107, v107, v155, -v139
	v_fmac_f32_e32 v106, v108, v155
	s_waitcnt vmcnt(16)
	v_fma_f32 v108, v109, v156, -v140
	v_add_f32_e32 v107, 0, v107
	v_add_f32_e32 v107, v107, v108
	v_mul_f32_e32 v108, v112, v141
	s_waitcnt vmcnt(15)
	v_fma_f32 v108, v111, v157, -v108
	v_add_f32_e32 v107, v107, v108
	v_mul_f32_e32 v108, v114, v142
	s_waitcnt vmcnt(14)
	v_fma_f32 v108, v113, v158, -v108
	;; [unrolled: 4-line block ×7, first 2 shown]
	v_fmac_f32_e32 v173, v110, v156
	v_add_f32_e32 v106, 0, v106
	v_add_f32_e32 v107, v107, v108
	v_mul_f32_e32 v108, v126, v148
	v_fmac_f32_e32 v174, v112, v157
	v_add_f32_e32 v106, v106, v173
	s_waitcnt vmcnt(8)
	v_fma_f32 v108, v125, v164, -v108
	v_fmac_f32_e32 v175, v114, v158
	v_add_f32_e32 v106, v106, v174
	v_add_f32_e32 v107, v107, v108
	v_mul_f32_e32 v108, v128, v149
	v_fmac_f32_e32 v176, v116, v159
	v_add_f32_e32 v106, v106, v175
	s_waitcnt vmcnt(7)
	v_fma_f32 v108, v127, v165, -v108
	;; [unrolled: 8-line block ×5, first 2 shown]
	v_fmac_f32_e32 v183, v130, v166
	v_add_f32_e32 v106, v106, v182
	v_add_f32_e32 v107, v107, v108
	s_waitcnt lgkmcnt(0)
	v_mul_f32_e32 v108, v136, v153
	v_fmac_f32_e32 v184, v132, v167
	v_add_f32_e32 v106, v106, v183
	s_waitcnt vmcnt(3)
	v_fma_f32 v108, v135, v169, -v108
	v_mul_f32_e32 v186, v135, v153
	v_fmac_f32_e32 v185, v134, v168
	v_add_f32_e32 v106, v106, v184
	v_add_f32_e32 v107, v107, v108
	v_mul_f32_e32 v108, v138, v154
	v_mul_f32_e32 v187, v137, v154
	v_fmac_f32_e32 v186, v136, v169
	v_add_f32_e32 v106, v106, v185
	s_waitcnt vmcnt(2)
	v_fma_f32 v108, v137, v170, -v108
	v_fmac_f32_e32 v187, v138, v170
	v_add_f32_e32 v106, v106, v186
	v_add_f32_e32 v107, v107, v108
	;; [unrolled: 1-line block ×3, first 2 shown]
	s_waitcnt vmcnt(1)
	v_sub_f32_e32 v107, v171, v107
	s_waitcnt vmcnt(0)
	v_sub_f32_e32 v106, v172, v106
	buffer_store_dword v107, off, s[0:3], 0 offset:280
	buffer_store_dword v106, off, s[0:3], 0 offset:284
	s_and_saveexec_b64 s[4:5], vcc
	s_cbranch_execz .LBB115_257
; %bb.256:
	buffer_load_dword v106, off, s[0:3], 0 offset:272
	buffer_load_dword v107, off, s[0:3], 0 offset:276
	v_mov_b32_e32 v108, 0
	buffer_store_dword v108, off, s[0:3], 0 offset:272
	buffer_store_dword v108, off, s[0:3], 0 offset:276
	s_waitcnt vmcnt(2)
	ds_write_b64 v105, v[106:107]
.LBB115_257:
	s_or_b64 exec, exec, s[4:5]
	s_waitcnt lgkmcnt(0)
	; wave barrier
	buffer_load_dword v141, off, s[0:3], 0 offset:284
	buffer_load_dword v142, off, s[0:3], 0 offset:292
	;; [unrolled: 1-line block ×36, first 2 shown]
	v_mov_b32_e32 v106, 0
	ds_read2_b64 v[107:110], v106 offset0:87 offset1:88
	ds_read2_b64 v[111:114], v106 offset0:89 offset1:90
	;; [unrolled: 1-line block ×8, first 2 shown]
	ds_read_b64 v[139:140], v106 offset:824
	v_cmp_lt_u32_e32 vcc, 33, v0
	s_waitcnt vmcnt(35) lgkmcnt(8)
	v_mul_f32_e32 v177, v107, v141
	s_waitcnt vmcnt(34)
	v_mul_f32_e32 v178, v109, v142
	s_waitcnt vmcnt(33) lgkmcnt(7)
	v_mul_f32_e32 v179, v111, v143
	s_waitcnt vmcnt(32)
	v_mul_f32_e32 v180, v113, v144
	;; [unrolled: 4-line block ×8, first 2 shown]
	s_waitcnt vmcnt(19) lgkmcnt(0)
	v_mul_f32_e32 v193, v139, v157
	s_waitcnt vmcnt(18)
	v_fmac_f32_e32 v177, v108, v158
	v_mul_f32_e32 v108, v108, v141
	v_fma_f32 v107, v107, v158, -v108
	v_mul_f32_e32 v108, v110, v142
	v_add_f32_e32 v107, 0, v107
	s_waitcnt vmcnt(17)
	v_fma_f32 v108, v109, v159, -v108
	v_add_f32_e32 v107, v107, v108
	v_mul_f32_e32 v108, v112, v143
	s_waitcnt vmcnt(16)
	v_fma_f32 v108, v111, v160, -v108
	v_add_f32_e32 v107, v107, v108
	v_mul_f32_e32 v108, v114, v144
	;; [unrolled: 4-line block ×8, first 2 shown]
	v_fmac_f32_e32 v178, v110, v159
	v_add_f32_e32 v177, 0, v177
	s_waitcnt vmcnt(9)
	v_fma_f32 v108, v125, v167, -v108
	v_fmac_f32_e32 v179, v112, v160
	v_add_f32_e32 v177, v177, v178
	v_add_f32_e32 v107, v107, v108
	v_mul_f32_e32 v108, v128, v151
	v_fmac_f32_e32 v180, v114, v161
	v_add_f32_e32 v177, v177, v179
	s_waitcnt vmcnt(8)
	v_fma_f32 v108, v127, v168, -v108
	v_fmac_f32_e32 v181, v116, v162
	v_add_f32_e32 v177, v177, v180
	v_add_f32_e32 v107, v107, v108
	v_mul_f32_e32 v108, v130, v152
	;; [unrolled: 8-line block ×7, first 2 shown]
	v_fmac_f32_e32 v192, v138, v173
	v_add_f32_e32 v177, v177, v191
	s_waitcnt vmcnt(2)
	v_fma_f32 v108, v139, v174, -v108
	v_fmac_f32_e32 v193, v140, v174
	v_add_f32_e32 v177, v177, v192
	v_add_f32_e32 v107, v107, v108
	;; [unrolled: 1-line block ×3, first 2 shown]
	s_waitcnt vmcnt(1)
	v_sub_f32_e32 v107, v175, v107
	s_waitcnt vmcnt(0)
	v_sub_f32_e32 v108, v176, v177
	buffer_store_dword v107, off, s[0:3], 0 offset:272
	buffer_store_dword v108, off, s[0:3], 0 offset:276
	s_and_saveexec_b64 s[4:5], vcc
	s_cbranch_execz .LBB115_259
; %bb.258:
	buffer_load_dword v107, off, s[0:3], 0 offset:264
	buffer_load_dword v108, off, s[0:3], 0 offset:268
	s_waitcnt vmcnt(0)
	ds_write_b64 v105, v[107:108]
	buffer_store_dword v106, off, s[0:3], 0 offset:264
	buffer_store_dword v106, off, s[0:3], 0 offset:268
.LBB115_259:
	s_or_b64 exec, exec, s[4:5]
	s_waitcnt lgkmcnt(0)
	; wave barrier
	buffer_load_dword v143, off, s[0:3], 0 offset:276
	buffer_load_dword v144, off, s[0:3], 0 offset:284
	;; [unrolled: 1-line block ×38, first 2 shown]
	ds_read_b128 v[107:110], v106 offset:688
	ds_read_b128 v[111:114], v106 offset:704
	;; [unrolled: 1-line block ×9, first 2 shown]
	v_cmp_lt_u32_e32 vcc, 32, v0
	s_waitcnt vmcnt(37) lgkmcnt(8)
	v_mul_f32_e32 v106, v107, v143
	s_waitcnt vmcnt(36)
	v_mul_f32_e32 v181, v109, v144
	s_waitcnt vmcnt(35) lgkmcnt(7)
	v_mul_f32_e32 v182, v111, v145
	s_waitcnt vmcnt(34)
	v_mul_f32_e32 v183, v113, v146
	;; [unrolled: 4-line block ×8, first 2 shown]
	s_waitcnt vmcnt(21) lgkmcnt(0)
	v_mul_f32_e32 v196, v139, v159
	s_waitcnt vmcnt(20)
	v_fmac_f32_e32 v106, v108, v160
	v_mul_f32_e32 v108, v108, v143
	v_fma_f32 v107, v107, v160, -v108
	v_mul_f32_e32 v108, v110, v144
	v_add_f32_e32 v107, 0, v107
	s_waitcnt vmcnt(19)
	v_fma_f32 v108, v109, v161, -v108
	v_add_f32_e32 v107, v107, v108
	v_mul_f32_e32 v108, v112, v145
	s_waitcnt vmcnt(18)
	v_fma_f32 v108, v111, v162, -v108
	v_add_f32_e32 v107, v107, v108
	v_mul_f32_e32 v108, v114, v146
	;; [unrolled: 4-line block ×8, first 2 shown]
	s_waitcnt vmcnt(11)
	v_fma_f32 v108, v125, v169, -v108
	v_fmac_f32_e32 v181, v110, v161
	v_add_f32_e32 v106, 0, v106
	v_add_f32_e32 v107, v107, v108
	v_mul_f32_e32 v108, v128, v153
	v_fmac_f32_e32 v182, v112, v162
	v_add_f32_e32 v106, v106, v181
	s_waitcnt vmcnt(10)
	v_fma_f32 v108, v127, v170, -v108
	v_fmac_f32_e32 v183, v114, v163
	v_add_f32_e32 v106, v106, v182
	v_add_f32_e32 v107, v107, v108
	v_mul_f32_e32 v108, v130, v154
	v_fmac_f32_e32 v184, v116, v164
	v_add_f32_e32 v106, v106, v183
	;; [unrolled: 8-line block ×7, first 2 shown]
	s_waitcnt vmcnt(4)
	v_fma_f32 v108, v139, v176, -v108
	v_fmac_f32_e32 v195, v138, v175
	v_add_f32_e32 v106, v106, v194
	v_add_f32_e32 v107, v107, v108
	s_waitcnt vmcnt(3)
	v_mul_f32_e32 v108, v142, v177
	v_add_f32_e32 v106, v106, v195
	v_fmac_f32_e32 v196, v140, v176
	v_mul_f32_e32 v181, v141, v177
	s_waitcnt vmcnt(2)
	v_fma_f32 v108, v141, v178, -v108
	v_add_f32_e32 v106, v106, v196
	v_fmac_f32_e32 v181, v142, v178
	v_add_f32_e32 v107, v107, v108
	v_add_f32_e32 v106, v106, v181
	s_waitcnt vmcnt(1)
	v_sub_f32_e32 v107, v179, v107
	s_waitcnt vmcnt(0)
	v_sub_f32_e32 v106, v180, v106
	buffer_store_dword v107, off, s[0:3], 0 offset:264
	buffer_store_dword v106, off, s[0:3], 0 offset:268
	s_and_saveexec_b64 s[4:5], vcc
	s_cbranch_execz .LBB115_261
; %bb.260:
	buffer_load_dword v106, off, s[0:3], 0 offset:256
	buffer_load_dword v107, off, s[0:3], 0 offset:260
	v_mov_b32_e32 v108, 0
	buffer_store_dword v108, off, s[0:3], 0 offset:256
	buffer_store_dword v108, off, s[0:3], 0 offset:260
	s_waitcnt vmcnt(2)
	ds_write_b64 v105, v[106:107]
.LBB115_261:
	s_or_b64 exec, exec, s[4:5]
	s_waitcnt lgkmcnt(0)
	; wave barrier
	buffer_load_dword v145, off, s[0:3], 0 offset:268
	buffer_load_dword v146, off, s[0:3], 0 offset:276
	;; [unrolled: 1-line block ×40, first 2 shown]
	v_mov_b32_e32 v106, 0
	ds_read2_b64 v[107:110], v106 offset0:85 offset1:86
	ds_read2_b64 v[111:114], v106 offset0:87 offset1:88
	;; [unrolled: 1-line block ×9, first 2 shown]
	v_cmp_lt_u32_e32 vcc, 31, v0
	s_waitcnt vmcnt(39) lgkmcnt(8)
	v_mul_f32_e32 v143, v107, v145
	s_waitcnt vmcnt(38)
	v_mul_f32_e32 v144, v109, v146
	s_waitcnt vmcnt(37) lgkmcnt(7)
	v_mul_f32_e32 v185, v111, v147
	s_waitcnt vmcnt(36)
	v_mul_f32_e32 v186, v113, v148
	;; [unrolled: 4-line block ×7, first 2 shown]
	s_waitcnt vmcnt(25) lgkmcnt(1)
	v_mul_f32_e32 v197, v135, v159
	s_waitcnt vmcnt(24)
	v_fmac_f32_e32 v143, v108, v160
	v_mul_f32_e32 v108, v108, v145
	v_fma_f32 v107, v107, v160, -v108
	v_mul_f32_e32 v108, v110, v146
	v_add_f32_e32 v107, 0, v107
	s_waitcnt vmcnt(23)
	v_fma_f32 v108, v109, v161, -v108
	v_add_f32_e32 v107, v107, v108
	v_mul_f32_e32 v108, v112, v147
	s_waitcnt vmcnt(22)
	v_fma_f32 v108, v111, v162, -v108
	v_add_f32_e32 v107, v107, v108
	v_mul_f32_e32 v108, v114, v148
	;; [unrolled: 4-line block ×6, first 2 shown]
	s_waitcnt vmcnt(17)
	v_fma_f32 v108, v121, v167, -v108
	v_fmac_f32_e32 v144, v110, v161
	v_add_f32_e32 v143, 0, v143
	v_add_f32_e32 v107, v107, v108
	v_mul_f32_e32 v108, v124, v153
	v_fmac_f32_e32 v185, v112, v162
	v_add_f32_e32 v143, v143, v144
	s_waitcnt vmcnt(16)
	v_fma_f32 v108, v123, v168, -v108
	v_fmac_f32_e32 v186, v114, v163
	v_add_f32_e32 v143, v143, v185
	v_add_f32_e32 v107, v107, v108
	v_mul_f32_e32 v108, v126, v154
	v_fmac_f32_e32 v187, v116, v164
	v_add_f32_e32 v143, v143, v186
	;; [unrolled: 8-line block ×6, first 2 shown]
	s_waitcnt vmcnt(11)
	v_fma_f32 v108, v133, v173, -v108
	v_fmac_f32_e32 v196, v134, v173
	v_add_f32_e32 v143, v143, v195
	v_add_f32_e32 v107, v107, v108
	v_mul_f32_e32 v108, v136, v159
	s_waitcnt vmcnt(10)
	v_fmac_f32_e32 v197, v136, v174
	v_add_f32_e32 v143, v143, v196
	s_waitcnt vmcnt(9)
	v_mul_f32_e32 v144, v137, v175
	v_fma_f32 v108, v135, v174, -v108
	v_add_f32_e32 v143, v143, v197
	s_waitcnt vmcnt(8)
	v_fmac_f32_e32 v144, v138, v176
	v_add_f32_e32 v107, v107, v108
	v_mul_f32_e32 v108, v138, v175
	v_add_f32_e32 v185, v143, v144
	ds_read_b64 v[143:144], v106 offset:824
	v_fma_f32 v108, v137, v176, -v108
	v_add_f32_e32 v107, v107, v108
	s_waitcnt vmcnt(7) lgkmcnt(1)
	v_mul_f32_e32 v108, v140, v177
	v_mul_f32_e32 v186, v139, v177
	s_waitcnt vmcnt(6)
	v_fma_f32 v108, v139, v178, -v108
	v_fmac_f32_e32 v186, v140, v178
	v_add_f32_e32 v107, v107, v108
	s_waitcnt vmcnt(5)
	v_mul_f32_e32 v108, v142, v179
	v_add_f32_e32 v185, v185, v186
	v_mul_f32_e32 v186, v141, v179
	s_waitcnt vmcnt(4)
	v_fma_f32 v108, v141, v180, -v108
	v_fmac_f32_e32 v186, v142, v180
	v_add_f32_e32 v107, v107, v108
	s_waitcnt vmcnt(3) lgkmcnt(0)
	v_mul_f32_e32 v108, v144, v181
	v_add_f32_e32 v185, v185, v186
	v_mul_f32_e32 v186, v143, v181
	s_waitcnt vmcnt(2)
	v_fma_f32 v108, v143, v182, -v108
	v_fmac_f32_e32 v186, v144, v182
	v_add_f32_e32 v107, v107, v108
	v_add_f32_e32 v185, v185, v186
	s_waitcnt vmcnt(1)
	v_sub_f32_e32 v107, v183, v107
	s_waitcnt vmcnt(0)
	v_sub_f32_e32 v108, v184, v185
	buffer_store_dword v107, off, s[0:3], 0 offset:256
	buffer_store_dword v108, off, s[0:3], 0 offset:260
	s_and_saveexec_b64 s[4:5], vcc
	s_cbranch_execz .LBB115_263
; %bb.262:
	buffer_load_dword v107, off, s[0:3], 0 offset:248
	buffer_load_dword v108, off, s[0:3], 0 offset:252
	s_waitcnt vmcnt(0)
	ds_write_b64 v105, v[107:108]
	buffer_store_dword v106, off, s[0:3], 0 offset:248
	buffer_store_dword v106, off, s[0:3], 0 offset:252
.LBB115_263:
	s_or_b64 exec, exec, s[4:5]
	s_waitcnt lgkmcnt(0)
	; wave barrier
	buffer_load_dword v147, off, s[0:3], 0 offset:260
	buffer_load_dword v148, off, s[0:3], 0 offset:268
	;; [unrolled: 1-line block ×42, first 2 shown]
	ds_read_b128 v[107:110], v106 offset:672
	ds_read_b128 v[111:114], v106 offset:688
	;; [unrolled: 1-line block ×8, first 2 shown]
	v_cmp_lt_u32_e32 vcc, 30, v0
	s_waitcnt vmcnt(41) lgkmcnt(7)
	v_mul_f32_e32 v139, v107, v147
	s_waitcnt vmcnt(40)
	v_mul_f32_e32 v140, v109, v148
	s_waitcnt vmcnt(39) lgkmcnt(6)
	v_mul_f32_e32 v141, v111, v149
	s_waitcnt vmcnt(38)
	v_mul_f32_e32 v142, v113, v150
	;; [unrolled: 4-line block ×7, first 2 shown]
	s_waitcnt vmcnt(27) lgkmcnt(0)
	v_mul_f32_e32 v195, v135, v161
	s_waitcnt vmcnt(26)
	v_fmac_f32_e32 v139, v108, v162
	v_mul_f32_e32 v108, v108, v147
	v_fma_f32 v107, v107, v162, -v108
	v_mul_f32_e32 v108, v110, v148
	v_add_f32_e32 v107, 0, v107
	s_waitcnt vmcnt(25)
	v_fma_f32 v108, v109, v163, -v108
	v_add_f32_e32 v107, v107, v108
	v_mul_f32_e32 v108, v112, v149
	s_waitcnt vmcnt(24)
	v_fma_f32 v108, v111, v164, -v108
	v_add_f32_e32 v107, v107, v108
	v_mul_f32_e32 v108, v114, v150
	;; [unrolled: 4-line block ×5, first 2 shown]
	v_fmac_f32_e32 v140, v110, v163
	v_add_f32_e32 v139, 0, v139
	s_waitcnt vmcnt(20)
	v_fma_f32 v108, v119, v168, -v108
	v_fmac_f32_e32 v141, v112, v164
	v_add_f32_e32 v139, v139, v140
	v_add_f32_e32 v107, v107, v108
	v_mul_f32_e32 v108, v122, v154
	v_fmac_f32_e32 v142, v114, v165
	v_add_f32_e32 v139, v139, v141
	s_waitcnt vmcnt(19)
	v_fma_f32 v108, v121, v169, -v108
	v_fmac_f32_e32 v143, v116, v166
	v_add_f32_e32 v139, v139, v142
	v_add_f32_e32 v107, v107, v108
	v_mul_f32_e32 v108, v124, v155
	;; [unrolled: 8-line block ×5, first 2 shown]
	s_waitcnt vmcnt(15)
	v_fmac_f32_e32 v192, v130, v173
	v_add_f32_e32 v139, v139, v191
	v_fma_f32 v108, v129, v173, -v108
	s_waitcnt vmcnt(14)
	v_fmac_f32_e32 v193, v132, v174
	v_add_f32_e32 v139, v139, v192
	v_add_f32_e32 v107, v107, v108
	v_mul_f32_e32 v108, v132, v159
	s_waitcnt vmcnt(13)
	v_fmac_f32_e32 v194, v134, v175
	v_add_f32_e32 v139, v139, v193
	v_fma_f32 v108, v131, v174, -v108
	s_waitcnt vmcnt(12)
	v_fmac_f32_e32 v195, v136, v176
	v_add_f32_e32 v139, v139, v194
	v_add_f32_e32 v107, v107, v108
	v_mul_f32_e32 v108, v134, v160
	v_add_f32_e32 v143, v139, v195
	ds_read_b128 v[139:142], v106 offset:800
	v_fma_f32 v108, v133, v175, -v108
	v_add_f32_e32 v107, v107, v108
	v_mul_f32_e32 v108, v136, v161
	s_waitcnt vmcnt(11)
	v_mul_f32_e32 v144, v137, v177
	v_fma_f32 v108, v135, v176, -v108
	s_waitcnt vmcnt(10)
	v_fmac_f32_e32 v144, v138, v178
	v_add_f32_e32 v107, v107, v108
	v_mul_f32_e32 v108, v138, v177
	v_add_f32_e32 v189, v143, v144
	ds_read_b128 v[143:146], v106 offset:816
	v_fma_f32 v108, v137, v178, -v108
	v_add_f32_e32 v107, v107, v108
	s_waitcnt vmcnt(9) lgkmcnt(1)
	v_mul_f32_e32 v108, v140, v179
	v_mul_f32_e32 v106, v139, v179
	s_waitcnt vmcnt(8)
	v_fma_f32 v108, v139, v180, -v108
	v_fmac_f32_e32 v106, v140, v180
	v_add_f32_e32 v107, v107, v108
	s_waitcnt vmcnt(7)
	v_mul_f32_e32 v108, v142, v181
	v_add_f32_e32 v106, v189, v106
	v_mul_f32_e32 v189, v141, v181
	s_waitcnt vmcnt(6)
	v_fma_f32 v108, v141, v182, -v108
	v_fmac_f32_e32 v189, v142, v182
	v_add_f32_e32 v107, v107, v108
	s_waitcnt vmcnt(5) lgkmcnt(0)
	v_mul_f32_e32 v108, v144, v183
	v_add_f32_e32 v106, v106, v189
	v_mul_f32_e32 v189, v143, v183
	s_waitcnt vmcnt(4)
	v_fma_f32 v108, v143, v184, -v108
	v_fmac_f32_e32 v189, v144, v184
	v_add_f32_e32 v107, v107, v108
	s_waitcnt vmcnt(3)
	v_mul_f32_e32 v108, v146, v185
	v_add_f32_e32 v106, v106, v189
	v_mul_f32_e32 v189, v145, v185
	s_waitcnt vmcnt(2)
	v_fma_f32 v108, v145, v186, -v108
	v_fmac_f32_e32 v189, v146, v186
	v_add_f32_e32 v107, v107, v108
	v_add_f32_e32 v106, v106, v189
	s_waitcnt vmcnt(1)
	v_sub_f32_e32 v107, v187, v107
	s_waitcnt vmcnt(0)
	v_sub_f32_e32 v106, v188, v106
	buffer_store_dword v107, off, s[0:3], 0 offset:248
	buffer_store_dword v106, off, s[0:3], 0 offset:252
	s_and_saveexec_b64 s[4:5], vcc
	s_cbranch_execz .LBB115_265
; %bb.264:
	buffer_load_dword v106, off, s[0:3], 0 offset:240
	buffer_load_dword v107, off, s[0:3], 0 offset:244
	v_mov_b32_e32 v108, 0
	buffer_store_dword v108, off, s[0:3], 0 offset:240
	buffer_store_dword v108, off, s[0:3], 0 offset:244
	s_waitcnt vmcnt(2)
	ds_write_b64 v105, v[106:107]
.LBB115_265:
	s_or_b64 exec, exec, s[4:5]
	s_waitcnt lgkmcnt(0)
	; wave barrier
	buffer_load_dword v149, off, s[0:3], 0 offset:252
	buffer_load_dword v150, off, s[0:3], 0 offset:260
	;; [unrolled: 1-line block ×44, first 2 shown]
	v_mov_b32_e32 v106, 0
	ds_read2_b64 v[107:110], v106 offset0:83 offset1:84
	ds_read2_b64 v[111:114], v106 offset0:85 offset1:86
	;; [unrolled: 1-line block ×8, first 2 shown]
	v_cmp_lt_u32_e32 vcc, 29, v0
	s_waitcnt vmcnt(43) lgkmcnt(7)
	v_mul_f32_e32 v139, v107, v149
	s_waitcnt vmcnt(42)
	v_mul_f32_e32 v140, v109, v150
	s_waitcnt vmcnt(41) lgkmcnt(6)
	v_mul_f32_e32 v141, v111, v151
	s_waitcnt vmcnt(40)
	v_mul_f32_e32 v142, v113, v152
	;; [unrolled: 4-line block ×7, first 2 shown]
	s_waitcnt vmcnt(29)
	v_fmac_f32_e32 v139, v108, v163
	v_mul_f32_e32 v108, v108, v149
	v_fma_f32 v107, v107, v163, -v108
	v_mul_f32_e32 v108, v110, v150
	v_add_f32_e32 v107, 0, v107
	s_waitcnt vmcnt(28)
	v_fma_f32 v108, v109, v164, -v108
	v_add_f32_e32 v107, v107, v108
	v_mul_f32_e32 v108, v112, v151
	s_waitcnt vmcnt(27)
	v_fma_f32 v108, v111, v165, -v108
	v_add_f32_e32 v107, v107, v108
	v_mul_f32_e32 v108, v114, v152
	;; [unrolled: 4-line block ×4, first 2 shown]
	s_waitcnt vmcnt(24)
	v_fma_f32 v108, v117, v168, -v108
	v_fmac_f32_e32 v140, v110, v164
	v_add_f32_e32 v139, 0, v139
	v_add_f32_e32 v107, v107, v108
	v_mul_f32_e32 v108, v120, v155
	v_fmac_f32_e32 v141, v112, v165
	v_add_f32_e32 v139, v139, v140
	s_waitcnt vmcnt(23)
	v_fma_f32 v108, v119, v169, -v108
	v_fmac_f32_e32 v142, v114, v166
	v_add_f32_e32 v139, v139, v141
	v_add_f32_e32 v107, v107, v108
	v_mul_f32_e32 v108, v122, v156
	v_fmac_f32_e32 v143, v116, v167
	v_add_f32_e32 v139, v139, v142
	;; [unrolled: 8-line block ×4, first 2 shown]
	s_waitcnt vmcnt(20)
	v_fma_f32 v108, v125, v172, -v108
	v_fmac_f32_e32 v148, v126, v172
	v_add_f32_e32 v139, v139, v147
	v_add_f32_e32 v107, v107, v108
	v_mul_f32_e32 v108, v128, v159
	s_waitcnt vmcnt(19)
	v_fmac_f32_e32 v193, v128, v173
	v_add_f32_e32 v139, v139, v148
	v_fma_f32 v108, v127, v173, -v108
	s_waitcnt vmcnt(18)
	v_fmac_f32_e32 v194, v130, v174
	v_add_f32_e32 v139, v139, v193
	v_add_f32_e32 v107, v107, v108
	v_mul_f32_e32 v108, v130, v160
	s_waitcnt vmcnt(17)
	v_fmac_f32_e32 v195, v132, v175
	v_add_f32_e32 v139, v139, v194
	v_fma_f32 v108, v129, v174, -v108
	v_add_f32_e32 v139, v139, v195
	s_waitcnt vmcnt(16)
	v_fmac_f32_e32 v196, v134, v176
	s_waitcnt vmcnt(15) lgkmcnt(0)
	v_mul_f32_e32 v140, v135, v177
	v_add_f32_e32 v107, v107, v108
	v_mul_f32_e32 v108, v132, v161
	v_add_f32_e32 v139, v139, v196
	s_waitcnt vmcnt(14)
	v_fmac_f32_e32 v140, v136, v178
	v_fma_f32 v108, v131, v175, -v108
	v_add_f32_e32 v143, v139, v140
	ds_read2_b64 v[139:142], v106 offset0:99 offset1:100
	v_add_f32_e32 v107, v107, v108
	v_mul_f32_e32 v108, v134, v162
	v_fma_f32 v108, v133, v176, -v108
	v_add_f32_e32 v107, v107, v108
	v_mul_f32_e32 v108, v136, v177
	s_waitcnt vmcnt(13)
	v_mul_f32_e32 v144, v137, v179
	v_fma_f32 v108, v135, v178, -v108
	s_waitcnt vmcnt(12)
	v_fmac_f32_e32 v144, v138, v180
	v_add_f32_e32 v107, v107, v108
	v_mul_f32_e32 v108, v138, v179
	v_add_f32_e32 v147, v143, v144
	ds_read2_b64 v[143:146], v106 offset0:101 offset1:102
	s_waitcnt vmcnt(11) lgkmcnt(1)
	v_mul_f32_e32 v148, v139, v181
	v_fma_f32 v108, v137, v180, -v108
	s_waitcnt vmcnt(10)
	v_fmac_f32_e32 v148, v140, v182
	v_add_f32_e32 v107, v107, v108
	v_mul_f32_e32 v108, v140, v181
	v_add_f32_e32 v147, v147, v148
	s_waitcnt vmcnt(9)
	v_mul_f32_e32 v148, v141, v183
	v_fma_f32 v108, v139, v182, -v108
	s_waitcnt vmcnt(8)
	v_fmac_f32_e32 v148, v142, v184
	v_add_f32_e32 v107, v107, v108
	v_mul_f32_e32 v108, v142, v183
	v_add_f32_e32 v193, v147, v148
	ds_read_b64 v[147:148], v106 offset:824
	v_fma_f32 v108, v141, v184, -v108
	v_add_f32_e32 v107, v107, v108
	s_waitcnt vmcnt(7) lgkmcnt(1)
	v_mul_f32_e32 v108, v144, v185
	v_mul_f32_e32 v194, v143, v185
	s_waitcnt vmcnt(6)
	v_fma_f32 v108, v143, v186, -v108
	v_fmac_f32_e32 v194, v144, v186
	v_add_f32_e32 v107, v107, v108
	s_waitcnt vmcnt(5)
	v_mul_f32_e32 v108, v146, v187
	v_add_f32_e32 v193, v193, v194
	v_mul_f32_e32 v194, v145, v187
	s_waitcnt vmcnt(4)
	v_fma_f32 v108, v145, v188, -v108
	v_fmac_f32_e32 v194, v146, v188
	v_add_f32_e32 v107, v107, v108
	s_waitcnt vmcnt(3) lgkmcnt(0)
	v_mul_f32_e32 v108, v148, v189
	v_add_f32_e32 v193, v193, v194
	v_mul_f32_e32 v194, v147, v189
	s_waitcnt vmcnt(2)
	v_fma_f32 v108, v147, v190, -v108
	v_fmac_f32_e32 v194, v148, v190
	v_add_f32_e32 v107, v107, v108
	v_add_f32_e32 v193, v193, v194
	s_waitcnt vmcnt(1)
	v_sub_f32_e32 v107, v191, v107
	s_waitcnt vmcnt(0)
	v_sub_f32_e32 v108, v192, v193
	buffer_store_dword v107, off, s[0:3], 0 offset:240
	buffer_store_dword v108, off, s[0:3], 0 offset:244
	s_and_saveexec_b64 s[4:5], vcc
	s_cbranch_execz .LBB115_267
; %bb.266:
	buffer_load_dword v107, off, s[0:3], 0 offset:232
	buffer_load_dword v108, off, s[0:3], 0 offset:236
	s_waitcnt vmcnt(0)
	ds_write_b64 v105, v[107:108]
	buffer_store_dword v106, off, s[0:3], 0 offset:232
	buffer_store_dword v106, off, s[0:3], 0 offset:236
.LBB115_267:
	s_or_b64 exec, exec, s[4:5]
	s_waitcnt lgkmcnt(0)
	; wave barrier
	buffer_load_dword v151, off, s[0:3], 0 offset:244
	buffer_load_dword v152, off, s[0:3], 0 offset:252
	;; [unrolled: 1-line block ×46, first 2 shown]
	ds_read_b128 v[107:110], v106 offset:656
	ds_read_b128 v[111:114], v106 offset:672
	;; [unrolled: 1-line block ×8, first 2 shown]
	v_cmp_lt_u32_e32 vcc, 28, v0
	s_waitcnt vmcnt(45) lgkmcnt(7)
	v_mul_f32_e32 v139, v107, v151
	s_waitcnt vmcnt(44)
	v_mul_f32_e32 v140, v109, v152
	s_waitcnt vmcnt(43) lgkmcnt(6)
	v_mul_f32_e32 v141, v111, v153
	s_waitcnt vmcnt(42)
	v_mul_f32_e32 v142, v113, v154
	;; [unrolled: 4-line block ×6, first 2 shown]
	s_waitcnt vmcnt(33) lgkmcnt(1)
	v_mul_f32_e32 v197, v131, v163
	s_waitcnt vmcnt(32)
	v_fmac_f32_e32 v139, v108, v164
	v_mul_f32_e32 v108, v108, v151
	v_fma_f32 v107, v107, v164, -v108
	v_mul_f32_e32 v108, v110, v152
	v_add_f32_e32 v107, 0, v107
	s_waitcnt vmcnt(31)
	v_fma_f32 v108, v109, v165, -v108
	v_add_f32_e32 v107, v107, v108
	v_mul_f32_e32 v108, v112, v153
	s_waitcnt vmcnt(30)
	v_fma_f32 v108, v111, v166, -v108
	v_add_f32_e32 v107, v107, v108
	v_mul_f32_e32 v108, v114, v154
	;; [unrolled: 4-line block ×4, first 2 shown]
	v_fmac_f32_e32 v140, v110, v165
	v_add_f32_e32 v139, 0, v139
	s_waitcnt vmcnt(27)
	v_fma_f32 v108, v117, v169, -v108
	v_fmac_f32_e32 v141, v112, v166
	v_add_f32_e32 v139, v139, v140
	v_add_f32_e32 v107, v107, v108
	v_mul_f32_e32 v108, v120, v157
	v_fmac_f32_e32 v142, v114, v167
	v_add_f32_e32 v139, v139, v141
	s_waitcnt vmcnt(26)
	v_fma_f32 v108, v119, v170, -v108
	v_fmac_f32_e32 v143, v116, v168
	v_add_f32_e32 v139, v139, v142
	v_add_f32_e32 v107, v107, v108
	v_mul_f32_e32 v108, v122, v158
	;; [unrolled: 8-line block ×4, first 2 shown]
	s_waitcnt vmcnt(23)
	v_fmac_f32_e32 v148, v126, v173
	v_add_f32_e32 v139, v139, v147
	v_fma_f32 v108, v125, v173, -v108
	s_waitcnt vmcnt(22)
	v_fmac_f32_e32 v149, v128, v174
	v_add_f32_e32 v139, v139, v148
	v_add_f32_e32 v107, v107, v108
	v_mul_f32_e32 v108, v128, v161
	s_waitcnt vmcnt(21)
	v_fmac_f32_e32 v150, v130, v175
	v_add_f32_e32 v139, v139, v149
	v_fma_f32 v108, v127, v174, -v108
	s_waitcnt vmcnt(20)
	v_fmac_f32_e32 v197, v132, v176
	v_add_f32_e32 v139, v139, v150
	s_waitcnt vmcnt(19)
	v_mul_f32_e32 v140, v133, v177
	v_add_f32_e32 v107, v107, v108
	v_mul_f32_e32 v108, v130, v162
	v_add_f32_e32 v139, v139, v197
	s_waitcnt vmcnt(18)
	v_fmac_f32_e32 v140, v134, v178
	v_fma_f32 v108, v129, v175, -v108
	v_add_f32_e32 v139, v139, v140
	s_waitcnt vmcnt(17) lgkmcnt(0)
	v_mul_f32_e32 v140, v135, v179
	v_add_f32_e32 v107, v107, v108
	v_mul_f32_e32 v108, v132, v163
	s_waitcnt vmcnt(16)
	v_fmac_f32_e32 v140, v136, v180
	v_fma_f32 v108, v131, v176, -v108
	v_add_f32_e32 v143, v139, v140
	ds_read_b128 v[139:142], v106 offset:784
	v_add_f32_e32 v107, v107, v108
	v_mul_f32_e32 v108, v134, v177
	v_fma_f32 v108, v133, v178, -v108
	v_add_f32_e32 v107, v107, v108
	v_mul_f32_e32 v108, v136, v179
	s_waitcnt vmcnt(15)
	v_mul_f32_e32 v144, v137, v181
	v_fma_f32 v108, v135, v180, -v108
	s_waitcnt vmcnt(14)
	v_fmac_f32_e32 v144, v138, v182
	v_add_f32_e32 v107, v107, v108
	v_mul_f32_e32 v108, v138, v181
	v_add_f32_e32 v147, v143, v144
	ds_read_b128 v[143:146], v106 offset:800
	s_waitcnt vmcnt(13) lgkmcnt(1)
	v_mul_f32_e32 v148, v139, v183
	v_fma_f32 v108, v137, v182, -v108
	s_waitcnt vmcnt(12)
	v_fmac_f32_e32 v148, v140, v184
	v_add_f32_e32 v107, v107, v108
	v_mul_f32_e32 v108, v140, v183
	v_add_f32_e32 v147, v147, v148
	s_waitcnt vmcnt(11)
	v_mul_f32_e32 v148, v141, v185
	v_fma_f32 v108, v139, v184, -v108
	s_waitcnt vmcnt(10)
	v_fmac_f32_e32 v148, v142, v186
	v_add_f32_e32 v107, v107, v108
	v_mul_f32_e32 v108, v142, v185
	v_add_f32_e32 v197, v147, v148
	ds_read_b128 v[147:150], v106 offset:816
	v_fma_f32 v108, v141, v186, -v108
	v_add_f32_e32 v107, v107, v108
	s_waitcnt vmcnt(9) lgkmcnt(1)
	v_mul_f32_e32 v108, v144, v187
	v_mul_f32_e32 v198, v143, v187
	s_waitcnt vmcnt(8)
	v_fma_f32 v108, v143, v188, -v108
	v_fmac_f32_e32 v198, v144, v188
	v_add_f32_e32 v107, v107, v108
	s_waitcnt vmcnt(7)
	v_mul_f32_e32 v108, v146, v189
	v_add_f32_e32 v106, v197, v198
	v_mul_f32_e32 v197, v145, v189
	s_waitcnt vmcnt(6)
	v_fma_f32 v108, v145, v190, -v108
	v_fmac_f32_e32 v197, v146, v190
	v_add_f32_e32 v107, v107, v108
	s_waitcnt vmcnt(5) lgkmcnt(0)
	v_mul_f32_e32 v108, v148, v191
	v_add_f32_e32 v106, v106, v197
	v_mul_f32_e32 v197, v147, v191
	s_waitcnt vmcnt(4)
	v_fma_f32 v108, v147, v192, -v108
	v_fmac_f32_e32 v197, v148, v192
	v_add_f32_e32 v107, v107, v108
	s_waitcnt vmcnt(3)
	v_mul_f32_e32 v108, v150, v193
	v_add_f32_e32 v106, v106, v197
	v_mul_f32_e32 v197, v149, v193
	s_waitcnt vmcnt(2)
	v_fma_f32 v108, v149, v194, -v108
	v_fmac_f32_e32 v197, v150, v194
	v_add_f32_e32 v107, v107, v108
	v_add_f32_e32 v106, v106, v197
	s_waitcnt vmcnt(1)
	v_sub_f32_e32 v107, v195, v107
	s_waitcnt vmcnt(0)
	v_sub_f32_e32 v106, v196, v106
	buffer_store_dword v107, off, s[0:3], 0 offset:232
	buffer_store_dword v106, off, s[0:3], 0 offset:236
	s_and_saveexec_b64 s[4:5], vcc
	s_cbranch_execz .LBB115_269
; %bb.268:
	buffer_load_dword v106, off, s[0:3], 0 offset:224
	buffer_load_dword v107, off, s[0:3], 0 offset:228
	v_mov_b32_e32 v108, 0
	buffer_store_dword v108, off, s[0:3], 0 offset:224
	buffer_store_dword v108, off, s[0:3], 0 offset:228
	s_waitcnt vmcnt(2)
	ds_write_b64 v105, v[106:107]
.LBB115_269:
	s_or_b64 exec, exec, s[4:5]
	s_waitcnt lgkmcnt(0)
	; wave barrier
	buffer_load_dword v153, off, s[0:3], 0 offset:236
	buffer_load_dword v154, off, s[0:3], 0 offset:244
	;; [unrolled: 1-line block ×48, first 2 shown]
	v_mov_b32_e32 v106, 0
	ds_read2_b64 v[107:110], v106 offset0:81 offset1:82
	ds_read2_b64 v[111:114], v106 offset0:83 offset1:84
	;; [unrolled: 1-line block ×7, first 2 shown]
	v_cmp_lt_u32_e32 vcc, 27, v0
	s_waitcnt vmcnt(47) lgkmcnt(6)
	v_mul_f32_e32 v135, v107, v153
	s_waitcnt vmcnt(46)
	v_mul_f32_e32 v136, v109, v154
	s_waitcnt vmcnt(45) lgkmcnt(5)
	v_mul_f32_e32 v137, v111, v155
	s_waitcnt vmcnt(44)
	v_mul_f32_e32 v138, v113, v156
	;; [unrolled: 4-line block ×6, first 2 shown]
	s_waitcnt vmcnt(35)
	v_fmac_f32_e32 v135, v108, v165
	v_mul_f32_e32 v108, v108, v153
	v_fma_f32 v107, v107, v165, -v108
	v_mul_f32_e32 v108, v110, v154
	v_add_f32_e32 v107, 0, v107
	s_waitcnt vmcnt(34)
	v_fma_f32 v108, v109, v166, -v108
	v_add_f32_e32 v107, v107, v108
	v_mul_f32_e32 v108, v112, v155
	s_waitcnt vmcnt(33)
	v_fma_f32 v108, v111, v167, -v108
	v_fmac_f32_e32 v136, v110, v166
	v_add_f32_e32 v135, 0, v135
	v_add_f32_e32 v107, v107, v108
	v_mul_f32_e32 v108, v114, v156
	v_fmac_f32_e32 v137, v112, v167
	v_add_f32_e32 v135, v135, v136
	s_waitcnt vmcnt(32)
	v_fma_f32 v108, v113, v168, -v108
	v_fmac_f32_e32 v138, v114, v168
	v_add_f32_e32 v135, v135, v137
	v_add_f32_e32 v107, v107, v108
	v_mul_f32_e32 v108, v116, v157
	s_waitcnt vmcnt(31)
	v_fmac_f32_e32 v139, v116, v169
	v_add_f32_e32 v135, v135, v138
	v_fma_f32 v108, v115, v169, -v108
	s_waitcnt vmcnt(30)
	v_fmac_f32_e32 v140, v118, v170
	v_add_f32_e32 v135, v135, v139
	v_add_f32_e32 v107, v107, v108
	v_mul_f32_e32 v108, v118, v158
	s_waitcnt vmcnt(29)
	v_fmac_f32_e32 v141, v120, v171
	v_add_f32_e32 v135, v135, v140
	v_fma_f32 v108, v117, v170, -v108
	s_waitcnt vmcnt(28)
	;; [unrolled: 9-line block ×4, first 2 shown]
	v_fmac_f32_e32 v146, v130, v176
	v_add_f32_e32 v135, v135, v145
	v_add_f32_e32 v107, v107, v108
	v_mul_f32_e32 v108, v124, v161
	v_add_f32_e32 v139, v135, v146
	ds_read2_b64 v[135:138], v106 offset0:95 offset1:96
	v_fma_f32 v108, v123, v173, -v108
	s_waitcnt vmcnt(23) lgkmcnt(1)
	v_mul_f32_e32 v140, v131, v177
	v_add_f32_e32 v107, v107, v108
	v_mul_f32_e32 v108, v126, v162
	s_waitcnt vmcnt(22)
	v_fmac_f32_e32 v140, v132, v178
	v_fma_f32 v108, v125, v174, -v108
	v_add_f32_e32 v139, v139, v140
	s_waitcnt vmcnt(21)
	v_mul_f32_e32 v140, v133, v179
	v_add_f32_e32 v107, v107, v108
	v_mul_f32_e32 v108, v128, v163
	s_waitcnt vmcnt(20)
	v_fmac_f32_e32 v140, v134, v180
	v_fma_f32 v108, v127, v175, -v108
	v_add_f32_e32 v139, v139, v140
	s_waitcnt vmcnt(19) lgkmcnt(0)
	v_mul_f32_e32 v140, v135, v181
	v_add_f32_e32 v107, v107, v108
	v_mul_f32_e32 v108, v130, v164
	s_waitcnt vmcnt(18)
	v_fmac_f32_e32 v140, v136, v182
	v_fma_f32 v108, v129, v176, -v108
	v_add_f32_e32 v143, v139, v140
	ds_read2_b64 v[139:142], v106 offset0:97 offset1:98
	v_add_f32_e32 v107, v107, v108
	v_mul_f32_e32 v108, v132, v177
	v_fma_f32 v108, v131, v178, -v108
	s_waitcnt vmcnt(17)
	v_mul_f32_e32 v144, v137, v183
	v_add_f32_e32 v107, v107, v108
	v_mul_f32_e32 v108, v134, v179
	s_waitcnt vmcnt(16)
	v_fmac_f32_e32 v144, v138, v184
	v_fma_f32 v108, v133, v180, -v108
	v_add_f32_e32 v147, v143, v144
	ds_read2_b64 v[143:146], v106 offset0:99 offset1:100
	v_add_f32_e32 v107, v107, v108
	v_mul_f32_e32 v108, v136, v181
	s_waitcnt vmcnt(15) lgkmcnt(1)
	v_mul_f32_e32 v148, v139, v185
	v_fma_f32 v108, v135, v182, -v108
	s_waitcnt vmcnt(14)
	v_fmac_f32_e32 v148, v140, v186
	v_add_f32_e32 v107, v107, v108
	v_mul_f32_e32 v108, v138, v183
	v_add_f32_e32 v147, v147, v148
	s_waitcnt vmcnt(13)
	v_mul_f32_e32 v148, v141, v187
	v_fma_f32 v108, v137, v184, -v108
	s_waitcnt vmcnt(12)
	v_fmac_f32_e32 v148, v142, v188
	v_add_f32_e32 v107, v107, v108
	v_mul_f32_e32 v108, v140, v185
	v_add_f32_e32 v147, v147, v148
	s_waitcnt vmcnt(11) lgkmcnt(0)
	v_mul_f32_e32 v148, v143, v189
	v_fma_f32 v108, v139, v186, -v108
	s_waitcnt vmcnt(10)
	v_fmac_f32_e32 v148, v144, v190
	v_add_f32_e32 v107, v107, v108
	v_mul_f32_e32 v108, v142, v187
	v_add_f32_e32 v151, v147, v148
	ds_read2_b64 v[147:150], v106 offset0:101 offset1:102
	v_fma_f32 v108, v141, v188, -v108
	v_add_f32_e32 v107, v107, v108
	v_mul_f32_e32 v108, v144, v189
	s_waitcnt vmcnt(9)
	v_mul_f32_e32 v152, v145, v191
	v_fma_f32 v108, v143, v190, -v108
	s_waitcnt vmcnt(8)
	v_fmac_f32_e32 v152, v146, v192
	v_add_f32_e32 v107, v107, v108
	v_mul_f32_e32 v108, v146, v191
	v_add_f32_e32 v201, v151, v152
	ds_read_b64 v[151:152], v106 offset:824
	v_fma_f32 v108, v145, v192, -v108
	v_add_f32_e32 v107, v107, v108
	s_waitcnt vmcnt(6) lgkmcnt(1)
	v_mul_f32_e32 v108, v148, v194
	v_mul_f32_e32 v202, v147, v194
	v_fma_f32 v108, v147, v193, -v108
	v_fmac_f32_e32 v202, v148, v193
	v_add_f32_e32 v107, v107, v108
	s_waitcnt vmcnt(3)
	v_mul_f32_e32 v108, v150, v197
	v_add_f32_e32 v201, v201, v202
	v_mul_f32_e32 v202, v149, v197
	s_waitcnt vmcnt(2)
	v_fma_f32 v108, v149, v198, -v108
	v_fmac_f32_e32 v202, v150, v198
	v_add_f32_e32 v107, v107, v108
	s_waitcnt vmcnt(0) lgkmcnt(0)
	v_mul_f32_e32 v108, v152, v200
	v_add_f32_e32 v201, v201, v202
	v_mul_f32_e32 v202, v151, v200
	v_fma_f32 v108, v151, v199, -v108
	v_fmac_f32_e32 v202, v152, v199
	v_add_f32_e32 v107, v107, v108
	v_add_f32_e32 v201, v201, v202
	v_sub_f32_e32 v107, v195, v107
	v_sub_f32_e32 v108, v196, v201
	buffer_store_dword v107, off, s[0:3], 0 offset:224
	buffer_store_dword v108, off, s[0:3], 0 offset:228
	s_and_saveexec_b64 s[4:5], vcc
	s_cbranch_execz .LBB115_271
; %bb.270:
	buffer_load_dword v107, off, s[0:3], 0 offset:216
	buffer_load_dword v108, off, s[0:3], 0 offset:220
	s_waitcnt vmcnt(0)
	ds_write_b64 v105, v[107:108]
	buffer_store_dword v106, off, s[0:3], 0 offset:216
	buffer_store_dword v106, off, s[0:3], 0 offset:220
.LBB115_271:
	s_or_b64 exec, exec, s[4:5]
	s_waitcnt lgkmcnt(0)
	; wave barrier
	buffer_load_dword v155, off, s[0:3], 0 offset:228
	buffer_load_dword v156, off, s[0:3], 0 offset:236
	;; [unrolled: 1-line block ×48, first 2 shown]
	ds_read_b128 v[107:110], v106 offset:640
	ds_read_b128 v[111:114], v106 offset:656
	buffer_load_dword v203, off, s[0:3], 0 offset:408
	buffer_load_dword v204, off, s[0:3], 0 offset:412
	ds_read_b128 v[115:118], v106 offset:672
	ds_read_b128 v[119:122], v106 offset:688
	;; [unrolled: 1-line block ×5, first 2 shown]
	v_cmp_lt_u32_e32 vcc, 26, v0
	s_waitcnt vmcnt(49) lgkmcnt(6)
	v_mul_f32_e32 v135, v107, v155
	s_waitcnt vmcnt(48)
	v_mul_f32_e32 v136, v109, v156
	s_waitcnt vmcnt(47) lgkmcnt(5)
	v_mul_f32_e32 v137, v111, v157
	s_waitcnt vmcnt(46)
	v_mul_f32_e32 v138, v113, v158
	;; [unrolled: 4-line block ×6, first 2 shown]
	s_waitcnt vmcnt(37)
	v_fmac_f32_e32 v135, v108, v167
	v_mul_f32_e32 v108, v108, v155
	v_fma_f32 v107, v107, v167, -v108
	v_mul_f32_e32 v108, v110, v156
	v_add_f32_e32 v107, 0, v107
	s_waitcnt vmcnt(36)
	v_fma_f32 v108, v109, v168, -v108
	v_add_f32_e32 v107, v107, v108
	v_mul_f32_e32 v108, v112, v157
	s_waitcnt vmcnt(35)
	v_fma_f32 v108, v111, v169, -v108
	v_fmac_f32_e32 v136, v110, v168
	v_add_f32_e32 v135, 0, v135
	v_add_f32_e32 v107, v107, v108
	v_mul_f32_e32 v108, v114, v158
	v_fmac_f32_e32 v137, v112, v169
	v_add_f32_e32 v135, v135, v136
	s_waitcnt vmcnt(34)
	v_fma_f32 v108, v113, v170, -v108
	v_fmac_f32_e32 v138, v114, v170
	v_add_f32_e32 v135, v135, v137
	v_add_f32_e32 v107, v107, v108
	v_mul_f32_e32 v108, v116, v159
	s_waitcnt vmcnt(33)
	v_fmac_f32_e32 v139, v116, v171
	v_add_f32_e32 v135, v135, v138
	v_fma_f32 v108, v115, v171, -v108
	s_waitcnt vmcnt(32)
	v_fmac_f32_e32 v140, v118, v172
	v_add_f32_e32 v135, v135, v139
	v_add_f32_e32 v107, v107, v108
	v_mul_f32_e32 v108, v118, v160
	s_waitcnt vmcnt(31)
	v_fmac_f32_e32 v141, v120, v173
	v_add_f32_e32 v135, v135, v140
	v_fma_f32 v108, v117, v172, -v108
	s_waitcnt vmcnt(30)
	;; [unrolled: 9-line block ×3, first 2 shown]
	v_fmac_f32_e32 v144, v126, v176
	v_add_f32_e32 v135, v135, v143
	v_add_f32_e32 v107, v107, v108
	v_mul_f32_e32 v108, v122, v162
	s_waitcnt vmcnt(27)
	v_fmac_f32_e32 v145, v128, v177
	v_add_f32_e32 v135, v135, v144
	v_fma_f32 v108, v121, v174, -v108
	v_add_f32_e32 v135, v135, v145
	s_waitcnt vmcnt(26)
	v_fmac_f32_e32 v146, v130, v178
	v_add_f32_e32 v107, v107, v108
	v_mul_f32_e32 v108, v124, v163
	v_add_f32_e32 v139, v135, v146
	ds_read_b128 v[135:138], v106 offset:752
	v_fma_f32 v108, v123, v175, -v108
	s_waitcnt vmcnt(25) lgkmcnt(1)
	v_mul_f32_e32 v140, v131, v179
	v_add_f32_e32 v107, v107, v108
	v_mul_f32_e32 v108, v126, v164
	s_waitcnt vmcnt(24)
	v_fmac_f32_e32 v140, v132, v180
	v_fma_f32 v108, v125, v176, -v108
	v_add_f32_e32 v139, v139, v140
	s_waitcnt vmcnt(23)
	v_mul_f32_e32 v140, v133, v181
	v_add_f32_e32 v107, v107, v108
	v_mul_f32_e32 v108, v128, v165
	s_waitcnt vmcnt(22)
	v_fmac_f32_e32 v140, v134, v182
	v_fma_f32 v108, v127, v177, -v108
	v_add_f32_e32 v139, v139, v140
	s_waitcnt vmcnt(21) lgkmcnt(0)
	v_mul_f32_e32 v140, v135, v183
	v_add_f32_e32 v107, v107, v108
	v_mul_f32_e32 v108, v130, v166
	s_waitcnt vmcnt(20)
	v_fmac_f32_e32 v140, v136, v184
	v_fma_f32 v108, v129, v178, -v108
	v_add_f32_e32 v143, v139, v140
	ds_read_b128 v[139:142], v106 offset:768
	v_add_f32_e32 v107, v107, v108
	v_mul_f32_e32 v108, v132, v179
	v_fma_f32 v108, v131, v180, -v108
	s_waitcnt vmcnt(19)
	v_mul_f32_e32 v144, v137, v185
	v_add_f32_e32 v107, v107, v108
	v_mul_f32_e32 v108, v134, v181
	s_waitcnt vmcnt(18)
	v_fmac_f32_e32 v144, v138, v186
	v_fma_f32 v108, v133, v182, -v108
	v_add_f32_e32 v147, v143, v144
	ds_read_b128 v[143:146], v106 offset:784
	v_add_f32_e32 v107, v107, v108
	v_mul_f32_e32 v108, v136, v183
	s_waitcnt vmcnt(17) lgkmcnt(1)
	v_mul_f32_e32 v148, v139, v187
	v_fma_f32 v108, v135, v184, -v108
	s_waitcnt vmcnt(16)
	v_fmac_f32_e32 v148, v140, v188
	v_add_f32_e32 v107, v107, v108
	v_mul_f32_e32 v108, v138, v185
	v_add_f32_e32 v147, v147, v148
	s_waitcnt vmcnt(15)
	v_mul_f32_e32 v148, v141, v189
	v_fma_f32 v108, v137, v186, -v108
	s_waitcnt vmcnt(14)
	v_fmac_f32_e32 v148, v142, v190
	v_add_f32_e32 v107, v107, v108
	v_mul_f32_e32 v108, v140, v187
	v_add_f32_e32 v147, v147, v148
	s_waitcnt vmcnt(13) lgkmcnt(0)
	v_mul_f32_e32 v148, v143, v191
	v_fma_f32 v108, v139, v188, -v108
	s_waitcnt vmcnt(12)
	v_fmac_f32_e32 v148, v144, v192
	v_add_f32_e32 v107, v107, v108
	v_mul_f32_e32 v108, v142, v189
	v_add_f32_e32 v151, v147, v148
	ds_read_b128 v[147:150], v106 offset:800
	v_fma_f32 v108, v141, v190, -v108
	v_add_f32_e32 v107, v107, v108
	v_mul_f32_e32 v108, v144, v191
	s_waitcnt vmcnt(11)
	v_mul_f32_e32 v152, v145, v193
	v_fma_f32 v108, v143, v192, -v108
	s_waitcnt vmcnt(10)
	v_fmac_f32_e32 v152, v146, v194
	v_add_f32_e32 v107, v107, v108
	v_mul_f32_e32 v108, v146, v193
	v_add_f32_e32 v205, v151, v152
	ds_read_b128 v[151:154], v106 offset:816
	v_fma_f32 v108, v145, v194, -v108
	v_add_f32_e32 v107, v107, v108
	s_waitcnt vmcnt(7) lgkmcnt(1)
	v_mul_f32_e32 v108, v148, v197
	v_mul_f32_e32 v106, v147, v197
	s_waitcnt vmcnt(6)
	v_fma_f32 v108, v147, v198, -v108
	v_fmac_f32_e32 v106, v148, v198
	v_add_f32_e32 v107, v107, v108
	s_waitcnt vmcnt(4)
	v_mul_f32_e32 v108, v150, v200
	v_add_f32_e32 v106, v205, v106
	v_mul_f32_e32 v205, v149, v200
	v_fma_f32 v108, v149, v199, -v108
	v_fmac_f32_e32 v205, v150, v199
	v_add_f32_e32 v107, v107, v108
	s_waitcnt vmcnt(2) lgkmcnt(0)
	v_mul_f32_e32 v108, v152, v202
	v_add_f32_e32 v106, v106, v205
	v_mul_f32_e32 v205, v151, v202
	v_fma_f32 v108, v151, v201, -v108
	v_fmac_f32_e32 v205, v152, v201
	v_add_f32_e32 v107, v107, v108
	s_waitcnt vmcnt(0)
	v_mul_f32_e32 v108, v154, v204
	v_add_f32_e32 v106, v106, v205
	v_mul_f32_e32 v205, v153, v204
	v_fma_f32 v108, v153, v203, -v108
	v_fmac_f32_e32 v205, v154, v203
	v_add_f32_e32 v107, v107, v108
	v_add_f32_e32 v106, v106, v205
	v_sub_f32_e32 v107, v195, v107
	v_sub_f32_e32 v106, v196, v106
	buffer_store_dword v107, off, s[0:3], 0 offset:216
	buffer_store_dword v106, off, s[0:3], 0 offset:220
	s_and_saveexec_b64 s[4:5], vcc
	s_cbranch_execz .LBB115_273
; %bb.272:
	buffer_load_dword v106, off, s[0:3], 0 offset:208
	buffer_load_dword v107, off, s[0:3], 0 offset:212
	v_mov_b32_e32 v108, 0
	buffer_store_dword v108, off, s[0:3], 0 offset:208
	buffer_store_dword v108, off, s[0:3], 0 offset:212
	s_waitcnt vmcnt(2)
	ds_write_b64 v105, v[106:107]
.LBB115_273:
	s_or_b64 exec, exec, s[4:5]
	s_waitcnt lgkmcnt(0)
	; wave barrier
	buffer_load_dword v157, off, s[0:3], 0 offset:220
	buffer_load_dword v158, off, s[0:3], 0 offset:228
	;; [unrolled: 1-line block ×52, first 2 shown]
	v_mov_b32_e32 v106, 0
	ds_read2_b64 v[107:110], v106 offset0:79 offset1:80
	ds_read2_b64 v[111:114], v106 offset0:81 offset1:82
	;; [unrolled: 1-line block ×6, first 2 shown]
	v_cmp_lt_u32_e32 vcc, 25, v0
	s_waitcnt vmcnt(51) lgkmcnt(5)
	v_mul_f32_e32 v131, v107, v157
	s_waitcnt vmcnt(50)
	v_mul_f32_e32 v132, v109, v158
	s_waitcnt vmcnt(49) lgkmcnt(4)
	v_mul_f32_e32 v133, v111, v159
	s_waitcnt vmcnt(48)
	v_mul_f32_e32 v134, v113, v160
	;; [unrolled: 4-line block ×5, first 2 shown]
	s_waitcnt vmcnt(41) lgkmcnt(0)
	v_mul_f32_e32 v141, v127, v167
	s_waitcnt vmcnt(40)
	v_fmac_f32_e32 v131, v108, v168
	v_mul_f32_e32 v108, v108, v157
	s_waitcnt vmcnt(39)
	v_fmac_f32_e32 v132, v110, v169
	v_add_f32_e32 v131, 0, v131
	v_fma_f32 v107, v107, v168, -v108
	v_mul_f32_e32 v108, v110, v158
	s_waitcnt vmcnt(38)
	v_fmac_f32_e32 v133, v112, v170
	v_add_f32_e32 v131, v131, v132
	v_add_f32_e32 v107, 0, v107
	v_fma_f32 v108, v109, v169, -v108
	s_waitcnt vmcnt(37)
	v_fmac_f32_e32 v134, v114, v171
	v_add_f32_e32 v131, v131, v133
	v_add_f32_e32 v107, v107, v108
	v_mul_f32_e32 v108, v112, v159
	s_waitcnt vmcnt(36)
	v_fmac_f32_e32 v135, v116, v172
	v_add_f32_e32 v131, v131, v134
	v_fma_f32 v108, v111, v170, -v108
	s_waitcnt vmcnt(35)
	v_fmac_f32_e32 v136, v118, v173
	v_add_f32_e32 v131, v131, v135
	v_add_f32_e32 v107, v107, v108
	v_mul_f32_e32 v108, v114, v160
	s_waitcnt vmcnt(34)
	v_fmac_f32_e32 v137, v120, v174
	;; [unrolled: 9-line block ×3, first 2 shown]
	v_add_f32_e32 v131, v131, v138
	v_fma_f32 v108, v115, v172, -v108
	s_waitcnt vmcnt(31)
	v_fmac_f32_e32 v140, v126, v177
	v_add_f32_e32 v131, v131, v139
	v_add_f32_e32 v107, v107, v108
	v_mul_f32_e32 v108, v118, v162
	v_add_f32_e32 v131, v131, v140
	s_waitcnt vmcnt(30)
	v_fmac_f32_e32 v141, v128, v178
	v_fma_f32 v108, v117, v173, -v108
	v_add_f32_e32 v135, v131, v141
	ds_read2_b64 v[131:134], v106 offset0:91 offset1:92
	v_add_f32_e32 v107, v107, v108
	v_mul_f32_e32 v108, v120, v163
	v_fma_f32 v108, v119, v174, -v108
	s_waitcnt vmcnt(29)
	v_mul_f32_e32 v136, v129, v179
	v_add_f32_e32 v107, v107, v108
	v_mul_f32_e32 v108, v122, v164
	s_waitcnt vmcnt(28)
	v_fmac_f32_e32 v136, v130, v180
	v_fma_f32 v108, v121, v175, -v108
	v_add_f32_e32 v139, v135, v136
	ds_read2_b64 v[135:138], v106 offset0:93 offset1:94
	v_add_f32_e32 v107, v107, v108
	v_mul_f32_e32 v108, v124, v165
	s_waitcnt vmcnt(27) lgkmcnt(1)
	v_mul_f32_e32 v140, v131, v181
	v_fma_f32 v108, v123, v176, -v108
	s_waitcnt vmcnt(26)
	v_fmac_f32_e32 v140, v132, v182
	v_add_f32_e32 v107, v107, v108
	v_mul_f32_e32 v108, v126, v166
	v_add_f32_e32 v139, v139, v140
	s_waitcnt vmcnt(25)
	v_mul_f32_e32 v140, v133, v183
	v_fma_f32 v108, v125, v177, -v108
	s_waitcnt vmcnt(24)
	v_fmac_f32_e32 v140, v134, v184
	v_add_f32_e32 v107, v107, v108
	v_mul_f32_e32 v108, v128, v167
	v_add_f32_e32 v139, v139, v140
	s_waitcnt vmcnt(23) lgkmcnt(0)
	v_mul_f32_e32 v140, v135, v185
	v_fma_f32 v108, v127, v178, -v108
	s_waitcnt vmcnt(22)
	v_fmac_f32_e32 v140, v136, v186
	v_add_f32_e32 v107, v107, v108
	v_mul_f32_e32 v108, v130, v179
	v_add_f32_e32 v143, v139, v140
	ds_read2_b64 v[139:142], v106 offset0:95 offset1:96
	v_fma_f32 v108, v129, v180, -v108
	v_add_f32_e32 v107, v107, v108
	v_mul_f32_e32 v108, v132, v181
	s_waitcnt vmcnt(21)
	v_mul_f32_e32 v144, v137, v187
	v_fma_f32 v108, v131, v182, -v108
	s_waitcnt vmcnt(20)
	v_fmac_f32_e32 v144, v138, v188
	v_add_f32_e32 v107, v107, v108
	v_mul_f32_e32 v108, v134, v183
	v_add_f32_e32 v147, v143, v144
	ds_read2_b64 v[143:146], v106 offset0:97 offset1:98
	v_fma_f32 v108, v133, v184, -v108
	s_waitcnt vmcnt(19) lgkmcnt(1)
	v_mul_f32_e32 v148, v139, v189
	v_add_f32_e32 v107, v107, v108
	v_mul_f32_e32 v108, v136, v185
	s_waitcnt vmcnt(18)
	v_fmac_f32_e32 v148, v140, v190
	v_fma_f32 v108, v135, v186, -v108
	v_add_f32_e32 v147, v147, v148
	s_waitcnt vmcnt(17)
	v_mul_f32_e32 v148, v141, v191
	v_add_f32_e32 v107, v107, v108
	v_mul_f32_e32 v108, v138, v187
	s_waitcnt vmcnt(16)
	v_fmac_f32_e32 v148, v142, v192
	v_fma_f32 v108, v137, v188, -v108
	v_add_f32_e32 v147, v147, v148
	s_waitcnt vmcnt(14) lgkmcnt(0)
	v_mul_f32_e32 v148, v143, v194
	v_add_f32_e32 v107, v107, v108
	v_mul_f32_e32 v108, v140, v189
	v_fmac_f32_e32 v148, v144, v193
	v_fma_f32 v108, v139, v190, -v108
	v_add_f32_e32 v151, v147, v148
	ds_read2_b64 v[147:150], v106 offset0:99 offset1:100
	v_add_f32_e32 v107, v107, v108
	v_mul_f32_e32 v108, v142, v191
	v_fma_f32 v108, v141, v192, -v108
	v_add_f32_e32 v107, v107, v108
	v_mul_f32_e32 v108, v144, v194
	s_waitcnt vmcnt(11)
	v_mul_f32_e32 v152, v145, v197
	v_fma_f32 v108, v143, v193, -v108
	s_waitcnt vmcnt(10)
	v_fmac_f32_e32 v152, v146, v198
	v_add_f32_e32 v107, v107, v108
	v_mul_f32_e32 v108, v146, v197
	v_add_f32_e32 v155, v151, v152
	ds_read2_b64 v[151:154], v106 offset0:101 offset1:102
	s_waitcnt vmcnt(8) lgkmcnt(1)
	v_mul_f32_e32 v156, v147, v200
	v_fma_f32 v108, v145, v198, -v108
	v_fmac_f32_e32 v156, v148, v199
	v_add_f32_e32 v107, v107, v108
	v_mul_f32_e32 v108, v148, v200
	v_add_f32_e32 v155, v155, v156
	s_waitcnt vmcnt(6)
	v_mul_f32_e32 v156, v149, v202
	v_fma_f32 v108, v147, v199, -v108
	v_fmac_f32_e32 v156, v150, v201
	v_add_f32_e32 v107, v107, v108
	v_mul_f32_e32 v108, v150, v202
	v_add_f32_e32 v209, v155, v156
	ds_read_b64 v[155:156], v106 offset:824
	v_fma_f32 v108, v149, v201, -v108
	v_add_f32_e32 v107, v107, v108
	s_waitcnt vmcnt(4) lgkmcnt(1)
	v_mul_f32_e32 v108, v152, v204
	v_mul_f32_e32 v210, v151, v204
	v_fma_f32 v108, v151, v203, -v108
	v_fmac_f32_e32 v210, v152, v203
	v_add_f32_e32 v107, v107, v108
	s_waitcnt vmcnt(2)
	v_mul_f32_e32 v108, v154, v206
	v_add_f32_e32 v209, v209, v210
	v_mul_f32_e32 v210, v153, v206
	v_fma_f32 v108, v153, v205, -v108
	v_fmac_f32_e32 v210, v154, v205
	v_add_f32_e32 v107, v107, v108
	s_waitcnt vmcnt(0) lgkmcnt(0)
	v_mul_f32_e32 v108, v156, v208
	v_add_f32_e32 v209, v209, v210
	v_mul_f32_e32 v210, v155, v208
	v_fma_f32 v108, v155, v207, -v108
	v_fmac_f32_e32 v210, v156, v207
	v_add_f32_e32 v107, v107, v108
	v_add_f32_e32 v209, v209, v210
	v_sub_f32_e32 v107, v195, v107
	v_sub_f32_e32 v108, v196, v209
	buffer_store_dword v107, off, s[0:3], 0 offset:208
	buffer_store_dword v108, off, s[0:3], 0 offset:212
	s_and_saveexec_b64 s[4:5], vcc
	s_cbranch_execz .LBB115_275
; %bb.274:
	buffer_load_dword v107, off, s[0:3], 0 offset:200
	buffer_load_dword v108, off, s[0:3], 0 offset:204
	s_waitcnt vmcnt(0)
	ds_write_b64 v105, v[107:108]
	buffer_store_dword v106, off, s[0:3], 0 offset:200
	buffer_store_dword v106, off, s[0:3], 0 offset:204
.LBB115_275:
	s_or_b64 exec, exec, s[4:5]
	s_waitcnt lgkmcnt(0)
	; wave barrier
	buffer_load_dword v159, off, s[0:3], 0 offset:212
	buffer_load_dword v160, off, s[0:3], 0 offset:220
	;; [unrolled: 1-line block ×42, first 2 shown]
	ds_read_b128 v[107:110], v106 offset:624
	ds_read_b128 v[111:114], v106 offset:640
	;; [unrolled: 1-line block ×4, first 2 shown]
	buffer_load_dword v201, off, s[0:3], 0 offset:372
	buffer_load_dword v202, off, s[0:3], 0 offset:368
	buffer_load_dword v203, off, s[0:3], 0 offset:376
	buffer_load_dword v204, off, s[0:3], 0 offset:380
	buffer_load_dword v205, off, s[0:3], 0 offset:384
	buffer_load_dword v206, off, s[0:3], 0 offset:388
	ds_read_b128 v[123:126], v106 offset:688
	ds_read_b128 v[127:130], v106 offset:704
	buffer_load_dword v207, off, s[0:3], 0 offset:392
	buffer_load_dword v208, off, s[0:3], 0 offset:396
	buffer_load_dword v209, off, s[0:3], 0 offset:400
	buffer_load_dword v210, off, s[0:3], 0 offset:404
	buffer_load_dword v211, off, s[0:3], 0 offset:408
	buffer_load_dword v212, off, s[0:3], 0 offset:412
	v_cmp_lt_u32_e32 vcc, 24, v0
	s_waitcnt vmcnt(53) lgkmcnt(5)
	v_mul_f32_e32 v131, v107, v159
	s_waitcnt vmcnt(52)
	v_mul_f32_e32 v132, v109, v160
	s_waitcnt vmcnt(51) lgkmcnt(4)
	v_mul_f32_e32 v133, v111, v161
	s_waitcnt vmcnt(50)
	v_mul_f32_e32 v134, v113, v162
	;; [unrolled: 4-line block ×5, first 2 shown]
	s_waitcnt vmcnt(43)
	v_fmac_f32_e32 v131, v108, v169
	v_mul_f32_e32 v108, v108, v159
	s_waitcnt vmcnt(42)
	v_fmac_f32_e32 v132, v110, v170
	v_add_f32_e32 v131, 0, v131
	v_fma_f32 v107, v107, v169, -v108
	v_mul_f32_e32 v108, v110, v160
	s_waitcnt vmcnt(41)
	v_fmac_f32_e32 v133, v112, v171
	v_add_f32_e32 v131, v131, v132
	v_add_f32_e32 v107, 0, v107
	v_fma_f32 v108, v109, v170, -v108
	s_waitcnt vmcnt(40)
	v_fmac_f32_e32 v134, v114, v172
	v_add_f32_e32 v131, v131, v133
	v_add_f32_e32 v107, v107, v108
	v_mul_f32_e32 v108, v112, v161
	s_waitcnt vmcnt(39)
	v_fmac_f32_e32 v135, v116, v173
	v_add_f32_e32 v131, v131, v134
	v_fma_f32 v108, v111, v171, -v108
	s_waitcnt vmcnt(38)
	v_fmac_f32_e32 v136, v118, v174
	v_add_f32_e32 v131, v131, v135
	v_add_f32_e32 v107, v107, v108
	v_mul_f32_e32 v108, v114, v162
	s_waitcnt vmcnt(37)
	v_fmac_f32_e32 v137, v120, v175
	;; [unrolled: 9-line block ×3, first 2 shown]
	v_add_f32_e32 v131, v131, v138
	v_fma_f32 v108, v115, v173, -v108
	s_waitcnt vmcnt(34)
	v_fmac_f32_e32 v140, v126, v178
	v_add_f32_e32 v131, v131, v139
	s_waitcnt vmcnt(33) lgkmcnt(0)
	v_mul_f32_e32 v132, v127, v179
	v_add_f32_e32 v107, v107, v108
	v_mul_f32_e32 v108, v118, v164
	v_add_f32_e32 v131, v131, v140
	s_waitcnt vmcnt(32)
	v_fmac_f32_e32 v132, v128, v180
	v_fma_f32 v108, v117, v174, -v108
	v_add_f32_e32 v135, v131, v132
	ds_read_b128 v[131:134], v106 offset:720
	v_add_f32_e32 v107, v107, v108
	v_mul_f32_e32 v108, v120, v165
	v_fma_f32 v108, v119, v175, -v108
	s_waitcnt vmcnt(31)
	v_mul_f32_e32 v136, v129, v181
	v_add_f32_e32 v107, v107, v108
	v_mul_f32_e32 v108, v122, v166
	s_waitcnt vmcnt(30)
	v_fmac_f32_e32 v136, v130, v182
	v_fma_f32 v108, v121, v176, -v108
	v_add_f32_e32 v139, v135, v136
	ds_read_b128 v[135:138], v106 offset:736
	v_add_f32_e32 v107, v107, v108
	v_mul_f32_e32 v108, v124, v167
	s_waitcnt vmcnt(29) lgkmcnt(1)
	v_mul_f32_e32 v140, v131, v183
	v_fma_f32 v108, v123, v177, -v108
	s_waitcnt vmcnt(28)
	v_fmac_f32_e32 v140, v132, v184
	v_add_f32_e32 v107, v107, v108
	v_mul_f32_e32 v108, v126, v168
	v_add_f32_e32 v139, v139, v140
	s_waitcnt vmcnt(27)
	v_mul_f32_e32 v140, v133, v185
	v_fma_f32 v108, v125, v178, -v108
	s_waitcnt vmcnt(26)
	v_fmac_f32_e32 v140, v134, v186
	v_add_f32_e32 v107, v107, v108
	v_mul_f32_e32 v108, v128, v179
	v_add_f32_e32 v139, v139, v140
	s_waitcnt vmcnt(25) lgkmcnt(0)
	v_mul_f32_e32 v140, v135, v187
	v_fma_f32 v108, v127, v180, -v108
	s_waitcnt vmcnt(24)
	v_fmac_f32_e32 v140, v136, v188
	v_add_f32_e32 v107, v107, v108
	v_mul_f32_e32 v108, v130, v181
	v_add_f32_e32 v143, v139, v140
	ds_read_b128 v[139:142], v106 offset:752
	v_fma_f32 v108, v129, v182, -v108
	v_add_f32_e32 v107, v107, v108
	v_mul_f32_e32 v108, v132, v183
	s_waitcnt vmcnt(23)
	v_mul_f32_e32 v144, v137, v189
	v_fma_f32 v108, v131, v184, -v108
	s_waitcnt vmcnt(22)
	v_fmac_f32_e32 v144, v138, v190
	v_add_f32_e32 v107, v107, v108
	v_mul_f32_e32 v108, v134, v185
	v_add_f32_e32 v147, v143, v144
	ds_read_b128 v[143:146], v106 offset:768
	v_fma_f32 v108, v133, v186, -v108
	s_waitcnt vmcnt(21) lgkmcnt(1)
	v_mul_f32_e32 v148, v139, v191
	v_add_f32_e32 v107, v107, v108
	v_mul_f32_e32 v108, v136, v187
	s_waitcnt vmcnt(20)
	v_fmac_f32_e32 v148, v140, v192
	v_fma_f32 v108, v135, v188, -v108
	v_add_f32_e32 v147, v147, v148
	s_waitcnt vmcnt(18)
	v_mul_f32_e32 v148, v141, v194
	v_add_f32_e32 v107, v107, v108
	v_mul_f32_e32 v108, v138, v189
	v_fmac_f32_e32 v148, v142, v193
	v_fma_f32 v108, v137, v190, -v108
	v_add_f32_e32 v147, v147, v148
	s_waitcnt vmcnt(15) lgkmcnt(0)
	v_mul_f32_e32 v148, v143, v197
	v_add_f32_e32 v107, v107, v108
	v_mul_f32_e32 v108, v140, v191
	s_waitcnt vmcnt(14)
	v_fmac_f32_e32 v148, v144, v198
	v_fma_f32 v108, v139, v192, -v108
	v_add_f32_e32 v151, v147, v148
	ds_read_b128 v[147:150], v106 offset:784
	v_add_f32_e32 v107, v107, v108
	v_mul_f32_e32 v108, v142, v194
	v_fma_f32 v108, v141, v193, -v108
	v_add_f32_e32 v107, v107, v108
	v_mul_f32_e32 v108, v144, v197
	s_waitcnt vmcnt(12)
	v_mul_f32_e32 v152, v145, v200
	v_fma_f32 v108, v143, v198, -v108
	v_fmac_f32_e32 v152, v146, v199
	v_add_f32_e32 v107, v107, v108
	v_mul_f32_e32 v108, v146, v200
	v_add_f32_e32 v155, v151, v152
	ds_read_b128 v[151:154], v106 offset:800
	s_waitcnt vmcnt(11) lgkmcnt(1)
	v_mul_f32_e32 v156, v147, v201
	v_fma_f32 v108, v145, v199, -v108
	s_waitcnt vmcnt(10)
	v_fmac_f32_e32 v156, v148, v202
	v_add_f32_e32 v107, v107, v108
	v_mul_f32_e32 v108, v148, v201
	v_add_f32_e32 v155, v155, v156
	s_waitcnt vmcnt(8)
	v_mul_f32_e32 v156, v149, v204
	v_fma_f32 v108, v147, v202, -v108
	v_fmac_f32_e32 v156, v150, v203
	v_add_f32_e32 v107, v107, v108
	v_mul_f32_e32 v108, v150, v204
	v_add_f32_e32 v213, v155, v156
	ds_read_b128 v[155:158], v106 offset:816
	v_fma_f32 v108, v149, v203, -v108
	v_add_f32_e32 v107, v107, v108
	s_waitcnt vmcnt(6) lgkmcnt(1)
	v_mul_f32_e32 v108, v152, v206
	v_mul_f32_e32 v214, v151, v206
	v_fma_f32 v108, v151, v205, -v108
	v_fmac_f32_e32 v214, v152, v205
	v_add_f32_e32 v107, v107, v108
	s_waitcnt vmcnt(4)
	v_mul_f32_e32 v108, v154, v208
	v_add_f32_e32 v106, v213, v214
	v_mul_f32_e32 v213, v153, v208
	v_fma_f32 v108, v153, v207, -v108
	v_fmac_f32_e32 v213, v154, v207
	v_add_f32_e32 v107, v107, v108
	s_waitcnt vmcnt(2) lgkmcnt(0)
	v_mul_f32_e32 v108, v156, v210
	v_add_f32_e32 v106, v106, v213
	v_mul_f32_e32 v213, v155, v210
	v_fma_f32 v108, v155, v209, -v108
	v_fmac_f32_e32 v213, v156, v209
	v_add_f32_e32 v107, v107, v108
	s_waitcnt vmcnt(0)
	v_mul_f32_e32 v108, v158, v212
	v_add_f32_e32 v106, v106, v213
	v_mul_f32_e32 v213, v157, v212
	v_fma_f32 v108, v157, v211, -v108
	v_fmac_f32_e32 v213, v158, v211
	v_add_f32_e32 v107, v107, v108
	v_add_f32_e32 v106, v106, v213
	v_sub_f32_e32 v107, v195, v107
	v_sub_f32_e32 v106, v196, v106
	buffer_store_dword v107, off, s[0:3], 0 offset:200
	buffer_store_dword v106, off, s[0:3], 0 offset:204
	s_and_saveexec_b64 s[4:5], vcc
	s_cbranch_execz .LBB115_277
; %bb.276:
	buffer_load_dword v106, off, s[0:3], 0 offset:192
	buffer_load_dword v107, off, s[0:3], 0 offset:196
	v_mov_b32_e32 v108, 0
	buffer_store_dword v108, off, s[0:3], 0 offset:192
	buffer_store_dword v108, off, s[0:3], 0 offset:196
	s_waitcnt vmcnt(2)
	ds_write_b64 v105, v[106:107]
.LBB115_277:
	s_or_b64 exec, exec, s[4:5]
	s_waitcnt lgkmcnt(0)
	; wave barrier
	buffer_load_dword v161, off, s[0:3], 0 offset:204
	buffer_load_dword v162, off, s[0:3], 0 offset:212
	;; [unrolled: 1-line block ×56, first 2 shown]
	v_mov_b32_e32 v106, 0
	ds_read2_b64 v[107:110], v106 offset0:77 offset1:78
	ds_read2_b64 v[111:114], v106 offset0:79 offset1:80
	;; [unrolled: 1-line block ×6, first 2 shown]
	v_cmp_lt_u32_e32 vcc, 23, v0
	s_waitcnt vmcnt(55) lgkmcnt(5)
	v_mul_f32_e32 v131, v107, v161
	s_waitcnt vmcnt(54)
	v_mul_f32_e32 v132, v109, v162
	s_waitcnt vmcnt(53) lgkmcnt(4)
	v_mul_f32_e32 v133, v111, v163
	s_waitcnt vmcnt(52)
	v_mul_f32_e32 v134, v113, v164
	;; [unrolled: 4-line block ×4, first 2 shown]
	s_waitcnt vmcnt(47) lgkmcnt(1)
	v_mul_f32_e32 v139, v123, v169
	s_waitcnt vmcnt(46)
	v_fmac_f32_e32 v131, v108, v170
	s_waitcnt vmcnt(45)
	v_fmac_f32_e32 v132, v110, v171
	v_add_f32_e32 v131, 0, v131
	s_waitcnt vmcnt(44)
	v_fmac_f32_e32 v133, v112, v172
	v_add_f32_e32 v131, v131, v132
	;; [unrolled: 3-line block ×3, first 2 shown]
	v_mul_f32_e32 v108, v108, v161
	s_waitcnt vmcnt(42)
	v_fmac_f32_e32 v135, v116, v174
	v_add_f32_e32 v131, v131, v134
	v_fma_f32 v107, v107, v170, -v108
	v_mul_f32_e32 v108, v110, v162
	s_waitcnt vmcnt(41)
	v_fmac_f32_e32 v136, v118, v175
	v_add_f32_e32 v131, v131, v135
	v_add_f32_e32 v107, 0, v107
	v_fma_f32 v108, v109, v171, -v108
	s_waitcnt vmcnt(40)
	v_fmac_f32_e32 v137, v120, v176
	v_add_f32_e32 v131, v131, v136
	v_add_f32_e32 v107, v107, v108
	v_mul_f32_e32 v108, v112, v163
	s_waitcnt vmcnt(39)
	v_fmac_f32_e32 v138, v122, v177
	v_add_f32_e32 v131, v131, v137
	v_fma_f32 v108, v111, v172, -v108
	v_add_f32_e32 v131, v131, v138
	s_waitcnt vmcnt(38)
	v_fmac_f32_e32 v139, v124, v178
	s_waitcnt vmcnt(37)
	v_mul_f32_e32 v132, v125, v179
	v_add_f32_e32 v107, v107, v108
	v_mul_f32_e32 v108, v114, v164
	v_add_f32_e32 v131, v131, v139
	s_waitcnt vmcnt(36)
	v_fmac_f32_e32 v132, v126, v180
	v_fma_f32 v108, v113, v173, -v108
	v_add_f32_e32 v131, v131, v132
	s_waitcnt vmcnt(35) lgkmcnt(0)
	v_mul_f32_e32 v132, v127, v181
	v_add_f32_e32 v107, v107, v108
	v_mul_f32_e32 v108, v116, v165
	s_waitcnt vmcnt(34)
	v_fmac_f32_e32 v132, v128, v182
	v_fma_f32 v108, v115, v174, -v108
	v_add_f32_e32 v135, v131, v132
	ds_read2_b64 v[131:134], v106 offset0:89 offset1:90
	v_add_f32_e32 v107, v107, v108
	v_mul_f32_e32 v108, v118, v166
	v_fma_f32 v108, v117, v175, -v108
	s_waitcnt vmcnt(33)
	v_mul_f32_e32 v136, v129, v183
	v_add_f32_e32 v107, v107, v108
	v_mul_f32_e32 v108, v120, v167
	s_waitcnt vmcnt(32)
	v_fmac_f32_e32 v136, v130, v184
	v_fma_f32 v108, v119, v176, -v108
	v_add_f32_e32 v139, v135, v136
	ds_read2_b64 v[135:138], v106 offset0:91 offset1:92
	v_add_f32_e32 v107, v107, v108
	v_mul_f32_e32 v108, v122, v168
	s_waitcnt vmcnt(31) lgkmcnt(1)
	v_mul_f32_e32 v140, v131, v185
	v_fma_f32 v108, v121, v177, -v108
	s_waitcnt vmcnt(30)
	v_fmac_f32_e32 v140, v132, v186
	v_add_f32_e32 v107, v107, v108
	v_mul_f32_e32 v108, v124, v169
	v_add_f32_e32 v139, v139, v140
	s_waitcnt vmcnt(29)
	v_mul_f32_e32 v140, v133, v187
	v_fma_f32 v108, v123, v178, -v108
	s_waitcnt vmcnt(28)
	v_fmac_f32_e32 v140, v134, v188
	v_add_f32_e32 v107, v107, v108
	v_mul_f32_e32 v108, v126, v179
	v_add_f32_e32 v139, v139, v140
	s_waitcnt vmcnt(27) lgkmcnt(0)
	v_mul_f32_e32 v140, v135, v189
	v_fma_f32 v108, v125, v180, -v108
	s_waitcnt vmcnt(26)
	v_fmac_f32_e32 v140, v136, v190
	v_add_f32_e32 v107, v107, v108
	v_mul_f32_e32 v108, v128, v181
	v_add_f32_e32 v143, v139, v140
	ds_read2_b64 v[139:142], v106 offset0:93 offset1:94
	v_fma_f32 v108, v127, v182, -v108
	v_add_f32_e32 v107, v107, v108
	v_mul_f32_e32 v108, v130, v183
	s_waitcnt vmcnt(24)
	v_mul_f32_e32 v144, v137, v192
	v_fma_f32 v108, v129, v184, -v108
	v_fmac_f32_e32 v144, v138, v191
	v_add_f32_e32 v107, v107, v108
	v_mul_f32_e32 v108, v132, v185
	v_add_f32_e32 v147, v143, v144
	ds_read2_b64 v[143:146], v106 offset0:95 offset1:96
	v_fma_f32 v108, v131, v186, -v108
	s_waitcnt vmcnt(21) lgkmcnt(1)
	v_mul_f32_e32 v148, v139, v195
	v_add_f32_e32 v107, v107, v108
	v_mul_f32_e32 v108, v134, v187
	s_waitcnt vmcnt(20)
	v_fmac_f32_e32 v148, v140, v196
	v_fma_f32 v108, v133, v188, -v108
	v_add_f32_e32 v147, v147, v148
	s_waitcnt vmcnt(18)
	v_mul_f32_e32 v148, v141, v198
	v_add_f32_e32 v107, v107, v108
	v_mul_f32_e32 v108, v136, v189
	v_fmac_f32_e32 v148, v142, v197
	v_fma_f32 v108, v135, v190, -v108
	v_add_f32_e32 v147, v147, v148
	s_waitcnt vmcnt(16) lgkmcnt(0)
	v_mul_f32_e32 v148, v143, v200
	v_add_f32_e32 v107, v107, v108
	v_mul_f32_e32 v108, v138, v192
	v_fmac_f32_e32 v148, v144, v199
	v_fma_f32 v108, v137, v191, -v108
	v_add_f32_e32 v151, v147, v148
	ds_read2_b64 v[147:150], v106 offset0:97 offset1:98
	v_add_f32_e32 v107, v107, v108
	v_mul_f32_e32 v108, v140, v195
	v_fma_f32 v108, v139, v196, -v108
	s_waitcnt vmcnt(14)
	v_mul_f32_e32 v152, v145, v202
	v_add_f32_e32 v107, v107, v108
	v_mul_f32_e32 v108, v142, v198
	v_fmac_f32_e32 v152, v146, v201
	v_fma_f32 v108, v141, v197, -v108
	v_add_f32_e32 v155, v151, v152
	ds_read2_b64 v[151:154], v106 offset0:99 offset1:100
	v_add_f32_e32 v107, v107, v108
	v_mul_f32_e32 v108, v144, v200
	s_waitcnt vmcnt(12) lgkmcnt(1)
	v_mul_f32_e32 v156, v147, v204
	v_fma_f32 v108, v143, v199, -v108
	v_fmac_f32_e32 v156, v148, v203
	v_add_f32_e32 v107, v107, v108
	v_mul_f32_e32 v108, v146, v202
	v_add_f32_e32 v155, v155, v156
	s_waitcnt vmcnt(10)
	v_mul_f32_e32 v156, v149, v206
	v_fma_f32 v108, v145, v201, -v108
	v_fmac_f32_e32 v156, v150, v205
	v_add_f32_e32 v107, v107, v108
	v_mul_f32_e32 v108, v148, v204
	v_add_f32_e32 v155, v155, v156
	s_waitcnt vmcnt(8) lgkmcnt(0)
	v_mul_f32_e32 v156, v151, v208
	v_fma_f32 v108, v147, v203, -v108
	v_fmac_f32_e32 v156, v152, v207
	v_add_f32_e32 v107, v107, v108
	v_mul_f32_e32 v108, v150, v206
	v_add_f32_e32 v159, v155, v156
	ds_read2_b64 v[155:158], v106 offset0:101 offset1:102
	v_fma_f32 v108, v149, v205, -v108
	v_add_f32_e32 v107, v107, v108
	v_mul_f32_e32 v108, v152, v208
	s_waitcnt vmcnt(6)
	v_mul_f32_e32 v160, v153, v210
	v_fma_f32 v108, v151, v207, -v108
	v_fmac_f32_e32 v160, v154, v209
	v_add_f32_e32 v107, v107, v108
	v_mul_f32_e32 v108, v154, v210
	v_add_f32_e32 v217, v159, v160
	ds_read_b64 v[159:160], v106 offset:824
	v_fma_f32 v108, v153, v209, -v108
	v_add_f32_e32 v107, v107, v108
	s_waitcnt vmcnt(4) lgkmcnt(1)
	v_mul_f32_e32 v108, v156, v212
	v_mul_f32_e32 v218, v155, v212
	v_fma_f32 v108, v155, v211, -v108
	v_fmac_f32_e32 v218, v156, v211
	v_add_f32_e32 v107, v107, v108
	s_waitcnt vmcnt(2)
	v_mul_f32_e32 v108, v158, v214
	v_add_f32_e32 v217, v217, v218
	v_mul_f32_e32 v218, v157, v214
	v_fma_f32 v108, v157, v213, -v108
	v_fmac_f32_e32 v218, v158, v213
	v_add_f32_e32 v107, v107, v108
	s_waitcnt vmcnt(0) lgkmcnt(0)
	v_mul_f32_e32 v108, v160, v216
	v_add_f32_e32 v217, v217, v218
	v_mul_f32_e32 v218, v159, v216
	v_fma_f32 v108, v159, v215, -v108
	v_fmac_f32_e32 v218, v160, v215
	v_add_f32_e32 v107, v107, v108
	v_add_f32_e32 v217, v217, v218
	v_sub_f32_e32 v107, v193, v107
	v_sub_f32_e32 v108, v194, v217
	buffer_store_dword v107, off, s[0:3], 0 offset:192
	buffer_store_dword v108, off, s[0:3], 0 offset:196
	s_and_saveexec_b64 s[4:5], vcc
	s_cbranch_execz .LBB115_279
; %bb.278:
	buffer_load_dword v107, off, s[0:3], 0 offset:184
	buffer_load_dword v108, off, s[0:3], 0 offset:188
	s_waitcnt vmcnt(0)
	ds_write_b64 v105, v[107:108]
	buffer_store_dword v106, off, s[0:3], 0 offset:184
	buffer_store_dword v106, off, s[0:3], 0 offset:188
.LBB115_279:
	s_or_b64 exec, exec, s[4:5]
	s_waitcnt lgkmcnt(0)
	; wave barrier
	buffer_load_dword v163, off, s[0:3], 0 offset:196
	buffer_load_dword v164, off, s[0:3], 0 offset:204
	;; [unrolled: 1-line block ×34, first 2 shown]
	ds_read_b128 v[107:110], v106 offset:608
	ds_read_b128 v[111:114], v106 offset:624
	buffer_load_dword v197, off, s[0:3], 0 offset:324
	buffer_load_dword v198, off, s[0:3], 0 offset:320
	;; [unrolled: 1-line block ×6, first 2 shown]
	ds_read_b128 v[115:118], v106 offset:640
	ds_read_b128 v[119:122], v106 offset:656
	;; [unrolled: 1-line block ×4, first 2 shown]
	buffer_load_dword v203, off, s[0:3], 0 offset:348
	buffer_load_dword v204, off, s[0:3], 0 offset:344
	;; [unrolled: 1-line block ×18, first 2 shown]
	v_cmp_lt_u32_e32 vcc, 22, v0
	s_waitcnt vmcnt(57) lgkmcnt(5)
	v_mul_f32_e32 v131, v107, v163
	s_waitcnt vmcnt(56)
	v_mul_f32_e32 v132, v109, v164
	s_waitcnt vmcnt(55) lgkmcnt(4)
	v_mul_f32_e32 v133, v111, v165
	s_waitcnt vmcnt(54)
	v_mul_f32_e32 v134, v113, v166
	;; [unrolled: 4-line block ×4, first 2 shown]
	s_waitcnt vmcnt(49)
	v_fmac_f32_e32 v131, v108, v171
	s_waitcnt vmcnt(48)
	v_fmac_f32_e32 v132, v110, v172
	v_add_f32_e32 v131, 0, v131
	s_waitcnt vmcnt(47)
	v_fmac_f32_e32 v133, v112, v173
	v_add_f32_e32 v131, v131, v132
	;; [unrolled: 3-line block ×4, first 2 shown]
	v_mul_f32_e32 v108, v108, v163
	s_waitcnt vmcnt(44)
	v_fmac_f32_e32 v136, v118, v176
	v_add_f32_e32 v131, v131, v135
	v_fma_f32 v107, v107, v171, -v108
	v_mul_f32_e32 v108, v110, v164
	s_waitcnt vmcnt(43)
	v_fmac_f32_e32 v137, v120, v177
	v_add_f32_e32 v131, v131, v136
	v_add_f32_e32 v107, 0, v107
	v_fma_f32 v108, v109, v172, -v108
	s_waitcnt vmcnt(42)
	v_fmac_f32_e32 v138, v122, v178
	v_add_f32_e32 v131, v131, v137
	s_waitcnt vmcnt(41) lgkmcnt(1)
	v_mul_f32_e32 v132, v123, v179
	v_add_f32_e32 v107, v107, v108
	v_mul_f32_e32 v108, v112, v165
	v_add_f32_e32 v131, v131, v138
	s_waitcnt vmcnt(40)
	v_fmac_f32_e32 v132, v124, v180
	v_fma_f32 v108, v111, v173, -v108
	v_add_f32_e32 v131, v131, v132
	s_waitcnt vmcnt(39)
	v_mul_f32_e32 v132, v125, v181
	v_add_f32_e32 v107, v107, v108
	v_mul_f32_e32 v108, v114, v166
	s_waitcnt vmcnt(38)
	v_fmac_f32_e32 v132, v126, v182
	v_fma_f32 v108, v113, v174, -v108
	v_add_f32_e32 v131, v131, v132
	s_waitcnt vmcnt(37) lgkmcnt(0)
	v_mul_f32_e32 v132, v127, v183
	v_add_f32_e32 v107, v107, v108
	v_mul_f32_e32 v108, v116, v167
	s_waitcnt vmcnt(36)
	v_fmac_f32_e32 v132, v128, v184
	v_fma_f32 v108, v115, v175, -v108
	v_add_f32_e32 v135, v131, v132
	ds_read_b128 v[131:134], v106 offset:704
	v_add_f32_e32 v107, v107, v108
	v_mul_f32_e32 v108, v118, v168
	v_fma_f32 v108, v117, v176, -v108
	s_waitcnt vmcnt(35)
	v_mul_f32_e32 v136, v129, v185
	v_add_f32_e32 v107, v107, v108
	v_mul_f32_e32 v108, v120, v169
	s_waitcnt vmcnt(34)
	v_fmac_f32_e32 v136, v130, v186
	v_fma_f32 v108, v119, v177, -v108
	v_add_f32_e32 v139, v135, v136
	ds_read_b128 v[135:138], v106 offset:720
	v_add_f32_e32 v107, v107, v108
	v_mul_f32_e32 v108, v122, v170
	s_waitcnt vmcnt(33) lgkmcnt(1)
	v_mul_f32_e32 v140, v131, v187
	v_fma_f32 v108, v121, v178, -v108
	s_waitcnt vmcnt(32)
	v_fmac_f32_e32 v140, v132, v188
	v_add_f32_e32 v107, v107, v108
	v_mul_f32_e32 v108, v124, v179
	v_add_f32_e32 v139, v139, v140
	s_waitcnt vmcnt(31)
	v_mul_f32_e32 v140, v133, v189
	v_fma_f32 v108, v123, v180, -v108
	s_waitcnt vmcnt(30)
	v_fmac_f32_e32 v140, v134, v190
	v_add_f32_e32 v107, v107, v108
	v_mul_f32_e32 v108, v126, v181
	v_add_f32_e32 v139, v139, v140
	s_waitcnt vmcnt(29) lgkmcnt(0)
	v_mul_f32_e32 v140, v135, v191
	v_fma_f32 v108, v125, v182, -v108
	s_waitcnt vmcnt(28)
	v_fmac_f32_e32 v140, v136, v192
	v_add_f32_e32 v107, v107, v108
	v_mul_f32_e32 v108, v128, v183
	v_add_f32_e32 v143, v139, v140
	ds_read_b128 v[139:142], v106 offset:736
	v_fma_f32 v108, v127, v184, -v108
	v_add_f32_e32 v107, v107, v108
	v_mul_f32_e32 v108, v130, v185
	s_waitcnt vmcnt(25)
	v_mul_f32_e32 v144, v137, v195
	v_fma_f32 v108, v129, v186, -v108
	s_waitcnt vmcnt(24)
	v_fmac_f32_e32 v144, v138, v196
	v_add_f32_e32 v107, v107, v108
	v_mul_f32_e32 v108, v132, v187
	v_add_f32_e32 v147, v143, v144
	ds_read_b128 v[143:146], v106 offset:752
	v_fma_f32 v108, v131, v188, -v108
	s_waitcnt vmcnt(23) lgkmcnt(1)
	v_mul_f32_e32 v148, v139, v197
	v_add_f32_e32 v107, v107, v108
	v_mul_f32_e32 v108, v134, v189
	s_waitcnt vmcnt(22)
	v_fmac_f32_e32 v148, v140, v198
	v_fma_f32 v108, v133, v190, -v108
	v_add_f32_e32 v147, v147, v148
	s_waitcnt vmcnt(20)
	v_mul_f32_e32 v148, v141, v200
	v_add_f32_e32 v107, v107, v108
	v_mul_f32_e32 v108, v136, v191
	v_fmac_f32_e32 v148, v142, v199
	v_fma_f32 v108, v135, v192, -v108
	v_add_f32_e32 v147, v147, v148
	s_waitcnt vmcnt(18) lgkmcnt(0)
	v_mul_f32_e32 v148, v143, v202
	v_add_f32_e32 v107, v107, v108
	v_mul_f32_e32 v108, v138, v195
	v_fmac_f32_e32 v148, v144, v201
	v_fma_f32 v108, v137, v196, -v108
	v_add_f32_e32 v151, v147, v148
	ds_read_b128 v[147:150], v106 offset:768
	v_add_f32_e32 v107, v107, v108
	v_mul_f32_e32 v108, v140, v197
	v_fma_f32 v108, v139, v198, -v108
	s_waitcnt vmcnt(17)
	v_mul_f32_e32 v152, v145, v203
	v_add_f32_e32 v107, v107, v108
	v_mul_f32_e32 v108, v142, v200
	s_waitcnt vmcnt(16)
	v_fmac_f32_e32 v152, v146, v204
	v_fma_f32 v108, v141, v199, -v108
	v_add_f32_e32 v155, v151, v152
	ds_read_b128 v[151:154], v106 offset:784
	v_add_f32_e32 v107, v107, v108
	v_mul_f32_e32 v108, v144, v202
	s_waitcnt vmcnt(14) lgkmcnt(1)
	v_mul_f32_e32 v156, v147, v206
	v_fma_f32 v108, v143, v201, -v108
	v_fmac_f32_e32 v156, v148, v205
	v_add_f32_e32 v107, v107, v108
	v_mul_f32_e32 v108, v146, v203
	v_add_f32_e32 v155, v155, v156
	s_waitcnt vmcnt(12)
	v_mul_f32_e32 v156, v149, v208
	v_fma_f32 v108, v145, v204, -v108
	v_fmac_f32_e32 v156, v150, v207
	v_add_f32_e32 v107, v107, v108
	v_mul_f32_e32 v108, v148, v206
	v_add_f32_e32 v155, v155, v156
	s_waitcnt vmcnt(10) lgkmcnt(0)
	v_mul_f32_e32 v156, v151, v210
	v_fma_f32 v108, v147, v205, -v108
	v_fmac_f32_e32 v156, v152, v209
	v_add_f32_e32 v107, v107, v108
	v_mul_f32_e32 v108, v150, v208
	v_add_f32_e32 v159, v155, v156
	ds_read_b128 v[155:158], v106 offset:800
	v_fma_f32 v108, v149, v207, -v108
	v_add_f32_e32 v107, v107, v108
	v_mul_f32_e32 v108, v152, v210
	s_waitcnt vmcnt(8)
	v_mul_f32_e32 v160, v153, v212
	v_fma_f32 v108, v151, v209, -v108
	v_fmac_f32_e32 v160, v154, v211
	v_add_f32_e32 v107, v107, v108
	v_mul_f32_e32 v108, v154, v212
	v_add_f32_e32 v221, v159, v160
	ds_read_b128 v[159:162], v106 offset:816
	v_fma_f32 v108, v153, v211, -v108
	v_add_f32_e32 v107, v107, v108
	s_waitcnt vmcnt(6) lgkmcnt(1)
	v_mul_f32_e32 v108, v156, v214
	v_mul_f32_e32 v106, v155, v214
	v_fma_f32 v108, v155, v213, -v108
	v_fmac_f32_e32 v106, v156, v213
	v_add_f32_e32 v107, v107, v108
	s_waitcnt vmcnt(4)
	v_mul_f32_e32 v108, v158, v216
	v_add_f32_e32 v106, v221, v106
	v_mul_f32_e32 v221, v157, v216
	v_fma_f32 v108, v157, v215, -v108
	v_fmac_f32_e32 v221, v158, v215
	v_add_f32_e32 v107, v107, v108
	s_waitcnt vmcnt(2) lgkmcnt(0)
	v_mul_f32_e32 v108, v160, v218
	v_add_f32_e32 v106, v106, v221
	v_mul_f32_e32 v221, v159, v218
	v_fma_f32 v108, v159, v217, -v108
	v_fmac_f32_e32 v221, v160, v217
	v_add_f32_e32 v107, v107, v108
	s_waitcnt vmcnt(0)
	v_mul_f32_e32 v108, v162, v220
	v_add_f32_e32 v106, v106, v221
	v_mul_f32_e32 v221, v161, v220
	v_fma_f32 v108, v161, v219, -v108
	v_fmac_f32_e32 v221, v162, v219
	v_add_f32_e32 v107, v107, v108
	v_add_f32_e32 v106, v106, v221
	v_sub_f32_e32 v107, v193, v107
	v_sub_f32_e32 v106, v194, v106
	buffer_store_dword v107, off, s[0:3], 0 offset:184
	buffer_store_dword v106, off, s[0:3], 0 offset:188
	s_and_saveexec_b64 s[4:5], vcc
	s_cbranch_execz .LBB115_281
; %bb.280:
	buffer_load_dword v106, off, s[0:3], 0 offset:176
	buffer_load_dword v107, off, s[0:3], 0 offset:180
	v_mov_b32_e32 v108, 0
	buffer_store_dword v108, off, s[0:3], 0 offset:176
	buffer_store_dword v108, off, s[0:3], 0 offset:180
	s_waitcnt vmcnt(2)
	ds_write_b64 v105, v[106:107]
.LBB115_281:
	s_or_b64 exec, exec, s[4:5]
	s_waitcnt lgkmcnt(0)
	; wave barrier
	buffer_load_dword v165, off, s[0:3], 0 offset:188
	buffer_load_dword v166, off, s[0:3], 0 offset:196
	;; [unrolled: 1-line block ×60, first 2 shown]
	v_mov_b32_e32 v106, 0
	ds_read2_b64 v[107:110], v106 offset0:75 offset1:76
	ds_read2_b64 v[111:114], v106 offset0:77 offset1:78
	;; [unrolled: 1-line block ×5, first 2 shown]
	v_cmp_lt_u32_e32 vcc, 21, v0
	s_waitcnt vmcnt(59) lgkmcnt(4)
	v_mul_f32_e32 v127, v107, v165
	s_waitcnt vmcnt(58)
	v_mul_f32_e32 v128, v109, v166
	s_waitcnt vmcnt(57) lgkmcnt(3)
	v_mul_f32_e32 v129, v111, v167
	s_waitcnt vmcnt(56)
	v_mul_f32_e32 v130, v113, v168
	;; [unrolled: 4-line block ×3, first 2 shown]
	s_waitcnt vmcnt(53) lgkmcnt(1)
	v_mul_f32_e32 v133, v119, v171
	s_waitcnt vmcnt(52)
	v_fmac_f32_e32 v127, v108, v172
	s_waitcnt vmcnt(51)
	v_fmac_f32_e32 v128, v110, v173
	v_add_f32_e32 v127, 0, v127
	s_waitcnt vmcnt(50)
	v_fmac_f32_e32 v129, v112, v174
	v_add_f32_e32 v127, v127, v128
	s_waitcnt vmcnt(49)
	v_fmac_f32_e32 v130, v114, v175
	v_add_f32_e32 v127, v127, v129
	s_waitcnt vmcnt(48)
	v_fmac_f32_e32 v131, v116, v176
	v_add_f32_e32 v127, v127, v130
	s_waitcnt vmcnt(47)
	v_fmac_f32_e32 v132, v118, v177
	v_add_f32_e32 v127, v127, v131
	s_waitcnt vmcnt(46)
	v_fmac_f32_e32 v133, v120, v178
	v_add_f32_e32 v127, v127, v132
	s_waitcnt vmcnt(45)
	v_mul_f32_e32 v128, v121, v179
	v_add_f32_e32 v127, v127, v133
	s_waitcnt vmcnt(44)
	v_fmac_f32_e32 v128, v122, v180
	v_mul_f32_e32 v108, v108, v165
	v_add_f32_e32 v131, v127, v128
	ds_read2_b64 v[127:130], v106 offset0:85 offset1:86
	v_fma_f32 v107, v107, v172, -v108
	v_mul_f32_e32 v108, v110, v166
	s_waitcnt vmcnt(43) lgkmcnt(1)
	v_mul_f32_e32 v132, v123, v181
	v_add_f32_e32 v107, 0, v107
	v_fma_f32 v108, v109, v173, -v108
	s_waitcnt vmcnt(42)
	v_fmac_f32_e32 v132, v124, v182
	v_add_f32_e32 v107, v107, v108
	v_mul_f32_e32 v108, v112, v167
	v_add_f32_e32 v131, v131, v132
	s_waitcnt vmcnt(41)
	v_mul_f32_e32 v132, v125, v183
	v_fma_f32 v108, v111, v174, -v108
	s_waitcnt vmcnt(40)
	v_fmac_f32_e32 v132, v126, v184
	v_add_f32_e32 v107, v107, v108
	v_mul_f32_e32 v108, v114, v168
	v_add_f32_e32 v131, v131, v132
	s_waitcnt vmcnt(39) lgkmcnt(0)
	v_mul_f32_e32 v132, v127, v185
	v_fma_f32 v108, v113, v175, -v108
	s_waitcnt vmcnt(38)
	v_fmac_f32_e32 v132, v128, v186
	v_add_f32_e32 v107, v107, v108
	v_mul_f32_e32 v108, v116, v169
	v_add_f32_e32 v135, v131, v132
	ds_read2_b64 v[131:134], v106 offset0:87 offset1:88
	v_fma_f32 v108, v115, v176, -v108
	v_add_f32_e32 v107, v107, v108
	v_mul_f32_e32 v108, v118, v170
	s_waitcnt vmcnt(37)
	v_mul_f32_e32 v136, v129, v187
	v_fma_f32 v108, v117, v177, -v108
	s_waitcnt vmcnt(36)
	v_fmac_f32_e32 v136, v130, v188
	v_add_f32_e32 v107, v107, v108
	v_mul_f32_e32 v108, v120, v171
	v_add_f32_e32 v139, v135, v136
	ds_read2_b64 v[135:138], v106 offset0:89 offset1:90
	v_fma_f32 v108, v119, v178, -v108
	s_waitcnt vmcnt(34) lgkmcnt(1)
	v_mul_f32_e32 v140, v131, v190
	v_add_f32_e32 v107, v107, v108
	v_mul_f32_e32 v108, v122, v179
	v_fmac_f32_e32 v140, v132, v189
	v_fma_f32 v108, v121, v180, -v108
	v_add_f32_e32 v139, v139, v140
	s_waitcnt vmcnt(31)
	v_mul_f32_e32 v140, v133, v193
	v_add_f32_e32 v107, v107, v108
	v_mul_f32_e32 v108, v124, v181
	s_waitcnt vmcnt(30)
	v_fmac_f32_e32 v140, v134, v194
	v_fma_f32 v108, v123, v182, -v108
	v_add_f32_e32 v139, v139, v140
	s_waitcnt vmcnt(28) lgkmcnt(0)
	v_mul_f32_e32 v140, v135, v196
	v_add_f32_e32 v107, v107, v108
	v_mul_f32_e32 v108, v126, v183
	v_fmac_f32_e32 v140, v136, v195
	v_fma_f32 v108, v125, v184, -v108
	v_add_f32_e32 v143, v139, v140
	ds_read2_b64 v[139:142], v106 offset0:91 offset1:92
	v_add_f32_e32 v107, v107, v108
	v_mul_f32_e32 v108, v128, v185
	v_fma_f32 v108, v127, v186, -v108
	s_waitcnt vmcnt(26)
	v_mul_f32_e32 v144, v137, v198
	v_add_f32_e32 v107, v107, v108
	v_mul_f32_e32 v108, v130, v187
	v_fmac_f32_e32 v144, v138, v197
	v_fma_f32 v108, v129, v188, -v108
	v_add_f32_e32 v147, v143, v144
	ds_read2_b64 v[143:146], v106 offset0:93 offset1:94
	v_add_f32_e32 v107, v107, v108
	v_mul_f32_e32 v108, v132, v190
	s_waitcnt vmcnt(24) lgkmcnt(1)
	v_mul_f32_e32 v148, v139, v200
	v_fma_f32 v108, v131, v189, -v108
	v_fmac_f32_e32 v148, v140, v199
	v_add_f32_e32 v107, v107, v108
	v_mul_f32_e32 v108, v134, v193
	v_add_f32_e32 v147, v147, v148
	s_waitcnt vmcnt(22)
	v_mul_f32_e32 v148, v141, v202
	v_fma_f32 v108, v133, v194, -v108
	v_fmac_f32_e32 v148, v142, v201
	v_add_f32_e32 v107, v107, v108
	v_mul_f32_e32 v108, v136, v196
	v_add_f32_e32 v147, v147, v148
	s_waitcnt vmcnt(20) lgkmcnt(0)
	v_mul_f32_e32 v148, v143, v204
	v_fma_f32 v108, v135, v195, -v108
	v_fmac_f32_e32 v148, v144, v203
	v_add_f32_e32 v107, v107, v108
	v_mul_f32_e32 v108, v138, v198
	v_add_f32_e32 v151, v147, v148
	ds_read2_b64 v[147:150], v106 offset0:95 offset1:96
	v_fma_f32 v108, v137, v197, -v108
	v_add_f32_e32 v107, v107, v108
	v_mul_f32_e32 v108, v140, v200
	s_waitcnt vmcnt(18)
	v_mul_f32_e32 v152, v145, v206
	v_fma_f32 v108, v139, v199, -v108
	v_fmac_f32_e32 v152, v146, v205
	v_add_f32_e32 v107, v107, v108
	v_mul_f32_e32 v108, v142, v202
	v_add_f32_e32 v155, v151, v152
	ds_read2_b64 v[151:154], v106 offset0:97 offset1:98
	v_fma_f32 v108, v141, v201, -v108
	s_waitcnt vmcnt(16) lgkmcnt(1)
	v_mul_f32_e32 v156, v147, v208
	v_add_f32_e32 v107, v107, v108
	v_mul_f32_e32 v108, v144, v204
	v_fmac_f32_e32 v156, v148, v207
	v_fma_f32 v108, v143, v203, -v108
	v_add_f32_e32 v155, v155, v156
	s_waitcnt vmcnt(14)
	v_mul_f32_e32 v156, v149, v210
	v_add_f32_e32 v107, v107, v108
	v_mul_f32_e32 v108, v146, v206
	v_fmac_f32_e32 v156, v150, v209
	v_fma_f32 v108, v145, v205, -v108
	v_add_f32_e32 v155, v155, v156
	s_waitcnt vmcnt(12) lgkmcnt(0)
	v_mul_f32_e32 v156, v151, v212
	v_add_f32_e32 v107, v107, v108
	v_mul_f32_e32 v108, v148, v208
	v_fmac_f32_e32 v156, v152, v211
	v_fma_f32 v108, v147, v207, -v108
	v_add_f32_e32 v159, v155, v156
	ds_read2_b64 v[155:158], v106 offset0:99 offset1:100
	v_add_f32_e32 v107, v107, v108
	v_mul_f32_e32 v108, v150, v210
	v_fma_f32 v108, v149, v209, -v108
	v_add_f32_e32 v107, v107, v108
	v_mul_f32_e32 v108, v152, v212
	s_waitcnt vmcnt(10)
	v_mul_f32_e32 v160, v153, v214
	v_fma_f32 v108, v151, v211, -v108
	v_fmac_f32_e32 v160, v154, v213
	v_add_f32_e32 v107, v107, v108
	v_mul_f32_e32 v108, v154, v214
	v_add_f32_e32 v163, v159, v160
	ds_read2_b64 v[159:162], v106 offset0:101 offset1:102
	s_waitcnt vmcnt(8) lgkmcnt(1)
	v_mul_f32_e32 v164, v155, v216
	v_fma_f32 v108, v153, v213, -v108
	v_fmac_f32_e32 v164, v156, v215
	v_add_f32_e32 v107, v107, v108
	v_mul_f32_e32 v108, v156, v216
	v_add_f32_e32 v163, v163, v164
	s_waitcnt vmcnt(6)
	v_mul_f32_e32 v164, v157, v218
	v_fma_f32 v108, v155, v215, -v108
	v_fmac_f32_e32 v164, v158, v217
	v_add_f32_e32 v107, v107, v108
	v_mul_f32_e32 v108, v158, v218
	v_add_f32_e32 v225, v163, v164
	ds_read_b64 v[163:164], v106 offset:824
	v_fma_f32 v108, v157, v217, -v108
	v_add_f32_e32 v107, v107, v108
	s_waitcnt vmcnt(4) lgkmcnt(1)
	v_mul_f32_e32 v108, v160, v220
	v_mul_f32_e32 v226, v159, v220
	v_fma_f32 v108, v159, v219, -v108
	v_fmac_f32_e32 v226, v160, v219
	v_add_f32_e32 v107, v107, v108
	s_waitcnt vmcnt(2)
	v_mul_f32_e32 v108, v162, v222
	v_add_f32_e32 v225, v225, v226
	v_mul_f32_e32 v226, v161, v222
	v_fma_f32 v108, v161, v221, -v108
	v_fmac_f32_e32 v226, v162, v221
	v_add_f32_e32 v107, v107, v108
	s_waitcnt vmcnt(0) lgkmcnt(0)
	v_mul_f32_e32 v108, v164, v224
	v_add_f32_e32 v225, v225, v226
	v_mul_f32_e32 v226, v163, v224
	v_fma_f32 v108, v163, v223, -v108
	v_fmac_f32_e32 v226, v164, v223
	v_add_f32_e32 v107, v107, v108
	v_add_f32_e32 v225, v225, v226
	v_sub_f32_e32 v107, v191, v107
	v_sub_f32_e32 v108, v192, v225
	buffer_store_dword v107, off, s[0:3], 0 offset:176
	buffer_store_dword v108, off, s[0:3], 0 offset:180
	s_and_saveexec_b64 s[4:5], vcc
	s_cbranch_execz .LBB115_283
; %bb.282:
	buffer_load_dword v107, off, s[0:3], 0 offset:168
	buffer_load_dword v108, off, s[0:3], 0 offset:172
	s_waitcnt vmcnt(0)
	ds_write_b64 v105, v[107:108]
	buffer_store_dword v106, off, s[0:3], 0 offset:168
	buffer_store_dword v106, off, s[0:3], 0 offset:172
.LBB115_283:
	s_or_b64 exec, exec, s[4:5]
	s_waitcnt lgkmcnt(0)
	; wave barrier
	buffer_load_dword v167, off, s[0:3], 0 offset:180
	buffer_load_dword v168, off, s[0:3], 0 offset:188
	buffer_load_dword v169, off, s[0:3], 0 offset:196
	buffer_load_dword v170, off, s[0:3], 0 offset:204
	buffer_load_dword v171, off, s[0:3], 0 offset:212
	buffer_load_dword v172, off, s[0:3], 0 offset:220
	buffer_load_dword v173, off, s[0:3], 0 offset:228
	buffer_load_dword v174, off, s[0:3], 0 offset:176
	buffer_load_dword v175, off, s[0:3], 0 offset:184
	buffer_load_dword v176, off, s[0:3], 0 offset:192
	buffer_load_dword v177, off, s[0:3], 0 offset:200
	buffer_load_dword v178, off, s[0:3], 0 offset:208
	buffer_load_dword v179, off, s[0:3], 0 offset:216
	buffer_load_dword v180, off, s[0:3], 0 offset:224
	buffer_load_dword v181, off, s[0:3], 0 offset:236
	buffer_load_dword v182, off, s[0:3], 0 offset:232
	buffer_load_dword v183, off, s[0:3], 0 offset:244
	buffer_load_dword v184, off, s[0:3], 0 offset:240
	buffer_load_dword v185, off, s[0:3], 0 offset:252
	buffer_load_dword v186, off, s[0:3], 0 offset:248
	buffer_load_dword v187, off, s[0:3], 0 offset:260
	buffer_load_dword v188, off, s[0:3], 0 offset:256
	buffer_load_dword v189, off, s[0:3], 0 offset:268
	buffer_load_dword v190, off, s[0:3], 0 offset:264
	buffer_load_dword v191, off, s[0:3], 0 offset:168
	buffer_load_dword v192, off, s[0:3], 0 offset:172
	buffer_load_dword v193, off, s[0:3], 0 offset:276
	buffer_load_dword v194, off, s[0:3], 0 offset:272
	buffer_load_dword v195, off, s[0:3], 0 offset:280
	buffer_load_dword v196, off, s[0:3], 0 offset:284
	buffer_load_dword v197, off, s[0:3], 0 offset:288
	buffer_load_dword v198, off, s[0:3], 0 offset:292
	ds_read_b128 v[107:110], v106 offset:592
	ds_read_b128 v[111:114], v106 offset:608
	;; [unrolled: 1-line block ×4, first 2 shown]
	buffer_load_dword v199, off, s[0:3], 0 offset:300
	buffer_load_dword v200, off, s[0:3], 0 offset:296
	;; [unrolled: 1-line block ×30, first 2 shown]
	v_cmp_lt_u32_e32 vcc, 20, v0
	s_waitcnt vmcnt(61) lgkmcnt(3)
	v_mul_f32_e32 v123, v107, v167
	s_waitcnt vmcnt(60)
	v_mul_f32_e32 v124, v109, v168
	s_waitcnt vmcnt(59) lgkmcnt(2)
	v_mul_f32_e32 v125, v111, v169
	s_waitcnt vmcnt(58)
	v_mul_f32_e32 v126, v113, v170
	;; [unrolled: 4-line block ×3, first 2 shown]
	s_waitcnt vmcnt(55) lgkmcnt(0)
	v_mul_f32_e32 v129, v119, v173
	s_waitcnt vmcnt(54)
	v_fmac_f32_e32 v123, v108, v174
	s_waitcnt vmcnt(53)
	v_fmac_f32_e32 v124, v110, v175
	v_add_f32_e32 v123, 0, v123
	s_waitcnt vmcnt(52)
	v_fmac_f32_e32 v125, v112, v176
	v_add_f32_e32 v123, v123, v124
	;; [unrolled: 3-line block ×6, first 2 shown]
	v_add_f32_e32 v127, v123, v129
	ds_read_b128 v[123:126], v106 offset:656
	s_waitcnt vmcnt(47)
	v_mul_f32_e32 v128, v121, v181
	s_waitcnt vmcnt(46)
	v_fmac_f32_e32 v128, v122, v182
	v_mul_f32_e32 v108, v108, v167
	v_add_f32_e32 v131, v127, v128
	ds_read_b128 v[127:130], v106 offset:672
	v_fma_f32 v107, v107, v174, -v108
	v_mul_f32_e32 v108, v110, v168
	s_waitcnt vmcnt(45) lgkmcnt(1)
	v_mul_f32_e32 v132, v123, v183
	v_add_f32_e32 v107, 0, v107
	v_fma_f32 v108, v109, v175, -v108
	s_waitcnt vmcnt(44)
	v_fmac_f32_e32 v132, v124, v184
	v_add_f32_e32 v107, v107, v108
	v_mul_f32_e32 v108, v112, v169
	v_add_f32_e32 v131, v131, v132
	s_waitcnt vmcnt(43)
	v_mul_f32_e32 v132, v125, v185
	v_fma_f32 v108, v111, v176, -v108
	s_waitcnt vmcnt(42)
	v_fmac_f32_e32 v132, v126, v186
	v_add_f32_e32 v107, v107, v108
	v_mul_f32_e32 v108, v114, v170
	v_add_f32_e32 v131, v131, v132
	s_waitcnt vmcnt(41) lgkmcnt(0)
	v_mul_f32_e32 v132, v127, v187
	v_fma_f32 v108, v113, v177, -v108
	s_waitcnt vmcnt(40)
	v_fmac_f32_e32 v132, v128, v188
	v_add_f32_e32 v107, v107, v108
	v_mul_f32_e32 v108, v116, v171
	v_add_f32_e32 v135, v131, v132
	ds_read_b128 v[131:134], v106 offset:688
	v_fma_f32 v108, v115, v178, -v108
	v_add_f32_e32 v107, v107, v108
	v_mul_f32_e32 v108, v118, v172
	s_waitcnt vmcnt(39)
	v_mul_f32_e32 v136, v129, v189
	v_fma_f32 v108, v117, v179, -v108
	s_waitcnt vmcnt(38)
	v_fmac_f32_e32 v136, v130, v190
	v_add_f32_e32 v107, v107, v108
	v_mul_f32_e32 v108, v120, v173
	v_add_f32_e32 v139, v135, v136
	ds_read_b128 v[135:138], v106 offset:704
	v_fma_f32 v108, v119, v180, -v108
	s_waitcnt vmcnt(35) lgkmcnt(1)
	v_mul_f32_e32 v140, v131, v193
	v_add_f32_e32 v107, v107, v108
	v_mul_f32_e32 v108, v122, v181
	s_waitcnt vmcnt(34)
	v_fmac_f32_e32 v140, v132, v194
	v_fma_f32 v108, v121, v182, -v108
	v_add_f32_e32 v139, v139, v140
	s_waitcnt vmcnt(32)
	v_mul_f32_e32 v140, v133, v196
	v_add_f32_e32 v107, v107, v108
	v_mul_f32_e32 v108, v124, v183
	v_fmac_f32_e32 v140, v134, v195
	v_fma_f32 v108, v123, v184, -v108
	v_add_f32_e32 v139, v139, v140
	s_waitcnt vmcnt(30) lgkmcnt(0)
	v_mul_f32_e32 v140, v135, v198
	v_add_f32_e32 v107, v107, v108
	v_mul_f32_e32 v108, v126, v185
	v_fmac_f32_e32 v140, v136, v197
	v_fma_f32 v108, v125, v186, -v108
	v_add_f32_e32 v143, v139, v140
	ds_read_b128 v[139:142], v106 offset:720
	v_add_f32_e32 v107, v107, v108
	v_mul_f32_e32 v108, v128, v187
	v_fma_f32 v108, v127, v188, -v108
	s_waitcnt vmcnt(29)
	v_mul_f32_e32 v144, v137, v199
	v_add_f32_e32 v107, v107, v108
	v_mul_f32_e32 v108, v130, v189
	s_waitcnt vmcnt(28)
	v_fmac_f32_e32 v144, v138, v200
	v_fma_f32 v108, v129, v190, -v108
	v_add_f32_e32 v147, v143, v144
	ds_read_b128 v[143:146], v106 offset:736
	v_add_f32_e32 v107, v107, v108
	v_mul_f32_e32 v108, v132, v193
	s_waitcnt vmcnt(26) lgkmcnt(1)
	v_mul_f32_e32 v148, v139, v202
	v_fma_f32 v108, v131, v194, -v108
	v_fmac_f32_e32 v148, v140, v201
	v_add_f32_e32 v107, v107, v108
	v_mul_f32_e32 v108, v134, v196
	v_add_f32_e32 v147, v147, v148
	s_waitcnt vmcnt(24)
	v_mul_f32_e32 v148, v141, v204
	v_fma_f32 v108, v133, v195, -v108
	v_fmac_f32_e32 v148, v142, v203
	v_add_f32_e32 v107, v107, v108
	v_mul_f32_e32 v108, v136, v198
	v_add_f32_e32 v147, v147, v148
	s_waitcnt vmcnt(22) lgkmcnt(0)
	v_mul_f32_e32 v148, v143, v206
	v_fma_f32 v108, v135, v197, -v108
	v_fmac_f32_e32 v148, v144, v205
	v_add_f32_e32 v107, v107, v108
	v_mul_f32_e32 v108, v138, v199
	v_add_f32_e32 v151, v147, v148
	ds_read_b128 v[147:150], v106 offset:752
	v_fma_f32 v108, v137, v200, -v108
	v_add_f32_e32 v107, v107, v108
	v_mul_f32_e32 v108, v140, v202
	s_waitcnt vmcnt(20)
	v_mul_f32_e32 v152, v145, v208
	v_fma_f32 v108, v139, v201, -v108
	v_fmac_f32_e32 v152, v146, v207
	v_add_f32_e32 v107, v107, v108
	v_mul_f32_e32 v108, v142, v204
	v_add_f32_e32 v155, v151, v152
	ds_read_b128 v[151:154], v106 offset:768
	v_fma_f32 v108, v141, v203, -v108
	s_waitcnt vmcnt(18) lgkmcnt(1)
	v_mul_f32_e32 v156, v147, v210
	v_add_f32_e32 v107, v107, v108
	v_mul_f32_e32 v108, v144, v206
	v_fmac_f32_e32 v156, v148, v209
	v_fma_f32 v108, v143, v205, -v108
	v_add_f32_e32 v155, v155, v156
	s_waitcnt vmcnt(16)
	v_mul_f32_e32 v156, v149, v212
	v_add_f32_e32 v107, v107, v108
	v_mul_f32_e32 v108, v146, v208
	v_fmac_f32_e32 v156, v150, v211
	v_fma_f32 v108, v145, v207, -v108
	v_add_f32_e32 v155, v155, v156
	s_waitcnt vmcnt(14) lgkmcnt(0)
	v_mul_f32_e32 v156, v151, v214
	v_add_f32_e32 v107, v107, v108
	v_mul_f32_e32 v108, v148, v210
	v_fmac_f32_e32 v156, v152, v213
	v_fma_f32 v108, v147, v209, -v108
	v_add_f32_e32 v159, v155, v156
	ds_read_b128 v[155:158], v106 offset:784
	v_add_f32_e32 v107, v107, v108
	v_mul_f32_e32 v108, v150, v212
	v_fma_f32 v108, v149, v211, -v108
	v_add_f32_e32 v107, v107, v108
	v_mul_f32_e32 v108, v152, v214
	s_waitcnt vmcnt(12)
	v_mul_f32_e32 v160, v153, v216
	v_fma_f32 v108, v151, v213, -v108
	v_fmac_f32_e32 v160, v154, v215
	v_add_f32_e32 v107, v107, v108
	v_mul_f32_e32 v108, v154, v216
	v_add_f32_e32 v163, v159, v160
	ds_read_b128 v[159:162], v106 offset:800
	s_waitcnt vmcnt(10) lgkmcnt(1)
	v_mul_f32_e32 v164, v155, v218
	v_fma_f32 v108, v153, v215, -v108
	v_fmac_f32_e32 v164, v156, v217
	v_add_f32_e32 v107, v107, v108
	v_mul_f32_e32 v108, v156, v218
	v_add_f32_e32 v163, v163, v164
	s_waitcnt vmcnt(8)
	v_mul_f32_e32 v164, v157, v220
	v_fma_f32 v108, v155, v217, -v108
	v_fmac_f32_e32 v164, v158, v219
	v_add_f32_e32 v107, v107, v108
	v_mul_f32_e32 v108, v158, v220
	v_add_f32_e32 v229, v163, v164
	ds_read_b128 v[163:166], v106 offset:816
	v_fma_f32 v108, v157, v219, -v108
	v_add_f32_e32 v107, v107, v108
	s_waitcnt vmcnt(6) lgkmcnt(1)
	v_mul_f32_e32 v108, v160, v222
	v_mul_f32_e32 v230, v159, v222
	v_fma_f32 v108, v159, v221, -v108
	v_fmac_f32_e32 v230, v160, v221
	v_add_f32_e32 v107, v107, v108
	s_waitcnt vmcnt(4)
	v_mul_f32_e32 v108, v162, v224
	v_add_f32_e32 v106, v229, v230
	v_mul_f32_e32 v229, v161, v224
	v_fma_f32 v108, v161, v223, -v108
	v_fmac_f32_e32 v229, v162, v223
	v_add_f32_e32 v107, v107, v108
	s_waitcnt vmcnt(2) lgkmcnt(0)
	v_mul_f32_e32 v108, v164, v226
	v_add_f32_e32 v106, v106, v229
	v_mul_f32_e32 v229, v163, v226
	v_fma_f32 v108, v163, v225, -v108
	v_fmac_f32_e32 v229, v164, v225
	v_add_f32_e32 v107, v107, v108
	s_waitcnt vmcnt(0)
	v_mul_f32_e32 v108, v166, v228
	v_add_f32_e32 v106, v106, v229
	v_mul_f32_e32 v229, v165, v228
	v_fma_f32 v108, v165, v227, -v108
	v_fmac_f32_e32 v229, v166, v227
	v_add_f32_e32 v107, v107, v108
	v_add_f32_e32 v106, v106, v229
	v_sub_f32_e32 v107, v191, v107
	v_sub_f32_e32 v106, v192, v106
	buffer_store_dword v107, off, s[0:3], 0 offset:168
	buffer_store_dword v106, off, s[0:3], 0 offset:172
	s_and_saveexec_b64 s[4:5], vcc
	s_cbranch_execz .LBB115_285
; %bb.284:
	buffer_load_dword v106, off, s[0:3], 0 offset:160
	buffer_load_dword v107, off, s[0:3], 0 offset:164
	v_mov_b32_e32 v108, 0
	buffer_store_dword v108, off, s[0:3], 0 offset:160
	buffer_store_dword v108, off, s[0:3], 0 offset:164
	s_waitcnt vmcnt(2)
	ds_write_b64 v105, v[106:107]
.LBB115_285:
	s_or_b64 exec, exec, s[4:5]
	s_waitcnt lgkmcnt(0)
	; wave barrier
	buffer_load_dword v169, off, s[0:3], 0 offset:172
	buffer_load_dword v170, off, s[0:3], 0 offset:180
	buffer_load_dword v171, off, s[0:3], 0 offset:188
	buffer_load_dword v172, off, s[0:3], 0 offset:196
	buffer_load_dword v173, off, s[0:3], 0 offset:204
	buffer_load_dword v174, off, s[0:3], 0 offset:212
	buffer_load_dword v175, off, s[0:3], 0 offset:220
	buffer_load_dword v176, off, s[0:3], 0 offset:228
	buffer_load_dword v177, off, s[0:3], 0 offset:168
	buffer_load_dword v178, off, s[0:3], 0 offset:176
	buffer_load_dword v179, off, s[0:3], 0 offset:184
	buffer_load_dword v180, off, s[0:3], 0 offset:192
	buffer_load_dword v181, off, s[0:3], 0 offset:200
	buffer_load_dword v182, off, s[0:3], 0 offset:208
	buffer_load_dword v183, off, s[0:3], 0 offset:216
	buffer_load_dword v184, off, s[0:3], 0 offset:224
	buffer_load_dword v185, off, s[0:3], 0 offset:236
	buffer_load_dword v186, off, s[0:3], 0 offset:232
	buffer_load_dword v187, off, s[0:3], 0 offset:244
	buffer_load_dword v188, off, s[0:3], 0 offset:240
	buffer_load_dword v189, off, s[0:3], 0 offset:248
	buffer_load_dword v190, off, s[0:3], 0 offset:252
	buffer_load_dword v191, off, s[0:3], 0 offset:160
	buffer_load_dword v192, off, s[0:3], 0 offset:164
	buffer_load_dword v193, off, s[0:3], 0 offset:260
	buffer_load_dword v194, off, s[0:3], 0 offset:256
	buffer_load_dword v195, off, s[0:3], 0 offset:264
	buffer_load_dword v196, off, s[0:3], 0 offset:268
	buffer_load_dword v197, off, s[0:3], 0 offset:272
	buffer_load_dword v198, off, s[0:3], 0 offset:276
	buffer_load_dword v199, off, s[0:3], 0 offset:280
	buffer_load_dword v200, off, s[0:3], 0 offset:284
	buffer_load_dword v201, off, s[0:3], 0 offset:288
	buffer_load_dword v202, off, s[0:3], 0 offset:292
	buffer_load_dword v203, off, s[0:3], 0 offset:296
	buffer_load_dword v204, off, s[0:3], 0 offset:300
	buffer_load_dword v205, off, s[0:3], 0 offset:304
	buffer_load_dword v206, off, s[0:3], 0 offset:308
	buffer_load_dword v207, off, s[0:3], 0 offset:312
	buffer_load_dword v208, off, s[0:3], 0 offset:316
	buffer_load_dword v209, off, s[0:3], 0 offset:320
	buffer_load_dword v210, off, s[0:3], 0 offset:324
	buffer_load_dword v211, off, s[0:3], 0 offset:328
	buffer_load_dword v212, off, s[0:3], 0 offset:332
	buffer_load_dword v213, off, s[0:3], 0 offset:336
	buffer_load_dword v214, off, s[0:3], 0 offset:340
	buffer_load_dword v215, off, s[0:3], 0 offset:344
	buffer_load_dword v216, off, s[0:3], 0 offset:348
	buffer_load_dword v217, off, s[0:3], 0 offset:352
	buffer_load_dword v218, off, s[0:3], 0 offset:356
	buffer_load_dword v219, off, s[0:3], 0 offset:360
	buffer_load_dword v220, off, s[0:3], 0 offset:364
	buffer_load_dword v221, off, s[0:3], 0 offset:368
	buffer_load_dword v222, off, s[0:3], 0 offset:372
	buffer_load_dword v223, off, s[0:3], 0 offset:376
	buffer_load_dword v224, off, s[0:3], 0 offset:380
	v_mov_b32_e32 v106, 0
	ds_read2_b64 v[107:110], v106 offset0:73 offset1:74
	buffer_load_dword v225, off, s[0:3], 0 offset:384
	buffer_load_dword v226, off, s[0:3], 0 offset:388
	;; [unrolled: 1-line block ×4, first 2 shown]
	ds_read2_b64 v[111:114], v106 offset0:75 offset1:76
	ds_read2_b64 v[115:118], v106 offset0:77 offset1:78
	;; [unrolled: 1-line block ×3, first 2 shown]
	v_cmp_lt_u32_e32 vcc, 19, v0
	s_waitcnt vmcnt(59) lgkmcnt(3)
	v_mul_f32_e32 v123, v107, v169
	s_waitcnt vmcnt(58)
	v_mul_f32_e32 v124, v109, v170
	s_waitcnt vmcnt(57) lgkmcnt(2)
	v_mul_f32_e32 v125, v111, v171
	s_waitcnt vmcnt(56)
	v_mul_f32_e32 v126, v113, v172
	;; [unrolled: 4-line block ×4, first 2 shown]
	s_waitcnt vmcnt(51)
	v_fmac_f32_e32 v123, v108, v177
	s_waitcnt vmcnt(50)
	v_fmac_f32_e32 v124, v110, v178
	v_add_f32_e32 v123, 0, v123
	s_waitcnt vmcnt(49)
	v_fmac_f32_e32 v125, v112, v179
	v_add_f32_e32 v123, v123, v124
	;; [unrolled: 3-line block ×6, first 2 shown]
	v_add_f32_e32 v127, v123, v129
	ds_read2_b64 v[123:126], v106 offset0:81 offset1:82
	buffer_load_dword v229, off, s[0:3], 0 offset:404
	buffer_load_dword v230, off, s[0:3], 0 offset:400
	;; [unrolled: 1-line block ×4, first 2 shown]
	s_waitcnt vmcnt(48)
	v_fmac_f32_e32 v130, v122, v184
	v_add_f32_e32 v131, v127, v130
	ds_read2_b64 v[127:130], v106 offset0:83 offset1:84
	s_waitcnt vmcnt(47) lgkmcnt(1)
	v_mul_f32_e32 v132, v123, v185
	v_mul_f32_e32 v108, v108, v169
	s_waitcnt vmcnt(46)
	v_fmac_f32_e32 v132, v124, v186
	v_fma_f32 v107, v107, v177, -v108
	v_mul_f32_e32 v108, v110, v170
	v_add_f32_e32 v131, v131, v132
	s_waitcnt vmcnt(45)
	v_mul_f32_e32 v132, v125, v187
	v_add_f32_e32 v107, 0, v107
	v_fma_f32 v108, v109, v178, -v108
	s_waitcnt vmcnt(44)
	v_fmac_f32_e32 v132, v126, v188
	v_add_f32_e32 v107, v107, v108
	v_mul_f32_e32 v108, v112, v171
	v_add_f32_e32 v131, v131, v132
	s_waitcnt vmcnt(42) lgkmcnt(0)
	v_mul_f32_e32 v132, v127, v190
	v_fma_f32 v108, v111, v179, -v108
	v_fmac_f32_e32 v132, v128, v189
	v_add_f32_e32 v107, v107, v108
	v_mul_f32_e32 v108, v114, v172
	v_add_f32_e32 v135, v131, v132
	ds_read2_b64 v[131:134], v106 offset0:85 offset1:86
	v_fma_f32 v108, v113, v180, -v108
	v_add_f32_e32 v107, v107, v108
	v_mul_f32_e32 v108, v116, v173
	s_waitcnt vmcnt(39)
	v_mul_f32_e32 v136, v129, v193
	v_fma_f32 v108, v115, v181, -v108
	s_waitcnt vmcnt(38)
	v_fmac_f32_e32 v136, v130, v194
	v_add_f32_e32 v107, v107, v108
	v_mul_f32_e32 v108, v118, v174
	v_add_f32_e32 v139, v135, v136
	ds_read2_b64 v[135:138], v106 offset0:87 offset1:88
	v_fma_f32 v108, v117, v182, -v108
	s_waitcnt vmcnt(36) lgkmcnt(1)
	v_mul_f32_e32 v140, v131, v196
	v_add_f32_e32 v107, v107, v108
	v_mul_f32_e32 v108, v120, v175
	v_fmac_f32_e32 v140, v132, v195
	v_fma_f32 v108, v119, v183, -v108
	v_add_f32_e32 v139, v139, v140
	s_waitcnt vmcnt(34)
	v_mul_f32_e32 v140, v133, v198
	v_add_f32_e32 v107, v107, v108
	v_mul_f32_e32 v108, v122, v176
	v_fmac_f32_e32 v140, v134, v197
	v_fma_f32 v108, v121, v184, -v108
	v_add_f32_e32 v139, v139, v140
	s_waitcnt vmcnt(32) lgkmcnt(0)
	v_mul_f32_e32 v140, v135, v200
	v_add_f32_e32 v107, v107, v108
	v_mul_f32_e32 v108, v124, v185
	v_fmac_f32_e32 v140, v136, v199
	v_fma_f32 v108, v123, v186, -v108
	v_add_f32_e32 v143, v139, v140
	ds_read2_b64 v[139:142], v106 offset0:89 offset1:90
	v_add_f32_e32 v107, v107, v108
	v_mul_f32_e32 v108, v126, v187
	v_fma_f32 v108, v125, v188, -v108
	s_waitcnt vmcnt(30)
	v_mul_f32_e32 v144, v137, v202
	v_add_f32_e32 v107, v107, v108
	v_mul_f32_e32 v108, v128, v190
	v_fmac_f32_e32 v144, v138, v201
	v_fma_f32 v108, v127, v189, -v108
	v_add_f32_e32 v147, v143, v144
	ds_read2_b64 v[143:146], v106 offset0:91 offset1:92
	v_add_f32_e32 v107, v107, v108
	v_mul_f32_e32 v108, v130, v193
	s_waitcnt vmcnt(28) lgkmcnt(1)
	v_mul_f32_e32 v148, v139, v204
	v_fma_f32 v108, v129, v194, -v108
	v_fmac_f32_e32 v148, v140, v203
	v_add_f32_e32 v107, v107, v108
	v_mul_f32_e32 v108, v132, v196
	v_add_f32_e32 v147, v147, v148
	s_waitcnt vmcnt(26)
	v_mul_f32_e32 v148, v141, v206
	v_fma_f32 v108, v131, v195, -v108
	v_fmac_f32_e32 v148, v142, v205
	v_add_f32_e32 v107, v107, v108
	v_mul_f32_e32 v108, v134, v198
	v_add_f32_e32 v147, v147, v148
	s_waitcnt vmcnt(24) lgkmcnt(0)
	v_mul_f32_e32 v148, v143, v208
	v_fma_f32 v108, v133, v197, -v108
	v_fmac_f32_e32 v148, v144, v207
	v_add_f32_e32 v107, v107, v108
	v_mul_f32_e32 v108, v136, v200
	v_add_f32_e32 v151, v147, v148
	ds_read2_b64 v[147:150], v106 offset0:93 offset1:94
	v_fma_f32 v108, v135, v199, -v108
	v_add_f32_e32 v107, v107, v108
	v_mul_f32_e32 v108, v138, v202
	s_waitcnt vmcnt(22)
	v_mul_f32_e32 v152, v145, v210
	v_fma_f32 v108, v137, v201, -v108
	v_fmac_f32_e32 v152, v146, v209
	v_add_f32_e32 v107, v107, v108
	v_mul_f32_e32 v108, v140, v204
	v_add_f32_e32 v155, v151, v152
	ds_read2_b64 v[151:154], v106 offset0:95 offset1:96
	v_fma_f32 v108, v139, v203, -v108
	s_waitcnt vmcnt(20) lgkmcnt(1)
	v_mul_f32_e32 v156, v147, v212
	v_add_f32_e32 v107, v107, v108
	v_mul_f32_e32 v108, v142, v206
	v_fmac_f32_e32 v156, v148, v211
	v_fma_f32 v108, v141, v205, -v108
	v_add_f32_e32 v155, v155, v156
	s_waitcnt vmcnt(18)
	v_mul_f32_e32 v156, v149, v214
	v_add_f32_e32 v107, v107, v108
	v_mul_f32_e32 v108, v144, v208
	v_fmac_f32_e32 v156, v150, v213
	v_fma_f32 v108, v143, v207, -v108
	v_add_f32_e32 v155, v155, v156
	s_waitcnt vmcnt(16) lgkmcnt(0)
	v_mul_f32_e32 v156, v151, v216
	v_add_f32_e32 v107, v107, v108
	v_mul_f32_e32 v108, v146, v210
	v_fmac_f32_e32 v156, v152, v215
	v_fma_f32 v108, v145, v209, -v108
	v_add_f32_e32 v159, v155, v156
	ds_read2_b64 v[155:158], v106 offset0:97 offset1:98
	v_add_f32_e32 v107, v107, v108
	v_mul_f32_e32 v108, v148, v212
	v_fma_f32 v108, v147, v211, -v108
	s_waitcnt vmcnt(14)
	v_mul_f32_e32 v160, v153, v218
	v_add_f32_e32 v107, v107, v108
	v_mul_f32_e32 v108, v150, v214
	v_fmac_f32_e32 v160, v154, v217
	v_fma_f32 v108, v149, v213, -v108
	v_add_f32_e32 v163, v159, v160
	ds_read2_b64 v[159:162], v106 offset0:99 offset1:100
	v_add_f32_e32 v107, v107, v108
	v_mul_f32_e32 v108, v152, v216
	s_waitcnt vmcnt(12) lgkmcnt(1)
	v_mul_f32_e32 v164, v155, v220
	v_fma_f32 v108, v151, v215, -v108
	v_fmac_f32_e32 v164, v156, v219
	v_add_f32_e32 v107, v107, v108
	v_mul_f32_e32 v108, v154, v218
	v_add_f32_e32 v163, v163, v164
	s_waitcnt vmcnt(10)
	v_mul_f32_e32 v164, v157, v222
	v_fma_f32 v108, v153, v217, -v108
	v_fmac_f32_e32 v164, v158, v221
	v_add_f32_e32 v107, v107, v108
	v_mul_f32_e32 v108, v156, v220
	v_add_f32_e32 v163, v163, v164
	s_waitcnt vmcnt(8) lgkmcnt(0)
	v_mul_f32_e32 v164, v159, v224
	v_fma_f32 v108, v155, v219, -v108
	v_fmac_f32_e32 v164, v160, v223
	v_add_f32_e32 v107, v107, v108
	v_mul_f32_e32 v108, v158, v222
	v_add_f32_e32 v167, v163, v164
	ds_read2_b64 v[163:166], v106 offset0:101 offset1:102
	v_fma_f32 v108, v157, v221, -v108
	v_add_f32_e32 v107, v107, v108
	v_mul_f32_e32 v108, v160, v224
	s_waitcnt vmcnt(6)
	v_mul_f32_e32 v168, v161, v226
	v_fma_f32 v108, v159, v223, -v108
	v_fmac_f32_e32 v168, v162, v225
	v_add_f32_e32 v107, v107, v108
	v_mul_f32_e32 v108, v162, v226
	v_add_f32_e32 v233, v167, v168
	ds_read_b64 v[167:168], v106 offset:824
	v_fma_f32 v108, v161, v225, -v108
	v_add_f32_e32 v107, v107, v108
	s_waitcnt vmcnt(4) lgkmcnt(1)
	v_mul_f32_e32 v108, v164, v228
	v_mul_f32_e32 v234, v163, v228
	v_fma_f32 v108, v163, v227, -v108
	v_fmac_f32_e32 v234, v164, v227
	v_add_f32_e32 v107, v107, v108
	s_waitcnt vmcnt(3)
	v_mul_f32_e32 v108, v166, v229
	v_add_f32_e32 v233, v233, v234
	v_mul_f32_e32 v234, v165, v229
	s_waitcnt vmcnt(2)
	v_fma_f32 v108, v165, v230, -v108
	v_fmac_f32_e32 v234, v166, v230
	v_add_f32_e32 v107, v107, v108
	s_waitcnt vmcnt(0) lgkmcnt(0)
	v_mul_f32_e32 v108, v168, v232
	v_add_f32_e32 v233, v233, v234
	v_mul_f32_e32 v234, v167, v232
	v_fma_f32 v108, v167, v231, -v108
	v_fmac_f32_e32 v234, v168, v231
	v_add_f32_e32 v107, v107, v108
	v_add_f32_e32 v233, v233, v234
	v_sub_f32_e32 v107, v191, v107
	v_sub_f32_e32 v108, v192, v233
	buffer_store_dword v107, off, s[0:3], 0 offset:160
	buffer_store_dword v108, off, s[0:3], 0 offset:164
	s_and_saveexec_b64 s[4:5], vcc
	s_cbranch_execz .LBB115_287
; %bb.286:
	buffer_load_dword v107, off, s[0:3], 0 offset:152
	buffer_load_dword v108, off, s[0:3], 0 offset:156
	s_waitcnt vmcnt(0)
	ds_write_b64 v105, v[107:108]
	buffer_store_dword v106, off, s[0:3], 0 offset:152
	buffer_store_dword v106, off, s[0:3], 0 offset:156
.LBB115_287:
	s_or_b64 exec, exec, s[4:5]
	s_waitcnt lgkmcnt(0)
	; wave barrier
	buffer_load_dword v171, off, s[0:3], 0 offset:164
	buffer_load_dword v172, off, s[0:3], 0 offset:172
	buffer_load_dword v173, off, s[0:3], 0 offset:180
	buffer_load_dword v174, off, s[0:3], 0 offset:188
	buffer_load_dword v175, off, s[0:3], 0 offset:196
	buffer_load_dword v176, off, s[0:3], 0 offset:204
	buffer_load_dword v177, off, s[0:3], 0 offset:212
	buffer_load_dword v178, off, s[0:3], 0 offset:220
	buffer_load_dword v179, off, s[0:3], 0 offset:160
	buffer_load_dword v180, off, s[0:3], 0 offset:168
	buffer_load_dword v181, off, s[0:3], 0 offset:176
	buffer_load_dword v182, off, s[0:3], 0 offset:184
	buffer_load_dword v183, off, s[0:3], 0 offset:192
	buffer_load_dword v184, off, s[0:3], 0 offset:200
	buffer_load_dword v185, off, s[0:3], 0 offset:208
	buffer_load_dword v186, off, s[0:3], 0 offset:216
	buffer_load_dword v187, off, s[0:3], 0 offset:228
	buffer_load_dword v188, off, s[0:3], 0 offset:224
	buffer_load_dword v189, off, s[0:3], 0 offset:232
	buffer_load_dword v190, off, s[0:3], 0 offset:236
	buffer_load_dword v191, off, s[0:3], 0 offset:152
	buffer_load_dword v192, off, s[0:3], 0 offset:156
	buffer_load_dword v193, off, s[0:3], 0 offset:244
	buffer_load_dword v194, off, s[0:3], 0 offset:240
	buffer_load_dword v195, off, s[0:3], 0 offset:248
	buffer_load_dword v196, off, s[0:3], 0 offset:252
	ds_read_b128 v[107:110], v106 offset:576
	ds_read_b128 v[111:114], v106 offset:592
	;; [unrolled: 1-line block ×4, first 2 shown]
	buffer_load_dword v197, off, s[0:3], 0 offset:260
	buffer_load_dword v198, off, s[0:3], 0 offset:256
	;; [unrolled: 1-line block ×34, first 2 shown]
	v_cmp_lt_u32_e32 vcc, 18, v0
	s_waitcnt vmcnt(59) lgkmcnt(3)
	v_mul_f32_e32 v123, v107, v171
	s_waitcnt vmcnt(58)
	v_mul_f32_e32 v124, v109, v172
	s_waitcnt vmcnt(57) lgkmcnt(2)
	v_mul_f32_e32 v125, v111, v173
	s_waitcnt vmcnt(56)
	v_mul_f32_e32 v126, v113, v174
	;; [unrolled: 4-line block ×4, first 2 shown]
	s_waitcnt vmcnt(51)
	v_fmac_f32_e32 v123, v108, v179
	s_waitcnt vmcnt(50)
	v_fmac_f32_e32 v124, v110, v180
	v_add_f32_e32 v123, 0, v123
	s_waitcnt vmcnt(49)
	v_fmac_f32_e32 v125, v112, v181
	v_add_f32_e32 v123, v123, v124
	;; [unrolled: 3-line block ×7, first 2 shown]
	v_add_f32_e32 v131, v123, v130
	ds_read_b128 v[123:126], v106 offset:640
	buffer_load_dword v231, off, s[0:3], 0 offset:396
	buffer_load_dword v232, off, s[0:3], 0 offset:392
	;; [unrolled: 1-line block ×4, first 2 shown]
	ds_read_b128 v[127:130], v106 offset:656
	buffer_load_dword v235, off, s[0:3], 0 offset:408
	buffer_load_dword v236, off, s[0:3], 0 offset:412
	v_mul_f32_e32 v108, v108, v171
	s_waitcnt vmcnt(49) lgkmcnt(1)
	v_mul_f32_e32 v132, v123, v187
	s_waitcnt vmcnt(48)
	v_fmac_f32_e32 v132, v124, v188
	v_fma_f32 v107, v107, v179, -v108
	v_mul_f32_e32 v108, v110, v172
	v_add_f32_e32 v131, v131, v132
	s_waitcnt vmcnt(46)
	v_mul_f32_e32 v132, v125, v190
	v_add_f32_e32 v107, 0, v107
	v_fma_f32 v108, v109, v180, -v108
	v_fmac_f32_e32 v132, v126, v189
	v_add_f32_e32 v107, v107, v108
	v_mul_f32_e32 v108, v112, v173
	v_add_f32_e32 v131, v131, v132
	s_waitcnt vmcnt(43) lgkmcnt(0)
	v_mul_f32_e32 v132, v127, v193
	v_fma_f32 v108, v111, v181, -v108
	s_waitcnt vmcnt(42)
	v_fmac_f32_e32 v132, v128, v194
	v_add_f32_e32 v107, v107, v108
	v_mul_f32_e32 v108, v114, v174
	v_add_f32_e32 v135, v131, v132
	ds_read_b128 v[131:134], v106 offset:672
	v_fma_f32 v108, v113, v182, -v108
	v_add_f32_e32 v107, v107, v108
	v_mul_f32_e32 v108, v116, v175
	s_waitcnt vmcnt(40)
	v_mul_f32_e32 v136, v129, v196
	v_fma_f32 v108, v115, v183, -v108
	v_fmac_f32_e32 v136, v130, v195
	v_add_f32_e32 v107, v107, v108
	v_mul_f32_e32 v108, v118, v176
	v_add_f32_e32 v139, v135, v136
	ds_read_b128 v[135:138], v106 offset:688
	v_fma_f32 v108, v117, v184, -v108
	s_waitcnt vmcnt(39) lgkmcnt(1)
	v_mul_f32_e32 v140, v131, v197
	v_add_f32_e32 v107, v107, v108
	v_mul_f32_e32 v108, v120, v177
	s_waitcnt vmcnt(38)
	v_fmac_f32_e32 v140, v132, v198
	v_fma_f32 v108, v119, v185, -v108
	v_add_f32_e32 v139, v139, v140
	s_waitcnt vmcnt(36)
	v_mul_f32_e32 v140, v133, v200
	v_add_f32_e32 v107, v107, v108
	v_mul_f32_e32 v108, v122, v178
	v_fmac_f32_e32 v140, v134, v199
	v_fma_f32 v108, v121, v186, -v108
	v_add_f32_e32 v139, v139, v140
	s_waitcnt vmcnt(34) lgkmcnt(0)
	v_mul_f32_e32 v140, v135, v202
	v_add_f32_e32 v107, v107, v108
	v_mul_f32_e32 v108, v124, v187
	v_fmac_f32_e32 v140, v136, v201
	v_fma_f32 v108, v123, v188, -v108
	v_add_f32_e32 v143, v139, v140
	ds_read_b128 v[139:142], v106 offset:704
	v_add_f32_e32 v107, v107, v108
	v_mul_f32_e32 v108, v126, v190
	v_fma_f32 v108, v125, v189, -v108
	s_waitcnt vmcnt(32)
	v_mul_f32_e32 v144, v137, v204
	v_add_f32_e32 v107, v107, v108
	v_mul_f32_e32 v108, v128, v193
	v_fmac_f32_e32 v144, v138, v203
	v_fma_f32 v108, v127, v194, -v108
	v_add_f32_e32 v147, v143, v144
	ds_read_b128 v[143:146], v106 offset:720
	v_add_f32_e32 v107, v107, v108
	v_mul_f32_e32 v108, v130, v196
	s_waitcnt vmcnt(30) lgkmcnt(1)
	v_mul_f32_e32 v148, v139, v206
	v_fma_f32 v108, v129, v195, -v108
	v_fmac_f32_e32 v148, v140, v205
	v_add_f32_e32 v107, v107, v108
	v_mul_f32_e32 v108, v132, v197
	v_add_f32_e32 v147, v147, v148
	s_waitcnt vmcnt(28)
	v_mul_f32_e32 v148, v141, v208
	v_fma_f32 v108, v131, v198, -v108
	v_fmac_f32_e32 v148, v142, v207
	v_add_f32_e32 v107, v107, v108
	v_mul_f32_e32 v108, v134, v200
	v_add_f32_e32 v147, v147, v148
	s_waitcnt vmcnt(26) lgkmcnt(0)
	v_mul_f32_e32 v148, v143, v210
	v_fma_f32 v108, v133, v199, -v108
	v_fmac_f32_e32 v148, v144, v209
	v_add_f32_e32 v107, v107, v108
	v_mul_f32_e32 v108, v136, v202
	v_add_f32_e32 v151, v147, v148
	ds_read_b128 v[147:150], v106 offset:736
	v_fma_f32 v108, v135, v201, -v108
	v_add_f32_e32 v107, v107, v108
	v_mul_f32_e32 v108, v138, v204
	s_waitcnt vmcnt(24)
	v_mul_f32_e32 v152, v145, v212
	v_fma_f32 v108, v137, v203, -v108
	v_fmac_f32_e32 v152, v146, v211
	v_add_f32_e32 v107, v107, v108
	v_mul_f32_e32 v108, v140, v206
	v_add_f32_e32 v155, v151, v152
	ds_read_b128 v[151:154], v106 offset:752
	v_fma_f32 v108, v139, v205, -v108
	s_waitcnt vmcnt(22) lgkmcnt(1)
	v_mul_f32_e32 v156, v147, v214
	v_add_f32_e32 v107, v107, v108
	v_mul_f32_e32 v108, v142, v208
	v_fmac_f32_e32 v156, v148, v213
	v_fma_f32 v108, v141, v207, -v108
	v_add_f32_e32 v155, v155, v156
	s_waitcnt vmcnt(20)
	v_mul_f32_e32 v156, v149, v216
	v_add_f32_e32 v107, v107, v108
	v_mul_f32_e32 v108, v144, v210
	v_fmac_f32_e32 v156, v150, v215
	v_fma_f32 v108, v143, v209, -v108
	v_add_f32_e32 v155, v155, v156
	s_waitcnt vmcnt(18) lgkmcnt(0)
	v_mul_f32_e32 v156, v151, v218
	v_add_f32_e32 v107, v107, v108
	v_mul_f32_e32 v108, v146, v212
	v_fmac_f32_e32 v156, v152, v217
	v_fma_f32 v108, v145, v211, -v108
	v_add_f32_e32 v159, v155, v156
	ds_read_b128 v[155:158], v106 offset:768
	v_add_f32_e32 v107, v107, v108
	v_mul_f32_e32 v108, v148, v214
	v_fma_f32 v108, v147, v213, -v108
	s_waitcnt vmcnt(16)
	v_mul_f32_e32 v160, v153, v220
	v_add_f32_e32 v107, v107, v108
	v_mul_f32_e32 v108, v150, v216
	v_fmac_f32_e32 v160, v154, v219
	v_fma_f32 v108, v149, v215, -v108
	v_add_f32_e32 v163, v159, v160
	ds_read_b128 v[159:162], v106 offset:784
	v_add_f32_e32 v107, v107, v108
	v_mul_f32_e32 v108, v152, v218
	s_waitcnt vmcnt(14) lgkmcnt(1)
	v_mul_f32_e32 v164, v155, v222
	v_fma_f32 v108, v151, v217, -v108
	v_fmac_f32_e32 v164, v156, v221
	v_add_f32_e32 v107, v107, v108
	v_mul_f32_e32 v108, v154, v220
	v_add_f32_e32 v163, v163, v164
	s_waitcnt vmcnt(12)
	v_mul_f32_e32 v164, v157, v224
	v_fma_f32 v108, v153, v219, -v108
	v_fmac_f32_e32 v164, v158, v223
	v_add_f32_e32 v107, v107, v108
	v_mul_f32_e32 v108, v156, v222
	v_add_f32_e32 v163, v163, v164
	s_waitcnt vmcnt(10) lgkmcnt(0)
	v_mul_f32_e32 v164, v159, v226
	v_fma_f32 v108, v155, v221, -v108
	v_fmac_f32_e32 v164, v160, v225
	v_add_f32_e32 v107, v107, v108
	v_mul_f32_e32 v108, v158, v224
	v_add_f32_e32 v167, v163, v164
	ds_read_b128 v[163:166], v106 offset:800
	v_fma_f32 v108, v157, v223, -v108
	v_add_f32_e32 v107, v107, v108
	v_mul_f32_e32 v108, v160, v226
	s_waitcnt vmcnt(8)
	v_mul_f32_e32 v168, v161, v228
	v_fma_f32 v108, v159, v225, -v108
	v_fmac_f32_e32 v168, v162, v227
	v_add_f32_e32 v107, v107, v108
	v_mul_f32_e32 v108, v162, v228
	v_add_f32_e32 v237, v167, v168
	ds_read_b128 v[167:170], v106 offset:816
	v_fma_f32 v108, v161, v227, -v108
	v_add_f32_e32 v107, v107, v108
	s_waitcnt vmcnt(6) lgkmcnt(1)
	v_mul_f32_e32 v108, v164, v230
	v_mul_f32_e32 v106, v163, v230
	v_fma_f32 v108, v163, v229, -v108
	v_fmac_f32_e32 v106, v164, v229
	v_add_f32_e32 v107, v107, v108
	s_waitcnt vmcnt(5)
	v_mul_f32_e32 v108, v166, v231
	v_add_f32_e32 v106, v237, v106
	v_mul_f32_e32 v237, v165, v231
	s_waitcnt vmcnt(4)
	v_fma_f32 v108, v165, v232, -v108
	v_fmac_f32_e32 v237, v166, v232
	v_add_f32_e32 v107, v107, v108
	s_waitcnt vmcnt(2) lgkmcnt(0)
	v_mul_f32_e32 v108, v168, v234
	v_add_f32_e32 v106, v106, v237
	v_mul_f32_e32 v237, v167, v234
	v_fma_f32 v108, v167, v233, -v108
	v_fmac_f32_e32 v237, v168, v233
	v_add_f32_e32 v107, v107, v108
	s_waitcnt vmcnt(0)
	v_mul_f32_e32 v108, v170, v236
	v_add_f32_e32 v106, v106, v237
	v_mul_f32_e32 v237, v169, v236
	v_fma_f32 v108, v169, v235, -v108
	v_fmac_f32_e32 v237, v170, v235
	v_add_f32_e32 v107, v107, v108
	v_add_f32_e32 v106, v106, v237
	v_sub_f32_e32 v107, v191, v107
	v_sub_f32_e32 v106, v192, v106
	buffer_store_dword v107, off, s[0:3], 0 offset:152
	buffer_store_dword v106, off, s[0:3], 0 offset:156
	s_and_saveexec_b64 s[4:5], vcc
	s_cbranch_execz .LBB115_289
; %bb.288:
	buffer_load_dword v106, off, s[0:3], 0 offset:144
	buffer_load_dword v107, off, s[0:3], 0 offset:148
	v_mov_b32_e32 v108, 0
	buffer_store_dword v108, off, s[0:3], 0 offset:144
	buffer_store_dword v108, off, s[0:3], 0 offset:148
	s_waitcnt vmcnt(2)
	ds_write_b64 v105, v[106:107]
.LBB115_289:
	s_or_b64 exec, exec, s[4:5]
	s_waitcnt lgkmcnt(0)
	; wave barrier
	buffer_load_dword v173, off, s[0:3], 0 offset:156
	buffer_load_dword v174, off, s[0:3], 0 offset:164
	;; [unrolled: 1-line block ×58, first 2 shown]
	v_mov_b32_e32 v106, 0
	ds_read2_b64 v[107:110], v106 offset0:71 offset1:72
	ds_read2_b64 v[111:114], v106 offset0:73 offset1:74
	;; [unrolled: 1-line block ×5, first 2 shown]
	buffer_load_dword v231, off, s[0:3], 0 offset:376
	buffer_load_dword v232, off, s[0:3], 0 offset:380
	v_cmp_lt_u32_e32 vcc, 17, v0
	s_waitcnt vmcnt(59) lgkmcnt(4)
	v_mul_f32_e32 v127, v107, v173
	s_waitcnt vmcnt(58)
	v_mul_f32_e32 v128, v109, v174
	s_waitcnt vmcnt(57) lgkmcnt(3)
	v_mul_f32_e32 v129, v111, v175
	s_waitcnt vmcnt(56)
	v_mul_f32_e32 v130, v113, v176
	;; [unrolled: 4-line block ×4, first 2 shown]
	s_waitcnt vmcnt(51)
	v_fmac_f32_e32 v127, v108, v181
	s_waitcnt vmcnt(50)
	v_fmac_f32_e32 v128, v110, v182
	v_add_f32_e32 v127, 0, v127
	s_waitcnt vmcnt(49)
	v_fmac_f32_e32 v129, v112, v183
	v_add_f32_e32 v127, v127, v128
	;; [unrolled: 3-line block ×7, first 2 shown]
	v_add_f32_e32 v131, v127, v134
	ds_read2_b64 v[127:130], v106 offset0:81 offset1:82
	buffer_load_dword v233, off, s[0:3], 0 offset:388
	buffer_load_dword v234, off, s[0:3], 0 offset:384
	;; [unrolled: 1-line block ×8, first 2 shown]
	s_waitcnt vmcnt(51) lgkmcnt(1)
	v_mul_f32_e32 v132, v123, v189
	s_waitcnt vmcnt(50)
	v_fmac_f32_e32 v132, v124, v190
	v_mul_f32_e32 v108, v108, v173
	v_add_f32_e32 v131, v131, v132
	s_waitcnt vmcnt(49)
	v_mul_f32_e32 v132, v125, v191
	v_fma_f32 v107, v107, v181, -v108
	v_mul_f32_e32 v108, v110, v174
	s_waitcnt vmcnt(46)
	v_fmac_f32_e32 v132, v126, v194
	v_add_f32_e32 v107, 0, v107
	v_fma_f32 v108, v109, v182, -v108
	v_add_f32_e32 v131, v131, v132
	s_waitcnt vmcnt(44) lgkmcnt(0)
	v_mul_f32_e32 v132, v127, v196
	v_add_f32_e32 v107, v107, v108
	v_mul_f32_e32 v108, v112, v175
	v_fmac_f32_e32 v132, v128, v195
	v_fma_f32 v108, v111, v183, -v108
	v_add_f32_e32 v135, v131, v132
	ds_read2_b64 v[131:134], v106 offset0:83 offset1:84
	v_add_f32_e32 v107, v107, v108
	v_mul_f32_e32 v108, v114, v176
	v_fma_f32 v108, v113, v184, -v108
	s_waitcnt vmcnt(42)
	v_mul_f32_e32 v136, v129, v198
	v_add_f32_e32 v107, v107, v108
	v_mul_f32_e32 v108, v116, v177
	v_fmac_f32_e32 v136, v130, v197
	v_fma_f32 v108, v115, v185, -v108
	v_add_f32_e32 v139, v135, v136
	ds_read2_b64 v[135:138], v106 offset0:85 offset1:86
	v_add_f32_e32 v107, v107, v108
	v_mul_f32_e32 v108, v118, v178
	s_waitcnt vmcnt(40) lgkmcnt(1)
	v_mul_f32_e32 v140, v131, v200
	v_fma_f32 v108, v117, v186, -v108
	v_fmac_f32_e32 v140, v132, v199
	v_add_f32_e32 v107, v107, v108
	v_mul_f32_e32 v108, v120, v179
	v_add_f32_e32 v139, v139, v140
	s_waitcnt vmcnt(38)
	v_mul_f32_e32 v140, v133, v202
	v_fma_f32 v108, v119, v187, -v108
	v_fmac_f32_e32 v140, v134, v201
	v_add_f32_e32 v107, v107, v108
	v_mul_f32_e32 v108, v122, v180
	v_add_f32_e32 v139, v139, v140
	s_waitcnt vmcnt(36) lgkmcnt(0)
	v_mul_f32_e32 v140, v135, v204
	v_fma_f32 v108, v121, v188, -v108
	v_fmac_f32_e32 v140, v136, v203
	v_add_f32_e32 v107, v107, v108
	v_mul_f32_e32 v108, v124, v189
	v_add_f32_e32 v143, v139, v140
	ds_read2_b64 v[139:142], v106 offset0:87 offset1:88
	v_fma_f32 v108, v123, v190, -v108
	v_add_f32_e32 v107, v107, v108
	v_mul_f32_e32 v108, v126, v191
	s_waitcnt vmcnt(34)
	v_mul_f32_e32 v144, v137, v206
	v_fma_f32 v108, v125, v194, -v108
	v_fmac_f32_e32 v144, v138, v205
	v_add_f32_e32 v107, v107, v108
	v_mul_f32_e32 v108, v128, v196
	v_add_f32_e32 v147, v143, v144
	ds_read2_b64 v[143:146], v106 offset0:89 offset1:90
	v_fma_f32 v108, v127, v195, -v108
	s_waitcnt vmcnt(32) lgkmcnt(1)
	v_mul_f32_e32 v148, v139, v208
	v_add_f32_e32 v107, v107, v108
	v_mul_f32_e32 v108, v130, v198
	v_fmac_f32_e32 v148, v140, v207
	v_fma_f32 v108, v129, v197, -v108
	v_add_f32_e32 v147, v147, v148
	s_waitcnt vmcnt(30)
	v_mul_f32_e32 v148, v141, v210
	v_add_f32_e32 v107, v107, v108
	v_mul_f32_e32 v108, v132, v200
	v_fmac_f32_e32 v148, v142, v209
	v_fma_f32 v108, v131, v199, -v108
	v_add_f32_e32 v147, v147, v148
	s_waitcnt vmcnt(28) lgkmcnt(0)
	v_mul_f32_e32 v148, v143, v212
	v_add_f32_e32 v107, v107, v108
	v_mul_f32_e32 v108, v134, v202
	v_fmac_f32_e32 v148, v144, v211
	v_fma_f32 v108, v133, v201, -v108
	v_add_f32_e32 v151, v147, v148
	ds_read2_b64 v[147:150], v106 offset0:91 offset1:92
	v_add_f32_e32 v107, v107, v108
	v_mul_f32_e32 v108, v136, v204
	v_fma_f32 v108, v135, v203, -v108
	s_waitcnt vmcnt(26)
	v_mul_f32_e32 v152, v145, v214
	v_add_f32_e32 v107, v107, v108
	v_mul_f32_e32 v108, v138, v206
	v_fmac_f32_e32 v152, v146, v213
	v_fma_f32 v108, v137, v205, -v108
	v_add_f32_e32 v155, v151, v152
	ds_read2_b64 v[151:154], v106 offset0:93 offset1:94
	v_add_f32_e32 v107, v107, v108
	v_mul_f32_e32 v108, v140, v208
	s_waitcnt vmcnt(24) lgkmcnt(1)
	v_mul_f32_e32 v156, v147, v216
	v_fma_f32 v108, v139, v207, -v108
	v_fmac_f32_e32 v156, v148, v215
	v_add_f32_e32 v107, v107, v108
	v_mul_f32_e32 v108, v142, v210
	v_add_f32_e32 v155, v155, v156
	s_waitcnt vmcnt(22)
	v_mul_f32_e32 v156, v149, v218
	v_fma_f32 v108, v141, v209, -v108
	v_fmac_f32_e32 v156, v150, v217
	v_add_f32_e32 v107, v107, v108
	v_mul_f32_e32 v108, v144, v212
	v_add_f32_e32 v155, v155, v156
	s_waitcnt vmcnt(20) lgkmcnt(0)
	v_mul_f32_e32 v156, v151, v220
	v_fma_f32 v108, v143, v211, -v108
	v_fmac_f32_e32 v156, v152, v219
	v_add_f32_e32 v107, v107, v108
	v_mul_f32_e32 v108, v146, v214
	v_add_f32_e32 v159, v155, v156
	ds_read2_b64 v[155:158], v106 offset0:95 offset1:96
	v_fma_f32 v108, v145, v213, -v108
	v_add_f32_e32 v107, v107, v108
	v_mul_f32_e32 v108, v148, v216
	s_waitcnt vmcnt(18)
	v_mul_f32_e32 v160, v153, v222
	v_fma_f32 v108, v147, v215, -v108
	v_fmac_f32_e32 v160, v154, v221
	v_add_f32_e32 v107, v107, v108
	v_mul_f32_e32 v108, v150, v218
	v_add_f32_e32 v163, v159, v160
	ds_read2_b64 v[159:162], v106 offset0:97 offset1:98
	v_fma_f32 v108, v149, v217, -v108
	s_waitcnt vmcnt(16) lgkmcnt(1)
	v_mul_f32_e32 v164, v155, v224
	v_add_f32_e32 v107, v107, v108
	v_mul_f32_e32 v108, v152, v220
	v_fmac_f32_e32 v164, v156, v223
	v_fma_f32 v108, v151, v219, -v108
	v_add_f32_e32 v163, v163, v164
	s_waitcnt vmcnt(14)
	v_mul_f32_e32 v164, v157, v226
	v_add_f32_e32 v107, v107, v108
	v_mul_f32_e32 v108, v154, v222
	v_fmac_f32_e32 v164, v158, v225
	v_fma_f32 v108, v153, v221, -v108
	v_add_f32_e32 v163, v163, v164
	s_waitcnt vmcnt(12) lgkmcnt(0)
	v_mul_f32_e32 v164, v159, v228
	v_add_f32_e32 v107, v107, v108
	v_mul_f32_e32 v108, v156, v224
	v_fmac_f32_e32 v164, v160, v227
	v_fma_f32 v108, v155, v223, -v108
	v_add_f32_e32 v167, v163, v164
	ds_read2_b64 v[163:166], v106 offset0:99 offset1:100
	v_add_f32_e32 v107, v107, v108
	v_mul_f32_e32 v108, v158, v226
	v_fma_f32 v108, v157, v225, -v108
	v_add_f32_e32 v107, v107, v108
	v_mul_f32_e32 v108, v160, v228
	s_waitcnt vmcnt(10)
	v_mul_f32_e32 v168, v161, v230
	v_fma_f32 v108, v159, v227, -v108
	v_fmac_f32_e32 v168, v162, v229
	v_add_f32_e32 v107, v107, v108
	v_mul_f32_e32 v108, v162, v230
	v_add_f32_e32 v171, v167, v168
	ds_read2_b64 v[167:170], v106 offset0:101 offset1:102
	s_waitcnt vmcnt(8) lgkmcnt(1)
	v_mul_f32_e32 v172, v163, v232
	v_fma_f32 v108, v161, v229, -v108
	v_fmac_f32_e32 v172, v164, v231
	v_add_f32_e32 v107, v107, v108
	v_mul_f32_e32 v108, v164, v232
	v_add_f32_e32 v171, v171, v172
	s_waitcnt vmcnt(7)
	v_mul_f32_e32 v172, v165, v233
	v_fma_f32 v108, v163, v231, -v108
	s_waitcnt vmcnt(6)
	v_fmac_f32_e32 v172, v166, v234
	v_add_f32_e32 v107, v107, v108
	v_mul_f32_e32 v108, v166, v233
	v_add_f32_e32 v241, v171, v172
	ds_read_b64 v[171:172], v106 offset:824
	v_fma_f32 v108, v165, v234, -v108
	v_add_f32_e32 v107, v107, v108
	s_waitcnt vmcnt(4) lgkmcnt(1)
	v_mul_f32_e32 v108, v168, v236
	v_mul_f32_e32 v242, v167, v236
	v_fma_f32 v108, v167, v235, -v108
	v_fmac_f32_e32 v242, v168, v235
	v_add_f32_e32 v107, v107, v108
	s_waitcnt vmcnt(3)
	v_mul_f32_e32 v108, v170, v237
	v_add_f32_e32 v241, v241, v242
	v_mul_f32_e32 v242, v169, v237
	s_waitcnt vmcnt(2)
	v_fma_f32 v108, v169, v238, -v108
	v_fmac_f32_e32 v242, v170, v238
	v_add_f32_e32 v107, v107, v108
	s_waitcnt vmcnt(0) lgkmcnt(0)
	v_mul_f32_e32 v108, v172, v240
	v_add_f32_e32 v241, v241, v242
	v_mul_f32_e32 v242, v171, v240
	v_fma_f32 v108, v171, v239, -v108
	v_fmac_f32_e32 v242, v172, v239
	v_add_f32_e32 v107, v107, v108
	v_add_f32_e32 v241, v241, v242
	v_sub_f32_e32 v107, v192, v107
	v_sub_f32_e32 v108, v193, v241
	buffer_store_dword v107, off, s[0:3], 0 offset:144
	buffer_store_dword v108, off, s[0:3], 0 offset:148
	s_and_saveexec_b64 s[4:5], vcc
	s_cbranch_execz .LBB115_291
; %bb.290:
	buffer_load_dword v107, off, s[0:3], 0 offset:136
	buffer_load_dword v108, off, s[0:3], 0 offset:140
	s_waitcnt vmcnt(0)
	ds_write_b64 v105, v[107:108]
	buffer_store_dword v106, off, s[0:3], 0 offset:136
	buffer_store_dword v106, off, s[0:3], 0 offset:140
.LBB115_291:
	s_or_b64 exec, exec, s[4:5]
	s_waitcnt lgkmcnt(0)
	; wave barrier
	buffer_load_dword v175, off, s[0:3], 0 offset:148
	buffer_load_dword v176, off, s[0:3], 0 offset:156
	;; [unrolled: 1-line block ×24, first 2 shown]
	ds_read_b128 v[107:110], v106 offset:560
	ds_read_b128 v[111:114], v106 offset:576
	;; [unrolled: 1-line block ×6, first 2 shown]
	buffer_load_dword v199, off, s[0:3], 0 offset:236
	buffer_load_dword v200, off, s[0:3], 0 offset:232
	;; [unrolled: 1-line block ×46, first 2 shown]
	v_cmp_lt_u32_e32 vcc, 16, v0
	s_waitcnt vmcnt(62) lgkmcnt(5)
	v_mul_f32_e32 v131, v107, v175
	v_mul_f32_e32 v132, v109, v176
	s_waitcnt lgkmcnt(4)
	v_mul_f32_e32 v133, v111, v177
	v_mul_f32_e32 v134, v113, v178
	s_waitcnt lgkmcnt(3)
	;; [unrolled: 3-line block ×3, first 2 shown]
	v_mul_f32_e32 v137, v119, v181
	v_mul_f32_e32 v138, v121, v182
	s_waitcnt vmcnt(61)
	v_fmac_f32_e32 v131, v108, v183
	s_waitcnt vmcnt(60)
	v_fmac_f32_e32 v132, v110, v184
	v_add_f32_e32 v131, 0, v131
	s_waitcnt vmcnt(59)
	v_fmac_f32_e32 v133, v112, v185
	v_add_f32_e32 v131, v131, v132
	;; [unrolled: 3-line block ×7, first 2 shown]
	s_waitcnt vmcnt(53) lgkmcnt(1)
	v_mul_f32_e32 v132, v123, v191
	v_add_f32_e32 v131, v131, v138
	s_waitcnt vmcnt(52)
	v_fmac_f32_e32 v132, v124, v192
	v_mul_f32_e32 v108, v108, v175
	v_add_f32_e32 v131, v131, v132
	s_waitcnt vmcnt(51)
	v_mul_f32_e32 v132, v125, v193
	v_fma_f32 v107, v107, v183, -v108
	v_mul_f32_e32 v108, v110, v176
	s_waitcnt vmcnt(50)
	v_fmac_f32_e32 v132, v126, v194
	v_add_f32_e32 v107, 0, v107
	v_fma_f32 v108, v109, v184, -v108
	v_add_f32_e32 v131, v131, v132
	s_waitcnt vmcnt(47) lgkmcnt(0)
	v_mul_f32_e32 v132, v127, v197
	v_add_f32_e32 v107, v107, v108
	v_mul_f32_e32 v108, v112, v177
	s_waitcnt vmcnt(46)
	v_fmac_f32_e32 v132, v128, v198
	v_fma_f32 v108, v111, v185, -v108
	v_add_f32_e32 v135, v131, v132
	ds_read_b128 v[131:134], v106 offset:656
	v_add_f32_e32 v107, v107, v108
	v_mul_f32_e32 v108, v114, v178
	v_fma_f32 v108, v113, v186, -v108
	s_waitcnt vmcnt(45)
	v_mul_f32_e32 v136, v129, v199
	v_add_f32_e32 v107, v107, v108
	v_mul_f32_e32 v108, v116, v179
	s_waitcnt vmcnt(44)
	v_fmac_f32_e32 v136, v130, v200
	v_fma_f32 v108, v115, v187, -v108
	v_add_f32_e32 v139, v135, v136
	ds_read_b128 v[135:138], v106 offset:672
	v_add_f32_e32 v107, v107, v108
	v_mul_f32_e32 v108, v118, v180
	s_waitcnt vmcnt(42) lgkmcnt(1)
	v_mul_f32_e32 v140, v131, v202
	v_fma_f32 v108, v117, v188, -v108
	v_fmac_f32_e32 v140, v132, v201
	v_add_f32_e32 v107, v107, v108
	v_mul_f32_e32 v108, v120, v181
	v_add_f32_e32 v139, v139, v140
	s_waitcnt vmcnt(40)
	v_mul_f32_e32 v140, v133, v204
	v_fma_f32 v108, v119, v189, -v108
	v_fmac_f32_e32 v140, v134, v203
	v_add_f32_e32 v107, v107, v108
	v_mul_f32_e32 v108, v122, v182
	v_add_f32_e32 v139, v139, v140
	s_waitcnt vmcnt(38) lgkmcnt(0)
	v_mul_f32_e32 v140, v135, v206
	v_fma_f32 v108, v121, v190, -v108
	v_fmac_f32_e32 v140, v136, v205
	v_add_f32_e32 v107, v107, v108
	v_mul_f32_e32 v108, v124, v191
	v_add_f32_e32 v143, v139, v140
	ds_read_b128 v[139:142], v106 offset:688
	v_fma_f32 v108, v123, v192, -v108
	v_add_f32_e32 v107, v107, v108
	v_mul_f32_e32 v108, v126, v193
	s_waitcnt vmcnt(36)
	v_mul_f32_e32 v144, v137, v208
	v_fma_f32 v108, v125, v194, -v108
	v_fmac_f32_e32 v144, v138, v207
	v_add_f32_e32 v107, v107, v108
	v_mul_f32_e32 v108, v128, v197
	v_add_f32_e32 v147, v143, v144
	ds_read_b128 v[143:146], v106 offset:704
	v_fma_f32 v108, v127, v198, -v108
	s_waitcnt vmcnt(34) lgkmcnt(1)
	v_mul_f32_e32 v148, v139, v210
	v_add_f32_e32 v107, v107, v108
	v_mul_f32_e32 v108, v130, v199
	v_fmac_f32_e32 v148, v140, v209
	v_fma_f32 v108, v129, v200, -v108
	v_add_f32_e32 v147, v147, v148
	s_waitcnt vmcnt(32)
	v_mul_f32_e32 v148, v141, v212
	v_add_f32_e32 v107, v107, v108
	v_mul_f32_e32 v108, v132, v202
	v_fmac_f32_e32 v148, v142, v211
	v_fma_f32 v108, v131, v201, -v108
	v_add_f32_e32 v147, v147, v148
	s_waitcnt vmcnt(30) lgkmcnt(0)
	v_mul_f32_e32 v148, v143, v214
	v_add_f32_e32 v107, v107, v108
	v_mul_f32_e32 v108, v134, v204
	v_fmac_f32_e32 v148, v144, v213
	v_fma_f32 v108, v133, v203, -v108
	v_add_f32_e32 v151, v147, v148
	ds_read_b128 v[147:150], v106 offset:720
	v_add_f32_e32 v107, v107, v108
	v_mul_f32_e32 v108, v136, v206
	v_fma_f32 v108, v135, v205, -v108
	s_waitcnt vmcnt(28)
	v_mul_f32_e32 v152, v145, v216
	v_add_f32_e32 v107, v107, v108
	v_mul_f32_e32 v108, v138, v208
	v_fmac_f32_e32 v152, v146, v215
	v_fma_f32 v108, v137, v207, -v108
	v_add_f32_e32 v155, v151, v152
	ds_read_b128 v[151:154], v106 offset:736
	v_add_f32_e32 v107, v107, v108
	v_mul_f32_e32 v108, v140, v210
	s_waitcnt vmcnt(26) lgkmcnt(1)
	v_mul_f32_e32 v156, v147, v218
	v_fma_f32 v108, v139, v209, -v108
	v_fmac_f32_e32 v156, v148, v217
	v_add_f32_e32 v107, v107, v108
	v_mul_f32_e32 v108, v142, v212
	v_add_f32_e32 v155, v155, v156
	s_waitcnt vmcnt(24)
	v_mul_f32_e32 v156, v149, v220
	v_fma_f32 v108, v141, v211, -v108
	v_fmac_f32_e32 v156, v150, v219
	v_add_f32_e32 v107, v107, v108
	v_mul_f32_e32 v108, v144, v214
	v_add_f32_e32 v155, v155, v156
	s_waitcnt vmcnt(22) lgkmcnt(0)
	v_mul_f32_e32 v156, v151, v222
	v_fma_f32 v108, v143, v213, -v108
	v_fmac_f32_e32 v156, v152, v221
	v_add_f32_e32 v107, v107, v108
	v_mul_f32_e32 v108, v146, v216
	v_add_f32_e32 v159, v155, v156
	ds_read_b128 v[155:158], v106 offset:752
	v_fma_f32 v108, v145, v215, -v108
	v_add_f32_e32 v107, v107, v108
	v_mul_f32_e32 v108, v148, v218
	s_waitcnt vmcnt(20)
	v_mul_f32_e32 v160, v153, v224
	v_fma_f32 v108, v147, v217, -v108
	v_fmac_f32_e32 v160, v154, v223
	v_add_f32_e32 v107, v107, v108
	v_mul_f32_e32 v108, v150, v220
	v_add_f32_e32 v163, v159, v160
	ds_read_b128 v[159:162], v106 offset:768
	v_fma_f32 v108, v149, v219, -v108
	s_waitcnt vmcnt(18) lgkmcnt(1)
	v_mul_f32_e32 v164, v155, v226
	v_add_f32_e32 v107, v107, v108
	v_mul_f32_e32 v108, v152, v222
	v_fmac_f32_e32 v164, v156, v225
	v_fma_f32 v108, v151, v221, -v108
	v_add_f32_e32 v163, v163, v164
	s_waitcnt vmcnt(16)
	v_mul_f32_e32 v164, v157, v228
	v_add_f32_e32 v107, v107, v108
	v_mul_f32_e32 v108, v154, v224
	v_fmac_f32_e32 v164, v158, v227
	v_fma_f32 v108, v153, v223, -v108
	v_add_f32_e32 v163, v163, v164
	s_waitcnt vmcnt(14) lgkmcnt(0)
	v_mul_f32_e32 v164, v159, v230
	v_add_f32_e32 v107, v107, v108
	v_mul_f32_e32 v108, v156, v226
	v_fmac_f32_e32 v164, v160, v229
	v_fma_f32 v108, v155, v225, -v108
	v_add_f32_e32 v167, v163, v164
	ds_read_b128 v[163:166], v106 offset:784
	v_add_f32_e32 v107, v107, v108
	v_mul_f32_e32 v108, v158, v228
	v_fma_f32 v108, v157, v227, -v108
	v_add_f32_e32 v107, v107, v108
	v_mul_f32_e32 v108, v160, v230
	s_waitcnt vmcnt(12)
	v_mul_f32_e32 v168, v161, v232
	v_fma_f32 v108, v159, v229, -v108
	v_fmac_f32_e32 v168, v162, v231
	v_add_f32_e32 v107, v107, v108
	v_mul_f32_e32 v108, v162, v232
	v_add_f32_e32 v171, v167, v168
	ds_read_b128 v[167:170], v106 offset:800
	s_waitcnt vmcnt(10) lgkmcnt(1)
	v_mul_f32_e32 v172, v163, v234
	v_fma_f32 v108, v161, v231, -v108
	v_fmac_f32_e32 v172, v164, v233
	v_add_f32_e32 v107, v107, v108
	v_mul_f32_e32 v108, v164, v234
	v_add_f32_e32 v171, v171, v172
	s_waitcnt vmcnt(9)
	v_mul_f32_e32 v172, v165, v235
	v_fma_f32 v108, v163, v233, -v108
	s_waitcnt vmcnt(8)
	v_fmac_f32_e32 v172, v166, v236
	v_add_f32_e32 v107, v107, v108
	v_mul_f32_e32 v108, v166, v235
	v_add_f32_e32 v245, v171, v172
	ds_read_b128 v[171:174], v106 offset:816
	v_fma_f32 v108, v165, v236, -v108
	v_add_f32_e32 v107, v107, v108
	s_waitcnt vmcnt(6) lgkmcnt(1)
	v_mul_f32_e32 v108, v168, v238
	v_mul_f32_e32 v246, v167, v238
	v_fma_f32 v108, v167, v237, -v108
	v_fmac_f32_e32 v246, v168, v237
	v_add_f32_e32 v107, v107, v108
	s_waitcnt vmcnt(4)
	v_mul_f32_e32 v108, v170, v240
	v_add_f32_e32 v106, v245, v246
	v_mul_f32_e32 v245, v169, v240
	v_fma_f32 v108, v169, v239, -v108
	v_fmac_f32_e32 v245, v170, v239
	v_add_f32_e32 v107, v107, v108
	s_waitcnt vmcnt(3) lgkmcnt(0)
	v_mul_f32_e32 v108, v172, v241
	v_add_f32_e32 v106, v106, v245
	v_mul_f32_e32 v245, v171, v241
	s_waitcnt vmcnt(2)
	v_fma_f32 v108, v171, v242, -v108
	v_fmac_f32_e32 v245, v172, v242
	v_add_f32_e32 v107, v107, v108
	s_waitcnt vmcnt(0)
	v_mul_f32_e32 v108, v174, v244
	v_add_f32_e32 v106, v106, v245
	v_mul_f32_e32 v245, v173, v244
	v_fma_f32 v108, v173, v243, -v108
	v_fmac_f32_e32 v245, v174, v243
	v_add_f32_e32 v107, v107, v108
	v_add_f32_e32 v106, v106, v245
	v_sub_f32_e32 v107, v195, v107
	v_sub_f32_e32 v106, v196, v106
	buffer_store_dword v107, off, s[0:3], 0 offset:136
	buffer_store_dword v106, off, s[0:3], 0 offset:140
	s_and_saveexec_b64 s[4:5], vcc
	s_cbranch_execz .LBB115_293
; %bb.292:
	buffer_load_dword v106, off, s[0:3], 0 offset:128
	buffer_load_dword v107, off, s[0:3], 0 offset:132
	v_mov_b32_e32 v108, 0
	buffer_store_dword v108, off, s[0:3], 0 offset:128
	buffer_store_dword v108, off, s[0:3], 0 offset:132
	s_waitcnt vmcnt(2)
	ds_write_b64 v105, v[106:107]
.LBB115_293:
	s_or_b64 exec, exec, s[4:5]
	s_waitcnt lgkmcnt(0)
	; wave barrier
	buffer_load_dword v177, off, s[0:3], 0 offset:140
	buffer_load_dword v178, off, s[0:3], 0 offset:148
	;; [unrolled: 1-line block ×56, first 2 shown]
	v_mov_b32_e32 v106, 0
	ds_read2_b64 v[107:110], v106 offset0:69 offset1:70
	ds_read2_b64 v[111:114], v106 offset0:71 offset1:72
	;; [unrolled: 1-line block ×6, first 2 shown]
	buffer_load_dword v233, off, s[0:3], 0 offset:352
	buffer_load_dword v234, off, s[0:3], 0 offset:356
	;; [unrolled: 1-line block ×12, first 2 shown]
	v_cmp_lt_u32_e32 vcc, 15, v0
	s_waitcnt vmcnt(62) lgkmcnt(5)
	v_mul_f32_e32 v131, v107, v177
	v_mul_f32_e32 v132, v109, v178
	s_waitcnt lgkmcnt(4)
	v_mul_f32_e32 v133, v111, v179
	v_mul_f32_e32 v134, v113, v180
	s_waitcnt lgkmcnt(3)
	v_mul_f32_e32 v135, v115, v181
	v_mul_f32_e32 v136, v117, v182
	s_waitcnt vmcnt(61) lgkmcnt(2)
	v_mul_f32_e32 v137, v119, v183
	s_waitcnt vmcnt(60)
	v_mul_f32_e32 v138, v121, v184
	s_waitcnt vmcnt(59) lgkmcnt(1)
	v_mul_f32_e32 v139, v123, v185
	s_waitcnt vmcnt(58)
	v_fmac_f32_e32 v131, v108, v186
	s_waitcnt vmcnt(57)
	v_fmac_f32_e32 v132, v110, v187
	v_add_f32_e32 v131, 0, v131
	s_waitcnt vmcnt(56)
	v_fmac_f32_e32 v133, v112, v188
	v_add_f32_e32 v131, v131, v132
	;; [unrolled: 3-line block ×7, first 2 shown]
	v_add_f32_e32 v131, v131, v138
	s_waitcnt vmcnt(50)
	v_fmac_f32_e32 v139, v124, v194
	s_waitcnt vmcnt(49)
	v_mul_f32_e32 v132, v125, v195
	v_add_f32_e32 v131, v131, v139
	s_waitcnt vmcnt(48)
	v_fmac_f32_e32 v132, v126, v196
	v_add_f32_e32 v131, v131, v132
	s_waitcnt vmcnt(47) lgkmcnt(0)
	v_mul_f32_e32 v132, v127, v197
	s_waitcnt vmcnt(44)
	v_fmac_f32_e32 v132, v128, v200
	v_add_f32_e32 v135, v131, v132
	ds_read2_b64 v[131:134], v106 offset0:81 offset1:82
	buffer_load_dword v245, off, s[0:3], 0 offset:404
	buffer_load_dword v246, off, s[0:3], 0 offset:400
	;; [unrolled: 1-line block ×4, first 2 shown]
	v_mul_f32_e32 v108, v108, v177
	v_fma_f32 v107, v107, v186, -v108
	v_mul_f32_e32 v108, v110, v178
	v_add_f32_e32 v107, 0, v107
	v_fma_f32 v108, v109, v187, -v108
	v_add_f32_e32 v107, v107, v108
	v_mul_f32_e32 v108, v112, v179
	v_fma_f32 v108, v111, v188, -v108
	s_waitcnt vmcnt(46)
	v_mul_f32_e32 v136, v129, v202
	v_add_f32_e32 v107, v107, v108
	v_mul_f32_e32 v108, v114, v180
	v_fmac_f32_e32 v136, v130, v201
	v_fma_f32 v108, v113, v189, -v108
	v_add_f32_e32 v139, v135, v136
	ds_read2_b64 v[135:138], v106 offset0:83 offset1:84
	v_add_f32_e32 v107, v107, v108
	v_mul_f32_e32 v108, v116, v181
	s_waitcnt vmcnt(44) lgkmcnt(1)
	v_mul_f32_e32 v140, v131, v204
	v_fma_f32 v108, v115, v190, -v108
	v_fmac_f32_e32 v140, v132, v203
	v_add_f32_e32 v107, v107, v108
	v_mul_f32_e32 v108, v118, v182
	v_add_f32_e32 v139, v139, v140
	s_waitcnt vmcnt(42)
	v_mul_f32_e32 v140, v133, v206
	v_fma_f32 v108, v117, v191, -v108
	v_fmac_f32_e32 v140, v134, v205
	v_add_f32_e32 v107, v107, v108
	v_mul_f32_e32 v108, v120, v183
	v_add_f32_e32 v139, v139, v140
	s_waitcnt vmcnt(40) lgkmcnt(0)
	v_mul_f32_e32 v140, v135, v208
	v_fma_f32 v108, v119, v192, -v108
	v_fmac_f32_e32 v140, v136, v207
	v_add_f32_e32 v107, v107, v108
	v_mul_f32_e32 v108, v122, v184
	v_add_f32_e32 v143, v139, v140
	ds_read2_b64 v[139:142], v106 offset0:85 offset1:86
	v_fma_f32 v108, v121, v193, -v108
	v_add_f32_e32 v107, v107, v108
	v_mul_f32_e32 v108, v124, v185
	s_waitcnt vmcnt(38)
	v_mul_f32_e32 v144, v137, v210
	v_fma_f32 v108, v123, v194, -v108
	v_fmac_f32_e32 v144, v138, v209
	v_add_f32_e32 v107, v107, v108
	v_mul_f32_e32 v108, v126, v195
	v_add_f32_e32 v147, v143, v144
	ds_read2_b64 v[143:146], v106 offset0:87 offset1:88
	v_fma_f32 v108, v125, v196, -v108
	s_waitcnt vmcnt(36) lgkmcnt(1)
	v_mul_f32_e32 v148, v139, v212
	v_add_f32_e32 v107, v107, v108
	v_mul_f32_e32 v108, v128, v197
	v_fmac_f32_e32 v148, v140, v211
	v_fma_f32 v108, v127, v200, -v108
	v_add_f32_e32 v147, v147, v148
	s_waitcnt vmcnt(34)
	v_mul_f32_e32 v148, v141, v214
	v_add_f32_e32 v107, v107, v108
	v_mul_f32_e32 v108, v130, v202
	v_fmac_f32_e32 v148, v142, v213
	v_fma_f32 v108, v129, v201, -v108
	v_add_f32_e32 v147, v147, v148
	s_waitcnt vmcnt(32) lgkmcnt(0)
	v_mul_f32_e32 v148, v143, v216
	v_add_f32_e32 v107, v107, v108
	v_mul_f32_e32 v108, v132, v204
	v_fmac_f32_e32 v148, v144, v215
	v_fma_f32 v108, v131, v203, -v108
	v_add_f32_e32 v151, v147, v148
	ds_read2_b64 v[147:150], v106 offset0:89 offset1:90
	v_add_f32_e32 v107, v107, v108
	v_mul_f32_e32 v108, v134, v206
	v_fma_f32 v108, v133, v205, -v108
	s_waitcnt vmcnt(30)
	v_mul_f32_e32 v152, v145, v218
	v_add_f32_e32 v107, v107, v108
	v_mul_f32_e32 v108, v136, v208
	v_fmac_f32_e32 v152, v146, v217
	v_fma_f32 v108, v135, v207, -v108
	v_add_f32_e32 v155, v151, v152
	ds_read2_b64 v[151:154], v106 offset0:91 offset1:92
	v_add_f32_e32 v107, v107, v108
	v_mul_f32_e32 v108, v138, v210
	s_waitcnt vmcnt(28) lgkmcnt(1)
	v_mul_f32_e32 v156, v147, v220
	v_fma_f32 v108, v137, v209, -v108
	v_fmac_f32_e32 v156, v148, v219
	v_add_f32_e32 v107, v107, v108
	v_mul_f32_e32 v108, v140, v212
	v_add_f32_e32 v155, v155, v156
	s_waitcnt vmcnt(26)
	v_mul_f32_e32 v156, v149, v222
	v_fma_f32 v108, v139, v211, -v108
	v_fmac_f32_e32 v156, v150, v221
	v_add_f32_e32 v107, v107, v108
	v_mul_f32_e32 v108, v142, v214
	v_add_f32_e32 v155, v155, v156
	s_waitcnt vmcnt(24) lgkmcnt(0)
	v_mul_f32_e32 v156, v151, v224
	v_fma_f32 v108, v141, v213, -v108
	v_fmac_f32_e32 v156, v152, v223
	v_add_f32_e32 v107, v107, v108
	v_mul_f32_e32 v108, v144, v216
	v_add_f32_e32 v159, v155, v156
	ds_read2_b64 v[155:158], v106 offset0:93 offset1:94
	v_fma_f32 v108, v143, v215, -v108
	v_add_f32_e32 v107, v107, v108
	v_mul_f32_e32 v108, v146, v218
	s_waitcnt vmcnt(22)
	v_mul_f32_e32 v160, v153, v226
	v_fma_f32 v108, v145, v217, -v108
	v_fmac_f32_e32 v160, v154, v225
	v_add_f32_e32 v107, v107, v108
	v_mul_f32_e32 v108, v148, v220
	v_add_f32_e32 v163, v159, v160
	ds_read2_b64 v[159:162], v106 offset0:95 offset1:96
	v_fma_f32 v108, v147, v219, -v108
	s_waitcnt vmcnt(20) lgkmcnt(1)
	v_mul_f32_e32 v164, v155, v228
	v_add_f32_e32 v107, v107, v108
	v_mul_f32_e32 v108, v150, v222
	v_fmac_f32_e32 v164, v156, v227
	v_fma_f32 v108, v149, v221, -v108
	v_add_f32_e32 v163, v163, v164
	s_waitcnt vmcnt(18)
	v_mul_f32_e32 v164, v157, v230
	v_add_f32_e32 v107, v107, v108
	v_mul_f32_e32 v108, v152, v224
	v_fmac_f32_e32 v164, v158, v229
	v_fma_f32 v108, v151, v223, -v108
	v_add_f32_e32 v163, v163, v164
	s_waitcnt vmcnt(16) lgkmcnt(0)
	v_mul_f32_e32 v164, v159, v232
	v_add_f32_e32 v107, v107, v108
	v_mul_f32_e32 v108, v154, v226
	v_fmac_f32_e32 v164, v160, v231
	v_fma_f32 v108, v153, v225, -v108
	v_add_f32_e32 v167, v163, v164
	ds_read2_b64 v[163:166], v106 offset0:97 offset1:98
	v_add_f32_e32 v107, v107, v108
	v_mul_f32_e32 v108, v156, v228
	v_fma_f32 v108, v155, v227, -v108
	s_waitcnt vmcnt(14)
	v_mul_f32_e32 v168, v161, v234
	v_add_f32_e32 v107, v107, v108
	v_mul_f32_e32 v108, v158, v230
	v_fmac_f32_e32 v168, v162, v233
	v_fma_f32 v108, v157, v229, -v108
	v_add_f32_e32 v171, v167, v168
	ds_read2_b64 v[167:170], v106 offset0:99 offset1:100
	v_add_f32_e32 v107, v107, v108
	v_mul_f32_e32 v108, v160, v232
	s_waitcnt vmcnt(12) lgkmcnt(1)
	v_mul_f32_e32 v172, v163, v236
	v_fma_f32 v108, v159, v231, -v108
	v_fmac_f32_e32 v172, v164, v235
	v_add_f32_e32 v107, v107, v108
	v_mul_f32_e32 v108, v162, v234
	v_add_f32_e32 v171, v171, v172
	s_waitcnt vmcnt(11)
	v_mul_f32_e32 v172, v165, v237
	v_fma_f32 v108, v161, v233, -v108
	s_waitcnt vmcnt(10)
	v_fmac_f32_e32 v172, v166, v238
	v_add_f32_e32 v107, v107, v108
	v_mul_f32_e32 v108, v164, v236
	v_add_f32_e32 v171, v171, v172
	s_waitcnt vmcnt(8) lgkmcnt(0)
	v_mul_f32_e32 v172, v167, v240
	v_fma_f32 v108, v163, v235, -v108
	v_fmac_f32_e32 v172, v168, v239
	v_add_f32_e32 v107, v107, v108
	v_mul_f32_e32 v108, v166, v237
	v_add_f32_e32 v175, v171, v172
	ds_read2_b64 v[171:174], v106 offset0:101 offset1:102
	v_fma_f32 v108, v165, v238, -v108
	v_add_f32_e32 v107, v107, v108
	v_mul_f32_e32 v108, v168, v240
	s_waitcnt vmcnt(6)
	v_mul_f32_e32 v176, v169, v242
	v_fma_f32 v108, v167, v239, -v108
	v_fmac_f32_e32 v176, v170, v241
	v_add_f32_e32 v107, v107, v108
	v_mul_f32_e32 v108, v170, v242
	v_add_f32_e32 v249, v175, v176
	ds_read_b64 v[175:176], v106 offset:824
	v_fma_f32 v108, v169, v241, -v108
	v_add_f32_e32 v107, v107, v108
	s_waitcnt vmcnt(4) lgkmcnt(1)
	v_mul_f32_e32 v108, v172, v244
	v_mul_f32_e32 v250, v171, v244
	v_fma_f32 v108, v171, v243, -v108
	v_fmac_f32_e32 v250, v172, v243
	v_add_f32_e32 v107, v107, v108
	s_waitcnt vmcnt(3)
	v_mul_f32_e32 v108, v174, v245
	v_add_f32_e32 v249, v249, v250
	v_mul_f32_e32 v250, v173, v245
	s_waitcnt vmcnt(2)
	v_fma_f32 v108, v173, v246, -v108
	v_fmac_f32_e32 v250, v174, v246
	v_add_f32_e32 v107, v107, v108
	s_waitcnt vmcnt(0) lgkmcnt(0)
	v_mul_f32_e32 v108, v176, v248
	v_add_f32_e32 v249, v249, v250
	v_mul_f32_e32 v250, v175, v248
	v_fma_f32 v108, v175, v247, -v108
	v_fmac_f32_e32 v250, v176, v247
	v_add_f32_e32 v107, v107, v108
	v_add_f32_e32 v249, v249, v250
	v_sub_f32_e32 v107, v198, v107
	v_sub_f32_e32 v108, v199, v249
	buffer_store_dword v107, off, s[0:3], 0 offset:128
	buffer_store_dword v108, off, s[0:3], 0 offset:132
	s_and_saveexec_b64 s[4:5], vcc
	s_cbranch_execz .LBB115_295
; %bb.294:
	buffer_load_dword v107, off, s[0:3], 0 offset:120
	buffer_load_dword v108, off, s[0:3], 0 offset:124
	s_waitcnt vmcnt(0)
	ds_write_b64 v105, v[107:108]
	buffer_store_dword v106, off, s[0:3], 0 offset:120
	buffer_store_dword v106, off, s[0:3], 0 offset:124
.LBB115_295:
	s_or_b64 exec, exec, s[4:5]
	s_waitcnt lgkmcnt(0)
	; wave barrier
	buffer_load_dword v179, off, s[0:3], 0 offset:132
	buffer_load_dword v180, off, s[0:3], 0 offset:140
	buffer_load_dword v181, off, s[0:3], 0 offset:148
	buffer_load_dword v182, off, s[0:3], 0 offset:156
	buffer_load_dword v183, off, s[0:3], 0 offset:164
	buffer_load_dword v184, off, s[0:3], 0 offset:172
	buffer_load_dword v185, off, s[0:3], 0 offset:180
	buffer_load_dword v186, off, s[0:3], 0 offset:188
	buffer_load_dword v187, off, s[0:3], 0 offset:196
	buffer_load_dword v188, off, s[0:3], 0 offset:128
	buffer_load_dword v189, off, s[0:3], 0 offset:136
	buffer_load_dword v190, off, s[0:3], 0 offset:144
	buffer_load_dword v191, off, s[0:3], 0 offset:152
	buffer_load_dword v192, off, s[0:3], 0 offset:160
	buffer_load_dword v193, off, s[0:3], 0 offset:168
	buffer_load_dword v194, off, s[0:3], 0 offset:176
	buffer_load_dword v195, off, s[0:3], 0 offset:184
	buffer_load_dword v196, off, s[0:3], 0 offset:192
	buffer_load_dword v197, off, s[0:3], 0 offset:204
	buffer_load_dword v198, off, s[0:3], 0 offset:200
	buffer_load_dword v199, off, s[0:3], 0 offset:212
	buffer_load_dword v200, off, s[0:3], 0 offset:208
	buffer_load_dword v201, off, s[0:3], 0 offset:120
	buffer_load_dword v202, off, s[0:3], 0 offset:124
	buffer_load_dword v203, off, s[0:3], 0 offset:216
	buffer_load_dword v204, off, s[0:3], 0 offset:220
	ds_read_b128 v[107:110], v106 offset:544
	ds_read_b128 v[111:114], v106 offset:560
	;; [unrolled: 1-line block ×6, first 2 shown]
	buffer_load_dword v205, off, s[0:3], 0 offset:224
	buffer_load_dword v206, off, s[0:3], 0 offset:228
	;; [unrolled: 1-line block ×42, first 2 shown]
	v_cmp_lt_u32_e32 vcc, 14, v0
	s_waitcnt vmcnt(62) lgkmcnt(5)
	v_mul_f32_e32 v131, v107, v179
	v_mul_f32_e32 v132, v109, v180
	s_waitcnt lgkmcnt(4)
	v_mul_f32_e32 v133, v111, v181
	v_mul_f32_e32 v134, v113, v182
	s_waitcnt lgkmcnt(3)
	v_mul_f32_e32 v135, v115, v183
	v_mul_f32_e32 v136, v117, v184
	s_waitcnt vmcnt(61) lgkmcnt(2)
	v_mul_f32_e32 v137, v119, v185
	s_waitcnt vmcnt(60)
	v_mul_f32_e32 v138, v121, v186
	s_waitcnt vmcnt(59) lgkmcnt(1)
	v_mul_f32_e32 v139, v123, v187
	s_waitcnt vmcnt(58)
	v_fmac_f32_e32 v131, v108, v188
	s_waitcnt vmcnt(57)
	v_fmac_f32_e32 v132, v110, v189
	v_add_f32_e32 v131, 0, v131
	s_waitcnt vmcnt(56)
	v_fmac_f32_e32 v133, v112, v190
	v_add_f32_e32 v131, v131, v132
	;; [unrolled: 3-line block ×8, first 2 shown]
	s_waitcnt vmcnt(49)
	v_mul_f32_e32 v132, v125, v197
	v_add_f32_e32 v131, v131, v139
	s_waitcnt vmcnt(48)
	v_fmac_f32_e32 v132, v126, v198
	v_add_f32_e32 v131, v131, v132
	s_waitcnt vmcnt(47) lgkmcnt(0)
	v_mul_f32_e32 v132, v127, v199
	s_waitcnt vmcnt(46)
	v_fmac_f32_e32 v132, v128, v200
	v_add_f32_e32 v131, v131, v132
	s_waitcnt vmcnt(42)
	v_mul_f32_e32 v132, v129, v204
	v_fmac_f32_e32 v132, v130, v203
	v_add_f32_e32 v139, v131, v132
	ds_read_b128 v[131:134], v106 offset:640
	buffer_load_dword v247, off, s[0:3], 0 offset:396
	buffer_load_dword v248, off, s[0:3], 0 offset:392
	;; [unrolled: 1-line block ×4, first 2 shown]
	ds_read_b128 v[135:138], v106 offset:656
	buffer_load_dword v251, off, s[0:3], 0 offset:408
	buffer_load_dword v252, off, s[0:3], 0 offset:412
	v_mul_f32_e32 v108, v108, v179
	v_fma_f32 v107, v107, v188, -v108
	v_mul_f32_e32 v108, v110, v180
	v_add_f32_e32 v107, 0, v107
	v_fma_f32 v108, v109, v189, -v108
	v_add_f32_e32 v107, v107, v108
	v_mul_f32_e32 v108, v112, v181
	v_fma_f32 v108, v111, v190, -v108
	v_add_f32_e32 v107, v107, v108
	v_mul_f32_e32 v108, v114, v182
	;; [unrolled: 3-line block ×3, first 2 shown]
	s_waitcnt vmcnt(46) lgkmcnt(1)
	v_mul_f32_e32 v140, v131, v206
	v_fma_f32 v108, v115, v192, -v108
	v_fmac_f32_e32 v140, v132, v205
	v_add_f32_e32 v107, v107, v108
	v_mul_f32_e32 v108, v118, v184
	v_add_f32_e32 v139, v139, v140
	s_waitcnt vmcnt(44)
	v_mul_f32_e32 v140, v133, v208
	v_fma_f32 v108, v117, v193, -v108
	v_fmac_f32_e32 v140, v134, v207
	v_add_f32_e32 v107, v107, v108
	v_mul_f32_e32 v108, v120, v185
	v_add_f32_e32 v139, v139, v140
	s_waitcnt vmcnt(42) lgkmcnt(0)
	v_mul_f32_e32 v140, v135, v210
	v_fma_f32 v108, v119, v194, -v108
	v_fmac_f32_e32 v140, v136, v209
	v_add_f32_e32 v107, v107, v108
	v_mul_f32_e32 v108, v122, v186
	v_add_f32_e32 v143, v139, v140
	ds_read_b128 v[139:142], v106 offset:672
	v_fma_f32 v108, v121, v195, -v108
	v_add_f32_e32 v107, v107, v108
	v_mul_f32_e32 v108, v124, v187
	s_waitcnt vmcnt(40)
	v_mul_f32_e32 v144, v137, v212
	v_fma_f32 v108, v123, v196, -v108
	v_fmac_f32_e32 v144, v138, v211
	v_add_f32_e32 v107, v107, v108
	v_mul_f32_e32 v108, v126, v197
	v_add_f32_e32 v147, v143, v144
	ds_read_b128 v[143:146], v106 offset:688
	v_fma_f32 v108, v125, v198, -v108
	s_waitcnt vmcnt(38) lgkmcnt(1)
	v_mul_f32_e32 v148, v139, v214
	v_add_f32_e32 v107, v107, v108
	v_mul_f32_e32 v108, v128, v199
	v_fmac_f32_e32 v148, v140, v213
	v_fma_f32 v108, v127, v200, -v108
	v_add_f32_e32 v147, v147, v148
	s_waitcnt vmcnt(36)
	v_mul_f32_e32 v148, v141, v216
	v_add_f32_e32 v107, v107, v108
	v_mul_f32_e32 v108, v130, v204
	v_fmac_f32_e32 v148, v142, v215
	v_fma_f32 v108, v129, v203, -v108
	v_add_f32_e32 v147, v147, v148
	s_waitcnt vmcnt(34) lgkmcnt(0)
	v_mul_f32_e32 v148, v143, v218
	v_add_f32_e32 v107, v107, v108
	v_mul_f32_e32 v108, v132, v206
	v_fmac_f32_e32 v148, v144, v217
	v_fma_f32 v108, v131, v205, -v108
	v_add_f32_e32 v151, v147, v148
	ds_read_b128 v[147:150], v106 offset:704
	v_add_f32_e32 v107, v107, v108
	v_mul_f32_e32 v108, v134, v208
	v_fma_f32 v108, v133, v207, -v108
	s_waitcnt vmcnt(32)
	v_mul_f32_e32 v152, v145, v220
	v_add_f32_e32 v107, v107, v108
	v_mul_f32_e32 v108, v136, v210
	v_fmac_f32_e32 v152, v146, v219
	v_fma_f32 v108, v135, v209, -v108
	v_add_f32_e32 v155, v151, v152
	ds_read_b128 v[151:154], v106 offset:720
	v_add_f32_e32 v107, v107, v108
	v_mul_f32_e32 v108, v138, v212
	s_waitcnt vmcnt(30) lgkmcnt(1)
	v_mul_f32_e32 v156, v147, v222
	v_fma_f32 v108, v137, v211, -v108
	v_fmac_f32_e32 v156, v148, v221
	v_add_f32_e32 v107, v107, v108
	v_mul_f32_e32 v108, v140, v214
	v_add_f32_e32 v155, v155, v156
	s_waitcnt vmcnt(28)
	v_mul_f32_e32 v156, v149, v224
	v_fma_f32 v108, v139, v213, -v108
	v_fmac_f32_e32 v156, v150, v223
	v_add_f32_e32 v107, v107, v108
	v_mul_f32_e32 v108, v142, v216
	v_add_f32_e32 v155, v155, v156
	s_waitcnt vmcnt(26) lgkmcnt(0)
	v_mul_f32_e32 v156, v151, v226
	v_fma_f32 v108, v141, v215, -v108
	v_fmac_f32_e32 v156, v152, v225
	v_add_f32_e32 v107, v107, v108
	v_mul_f32_e32 v108, v144, v218
	v_add_f32_e32 v159, v155, v156
	ds_read_b128 v[155:158], v106 offset:736
	v_fma_f32 v108, v143, v217, -v108
	v_add_f32_e32 v107, v107, v108
	v_mul_f32_e32 v108, v146, v220
	s_waitcnt vmcnt(24)
	v_mul_f32_e32 v160, v153, v228
	v_fma_f32 v108, v145, v219, -v108
	v_fmac_f32_e32 v160, v154, v227
	v_add_f32_e32 v107, v107, v108
	v_mul_f32_e32 v108, v148, v222
	v_add_f32_e32 v163, v159, v160
	ds_read_b128 v[159:162], v106 offset:752
	v_fma_f32 v108, v147, v221, -v108
	s_waitcnt vmcnt(22) lgkmcnt(1)
	v_mul_f32_e32 v164, v155, v230
	v_add_f32_e32 v107, v107, v108
	v_mul_f32_e32 v108, v150, v224
	v_fmac_f32_e32 v164, v156, v229
	v_fma_f32 v108, v149, v223, -v108
	v_add_f32_e32 v163, v163, v164
	s_waitcnt vmcnt(20)
	v_mul_f32_e32 v164, v157, v232
	v_add_f32_e32 v107, v107, v108
	v_mul_f32_e32 v108, v152, v226
	v_fmac_f32_e32 v164, v158, v231
	v_fma_f32 v108, v151, v225, -v108
	v_add_f32_e32 v163, v163, v164
	s_waitcnt vmcnt(18) lgkmcnt(0)
	v_mul_f32_e32 v164, v159, v234
	v_add_f32_e32 v107, v107, v108
	v_mul_f32_e32 v108, v154, v228
	v_fmac_f32_e32 v164, v160, v233
	v_fma_f32 v108, v153, v227, -v108
	v_add_f32_e32 v167, v163, v164
	ds_read_b128 v[163:166], v106 offset:768
	v_add_f32_e32 v107, v107, v108
	v_mul_f32_e32 v108, v156, v230
	v_fma_f32 v108, v155, v229, -v108
	s_waitcnt vmcnt(16)
	v_mul_f32_e32 v168, v161, v236
	v_add_f32_e32 v107, v107, v108
	v_mul_f32_e32 v108, v158, v232
	v_fmac_f32_e32 v168, v162, v235
	v_fma_f32 v108, v157, v231, -v108
	v_add_f32_e32 v171, v167, v168
	ds_read_b128 v[167:170], v106 offset:784
	v_add_f32_e32 v107, v107, v108
	v_mul_f32_e32 v108, v160, v234
	s_waitcnt vmcnt(14) lgkmcnt(1)
	v_mul_f32_e32 v172, v163, v238
	v_fma_f32 v108, v159, v233, -v108
	v_fmac_f32_e32 v172, v164, v237
	v_add_f32_e32 v107, v107, v108
	v_mul_f32_e32 v108, v162, v236
	v_add_f32_e32 v171, v171, v172
	s_waitcnt vmcnt(13)
	v_mul_f32_e32 v172, v165, v239
	v_fma_f32 v108, v161, v235, -v108
	s_waitcnt vmcnt(12)
	v_fmac_f32_e32 v172, v166, v240
	v_add_f32_e32 v107, v107, v108
	v_mul_f32_e32 v108, v164, v238
	v_add_f32_e32 v171, v171, v172
	s_waitcnt vmcnt(10) lgkmcnt(0)
	v_mul_f32_e32 v172, v167, v242
	v_fma_f32 v108, v163, v237, -v108
	v_fmac_f32_e32 v172, v168, v241
	v_add_f32_e32 v107, v107, v108
	v_mul_f32_e32 v108, v166, v239
	v_add_f32_e32 v175, v171, v172
	ds_read_b128 v[171:174], v106 offset:800
	v_fma_f32 v108, v165, v240, -v108
	v_add_f32_e32 v107, v107, v108
	v_mul_f32_e32 v108, v168, v242
	s_waitcnt vmcnt(8)
	v_mul_f32_e32 v176, v169, v244
	v_fma_f32 v108, v167, v241, -v108
	v_fmac_f32_e32 v176, v170, v243
	v_add_f32_e32 v107, v107, v108
	v_mul_f32_e32 v108, v170, v244
	v_add_f32_e32 v253, v175, v176
	ds_read_b128 v[175:178], v106 offset:816
	v_fma_f32 v108, v169, v243, -v108
	v_add_f32_e32 v107, v107, v108
	s_waitcnt vmcnt(6) lgkmcnt(1)
	v_mul_f32_e32 v108, v172, v246
	v_mul_f32_e32 v106, v171, v246
	v_fma_f32 v108, v171, v245, -v108
	v_fmac_f32_e32 v106, v172, v245
	v_add_f32_e32 v107, v107, v108
	s_waitcnt vmcnt(5)
	v_mul_f32_e32 v108, v174, v247
	v_add_f32_e32 v106, v253, v106
	v_mul_f32_e32 v253, v173, v247
	s_waitcnt vmcnt(4)
	v_fma_f32 v108, v173, v248, -v108
	v_fmac_f32_e32 v253, v174, v248
	v_add_f32_e32 v107, v107, v108
	s_waitcnt vmcnt(2) lgkmcnt(0)
	v_mul_f32_e32 v108, v176, v250
	v_add_f32_e32 v106, v106, v253
	v_mul_f32_e32 v253, v175, v250
	v_fma_f32 v108, v175, v249, -v108
	v_fmac_f32_e32 v253, v176, v249
	v_add_f32_e32 v107, v107, v108
	s_waitcnt vmcnt(0)
	v_mul_f32_e32 v108, v178, v252
	v_add_f32_e32 v106, v106, v253
	v_mul_f32_e32 v253, v177, v252
	v_fma_f32 v108, v177, v251, -v108
	v_fmac_f32_e32 v253, v178, v251
	v_add_f32_e32 v107, v107, v108
	v_add_f32_e32 v106, v106, v253
	v_sub_f32_e32 v107, v201, v107
	v_sub_f32_e32 v106, v202, v106
	buffer_store_dword v107, off, s[0:3], 0 offset:120
	buffer_store_dword v106, off, s[0:3], 0 offset:124
	s_and_saveexec_b64 s[4:5], vcc
	s_cbranch_execz .LBB115_297
; %bb.296:
	buffer_load_dword v106, off, s[0:3], 0 offset:112
	buffer_load_dword v107, off, s[0:3], 0 offset:116
	v_mov_b32_e32 v108, 0
	buffer_store_dword v108, off, s[0:3], 0 offset:112
	buffer_store_dword v108, off, s[0:3], 0 offset:116
	s_waitcnt vmcnt(2)
	ds_write_b64 v105, v[106:107]
.LBB115_297:
	s_or_b64 exec, exec, s[4:5]
	s_waitcnt lgkmcnt(0)
	; wave barrier
	buffer_load_dword v181, off, s[0:3], 0 offset:124
	buffer_load_dword v182, off, s[0:3], 0 offset:132
	;; [unrolled: 1-line block ×50, first 2 shown]
	v_mov_b32_e32 v106, 0
	ds_read2_b64 v[107:110], v106 offset0:67 offset1:68
	ds_read2_b64 v[111:114], v106 offset0:69 offset1:70
	;; [unrolled: 1-line block ×6, first 2 shown]
	buffer_load_dword v231, off, s[0:3], 0 offset:312
	buffer_load_dword v232, off, s[0:3], 0 offset:316
	;; [unrolled: 1-line block ×16, first 2 shown]
	v_cmp_lt_u32_e32 vcc, 13, v0
	s_waitcnt vmcnt(62) lgkmcnt(5)
	v_mul_f32_e32 v131, v107, v181
	v_mul_f32_e32 v132, v109, v182
	s_waitcnt lgkmcnt(4)
	v_mul_f32_e32 v133, v111, v183
	v_mul_f32_e32 v134, v113, v184
	s_waitcnt vmcnt(61) lgkmcnt(3)
	v_mul_f32_e32 v135, v115, v185
	s_waitcnt vmcnt(60)
	v_mul_f32_e32 v136, v117, v186
	s_waitcnt vmcnt(59) lgkmcnt(2)
	v_mul_f32_e32 v137, v119, v187
	s_waitcnt vmcnt(58)
	;; [unrolled: 4-line block ×3, first 2 shown]
	v_fmac_f32_e32 v133, v112, v190
	s_waitcnt vmcnt(55)
	v_fmac_f32_e32 v132, v110, v191
	s_waitcnt vmcnt(54)
	v_fmac_f32_e32 v131, v108, v192
	v_add_f32_e32 v131, 0, v131
	v_add_f32_e32 v131, v131, v132
	;; [unrolled: 1-line block ×3, first 2 shown]
	s_waitcnt vmcnt(50)
	v_fmac_f32_e32 v134, v114, v196
	v_fmac_f32_e32 v135, v116, v195
	v_add_f32_e32 v131, v131, v134
	v_fmac_f32_e32 v136, v118, v194
	v_add_f32_e32 v131, v131, v135
	;; [unrolled: 2-line block ×3, first 2 shown]
	s_waitcnt vmcnt(46)
	v_fmac_f32_e32 v138, v122, v200
	v_add_f32_e32 v131, v131, v137
	v_fmac_f32_e32 v139, v124, v199
	v_add_f32_e32 v131, v131, v138
	s_waitcnt vmcnt(45)
	v_mul_f32_e32 v132, v125, v201
	v_add_f32_e32 v131, v131, v139
	v_fmac_f32_e32 v132, v126, v198
	v_add_f32_e32 v131, v131, v132
	s_waitcnt vmcnt(44) lgkmcnt(0)
	v_mul_f32_e32 v132, v127, v202
	v_fmac_f32_e32 v132, v128, v197
	v_add_f32_e32 v135, v131, v132
	ds_read2_b64 v[131:134], v106 offset0:79 offset1:80
	buffer_load_dword v247, off, s[0:3], 0 offset:376
	buffer_load_dword v248, off, s[0:3], 0 offset:380
	;; [unrolled: 1-line block ×6, first 2 shown]
	s_waitcnt vmcnt(49)
	v_mul_f32_e32 v136, v129, v203
	s_waitcnt vmcnt(42)
	v_fmac_f32_e32 v136, v130, v210
	v_add_f32_e32 v139, v135, v136
	ds_read2_b64 v[135:138], v106 offset0:81 offset1:82
	buffer_load_dword v253, off, s[0:3], 0 offset:404
	buffer_load_dword v254, off, s[0:3], 0 offset:408
	;; [unrolled: 1-line block ×4, first 2 shown]
	s_waitcnt lgkmcnt(1)
	v_mul_f32_e32 v140, v131, v205
	v_fmac_f32_e32 v140, v132, v204
	v_add_f32_e32 v4, v139, v140
	v_mul_f32_e32 v139, v133, v207
	v_fmac_f32_e32 v139, v134, v206
	v_add_f32_e32 v4, v4, v139
	s_waitcnt lgkmcnt(0)
	v_mul_f32_e32 v139, v135, v209
	v_fmac_f32_e32 v139, v136, v208
	v_add_f32_e32 v4, v4, v139
	ds_read2_b64 v[139:142], v106 offset0:83 offset1:84
	s_waitcnt vmcnt(42)
	v_mul_f32_e32 v143, v137, v214
	v_fmac_f32_e32 v143, v138, v213
	v_add_f32_e32 v4, v4, v143
	ds_read2_b64 v[143:146], v106 offset0:85 offset1:86
	s_waitcnt vmcnt(40) lgkmcnt(1)
	v_mul_f32_e32 v147, v139, v216
	v_fmac_f32_e32 v147, v140, v215
	v_add_f32_e32 v4, v4, v147
	s_waitcnt vmcnt(38)
	v_mul_f32_e32 v147, v141, v218
	v_fmac_f32_e32 v147, v142, v217
	v_add_f32_e32 v4, v4, v147
	s_waitcnt vmcnt(36) lgkmcnt(0)
	v_mul_f32_e32 v147, v143, v220
	v_fmac_f32_e32 v147, v144, v219
	v_add_f32_e32 v4, v4, v147
	ds_read2_b64 v[147:150], v106 offset0:87 offset1:88
	s_waitcnt vmcnt(34)
	v_mul_f32_e32 v151, v145, v222
	v_fmac_f32_e32 v151, v146, v221
	v_add_f32_e32 v4, v4, v151
	ds_read2_b64 v[151:154], v106 offset0:89 offset1:90
	s_waitcnt vmcnt(32) lgkmcnt(1)
	v_mul_f32_e32 v155, v147, v224
	v_fmac_f32_e32 v155, v148, v223
	v_add_f32_e32 v4, v4, v155
	s_waitcnt vmcnt(30)
	v_mul_f32_e32 v155, v149, v226
	v_fmac_f32_e32 v155, v150, v225
	v_add_f32_e32 v4, v4, v155
	s_waitcnt vmcnt(28) lgkmcnt(0)
	v_mul_f32_e32 v155, v151, v228
	v_fmac_f32_e32 v155, v152, v227
	v_add_f32_e32 v4, v4, v155
	ds_read2_b64 v[155:158], v106 offset0:91 offset1:92
	s_waitcnt vmcnt(26)
	v_mul_f32_e32 v159, v153, v230
	v_fmac_f32_e32 v159, v154, v229
	v_add_f32_e32 v4, v4, v159
	ds_read2_b64 v[159:162], v106 offset0:93 offset1:94
	s_waitcnt vmcnt(24) lgkmcnt(1)
	v_mul_f32_e32 v163, v155, v232
	v_fmac_f32_e32 v163, v156, v231
	v_add_f32_e32 v4, v4, v163
	s_waitcnt vmcnt(23)
	v_mul_f32_e32 v163, v157, v233
	s_waitcnt vmcnt(20)
	v_fmac_f32_e32 v163, v158, v236
	v_add_f32_e32 v4, v4, v163
	s_waitcnt lgkmcnt(0)
	v_mul_f32_e32 v163, v159, v235
	v_fmac_f32_e32 v163, v160, v234
	v_add_f32_e32 v4, v4, v163
	ds_read2_b64 v[163:166], v106 offset0:95 offset1:96
	s_waitcnt vmcnt(18)
	v_mul_f32_e32 v167, v161, v238
	v_fmac_f32_e32 v167, v162, v237
	v_add_f32_e32 v4, v4, v167
	ds_read2_b64 v[167:170], v106 offset0:97 offset1:98
	s_waitcnt vmcnt(16) lgkmcnt(1)
	v_mul_f32_e32 v171, v163, v240
	v_fmac_f32_e32 v171, v164, v239
	v_add_f32_e32 v4, v4, v171
	s_waitcnt vmcnt(15)
	v_mul_f32_e32 v171, v165, v241
	s_waitcnt vmcnt(12)
	v_fmac_f32_e32 v171, v166, v244
	v_add_f32_e32 v4, v4, v171
	s_waitcnt lgkmcnt(0)
	v_mul_f32_e32 v171, v167, v243
	v_fmac_f32_e32 v171, v168, v242
	v_add_f32_e32 v4, v4, v171
	ds_read2_b64 v[171:174], v106 offset0:99 offset1:100
	s_waitcnt vmcnt(10)
	v_mul_f32_e32 v175, v169, v246
	v_fmac_f32_e32 v175, v170, v245
	v_add_f32_e32 v4, v4, v175
	ds_read2_b64 v[175:178], v106 offset0:101 offset1:102
	s_waitcnt vmcnt(8) lgkmcnt(1)
	v_mul_f32_e32 v179, v171, v248
	v_fmac_f32_e32 v179, v172, v247
	v_add_f32_e32 v4, v4, v179
	s_waitcnt vmcnt(7)
	v_mul_f32_e32 v179, v173, v249
	s_waitcnt vmcnt(4)
	v_fmac_f32_e32 v179, v174, v252
	v_add_f32_e32 v4, v4, v179
	ds_read_b64 v[179:180], v106 offset:824
	s_waitcnt lgkmcnt(1)
	v_mul_f32_e32 v5, v175, v251
	v_fmac_f32_e32 v5, v176, v250
	v_add_f32_e32 v4, v4, v5
	s_waitcnt vmcnt(3)
	v_mul_f32_e32 v5, v177, v253
	s_waitcnt vmcnt(0)
	v_fmac_f32_e32 v5, v178, v3
	v_add_f32_e32 v4, v4, v5
	s_waitcnt lgkmcnt(0)
	v_mul_f32_e32 v5, v179, v255
	v_fmac_f32_e32 v5, v180, v254
	v_add_f32_e32 v4, v4, v5
	v_mul_f32_e32 v5, v108, v181
	v_fma_f32 v5, v107, v192, -v5
	v_mul_f32_e32 v6, v110, v182
	v_add_f32_e32 v5, 0, v5
	v_fma_f32 v6, v109, v191, -v6
	v_add_f32_e32 v5, v5, v6
	v_mul_f32_e32 v6, v112, v183
	v_fma_f32 v6, v111, v190, -v6
	v_add_f32_e32 v5, v5, v6
	v_mul_f32_e32 v6, v114, v184
	;; [unrolled: 3-line block ×35, first 2 shown]
	v_fma_f32 v5, v179, v254, -v5
	v_add_f32_e32 v3, v3, v5
	v_sub_f32_e32 v3, v211, v3
	v_sub_f32_e32 v4, v212, v4
	buffer_store_dword v3, off, s[0:3], 0 offset:112
	buffer_store_dword v4, off, s[0:3], 0 offset:116
	s_and_saveexec_b64 s[4:5], vcc
	s_cbranch_execz .LBB115_299
; %bb.298:
	buffer_load_dword v107, off, s[0:3], 0 offset:104
	buffer_load_dword v108, off, s[0:3], 0 offset:108
	s_waitcnt vmcnt(0)
	ds_write_b64 v105, v[107:108]
	buffer_store_dword v106, off, s[0:3], 0 offset:104
	buffer_store_dword v106, off, s[0:3], 0 offset:108
.LBB115_299:
	s_or_b64 exec, exec, s[4:5]
	s_waitcnt lgkmcnt(0)
	; wave barrier
	buffer_load_dword v3, off, s[0:3], 0 offset:116
	buffer_load_dword v4, off, s[0:3], 0 offset:124
	;; [unrolled: 1-line block ×32, first 2 shown]
	ds_read_b128 v[107:110], v106 offset:528
	ds_read_b128 v[111:114], v106 offset:544
	;; [unrolled: 1-line block ×6, first 2 shown]
	buffer_load_dword v211, off, s[0:3], 0 offset:232
	buffer_load_dword v212, off, s[0:3], 0 offset:236
	;; [unrolled: 1-line block ×32, first 2 shown]
	v_cmp_lt_u32_e32 vcc, 12, v0
	s_waitcnt vmcnt(62) lgkmcnt(5)
	v_mul_f32_e32 v131, v107, v3
	v_mul_f32_e32 v132, v109, v4
	s_waitcnt vmcnt(61) lgkmcnt(4)
	v_mul_f32_e32 v133, v111, v5
	s_waitcnt vmcnt(60)
	v_mul_f32_e32 v134, v113, v6
	s_waitcnt vmcnt(59) lgkmcnt(3)
	v_mul_f32_e32 v135, v115, v183
	s_waitcnt vmcnt(58)
	v_mul_f32_e32 v136, v117, v184
	s_waitcnt vmcnt(57) lgkmcnt(2)
	v_mul_f32_e32 v137, v119, v185
	s_waitcnt vmcnt(56)
	v_mul_f32_e32 v138, v121, v186
	s_waitcnt vmcnt(55) lgkmcnt(1)
	v_mul_f32_e32 v139, v123, v187
	s_waitcnt vmcnt(54)
	v_mul_f32_e32 v140, v125, v188
	s_waitcnt vmcnt(53)
	v_fmac_f32_e32 v133, v112, v189
	s_waitcnt vmcnt(52)
	v_fmac_f32_e32 v132, v110, v190
	;; [unrolled: 2-line block ×3, first 2 shown]
	v_add_f32_e32 v131, 0, v131
	v_add_f32_e32 v131, v131, v132
	;; [unrolled: 1-line block ×3, first 2 shown]
	s_waitcnt vmcnt(47)
	v_fmac_f32_e32 v134, v114, v195
	v_fmac_f32_e32 v135, v116, v194
	v_add_f32_e32 v131, v131, v134
	v_fmac_f32_e32 v136, v118, v193
	v_add_f32_e32 v131, v131, v135
	;; [unrolled: 2-line block ×3, first 2 shown]
	s_waitcnt vmcnt(43)
	v_fmac_f32_e32 v138, v122, v199
	v_add_f32_e32 v131, v131, v137
	v_fmac_f32_e32 v139, v124, v198
	v_add_f32_e32 v131, v131, v138
	;; [unrolled: 2-line block ×3, first 2 shown]
	s_waitcnt vmcnt(42) lgkmcnt(0)
	v_mul_f32_e32 v132, v127, v200
	v_add_f32_e32 v131, v131, v140
	v_fmac_f32_e32 v132, v128, v196
	v_add_f32_e32 v135, v131, v132
	ds_read_b128 v[131:134], v106 offset:624
	buffer_load_dword v243, off, s[0:3], 0 offset:360
	buffer_load_dword v244, off, s[0:3], 0 offset:364
	s_waitcnt vmcnt(43)
	v_mul_f32_e32 v136, v129, v201
	s_waitcnt vmcnt(37)
	v_fmac_f32_e32 v136, v130, v207
	v_add_f32_e32 v139, v135, v136
	ds_read_b128 v[135:138], v106 offset:640
	buffer_load_dword v245, off, s[0:3], 0 offset:368
	buffer_load_dword v246, off, s[0:3], 0 offset:372
	;; [unrolled: 1-line block ×12, first 2 shown]
	v_mul_f32_e32 v3, v108, v3
	v_fma_f32 v3, v107, v191, -v3
	v_mul_f32_e32 v4, v110, v4
	v_add_f32_e32 v3, 0, v3
	v_fma_f32 v4, v109, v190, -v4
	v_add_f32_e32 v3, v3, v4
	v_mul_f32_e32 v4, v112, v5
	v_fma_f32 v4, v111, v189, -v4
	v_add_f32_e32 v3, v3, v4
	v_mul_f32_e32 v4, v114, v6
	v_fma_f32 v4, v113, v195, -v4
	s_waitcnt vmcnt(48) lgkmcnt(1)
	v_mul_f32_e32 v140, v131, v208
	v_add_f32_e32 v3, v3, v4
	v_mul_f32_e32 v4, v116, v183
	v_fmac_f32_e32 v140, v132, v206
	v_fma_f32 v4, v115, v194, -v4
	v_add_f32_e32 v139, v139, v140
	v_mul_f32_e32 v140, v133, v203
	v_add_f32_e32 v3, v3, v4
	v_mul_f32_e32 v4, v118, v184
	v_fmac_f32_e32 v140, v134, v202
	v_fma_f32 v4, v117, v193, -v4
	v_add_f32_e32 v8, v139, v140
	s_waitcnt lgkmcnt(0)
	v_mul_f32_e32 v139, v135, v205
	v_add_f32_e32 v3, v3, v4
	v_mul_f32_e32 v4, v120, v185
	v_fmac_f32_e32 v139, v136, v204
	v_fma_f32 v4, v119, v192, -v4
	v_add_f32_e32 v8, v8, v139
	ds_read_b128 v[139:142], v106 offset:656
	v_add_f32_e32 v3, v3, v4
	v_mul_f32_e32 v4, v122, v186
	v_fma_f32 v4, v121, v199, -v4
	s_waitcnt vmcnt(44)
	v_mul_f32_e32 v143, v137, v212
	v_add_f32_e32 v3, v3, v4
	v_mul_f32_e32 v4, v124, v187
	v_fmac_f32_e32 v143, v138, v211
	v_fma_f32 v4, v123, v198, -v4
	v_add_f32_e32 v8, v8, v143
	ds_read_b128 v[143:146], v106 offset:672
	v_add_f32_e32 v3, v3, v4
	v_mul_f32_e32 v4, v126, v188
	s_waitcnt vmcnt(42) lgkmcnt(1)
	v_mul_f32_e32 v147, v139, v214
	v_fma_f32 v4, v125, v197, -v4
	v_fmac_f32_e32 v147, v140, v213
	v_add_f32_e32 v3, v3, v4
	v_mul_f32_e32 v4, v128, v200
	v_add_f32_e32 v8, v8, v147
	s_waitcnt vmcnt(40)
	v_mul_f32_e32 v147, v141, v216
	v_fma_f32 v4, v127, v196, -v4
	v_fmac_f32_e32 v147, v142, v215
	v_add_f32_e32 v3, v3, v4
	v_mul_f32_e32 v4, v130, v201
	v_add_f32_e32 v8, v8, v147
	s_waitcnt vmcnt(38) lgkmcnt(0)
	v_mul_f32_e32 v147, v143, v218
	v_fma_f32 v4, v129, v207, -v4
	v_fmac_f32_e32 v147, v144, v217
	v_add_f32_e32 v3, v3, v4
	v_mul_f32_e32 v4, v132, v208
	v_add_f32_e32 v8, v8, v147
	ds_read_b128 v[147:150], v106 offset:688
	v_fma_f32 v4, v131, v206, -v4
	v_add_f32_e32 v3, v3, v4
	v_mul_f32_e32 v4, v134, v203
	s_waitcnt vmcnt(36)
	v_mul_f32_e32 v151, v145, v220
	v_fma_f32 v4, v133, v202, -v4
	v_fmac_f32_e32 v151, v146, v219
	v_add_f32_e32 v3, v3, v4
	v_mul_f32_e32 v4, v136, v205
	v_add_f32_e32 v8, v8, v151
	ds_read_b128 v[151:154], v106 offset:704
	v_fma_f32 v4, v135, v204, -v4
	s_waitcnt vmcnt(34) lgkmcnt(1)
	v_mul_f32_e32 v155, v147, v222
	v_add_f32_e32 v3, v3, v4
	v_mul_f32_e32 v4, v138, v212
	v_fmac_f32_e32 v155, v148, v221
	v_fma_f32 v4, v137, v211, -v4
	v_add_f32_e32 v8, v8, v155
	s_waitcnt vmcnt(32)
	v_mul_f32_e32 v155, v149, v224
	v_add_f32_e32 v3, v3, v4
	v_mul_f32_e32 v4, v140, v214
	v_fmac_f32_e32 v155, v150, v223
	v_fma_f32 v4, v139, v213, -v4
	v_add_f32_e32 v8, v8, v155
	s_waitcnt vmcnt(30) lgkmcnt(0)
	v_mul_f32_e32 v155, v151, v226
	v_add_f32_e32 v3, v3, v4
	v_mul_f32_e32 v4, v142, v216
	v_fmac_f32_e32 v155, v152, v225
	v_fma_f32 v4, v141, v215, -v4
	v_add_f32_e32 v8, v8, v155
	ds_read_b128 v[155:158], v106 offset:720
	v_add_f32_e32 v3, v3, v4
	v_mul_f32_e32 v4, v144, v218
	v_fma_f32 v4, v143, v217, -v4
	s_waitcnt vmcnt(28)
	v_mul_f32_e32 v159, v153, v228
	v_add_f32_e32 v3, v3, v4
	v_mul_f32_e32 v4, v146, v220
	v_fmac_f32_e32 v159, v154, v227
	v_fma_f32 v4, v145, v219, -v4
	v_add_f32_e32 v8, v8, v159
	ds_read_b128 v[159:162], v106 offset:736
	v_add_f32_e32 v3, v3, v4
	v_mul_f32_e32 v4, v148, v222
	s_waitcnt vmcnt(26) lgkmcnt(1)
	v_mul_f32_e32 v163, v155, v230
	v_fma_f32 v4, v147, v221, -v4
	v_fmac_f32_e32 v163, v156, v229
	v_add_f32_e32 v3, v3, v4
	v_mul_f32_e32 v4, v150, v224
	v_add_f32_e32 v8, v8, v163
	s_waitcnt vmcnt(25)
	v_mul_f32_e32 v163, v157, v231
	v_fma_f32 v4, v149, v223, -v4
	s_waitcnt vmcnt(22)
	v_fmac_f32_e32 v163, v158, v234
	v_add_f32_e32 v3, v3, v4
	v_mul_f32_e32 v4, v152, v226
	v_add_f32_e32 v8, v8, v163
	s_waitcnt lgkmcnt(0)
	v_mul_f32_e32 v163, v159, v233
	v_fma_f32 v4, v151, v225, -v4
	v_fmac_f32_e32 v163, v160, v232
	v_add_f32_e32 v3, v3, v4
	v_mul_f32_e32 v4, v154, v228
	v_add_f32_e32 v8, v8, v163
	ds_read_b128 v[163:166], v106 offset:752
	v_fma_f32 v4, v153, v227, -v4
	v_add_f32_e32 v3, v3, v4
	v_mul_f32_e32 v4, v156, v230
	s_waitcnt vmcnt(20)
	v_mul_f32_e32 v167, v161, v236
	v_fma_f32 v4, v155, v229, -v4
	v_fmac_f32_e32 v167, v162, v235
	v_add_f32_e32 v3, v3, v4
	v_mul_f32_e32 v4, v158, v231
	v_add_f32_e32 v8, v8, v167
	ds_read_b128 v[167:170], v106 offset:768
	v_fma_f32 v4, v157, v234, -v4
	s_waitcnt vmcnt(18) lgkmcnt(1)
	v_mul_f32_e32 v171, v163, v238
	v_add_f32_e32 v3, v3, v4
	v_mul_f32_e32 v4, v160, v233
	v_fmac_f32_e32 v171, v164, v237
	v_fma_f32 v4, v159, v232, -v4
	v_add_f32_e32 v8, v8, v171
	s_waitcnt vmcnt(17)
	v_mul_f32_e32 v171, v165, v239
	v_add_f32_e32 v3, v3, v4
	v_mul_f32_e32 v4, v162, v236
	s_waitcnt vmcnt(14)
	v_fmac_f32_e32 v171, v166, v242
	v_fma_f32 v4, v161, v235, -v4
	v_add_f32_e32 v8, v8, v171
	s_waitcnt lgkmcnt(0)
	v_mul_f32_e32 v171, v167, v241
	v_add_f32_e32 v3, v3, v4
	v_mul_f32_e32 v4, v164, v238
	v_fmac_f32_e32 v171, v168, v240
	v_fma_f32 v4, v163, v237, -v4
	v_add_f32_e32 v8, v8, v171
	ds_read_b128 v[171:174], v106 offset:784
	v_add_f32_e32 v3, v3, v4
	v_mul_f32_e32 v4, v166, v239
	v_fma_f32 v4, v165, v242, -v4
	v_add_f32_e32 v3, v3, v4
	v_mul_f32_e32 v4, v168, v241
	s_waitcnt vmcnt(12)
	v_mul_f32_e32 v175, v169, v244
	v_fma_f32 v4, v167, v240, -v4
	v_fmac_f32_e32 v175, v170, v243
	v_add_f32_e32 v3, v3, v4
	v_mul_f32_e32 v4, v170, v244
	v_add_f32_e32 v8, v8, v175
	ds_read_b128 v[175:178], v106 offset:800
	s_waitcnt vmcnt(10) lgkmcnt(1)
	v_mul_f32_e32 v179, v171, v246
	v_fma_f32 v4, v169, v243, -v4
	v_fmac_f32_e32 v179, v172, v245
	v_add_f32_e32 v3, v3, v4
	v_mul_f32_e32 v4, v172, v246
	v_add_f32_e32 v8, v8, v179
	s_waitcnt vmcnt(9)
	v_mul_f32_e32 v179, v173, v247
	v_fma_f32 v4, v171, v245, -v4
	s_waitcnt vmcnt(6)
	v_fmac_f32_e32 v179, v174, v250
	v_add_f32_e32 v3, v3, v4
	v_mul_f32_e32 v4, v174, v247
	v_add_f32_e32 v8, v8, v179
	ds_read_b128 v[179:182], v106 offset:816
	v_fma_f32 v4, v173, v250, -v4
	v_add_f32_e32 v3, v3, v4
	s_waitcnt lgkmcnt(1)
	v_mul_f32_e32 v4, v176, v249
	v_mul_f32_e32 v9, v175, v249
	v_fma_f32 v4, v175, v248, -v4
	v_fmac_f32_e32 v9, v176, v248
	v_add_f32_e32 v3, v3, v4
	s_waitcnt vmcnt(4)
	v_mul_f32_e32 v4, v178, v252
	v_add_f32_e32 v8, v8, v9
	v_mul_f32_e32 v9, v177, v252
	v_fma_f32 v4, v177, v251, -v4
	v_fmac_f32_e32 v9, v178, v251
	v_add_f32_e32 v3, v3, v4
	s_waitcnt vmcnt(3) lgkmcnt(0)
	v_mul_f32_e32 v4, v180, v253
	v_add_f32_e32 v8, v8, v9
	v_mul_f32_e32 v9, v179, v253
	s_waitcnt vmcnt(0)
	v_fma_f32 v4, v179, v7, -v4
	v_fmac_f32_e32 v9, v180, v7
	v_add_f32_e32 v3, v3, v4
	v_mul_f32_e32 v4, v182, v255
	v_add_f32_e32 v8, v8, v9
	v_mul_f32_e32 v9, v181, v255
	v_fma_f32 v4, v181, v254, -v4
	v_fmac_f32_e32 v9, v182, v254
	v_add_f32_e32 v3, v3, v4
	v_add_f32_e32 v8, v8, v9
	v_sub_f32_e32 v3, v209, v3
	v_sub_f32_e32 v4, v210, v8
	buffer_store_dword v3, off, s[0:3], 0 offset:104
	buffer_store_dword v4, off, s[0:3], 0 offset:108
	s_and_saveexec_b64 s[4:5], vcc
	s_cbranch_execz .LBB115_301
; %bb.300:
	buffer_load_dword v106, off, s[0:3], 0 offset:96
	buffer_load_dword v107, off, s[0:3], 0 offset:100
	v_mov_b32_e32 v3, 0
	buffer_store_dword v3, off, s[0:3], 0 offset:96
	buffer_store_dword v3, off, s[0:3], 0 offset:100
	s_waitcnt vmcnt(2)
	ds_write_b64 v105, v[106:107]
.LBB115_301:
	s_or_b64 exec, exec, s[4:5]
	s_waitcnt lgkmcnt(0)
	; wave barrier
	buffer_load_dword v3, off, s[0:3], 0 offset:108
	buffer_load_dword v4, off, s[0:3], 0 offset:116
	;; [unrolled: 1-line block ×50, first 2 shown]
	v_mov_b32_e32 v106, 0
	ds_read2_b64 v[107:110], v106 offset0:65 offset1:66
	ds_read2_b64 v[111:114], v106 offset0:67 offset1:68
	;; [unrolled: 1-line block ×6, first 2 shown]
	buffer_load_dword v227, off, s[0:3], 0 offset:296
	buffer_load_dword v228, off, s[0:3], 0 offset:300
	;; [unrolled: 1-line block ×8, first 2 shown]
	v_cmp_lt_u32_e32 vcc, 11, v0
	s_waitcnt vmcnt(57) lgkmcnt(5)
	v_mul_f32_e32 v131, v107, v3
	s_waitcnt vmcnt(56)
	v_mul_f32_e32 v132, v109, v4
	s_waitcnt vmcnt(55) lgkmcnt(4)
	v_mul_f32_e32 v133, v111, v5
	s_waitcnt vmcnt(54)
	v_mul_f32_e32 v134, v113, v6
	;; [unrolled: 4-line block ×5, first 2 shown]
	s_waitcnt vmcnt(47) lgkmcnt(0)
	v_mul_f32_e32 v141, v127, v187
	s_waitcnt vmcnt(46)
	v_fmac_f32_e32 v133, v112, v188
	s_waitcnt vmcnt(45)
	v_fmac_f32_e32 v132, v110, v189
	;; [unrolled: 2-line block ×3, first 2 shown]
	v_add_f32_e32 v131, 0, v131
	v_add_f32_e32 v131, v131, v132
	;; [unrolled: 1-line block ×3, first 2 shown]
	s_waitcnt vmcnt(40)
	v_fmac_f32_e32 v134, v114, v194
	v_fmac_f32_e32 v135, v116, v193
	v_add_f32_e32 v131, v131, v134
	v_fmac_f32_e32 v136, v118, v192
	v_add_f32_e32 v131, v131, v135
	;; [unrolled: 2-line block ×3, first 2 shown]
	s_waitcnt vmcnt(36)
	v_fmac_f32_e32 v138, v122, v198
	v_add_f32_e32 v131, v131, v137
	v_fmac_f32_e32 v139, v124, v197
	v_add_f32_e32 v131, v131, v138
	v_fmac_f32_e32 v140, v126, v196
	v_add_f32_e32 v131, v131, v139
	v_add_f32_e32 v131, v131, v140
	v_fmac_f32_e32 v141, v128, v195
	v_add_f32_e32 v135, v131, v141
	ds_read2_b64 v[131:134], v106 offset0:77 offset1:78
	buffer_load_dword v235, off, s[0:3], 0 offset:328
	buffer_load_dword v236, off, s[0:3], 0 offset:332
	;; [unrolled: 1-line block ×6, first 2 shown]
	s_waitcnt vmcnt(41)
	v_mul_f32_e32 v136, v129, v199
	s_waitcnt vmcnt(34)
	v_fmac_f32_e32 v136, v130, v206
	v_add_f32_e32 v139, v135, v136
	ds_read2_b64 v[135:138], v106 offset0:79 offset1:80
	buffer_load_dword v241, off, s[0:3], 0 offset:352
	buffer_load_dword v242, off, s[0:3], 0 offset:356
	;; [unrolled: 1-line block ×16, first 2 shown]
	v_mul_f32_e32 v3, v108, v3
	v_fma_f32 v3, v107, v190, -v3
	v_mul_f32_e32 v4, v110, v4
	v_add_f32_e32 v3, 0, v3
	v_fma_f32 v4, v109, v189, -v4
	v_add_f32_e32 v3, v3, v4
	v_mul_f32_e32 v4, v112, v5
	v_fma_f32 v4, v111, v188, -v4
	s_waitcnt lgkmcnt(1)
	v_mul_f32_e32 v140, v131, v201
	v_add_f32_e32 v3, v3, v4
	v_mul_f32_e32 v4, v114, v6
	v_fmac_f32_e32 v140, v132, v200
	v_fma_f32 v4, v113, v194, -v4
	v_add_f32_e32 v139, v139, v140
	v_mul_f32_e32 v140, v133, v203
	v_add_f32_e32 v3, v3, v4
	v_mul_f32_e32 v4, v116, v7
	v_fmac_f32_e32 v140, v134, v202
	v_fma_f32 v4, v115, v193, -v4
	v_add_f32_e32 v139, v139, v140
	s_waitcnt lgkmcnt(0)
	v_mul_f32_e32 v140, v135, v205
	v_add_f32_e32 v3, v3, v4
	v_mul_f32_e32 v4, v118, v8
	v_fmac_f32_e32 v140, v136, v204
	v_fma_f32 v4, v117, v192, -v4
	v_add_f32_e32 v143, v139, v140
	ds_read2_b64 v[139:142], v106 offset0:81 offset1:82
	v_add_f32_e32 v3, v3, v4
	v_mul_f32_e32 v4, v120, v9
	v_fma_f32 v4, v119, v191, -v4
	s_waitcnt vmcnt(46)
	v_mul_f32_e32 v12, v137, v210
	v_add_f32_e32 v3, v3, v4
	v_mul_f32_e32 v4, v122, v10
	v_fmac_f32_e32 v12, v138, v209
	v_fma_f32 v4, v121, v198, -v4
	v_add_f32_e32 v12, v143, v12
	ds_read2_b64 v[143:146], v106 offset0:83 offset1:84
	v_add_f32_e32 v3, v3, v4
	v_mul_f32_e32 v4, v124, v185
	s_waitcnt vmcnt(44) lgkmcnt(1)
	v_mul_f32_e32 v147, v139, v212
	v_fma_f32 v4, v123, v197, -v4
	v_fmac_f32_e32 v147, v140, v211
	v_add_f32_e32 v3, v3, v4
	v_mul_f32_e32 v4, v126, v186
	v_add_f32_e32 v12, v12, v147
	s_waitcnt vmcnt(42)
	v_mul_f32_e32 v147, v141, v214
	v_fma_f32 v4, v125, v196, -v4
	v_fmac_f32_e32 v147, v142, v213
	v_add_f32_e32 v3, v3, v4
	v_mul_f32_e32 v4, v128, v187
	v_add_f32_e32 v12, v12, v147
	s_waitcnt vmcnt(40) lgkmcnt(0)
	v_mul_f32_e32 v147, v143, v216
	v_fma_f32 v4, v127, v195, -v4
	v_fmac_f32_e32 v147, v144, v215
	v_add_f32_e32 v3, v3, v4
	v_mul_f32_e32 v4, v130, v199
	v_add_f32_e32 v12, v12, v147
	ds_read2_b64 v[147:150], v106 offset0:85 offset1:86
	v_fma_f32 v4, v129, v206, -v4
	v_add_f32_e32 v3, v3, v4
	v_mul_f32_e32 v4, v132, v201
	s_waitcnt vmcnt(38)
	v_mul_f32_e32 v151, v145, v218
	v_fma_f32 v4, v131, v200, -v4
	v_fmac_f32_e32 v151, v146, v217
	v_add_f32_e32 v3, v3, v4
	v_mul_f32_e32 v4, v134, v203
	v_add_f32_e32 v12, v12, v151
	ds_read2_b64 v[151:154], v106 offset0:87 offset1:88
	v_fma_f32 v4, v133, v202, -v4
	s_waitcnt vmcnt(36) lgkmcnt(1)
	v_mul_f32_e32 v155, v147, v220
	v_add_f32_e32 v3, v3, v4
	v_mul_f32_e32 v4, v136, v205
	v_fmac_f32_e32 v155, v148, v219
	v_fma_f32 v4, v135, v204, -v4
	v_add_f32_e32 v12, v12, v155
	s_waitcnt vmcnt(34)
	v_mul_f32_e32 v155, v149, v222
	v_add_f32_e32 v3, v3, v4
	v_mul_f32_e32 v4, v138, v210
	v_fmac_f32_e32 v155, v150, v221
	v_fma_f32 v4, v137, v209, -v4
	v_add_f32_e32 v12, v12, v155
	s_waitcnt vmcnt(32) lgkmcnt(0)
	v_mul_f32_e32 v155, v151, v224
	v_add_f32_e32 v3, v3, v4
	v_mul_f32_e32 v4, v140, v212
	v_fmac_f32_e32 v155, v152, v223
	v_fma_f32 v4, v139, v211, -v4
	v_add_f32_e32 v12, v12, v155
	ds_read2_b64 v[155:158], v106 offset0:89 offset1:90
	v_add_f32_e32 v3, v3, v4
	v_mul_f32_e32 v4, v142, v214
	v_fma_f32 v4, v141, v213, -v4
	s_waitcnt vmcnt(30)
	v_mul_f32_e32 v159, v153, v226
	v_add_f32_e32 v3, v3, v4
	v_mul_f32_e32 v4, v144, v216
	v_fmac_f32_e32 v159, v154, v225
	v_fma_f32 v4, v143, v215, -v4
	v_add_f32_e32 v12, v12, v159
	ds_read2_b64 v[159:162], v106 offset0:91 offset1:92
	v_add_f32_e32 v3, v3, v4
	v_mul_f32_e32 v4, v146, v218
	s_waitcnt vmcnt(28) lgkmcnt(1)
	v_mul_f32_e32 v163, v155, v228
	v_fma_f32 v4, v145, v217, -v4
	v_fmac_f32_e32 v163, v156, v227
	v_add_f32_e32 v3, v3, v4
	v_mul_f32_e32 v4, v148, v220
	v_add_f32_e32 v12, v12, v163
	s_waitcnt vmcnt(27)
	v_mul_f32_e32 v163, v157, v229
	v_fma_f32 v4, v147, v219, -v4
	s_waitcnt vmcnt(24)
	v_fmac_f32_e32 v163, v158, v232
	v_add_f32_e32 v3, v3, v4
	v_mul_f32_e32 v4, v150, v222
	v_add_f32_e32 v12, v12, v163
	s_waitcnt lgkmcnt(0)
	v_mul_f32_e32 v163, v159, v231
	v_fma_f32 v4, v149, v221, -v4
	v_fmac_f32_e32 v163, v160, v230
	v_add_f32_e32 v3, v3, v4
	v_mul_f32_e32 v4, v152, v224
	v_add_f32_e32 v12, v12, v163
	ds_read2_b64 v[163:166], v106 offset0:93 offset1:94
	v_fma_f32 v4, v151, v223, -v4
	v_add_f32_e32 v3, v3, v4
	v_mul_f32_e32 v4, v154, v226
	s_waitcnt vmcnt(22)
	v_mul_f32_e32 v167, v161, v234
	v_fma_f32 v4, v153, v225, -v4
	v_fmac_f32_e32 v167, v162, v233
	v_add_f32_e32 v3, v3, v4
	v_mul_f32_e32 v4, v156, v228
	v_add_f32_e32 v12, v12, v167
	ds_read2_b64 v[167:170], v106 offset0:95 offset1:96
	v_fma_f32 v4, v155, v227, -v4
	s_waitcnt vmcnt(20) lgkmcnt(1)
	v_mul_f32_e32 v171, v163, v236
	v_add_f32_e32 v3, v3, v4
	v_mul_f32_e32 v4, v158, v229
	v_fmac_f32_e32 v171, v164, v235
	v_fma_f32 v4, v157, v232, -v4
	v_add_f32_e32 v12, v12, v171
	s_waitcnt vmcnt(19)
	v_mul_f32_e32 v171, v165, v237
	v_add_f32_e32 v3, v3, v4
	v_mul_f32_e32 v4, v160, v231
	s_waitcnt vmcnt(16)
	v_fmac_f32_e32 v171, v166, v240
	v_fma_f32 v4, v159, v230, -v4
	v_add_f32_e32 v12, v12, v171
	s_waitcnt lgkmcnt(0)
	v_mul_f32_e32 v171, v167, v239
	v_add_f32_e32 v3, v3, v4
	v_mul_f32_e32 v4, v162, v234
	v_fmac_f32_e32 v171, v168, v238
	v_fma_f32 v4, v161, v233, -v4
	v_add_f32_e32 v12, v12, v171
	ds_read2_b64 v[171:174], v106 offset0:97 offset1:98
	v_add_f32_e32 v3, v3, v4
	v_mul_f32_e32 v4, v164, v236
	v_fma_f32 v4, v163, v235, -v4
	s_waitcnt vmcnt(14)
	v_mul_f32_e32 v175, v169, v242
	v_add_f32_e32 v3, v3, v4
	v_mul_f32_e32 v4, v166, v237
	v_fmac_f32_e32 v175, v170, v241
	v_fma_f32 v4, v165, v240, -v4
	v_add_f32_e32 v12, v12, v175
	ds_read2_b64 v[175:178], v106 offset0:99 offset1:100
	v_add_f32_e32 v3, v3, v4
	v_mul_f32_e32 v4, v168, v239
	s_waitcnt vmcnt(12) lgkmcnt(1)
	v_mul_f32_e32 v179, v171, v244
	v_fma_f32 v4, v167, v238, -v4
	v_fmac_f32_e32 v179, v172, v243
	v_add_f32_e32 v3, v3, v4
	v_mul_f32_e32 v4, v170, v242
	v_add_f32_e32 v12, v12, v179
	s_waitcnt vmcnt(11)
	v_mul_f32_e32 v179, v173, v245
	v_fma_f32 v4, v169, v241, -v4
	s_waitcnt vmcnt(8)
	v_fmac_f32_e32 v179, v174, v248
	v_add_f32_e32 v3, v3, v4
	v_mul_f32_e32 v4, v172, v244
	v_add_f32_e32 v12, v12, v179
	s_waitcnt lgkmcnt(0)
	v_mul_f32_e32 v179, v175, v247
	v_fma_f32 v4, v171, v243, -v4
	v_fmac_f32_e32 v179, v176, v246
	v_add_f32_e32 v3, v3, v4
	v_mul_f32_e32 v4, v174, v245
	v_add_f32_e32 v12, v12, v179
	ds_read2_b64 v[179:182], v106 offset0:101 offset1:102
	v_fma_f32 v4, v173, v248, -v4
	v_add_f32_e32 v3, v3, v4
	v_mul_f32_e32 v4, v176, v247
	s_waitcnt vmcnt(6)
	v_mul_f32_e32 v183, v177, v250
	v_fma_f32 v4, v175, v246, -v4
	v_fmac_f32_e32 v183, v178, v249
	v_add_f32_e32 v3, v3, v4
	v_mul_f32_e32 v4, v178, v250
	v_add_f32_e32 v12, v12, v183
	ds_read_b64 v[183:184], v106 offset:824
	v_fma_f32 v4, v177, v249, -v4
	v_add_f32_e32 v3, v3, v4
	s_waitcnt vmcnt(4) lgkmcnt(1)
	v_mul_f32_e32 v4, v180, v252
	v_mul_f32_e32 v13, v179, v252
	v_fma_f32 v4, v179, v251, -v4
	v_fmac_f32_e32 v13, v180, v251
	v_add_f32_e32 v3, v3, v4
	s_waitcnt vmcnt(3)
	v_mul_f32_e32 v4, v182, v253
	v_add_f32_e32 v12, v12, v13
	v_mul_f32_e32 v13, v181, v253
	s_waitcnt vmcnt(0)
	v_fma_f32 v4, v181, v11, -v4
	v_fmac_f32_e32 v13, v182, v11
	v_add_f32_e32 v3, v3, v4
	s_waitcnt lgkmcnt(0)
	v_mul_f32_e32 v4, v184, v255
	v_add_f32_e32 v12, v12, v13
	v_mul_f32_e32 v13, v183, v255
	v_fma_f32 v4, v183, v254, -v4
	v_fmac_f32_e32 v13, v184, v254
	v_add_f32_e32 v3, v3, v4
	v_add_f32_e32 v12, v12, v13
	v_sub_f32_e32 v3, v207, v3
	v_sub_f32_e32 v4, v208, v12
	buffer_store_dword v3, off, s[0:3], 0 offset:96
	buffer_store_dword v4, off, s[0:3], 0 offset:100
	s_and_saveexec_b64 s[4:5], vcc
	s_cbranch_execz .LBB115_303
; %bb.302:
	buffer_load_dword v107, off, s[0:3], 0 offset:88
	buffer_load_dword v108, off, s[0:3], 0 offset:92
	s_waitcnt vmcnt(0)
	ds_write_b64 v105, v[107:108]
	buffer_store_dword v106, off, s[0:3], 0 offset:88
	buffer_store_dword v106, off, s[0:3], 0 offset:92
.LBB115_303:
	s_or_b64 exec, exec, s[4:5]
	s_waitcnt lgkmcnt(0)
	; wave barrier
	buffer_load_dword v3, off, s[0:3], 0 offset:100
	buffer_load_dword v4, off, s[0:3], 0 offset:108
	;; [unrolled: 1-line block ×32, first 2 shown]
	ds_read_b128 v[107:110], v106 offset:512
	ds_read_b128 v[111:114], v106 offset:528
	;; [unrolled: 1-line block ×6, first 2 shown]
	buffer_load_dword v207, off, s[0:3], 0 offset:216
	buffer_load_dword v208, off, s[0:3], 0 offset:220
	;; [unrolled: 1-line block ×26, first 2 shown]
	v_cmp_lt_u32_e32 vcc, 10, v0
	s_waitcnt vmcnt(57) lgkmcnt(5)
	v_mul_f32_e32 v131, v107, v3
	s_waitcnt vmcnt(56)
	v_mul_f32_e32 v132, v109, v4
	s_waitcnt vmcnt(55) lgkmcnt(4)
	v_mul_f32_e32 v133, v111, v5
	s_waitcnt vmcnt(54)
	v_mul_f32_e32 v134, v113, v6
	;; [unrolled: 4-line block ×5, first 2 shown]
	s_waitcnt vmcnt(47) lgkmcnt(0)
	v_mul_f32_e32 v141, v127, v13
	s_waitcnt vmcnt(46)
	v_fmac_f32_e32 v133, v112, v14
	s_waitcnt vmcnt(45)
	v_fmac_f32_e32 v132, v110, v187
	;; [unrolled: 2-line block ×3, first 2 shown]
	v_add_f32_e32 v131, 0, v131
	v_add_f32_e32 v131, v131, v132
	;; [unrolled: 1-line block ×3, first 2 shown]
	s_waitcnt vmcnt(40)
	v_fmac_f32_e32 v134, v114, v192
	v_fmac_f32_e32 v135, v116, v191
	v_add_f32_e32 v131, v131, v134
	v_fmac_f32_e32 v136, v118, v190
	v_add_f32_e32 v131, v131, v135
	;; [unrolled: 2-line block ×3, first 2 shown]
	s_waitcnt vmcnt(36)
	v_fmac_f32_e32 v138, v122, v196
	v_add_f32_e32 v131, v131, v137
	v_fmac_f32_e32 v139, v124, v195
	v_add_f32_e32 v131, v131, v138
	;; [unrolled: 2-line block ×4, first 2 shown]
	v_add_f32_e32 v135, v131, v141
	ds_read_b128 v[131:134], v106 offset:608
	buffer_load_dword v233, off, s[0:3], 0 offset:320
	buffer_load_dword v234, off, s[0:3], 0 offset:324
	buffer_load_dword v235, off, s[0:3], 0 offset:332
	buffer_load_dword v236, off, s[0:3], 0 offset:336
	buffer_load_dword v237, off, s[0:3], 0 offset:340
	buffer_load_dword v238, off, s[0:3], 0 offset:328
	s_waitcnt vmcnt(41)
	v_mul_f32_e32 v136, v129, v197
	s_waitcnt vmcnt(35)
	v_fmac_f32_e32 v136, v130, v203
	v_add_f32_e32 v139, v135, v136
	ds_read_b128 v[135:138], v106 offset:624
	buffer_load_dword v239, off, s[0:3], 0 offset:344
	buffer_load_dword v240, off, s[0:3], 0 offset:348
	;; [unrolled: 1-line block ×10, first 2 shown]
	s_waitcnt vmcnt(44) lgkmcnt(1)
	v_mul_f32_e32 v140, v131, v204
	v_fmac_f32_e32 v140, v132, v202
	v_add_f32_e32 v139, v139, v140
	v_mul_f32_e32 v140, v133, v199
	v_fmac_f32_e32 v140, v134, v198
	v_add_f32_e32 v139, v139, v140
	s_waitcnt lgkmcnt(0)
	v_mul_f32_e32 v140, v135, v201
	buffer_load_dword v249, off, s[0:3], 0 offset:384
	buffer_load_dword v250, off, s[0:3], 0 offset:388
	;; [unrolled: 1-line block ×6, first 2 shown]
	v_fmac_f32_e32 v140, v136, v200
	s_waitcnt vmcnt(46)
	v_mul_f32_e32 v144, v137, v208
	v_add_f32_e32 v143, v139, v140
	v_fmac_f32_e32 v144, v138, v207
	ds_read_b128 v[139:142], v106 offset:640
	v_add_f32_e32 v147, v143, v144
	ds_read_b128 v[143:146], v106 offset:656
	buffer_load_dword v255, off, s[0:3], 0 offset:408
	buffer_load_dword v15, off, s[0:3], 0 offset:412
	v_mul_f32_e32 v3, v108, v3
	v_fma_f32 v3, v107, v188, -v3
	v_mul_f32_e32 v4, v110, v4
	v_add_f32_e32 v3, 0, v3
	v_fma_f32 v4, v109, v187, -v4
	v_add_f32_e32 v3, v3, v4
	v_mul_f32_e32 v4, v112, v5
	v_fma_f32 v4, v111, v14, -v4
	v_add_f32_e32 v3, v3, v4
	v_mul_f32_e32 v4, v114, v6
	;; [unrolled: 3-line block ×7, first 2 shown]
	s_waitcnt vmcnt(46) lgkmcnt(1)
	v_mul_f32_e32 v16, v139, v210
	v_fma_f32 v4, v123, v195, -v4
	v_fmac_f32_e32 v16, v140, v209
	v_add_f32_e32 v3, v3, v4
	v_mul_f32_e32 v4, v126, v12
	v_add_f32_e32 v16, v147, v16
	s_waitcnt vmcnt(44)
	v_mul_f32_e32 v147, v141, v212
	v_fma_f32 v4, v125, v194, -v4
	v_fmac_f32_e32 v147, v142, v211
	v_add_f32_e32 v3, v3, v4
	v_mul_f32_e32 v4, v128, v13
	v_add_f32_e32 v16, v16, v147
	s_waitcnt vmcnt(42) lgkmcnt(0)
	v_mul_f32_e32 v147, v143, v214
	v_fma_f32 v4, v127, v193, -v4
	v_fmac_f32_e32 v147, v144, v213
	v_add_f32_e32 v3, v3, v4
	v_mul_f32_e32 v4, v130, v197
	v_add_f32_e32 v16, v16, v147
	ds_read_b128 v[147:150], v106 offset:672
	v_fma_f32 v4, v129, v203, -v4
	v_add_f32_e32 v3, v3, v4
	v_mul_f32_e32 v4, v132, v204
	s_waitcnt vmcnt(40)
	v_mul_f32_e32 v151, v145, v216
	v_fma_f32 v4, v131, v202, -v4
	v_fmac_f32_e32 v151, v146, v215
	v_add_f32_e32 v3, v3, v4
	v_mul_f32_e32 v4, v134, v199
	v_add_f32_e32 v16, v16, v151
	ds_read_b128 v[151:154], v106 offset:688
	v_fma_f32 v4, v133, v198, -v4
	s_waitcnt vmcnt(38) lgkmcnt(1)
	v_mul_f32_e32 v155, v147, v218
	v_add_f32_e32 v3, v3, v4
	v_mul_f32_e32 v4, v136, v201
	v_fmac_f32_e32 v155, v148, v217
	v_fma_f32 v4, v135, v200, -v4
	v_add_f32_e32 v16, v16, v155
	s_waitcnt vmcnt(36)
	v_mul_f32_e32 v155, v149, v220
	v_add_f32_e32 v3, v3, v4
	v_mul_f32_e32 v4, v138, v208
	v_fmac_f32_e32 v155, v150, v219
	v_fma_f32 v4, v137, v207, -v4
	v_add_f32_e32 v16, v16, v155
	s_waitcnt vmcnt(34) lgkmcnt(0)
	v_mul_f32_e32 v155, v151, v222
	v_add_f32_e32 v3, v3, v4
	v_mul_f32_e32 v4, v140, v210
	v_fmac_f32_e32 v155, v152, v221
	v_fma_f32 v4, v139, v209, -v4
	v_add_f32_e32 v16, v16, v155
	ds_read_b128 v[155:158], v106 offset:704
	v_add_f32_e32 v3, v3, v4
	v_mul_f32_e32 v4, v142, v212
	v_fma_f32 v4, v141, v211, -v4
	s_waitcnt vmcnt(32)
	v_mul_f32_e32 v159, v153, v224
	v_add_f32_e32 v3, v3, v4
	v_mul_f32_e32 v4, v144, v214
	v_fmac_f32_e32 v159, v154, v223
	v_fma_f32 v4, v143, v213, -v4
	v_add_f32_e32 v16, v16, v159
	ds_read_b128 v[159:162], v106 offset:720
	v_add_f32_e32 v3, v3, v4
	v_mul_f32_e32 v4, v146, v216
	s_waitcnt vmcnt(30) lgkmcnt(1)
	v_mul_f32_e32 v163, v155, v226
	v_fma_f32 v4, v145, v215, -v4
	v_fmac_f32_e32 v163, v156, v225
	v_add_f32_e32 v3, v3, v4
	v_mul_f32_e32 v4, v148, v218
	v_add_f32_e32 v16, v16, v163
	s_waitcnt vmcnt(29)
	v_mul_f32_e32 v163, v157, v227
	v_fma_f32 v4, v147, v217, -v4
	s_waitcnt vmcnt(26)
	v_fmac_f32_e32 v163, v158, v230
	v_add_f32_e32 v3, v3, v4
	v_mul_f32_e32 v4, v150, v220
	v_add_f32_e32 v16, v16, v163
	s_waitcnt lgkmcnt(0)
	v_mul_f32_e32 v163, v159, v229
	v_fma_f32 v4, v149, v219, -v4
	v_fmac_f32_e32 v163, v160, v228
	v_add_f32_e32 v3, v3, v4
	v_mul_f32_e32 v4, v152, v222
	v_add_f32_e32 v16, v16, v163
	ds_read_b128 v[163:166], v106 offset:736
	v_fma_f32 v4, v151, v221, -v4
	v_add_f32_e32 v3, v3, v4
	v_mul_f32_e32 v4, v154, v224
	s_waitcnt vmcnt(24)
	v_mul_f32_e32 v167, v161, v232
	v_fma_f32 v4, v153, v223, -v4
	v_fmac_f32_e32 v167, v162, v231
	v_add_f32_e32 v3, v3, v4
	v_mul_f32_e32 v4, v156, v226
	v_add_f32_e32 v16, v16, v167
	ds_read_b128 v[167:170], v106 offset:752
	v_fma_f32 v4, v155, v225, -v4
	s_waitcnt vmcnt(22) lgkmcnt(1)
	v_mul_f32_e32 v171, v163, v234
	v_add_f32_e32 v3, v3, v4
	v_mul_f32_e32 v4, v158, v227
	v_fmac_f32_e32 v171, v164, v233
	v_fma_f32 v4, v157, v230, -v4
	v_add_f32_e32 v16, v16, v171
	s_waitcnt vmcnt(21)
	v_mul_f32_e32 v171, v165, v235
	v_add_f32_e32 v3, v3, v4
	v_mul_f32_e32 v4, v160, v229
	s_waitcnt vmcnt(18)
	v_fmac_f32_e32 v171, v166, v238
	v_fma_f32 v4, v159, v228, -v4
	v_add_f32_e32 v16, v16, v171
	s_waitcnt lgkmcnt(0)
	v_mul_f32_e32 v171, v167, v237
	v_add_f32_e32 v3, v3, v4
	v_mul_f32_e32 v4, v162, v232
	v_fmac_f32_e32 v171, v168, v236
	v_fma_f32 v4, v161, v231, -v4
	v_add_f32_e32 v16, v16, v171
	ds_read_b128 v[171:174], v106 offset:768
	v_add_f32_e32 v3, v3, v4
	v_mul_f32_e32 v4, v164, v234
	v_fma_f32 v4, v163, v233, -v4
	s_waitcnt vmcnt(16)
	v_mul_f32_e32 v175, v169, v240
	v_add_f32_e32 v3, v3, v4
	v_mul_f32_e32 v4, v166, v235
	v_fmac_f32_e32 v175, v170, v239
	v_fma_f32 v4, v165, v238, -v4
	v_add_f32_e32 v16, v16, v175
	ds_read_b128 v[175:178], v106 offset:784
	v_add_f32_e32 v3, v3, v4
	v_mul_f32_e32 v4, v168, v237
	s_waitcnt vmcnt(14) lgkmcnt(1)
	v_mul_f32_e32 v179, v171, v242
	v_fma_f32 v4, v167, v236, -v4
	v_fmac_f32_e32 v179, v172, v241
	v_add_f32_e32 v3, v3, v4
	v_mul_f32_e32 v4, v170, v240
	v_add_f32_e32 v16, v16, v179
	s_waitcnt vmcnt(13)
	v_mul_f32_e32 v179, v173, v243
	v_fma_f32 v4, v169, v239, -v4
	s_waitcnt vmcnt(10)
	v_fmac_f32_e32 v179, v174, v246
	v_add_f32_e32 v3, v3, v4
	v_mul_f32_e32 v4, v172, v242
	v_add_f32_e32 v16, v16, v179
	s_waitcnt lgkmcnt(0)
	v_mul_f32_e32 v179, v175, v245
	v_fma_f32 v4, v171, v241, -v4
	v_fmac_f32_e32 v179, v176, v244
	v_add_f32_e32 v3, v3, v4
	v_mul_f32_e32 v4, v174, v243
	v_add_f32_e32 v16, v16, v179
	ds_read_b128 v[179:182], v106 offset:800
	v_fma_f32 v4, v173, v246, -v4
	v_add_f32_e32 v3, v3, v4
	v_mul_f32_e32 v4, v176, v245
	s_waitcnt vmcnt(8)
	v_mul_f32_e32 v183, v177, v248
	v_fma_f32 v4, v175, v244, -v4
	v_fmac_f32_e32 v183, v178, v247
	v_add_f32_e32 v3, v3, v4
	v_mul_f32_e32 v4, v178, v248
	v_add_f32_e32 v16, v16, v183
	ds_read_b128 v[183:186], v106 offset:816
	v_fma_f32 v4, v177, v247, -v4
	v_add_f32_e32 v3, v3, v4
	s_waitcnt vmcnt(6) lgkmcnt(1)
	v_mul_f32_e32 v4, v180, v250
	v_mul_f32_e32 v106, v179, v250
	v_fma_f32 v4, v179, v249, -v4
	v_fmac_f32_e32 v106, v180, v249
	v_add_f32_e32 v3, v3, v4
	s_waitcnt vmcnt(5)
	v_mul_f32_e32 v4, v182, v251
	v_add_f32_e32 v16, v16, v106
	v_mul_f32_e32 v106, v181, v251
	s_waitcnt vmcnt(2)
	v_fma_f32 v4, v181, v254, -v4
	v_fmac_f32_e32 v106, v182, v254
	v_add_f32_e32 v3, v3, v4
	s_waitcnt lgkmcnt(0)
	v_mul_f32_e32 v4, v184, v253
	v_add_f32_e32 v16, v16, v106
	v_mul_f32_e32 v106, v183, v253
	v_fma_f32 v4, v183, v252, -v4
	v_fmac_f32_e32 v106, v184, v252
	v_add_f32_e32 v3, v3, v4
	s_waitcnt vmcnt(0)
	v_mul_f32_e32 v4, v186, v15
	v_add_f32_e32 v16, v16, v106
	v_mul_f32_e32 v106, v185, v15
	v_fma_f32 v4, v185, v255, -v4
	v_fmac_f32_e32 v106, v186, v255
	v_add_f32_e32 v3, v3, v4
	v_add_f32_e32 v16, v16, v106
	v_sub_f32_e32 v3, v205, v3
	v_sub_f32_e32 v4, v206, v16
	buffer_store_dword v3, off, s[0:3], 0 offset:88
	buffer_store_dword v4, off, s[0:3], 0 offset:92
	s_and_saveexec_b64 s[4:5], vcc
	s_cbranch_execz .LBB115_305
; %bb.304:
	buffer_load_dword v106, off, s[0:3], 0 offset:80
	buffer_load_dword v107, off, s[0:3], 0 offset:84
	v_mov_b32_e32 v3, 0
	buffer_store_dword v3, off, s[0:3], 0 offset:80
	buffer_store_dword v3, off, s[0:3], 0 offset:84
	s_waitcnt vmcnt(2)
	ds_write_b64 v105, v[106:107]
.LBB115_305:
	s_or_b64 exec, exec, s[4:5]
	s_waitcnt lgkmcnt(0)
	; wave barrier
	buffer_load_dword v115, off, s[0:3], 0 offset:92
	buffer_load_dword v114, off, s[0:3], 0 offset:100
	;; [unrolled: 1-line block ×50, first 2 shown]
	v_mov_b32_e32 v106, 0
	ds_read2_b64 v[116:119], v106 offset0:63 offset1:64
	ds_read2_b64 v[120:123], v106 offset0:65 offset1:66
	;; [unrolled: 1-line block ×6, first 2 shown]
	buffer_load_dword v225, off, s[0:3], 0 offset:280
	buffer_load_dword v226, off, s[0:3], 0 offset:284
	;; [unrolled: 1-line block ×6, first 2 shown]
	v_cmp_lt_u32_e32 vcc, 9, v0
	s_waitcnt vmcnt(55) lgkmcnt(5)
	v_mul_f32_e32 v140, v116, v115
	s_waitcnt vmcnt(54)
	v_mul_f32_e32 v141, v118, v114
	s_waitcnt vmcnt(53) lgkmcnt(4)
	v_mul_f32_e32 v142, v120, v113
	s_waitcnt vmcnt(52)
	v_mul_f32_e32 v143, v122, v112
	;; [unrolled: 4-line block ×5, first 2 shown]
	s_waitcnt vmcnt(45) lgkmcnt(0)
	v_mul_f32_e32 v150, v136, v6
	s_waitcnt vmcnt(44)
	v_fmac_f32_e32 v142, v121, v7
	s_waitcnt vmcnt(43)
	v_fmac_f32_e32 v141, v119, v8
	;; [unrolled: 2-line block ×3, first 2 shown]
	v_add_f32_e32 v140, 0, v140
	v_add_f32_e32 v140, v140, v141
	;; [unrolled: 1-line block ×3, first 2 shown]
	s_waitcnt vmcnt(38)
	v_fmac_f32_e32 v143, v123, v13
	v_fmac_f32_e32 v144, v125, v12
	v_add_f32_e32 v140, v140, v143
	v_fmac_f32_e32 v145, v127, v11
	v_add_f32_e32 v140, v140, v144
	;; [unrolled: 2-line block ×3, first 2 shown]
	s_waitcnt vmcnt(34)
	v_fmac_f32_e32 v147, v131, v198
	v_add_f32_e32 v140, v140, v146
	v_fmac_f32_e32 v148, v133, v16
	v_add_f32_e32 v140, v140, v147
	;; [unrolled: 2-line block ×4, first 2 shown]
	v_add_f32_e32 v144, v140, v150
	ds_read2_b64 v[140:143], v106 offset0:75 offset1:76
	buffer_load_dword v231, off, s[0:3], 0 offset:304
	buffer_load_dword v232, off, s[0:3], 0 offset:308
	s_waitcnt vmcnt(35)
	v_mul_f32_e32 v145, v138, v199
	s_waitcnt vmcnt(29)
	v_fmac_f32_e32 v145, v139, v205
	v_add_f32_e32 v148, v144, v145
	ds_read2_b64 v[144:147], v106 offset0:77 offset1:78
	buffer_load_dword v233, off, s[0:3], 0 offset:312
	buffer_load_dword v234, off, s[0:3], 0 offset:316
	;; [unrolled: 1-line block ×14, first 2 shown]
	s_waitcnt vmcnt(42) lgkmcnt(1)
	v_mul_f32_e32 v149, v140, v206
	v_fmac_f32_e32 v149, v141, v204
	buffer_load_dword v247, off, s[0:3], 0 offset:368
	buffer_load_dword v248, off, s[0:3], 0 offset:372
	v_add_f32_e32 v148, v148, v149
	v_mul_f32_e32 v149, v142, v201
	v_fmac_f32_e32 v149, v143, v200
	v_add_f32_e32 v148, v148, v149
	s_waitcnt lgkmcnt(0)
	v_mul_f32_e32 v149, v144, v203
	v_fmac_f32_e32 v149, v145, v202
	v_add_f32_e32 v152, v148, v149
	ds_read2_b64 v[148:151], v106 offset0:79 offset1:80
	buffer_load_dword v249, off, s[0:3], 0 offset:376
	buffer_load_dword v250, off, s[0:3], 0 offset:380
	;; [unrolled: 1-line block ×6, first 2 shown]
	s_waitcnt vmcnt(46)
	v_mul_f32_e32 v153, v146, v208
	v_fmac_f32_e32 v153, v147, v207
	v_add_f32_e32 v156, v152, v153
	ds_read2_b64 v[152:155], v106 offset0:81 offset1:82
	buffer_load_dword v255, off, s[0:3], 0 offset:404
	buffer_load_dword v17, off, s[0:3], 0 offset:408
	;; [unrolled: 1-line block ×4, first 2 shown]
	s_waitcnt vmcnt(48) lgkmcnt(1)
	v_mul_f32_e32 v157, v148, v210
	v_fmac_f32_e32 v157, v149, v209
	v_add_f32_e32 v20, v156, v157
	s_waitcnt vmcnt(46)
	v_mul_f32_e32 v156, v150, v212
	v_fmac_f32_e32 v156, v151, v211
	v_add_f32_e32 v20, v20, v156
	s_waitcnt vmcnt(44) lgkmcnt(0)
	v_mul_f32_e32 v156, v152, v214
	v_fmac_f32_e32 v156, v153, v213
	v_add_f32_e32 v20, v20, v156
	ds_read2_b64 v[156:159], v106 offset0:83 offset1:84
	s_waitcnt vmcnt(42)
	v_mul_f32_e32 v160, v154, v216
	v_fmac_f32_e32 v160, v155, v215
	v_add_f32_e32 v20, v20, v160
	ds_read2_b64 v[160:163], v106 offset0:85 offset1:86
	s_waitcnt vmcnt(40) lgkmcnt(1)
	v_mul_f32_e32 v164, v156, v218
	v_fmac_f32_e32 v164, v157, v217
	v_add_f32_e32 v20, v20, v164
	s_waitcnt vmcnt(38)
	v_mul_f32_e32 v164, v158, v220
	v_fmac_f32_e32 v164, v159, v219
	v_add_f32_e32 v20, v20, v164
	s_waitcnt vmcnt(36) lgkmcnt(0)
	v_mul_f32_e32 v164, v160, v222
	v_fmac_f32_e32 v164, v161, v221
	v_add_f32_e32 v20, v20, v164
	ds_read2_b64 v[164:167], v106 offset0:87 offset1:88
	s_waitcnt vmcnt(34)
	v_mul_f32_e32 v168, v162, v224
	v_fmac_f32_e32 v168, v163, v223
	v_add_f32_e32 v20, v20, v168
	ds_read2_b64 v[168:171], v106 offset0:89 offset1:90
	s_waitcnt vmcnt(32) lgkmcnt(1)
	v_mul_f32_e32 v172, v164, v226
	v_fmac_f32_e32 v172, v165, v225
	v_add_f32_e32 v20, v20, v172
	s_waitcnt vmcnt(31)
	v_mul_f32_e32 v172, v166, v227
	s_waitcnt vmcnt(28)
	v_fmac_f32_e32 v172, v167, v230
	v_add_f32_e32 v20, v20, v172
	s_waitcnt lgkmcnt(0)
	v_mul_f32_e32 v172, v168, v229
	v_fmac_f32_e32 v172, v169, v228
	v_add_f32_e32 v20, v20, v172
	ds_read2_b64 v[172:175], v106 offset0:91 offset1:92
	v_mul_f32_e32 v3, v131, v3
	v_fma_f32 v3, v130, v198, -v3
	v_mul_f32_e32 v4, v133, v4
	v_fma_f32 v4, v132, v16, -v4
	s_waitcnt vmcnt(26)
	v_mul_f32_e32 v176, v170, v232
	v_fmac_f32_e32 v176, v171, v231
	v_add_f32_e32 v20, v20, v176
	ds_read2_b64 v[176:179], v106 offset0:93 offset1:94
	s_waitcnt vmcnt(24) lgkmcnt(1)
	v_mul_f32_e32 v180, v172, v234
	v_fmac_f32_e32 v180, v173, v233
	v_add_f32_e32 v20, v20, v180
	s_waitcnt vmcnt(23)
	v_mul_f32_e32 v180, v174, v235
	s_waitcnt vmcnt(20)
	v_fmac_f32_e32 v180, v175, v238
	v_add_f32_e32 v20, v20, v180
	s_waitcnt lgkmcnt(0)
	v_mul_f32_e32 v180, v176, v237
	v_fmac_f32_e32 v180, v177, v236
	v_add_f32_e32 v20, v20, v180
	ds_read2_b64 v[180:183], v106 offset0:95 offset1:96
	s_waitcnt vmcnt(18)
	v_mul_f32_e32 v184, v178, v240
	v_fmac_f32_e32 v184, v179, v239
	v_add_f32_e32 v20, v20, v184
	ds_read2_b64 v[184:187], v106 offset0:97 offset1:98
	s_waitcnt vmcnt(16) lgkmcnt(1)
	v_mul_f32_e32 v188, v180, v242
	v_fmac_f32_e32 v188, v181, v241
	v_add_f32_e32 v20, v20, v188
	s_waitcnt vmcnt(15)
	v_mul_f32_e32 v188, v182, v243
	s_waitcnt vmcnt(12)
	v_fmac_f32_e32 v188, v183, v246
	v_add_f32_e32 v20, v20, v188
	s_waitcnt lgkmcnt(0)
	v_mul_f32_e32 v188, v184, v245
	v_fmac_f32_e32 v188, v185, v244
	v_add_f32_e32 v20, v20, v188
	ds_read2_b64 v[188:191], v106 offset0:99 offset1:100
	s_waitcnt vmcnt(10)
	v_mul_f32_e32 v192, v186, v248
	v_fmac_f32_e32 v192, v187, v247
	v_add_f32_e32 v20, v20, v192
	ds_read2_b64 v[192:195], v106 offset0:101 offset1:102
	s_waitcnt vmcnt(8) lgkmcnt(1)
	v_mul_f32_e32 v196, v188, v250
	v_fmac_f32_e32 v196, v189, v249
	v_add_f32_e32 v20, v20, v196
	s_waitcnt vmcnt(7)
	v_mul_f32_e32 v196, v190, v251
	s_waitcnt vmcnt(4)
	v_fmac_f32_e32 v196, v191, v254
	v_add_f32_e32 v20, v20, v196
	ds_read_b64 v[196:197], v106 offset:824
	s_waitcnt lgkmcnt(1)
	v_mul_f32_e32 v21, v192, v253
	v_fmac_f32_e32 v21, v193, v252
	v_add_f32_e32 v20, v20, v21
	s_waitcnt vmcnt(3)
	v_mul_f32_e32 v21, v194, v255
	s_waitcnt vmcnt(0)
	v_fmac_f32_e32 v21, v195, v19
	v_add_f32_e32 v20, v20, v21
	s_waitcnt lgkmcnt(0)
	v_mul_f32_e32 v21, v196, v18
	v_fmac_f32_e32 v21, v197, v17
	v_add_f32_e32 v20, v20, v21
	v_mul_f32_e32 v21, v117, v115
	v_fma_f32 v9, v116, v9, -v21
	v_mul_f32_e32 v21, v119, v114
	v_add_f32_e32 v9, 0, v9
	v_fma_f32 v8, v118, v8, -v21
	v_add_f32_e32 v8, v9, v8
	v_mul_f32_e32 v9, v121, v113
	v_fma_f32 v7, v120, v7, -v9
	v_add_f32_e32 v7, v8, v7
	v_mul_f32_e32 v8, v123, v112
	;; [unrolled: 3-line block ×5, first 2 shown]
	v_fma_f32 v8, v128, v10, -v8
	v_add_f32_e32 v7, v7, v8
	v_add_f32_e32 v3, v7, v3
	;; [unrolled: 1-line block ×3, first 2 shown]
	v_mul_f32_e32 v4, v135, v5
	v_fma_f32 v4, v134, v15, -v4
	v_add_f32_e32 v3, v3, v4
	v_mul_f32_e32 v4, v137, v6
	v_fma_f32 v4, v136, v14, -v4
	v_add_f32_e32 v3, v3, v4
	;; [unrolled: 3-line block ×32, first 2 shown]
	v_sub_f32_e32 v3, v109, v3
	v_sub_f32_e32 v4, v110, v20
	buffer_store_dword v3, off, s[0:3], 0 offset:80
	buffer_store_dword v4, off, s[0:3], 0 offset:84
	s_and_saveexec_b64 s[4:5], vcc
	s_cbranch_execz .LBB115_307
; %bb.306:
	buffer_load_dword v107, off, s[0:3], 0 offset:72
	buffer_load_dword v108, off, s[0:3], 0 offset:76
	s_waitcnt vmcnt(0)
	ds_write_b64 v105, v[107:108]
	buffer_store_dword v106, off, s[0:3], 0 offset:72
	buffer_store_dword v106, off, s[0:3], 0 offset:76
.LBB115_307:
	s_or_b64 exec, exec, s[4:5]
	s_waitcnt lgkmcnt(0)
	; wave barrier
	buffer_load_dword v3, off, s[0:3], 0 offset:84
	buffer_load_dword v4, off, s[0:3], 0 offset:92
	;; [unrolled: 1-line block ×32, first 2 shown]
	ds_read_b128 v[107:110], v106 offset:496
	ds_read_b128 v[111:114], v106 offset:512
	;; [unrolled: 1-line block ×6, first 2 shown]
	buffer_load_dword v203, off, s[0:3], 0 offset:200
	buffer_load_dword v204, off, s[0:3], 0 offset:204
	;; [unrolled: 1-line block ×18, first 2 shown]
	v_cmp_lt_u32_e32 vcc, 8, v0
	s_waitcnt vmcnt(49) lgkmcnt(5)
	v_mul_f32_e32 v131, v107, v3
	s_waitcnt vmcnt(48)
	v_mul_f32_e32 v132, v109, v4
	s_waitcnt vmcnt(47) lgkmcnt(4)
	v_mul_f32_e32 v133, v111, v5
	s_waitcnt vmcnt(46)
	v_mul_f32_e32 v134, v113, v6
	;; [unrolled: 4-line block ×6, first 2 shown]
	s_waitcnt vmcnt(37)
	v_fmac_f32_e32 v133, v112, v15
	s_waitcnt vmcnt(36)
	v_fmac_f32_e32 v132, v110, v16
	;; [unrolled: 2-line block ×3, first 2 shown]
	v_add_f32_e32 v131, 0, v131
	v_add_f32_e32 v131, v131, v132
	;; [unrolled: 1-line block ×3, first 2 shown]
	s_waitcnt vmcnt(31)
	v_fmac_f32_e32 v134, v114, v21
	v_fmac_f32_e32 v135, v116, v20
	v_add_f32_e32 v131, v131, v134
	v_fmac_f32_e32 v136, v118, v19
	v_add_f32_e32 v131, v131, v135
	v_fmac_f32_e32 v137, v120, v18
	v_add_f32_e32 v131, v131, v136
	s_waitcnt vmcnt(27)
	v_fmac_f32_e32 v138, v122, v193
	v_add_f32_e32 v131, v131, v137
	v_fmac_f32_e32 v139, v124, v192
	v_add_f32_e32 v131, v131, v138
	;; [unrolled: 2-line block ×3, first 2 shown]
	v_add_f32_e32 v135, v131, v140
	ds_read_b128 v[131:134], v106 offset:592
	buffer_load_dword v221, off, s[0:3], 0 offset:272
	buffer_load_dword v222, off, s[0:3], 0 offset:276
	;; [unrolled: 1-line block ×6, first 2 shown]
	v_fmac_f32_e32 v141, v128, v22
	s_waitcnt vmcnt(27)
	v_fmac_f32_e32 v142, v130, v199
	v_add_f32_e32 v135, v135, v141
	v_add_f32_e32 v139, v135, v142
	ds_read_b128 v[135:138], v106 offset:608
	buffer_load_dword v227, off, s[0:3], 0 offset:296
	buffer_load_dword v228, off, s[0:3], 0 offset:300
	;; [unrolled: 1-line block ×10, first 2 shown]
	s_waitcnt vmcnt(36) lgkmcnt(1)
	v_mul_f32_e32 v140, v131, v200
	buffer_load_dword v237, off, s[0:3], 0 offset:336
	buffer_load_dword v238, off, s[0:3], 0 offset:340
	;; [unrolled: 1-line block ×6, first 2 shown]
	v_fmac_f32_e32 v140, v132, v198
	v_add_f32_e32 v139, v139, v140
	v_mul_f32_e32 v140, v133, v195
	v_fmac_f32_e32 v140, v134, v194
	v_add_f32_e32 v139, v139, v140
	s_waitcnt lgkmcnt(0)
	v_mul_f32_e32 v140, v135, v197
	v_fmac_f32_e32 v140, v136, v196
	v_add_f32_e32 v143, v139, v140
	ds_read_b128 v[139:142], v106 offset:624
	buffer_load_dword v243, off, s[0:3], 0 offset:360
	buffer_load_dword v244, off, s[0:3], 0 offset:364
	s_waitcnt vmcnt(40)
	v_mul_f32_e32 v144, v137, v204
	v_fmac_f32_e32 v144, v138, v203
	v_add_f32_e32 v147, v143, v144
	ds_read_b128 v[143:146], v106 offset:640
	buffer_load_dword v245, off, s[0:3], 0 offset:368
	buffer_load_dword v246, off, s[0:3], 0 offset:372
	;; [unrolled: 1-line block ×12, first 2 shown]
	v_mul_f32_e32 v3, v108, v3
	v_fma_f32 v3, v107, v17, -v3
	v_mul_f32_e32 v4, v110, v4
	v_add_f32_e32 v3, 0, v3
	v_fma_f32 v4, v109, v16, -v4
	v_add_f32_e32 v3, v3, v4
	v_mul_f32_e32 v4, v112, v5
	v_fma_f32 v4, v111, v15, -v4
	v_add_f32_e32 v3, v3, v4
	v_mul_f32_e32 v4, v114, v6
	;; [unrolled: 3-line block ×6, first 2 shown]
	v_fma_f32 v4, v121, v193, -v4
	s_waitcnt vmcnt(50) lgkmcnt(1)
	v_mul_f32_e32 v148, v139, v206
	v_add_f32_e32 v3, v3, v4
	v_mul_f32_e32 v4, v124, v11
	v_fmac_f32_e32 v148, v140, v205
	v_fma_f32 v4, v123, v192, -v4
	v_add_f32_e32 v147, v147, v148
	s_waitcnt vmcnt(48)
	v_mul_f32_e32 v148, v141, v208
	v_add_f32_e32 v3, v3, v4
	v_mul_f32_e32 v4, v126, v12
	v_fmac_f32_e32 v148, v142, v207
	v_fma_f32 v4, v125, v191, -v4
	v_add_f32_e32 v24, v147, v148
	s_waitcnt vmcnt(46) lgkmcnt(0)
	v_mul_f32_e32 v147, v143, v210
	v_add_f32_e32 v3, v3, v4
	v_mul_f32_e32 v4, v128, v13
	v_fmac_f32_e32 v147, v144, v209
	v_fma_f32 v4, v127, v22, -v4
	v_add_f32_e32 v24, v24, v147
	ds_read_b128 v[147:150], v106 offset:656
	v_add_f32_e32 v3, v3, v4
	v_mul_f32_e32 v4, v130, v14
	v_fma_f32 v4, v129, v199, -v4
	s_waitcnt vmcnt(44)
	v_mul_f32_e32 v151, v145, v212
	v_add_f32_e32 v3, v3, v4
	v_mul_f32_e32 v4, v132, v200
	v_fmac_f32_e32 v151, v146, v211
	v_fma_f32 v4, v131, v198, -v4
	v_add_f32_e32 v24, v24, v151
	ds_read_b128 v[151:154], v106 offset:672
	v_add_f32_e32 v3, v3, v4
	v_mul_f32_e32 v4, v134, v195
	s_waitcnt vmcnt(42) lgkmcnt(1)
	v_mul_f32_e32 v155, v147, v214
	v_fma_f32 v4, v133, v194, -v4
	v_fmac_f32_e32 v155, v148, v213
	v_add_f32_e32 v3, v3, v4
	v_mul_f32_e32 v4, v136, v197
	v_add_f32_e32 v24, v24, v155
	s_waitcnt vmcnt(40)
	v_mul_f32_e32 v155, v149, v216
	v_fma_f32 v4, v135, v196, -v4
	v_fmac_f32_e32 v155, v150, v215
	v_add_f32_e32 v3, v3, v4
	v_mul_f32_e32 v4, v138, v204
	v_add_f32_e32 v24, v24, v155
	s_waitcnt vmcnt(38) lgkmcnt(0)
	v_mul_f32_e32 v155, v151, v218
	v_fma_f32 v4, v137, v203, -v4
	v_fmac_f32_e32 v155, v152, v217
	v_add_f32_e32 v3, v3, v4
	v_mul_f32_e32 v4, v140, v206
	v_add_f32_e32 v24, v24, v155
	ds_read_b128 v[155:158], v106 offset:688
	v_fma_f32 v4, v139, v205, -v4
	v_add_f32_e32 v3, v3, v4
	v_mul_f32_e32 v4, v142, v208
	s_waitcnt vmcnt(36)
	v_mul_f32_e32 v159, v153, v220
	v_fma_f32 v4, v141, v207, -v4
	v_fmac_f32_e32 v159, v154, v219
	v_add_f32_e32 v3, v3, v4
	v_mul_f32_e32 v4, v144, v210
	v_add_f32_e32 v24, v24, v159
	ds_read_b128 v[159:162], v106 offset:704
	v_fma_f32 v4, v143, v209, -v4
	s_waitcnt vmcnt(34) lgkmcnt(1)
	v_mul_f32_e32 v163, v155, v222
	v_add_f32_e32 v3, v3, v4
	v_mul_f32_e32 v4, v146, v212
	v_fmac_f32_e32 v163, v156, v221
	v_fma_f32 v4, v145, v211, -v4
	v_add_f32_e32 v24, v24, v163
	s_waitcnt vmcnt(33)
	v_mul_f32_e32 v163, v157, v223
	v_add_f32_e32 v3, v3, v4
	v_mul_f32_e32 v4, v148, v214
	s_waitcnt vmcnt(30)
	v_fmac_f32_e32 v163, v158, v226
	v_fma_f32 v4, v147, v213, -v4
	v_add_f32_e32 v24, v24, v163
	s_waitcnt lgkmcnt(0)
	v_mul_f32_e32 v163, v159, v225
	v_add_f32_e32 v3, v3, v4
	v_mul_f32_e32 v4, v150, v216
	v_fmac_f32_e32 v163, v160, v224
	v_fma_f32 v4, v149, v215, -v4
	v_add_f32_e32 v24, v24, v163
	ds_read_b128 v[163:166], v106 offset:720
	v_add_f32_e32 v3, v3, v4
	v_mul_f32_e32 v4, v152, v218
	v_fma_f32 v4, v151, v217, -v4
	s_waitcnt vmcnt(28)
	v_mul_f32_e32 v167, v161, v228
	v_add_f32_e32 v3, v3, v4
	v_mul_f32_e32 v4, v154, v220
	v_fmac_f32_e32 v167, v162, v227
	v_fma_f32 v4, v153, v219, -v4
	v_add_f32_e32 v24, v24, v167
	ds_read_b128 v[167:170], v106 offset:736
	v_add_f32_e32 v3, v3, v4
	v_mul_f32_e32 v4, v156, v222
	s_waitcnt vmcnt(26) lgkmcnt(1)
	v_mul_f32_e32 v171, v163, v230
	v_fma_f32 v4, v155, v221, -v4
	v_fmac_f32_e32 v171, v164, v229
	v_add_f32_e32 v3, v3, v4
	v_mul_f32_e32 v4, v158, v223
	v_add_f32_e32 v24, v24, v171
	s_waitcnt vmcnt(25)
	v_mul_f32_e32 v171, v165, v231
	v_fma_f32 v4, v157, v226, -v4
	s_waitcnt vmcnt(22)
	v_fmac_f32_e32 v171, v166, v234
	v_add_f32_e32 v3, v3, v4
	v_mul_f32_e32 v4, v160, v225
	v_add_f32_e32 v24, v24, v171
	s_waitcnt lgkmcnt(0)
	v_mul_f32_e32 v171, v167, v233
	v_fma_f32 v4, v159, v224, -v4
	v_fmac_f32_e32 v171, v168, v232
	v_add_f32_e32 v3, v3, v4
	v_mul_f32_e32 v4, v162, v228
	v_add_f32_e32 v24, v24, v171
	ds_read_b128 v[171:174], v106 offset:752
	v_fma_f32 v4, v161, v227, -v4
	v_add_f32_e32 v3, v3, v4
	v_mul_f32_e32 v4, v164, v230
	s_waitcnt vmcnt(20)
	v_mul_f32_e32 v175, v169, v236
	v_fma_f32 v4, v163, v229, -v4
	v_fmac_f32_e32 v175, v170, v235
	v_add_f32_e32 v3, v3, v4
	v_mul_f32_e32 v4, v166, v231
	v_add_f32_e32 v24, v24, v175
	ds_read_b128 v[175:178], v106 offset:768
	v_fma_f32 v4, v165, v234, -v4
	s_waitcnt vmcnt(18) lgkmcnt(1)
	v_mul_f32_e32 v179, v171, v238
	v_add_f32_e32 v3, v3, v4
	v_mul_f32_e32 v4, v168, v233
	v_fmac_f32_e32 v179, v172, v237
	v_fma_f32 v4, v167, v232, -v4
	v_add_f32_e32 v24, v24, v179
	s_waitcnt vmcnt(17)
	v_mul_f32_e32 v179, v173, v239
	v_add_f32_e32 v3, v3, v4
	v_mul_f32_e32 v4, v170, v236
	s_waitcnt vmcnt(14)
	v_fmac_f32_e32 v179, v174, v242
	v_fma_f32 v4, v169, v235, -v4
	v_add_f32_e32 v24, v24, v179
	s_waitcnt lgkmcnt(0)
	v_mul_f32_e32 v179, v175, v241
	v_add_f32_e32 v3, v3, v4
	v_mul_f32_e32 v4, v172, v238
	v_fmac_f32_e32 v179, v176, v240
	v_fma_f32 v4, v171, v237, -v4
	v_add_f32_e32 v24, v24, v179
	ds_read_b128 v[179:182], v106 offset:784
	v_add_f32_e32 v3, v3, v4
	v_mul_f32_e32 v4, v174, v239
	v_fma_f32 v4, v173, v242, -v4
	v_add_f32_e32 v3, v3, v4
	v_mul_f32_e32 v4, v176, v241
	s_waitcnt vmcnt(12)
	v_mul_f32_e32 v183, v177, v244
	v_fma_f32 v4, v175, v240, -v4
	v_fmac_f32_e32 v183, v178, v243
	v_add_f32_e32 v3, v3, v4
	v_mul_f32_e32 v4, v178, v244
	v_add_f32_e32 v24, v24, v183
	ds_read_b128 v[183:186], v106 offset:800
	s_waitcnt vmcnt(10) lgkmcnt(1)
	v_mul_f32_e32 v187, v179, v246
	v_fma_f32 v4, v177, v243, -v4
	v_fmac_f32_e32 v187, v180, v245
	v_add_f32_e32 v3, v3, v4
	v_mul_f32_e32 v4, v180, v246
	v_add_f32_e32 v24, v24, v187
	s_waitcnt vmcnt(9)
	v_mul_f32_e32 v187, v181, v247
	v_fma_f32 v4, v179, v245, -v4
	s_waitcnt vmcnt(6)
	v_fmac_f32_e32 v187, v182, v250
	v_add_f32_e32 v3, v3, v4
	v_mul_f32_e32 v4, v182, v247
	v_add_f32_e32 v24, v24, v187
	ds_read_b128 v[187:190], v106 offset:816
	v_fma_f32 v4, v181, v250, -v4
	v_add_f32_e32 v3, v3, v4
	s_waitcnt lgkmcnt(1)
	v_mul_f32_e32 v4, v184, v249
	v_mul_f32_e32 v25, v183, v249
	v_fma_f32 v4, v183, v248, -v4
	v_fmac_f32_e32 v25, v184, v248
	v_add_f32_e32 v3, v3, v4
	s_waitcnt vmcnt(4)
	v_mul_f32_e32 v4, v186, v252
	v_add_f32_e32 v24, v24, v25
	v_mul_f32_e32 v25, v185, v252
	v_fma_f32 v4, v185, v251, -v4
	v_fmac_f32_e32 v25, v186, v251
	v_add_f32_e32 v3, v3, v4
	s_waitcnt vmcnt(3) lgkmcnt(0)
	v_mul_f32_e32 v4, v188, v253
	v_add_f32_e32 v24, v24, v25
	v_mul_f32_e32 v25, v187, v253
	s_waitcnt vmcnt(0)
	v_fma_f32 v4, v187, v23, -v4
	v_fmac_f32_e32 v25, v188, v23
	v_add_f32_e32 v3, v3, v4
	v_mul_f32_e32 v4, v190, v255
	v_add_f32_e32 v24, v24, v25
	v_mul_f32_e32 v25, v189, v255
	v_fma_f32 v4, v189, v254, -v4
	v_fmac_f32_e32 v25, v190, v254
	v_add_f32_e32 v3, v3, v4
	v_add_f32_e32 v24, v24, v25
	v_sub_f32_e32 v3, v201, v3
	v_sub_f32_e32 v4, v202, v24
	buffer_store_dword v3, off, s[0:3], 0 offset:72
	buffer_store_dword v4, off, s[0:3], 0 offset:76
	s_and_saveexec_b64 s[4:5], vcc
	s_cbranch_execz .LBB115_309
; %bb.308:
	buffer_load_dword v106, off, s[0:3], 0 offset:64
	buffer_load_dword v107, off, s[0:3], 0 offset:68
	v_mov_b32_e32 v3, 0
	buffer_store_dword v3, off, s[0:3], 0 offset:64
	buffer_store_dword v3, off, s[0:3], 0 offset:68
	s_waitcnt vmcnt(2)
	ds_write_b64 v105, v[106:107]
.LBB115_309:
	s_or_b64 exec, exec, s[4:5]
	s_waitcnt lgkmcnt(0)
	; wave barrier
	buffer_load_dword v115, off, s[0:3], 0 offset:76
	buffer_load_dword v114, off, s[0:3], 0 offset:84
	;; [unrolled: 1-line block ×48, first 2 shown]
	v_mov_b32_e32 v106, 0
	ds_read2_b64 v[121:124], v106 offset0:61 offset1:62
	ds_read2_b64 v[125:128], v106 offset0:63 offset1:64
	;; [unrolled: 1-line block ×6, first 2 shown]
	buffer_load_dword v217, off, s[0:3], 0 offset:256
	buffer_load_dword v218, off, s[0:3], 0 offset:260
	v_cmp_lt_u32_e32 vcc, 7, v0
	s_waitcnt vmcnt(49) lgkmcnt(5)
	v_mul_f32_e32 v145, v121, v115
	s_waitcnt vmcnt(48)
	v_mul_f32_e32 v146, v123, v114
	s_waitcnt vmcnt(47) lgkmcnt(4)
	v_mul_f32_e32 v147, v125, v113
	s_waitcnt vmcnt(46)
	v_mul_f32_e32 v148, v127, v112
	;; [unrolled: 4-line block ×6, first 2 shown]
	s_waitcnt vmcnt(37)
	v_fmac_f32_e32 v147, v126, v3
	s_waitcnt vmcnt(36)
	v_fmac_f32_e32 v146, v124, v4
	;; [unrolled: 2-line block ×3, first 2 shown]
	v_add_f32_e32 v145, 0, v145
	v_add_f32_e32 v145, v145, v146
	;; [unrolled: 1-line block ×3, first 2 shown]
	s_waitcnt vmcnt(31)
	v_fmac_f32_e32 v148, v128, v9
	v_fmac_f32_e32 v149, v130, v8
	v_add_f32_e32 v145, v145, v148
	v_fmac_f32_e32 v150, v132, v7
	v_add_f32_e32 v145, v145, v149
	;; [unrolled: 2-line block ×3, first 2 shown]
	s_waitcnt vmcnt(27)
	v_fmac_f32_e32 v152, v136, v13
	v_add_f32_e32 v145, v145, v151
	v_fmac_f32_e32 v153, v138, v12
	v_add_f32_e32 v145, v145, v152
	;; [unrolled: 2-line block ×4, first 2 shown]
	v_add_f32_e32 v149, v145, v155
	ds_read2_b64 v[145:148], v106 offset0:73 offset1:74
	buffer_load_dword v219, off, s[0:3], 0 offset:264
	buffer_load_dword v220, off, s[0:3], 0 offset:268
	;; [unrolled: 1-line block ×6, first 2 shown]
	s_waitcnt vmcnt(28)
	v_fmac_f32_e32 v156, v144, v18
	v_add_f32_e32 v153, v149, v156
	ds_read2_b64 v[149:152], v106 offset0:75 offset1:76
	buffer_load_dword v225, off, s[0:3], 0 offset:288
	buffer_load_dword v226, off, s[0:3], 0 offset:292
	;; [unrolled: 1-line block ×8, first 2 shown]
	s_waitcnt vmcnt(35) lgkmcnt(1)
	v_mul_f32_e32 v154, v145, v19
	buffer_load_dword v233, off, s[0:3], 0 offset:320
	buffer_load_dword v234, off, s[0:3], 0 offset:324
	v_fmac_f32_e32 v154, v146, v17
	v_add_f32_e32 v153, v153, v154
	s_waitcnt vmcnt(36)
	v_mul_f32_e32 v154, v147, v20
	v_fmac_f32_e32 v154, v148, v16
	v_add_f32_e32 v153, v153, v154
	s_waitcnt lgkmcnt(0)
	v_mul_f32_e32 v154, v149, v15
	v_fmac_f32_e32 v154, v150, v14
	v_add_f32_e32 v157, v153, v154
	ds_read2_b64 v[153:156], v106 offset0:77 offset1:78
	buffer_load_dword v235, off, s[0:3], 0 offset:328
	buffer_load_dword v236, off, s[0:3], 0 offset:332
	;; [unrolled: 1-line block ×6, first 2 shown]
	s_waitcnt vmcnt(38)
	v_mul_f32_e32 v158, v151, v22
	v_fmac_f32_e32 v158, v152, v21
	v_add_f32_e32 v161, v157, v158
	ds_read2_b64 v[157:160], v106 offset0:79 offset1:80
	buffer_load_dword v241, off, s[0:3], 0 offset:352
	buffer_load_dword v242, off, s[0:3], 0 offset:356
	buffer_load_dword v243, off, s[0:3], 0 offset:360
	buffer_load_dword v244, off, s[0:3], 0 offset:364
	buffer_load_dword v245, off, s[0:3], 0 offset:372
	buffer_load_dword v246, off, s[0:3], 0 offset:376
	buffer_load_dword v247, off, s[0:3], 0 offset:380
	buffer_load_dword v248, off, s[0:3], 0 offset:368
	buffer_load_dword v249, off, s[0:3], 0 offset:384
	buffer_load_dword v250, off, s[0:3], 0 offset:388
	buffer_load_dword v251, off, s[0:3], 0 offset:392
	buffer_load_dword v252, off, s[0:3], 0 offset:396
	buffer_load_dword v253, off, s[0:3], 0 offset:404
	buffer_load_dword v254, off, s[0:3], 0 offset:408
	buffer_load_dword v255, off, s[0:3], 0 offset:412
	buffer_load_dword v27, off, s[0:3], 0 offset:400
	s_waitcnt vmcnt(52) lgkmcnt(1)
	v_mul_f32_e32 v162, v153, v24
	v_fmac_f32_e32 v162, v154, v23
	v_add_f32_e32 v161, v161, v162
	s_waitcnt vmcnt(50)
	v_mul_f32_e32 v162, v155, v26
	v_fmac_f32_e32 v162, v156, v25
	v_add_f32_e32 v161, v161, v162
	s_waitcnt vmcnt(48) lgkmcnt(0)
	v_mul_f32_e32 v162, v157, v208
	v_fmac_f32_e32 v162, v158, v207
	v_add_f32_e32 v165, v161, v162
	ds_read2_b64 v[161:164], v106 offset0:81 offset1:82
	s_waitcnt vmcnt(46)
	v_mul_f32_e32 v28, v159, v210
	v_fmac_f32_e32 v28, v160, v209
	v_add_f32_e32 v28, v165, v28
	ds_read2_b64 v[165:168], v106 offset0:83 offset1:84
	s_waitcnt vmcnt(44) lgkmcnt(1)
	v_mul_f32_e32 v169, v161, v212
	v_fmac_f32_e32 v169, v162, v211
	v_add_f32_e32 v28, v28, v169
	s_waitcnt vmcnt(42)
	v_mul_f32_e32 v169, v163, v214
	v_fmac_f32_e32 v169, v164, v213
	v_add_f32_e32 v28, v28, v169
	s_waitcnt vmcnt(40) lgkmcnt(0)
	v_mul_f32_e32 v169, v165, v216
	v_fmac_f32_e32 v169, v166, v215
	v_add_f32_e32 v28, v28, v169
	ds_read2_b64 v[169:172], v106 offset0:85 offset1:86
	s_waitcnt vmcnt(38)
	v_mul_f32_e32 v173, v167, v218
	v_fmac_f32_e32 v173, v168, v217
	v_add_f32_e32 v28, v28, v173
	ds_read2_b64 v[173:176], v106 offset0:87 offset1:88
	s_waitcnt vmcnt(36) lgkmcnt(1)
	v_mul_f32_e32 v177, v169, v220
	v_fmac_f32_e32 v177, v170, v219
	v_add_f32_e32 v28, v28, v177
	s_waitcnt vmcnt(35)
	v_mul_f32_e32 v177, v171, v221
	s_waitcnt vmcnt(32)
	v_fmac_f32_e32 v177, v172, v224
	v_add_f32_e32 v28, v28, v177
	s_waitcnt lgkmcnt(0)
	v_mul_f32_e32 v177, v173, v223
	v_fmac_f32_e32 v177, v174, v222
	v_add_f32_e32 v28, v28, v177
	ds_read2_b64 v[177:180], v106 offset0:89 offset1:90
	s_waitcnt vmcnt(30)
	v_mul_f32_e32 v181, v175, v226
	v_fmac_f32_e32 v181, v176, v225
	v_add_f32_e32 v28, v28, v181
	ds_read2_b64 v[181:184], v106 offset0:91 offset1:92
	s_waitcnt vmcnt(28) lgkmcnt(1)
	v_mul_f32_e32 v185, v177, v228
	v_fmac_f32_e32 v185, v178, v227
	v_add_f32_e32 v28, v28, v185
	s_waitcnt vmcnt(27)
	v_mul_f32_e32 v185, v179, v229
	s_waitcnt vmcnt(24)
	v_fmac_f32_e32 v185, v180, v232
	v_add_f32_e32 v28, v28, v185
	s_waitcnt lgkmcnt(0)
	;; [unrolled: 19-line block ×4, first 2 shown]
	v_mul_f32_e32 v201, v197, v247
	v_fmac_f32_e32 v201, v198, v246
	v_add_f32_e32 v28, v28, v201
	ds_read2_b64 v[201:204], v106 offset0:101 offset1:102
	s_waitcnt vmcnt(6)
	v_mul_f32_e32 v205, v199, v250
	v_fmac_f32_e32 v205, v200, v249
	v_add_f32_e32 v28, v28, v205
	ds_read_b64 v[205:206], v106 offset:824
	s_waitcnt vmcnt(4) lgkmcnt(1)
	v_mul_f32_e32 v29, v201, v252
	v_fmac_f32_e32 v29, v202, v251
	v_add_f32_e32 v28, v28, v29
	s_waitcnt vmcnt(3)
	v_mul_f32_e32 v29, v203, v253
	s_waitcnt vmcnt(0)
	v_fmac_f32_e32 v29, v204, v27
	v_add_f32_e32 v28, v28, v29
	s_waitcnt lgkmcnt(0)
	v_mul_f32_e32 v29, v205, v255
	v_fmac_f32_e32 v29, v206, v254
	v_add_f32_e32 v28, v28, v29
	v_mul_f32_e32 v29, v122, v115
	v_fma_f32 v5, v121, v5, -v29
	v_mul_f32_e32 v29, v124, v114
	v_add_f32_e32 v5, 0, v5
	v_fma_f32 v4, v123, v4, -v29
	v_add_f32_e32 v4, v5, v4
	v_mul_f32_e32 v5, v126, v113
	v_fma_f32 v3, v125, v3, -v5
	v_add_f32_e32 v3, v4, v3
	v_mul_f32_e32 v4, v128, v112
	;; [unrolled: 3-line block ×41, first 2 shown]
	v_fma_f32 v4, v205, v254, -v4
	v_add_f32_e32 v3, v3, v4
	v_sub_f32_e32 v3, v107, v3
	v_sub_f32_e32 v4, v108, v28
	buffer_store_dword v3, off, s[0:3], 0 offset:64
	buffer_store_dword v4, off, s[0:3], 0 offset:68
	s_and_saveexec_b64 s[4:5], vcc
	s_cbranch_execz .LBB115_311
; %bb.310:
	buffer_load_dword v107, off, s[0:3], 0 offset:56
	buffer_load_dword v108, off, s[0:3], 0 offset:60
	s_waitcnt vmcnt(0)
	ds_write_b64 v105, v[107:108]
	buffer_store_dword v106, off, s[0:3], 0 offset:56
	buffer_store_dword v106, off, s[0:3], 0 offset:60
.LBB115_311:
	s_or_b64 exec, exec, s[4:5]
	s_waitcnt lgkmcnt(0)
	; wave barrier
	buffer_load_dword v115, off, s[0:3], 0 offset:68
	buffer_load_dword v114, off, s[0:3], 0 offset:76
	;; [unrolled: 1-line block ×32, first 2 shown]
	ds_read_b128 v[121:124], v106 offset:480
	ds_read_b128 v[125:128], v106 offset:496
	;; [unrolled: 1-line block ×4, first 2 shown]
	buffer_load_dword v21, off, s[0:3], 0 offset:184
	buffer_load_dword v22, off, s[0:3], 0 offset:188
	ds_read_b128 v[137:140], v106 offset:544
	ds_read_b128 v[141:144], v106 offset:560
	;; [unrolled: 1-line block ×3, first 2 shown]
	buffer_load_dword v23, off, s[0:3], 0 offset:192
	buffer_load_dword v24, off, s[0:3], 0 offset:196
	;; [unrolled: 1-line block ×16, first 2 shown]
	v_cmp_lt_u32_e32 vcc, 6, v0
	s_waitcnt vmcnt(49) lgkmcnt(6)
	v_mul_f32_e32 v149, v121, v115
	s_waitcnt vmcnt(48)
	v_mul_f32_e32 v150, v123, v114
	s_waitcnt vmcnt(47) lgkmcnt(5)
	v_mul_f32_e32 v151, v125, v113
	s_waitcnt vmcnt(46)
	v_mul_f32_e32 v152, v127, v112
	;; [unrolled: 4-line block ×6, first 2 shown]
	s_waitcnt vmcnt(37)
	v_fmac_f32_e32 v151, v126, v3
	s_waitcnt vmcnt(36)
	v_fmac_f32_e32 v150, v124, v4
	;; [unrolled: 2-line block ×3, first 2 shown]
	v_add_f32_e32 v149, 0, v149
	v_add_f32_e32 v149, v149, v150
	;; [unrolled: 1-line block ×3, first 2 shown]
	s_waitcnt vmcnt(31)
	v_fmac_f32_e32 v152, v128, v9
	v_fmac_f32_e32 v153, v130, v8
	v_add_f32_e32 v149, v149, v152
	v_fmac_f32_e32 v154, v132, v7
	v_add_f32_e32 v149, v149, v153
	;; [unrolled: 2-line block ×3, first 2 shown]
	s_waitcnt vmcnt(27)
	v_fmac_f32_e32 v156, v136, v13
	v_add_f32_e32 v149, v149, v155
	v_fmac_f32_e32 v157, v138, v12
	v_add_f32_e32 v149, v149, v156
	;; [unrolled: 2-line block ×4, first 2 shown]
	s_waitcnt vmcnt(23)
	v_fmac_f32_e32 v160, v144, v17
	v_add_f32_e32 v149, v149, v159
	v_add_f32_e32 v153, v149, v160
	ds_read_b128 v[149:152], v106 offset:592
	buffer_load_dword v217, off, s[0:3], 0 offset:256
	buffer_load_dword v218, off, s[0:3], 0 offset:260
	;; [unrolled: 1-line block ×14, first 2 shown]
	s_waitcnt vmcnt(36) lgkmcnt(1)
	v_mul_f32_e32 v154, v145, v18
	buffer_load_dword v231, off, s[0:3], 0 offset:312
	buffer_load_dword v232, off, s[0:3], 0 offset:316
	v_fmac_f32_e32 v154, v146, v16
	v_add_f32_e32 v153, v153, v154
	s_waitcnt vmcnt(37)
	v_mul_f32_e32 v154, v147, v19
	v_fmac_f32_e32 v154, v148, v15
	v_add_f32_e32 v153, v153, v154
	s_waitcnt vmcnt(36) lgkmcnt(0)
	v_mul_f32_e32 v154, v149, v20
	v_fmac_f32_e32 v154, v150, v14
	v_add_f32_e32 v157, v153, v154
	ds_read_b128 v[153:156], v106 offset:608
	buffer_load_dword v233, off, s[0:3], 0 offset:320
	buffer_load_dword v234, off, s[0:3], 0 offset:324
	;; [unrolled: 1-line block ×6, first 2 shown]
	s_waitcnt vmcnt(38)
	v_mul_f32_e32 v158, v151, v22
	v_fmac_f32_e32 v158, v152, v21
	v_add_f32_e32 v161, v157, v158
	ds_read_b128 v[157:160], v106 offset:624
	buffer_load_dword v239, off, s[0:3], 0 offset:344
	buffer_load_dword v240, off, s[0:3], 0 offset:348
	;; [unrolled: 1-line block ×10, first 2 shown]
	s_waitcnt vmcnt(46) lgkmcnt(1)
	v_mul_f32_e32 v162, v153, v24
	v_fmac_f32_e32 v162, v154, v23
	v_add_f32_e32 v161, v161, v162
	s_waitcnt vmcnt(44)
	v_mul_f32_e32 v162, v155, v26
	v_fmac_f32_e32 v162, v156, v25
	v_add_f32_e32 v161, v161, v162
	s_waitcnt vmcnt(42) lgkmcnt(0)
	v_mul_f32_e32 v162, v157, v28
	buffer_load_dword v249, off, s[0:3], 0 offset:384
	buffer_load_dword v250, off, s[0:3], 0 offset:388
	;; [unrolled: 1-line block ×6, first 2 shown]
	v_fmac_f32_e32 v162, v158, v27
	s_waitcnt vmcnt(46)
	v_mul_f32_e32 v166, v159, v30
	v_add_f32_e32 v165, v161, v162
	v_fmac_f32_e32 v166, v160, v29
	ds_read_b128 v[161:164], v106 offset:640
	v_add_f32_e32 v169, v165, v166
	ds_read_b128 v[165:168], v106 offset:656
	buffer_load_dword v255, off, s[0:3], 0 offset:408
	buffer_load_dword v31, off, s[0:3], 0 offset:412
	s_waitcnt vmcnt(46) lgkmcnt(1)
	v_mul_f32_e32 v32, v161, v210
	v_fmac_f32_e32 v32, v162, v209
	v_add_f32_e32 v32, v169, v32
	s_waitcnt vmcnt(44)
	v_mul_f32_e32 v169, v163, v212
	v_fmac_f32_e32 v169, v164, v211
	v_add_f32_e32 v32, v32, v169
	s_waitcnt vmcnt(42) lgkmcnt(0)
	v_mul_f32_e32 v169, v165, v214
	v_fmac_f32_e32 v169, v166, v213
	v_add_f32_e32 v32, v32, v169
	ds_read_b128 v[169:172], v106 offset:672
	s_waitcnt vmcnt(40)
	v_mul_f32_e32 v173, v167, v216
	v_fmac_f32_e32 v173, v168, v215
	v_add_f32_e32 v32, v32, v173
	ds_read_b128 v[173:176], v106 offset:688
	s_waitcnt vmcnt(38) lgkmcnt(1)
	v_mul_f32_e32 v177, v169, v218
	v_fmac_f32_e32 v177, v170, v217
	v_add_f32_e32 v32, v32, v177
	s_waitcnt vmcnt(37)
	v_mul_f32_e32 v177, v171, v219
	s_waitcnt vmcnt(34)
	v_fmac_f32_e32 v177, v172, v222
	v_add_f32_e32 v32, v32, v177
	s_waitcnt lgkmcnt(0)
	v_mul_f32_e32 v177, v173, v221
	v_fmac_f32_e32 v177, v174, v220
	v_add_f32_e32 v32, v32, v177
	ds_read_b128 v[177:180], v106 offset:704
	s_waitcnt vmcnt(32)
	v_mul_f32_e32 v181, v175, v224
	v_fmac_f32_e32 v181, v176, v223
	v_add_f32_e32 v32, v32, v181
	ds_read_b128 v[181:184], v106 offset:720
	s_waitcnt vmcnt(30) lgkmcnt(1)
	v_mul_f32_e32 v185, v177, v226
	v_fmac_f32_e32 v185, v178, v225
	v_add_f32_e32 v32, v32, v185
	s_waitcnt vmcnt(29)
	v_mul_f32_e32 v185, v179, v227
	s_waitcnt vmcnt(26)
	v_fmac_f32_e32 v185, v180, v230
	v_add_f32_e32 v32, v32, v185
	s_waitcnt lgkmcnt(0)
	;; [unrolled: 19-line block ×5, first 2 shown]
	v_mul_f32_e32 v106, v205, v253
	v_fmac_f32_e32 v106, v206, v252
	v_add_f32_e32 v32, v32, v106
	s_waitcnt vmcnt(0)
	v_mul_f32_e32 v106, v207, v31
	v_fmac_f32_e32 v106, v208, v255
	v_add_f32_e32 v32, v32, v106
	v_mul_f32_e32 v106, v122, v115
	v_fma_f32 v5, v121, v5, -v106
	v_mul_f32_e32 v106, v124, v114
	v_add_f32_e32 v5, 0, v5
	v_fma_f32 v4, v123, v4, -v106
	v_add_f32_e32 v4, v5, v4
	v_mul_f32_e32 v5, v126, v113
	v_fma_f32 v3, v125, v3, -v5
	v_add_f32_e32 v3, v4, v3
	v_mul_f32_e32 v4, v128, v112
	;; [unrolled: 3-line block ×42, first 2 shown]
	v_fma_f32 v4, v207, v255, -v4
	v_add_f32_e32 v3, v3, v4
	v_sub_f32_e32 v3, v107, v3
	v_sub_f32_e32 v4, v108, v32
	buffer_store_dword v3, off, s[0:3], 0 offset:56
	buffer_store_dword v4, off, s[0:3], 0 offset:60
	s_and_saveexec_b64 s[4:5], vcc
	s_cbranch_execz .LBB115_313
; %bb.312:
	buffer_load_dword v106, off, s[0:3], 0 offset:48
	buffer_load_dword v107, off, s[0:3], 0 offset:52
	v_mov_b32_e32 v3, 0
	buffer_store_dword v3, off, s[0:3], 0 offset:48
	buffer_store_dword v3, off, s[0:3], 0 offset:52
	s_waitcnt vmcnt(2)
	ds_write_b64 v105, v[106:107]
.LBB115_313:
	s_or_b64 exec, exec, s[4:5]
	s_waitcnt lgkmcnt(0)
	; wave barrier
	buffer_load_dword v3, off, s[0:3], 0 offset:60
	buffer_load_dword v4, off, s[0:3], 0 offset:68
	;; [unrolled: 1-line block ×48, first 2 shown]
	v_mov_b32_e32 v106, 0
	ds_read2_b64 v[109:112], v106 offset0:59 offset1:60
	ds_read2_b64 v[113:116], v106 offset0:61 offset1:62
	;; [unrolled: 1-line block ×7, first 2 shown]
	v_cmp_lt_u32_e32 vcc, 5, v0
	s_waitcnt vmcnt(47) lgkmcnt(6)
	v_mul_f32_e32 v137, v109, v3
	s_waitcnt vmcnt(46)
	v_mul_f32_e32 v138, v111, v4
	s_waitcnt vmcnt(45) lgkmcnt(5)
	v_mul_f32_e32 v139, v113, v5
	s_waitcnt vmcnt(44)
	v_mul_f32_e32 v140, v115, v6
	;; [unrolled: 4-line block ×6, first 2 shown]
	s_waitcnt vmcnt(35)
	v_fmac_f32_e32 v139, v114, v15
	s_waitcnt vmcnt(34)
	v_fmac_f32_e32 v138, v112, v16
	;; [unrolled: 2-line block ×3, first 2 shown]
	v_add_f32_e32 v137, 0, v137
	v_add_f32_e32 v137, v137, v138
	;; [unrolled: 1-line block ×3, first 2 shown]
	s_waitcnt vmcnt(29)
	v_fmac_f32_e32 v140, v116, v21
	v_fmac_f32_e32 v141, v118, v20
	v_add_f32_e32 v137, v137, v140
	v_fmac_f32_e32 v142, v120, v19
	v_add_f32_e32 v137, v137, v141
	;; [unrolled: 2-line block ×3, first 2 shown]
	s_waitcnt vmcnt(25)
	v_fmac_f32_e32 v144, v124, v25
	v_add_f32_e32 v137, v137, v143
	v_fmac_f32_e32 v145, v126, v24
	v_add_f32_e32 v137, v137, v144
	;; [unrolled: 2-line block ×4, first 2 shown]
	s_waitcnt vmcnt(21)
	v_fmac_f32_e32 v148, v132, v29
	v_add_f32_e32 v137, v137, v147
	v_add_f32_e32 v141, v137, v148
	ds_read2_b64 v[137:140], v106 offset0:73 offset1:74
	buffer_load_dword v215, off, s[0:3], 0 offset:240
	buffer_load_dword v216, off, s[0:3], 0 offset:244
	;; [unrolled: 1-line block ×10, first 2 shown]
	s_waitcnt vmcnt(30) lgkmcnt(1)
	v_mul_f32_e32 v142, v133, v30
	v_fmac_f32_e32 v142, v134, v28
	buffer_load_dword v225, off, s[0:3], 0 offset:280
	buffer_load_dword v226, off, s[0:3], 0 offset:284
	;; [unrolled: 1-line block ×6, first 2 shown]
	v_add_f32_e32 v141, v141, v142
	s_waitcnt vmcnt(35)
	v_mul_f32_e32 v142, v135, v31
	v_fmac_f32_e32 v142, v136, v27
	v_add_f32_e32 v141, v141, v142
	s_waitcnt vmcnt(34) lgkmcnt(0)
	v_mul_f32_e32 v142, v137, v32
	v_fmac_f32_e32 v142, v138, v26
	v_add_f32_e32 v145, v141, v142
	ds_read2_b64 v[141:144], v106 offset0:75 offset1:76
	buffer_load_dword v231, off, s[0:3], 0 offset:304
	buffer_load_dword v232, off, s[0:3], 0 offset:308
	s_waitcnt vmcnt(32)
	v_mul_f32_e32 v146, v139, v200
	v_fmac_f32_e32 v146, v140, v199
	v_add_f32_e32 v149, v145, v146
	ds_read2_b64 v[145:148], v106 offset0:77 offset1:78
	buffer_load_dword v233, off, s[0:3], 0 offset:312
	buffer_load_dword v234, off, s[0:3], 0 offset:316
	;; [unrolled: 1-line block ×14, first 2 shown]
	s_waitcnt vmcnt(44) lgkmcnt(1)
	v_mul_f32_e32 v150, v141, v202
	v_fmac_f32_e32 v150, v142, v201
	buffer_load_dword v247, off, s[0:3], 0 offset:368
	buffer_load_dword v248, off, s[0:3], 0 offset:372
	v_add_f32_e32 v149, v149, v150
	s_waitcnt vmcnt(44)
	v_mul_f32_e32 v150, v143, v204
	v_fmac_f32_e32 v150, v144, v203
	v_add_f32_e32 v149, v149, v150
	s_waitcnt vmcnt(42) lgkmcnt(0)
	v_mul_f32_e32 v150, v145, v206
	v_fmac_f32_e32 v150, v146, v205
	v_mul_f32_e32 v3, v110, v3
	v_add_f32_e32 v153, v149, v150
	ds_read2_b64 v[149:152], v106 offset0:79 offset1:80
	buffer_load_dword v249, off, s[0:3], 0 offset:376
	buffer_load_dword v250, off, s[0:3], 0 offset:380
	;; [unrolled: 1-line block ×6, first 2 shown]
	v_fma_f32 v3, v109, v17, -v3
	v_mul_f32_e32 v4, v112, v4
	v_add_f32_e32 v3, 0, v3
	v_fma_f32 v4, v111, v16, -v4
	v_add_f32_e32 v3, v3, v4
	v_mul_f32_e32 v4, v114, v5
	s_waitcnt vmcnt(46)
	v_mul_f32_e32 v154, v147, v208
	v_fma_f32 v4, v113, v15, -v4
	v_fmac_f32_e32 v154, v148, v207
	v_add_f32_e32 v3, v3, v4
	v_mul_f32_e32 v4, v116, v6
	v_add_f32_e32 v157, v153, v154
	ds_read2_b64 v[153:156], v106 offset0:81 offset1:82
	buffer_load_dword v255, off, s[0:3], 0 offset:404
	buffer_load_dword v33, off, s[0:3], 0 offset:408
	;; [unrolled: 1-line block ×4, first 2 shown]
	v_fma_f32 v4, v115, v21, -v4
	v_add_f32_e32 v3, v3, v4
	v_mul_f32_e32 v4, v118, v7
	v_fma_f32 v4, v117, v20, -v4
	v_add_f32_e32 v3, v3, v4
	v_mul_f32_e32 v4, v120, v8
	;; [unrolled: 3-line block ×8, first 2 shown]
	v_fma_f32 v4, v131, v29, -v4
	s_waitcnt vmcnt(48) lgkmcnt(1)
	v_mul_f32_e32 v158, v149, v210
	v_add_f32_e32 v3, v3, v4
	v_mul_f32_e32 v4, v134, v30
	v_fmac_f32_e32 v158, v150, v209
	v_fma_f32 v4, v133, v28, -v4
	v_add_f32_e32 v36, v157, v158
	s_waitcnt vmcnt(46)
	v_mul_f32_e32 v157, v151, v212
	v_add_f32_e32 v3, v3, v4
	v_mul_f32_e32 v4, v136, v31
	v_fmac_f32_e32 v157, v152, v211
	v_fma_f32 v4, v135, v27, -v4
	v_add_f32_e32 v36, v36, v157
	s_waitcnt vmcnt(44) lgkmcnt(0)
	v_mul_f32_e32 v157, v153, v214
	v_add_f32_e32 v3, v3, v4
	v_mul_f32_e32 v4, v138, v32
	v_fmac_f32_e32 v157, v154, v213
	v_fma_f32 v4, v137, v26, -v4
	v_add_f32_e32 v36, v36, v157
	ds_read2_b64 v[157:160], v106 offset0:83 offset1:84
	v_add_f32_e32 v3, v3, v4
	v_mul_f32_e32 v4, v140, v200
	v_fma_f32 v4, v139, v199, -v4
	s_waitcnt vmcnt(42)
	v_mul_f32_e32 v161, v155, v216
	v_add_f32_e32 v3, v3, v4
	v_mul_f32_e32 v4, v142, v202
	v_fmac_f32_e32 v161, v156, v215
	v_fma_f32 v4, v141, v201, -v4
	v_add_f32_e32 v36, v36, v161
	ds_read2_b64 v[161:164], v106 offset0:85 offset1:86
	v_add_f32_e32 v3, v3, v4
	v_mul_f32_e32 v4, v144, v204
	s_waitcnt vmcnt(40) lgkmcnt(1)
	v_mul_f32_e32 v165, v157, v218
	v_fma_f32 v4, v143, v203, -v4
	v_fmac_f32_e32 v165, v158, v217
	v_add_f32_e32 v3, v3, v4
	v_mul_f32_e32 v4, v146, v206
	v_add_f32_e32 v36, v36, v165
	s_waitcnt vmcnt(39)
	v_mul_f32_e32 v165, v159, v219
	v_fma_f32 v4, v145, v205, -v4
	s_waitcnt vmcnt(36)
	v_fmac_f32_e32 v165, v160, v222
	v_add_f32_e32 v3, v3, v4
	v_mul_f32_e32 v4, v148, v208
	v_add_f32_e32 v36, v36, v165
	s_waitcnt lgkmcnt(0)
	v_mul_f32_e32 v165, v161, v221
	v_fma_f32 v4, v147, v207, -v4
	v_fmac_f32_e32 v165, v162, v220
	v_add_f32_e32 v3, v3, v4
	v_mul_f32_e32 v4, v150, v210
	v_add_f32_e32 v36, v36, v165
	ds_read2_b64 v[165:168], v106 offset0:87 offset1:88
	v_fma_f32 v4, v149, v209, -v4
	v_add_f32_e32 v3, v3, v4
	v_mul_f32_e32 v4, v152, v212
	s_waitcnt vmcnt(34)
	v_mul_f32_e32 v169, v163, v224
	v_fma_f32 v4, v151, v211, -v4
	v_fmac_f32_e32 v169, v164, v223
	v_add_f32_e32 v3, v3, v4
	v_mul_f32_e32 v4, v154, v214
	v_add_f32_e32 v36, v36, v169
	ds_read2_b64 v[169:172], v106 offset0:89 offset1:90
	v_fma_f32 v4, v153, v213, -v4
	s_waitcnt vmcnt(32) lgkmcnt(1)
	v_mul_f32_e32 v173, v165, v226
	v_add_f32_e32 v3, v3, v4
	v_mul_f32_e32 v4, v156, v216
	v_fmac_f32_e32 v173, v166, v225
	v_fma_f32 v4, v155, v215, -v4
	v_add_f32_e32 v36, v36, v173
	s_waitcnt vmcnt(31)
	v_mul_f32_e32 v173, v167, v227
	v_add_f32_e32 v3, v3, v4
	v_mul_f32_e32 v4, v158, v218
	s_waitcnt vmcnt(28)
	v_fmac_f32_e32 v173, v168, v230
	v_fma_f32 v4, v157, v217, -v4
	v_add_f32_e32 v36, v36, v173
	s_waitcnt lgkmcnt(0)
	v_mul_f32_e32 v173, v169, v229
	v_add_f32_e32 v3, v3, v4
	v_mul_f32_e32 v4, v160, v219
	v_fmac_f32_e32 v173, v170, v228
	v_fma_f32 v4, v159, v222, -v4
	v_add_f32_e32 v36, v36, v173
	ds_read2_b64 v[173:176], v106 offset0:91 offset1:92
	v_add_f32_e32 v3, v3, v4
	v_mul_f32_e32 v4, v162, v221
	v_fma_f32 v4, v161, v220, -v4
	s_waitcnt vmcnt(26)
	v_mul_f32_e32 v177, v171, v232
	v_add_f32_e32 v3, v3, v4
	v_mul_f32_e32 v4, v164, v224
	v_fmac_f32_e32 v177, v172, v231
	v_fma_f32 v4, v163, v223, -v4
	v_add_f32_e32 v36, v36, v177
	ds_read2_b64 v[177:180], v106 offset0:93 offset1:94
	v_add_f32_e32 v3, v3, v4
	v_mul_f32_e32 v4, v166, v226
	s_waitcnt vmcnt(24) lgkmcnt(1)
	v_mul_f32_e32 v181, v173, v234
	v_fma_f32 v4, v165, v225, -v4
	v_fmac_f32_e32 v181, v174, v233
	v_add_f32_e32 v3, v3, v4
	v_mul_f32_e32 v4, v168, v227
	v_add_f32_e32 v36, v36, v181
	s_waitcnt vmcnt(23)
	v_mul_f32_e32 v181, v175, v235
	v_fma_f32 v4, v167, v230, -v4
	s_waitcnt vmcnt(20)
	v_fmac_f32_e32 v181, v176, v238
	v_add_f32_e32 v3, v3, v4
	v_mul_f32_e32 v4, v170, v229
	v_add_f32_e32 v36, v36, v181
	s_waitcnt lgkmcnt(0)
	v_mul_f32_e32 v181, v177, v237
	v_fma_f32 v4, v169, v228, -v4
	v_fmac_f32_e32 v181, v178, v236
	v_add_f32_e32 v3, v3, v4
	v_mul_f32_e32 v4, v172, v232
	v_add_f32_e32 v36, v36, v181
	ds_read2_b64 v[181:184], v106 offset0:95 offset1:96
	v_fma_f32 v4, v171, v231, -v4
	v_add_f32_e32 v3, v3, v4
	v_mul_f32_e32 v4, v174, v234
	s_waitcnt vmcnt(18)
	v_mul_f32_e32 v185, v179, v240
	v_fma_f32 v4, v173, v233, -v4
	v_fmac_f32_e32 v185, v180, v239
	v_add_f32_e32 v3, v3, v4
	v_mul_f32_e32 v4, v176, v235
	v_add_f32_e32 v36, v36, v185
	ds_read2_b64 v[185:188], v106 offset0:97 offset1:98
	v_fma_f32 v4, v175, v238, -v4
	s_waitcnt vmcnt(16) lgkmcnt(1)
	v_mul_f32_e32 v189, v181, v242
	v_add_f32_e32 v3, v3, v4
	v_mul_f32_e32 v4, v178, v237
	v_fmac_f32_e32 v189, v182, v241
	v_fma_f32 v4, v177, v236, -v4
	v_add_f32_e32 v36, v36, v189
	s_waitcnt vmcnt(15)
	v_mul_f32_e32 v189, v183, v243
	v_add_f32_e32 v3, v3, v4
	v_mul_f32_e32 v4, v180, v240
	s_waitcnt vmcnt(12)
	v_fmac_f32_e32 v189, v184, v246
	v_fma_f32 v4, v179, v239, -v4
	v_add_f32_e32 v36, v36, v189
	s_waitcnt lgkmcnt(0)
	v_mul_f32_e32 v189, v185, v245
	v_add_f32_e32 v3, v3, v4
	v_mul_f32_e32 v4, v182, v242
	v_fmac_f32_e32 v189, v186, v244
	v_fma_f32 v4, v181, v241, -v4
	v_add_f32_e32 v36, v36, v189
	ds_read2_b64 v[189:192], v106 offset0:99 offset1:100
	v_add_f32_e32 v3, v3, v4
	v_mul_f32_e32 v4, v184, v243
	v_fma_f32 v4, v183, v246, -v4
	v_add_f32_e32 v3, v3, v4
	v_mul_f32_e32 v4, v186, v245
	s_waitcnt vmcnt(10)
	v_mul_f32_e32 v193, v187, v248
	v_fma_f32 v4, v185, v244, -v4
	v_fmac_f32_e32 v193, v188, v247
	v_add_f32_e32 v3, v3, v4
	v_mul_f32_e32 v4, v188, v248
	v_add_f32_e32 v36, v36, v193
	ds_read2_b64 v[193:196], v106 offset0:101 offset1:102
	s_waitcnt vmcnt(8) lgkmcnt(1)
	v_mul_f32_e32 v197, v189, v250
	v_fma_f32 v4, v187, v247, -v4
	v_fmac_f32_e32 v197, v190, v249
	v_add_f32_e32 v3, v3, v4
	v_mul_f32_e32 v4, v190, v250
	v_add_f32_e32 v36, v36, v197
	s_waitcnt vmcnt(7)
	v_mul_f32_e32 v197, v191, v251
	v_fma_f32 v4, v189, v249, -v4
	s_waitcnt vmcnt(4)
	v_fmac_f32_e32 v197, v192, v254
	v_add_f32_e32 v3, v3, v4
	v_mul_f32_e32 v4, v192, v251
	v_add_f32_e32 v36, v36, v197
	ds_read_b64 v[197:198], v106 offset:824
	v_fma_f32 v4, v191, v254, -v4
	v_add_f32_e32 v3, v3, v4
	s_waitcnt lgkmcnt(1)
	v_mul_f32_e32 v4, v194, v253
	v_mul_f32_e32 v37, v193, v253
	v_fma_f32 v4, v193, v252, -v4
	v_fmac_f32_e32 v37, v194, v252
	v_add_f32_e32 v3, v3, v4
	s_waitcnt vmcnt(3)
	v_mul_f32_e32 v4, v196, v255
	v_add_f32_e32 v36, v36, v37
	v_mul_f32_e32 v37, v195, v255
	s_waitcnt vmcnt(0)
	v_fma_f32 v4, v195, v35, -v4
	v_fmac_f32_e32 v37, v196, v35
	v_add_f32_e32 v3, v3, v4
	s_waitcnt lgkmcnt(0)
	v_mul_f32_e32 v4, v198, v34
	v_add_f32_e32 v36, v36, v37
	v_mul_f32_e32 v37, v197, v34
	v_fma_f32 v4, v197, v33, -v4
	v_fmac_f32_e32 v37, v198, v33
	v_add_f32_e32 v3, v3, v4
	v_add_f32_e32 v36, v36, v37
	v_sub_f32_e32 v3, v107, v3
	v_sub_f32_e32 v4, v108, v36
	buffer_store_dword v3, off, s[0:3], 0 offset:48
	buffer_store_dword v4, off, s[0:3], 0 offset:52
	s_and_saveexec_b64 s[4:5], vcc
	s_cbranch_execz .LBB115_315
; %bb.314:
	buffer_load_dword v107, off, s[0:3], 0 offset:40
	buffer_load_dword v108, off, s[0:3], 0 offset:44
	s_waitcnt vmcnt(0)
	ds_write_b64 v105, v[107:108]
	buffer_store_dword v106, off, s[0:3], 0 offset:40
	buffer_store_dword v106, off, s[0:3], 0 offset:44
.LBB115_315:
	s_or_b64 exec, exec, s[4:5]
	s_waitcnt lgkmcnt(0)
	; wave barrier
	buffer_load_dword v115, off, s[0:3], 0 offset:52
	buffer_load_dword v114, off, s[0:3], 0 offset:60
	;; [unrolled: 1-line block ×33, first 2 shown]
	ds_read_b128 v[116:119], v106 offset:464
	ds_read_b128 v[120:123], v106 offset:480
	;; [unrolled: 1-line block ×6, first 2 shown]
	buffer_load_dword v27, off, s[0:3], 0 offset:168
	buffer_load_dword v28, off, s[0:3], 0 offset:180
	;; [unrolled: 1-line block ×7, first 2 shown]
	ds_read_b128 v[140:143], v106 offset:560
	ds_read_b128 v[144:147], v106 offset:576
	buffer_load_dword v34, off, s[0:3], 0 offset:200
	buffer_load_dword v35, off, s[0:3], 0 offset:204
	;; [unrolled: 1-line block ×18, first 2 shown]
	v_cmp_lt_u32_e32 vcc, 4, v0
	s_waitcnt vmcnt(57) lgkmcnt(7)
	v_mul_f32_e32 v148, v116, v115
	s_waitcnt vmcnt(56)
	v_mul_f32_e32 v149, v118, v114
	s_waitcnt vmcnt(55) lgkmcnt(6)
	v_mul_f32_e32 v150, v120, v113
	s_waitcnt vmcnt(54)
	v_mul_f32_e32 v151, v122, v112
	s_waitcnt vmcnt(53) lgkmcnt(5)
	v_mul_f32_e32 v152, v124, v111
	s_waitcnt vmcnt(52)
	v_mul_f32_e32 v153, v126, v110
	s_waitcnt vmcnt(51) lgkmcnt(4)
	v_mul_f32_e32 v154, v128, v109
	s_waitcnt vmcnt(50)
	v_mul_f32_e32 v155, v130, v3
	s_waitcnt vmcnt(49) lgkmcnt(3)
	v_mul_f32_e32 v156, v132, v4
	s_waitcnt vmcnt(48)
	v_mul_f32_e32 v157, v134, v5
	s_waitcnt vmcnt(47) lgkmcnt(2)
	v_mul_f32_e32 v158, v136, v6
	s_waitcnt vmcnt(46)
	v_mul_f32_e32 v159, v138, v7
	s_waitcnt vmcnt(45)
	v_fmac_f32_e32 v150, v121, v8
	s_waitcnt vmcnt(44)
	v_fmac_f32_e32 v149, v119, v9
	;; [unrolled: 2-line block ×3, first 2 shown]
	v_add_f32_e32 v148, 0, v148
	v_add_f32_e32 v148, v148, v149
	;; [unrolled: 1-line block ×3, first 2 shown]
	s_waitcnt vmcnt(39)
	v_fmac_f32_e32 v151, v123, v14
	v_fmac_f32_e32 v152, v125, v13
	v_add_f32_e32 v148, v148, v151
	v_fmac_f32_e32 v153, v127, v12
	v_add_f32_e32 v148, v148, v152
	;; [unrolled: 2-line block ×3, first 2 shown]
	s_waitcnt vmcnt(35)
	v_fmac_f32_e32 v155, v131, v18
	v_add_f32_e32 v148, v148, v154
	v_fmac_f32_e32 v156, v133, v17
	v_add_f32_e32 v148, v148, v155
	;; [unrolled: 2-line block ×4, first 2 shown]
	s_waitcnt vmcnt(31)
	v_fmac_f32_e32 v159, v139, v22
	v_add_f32_e32 v148, v148, v158
	s_waitcnt vmcnt(30) lgkmcnt(1)
	v_mul_f32_e32 v149, v140, v23
	v_add_f32_e32 v148, v148, v159
	v_fmac_f32_e32 v149, v141, v21
	v_add_f32_e32 v148, v148, v149
	s_waitcnt vmcnt(29)
	v_mul_f32_e32 v149, v142, v24
	v_fmac_f32_e32 v149, v143, v20
	v_add_f32_e32 v148, v148, v149
	s_waitcnt vmcnt(28) lgkmcnt(0)
	v_mul_f32_e32 v149, v144, v25
	v_fmac_f32_e32 v149, v145, v19
	v_add_f32_e32 v152, v148, v149
	ds_read_b128 v[148:151], v106 offset:592
	buffer_load_dword v221, off, s[0:3], 0 offset:272
	buffer_load_dword v222, off, s[0:3], 0 offset:276
	;; [unrolled: 1-line block ×6, first 2 shown]
	s_waitcnt vmcnt(33)
	v_mul_f32_e32 v153, v146, v26
	s_waitcnt vmcnt(30)
	v_fmac_f32_e32 v153, v147, v27
	v_add_f32_e32 v156, v152, v153
	ds_read_b128 v[152:155], v106 offset:608
	buffer_load_dword v227, off, s[0:3], 0 offset:296
	buffer_load_dword v228, off, s[0:3], 0 offset:300
	;; [unrolled: 1-line block ×10, first 2 shown]
	s_waitcnt vmcnt(39) lgkmcnt(1)
	v_mul_f32_e32 v157, v148, v28
	buffer_load_dword v237, off, s[0:3], 0 offset:336
	buffer_load_dword v238, off, s[0:3], 0 offset:340
	;; [unrolled: 1-line block ×6, first 2 shown]
	s_waitcnt vmcnt(40)
	v_fmac_f32_e32 v157, v149, v33
	v_add_f32_e32 v156, v156, v157
	v_mul_f32_e32 v157, v150, v30
	v_fmac_f32_e32 v157, v151, v29
	v_add_f32_e32 v156, v156, v157
	s_waitcnt lgkmcnt(0)
	v_mul_f32_e32 v157, v152, v32
	v_fmac_f32_e32 v157, v153, v31
	v_add_f32_e32 v160, v156, v157
	ds_read_b128 v[156:159], v106 offset:624
	buffer_load_dword v243, off, s[0:3], 0 offset:360
	buffer_load_dword v244, off, s[0:3], 0 offset:364
	s_waitcnt vmcnt(40)
	v_mul_f32_e32 v161, v154, v35
	v_fmac_f32_e32 v161, v155, v34
	v_add_f32_e32 v164, v160, v161
	ds_read_b128 v[160:163], v106 offset:640
	buffer_load_dword v245, off, s[0:3], 0 offset:368
	buffer_load_dword v246, off, s[0:3], 0 offset:372
	;; [unrolled: 1-line block ×12, first 2 shown]
	s_waitcnt vmcnt(50) lgkmcnt(1)
	v_mul_f32_e32 v165, v156, v37
	v_fmac_f32_e32 v165, v157, v36
	v_add_f32_e32 v164, v164, v165
	s_waitcnt vmcnt(48)
	v_mul_f32_e32 v165, v158, v208
	v_fmac_f32_e32 v165, v159, v38
	v_add_f32_e32 v40, v164, v165
	s_waitcnt vmcnt(46) lgkmcnt(0)
	v_mul_f32_e32 v164, v160, v210
	v_fmac_f32_e32 v164, v161, v209
	v_add_f32_e32 v40, v40, v164
	ds_read_b128 v[164:167], v106 offset:656
	s_waitcnt vmcnt(44)
	v_mul_f32_e32 v168, v162, v212
	v_fmac_f32_e32 v168, v163, v211
	v_add_f32_e32 v40, v40, v168
	ds_read_b128 v[168:171], v106 offset:672
	s_waitcnt vmcnt(42) lgkmcnt(1)
	v_mul_f32_e32 v172, v164, v214
	v_fmac_f32_e32 v172, v165, v213
	v_add_f32_e32 v40, v40, v172
	s_waitcnt vmcnt(41)
	v_mul_f32_e32 v172, v166, v215
	s_waitcnt vmcnt(38)
	v_fmac_f32_e32 v172, v167, v218
	v_add_f32_e32 v40, v40, v172
	s_waitcnt lgkmcnt(0)
	v_mul_f32_e32 v172, v168, v217
	v_fmac_f32_e32 v172, v169, v216
	v_add_f32_e32 v40, v40, v172
	ds_read_b128 v[172:175], v106 offset:688
	s_waitcnt vmcnt(36)
	v_mul_f32_e32 v176, v170, v220
	v_fmac_f32_e32 v176, v171, v219
	v_add_f32_e32 v40, v40, v176
	ds_read_b128 v[176:179], v106 offset:704
	v_mul_f32_e32 v3, v131, v3
	v_fma_f32 v3, v130, v18, -v3
	v_mul_f32_e32 v4, v133, v4
	v_fma_f32 v4, v132, v17, -v4
	s_waitcnt vmcnt(34) lgkmcnt(1)
	v_mul_f32_e32 v180, v172, v222
	v_fmac_f32_e32 v180, v173, v221
	v_add_f32_e32 v40, v40, v180
	s_waitcnt vmcnt(33)
	v_mul_f32_e32 v180, v174, v223
	s_waitcnt vmcnt(30)
	v_fmac_f32_e32 v180, v175, v226
	v_add_f32_e32 v40, v40, v180
	s_waitcnt lgkmcnt(0)
	v_mul_f32_e32 v180, v176, v225
	v_fmac_f32_e32 v180, v177, v224
	v_add_f32_e32 v40, v40, v180
	ds_read_b128 v[180:183], v106 offset:720
	s_waitcnt vmcnt(28)
	v_mul_f32_e32 v184, v178, v228
	v_fmac_f32_e32 v184, v179, v227
	v_add_f32_e32 v40, v40, v184
	ds_read_b128 v[184:187], v106 offset:736
	s_waitcnt vmcnt(26) lgkmcnt(1)
	v_mul_f32_e32 v188, v180, v230
	v_fmac_f32_e32 v188, v181, v229
	v_add_f32_e32 v40, v40, v188
	s_waitcnt vmcnt(25)
	v_mul_f32_e32 v188, v182, v231
	s_waitcnt vmcnt(22)
	v_fmac_f32_e32 v188, v183, v234
	v_add_f32_e32 v40, v40, v188
	s_waitcnt lgkmcnt(0)
	v_mul_f32_e32 v188, v184, v233
	v_fmac_f32_e32 v188, v185, v232
	v_add_f32_e32 v40, v40, v188
	ds_read_b128 v[188:191], v106 offset:752
	s_waitcnt vmcnt(20)
	v_mul_f32_e32 v192, v186, v236
	v_fmac_f32_e32 v192, v187, v235
	v_add_f32_e32 v40, v40, v192
	ds_read_b128 v[192:195], v106 offset:768
	;; [unrolled: 19-line block ×3, first 2 shown]
	s_waitcnt vmcnt(10) lgkmcnt(1)
	v_mul_f32_e32 v204, v196, v246
	v_fmac_f32_e32 v204, v197, v245
	v_add_f32_e32 v40, v40, v204
	s_waitcnt vmcnt(9)
	v_mul_f32_e32 v204, v198, v247
	s_waitcnt vmcnt(6)
	v_fmac_f32_e32 v204, v199, v250
	v_add_f32_e32 v40, v40, v204
	ds_read_b128 v[204:207], v106 offset:816
	s_waitcnt lgkmcnt(1)
	v_mul_f32_e32 v41, v200, v249
	v_fmac_f32_e32 v41, v201, v248
	v_add_f32_e32 v40, v40, v41
	s_waitcnt vmcnt(4)
	v_mul_f32_e32 v41, v202, v252
	v_fmac_f32_e32 v41, v203, v251
	v_add_f32_e32 v40, v40, v41
	s_waitcnt vmcnt(3) lgkmcnt(0)
	v_mul_f32_e32 v41, v204, v253
	s_waitcnt vmcnt(0)
	v_fmac_f32_e32 v41, v205, v39
	v_add_f32_e32 v40, v40, v41
	v_mul_f32_e32 v41, v206, v255
	v_fmac_f32_e32 v41, v207, v254
	v_add_f32_e32 v40, v40, v41
	v_mul_f32_e32 v41, v117, v115
	v_fma_f32 v10, v116, v10, -v41
	v_mul_f32_e32 v41, v119, v114
	v_add_f32_e32 v10, 0, v10
	v_fma_f32 v9, v118, v9, -v41
	v_add_f32_e32 v9, v10, v9
	v_mul_f32_e32 v10, v121, v113
	v_fma_f32 v8, v120, v8, -v10
	v_add_f32_e32 v8, v9, v8
	v_mul_f32_e32 v9, v123, v112
	;; [unrolled: 3-line block ×5, first 2 shown]
	v_fma_f32 v9, v128, v11, -v9
	v_add_f32_e32 v8, v8, v9
	v_add_f32_e32 v3, v8, v3
	;; [unrolled: 1-line block ×3, first 2 shown]
	v_mul_f32_e32 v4, v135, v5
	v_fma_f32 v4, v134, v16, -v4
	v_add_f32_e32 v3, v3, v4
	v_mul_f32_e32 v4, v137, v6
	v_fma_f32 v4, v136, v15, -v4
	v_add_f32_e32 v3, v3, v4
	v_mul_f32_e32 v4, v139, v7
	v_fma_f32 v4, v138, v22, -v4
	v_add_f32_e32 v3, v3, v4
	v_mul_f32_e32 v4, v141, v23
	v_fma_f32 v4, v140, v21, -v4
	v_add_f32_e32 v3, v3, v4
	v_mul_f32_e32 v4, v143, v24
	v_fma_f32 v4, v142, v20, -v4
	v_add_f32_e32 v3, v3, v4
	v_mul_f32_e32 v4, v145, v25
	v_fma_f32 v4, v144, v19, -v4
	v_add_f32_e32 v3, v3, v4
	v_mul_f32_e32 v4, v147, v26
	v_fma_f32 v4, v146, v27, -v4
	v_add_f32_e32 v3, v3, v4
	v_mul_f32_e32 v4, v149, v28
	v_fma_f32 v4, v148, v33, -v4
	v_add_f32_e32 v3, v3, v4
	v_mul_f32_e32 v4, v151, v30
	v_fma_f32 v4, v150, v29, -v4
	v_add_f32_e32 v3, v3, v4
	v_mul_f32_e32 v4, v153, v32
	v_fma_f32 v4, v152, v31, -v4
	v_add_f32_e32 v3, v3, v4
	v_mul_f32_e32 v4, v155, v35
	v_fma_f32 v4, v154, v34, -v4
	v_add_f32_e32 v3, v3, v4
	v_mul_f32_e32 v4, v157, v37
	v_fma_f32 v4, v156, v36, -v4
	v_add_f32_e32 v3, v3, v4
	v_mul_f32_e32 v4, v159, v208
	v_fma_f32 v4, v158, v38, -v4
	v_add_f32_e32 v3, v3, v4
	v_mul_f32_e32 v4, v161, v210
	v_fma_f32 v4, v160, v209, -v4
	v_add_f32_e32 v3, v3, v4
	v_mul_f32_e32 v4, v163, v212
	v_fma_f32 v4, v162, v211, -v4
	v_add_f32_e32 v3, v3, v4
	v_mul_f32_e32 v4, v165, v214
	v_fma_f32 v4, v164, v213, -v4
	v_add_f32_e32 v3, v3, v4
	v_mul_f32_e32 v4, v167, v215
	v_fma_f32 v4, v166, v218, -v4
	v_add_f32_e32 v3, v3, v4
	v_mul_f32_e32 v4, v169, v217
	v_fma_f32 v4, v168, v216, -v4
	v_add_f32_e32 v3, v3, v4
	v_mul_f32_e32 v4, v171, v220
	v_fma_f32 v4, v170, v219, -v4
	v_add_f32_e32 v3, v3, v4
	v_mul_f32_e32 v4, v173, v222
	v_fma_f32 v4, v172, v221, -v4
	v_add_f32_e32 v3, v3, v4
	v_mul_f32_e32 v4, v175, v223
	v_fma_f32 v4, v174, v226, -v4
	v_add_f32_e32 v3, v3, v4
	v_mul_f32_e32 v4, v177, v225
	v_fma_f32 v4, v176, v224, -v4
	v_add_f32_e32 v3, v3, v4
	v_mul_f32_e32 v4, v179, v228
	v_fma_f32 v4, v178, v227, -v4
	v_add_f32_e32 v3, v3, v4
	v_mul_f32_e32 v4, v181, v230
	v_fma_f32 v4, v180, v229, -v4
	v_add_f32_e32 v3, v3, v4
	v_mul_f32_e32 v4, v183, v231
	v_fma_f32 v4, v182, v234, -v4
	v_add_f32_e32 v3, v3, v4
	v_mul_f32_e32 v4, v185, v233
	v_fma_f32 v4, v184, v232, -v4
	v_add_f32_e32 v3, v3, v4
	v_mul_f32_e32 v4, v187, v236
	v_fma_f32 v4, v186, v235, -v4
	v_add_f32_e32 v3, v3, v4
	v_mul_f32_e32 v4, v189, v238
	v_fma_f32 v4, v188, v237, -v4
	v_add_f32_e32 v3, v3, v4
	v_mul_f32_e32 v4, v191, v239
	v_fma_f32 v4, v190, v242, -v4
	v_add_f32_e32 v3, v3, v4
	v_mul_f32_e32 v4, v193, v241
	v_fma_f32 v4, v192, v240, -v4
	v_add_f32_e32 v3, v3, v4
	v_mul_f32_e32 v4, v195, v244
	v_fma_f32 v4, v194, v243, -v4
	v_add_f32_e32 v3, v3, v4
	v_mul_f32_e32 v4, v197, v246
	v_fma_f32 v4, v196, v245, -v4
	v_add_f32_e32 v3, v3, v4
	v_mul_f32_e32 v4, v199, v247
	v_fma_f32 v4, v198, v250, -v4
	v_add_f32_e32 v3, v3, v4
	v_mul_f32_e32 v4, v201, v249
	v_fma_f32 v4, v200, v248, -v4
	v_add_f32_e32 v3, v3, v4
	v_mul_f32_e32 v4, v203, v252
	v_fma_f32 v4, v202, v251, -v4
	v_add_f32_e32 v3, v3, v4
	v_mul_f32_e32 v4, v205, v253
	v_fma_f32 v4, v204, v39, -v4
	v_add_f32_e32 v3, v3, v4
	v_mul_f32_e32 v4, v207, v255
	v_fma_f32 v4, v206, v254, -v4
	v_add_f32_e32 v3, v3, v4
	v_sub_f32_e32 v3, v107, v3
	v_sub_f32_e32 v4, v108, v40
	buffer_store_dword v3, off, s[0:3], 0 offset:40
	buffer_store_dword v4, off, s[0:3], 0 offset:44
	s_and_saveexec_b64 s[4:5], vcc
	s_cbranch_execz .LBB115_317
; %bb.316:
	buffer_load_dword v106, off, s[0:3], 0 offset:32
	buffer_load_dword v107, off, s[0:3], 0 offset:36
	v_mov_b32_e32 v3, 0
	buffer_store_dword v3, off, s[0:3], 0 offset:32
	buffer_store_dword v3, off, s[0:3], 0 offset:36
	s_waitcnt vmcnt(2)
	ds_write_b64 v105, v[106:107]
.LBB115_317:
	s_or_b64 exec, exec, s[4:5]
	s_waitcnt lgkmcnt(0)
	; wave barrier
	buffer_load_dword v113, off, s[0:3], 0 offset:44
	buffer_load_dword v112, off, s[0:3], 0 offset:52
	;; [unrolled: 1-line block ×48, first 2 shown]
	v_mov_b32_e32 v106, 0
	ds_read2_b64 v[116:119], v106 offset0:57 offset1:58
	ds_read2_b64 v[120:123], v106 offset0:59 offset1:60
	ds_read2_b64 v[124:127], v106 offset0:61 offset1:62
	ds_read2_b64 v[128:131], v106 offset0:63 offset1:64
	ds_read2_b64 v[132:135], v106 offset0:65 offset1:66
	ds_read2_b64 v[136:139], v106 offset0:67 offset1:68
	ds_read2_b64 v[140:143], v106 offset0:69 offset1:70
	v_cmp_lt_u32_e32 vcc, 3, v0
	s_waitcnt vmcnt(47) lgkmcnt(6)
	v_mul_f32_e32 v42, v116, v113
	s_waitcnt vmcnt(46)
	v_mul_f32_e32 v144, v118, v112
	s_waitcnt vmcnt(45) lgkmcnt(5)
	v_mul_f32_e32 v145, v120, v111
	s_waitcnt vmcnt(44)
	v_mul_f32_e32 v146, v122, v110
	;; [unrolled: 4-line block ×6, first 2 shown]
	s_waitcnt vmcnt(35)
	v_fmac_f32_e32 v145, v121, v8
	s_waitcnt vmcnt(34)
	v_fmac_f32_e32 v144, v119, v9
	;; [unrolled: 2-line block ×3, first 2 shown]
	v_add_f32_e32 v42, 0, v42
	v_add_f32_e32 v42, v42, v144
	;; [unrolled: 1-line block ×3, first 2 shown]
	s_waitcnt vmcnt(29)
	v_fmac_f32_e32 v146, v123, v14
	v_fmac_f32_e32 v147, v125, v13
	v_add_f32_e32 v42, v42, v146
	v_add_f32_e32 v42, v42, v147
	ds_read2_b64 v[144:147], v106 offset0:71 offset1:72
	buffer_load_dword v210, off, s[0:3], 0 offset:224
	buffer_load_dword v211, off, s[0:3], 0 offset:228
	v_fmac_f32_e32 v148, v127, v12
	v_fmac_f32_e32 v149, v129, v11
	v_add_f32_e32 v42, v42, v148
	buffer_load_dword v212, off, s[0:3], 0 offset:232
	buffer_load_dword v213, off, s[0:3], 0 offset:236
	;; [unrolled: 1-line block ×6, first 2 shown]
	s_waitcnt vmcnt(33)
	v_fmac_f32_e32 v150, v131, v18
	v_add_f32_e32 v42, v42, v149
	v_fmac_f32_e32 v151, v133, v17
	v_add_f32_e32 v42, v42, v150
	;; [unrolled: 2-line block ×4, first 2 shown]
	s_waitcnt vmcnt(29)
	v_fmac_f32_e32 v154, v139, v22
	v_add_f32_e32 v42, v42, v153
	s_waitcnt vmcnt(28) lgkmcnt(1)
	v_mul_f32_e32 v148, v140, v23
	buffer_load_dword v218, off, s[0:3], 0 offset:256
	buffer_load_dword v219, off, s[0:3], 0 offset:260
	v_add_f32_e32 v42, v42, v154
	v_fmac_f32_e32 v148, v141, v21
	v_add_f32_e32 v42, v42, v148
	s_waitcnt vmcnt(29)
	v_mul_f32_e32 v148, v142, v24
	v_fmac_f32_e32 v148, v143, v20
	v_add_f32_e32 v42, v42, v148
	s_waitcnt vmcnt(28) lgkmcnt(0)
	v_mul_f32_e32 v148, v144, v25
	v_fmac_f32_e32 v148, v145, v19
	v_add_f32_e32 v42, v42, v148
	ds_read2_b64 v[148:151], v106 offset0:73 offset1:74
	buffer_load_dword v220, off, s[0:3], 0 offset:264
	buffer_load_dword v221, off, s[0:3], 0 offset:268
	;; [unrolled: 1-line block ×6, first 2 shown]
	s_waitcnt vmcnt(33)
	v_mul_f32_e32 v152, v146, v26
	s_waitcnt vmcnt(26)
	v_fmac_f32_e32 v152, v147, v33
	v_add_f32_e32 v42, v42, v152
	ds_read2_b64 v[152:155], v106 offset0:75 offset1:76
	buffer_load_dword v226, off, s[0:3], 0 offset:288
	buffer_load_dword v227, off, s[0:3], 0 offset:292
	;; [unrolled: 1-line block ×8, first 2 shown]
	s_waitcnt lgkmcnt(1)
	v_mul_f32_e32 v156, v148, v28
	buffer_load_dword v234, off, s[0:3], 0 offset:320
	buffer_load_dword v235, off, s[0:3], 0 offset:324
	v_fmac_f32_e32 v156, v149, v27
	v_add_f32_e32 v42, v42, v156
	v_mul_f32_e32 v156, v150, v30
	v_fmac_f32_e32 v156, v151, v29
	v_add_f32_e32 v42, v42, v156
	s_waitcnt lgkmcnt(0)
	v_mul_f32_e32 v156, v152, v32
	v_fmac_f32_e32 v156, v153, v31
	v_add_f32_e32 v42, v42, v156
	ds_read2_b64 v[156:159], v106 offset0:77 offset1:78
	buffer_load_dword v236, off, s[0:3], 0 offset:328
	buffer_load_dword v237, off, s[0:3], 0 offset:332
	;; [unrolled: 1-line block ×6, first 2 shown]
	s_waitcnt vmcnt(38)
	v_mul_f32_e32 v160, v154, v35
	v_fmac_f32_e32 v160, v155, v34
	v_add_f32_e32 v42, v42, v160
	ds_read2_b64 v[160:163], v106 offset0:79 offset1:80
	buffer_load_dword v242, off, s[0:3], 0 offset:352
	buffer_load_dword v243, off, s[0:3], 0 offset:356
	;; [unrolled: 1-line block ×16, first 2 shown]
	s_waitcnt vmcnt(52) lgkmcnt(1)
	v_mul_f32_e32 v164, v156, v37
	v_fmac_f32_e32 v164, v157, v36
	v_add_f32_e32 v42, v42, v164
	s_waitcnt vmcnt(50)
	v_mul_f32_e32 v164, v158, v39
	v_fmac_f32_e32 v164, v159, v38
	v_add_f32_e32 v42, v42, v164
	s_waitcnt vmcnt(48) lgkmcnt(0)
	v_mul_f32_e32 v164, v160, v41
	v_fmac_f32_e32 v164, v161, v40
	v_add_f32_e32 v42, v42, v164
	ds_read2_b64 v[164:167], v106 offset0:81 offset1:82
	v_mul_f32_e32 v3, v131, v3
	v_fma_f32 v3, v130, v18, -v3
	v_mul_f32_e32 v4, v133, v4
	v_fma_f32 v4, v132, v17, -v4
	s_waitcnt vmcnt(46)
	v_mul_f32_e32 v168, v162, v211
	v_fmac_f32_e32 v168, v163, v210
	v_add_f32_e32 v42, v42, v168
	ds_read2_b64 v[168:171], v106 offset0:83 offset1:84
	s_waitcnt vmcnt(44) lgkmcnt(1)
	v_mul_f32_e32 v172, v164, v213
	v_fmac_f32_e32 v172, v165, v212
	v_add_f32_e32 v42, v42, v172
	s_waitcnt vmcnt(43)
	v_mul_f32_e32 v172, v166, v214
	s_waitcnt vmcnt(40)
	v_fmac_f32_e32 v172, v167, v217
	v_add_f32_e32 v42, v42, v172
	s_waitcnt lgkmcnt(0)
	v_mul_f32_e32 v172, v168, v216
	v_fmac_f32_e32 v172, v169, v215
	v_add_f32_e32 v42, v42, v172
	ds_read2_b64 v[172:175], v106 offset0:85 offset1:86
	s_waitcnt vmcnt(38)
	v_mul_f32_e32 v176, v170, v219
	v_fmac_f32_e32 v176, v171, v218
	v_add_f32_e32 v42, v42, v176
	ds_read2_b64 v[176:179], v106 offset0:87 offset1:88
	s_waitcnt vmcnt(36) lgkmcnt(1)
	v_mul_f32_e32 v180, v172, v221
	v_fmac_f32_e32 v180, v173, v220
	v_add_f32_e32 v42, v42, v180
	s_waitcnt vmcnt(35)
	v_mul_f32_e32 v180, v174, v222
	s_waitcnt vmcnt(32)
	v_fmac_f32_e32 v180, v175, v225
	v_add_f32_e32 v42, v42, v180
	s_waitcnt lgkmcnt(0)
	v_mul_f32_e32 v180, v176, v224
	v_fmac_f32_e32 v180, v177, v223
	v_add_f32_e32 v42, v42, v180
	ds_read2_b64 v[180:183], v106 offset0:89 offset1:90
	;; [unrolled: 19-line block ×5, first 2 shown]
	s_waitcnt vmcnt(6)
	v_mul_f32_e32 v208, v202, v251
	v_fmac_f32_e32 v208, v203, v250
	v_add_f32_e32 v42, v42, v208
	ds_read_b64 v[208:209], v106 offset:824
	s_waitcnt vmcnt(4) lgkmcnt(1)
	v_mul_f32_e32 v45, v204, v253
	v_fmac_f32_e32 v45, v205, v252
	v_add_f32_e32 v42, v42, v45
	s_waitcnt vmcnt(3)
	v_mul_f32_e32 v45, v206, v254
	s_waitcnt vmcnt(0)
	v_fmac_f32_e32 v45, v207, v44
	v_add_f32_e32 v42, v42, v45
	s_waitcnt lgkmcnt(0)
	v_mul_f32_e32 v45, v208, v43
	v_fmac_f32_e32 v45, v209, v255
	v_add_f32_e32 v42, v42, v45
	v_mul_f32_e32 v45, v117, v113
	v_fma_f32 v10, v116, v10, -v45
	v_mul_f32_e32 v45, v119, v112
	v_add_f32_e32 v10, 0, v10
	v_fma_f32 v9, v118, v9, -v45
	v_add_f32_e32 v9, v10, v9
	v_mul_f32_e32 v10, v121, v111
	v_fma_f32 v8, v120, v8, -v10
	v_add_f32_e32 v8, v9, v8
	v_mul_f32_e32 v9, v123, v110
	;; [unrolled: 3-line block ×5, first 2 shown]
	v_fma_f32 v9, v128, v11, -v9
	v_add_f32_e32 v8, v8, v9
	v_add_f32_e32 v3, v8, v3
	;; [unrolled: 1-line block ×3, first 2 shown]
	v_mul_f32_e32 v4, v135, v5
	v_fma_f32 v4, v134, v16, -v4
	v_add_f32_e32 v3, v3, v4
	v_mul_f32_e32 v4, v137, v6
	v_fma_f32 v4, v136, v15, -v4
	v_add_f32_e32 v3, v3, v4
	;; [unrolled: 3-line block ×38, first 2 shown]
	v_sub_f32_e32 v3, v114, v3
	v_sub_f32_e32 v4, v115, v42
	buffer_store_dword v3, off, s[0:3], 0 offset:32
	buffer_store_dword v4, off, s[0:3], 0 offset:36
	s_and_saveexec_b64 s[4:5], vcc
	s_cbranch_execz .LBB115_319
; %bb.318:
	buffer_load_dword v107, off, s[0:3], 0 offset:24
	buffer_load_dword v108, off, s[0:3], 0 offset:28
	s_waitcnt vmcnt(0)
	ds_write_b64 v105, v[107:108]
	buffer_store_dword v106, off, s[0:3], 0 offset:24
	buffer_store_dword v106, off, s[0:3], 0 offset:28
.LBB115_319:
	s_or_b64 exec, exec, s[4:5]
	s_waitcnt lgkmcnt(0)
	; wave barrier
	buffer_load_dword v113, off, s[0:3], 0 offset:36
	buffer_load_dword v112, off, s[0:3], 0 offset:44
	;; [unrolled: 1-line block ×40, first 2 shown]
	ds_read_b128 v[144:147], v106 offset:448
	ds_read_b128 v[148:151], v106 offset:464
	;; [unrolled: 1-line block ×7, first 2 shown]
	buffer_load_dword v6, off, s[0:3], 0 offset:184
	buffer_load_dword v7, off, s[0:3], 0 offset:188
	;; [unrolled: 1-line block ×8, first 2 shown]
	v_cmp_lt_u32_e32 vcc, 2, v0
	s_waitcnt vmcnt(47) lgkmcnt(6)
	v_mul_f32_e32 v14, v144, v113
	s_waitcnt vmcnt(46)
	v_mul_f32_e32 v15, v146, v112
	s_waitcnt vmcnt(45) lgkmcnt(5)
	v_mul_f32_e32 v16, v148, v111
	s_waitcnt vmcnt(44)
	v_mul_f32_e32 v17, v150, v110
	;; [unrolled: 4-line block ×6, first 2 shown]
	s_waitcnt vmcnt(35)
	v_fmac_f32_e32 v16, v149, v126
	s_waitcnt vmcnt(34)
	v_fmac_f32_e32 v15, v147, v129
	;; [unrolled: 2-line block ×3, first 2 shown]
	v_add_f32_e32 v14, 0, v14
	v_add_f32_e32 v14, v14, v15
	;; [unrolled: 1-line block ×3, first 2 shown]
	buffer_load_dword v15, off, s[0:3], 0 offset:216
	buffer_load_dword v16, off, s[0:3], 0 offset:220
	s_waitcnt vmcnt(31)
	v_fmac_f32_e32 v17, v151, v131
	v_fmac_f32_e32 v18, v153, v128
	v_add_f32_e32 v14, v14, v17
	v_fmac_f32_e32 v19, v155, v125
	v_add_f32_e32 v14, v14, v18
	;; [unrolled: 2-line block ×3, first 2 shown]
	s_waitcnt vmcnt(27)
	v_fmac_f32_e32 v21, v159, v127
	v_add_f32_e32 v14, v14, v20
	v_fmac_f32_e32 v22, v161, v124
	v_add_f32_e32 v14, v14, v21
	;; [unrolled: 2-line block ×4, first 2 shown]
	ds_read_b128 v[172:175], v106 offset:560
	s_waitcnt vmcnt(23)
	v_fmac_f32_e32 v25, v167, v139
	v_add_f32_e32 v14, v14, v24
	s_waitcnt vmcnt(22) lgkmcnt(1)
	v_mul_f32_e32 v17, v168, v138
	v_add_f32_e32 v14, v14, v25
	v_fmac_f32_e32 v17, v169, v135
	v_add_f32_e32 v14, v14, v17
	s_waitcnt vmcnt(21)
	v_mul_f32_e32 v17, v170, v136
	v_fmac_f32_e32 v17, v171, v133
	v_add_f32_e32 v14, v14, v17
	s_waitcnt vmcnt(20) lgkmcnt(0)
	v_mul_f32_e32 v17, v172, v134
	v_fmac_f32_e32 v17, v173, v130
	v_add_f32_e32 v14, v14, v17
	buffer_load_dword v17, off, s[0:3], 0 offset:224
	buffer_load_dword v18, off, s[0:3], 0 offset:228
	;; [unrolled: 1-line block ×6, first 2 shown]
	s_waitcnt vmcnt(25)
	v_mul_f32_e32 v23, v174, v137
	s_waitcnt vmcnt(18)
	v_fmac_f32_e32 v23, v175, v5
	ds_read_b128 v[176:179], v106 offset:576
	v_add_f32_e32 v14, v14, v23
	buffer_load_dword v23, off, s[0:3], 0 offset:248
	buffer_load_dword v24, off, s[0:3], 0 offset:252
	ds_read_b128 v[180:183], v106 offset:592
	buffer_load_dword v26, off, s[0:3], 0 offset:256
	buffer_load_dword v27, off, s[0:3], 0 offset:260
	;; [unrolled: 1-line block ×14, first 2 shown]
	s_waitcnt lgkmcnt(1)
	v_mul_f32_e32 v25, v176, v141
	v_fmac_f32_e32 v25, v177, v140
	v_add_f32_e32 v14, v14, v25
	v_mul_f32_e32 v25, v178, v143
	buffer_load_dword v40, off, s[0:3], 0 offset:312
	buffer_load_dword v41, off, s[0:3], 0 offset:316
	v_fmac_f32_e32 v25, v179, v142
	v_add_f32_e32 v14, v14, v25
	s_waitcnt lgkmcnt(0)
	v_mul_f32_e32 v25, v180, v4
	v_fmac_f32_e32 v25, v181, v3
	v_add_f32_e32 v14, v14, v25
	s_waitcnt vmcnt(32)
	v_mul_f32_e32 v25, v182, v7
	v_fmac_f32_e32 v25, v183, v6
	ds_read_b128 v[184:187], v106 offset:608
	v_add_f32_e32 v14, v14, v25
	buffer_load_dword v25, off, s[0:3], 0 offset:320
	buffer_load_dword v42, off, s[0:3], 0 offset:324
	;; [unrolled: 1-line block ×6, first 2 shown]
	ds_read_b128 v[188:191], v106 offset:624
	buffer_load_dword v240, off, s[0:3], 0 offset:344
	buffer_load_dword v241, off, s[0:3], 0 offset:348
	;; [unrolled: 1-line block ×10, first 2 shown]
	s_waitcnt vmcnt(46) lgkmcnt(1)
	v_mul_f32_e32 v192, v184, v9
	v_fmac_f32_e32 v192, v185, v8
	v_add_f32_e32 v14, v14, v192
	s_waitcnt vmcnt(44)
	v_mul_f32_e32 v192, v186, v11
	v_fmac_f32_e32 v192, v187, v10
	v_add_f32_e32 v14, v14, v192
	s_waitcnt vmcnt(42) lgkmcnt(0)
	v_mul_f32_e32 v192, v188, v13
	buffer_load_dword v250, off, s[0:3], 0 offset:384
	buffer_load_dword v251, off, s[0:3], 0 offset:388
	buffer_load_dword v252, off, s[0:3], 0 offset:396
	buffer_load_dword v253, off, s[0:3], 0 offset:400
	buffer_load_dword v254, off, s[0:3], 0 offset:404
	buffer_load_dword v255, off, s[0:3], 0 offset:392
	v_fmac_f32_e32 v192, v189, v12
	v_add_f32_e32 v14, v14, v192
	ds_read_b128 v[192:195], v106 offset:640
	v_mul_f32_e32 v112, v147, v112
	v_fma_f32 v112, v146, v129, -v112
	v_mul_f32_e32 v111, v149, v111
	v_fma_f32 v111, v148, v126, -v111
	;; [unrolled: 2-line block ×5, first 2 shown]
	v_mul_f32_e32 v107, v157, v107
	s_waitcnt vmcnt(46)
	v_mul_f32_e32 v196, v190, v16
	v_fmac_f32_e32 v196, v191, v15
	v_add_f32_e32 v14, v14, v196
	ds_read_b128 v[196:199], v106 offset:656
	buffer_load_dword v47, off, s[0:3], 0 offset:408
	buffer_load_dword v48, off, s[0:3], 0 offset:412
	v_fma_f32 v107, v156, v123, -v107
	v_mul_f32_e32 v4, v181, v4
	v_fma_f32 v3, v180, v3, -v4
	v_mul_f32_e32 v4, v183, v7
	v_fma_f32 v4, v182, v6, -v4
	s_waitcnt vmcnt(46) lgkmcnt(1)
	v_mul_f32_e32 v200, v192, v18
	v_fmac_f32_e32 v200, v193, v17
	v_add_f32_e32 v14, v14, v200
	s_waitcnt vmcnt(45)
	v_mul_f32_e32 v200, v194, v19
	s_waitcnt vmcnt(42)
	v_fmac_f32_e32 v200, v195, v22
	v_add_f32_e32 v14, v14, v200
	s_waitcnt lgkmcnt(0)
	v_mul_f32_e32 v200, v196, v21
	v_fmac_f32_e32 v200, v197, v20
	v_add_f32_e32 v14, v14, v200
	ds_read_b128 v[200:203], v106 offset:672
	s_waitcnt vmcnt(40)
	v_mul_f32_e32 v204, v198, v24
	v_fmac_f32_e32 v204, v199, v23
	v_add_f32_e32 v14, v14, v204
	ds_read_b128 v[204:207], v106 offset:688
	s_waitcnt vmcnt(38) lgkmcnt(1)
	v_mul_f32_e32 v208, v200, v27
	v_fmac_f32_e32 v208, v201, v26
	v_add_f32_e32 v14, v14, v208
	s_waitcnt vmcnt(37)
	v_mul_f32_e32 v208, v202, v28
	s_waitcnt vmcnt(34)
	v_fmac_f32_e32 v208, v203, v31
	v_add_f32_e32 v14, v14, v208
	s_waitcnt lgkmcnt(0)
	v_mul_f32_e32 v208, v204, v30
	v_fmac_f32_e32 v208, v205, v29
	v_add_f32_e32 v14, v14, v208
	ds_read_b128 v[208:211], v106 offset:704
	s_waitcnt vmcnt(32)
	v_mul_f32_e32 v212, v206, v33
	v_fmac_f32_e32 v212, v207, v32
	v_add_f32_e32 v14, v14, v212
	ds_read_b128 v[212:215], v106 offset:720
	;; [unrolled: 19-line block ×5, first 2 shown]
	s_waitcnt vmcnt(6) lgkmcnt(1)
	v_mul_f32_e32 v106, v232, v251
	v_fmac_f32_e32 v106, v233, v250
	v_add_f32_e32 v14, v14, v106
	s_waitcnt vmcnt(5)
	v_mul_f32_e32 v106, v234, v252
	s_waitcnt vmcnt(2)
	v_fmac_f32_e32 v106, v235, v255
	v_add_f32_e32 v14, v14, v106
	s_waitcnt lgkmcnt(0)
	v_mul_f32_e32 v106, v236, v254
	v_fmac_f32_e32 v106, v237, v253
	v_add_f32_e32 v14, v14, v106
	s_waitcnt vmcnt(0)
	v_mul_f32_e32 v106, v238, v48
	v_fmac_f32_e32 v106, v239, v47
	v_add_f32_e32 v14, v14, v106
	v_mul_f32_e32 v106, v145, v113
	v_fma_f32 v106, v144, v132, -v106
	v_add_f32_e32 v106, 0, v106
	v_add_f32_e32 v106, v106, v112
	;; [unrolled: 1-line block ×7, first 2 shown]
	v_mul_f32_e32 v107, v159, v116
	v_fma_f32 v107, v158, v127, -v107
	v_add_f32_e32 v106, v106, v107
	v_mul_f32_e32 v107, v161, v117
	v_fma_f32 v107, v160, v124, -v107
	v_add_f32_e32 v106, v106, v107
	;; [unrolled: 3-line block ×11, first 2 shown]
	v_add_f32_e32 v3, v5, v3
	v_add_f32_e32 v3, v3, v4
	v_mul_f32_e32 v4, v185, v9
	v_fma_f32 v4, v184, v8, -v4
	v_add_f32_e32 v3, v3, v4
	v_mul_f32_e32 v4, v187, v11
	v_fma_f32 v4, v186, v10, -v4
	;; [unrolled: 3-line block ×28, first 2 shown]
	v_add_f32_e32 v3, v3, v4
	v_sub_f32_e32 v3, v114, v3
	v_sub_f32_e32 v4, v115, v14
	buffer_store_dword v3, off, s[0:3], 0 offset:24
	buffer_store_dword v4, off, s[0:3], 0 offset:28
	s_and_saveexec_b64 s[4:5], vcc
	s_cbranch_execz .LBB115_321
; %bb.320:
	buffer_load_dword v106, off, s[0:3], 0 offset:16
	buffer_load_dword v107, off, s[0:3], 0 offset:20
	v_mov_b32_e32 v3, 0
	buffer_store_dword v3, off, s[0:3], 0 offset:16
	buffer_store_dword v3, off, s[0:3], 0 offset:20
	s_waitcnt vmcnt(2)
	ds_write_b64 v105, v[106:107]
.LBB115_321:
	s_or_b64 exec, exec, s[4:5]
	s_waitcnt lgkmcnt(0)
	; wave barrier
	buffer_load_dword v113, off, s[0:3], 0 offset:28
	buffer_load_dword v112, off, s[0:3], 0 offset:36
	;; [unrolled: 1-line block ×50, first 2 shown]
	v_mov_b32_e32 v106, 0
	ds_read2_b64 v[120:123], v106 offset0:55 offset1:56
	ds_read2_b64 v[124:127], v106 offset0:57 offset1:58
	;; [unrolled: 1-line block ×7, first 2 shown]
	v_cmp_lt_u32_e32 vcc, 1, v0
	s_waitcnt vmcnt(49) lgkmcnt(6)
	v_mul_f32_e32 v40, v120, v113
	s_waitcnt vmcnt(48)
	v_mul_f32_e32 v41, v122, v112
	s_waitcnt vmcnt(47) lgkmcnt(5)
	v_mul_f32_e32 v42, v124, v111
	s_waitcnt vmcnt(46)
	v_mul_f32_e32 v43, v126, v110
	;; [unrolled: 4-line block ×5, first 2 shown]
	s_waitcnt vmcnt(39) lgkmcnt(1)
	v_mul_f32_e32 v149, v140, v119
	s_waitcnt vmcnt(38)
	v_fmac_f32_e32 v42, v125, v3
	s_waitcnt vmcnt(37)
	v_fmac_f32_e32 v41, v123, v4
	;; [unrolled: 2-line block ×3, first 2 shown]
	v_add_f32_e32 v40, 0, v40
	v_add_f32_e32 v40, v40, v41
	;; [unrolled: 1-line block ×3, first 2 shown]
	s_waitcnt vmcnt(32)
	v_fmac_f32_e32 v43, v127, v9
	v_fmac_f32_e32 v44, v129, v8
	v_add_f32_e32 v40, v40, v43
	v_fmac_f32_e32 v45, v131, v7
	v_add_f32_e32 v40, v40, v44
	;; [unrolled: 2-line block ×3, first 2 shown]
	s_waitcnt vmcnt(28)
	v_fmac_f32_e32 v47, v135, v13
	v_add_f32_e32 v40, v40, v46
	v_fmac_f32_e32 v48, v137, v12
	v_add_f32_e32 v40, v40, v47
	;; [unrolled: 2-line block ×4, first 2 shown]
	s_waitcnt vmcnt(27)
	v_mul_f32_e32 v41, v142, v14
	v_add_f32_e32 v40, v40, v149
	s_waitcnt vmcnt(23)
	v_fmac_f32_e32 v41, v143, v18
	v_add_f32_e32 v40, v40, v41
	s_waitcnt vmcnt(22) lgkmcnt(0)
	v_mul_f32_e32 v41, v144, v19
	v_fmac_f32_e32 v41, v145, v17
	ds_read2_b64 v[148:151], v106 offset0:69 offset1:70
	v_add_f32_e32 v40, v40, v41
	buffer_load_dword v41, off, s[0:3], 0 offset:216
	buffer_load_dword v42, off, s[0:3], 0 offset:220
	ds_read2_b64 v[152:155], v106 offset0:71 offset1:72
	buffer_load_dword v44, off, s[0:3], 0 offset:228
	buffer_load_dword v45, off, s[0:3], 0 offset:232
	;; [unrolled: 1-line block ×4, first 2 shown]
	s_waitcnt vmcnt(27)
	v_mul_f32_e32 v43, v146, v20
	v_fmac_f32_e32 v43, v147, v16
	v_add_f32_e32 v40, v40, v43
	s_waitcnt vmcnt(26) lgkmcnt(1)
	v_mul_f32_e32 v43, v148, v21
	ds_read2_b64 v[156:159], v106 offset0:73 offset1:74
	buffer_load_dword v48, off, s[0:3], 0 offset:240
	buffer_load_dword v218, off, s[0:3], 0 offset:244
	v_fmac_f32_e32 v43, v149, v15
	v_add_f32_e32 v40, v40, v43
	s_waitcnt vmcnt(27)
	v_mul_f32_e32 v43, v150, v22
	s_waitcnt vmcnt(21)
	v_fmac_f32_e32 v43, v151, v28
	v_add_f32_e32 v40, v40, v43
	s_waitcnt vmcnt(20) lgkmcnt(1)
	v_mul_f32_e32 v43, v152, v29
	v_fmac_f32_e32 v43, v153, v27
	v_add_f32_e32 v40, v40, v43
	buffer_load_dword v43, off, s[0:3], 0 offset:248
	buffer_load_dword v219, off, s[0:3], 0 offset:252
	;; [unrolled: 1-line block ×14, first 2 shown]
	v_mul_f32_e32 v160, v154, v24
	v_fmac_f32_e32 v160, v155, v23
	v_add_f32_e32 v40, v40, v160
	s_waitcnt lgkmcnt(0)
	v_mul_f32_e32 v160, v156, v26
	v_fmac_f32_e32 v160, v157, v25
	v_add_f32_e32 v40, v40, v160
	ds_read2_b64 v[160:163], v106 offset0:75 offset1:76
	buffer_load_dword v232, off, s[0:3], 0 offset:304
	buffer_load_dword v233, off, s[0:3], 0 offset:308
	s_waitcnt vmcnt(32)
	v_mul_f32_e32 v164, v158, v31
	v_fmac_f32_e32 v164, v159, v30
	v_add_f32_e32 v40, v40, v164
	ds_read2_b64 v[164:167], v106 offset0:77 offset1:78
	buffer_load_dword v234, off, s[0:3], 0 offset:312
	buffer_load_dword v235, off, s[0:3], 0 offset:316
	;; [unrolled: 1-line block ×14, first 2 shown]
	s_waitcnt vmcnt(44) lgkmcnt(1)
	v_mul_f32_e32 v168, v160, v33
	v_fmac_f32_e32 v168, v161, v32
	buffer_load_dword v248, off, s[0:3], 0 offset:368
	buffer_load_dword v249, off, s[0:3], 0 offset:372
	v_add_f32_e32 v40, v40, v168
	s_waitcnt vmcnt(44)
	v_mul_f32_e32 v168, v162, v35
	v_fmac_f32_e32 v168, v163, v34
	v_add_f32_e32 v40, v40, v168
	s_waitcnt vmcnt(42) lgkmcnt(0)
	v_mul_f32_e32 v168, v164, v37
	v_fmac_f32_e32 v168, v165, v36
	v_add_f32_e32 v40, v40, v168
	ds_read2_b64 v[168:171], v106 offset0:79 offset1:80
	buffer_load_dword v250, off, s[0:3], 0 offset:376
	buffer_load_dword v251, off, s[0:3], 0 offset:380
	;; [unrolled: 1-line block ×6, first 2 shown]
	s_waitcnt vmcnt(46)
	v_mul_f32_e32 v172, v166, v39
	v_fmac_f32_e32 v172, v167, v38
	v_add_f32_e32 v40, v40, v172
	ds_read2_b64 v[172:175], v106 offset0:81 offset1:82
	buffer_load_dword v49, off, s[0:3], 0 offset:404
	buffer_load_dword v50, off, s[0:3], 0 offset:408
	;; [unrolled: 1-line block ×4, first 2 shown]
	s_waitcnt vmcnt(48) lgkmcnt(1)
	v_mul_f32_e32 v176, v168, v42
	v_fmac_f32_e32 v176, v169, v41
	v_add_f32_e32 v40, v40, v176
	s_waitcnt vmcnt(47)
	v_mul_f32_e32 v176, v170, v44
	s_waitcnt vmcnt(44)
	v_fmac_f32_e32 v176, v171, v47
	v_add_f32_e32 v40, v40, v176
	s_waitcnt lgkmcnt(0)
	v_mul_f32_e32 v176, v172, v46
	v_fmac_f32_e32 v176, v173, v45
	v_add_f32_e32 v40, v40, v176
	ds_read2_b64 v[176:179], v106 offset0:83 offset1:84
	s_waitcnt vmcnt(42)
	v_mul_f32_e32 v180, v174, v218
	v_fmac_f32_e32 v180, v175, v48
	v_add_f32_e32 v40, v40, v180
	ds_read2_b64 v[180:183], v106 offset0:85 offset1:86
	s_waitcnt vmcnt(40) lgkmcnt(1)
	v_mul_f32_e32 v184, v176, v219
	v_fmac_f32_e32 v184, v177, v43
	v_add_f32_e32 v40, v40, v184
	s_waitcnt vmcnt(39)
	v_mul_f32_e32 v184, v178, v220
	s_waitcnt vmcnt(36)
	v_fmac_f32_e32 v184, v179, v223
	v_add_f32_e32 v40, v40, v184
	s_waitcnt lgkmcnt(0)
	v_mul_f32_e32 v184, v180, v222
	v_fmac_f32_e32 v184, v181, v221
	v_add_f32_e32 v40, v40, v184
	ds_read2_b64 v[184:187], v106 offset0:87 offset1:88
	s_waitcnt vmcnt(34)
	v_mul_f32_e32 v188, v182, v225
	v_fmac_f32_e32 v188, v183, v224
	v_add_f32_e32 v40, v40, v188
	ds_read2_b64 v[188:191], v106 offset0:89 offset1:90
	;; [unrolled: 19-line block ×5, first 2 shown]
	s_waitcnt vmcnt(8) lgkmcnt(1)
	v_mul_f32_e32 v216, v208, v251
	v_fmac_f32_e32 v216, v209, v250
	v_add_f32_e32 v40, v40, v216
	s_waitcnt vmcnt(7)
	v_mul_f32_e32 v216, v210, v252
	s_waitcnt vmcnt(4)
	v_fmac_f32_e32 v216, v211, v255
	v_add_f32_e32 v40, v40, v216
	ds_read_b64 v[216:217], v106 offset:824
	s_waitcnt lgkmcnt(1)
	v_mul_f32_e32 v53, v212, v254
	v_fmac_f32_e32 v53, v213, v253
	v_add_f32_e32 v40, v40, v53
	s_waitcnt vmcnt(3)
	v_mul_f32_e32 v53, v214, v49
	s_waitcnt vmcnt(0)
	v_fmac_f32_e32 v53, v215, v52
	v_add_f32_e32 v40, v40, v53
	s_waitcnt lgkmcnt(0)
	v_mul_f32_e32 v53, v216, v51
	v_fmac_f32_e32 v53, v217, v50
	v_add_f32_e32 v40, v40, v53
	v_mul_f32_e32 v53, v121, v113
	v_fma_f32 v5, v120, v5, -v53
	v_mul_f32_e32 v53, v123, v112
	v_add_f32_e32 v5, 0, v5
	v_fma_f32 v4, v122, v4, -v53
	v_add_f32_e32 v4, v5, v4
	v_mul_f32_e32 v5, v125, v111
	v_fma_f32 v3, v124, v3, -v5
	v_add_f32_e32 v3, v4, v3
	v_mul_f32_e32 v4, v127, v110
	;; [unrolled: 3-line block ×47, first 2 shown]
	v_fma_f32 v4, v216, v50, -v4
	v_add_f32_e32 v3, v3, v4
	v_sub_f32_e32 v3, v114, v3
	v_sub_f32_e32 v4, v115, v40
	buffer_store_dword v3, off, s[0:3], 0 offset:16
	buffer_store_dword v4, off, s[0:3], 0 offset:20
	s_and_saveexec_b64 s[4:5], vcc
	s_cbranch_execz .LBB115_323
; %bb.322:
	buffer_load_dword v107, off, s[0:3], 0 offset:8
	buffer_load_dword v108, off, s[0:3], 0 offset:12
	s_waitcnt vmcnt(0)
	ds_write_b64 v105, v[107:108]
	buffer_store_dword v106, off, s[0:3], 0 offset:8
	buffer_store_dword v106, off, s[0:3], 0 offset:12
.LBB115_323:
	s_or_b64 exec, exec, s[4:5]
	s_waitcnt lgkmcnt(0)
	; wave barrier
	buffer_load_dword v113, off, s[0:3], 0 offset:20
	buffer_load_dword v112, off, s[0:3], 0 offset:28
	;; [unrolled: 1-line block ×40, first 2 shown]
	ds_read_b128 v[121:124], v106 offset:432
	ds_read_b128 v[125:128], v106 offset:448
	;; [unrolled: 1-line block ×7, first 2 shown]
	buffer_load_dword v29, off, s[0:3], 0 offset:168
	buffer_load_dword v30, off, s[0:3], 0 offset:172
	;; [unrolled: 1-line block ×10, first 2 shown]
	ds_read_b128 v[149:152], v106 offset:544
	v_cmp_ne_u32_e32 vcc, 0, v0
	s_waitcnt vmcnt(49) lgkmcnt(7)
	v_mul_f32_e32 v39, v121, v113
	s_waitcnt vmcnt(48)
	v_mul_f32_e32 v40, v123, v112
	s_waitcnt vmcnt(47) lgkmcnt(6)
	v_mul_f32_e32 v41, v125, v111
	s_waitcnt vmcnt(46)
	v_mul_f32_e32 v42, v127, v110
	;; [unrolled: 4-line block ×6, first 2 shown]
	s_waitcnt vmcnt(37)
	v_fmac_f32_e32 v41, v126, v3
	s_waitcnt vmcnt(36)
	v_fmac_f32_e32 v40, v124, v4
	;; [unrolled: 2-line block ×3, first 2 shown]
	v_add_f32_e32 v39, 0, v39
	v_add_f32_e32 v39, v39, v40
	;; [unrolled: 1-line block ×3, first 2 shown]
	s_waitcnt vmcnt(31)
	v_fmac_f32_e32 v42, v128, v9
	v_fmac_f32_e32 v43, v130, v8
	v_add_f32_e32 v39, v39, v42
	v_fmac_f32_e32 v44, v132, v7
	v_add_f32_e32 v39, v39, v43
	;; [unrolled: 2-line block ×3, first 2 shown]
	s_waitcnt vmcnt(27)
	v_fmac_f32_e32 v46, v136, v13
	v_add_f32_e32 v39, v39, v45
	v_fmac_f32_e32 v47, v138, v12
	v_add_f32_e32 v39, v39, v46
	;; [unrolled: 2-line block ×4, first 2 shown]
	v_add_f32_e32 v39, v39, v49
	s_waitcnt vmcnt(23)
	v_fmac_f32_e32 v50, v144, v17
	s_waitcnt vmcnt(22) lgkmcnt(1)
	v_mul_f32_e32 v40, v145, v18
	v_add_f32_e32 v39, v39, v50
	v_fmac_f32_e32 v40, v146, v16
	buffer_load_dword v41, off, s[0:3], 0 offset:212
	v_add_f32_e32 v39, v39, v40
	s_waitcnt vmcnt(22)
	v_mul_f32_e32 v40, v147, v19
	v_fmac_f32_e32 v40, v148, v15
	buffer_load_dword v42, off, s[0:3], 0 offset:208
	buffer_load_dword v43, off, s[0:3], 0 offset:216
	;; [unrolled: 1-line block ×3, first 2 shown]
	ds_read_b128 v[153:156], v106 offset:560
	v_add_f32_e32 v39, v39, v40
	s_waitcnt vmcnt(24) lgkmcnt(1)
	v_mul_f32_e32 v40, v149, v20
	v_fmac_f32_e32 v40, v150, v14
	v_add_f32_e32 v39, v39, v40
	s_waitcnt vmcnt(23)
	v_mul_f32_e32 v40, v151, v21
	buffer_load_dword v45, off, s[0:3], 0 offset:224
	buffer_load_dword v46, off, s[0:3], 0 offset:228
	s_waitcnt vmcnt(19)
	v_fmac_f32_e32 v40, v152, v27
	v_add_f32_e32 v39, v39, v40
	s_waitcnt vmcnt(18) lgkmcnt(0)
	v_mul_f32_e32 v40, v153, v28
	v_fmac_f32_e32 v40, v154, v26
	ds_read_b128 v[157:160], v106 offset:576
	v_add_f32_e32 v39, v39, v40
	buffer_load_dword v40, off, s[0:3], 0 offset:232
	buffer_load_dword v47, off, s[0:3], 0 offset:236
	;; [unrolled: 1-line block ×8, first 2 shown]
	v_mul_f32_e32 v48, v155, v23
	v_fmac_f32_e32 v48, v156, v22
	v_add_f32_e32 v39, v39, v48
	s_waitcnt lgkmcnt(0)
	v_mul_f32_e32 v48, v157, v25
	v_fmac_f32_e32 v48, v158, v24
	v_add_f32_e32 v39, v39, v48
	buffer_load_dword v48, off, s[0:3], 0 offset:264
	buffer_load_dword v221, off, s[0:3], 0 offset:268
	ds_read_b128 v[161:164], v106 offset:592
	buffer_load_dword v222, off, s[0:3], 0 offset:272
	buffer_load_dword v223, off, s[0:3], 0 offset:276
	;; [unrolled: 1-line block ×6, first 2 shown]
	s_waitcnt vmcnt(30)
	v_mul_f32_e32 v165, v159, v30
	v_fmac_f32_e32 v165, v160, v29
	v_add_f32_e32 v39, v39, v165
	ds_read_b128 v[165:168], v106 offset:608
	buffer_load_dword v228, off, s[0:3], 0 offset:296
	buffer_load_dword v229, off, s[0:3], 0 offset:300
	;; [unrolled: 1-line block ×10, first 2 shown]
	s_waitcnt vmcnt(38) lgkmcnt(1)
	v_mul_f32_e32 v169, v161, v32
	buffer_load_dword v238, off, s[0:3], 0 offset:336
	buffer_load_dword v239, off, s[0:3], 0 offset:340
	;; [unrolled: 1-line block ×6, first 2 shown]
	v_fmac_f32_e32 v169, v162, v31
	v_add_f32_e32 v39, v39, v169
	s_waitcnt vmcnt(42)
	v_mul_f32_e32 v169, v163, v34
	v_fmac_f32_e32 v169, v164, v33
	v_add_f32_e32 v39, v39, v169
	s_waitcnt vmcnt(40) lgkmcnt(0)
	v_mul_f32_e32 v169, v165, v36
	v_fmac_f32_e32 v169, v166, v35
	v_add_f32_e32 v39, v39, v169
	ds_read_b128 v[169:172], v106 offset:624
	buffer_load_dword v244, off, s[0:3], 0 offset:360
	buffer_load_dword v245, off, s[0:3], 0 offset:364
	s_waitcnt vmcnt(40)
	v_mul_f32_e32 v173, v167, v38
	v_fmac_f32_e32 v173, v168, v37
	v_add_f32_e32 v39, v39, v173
	ds_read_b128 v[173:176], v106 offset:640
	buffer_load_dword v246, off, s[0:3], 0 offset:368
	buffer_load_dword v247, off, s[0:3], 0 offset:372
	;; [unrolled: 1-line block ×12, first 2 shown]
	s_waitcnt vmcnt(51) lgkmcnt(1)
	v_mul_f32_e32 v177, v169, v41
	s_waitcnt vmcnt(50)
	v_fmac_f32_e32 v177, v170, v42
	v_add_f32_e32 v39, v39, v177
	s_waitcnt vmcnt(48)
	v_mul_f32_e32 v177, v171, v44
	v_fmac_f32_e32 v177, v172, v43
	v_add_f32_e32 v39, v39, v177
	s_waitcnt vmcnt(46) lgkmcnt(0)
	v_mul_f32_e32 v177, v173, v46
	v_fmac_f32_e32 v177, v174, v45
	v_add_f32_e32 v39, v39, v177
	ds_read_b128 v[177:180], v106 offset:656
	s_waitcnt vmcnt(44)
	v_mul_f32_e32 v181, v175, v47
	v_fmac_f32_e32 v181, v176, v40
	v_add_f32_e32 v39, v39, v181
	ds_read_b128 v[181:184], v106 offset:672
	s_waitcnt vmcnt(42) lgkmcnt(1)
	v_mul_f32_e32 v185, v177, v50
	v_fmac_f32_e32 v185, v178, v49
	v_add_f32_e32 v39, v39, v185
	s_waitcnt vmcnt(41)
	v_mul_f32_e32 v185, v179, v51
	s_waitcnt vmcnt(38)
	v_fmac_f32_e32 v185, v180, v54
	v_add_f32_e32 v39, v39, v185
	s_waitcnt lgkmcnt(0)
	v_mul_f32_e32 v185, v181, v53
	v_fmac_f32_e32 v185, v182, v52
	v_add_f32_e32 v39, v39, v185
	ds_read_b128 v[185:188], v106 offset:688
	s_waitcnt vmcnt(36)
	v_mul_f32_e32 v189, v183, v221
	v_fmac_f32_e32 v189, v184, v48
	v_add_f32_e32 v39, v39, v189
	ds_read_b128 v[189:192], v106 offset:704
	s_waitcnt vmcnt(34) lgkmcnt(1)
	v_mul_f32_e32 v193, v185, v223
	v_fmac_f32_e32 v193, v186, v222
	v_add_f32_e32 v39, v39, v193
	s_waitcnt vmcnt(33)
	v_mul_f32_e32 v193, v187, v224
	s_waitcnt vmcnt(30)
	v_fmac_f32_e32 v193, v188, v227
	v_add_f32_e32 v39, v39, v193
	s_waitcnt lgkmcnt(0)
	;; [unrolled: 19-line block ×4, first 2 shown]
	v_mul_f32_e32 v209, v205, v242
	v_fmac_f32_e32 v209, v206, v241
	v_add_f32_e32 v39, v39, v209
	ds_read_b128 v[209:212], v106 offset:784
	s_waitcnt vmcnt(12)
	v_mul_f32_e32 v213, v207, v245
	v_fmac_f32_e32 v213, v208, v244
	v_add_f32_e32 v39, v39, v213
	ds_read_b128 v[213:216], v106 offset:800
	s_waitcnt vmcnt(10) lgkmcnt(1)
	v_mul_f32_e32 v217, v209, v247
	v_fmac_f32_e32 v217, v210, v246
	v_add_f32_e32 v39, v39, v217
	s_waitcnt vmcnt(9)
	v_mul_f32_e32 v217, v211, v248
	s_waitcnt vmcnt(6)
	v_fmac_f32_e32 v217, v212, v251
	v_add_f32_e32 v39, v39, v217
	ds_read_b128 v[217:220], v106 offset:816
	s_waitcnt lgkmcnt(1)
	v_mul_f32_e32 v57, v213, v250
	v_fmac_f32_e32 v57, v214, v249
	v_add_f32_e32 v39, v39, v57
	s_waitcnt vmcnt(4)
	v_mul_f32_e32 v57, v215, v253
	v_fmac_f32_e32 v57, v216, v252
	v_add_f32_e32 v39, v39, v57
	s_waitcnt vmcnt(3) lgkmcnt(0)
	v_mul_f32_e32 v57, v217, v254
	s_waitcnt vmcnt(0)
	v_fmac_f32_e32 v57, v218, v56
	v_add_f32_e32 v39, v39, v57
	v_mul_f32_e32 v57, v219, v55
	v_fmac_f32_e32 v57, v220, v255
	v_add_f32_e32 v39, v39, v57
	v_mul_f32_e32 v57, v122, v113
	v_fma_f32 v5, v121, v5, -v57
	v_mul_f32_e32 v57, v124, v112
	v_add_f32_e32 v5, 0, v5
	v_fma_f32 v4, v123, v4, -v57
	v_add_f32_e32 v4, v5, v4
	v_mul_f32_e32 v5, v126, v111
	v_fma_f32 v3, v125, v3, -v5
	v_add_f32_e32 v3, v4, v3
	v_mul_f32_e32 v4, v128, v110
	;; [unrolled: 3-line block ×48, first 2 shown]
	v_fma_f32 v4, v219, v255, -v4
	v_add_f32_e32 v3, v3, v4
	v_sub_f32_e32 v3, v114, v3
	v_sub_f32_e32 v4, v115, v39
	buffer_store_dword v3, off, s[0:3], 0 offset:8
	buffer_store_dword v4, off, s[0:3], 0 offset:12
	s_and_saveexec_b64 s[4:5], vcc
	s_cbranch_execz .LBB115_325
; %bb.324:
	buffer_load_dword v106, off, s[0:3], 0
	buffer_load_dword v107, off, s[0:3], 0 offset:4
	v_mov_b32_e32 v0, 0
	buffer_store_dword v0, off, s[0:3], 0
	buffer_store_dword v0, off, s[0:3], 0 offset:4
	s_waitcnt vmcnt(2)
	ds_write_b64 v105, v[106:107]
.LBB115_325:
	s_or_b64 exec, exec, s[4:5]
	s_waitcnt lgkmcnt(0)
	; wave barrier
	buffer_load_dword v113, off, s[0:3], 0 offset:12
	buffer_load_dword v112, off, s[0:3], 0 offset:20
	buffer_load_dword v109, off, s[0:3], 0 offset:28
	buffer_load_dword v108, off, s[0:3], 0 offset:36
	buffer_load_dword v107, off, s[0:3], 0 offset:44
	buffer_load_dword v106, off, s[0:3], 0 offset:52
	buffer_load_dword v105, off, s[0:3], 0 offset:60
	buffer_load_dword v114, off, s[0:3], 0 offset:68
	buffer_load_dword v115, off, s[0:3], 0 offset:76
	buffer_load_dword v116, off, s[0:3], 0 offset:84
	buffer_load_dword v117, off, s[0:3], 0 offset:92
	buffer_load_dword v118, off, s[0:3], 0 offset:100
	buffer_load_dword v3, off, s[0:3], 0 offset:24
	buffer_load_dword v4, off, s[0:3], 0 offset:16
	buffer_load_dword v5, off, s[0:3], 0 offset:8
	buffer_load_dword v6, off, s[0:3], 0 offset:56
	buffer_load_dword v7, off, s[0:3], 0 offset:48
	buffer_load_dword v8, off, s[0:3], 0 offset:40
	buffer_load_dword v9, off, s[0:3], 0 offset:32
	buffer_load_dword v119, off, s[0:3], 0 offset:88
	buffer_load_dword v10, off, s[0:3], 0 offset:80
	buffer_load_dword v11, off, s[0:3], 0 offset:72
	buffer_load_dword v12, off, s[0:3], 0 offset:64
	buffer_load_dword v13, off, s[0:3], 0 offset:120
	buffer_load_dword v14, off, s[0:3], 0 offset:112
	buffer_load_dword v15, off, s[0:3], 0 offset:104
	buffer_load_dword v16, off, s[0:3], 0 offset:96
	buffer_load_dword v17, off, s[0:3], 0 offset:108
	buffer_load_dword v18, off, s[0:3], 0 offset:116
	buffer_load_dword v19, off, s[0:3], 0 offset:124
	buffer_load_dword v20, off, s[0:3], 0 offset:132
	buffer_load_dword v21, off, s[0:3], 0 offset:136
	buffer_load_dword v22, off, s[0:3], 0 offset:140
	buffer_load_dword v23, off, s[0:3], 0 offset:144
	buffer_load_dword v24, off, s[0:3], 0 offset:148
	buffer_load_dword v25, off, s[0:3], 0 offset:152
	buffer_load_dword v26, off, s[0:3], 0 offset:156
	buffer_load_dword v27, off, s[0:3], 0 offset:128
	buffer_load_dword v110, off, s[0:3], 0
	buffer_load_dword v111, off, s[0:3], 0 offset:4
	buffer_load_dword v28, off, s[0:3], 0 offset:160
	;; [unrolled: 1-line block ×11, first 2 shown]
	v_mov_b32_e32 v0, 0
	ds_read2_b64 v[120:123], v0 offset0:53 offset1:54
	ds_read2_b64 v[124:127], v0 offset0:55 offset1:56
	;; [unrolled: 1-line block ×7, first 2 shown]
	s_and_b64 vcc, exec, s[14:15]
	s_waitcnt vmcnt(49) lgkmcnt(6)
	v_mul_f32_e32 v38, v120, v113
	s_waitcnt vmcnt(48)
	v_mul_f32_e32 v39, v122, v112
	s_waitcnt vmcnt(47) lgkmcnt(5)
	v_mul_f32_e32 v40, v124, v109
	s_waitcnt vmcnt(46)
	v_mul_f32_e32 v41, v126, v108
	s_waitcnt vmcnt(45) lgkmcnt(4)
	v_mul_f32_e32 v42, v128, v107
	s_waitcnt vmcnt(44)
	v_mul_f32_e32 v43, v130, v106
	s_waitcnt vmcnt(43) lgkmcnt(3)
	v_mul_f32_e32 v44, v132, v105
	s_waitcnt vmcnt(42)
	v_mul_f32_e32 v45, v134, v114
	s_waitcnt vmcnt(41) lgkmcnt(2)
	v_mul_f32_e32 v46, v136, v115
	s_waitcnt vmcnt(40)
	v_mul_f32_e32 v47, v138, v116
	s_waitcnt vmcnt(39) lgkmcnt(1)
	v_mul_f32_e32 v48, v140, v117
	s_waitcnt vmcnt(38)
	v_mul_f32_e32 v49, v142, v118
	s_waitcnt vmcnt(37)
	v_fmac_f32_e32 v40, v125, v3
	s_waitcnt vmcnt(36)
	v_fmac_f32_e32 v39, v123, v4
	;; [unrolled: 2-line block ×3, first 2 shown]
	v_add_f32_e32 v38, 0, v38
	v_add_f32_e32 v38, v38, v39
	;; [unrolled: 1-line block ×3, first 2 shown]
	s_waitcnt vmcnt(31)
	v_fmac_f32_e32 v41, v127, v9
	v_fmac_f32_e32 v42, v129, v8
	v_add_f32_e32 v38, v38, v41
	v_fmac_f32_e32 v43, v131, v7
	v_add_f32_e32 v38, v38, v42
	;; [unrolled: 2-line block ×3, first 2 shown]
	s_waitcnt vmcnt(27)
	v_fmac_f32_e32 v45, v135, v12
	v_add_f32_e32 v38, v38, v44
	v_fmac_f32_e32 v46, v137, v11
	v_add_f32_e32 v38, v38, v45
	v_fmac_f32_e32 v47, v139, v10
	v_add_f32_e32 v38, v38, v46
	v_fmac_f32_e32 v48, v141, v119
	v_add_f32_e32 v38, v38, v47
	buffer_load_dword v39, off, s[0:3], 0 offset:200
	buffer_load_dword v40, off, s[0:3], 0 offset:204
	ds_read2_b64 v[148:151], v0 offset0:67 offset1:68
	v_add_f32_e32 v38, v38, v48
	s_waitcnt vmcnt(25)
	v_fmac_f32_e32 v49, v143, v16
	s_waitcnt vmcnt(24) lgkmcnt(1)
	v_mul_f32_e32 v41, v144, v17
	v_add_f32_e32 v38, v38, v49
	v_fmac_f32_e32 v41, v145, v15
	v_add_f32_e32 v38, v38, v41
	s_waitcnt vmcnt(23)
	v_mul_f32_e32 v41, v146, v18
	v_fmac_f32_e32 v41, v147, v14
	v_add_f32_e32 v38, v38, v41
	s_waitcnt vmcnt(22) lgkmcnt(0)
	v_mul_f32_e32 v41, v148, v19
	v_fmac_f32_e32 v41, v149, v13
	v_add_f32_e32 v38, v38, v41
	buffer_load_dword v41, off, s[0:3], 0 offset:212
	buffer_load_dword v42, off, s[0:3], 0 offset:208
	;; [unrolled: 1-line block ×4, first 2 shown]
	s_waitcnt vmcnt(25)
	v_mul_f32_e32 v45, v150, v20
	s_waitcnt vmcnt(18)
	v_fmac_f32_e32 v45, v151, v27
	ds_read2_b64 v[152:155], v0 offset0:69 offset1:70
	ds_read2_b64 v[156:159], v0 offset0:71 offset1:72
	v_add_f32_e32 v38, v38, v45
	buffer_load_dword v45, off, s[0:3], 0 offset:224
	buffer_load_dword v46, off, s[0:3], 0 offset:228
	;; [unrolled: 1-line block ×8, first 2 shown]
	s_waitcnt lgkmcnt(1)
	v_mul_f32_e32 v47, v152, v22
	v_fmac_f32_e32 v47, v153, v21
	v_add_f32_e32 v38, v38, v47
	v_mul_f32_e32 v47, v154, v24
	buffer_load_dword v54, off, s[0:3], 0 offset:256
	buffer_load_dword v55, off, s[0:3], 0 offset:260
	v_fmac_f32_e32 v47, v155, v23
	v_add_f32_e32 v38, v38, v47
	s_waitcnt lgkmcnt(0)
	v_mul_f32_e32 v47, v156, v26
	v_fmac_f32_e32 v47, v157, v25
	v_add_f32_e32 v38, v38, v47
	s_waitcnt vmcnt(24)
	v_mul_f32_e32 v47, v158, v29
	v_fmac_f32_e32 v47, v159, v28
	ds_read2_b64 v[160:163], v0 offset0:73 offset1:74
	v_add_f32_e32 v38, v38, v47
	buffer_load_dword v47, off, s[0:3], 0 offset:264
	buffer_load_dword v56, off, s[0:3], 0 offset:268
	;; [unrolled: 1-line block ×6, first 2 shown]
	ds_read2_b64 v[164:167], v0 offset0:75 offset1:76
	buffer_load_dword v224, off, s[0:3], 0 offset:288
	buffer_load_dword v225, off, s[0:3], 0 offset:292
	;; [unrolled: 1-line block ×8, first 2 shown]
	s_waitcnt vmcnt(36) lgkmcnt(1)
	v_mul_f32_e32 v168, v160, v31
	buffer_load_dword v232, off, s[0:3], 0 offset:320
	buffer_load_dword v233, off, s[0:3], 0 offset:324
	v_fmac_f32_e32 v168, v161, v30
	v_add_f32_e32 v38, v38, v168
	s_waitcnt vmcnt(36)
	v_mul_f32_e32 v168, v162, v33
	v_fmac_f32_e32 v168, v163, v32
	v_add_f32_e32 v38, v38, v168
	s_waitcnt vmcnt(34) lgkmcnt(0)
	v_mul_f32_e32 v168, v164, v35
	v_fmac_f32_e32 v168, v165, v34
	v_add_f32_e32 v38, v38, v168
	ds_read2_b64 v[168:171], v0 offset0:77 offset1:78
	buffer_load_dword v234, off, s[0:3], 0 offset:328
	buffer_load_dword v235, off, s[0:3], 0 offset:332
	;; [unrolled: 1-line block ×6, first 2 shown]
	s_waitcnt vmcnt(38)
	v_mul_f32_e32 v172, v166, v37
	v_fmac_f32_e32 v172, v167, v36
	v_add_f32_e32 v38, v38, v172
	ds_read2_b64 v[172:175], v0 offset0:79 offset1:80
	buffer_load_dword v240, off, s[0:3], 0 offset:352
	buffer_load_dword v241, off, s[0:3], 0 offset:356
	;; [unrolled: 1-line block ×16, first 2 shown]
	s_waitcnt vmcnt(52) lgkmcnt(1)
	v_mul_f32_e32 v176, v168, v40
	v_fmac_f32_e32 v176, v169, v39
	v_add_f32_e32 v38, v38, v176
	s_waitcnt vmcnt(51)
	v_mul_f32_e32 v176, v170, v41
	s_waitcnt vmcnt(50)
	v_fmac_f32_e32 v176, v171, v42
	v_add_f32_e32 v38, v38, v176
	s_waitcnt vmcnt(48) lgkmcnt(0)
	v_mul_f32_e32 v176, v172, v44
	v_fmac_f32_e32 v176, v173, v43
	v_add_f32_e32 v38, v38, v176
	ds_read2_b64 v[176:179], v0 offset0:81 offset1:82
	s_waitcnt vmcnt(46)
	v_mul_f32_e32 v180, v174, v46
	v_fmac_f32_e32 v180, v175, v45
	v_add_f32_e32 v38, v38, v180
	ds_read2_b64 v[180:183], v0 offset0:83 offset1:84
	s_waitcnt vmcnt(44) lgkmcnt(1)
	v_mul_f32_e32 v184, v176, v49
	v_fmac_f32_e32 v184, v177, v48
	v_add_f32_e32 v38, v38, v184
	s_waitcnt vmcnt(43)
	v_mul_f32_e32 v184, v178, v50
	s_waitcnt vmcnt(40)
	v_fmac_f32_e32 v184, v179, v53
	v_add_f32_e32 v38, v38, v184
	s_waitcnt lgkmcnt(0)
	v_mul_f32_e32 v184, v180, v52
	v_fmac_f32_e32 v184, v181, v51
	v_add_f32_e32 v38, v38, v184
	ds_read2_b64 v[184:187], v0 offset0:85 offset1:86
	s_waitcnt vmcnt(38)
	v_mul_f32_e32 v188, v182, v55
	v_fmac_f32_e32 v188, v183, v54
	v_add_f32_e32 v38, v38, v188
	ds_read2_b64 v[188:191], v0 offset0:87 offset1:88
	s_waitcnt vmcnt(36) lgkmcnt(1)
	v_mul_f32_e32 v192, v184, v56
	v_fmac_f32_e32 v192, v185, v47
	v_add_f32_e32 v38, v38, v192
	s_waitcnt vmcnt(35)
	v_mul_f32_e32 v192, v186, v57
	s_waitcnt vmcnt(32)
	v_fmac_f32_e32 v192, v187, v223
	v_add_f32_e32 v38, v38, v192
	s_waitcnt lgkmcnt(0)
	;; [unrolled: 19-line block ×5, first 2 shown]
	v_mul_f32_e32 v216, v212, v246
	v_fmac_f32_e32 v216, v213, v245
	v_add_f32_e32 v38, v38, v216
	ds_read2_b64 v[216:219], v0 offset0:101 offset1:102
	s_waitcnt vmcnt(6)
	v_mul_f32_e32 v220, v214, v249
	v_fmac_f32_e32 v220, v215, v248
	v_add_f32_e32 v38, v38, v220
	ds_read_b64 v[220:221], v0 offset:824
	s_waitcnt vmcnt(4) lgkmcnt(1)
	v_mul_f32_e32 v59, v216, v251
	v_fmac_f32_e32 v59, v217, v250
	v_add_f32_e32 v38, v38, v59
	s_waitcnt vmcnt(3)
	v_mul_f32_e32 v59, v218, v252
	s_waitcnt vmcnt(0)
	v_fmac_f32_e32 v59, v219, v255
	v_add_f32_e32 v38, v38, v59
	s_waitcnt lgkmcnt(0)
	v_mul_f32_e32 v59, v220, v254
	v_fmac_f32_e32 v59, v221, v253
	v_add_f32_e32 v38, v38, v59
	v_mul_f32_e32 v59, v121, v113
	v_fma_f32 v5, v120, v5, -v59
	v_mul_f32_e32 v59, v123, v112
	v_add_f32_e32 v5, 0, v5
	v_fma_f32 v4, v122, v4, -v59
	v_add_f32_e32 v4, v5, v4
	v_mul_f32_e32 v5, v125, v109
	v_fma_f32 v3, v124, v3, -v5
	v_add_f32_e32 v3, v4, v3
	v_mul_f32_e32 v4, v127, v108
	;; [unrolled: 3-line block ×49, first 2 shown]
	v_fma_f32 v4, v220, v253, -v4
	v_add_f32_e32 v3, v3, v4
	v_sub_f32_e32 v3, v110, v3
	v_sub_f32_e32 v4, v111, v38
	buffer_store_dword v3, off, s[0:3], 0
	buffer_store_dword v4, off, s[0:3], 0 offset:4
	s_cbranch_vccz .LBB115_428
; %bb.326:
	global_load_dword v0, v0, s[12:13] offset:200
	s_waitcnt vmcnt(0)
	v_add_u32_e32 v0, -1, v0
	v_cmp_ne_u32_e32 vcc, 50, v0
	s_cbranch_vccz .LBB115_328
; %bb.327:
	v_lshlrev_b32_e32 v0, 3, v0
	buffer_load_dword v3, v0, s[0:3], 0 offen
	buffer_load_dword v4, v0, s[0:3], 0 offen offset:4
	buffer_load_dword v5, off, s[0:3], 0 offset:404
	buffer_load_dword v6, off, s[0:3], 0 offset:400
	s_waitcnt vmcnt(3)
	buffer_store_dword v3, off, s[0:3], 0 offset:400
	s_waitcnt vmcnt(3)
	buffer_store_dword v4, off, s[0:3], 0 offset:404
	s_waitcnt vmcnt(3)
	buffer_store_dword v5, v0, s[0:3], 0 offen offset:4
	s_waitcnt vmcnt(3)
	buffer_store_dword v6, v0, s[0:3], 0 offen
.LBB115_328:
	v_mov_b32_e32 v0, 0
	global_load_dword v3, v0, s[12:13] offset:196
	s_waitcnt vmcnt(0)
	v_add_u32_e32 v105, -1, v3
	v_cmp_eq_u32_e32 vcc, 49, v105
	s_cbranch_vccnz .LBB115_330
; %bb.329:
	v_lshlrev_b32_e32 v3, 3, v105
	buffer_load_dword v4, v3, s[0:3], 0 offen
	buffer_load_dword v5, v3, s[0:3], 0 offen offset:4
	buffer_load_dword v6, off, s[0:3], 0 offset:392
	buffer_load_dword v7, off, s[0:3], 0 offset:396
	s_waitcnt vmcnt(3)
	buffer_store_dword v4, off, s[0:3], 0 offset:392
	s_waitcnt vmcnt(3)
	buffer_store_dword v5, off, s[0:3], 0 offset:396
	s_waitcnt vmcnt(3)
	buffer_store_dword v6, v3, s[0:3], 0 offen
	s_waitcnt vmcnt(3)
	buffer_store_dword v7, v3, s[0:3], 0 offen offset:4
.LBB115_330:
	global_load_dword v0, v0, s[12:13] offset:192
	s_waitcnt vmcnt(0)
	v_add_u32_e32 v0, -1, v0
	v_cmp_eq_u32_e32 vcc, 48, v0
	s_cbranch_vccnz .LBB115_332
; %bb.331:
	v_lshlrev_b32_e32 v0, 3, v0
	buffer_load_dword v3, v0, s[0:3], 0 offen
	buffer_load_dword v4, v0, s[0:3], 0 offen offset:4
	buffer_load_dword v5, off, s[0:3], 0 offset:388
	buffer_load_dword v6, off, s[0:3], 0 offset:384
	s_waitcnt vmcnt(3)
	buffer_store_dword v3, off, s[0:3], 0 offset:384
	s_waitcnt vmcnt(3)
	buffer_store_dword v4, off, s[0:3], 0 offset:388
	s_waitcnt vmcnt(3)
	buffer_store_dword v5, v0, s[0:3], 0 offen offset:4
	s_waitcnt vmcnt(3)
	buffer_store_dword v6, v0, s[0:3], 0 offen
.LBB115_332:
	v_mov_b32_e32 v0, 0
	global_load_dword v3, v0, s[12:13] offset:188
	s_waitcnt vmcnt(0)
	v_add_u32_e32 v105, -1, v3
	v_cmp_eq_u32_e32 vcc, 47, v105
	s_cbranch_vccnz .LBB115_334
; %bb.333:
	v_lshlrev_b32_e32 v3, 3, v105
	buffer_load_dword v4, v3, s[0:3], 0 offen
	buffer_load_dword v5, v3, s[0:3], 0 offen offset:4
	buffer_load_dword v6, off, s[0:3], 0 offset:376
	buffer_load_dword v7, off, s[0:3], 0 offset:380
	s_waitcnt vmcnt(3)
	buffer_store_dword v4, off, s[0:3], 0 offset:376
	s_waitcnt vmcnt(3)
	buffer_store_dword v5, off, s[0:3], 0 offset:380
	s_waitcnt vmcnt(3)
	buffer_store_dword v6, v3, s[0:3], 0 offen
	s_waitcnt vmcnt(3)
	buffer_store_dword v7, v3, s[0:3], 0 offen offset:4
.LBB115_334:
	global_load_dword v0, v0, s[12:13] offset:184
	s_waitcnt vmcnt(0)
	v_add_u32_e32 v0, -1, v0
	v_cmp_eq_u32_e32 vcc, 46, v0
	s_cbranch_vccnz .LBB115_336
; %bb.335:
	v_lshlrev_b32_e32 v0, 3, v0
	buffer_load_dword v3, v0, s[0:3], 0 offen
	buffer_load_dword v4, v0, s[0:3], 0 offen offset:4
	buffer_load_dword v5, off, s[0:3], 0 offset:372
	buffer_load_dword v6, off, s[0:3], 0 offset:368
	s_waitcnt vmcnt(3)
	buffer_store_dword v3, off, s[0:3], 0 offset:368
	s_waitcnt vmcnt(3)
	buffer_store_dword v4, off, s[0:3], 0 offset:372
	s_waitcnt vmcnt(3)
	buffer_store_dword v5, v0, s[0:3], 0 offen offset:4
	s_waitcnt vmcnt(3)
	buffer_store_dword v6, v0, s[0:3], 0 offen
.LBB115_336:
	;; [unrolled: 41-line block ×24, first 2 shown]
	v_mov_b32_e32 v0, 0
	global_load_dword v3, v0, s[12:13] offset:4
	s_waitcnt vmcnt(0)
	v_add_u32_e32 v105, -1, v3
	v_cmp_eq_u32_e32 vcc, 1, v105
	s_cbranch_vccnz .LBB115_426
; %bb.425:
	v_lshlrev_b32_e32 v3, 3, v105
	buffer_load_dword v4, v3, s[0:3], 0 offen
	buffer_load_dword v5, v3, s[0:3], 0 offen offset:4
	buffer_load_dword v6, off, s[0:3], 0 offset:8
	buffer_load_dword v7, off, s[0:3], 0 offset:12
	s_waitcnt vmcnt(3)
	buffer_store_dword v4, off, s[0:3], 0 offset:8
	s_waitcnt vmcnt(3)
	buffer_store_dword v5, off, s[0:3], 0 offset:12
	s_waitcnt vmcnt(3)
	buffer_store_dword v6, v3, s[0:3], 0 offen
	s_waitcnt vmcnt(3)
	buffer_store_dword v7, v3, s[0:3], 0 offen offset:4
.LBB115_426:
	global_load_dword v0, v0, s[12:13]
	s_waitcnt vmcnt(0)
	v_add_u32_e32 v0, -1, v0
	v_cmp_eq_u32_e32 vcc, 0, v0
	s_cbranch_vccnz .LBB115_428
; %bb.427:
	v_lshlrev_b32_e32 v0, 3, v0
	buffer_load_dword v3, v0, s[0:3], 0 offen
	buffer_load_dword v4, v0, s[0:3], 0 offen offset:4
	buffer_load_dword v5, off, s[0:3], 0 offset:4
	buffer_load_dword v6, off, s[0:3], 0
	s_waitcnt vmcnt(3)
	buffer_store_dword v3, off, s[0:3], 0
	s_waitcnt vmcnt(3)
	buffer_store_dword v4, off, s[0:3], 0 offset:4
	s_waitcnt vmcnt(3)
	buffer_store_dword v5, v0, s[0:3], 0 offen offset:4
	s_waitcnt vmcnt(3)
	buffer_store_dword v6, v0, s[0:3], 0 offen
.LBB115_428:
	buffer_load_dword v105, off, s[0:3], 0
	buffer_load_dword v106, off, s[0:3], 0 offset:4
	s_waitcnt vmcnt(0)
	flat_store_dwordx2 v[1:2], v[105:106]
	buffer_load_dword v0, off, s[0:3], 0 offset:8
	s_nop 0
	buffer_load_dword v1, off, s[0:3], 0 offset:12
	buffer_load_dword v2, off, s[0:3], 0 offset:416 ; 4-byte Folded Reload
	buffer_load_dword v3, off, s[0:3], 0 offset:420 ; 4-byte Folded Reload
	s_waitcnt vmcnt(0)
	flat_store_dwordx2 v[2:3], v[0:1]
	buffer_load_dword v0, off, s[0:3], 0 offset:16
	s_nop 0
	buffer_load_dword v1, off, s[0:3], 0 offset:20
	buffer_load_dword v2, off, s[0:3], 0 offset:424 ; 4-byte Folded Reload
	buffer_load_dword v3, off, s[0:3], 0 offset:428 ; 4-byte Folded Reload
	;; [unrolled: 7-line block ×29, first 2 shown]
	s_waitcnt vmcnt(0)
	flat_store_dwordx2 v[2:3], v[0:1]
	buffer_load_dword v0, off, s[0:3], 0 offset:240
	s_nop 0
	buffer_load_dword v1, off, s[0:3], 0 offset:244
	s_waitcnt vmcnt(0)
	flat_store_dwordx2 v[61:62], v[0:1]
	buffer_load_dword v0, off, s[0:3], 0 offset:248
	s_nop 0
	buffer_load_dword v1, off, s[0:3], 0 offset:252
	;; [unrolled: 5-line block ×22, first 2 shown]
	s_waitcnt vmcnt(0)
	flat_store_dwordx2 v[103:104], v[0:1]
	s_endpgm
	.section	.rodata,"a",@progbits
	.p2align	6, 0x0
	.amdhsa_kernel _ZN9rocsolver6v33100L18getri_kernel_smallILi52E19rocblas_complex_numIfEPKPS3_EEvT1_iilPiilS8_bb
		.amdhsa_group_segment_fixed_size 836
		.amdhsa_private_segment_fixed_size 656
		.amdhsa_kernarg_size 60
		.amdhsa_user_sgpr_count 6
		.amdhsa_user_sgpr_private_segment_buffer 1
		.amdhsa_user_sgpr_dispatch_ptr 0
		.amdhsa_user_sgpr_queue_ptr 0
		.amdhsa_user_sgpr_kernarg_segment_ptr 1
		.amdhsa_user_sgpr_dispatch_id 0
		.amdhsa_user_sgpr_flat_scratch_init 0
		.amdhsa_user_sgpr_private_segment_size 0
		.amdhsa_uses_dynamic_stack 0
		.amdhsa_system_sgpr_private_segment_wavefront_offset 1
		.amdhsa_system_sgpr_workgroup_id_x 1
		.amdhsa_system_sgpr_workgroup_id_y 0
		.amdhsa_system_sgpr_workgroup_id_z 0
		.amdhsa_system_sgpr_workgroup_info 0
		.amdhsa_system_vgpr_workitem_id 0
		.amdhsa_next_free_vgpr 256
		.amdhsa_next_free_sgpr 21
		.amdhsa_reserve_vcc 1
		.amdhsa_reserve_flat_scratch 0
		.amdhsa_float_round_mode_32 0
		.amdhsa_float_round_mode_16_64 0
		.amdhsa_float_denorm_mode_32 3
		.amdhsa_float_denorm_mode_16_64 3
		.amdhsa_dx10_clamp 1
		.amdhsa_ieee_mode 1
		.amdhsa_fp16_overflow 0
		.amdhsa_exception_fp_ieee_invalid_op 0
		.amdhsa_exception_fp_denorm_src 0
		.amdhsa_exception_fp_ieee_div_zero 0
		.amdhsa_exception_fp_ieee_overflow 0
		.amdhsa_exception_fp_ieee_underflow 0
		.amdhsa_exception_fp_ieee_inexact 0
		.amdhsa_exception_int_div_zero 0
	.end_amdhsa_kernel
	.section	.text._ZN9rocsolver6v33100L18getri_kernel_smallILi52E19rocblas_complex_numIfEPKPS3_EEvT1_iilPiilS8_bb,"axG",@progbits,_ZN9rocsolver6v33100L18getri_kernel_smallILi52E19rocblas_complex_numIfEPKPS3_EEvT1_iilPiilS8_bb,comdat
.Lfunc_end115:
	.size	_ZN9rocsolver6v33100L18getri_kernel_smallILi52E19rocblas_complex_numIfEPKPS3_EEvT1_iilPiilS8_bb, .Lfunc_end115-_ZN9rocsolver6v33100L18getri_kernel_smallILi52E19rocblas_complex_numIfEPKPS3_EEvT1_iilPiilS8_bb
                                        ; -- End function
	.set _ZN9rocsolver6v33100L18getri_kernel_smallILi52E19rocblas_complex_numIfEPKPS3_EEvT1_iilPiilS8_bb.num_vgpr, 256
	.set _ZN9rocsolver6v33100L18getri_kernel_smallILi52E19rocblas_complex_numIfEPKPS3_EEvT1_iilPiilS8_bb.num_agpr, 0
	.set _ZN9rocsolver6v33100L18getri_kernel_smallILi52E19rocblas_complex_numIfEPKPS3_EEvT1_iilPiilS8_bb.numbered_sgpr, 21
	.set _ZN9rocsolver6v33100L18getri_kernel_smallILi52E19rocblas_complex_numIfEPKPS3_EEvT1_iilPiilS8_bb.num_named_barrier, 0
	.set _ZN9rocsolver6v33100L18getri_kernel_smallILi52E19rocblas_complex_numIfEPKPS3_EEvT1_iilPiilS8_bb.private_seg_size, 656
	.set _ZN9rocsolver6v33100L18getri_kernel_smallILi52E19rocblas_complex_numIfEPKPS3_EEvT1_iilPiilS8_bb.uses_vcc, 1
	.set _ZN9rocsolver6v33100L18getri_kernel_smallILi52E19rocblas_complex_numIfEPKPS3_EEvT1_iilPiilS8_bb.uses_flat_scratch, 0
	.set _ZN9rocsolver6v33100L18getri_kernel_smallILi52E19rocblas_complex_numIfEPKPS3_EEvT1_iilPiilS8_bb.has_dyn_sized_stack, 0
	.set _ZN9rocsolver6v33100L18getri_kernel_smallILi52E19rocblas_complex_numIfEPKPS3_EEvT1_iilPiilS8_bb.has_recursion, 0
	.set _ZN9rocsolver6v33100L18getri_kernel_smallILi52E19rocblas_complex_numIfEPKPS3_EEvT1_iilPiilS8_bb.has_indirect_call, 0
	.section	.AMDGPU.csdata,"",@progbits
; Kernel info:
; codeLenInByte = 100440
; TotalNumSgprs: 25
; NumVgprs: 256
; ScratchSize: 656
; MemoryBound: 0
; FloatMode: 240
; IeeeMode: 1
; LDSByteSize: 836 bytes/workgroup (compile time only)
; SGPRBlocks: 3
; VGPRBlocks: 63
; NumSGPRsForWavesPerEU: 25
; NumVGPRsForWavesPerEU: 256
; Occupancy: 1
; WaveLimiterHint : 1
; COMPUTE_PGM_RSRC2:SCRATCH_EN: 1
; COMPUTE_PGM_RSRC2:USER_SGPR: 6
; COMPUTE_PGM_RSRC2:TRAP_HANDLER: 0
; COMPUTE_PGM_RSRC2:TGID_X_EN: 1
; COMPUTE_PGM_RSRC2:TGID_Y_EN: 0
; COMPUTE_PGM_RSRC2:TGID_Z_EN: 0
; COMPUTE_PGM_RSRC2:TIDIG_COMP_CNT: 0
	.section	.text._ZN9rocsolver6v33100L18getri_kernel_smallILi53E19rocblas_complex_numIfEPKPS3_EEvT1_iilPiilS8_bb,"axG",@progbits,_ZN9rocsolver6v33100L18getri_kernel_smallILi53E19rocblas_complex_numIfEPKPS3_EEvT1_iilPiilS8_bb,comdat
	.globl	_ZN9rocsolver6v33100L18getri_kernel_smallILi53E19rocblas_complex_numIfEPKPS3_EEvT1_iilPiilS8_bb ; -- Begin function _ZN9rocsolver6v33100L18getri_kernel_smallILi53E19rocblas_complex_numIfEPKPS3_EEvT1_iilPiilS8_bb
	.p2align	8
	.type	_ZN9rocsolver6v33100L18getri_kernel_smallILi53E19rocblas_complex_numIfEPKPS3_EEvT1_iilPiilS8_bb,@function
_ZN9rocsolver6v33100L18getri_kernel_smallILi53E19rocblas_complex_numIfEPKPS3_EEvT1_iilPiilS8_bb: ; @_ZN9rocsolver6v33100L18getri_kernel_smallILi53E19rocblas_complex_numIfEPKPS3_EEvT1_iilPiilS8_bb
; %bb.0:
	s_add_u32 s0, s0, s7
	s_addc_u32 s1, s1, 0
	v_cmp_gt_u32_e32 vcc, 53, v0
	s_and_saveexec_b64 s[8:9], vcc
	s_cbranch_execz .LBB116_226
; %bb.1:
	s_load_dword s18, s[4:5], 0x38
	s_load_dwordx2 s[12:13], s[4:5], 0x0
	s_load_dwordx4 s[8:11], s[4:5], 0x28
	s_waitcnt lgkmcnt(0)
	s_bitcmp1_b32 s18, 8
	s_cselect_b64 s[14:15], -1, 0
	s_ashr_i32 s7, s6, 31
	s_lshl_b64 s[16:17], s[6:7], 3
	s_add_u32 s12, s12, s16
	s_addc_u32 s13, s13, s17
	s_load_dwordx2 s[16:17], s[12:13], 0x0
	s_bfe_u32 s12, s18, 0x10008
	s_cmp_eq_u32 s12, 0
                                        ; implicit-def: $sgpr12_sgpr13
	s_cbranch_scc1 .LBB116_3
; %bb.2:
	s_load_dword s12, s[4:5], 0x20
	s_load_dwordx2 s[18:19], s[4:5], 0x18
	s_mul_i32 s13, s8, s7
	s_mul_hi_u32 s20, s8, s6
	s_add_i32 s20, s20, s13
	s_mul_i32 s9, s9, s6
	s_add_i32 s9, s20, s9
	s_mul_i32 s8, s8, s6
	s_waitcnt lgkmcnt(0)
	s_ashr_i32 s13, s12, 31
	s_lshl_b64 s[8:9], s[8:9], 2
	s_add_u32 s18, s18, s8
	s_addc_u32 s19, s19, s9
	s_lshl_b64 s[8:9], s[12:13], 2
	s_add_u32 s12, s18, s8
	s_addc_u32 s13, s19, s9
.LBB116_3:
	s_load_dwordx2 s[8:9], s[4:5], 0x8
	s_load_dword s18, s[4:5], 0x38
	v_lshlrev_b32_e32 v109, 3, v0
	s_waitcnt lgkmcnt(0)
	s_ashr_i32 s5, s8, 31
	s_mov_b32 s4, s8
	s_lshl_b64 s[4:5], s[4:5], 3
	s_add_u32 s4, s16, s4
	s_addc_u32 s5, s17, s5
	v_mov_b32_e32 v2, s5
	v_add_co_u32_e32 v1, vcc, s4, v109
	v_addc_co_u32_e32 v2, vcc, 0, v2, vcc
	flat_load_dwordx2 v[5:6], v[1:2]
	s_mov_b32 s16, s9
	s_ashr_i32 s17, s9, 31
	s_lshl_b64 s[16:17], s[16:17], 3
	v_mov_b32_e32 v4, s17
	v_add_co_u32_e32 v3, vcc, s16, v1
	v_addc_co_u32_e32 v4, vcc, v2, v4, vcc
	s_add_i32 s8, s9, s9
	v_add_u32_e32 v9, s8, v0
	v_ashrrev_i32_e32 v10, 31, v9
	v_mov_b32_e32 v11, s5
	v_add_u32_e32 v12, s9, v9
	v_ashrrev_i32_e32 v13, 31, v12
	v_mov_b32_e32 v14, s5
	v_mov_b32_e32 v15, s5
	;; [unrolled: 1-line block ×49, first 2 shown]
	s_bitcmp0_b32 s18, 0
	s_waitcnt vmcnt(0) lgkmcnt(0)
	buffer_store_dword v6, off, s[0:3], 0 offset:4
	buffer_store_dword v5, off, s[0:3], 0
	buffer_store_dword v3, off, s[0:3], 0 offset:424 ; 4-byte Folded Spill
	s_nop 0
	buffer_store_dword v4, off, s[0:3], 0 offset:428 ; 4-byte Folded Spill
	v_lshlrev_b64 v[5:6], 3, v[9:10]
	flat_load_dwordx2 v[7:8], v[3:4]
	v_add_co_u32_e32 v3, vcc, s4, v5
	v_addc_co_u32_e32 v4, vcc, v11, v6, vcc
	s_waitcnt vmcnt(0) lgkmcnt(0)
	buffer_store_dword v8, off, s[0:3], 0 offset:12
	buffer_store_dword v7, off, s[0:3], 0 offset:8
	buffer_store_dword v3, off, s[0:3], 0 offset:432 ; 4-byte Folded Spill
	s_nop 0
	buffer_store_dword v4, off, s[0:3], 0 offset:436 ; 4-byte Folded Spill
	v_lshlrev_b64 v[7:8], 3, v[12:13]
	flat_load_dwordx2 v[10:11], v[3:4]
	v_add_co_u32_e32 v3, vcc, s4, v7
	v_addc_co_u32_e32 v4, vcc, v14, v8, vcc
	s_waitcnt vmcnt(0) lgkmcnt(0)
	buffer_store_dword v11, off, s[0:3], 0 offset:20
	buffer_store_dword v10, off, s[0:3], 0 offset:16
	buffer_store_dword v3, off, s[0:3], 0 offset:440 ; 4-byte Folded Spill
	s_nop 0
	buffer_store_dword v4, off, s[0:3], 0 offset:444 ; 4-byte Folded Spill
	v_add_u32_e32 v11, s9, v12
	v_ashrrev_i32_e32 v12, 31, v11
	v_lshlrev_b64 v[9:10], 3, v[11:12]
	flat_load_dwordx2 v[13:14], v[3:4]
	v_add_co_u32_e32 v3, vcc, s4, v9
	v_addc_co_u32_e32 v4, vcc, v15, v10, vcc
	v_add_u32_e32 v15, s9, v11
	v_ashrrev_i32_e32 v16, 31, v15
	v_lshlrev_b64 v[11:12], 3, v[15:16]
	v_add_u32_e32 v18, s9, v15
	v_ashrrev_i32_e32 v19, 31, v18
	s_waitcnt vmcnt(0) lgkmcnt(0)
	buffer_store_dword v14, off, s[0:3], 0 offset:28
	buffer_store_dword v13, off, s[0:3], 0 offset:24
	buffer_store_dword v3, off, s[0:3], 0 offset:448 ; 4-byte Folded Spill
	s_nop 0
	buffer_store_dword v4, off, s[0:3], 0 offset:452 ; 4-byte Folded Spill
	flat_load_dwordx2 v[13:14], v[3:4]
	v_add_co_u32_e32 v3, vcc, s4, v11
	v_addc_co_u32_e32 v4, vcc, v17, v12, vcc
	s_waitcnt vmcnt(0) lgkmcnt(0)
	buffer_store_dword v14, off, s[0:3], 0 offset:36
	buffer_store_dword v13, off, s[0:3], 0 offset:32
	buffer_store_dword v3, off, s[0:3], 0 offset:456 ; 4-byte Folded Spill
	s_nop 0
	buffer_store_dword v4, off, s[0:3], 0 offset:460 ; 4-byte Folded Spill
	v_lshlrev_b64 v[13:14], 3, v[18:19]
	flat_load_dwordx2 v[16:17], v[3:4]
	v_add_co_u32_e32 v3, vcc, s4, v13
	v_addc_co_u32_e32 v4, vcc, v20, v14, vcc
	s_waitcnt vmcnt(0) lgkmcnt(0)
	buffer_store_dword v17, off, s[0:3], 0 offset:44
	buffer_store_dword v16, off, s[0:3], 0 offset:40
	buffer_store_dword v3, off, s[0:3], 0 offset:464 ; 4-byte Folded Spill
	s_nop 0
	buffer_store_dword v4, off, s[0:3], 0 offset:468 ; 4-byte Folded Spill
	v_add_u32_e32 v17, s9, v18
	v_ashrrev_i32_e32 v18, 31, v17
	v_lshlrev_b64 v[15:16], 3, v[17:18]
	flat_load_dwordx2 v[19:20], v[3:4]
	v_add_co_u32_e32 v3, vcc, s4, v15
	v_addc_co_u32_e32 v4, vcc, v21, v16, vcc
	v_add_u32_e32 v21, s9, v17
	v_ashrrev_i32_e32 v22, 31, v21
	v_lshlrev_b64 v[17:18], 3, v[21:22]
	v_add_u32_e32 v24, s9, v21
	v_ashrrev_i32_e32 v25, 31, v24
	s_waitcnt vmcnt(0) lgkmcnt(0)
	buffer_store_dword v20, off, s[0:3], 0 offset:52
	buffer_store_dword v19, off, s[0:3], 0 offset:48
	buffer_store_dword v3, off, s[0:3], 0 offset:472 ; 4-byte Folded Spill
	s_nop 0
	buffer_store_dword v4, off, s[0:3], 0 offset:476 ; 4-byte Folded Spill
	;; [unrolled: 36-line block ×9, first 2 shown]
	flat_load_dwordx2 v[61:62], v[3:4]
	v_add_co_u32_e32 v3, vcc, s4, v59
	v_addc_co_u32_e32 v4, vcc, v65, v60, vcc
	s_waitcnt vmcnt(0) lgkmcnt(0)
	buffer_store_dword v62, off, s[0:3], 0 offset:228
	buffer_store_dword v61, off, s[0:3], 0 offset:224
	buffer_store_dword v3, off, s[0:3], 0 offset:648 ; 4-byte Folded Spill
	s_nop 0
	buffer_store_dword v4, off, s[0:3], 0 offset:652 ; 4-byte Folded Spill
	v_lshlrev_b64 v[61:62], 3, v[66:67]
	flat_load_dwordx2 v[64:65], v[3:4]
	v_add_co_u32_e32 v3, vcc, s4, v61
	v_addc_co_u32_e32 v4, vcc, v68, v62, vcc
	s_waitcnt vmcnt(0) lgkmcnt(0)
	buffer_store_dword v65, off, s[0:3], 0 offset:236
	buffer_store_dword v64, off, s[0:3], 0 offset:232
	buffer_store_dword v3, off, s[0:3], 0 offset:656 ; 4-byte Folded Spill
	s_nop 0
	buffer_store_dword v4, off, s[0:3], 0 offset:660 ; 4-byte Folded Spill
	v_add_u32_e32 v65, s9, v66
	v_ashrrev_i32_e32 v66, 31, v65
	v_lshlrev_b64 v[63:64], 3, v[65:66]
	flat_load_dwordx2 v[67:68], v[3:4]
	v_add_co_u32_e32 v3, vcc, s4, v63
	v_addc_co_u32_e32 v4, vcc, v69, v64, vcc
	v_add_u32_e32 v69, s9, v65
	v_ashrrev_i32_e32 v70, 31, v69
	v_lshlrev_b64 v[65:66], 3, v[69:70]
	v_add_u32_e32 v72, s9, v69
	v_add_co_u32_e32 v65, vcc, s4, v65
	v_addc_co_u32_e32 v66, vcc, v71, v66, vcc
	v_ashrrev_i32_e32 v73, 31, v72
	s_waitcnt vmcnt(0) lgkmcnt(0)
	buffer_store_dword v68, off, s[0:3], 0 offset:244
	buffer_store_dword v67, off, s[0:3], 0 offset:240
	buffer_store_dword v3, off, s[0:3], 0 offset:664 ; 4-byte Folded Spill
	s_nop 0
	buffer_store_dword v4, off, s[0:3], 0 offset:668 ; 4-byte Folded Spill
	flat_load_dwordx2 v[67:68], v[3:4]
	s_waitcnt vmcnt(0) lgkmcnt(0)
	buffer_store_dword v68, off, s[0:3], 0 offset:252
	buffer_store_dword v67, off, s[0:3], 0 offset:248
	flat_load_dwordx2 v[70:71], v[65:66]
	v_lshlrev_b64 v[67:68], 3, v[72:73]
	s_waitcnt vmcnt(0) lgkmcnt(0)
	buffer_store_dword v71, off, s[0:3], 0 offset:260
	buffer_store_dword v70, off, s[0:3], 0 offset:256
	v_add_co_u32_e32 v67, vcc, s4, v67
	v_addc_co_u32_e32 v68, vcc, v74, v68, vcc
	flat_load_dwordx2 v[73:74], v[67:68]
	v_add_u32_e32 v71, s9, v72
	v_ashrrev_i32_e32 v72, 31, v71
	v_lshlrev_b64 v[69:70], 3, v[71:72]
	s_waitcnt vmcnt(0) lgkmcnt(0)
	buffer_store_dword v74, off, s[0:3], 0 offset:268
	buffer_store_dword v73, off, s[0:3], 0 offset:264
	v_add_co_u32_e32 v69, vcc, s4, v69
	v_addc_co_u32_e32 v70, vcc, v75, v70, vcc
	flat_load_dwordx2 v[73:74], v[69:70]
	v_add_u32_e32 v75, s9, v71
	v_ashrrev_i32_e32 v76, 31, v75
	v_lshlrev_b64 v[71:72], 3, v[75:76]
	v_add_u32_e32 v78, s9, v75
	v_add_co_u32_e32 v71, vcc, s4, v71
	v_addc_co_u32_e32 v72, vcc, v77, v72, vcc
	v_ashrrev_i32_e32 v79, 31, v78
	s_waitcnt vmcnt(0) lgkmcnt(0)
	buffer_store_dword v74, off, s[0:3], 0 offset:276
	buffer_store_dword v73, off, s[0:3], 0 offset:272
	flat_load_dwordx2 v[76:77], v[71:72]
	v_lshlrev_b64 v[73:74], 3, v[78:79]
	s_waitcnt vmcnt(0) lgkmcnt(0)
	buffer_store_dword v77, off, s[0:3], 0 offset:284
	buffer_store_dword v76, off, s[0:3], 0 offset:280
	v_add_co_u32_e32 v73, vcc, s4, v73
	v_addc_co_u32_e32 v74, vcc, v80, v74, vcc
	flat_load_dwordx2 v[79:80], v[73:74]
	v_add_u32_e32 v77, s9, v78
	v_ashrrev_i32_e32 v78, 31, v77
	v_lshlrev_b64 v[75:76], 3, v[77:78]
	s_waitcnt vmcnt(0) lgkmcnt(0)
	buffer_store_dword v80, off, s[0:3], 0 offset:292
	buffer_store_dword v79, off, s[0:3], 0 offset:288
	v_add_co_u32_e32 v75, vcc, s4, v75
	v_addc_co_u32_e32 v76, vcc, v81, v76, vcc
	flat_load_dwordx2 v[79:80], v[75:76]
	v_add_u32_e32 v81, s9, v77
	v_ashrrev_i32_e32 v82, 31, v81
	v_lshlrev_b64 v[77:78], 3, v[81:82]
	v_add_u32_e32 v84, s9, v81
	v_add_co_u32_e32 v77, vcc, s4, v77
	v_addc_co_u32_e32 v78, vcc, v83, v78, vcc
	v_ashrrev_i32_e32 v85, 31, v84
	;; [unrolled: 27-line block ×6, first 2 shown]
	v_add_u32_e32 v105, s9, v110
	s_mov_b64 s[8:9], -1
	s_waitcnt vmcnt(0) lgkmcnt(0)
	buffer_store_dword v104, off, s[0:3], 0 offset:396
	buffer_store_dword v103, off, s[0:3], 0 offset:392
	flat_load_dwordx2 v[106:107], v[101:102]
	v_lshlrev_b64 v[103:104], 3, v[110:111]
	v_mov_b32_e32 v111, s5
	v_add_co_u32_e32 v103, vcc, s4, v103
	v_addc_co_u32_e32 v104, vcc, v108, v104, vcc
	s_waitcnt vmcnt(0) lgkmcnt(0)
	buffer_store_dword v107, off, s[0:3], 0 offset:404
	buffer_store_dword v106, off, s[0:3], 0 offset:400
	flat_load_dwordx2 v[107:108], v[103:104]
	v_ashrrev_i32_e32 v106, 31, v105
	v_lshlrev_b64 v[105:106], 3, v[105:106]
	s_waitcnt vmcnt(0) lgkmcnt(0)
	buffer_store_dword v108, off, s[0:3], 0 offset:412
	buffer_store_dword v107, off, s[0:3], 0 offset:408
	v_add_co_u32_e32 v105, vcc, s4, v105
	v_addc_co_u32_e32 v106, vcc, v111, v106, vcc
	flat_load_dwordx2 v[107:108], v[105:106]
	s_waitcnt vmcnt(0) lgkmcnt(0)
	buffer_store_dword v108, off, s[0:3], 0 offset:420
	buffer_store_dword v107, off, s[0:3], 0 offset:416
	s_cbranch_scc1 .LBB116_224
; %bb.4:
	v_cmp_eq_u32_e64 s[4:5], 0, v0
	s_and_saveexec_b64 s[8:9], s[4:5]
; %bb.5:
	v_mov_b32_e32 v107, 0
	ds_write_b32 v107, v107 offset:424
; %bb.6:
	s_or_b64 exec, exec, s[8:9]
	v_mov_b32_e32 v107, 0
	v_lshl_add_u32 v111, v0, 3, v107
	s_waitcnt lgkmcnt(0)
	; wave barrier
	buffer_load_dword v107, v111, s[0:3], 0 offen
	buffer_load_dword v108, v111, s[0:3], 0 offen offset:4
	s_waitcnt vmcnt(1)
	v_cmp_eq_f32_e32 vcc, 0, v107
	s_waitcnt vmcnt(0)
	v_cmp_eq_f32_e64 s[8:9], 0, v108
	s_and_b64 s[8:9], vcc, s[8:9]
	s_and_saveexec_b64 s[16:17], s[8:9]
	s_cbranch_execz .LBB116_10
; %bb.7:
	v_mov_b32_e32 v107, 0
	ds_read_b32 v110, v107 offset:424
	v_add_u32_e32 v108, 1, v0
	s_waitcnt lgkmcnt(0)
	v_readfirstlane_b32 s8, v110
	s_cmp_eq_u32 s8, 0
	s_cselect_b64 s[18:19], -1, 0
	v_cmp_gt_i32_e32 vcc, s8, v108
	s_or_b64 s[18:19], s[18:19], vcc
	s_and_b64 exec, exec, s[18:19]
	s_cbranch_execz .LBB116_10
; %bb.8:
	s_mov_b64 s[18:19], 0
	v_mov_b32_e32 v110, s8
.LBB116_9:                              ; =>This Inner Loop Header: Depth=1
	ds_cmpst_rtn_b32 v110, v107, v110, v108 offset:424
	s_waitcnt lgkmcnt(0)
	v_cmp_ne_u32_e32 vcc, 0, v110
	v_cmp_le_i32_e64 s[8:9], v110, v108
	s_and_b64 s[8:9], vcc, s[8:9]
	s_and_b64 s[8:9], exec, s[8:9]
	s_or_b64 s[18:19], s[8:9], s[18:19]
	s_andn2_b64 exec, exec, s[18:19]
	s_cbranch_execnz .LBB116_9
.LBB116_10:
	s_or_b64 exec, exec, s[16:17]
	v_mov_b32_e32 v108, 0
	; wave barrier
	ds_read_b32 v107, v108 offset:424
	s_and_saveexec_b64 s[8:9], s[4:5]
	s_cbranch_execz .LBB116_12
; %bb.11:
	s_lshl_b64 s[16:17], s[6:7], 2
	s_add_u32 s16, s10, s16
	s_addc_u32 s17, s11, s17
	s_waitcnt lgkmcnt(0)
	global_store_dword v108, v107, s[16:17]
.LBB116_12:
	s_or_b64 exec, exec, s[8:9]
	s_waitcnt lgkmcnt(0)
	v_cmp_ne_u32_e32 vcc, 0, v107
	s_mov_b64 s[8:9], 0
	s_cbranch_vccnz .LBB116_224
; %bb.13:
	buffer_load_dword v108, v111, s[0:3], 0 offen
	buffer_load_dword v110, v111, s[0:3], 0 offen offset:4
                                        ; implicit-def: $vgpr113
                                        ; implicit-def: $vgpr112
                                        ; implicit-def: $vgpr107
	s_waitcnt vmcnt(0)
	v_cmp_ngt_f32_e64 s[8:9], |v108|, |v110|
	s_and_saveexec_b64 s[16:17], s[8:9]
	s_xor_b64 s[8:9], exec, s[16:17]
	s_cbranch_execz .LBB116_15
; %bb.14:
	v_div_scale_f32 v107, s[16:17], v110, v110, v108
	v_div_scale_f32 v112, vcc, v108, v110, v108
	v_rcp_f32_e32 v113, v107
	v_fma_f32 v114, -v107, v113, 1.0
	v_fmac_f32_e32 v113, v114, v113
	v_mul_f32_e32 v114, v112, v113
	v_fma_f32 v115, -v107, v114, v112
	v_fmac_f32_e32 v114, v115, v113
	v_fma_f32 v107, -v107, v114, v112
	v_div_fmas_f32 v107, v107, v113, v114
	v_div_fixup_f32 v107, v107, v110, v108
	v_fmac_f32_e32 v110, v108, v107
	v_div_scale_f32 v108, s[16:17], v110, v110, 1.0
	v_div_scale_f32 v112, vcc, 1.0, v110, 1.0
	v_rcp_f32_e32 v113, v108
	v_fma_f32 v114, -v108, v113, 1.0
	v_fmac_f32_e32 v113, v114, v113
	v_mul_f32_e32 v114, v112, v113
	v_fma_f32 v115, -v108, v114, v112
	v_fmac_f32_e32 v114, v115, v113
	v_fma_f32 v108, -v108, v114, v112
	v_div_fmas_f32 v108, v108, v113, v114
	v_div_fixup_f32 v108, v108, v110, 1.0
	v_mul_f32_e32 v113, v107, v108
	v_xor_b32_e32 v112, 0x80000000, v108
	v_xor_b32_e32 v107, 0x80000000, v113
                                        ; implicit-def: $vgpr108
                                        ; implicit-def: $vgpr110
.LBB116_15:
	s_andn2_saveexec_b64 s[8:9], s[8:9]
	s_cbranch_execz .LBB116_17
; %bb.16:
	v_div_scale_f32 v107, s[16:17], v108, v108, v110
	v_div_scale_f32 v112, vcc, v110, v108, v110
	v_rcp_f32_e32 v113, v107
	v_fma_f32 v114, -v107, v113, 1.0
	v_fmac_f32_e32 v113, v114, v113
	v_mul_f32_e32 v114, v112, v113
	v_fma_f32 v115, -v107, v114, v112
	v_fmac_f32_e32 v114, v115, v113
	v_fma_f32 v107, -v107, v114, v112
	v_div_fmas_f32 v107, v107, v113, v114
	v_div_fixup_f32 v112, v107, v108, v110
	v_fmac_f32_e32 v108, v110, v112
	v_div_scale_f32 v107, s[16:17], v108, v108, 1.0
	v_div_scale_f32 v110, vcc, 1.0, v108, 1.0
	v_rcp_f32_e32 v113, v107
	v_fma_f32 v114, -v107, v113, 1.0
	v_fmac_f32_e32 v113, v114, v113
	v_mul_f32_e32 v114, v110, v113
	v_fma_f32 v115, -v107, v114, v110
	v_fmac_f32_e32 v114, v115, v113
	v_fma_f32 v107, -v107, v114, v110
	v_div_fmas_f32 v107, v107, v113, v114
	v_div_fixup_f32 v113, v107, v108, 1.0
	v_xor_b32_e32 v107, 0x80000000, v113
	v_mul_f32_e64 v112, v112, -v113
.LBB116_17:
	s_or_b64 exec, exec, s[8:9]
	buffer_store_dword v113, v111, s[0:3], 0 offen
	buffer_store_dword v112, v111, s[0:3], 0 offen offset:4
	buffer_load_dword v114, off, s[0:3], 0 offset:12
	s_nop 0
	buffer_load_dword v113, off, s[0:3], 0 offset:8
	v_xor_b32_e32 v108, 0x80000000, v112
	v_add_u32_e32 v110, 0x1b0, v109
	s_waitcnt vmcnt(0)
	ds_write2_b64 v109, v[107:108], v[113:114] offset1:54
	s_waitcnt lgkmcnt(0)
	; wave barrier
	s_and_saveexec_b64 s[8:9], s[4:5]
	s_cbranch_execz .LBB116_19
; %bb.18:
	buffer_load_dword v114, v111, s[0:3], 0 offen offset:4
	buffer_load_dword v115, v111, s[0:3], 0 offen
	ds_read_b64 v[107:108], v110
	v_mov_b32_e32 v112, 0
	ds_read_b64 v[112:113], v112 offset:8
	s_waitcnt vmcnt(1) lgkmcnt(1)
	v_mul_f32_e32 v116, v108, v114
	v_mul_f32_e32 v114, v107, v114
	s_waitcnt vmcnt(0)
	v_fmac_f32_e32 v114, v108, v115
	v_fma_f32 v107, v107, v115, -v116
	v_add_f32_e32 v108, 0, v114
	v_add_f32_e32 v107, 0, v107
	s_waitcnt lgkmcnt(0)
	v_mul_f32_e32 v114, v108, v113
	v_mul_f32_e32 v113, v107, v113
	v_fma_f32 v107, v107, v112, -v114
	v_fmac_f32_e32 v113, v108, v112
	buffer_store_dword v107, off, s[0:3], 0 offset:8
	buffer_store_dword v113, off, s[0:3], 0 offset:12
.LBB116_19:
	s_or_b64 exec, exec, s[8:9]
	; wave barrier
	buffer_load_dword v107, off, s[0:3], 0 offset:16
	buffer_load_dword v108, off, s[0:3], 0 offset:20
	v_cmp_gt_u32_e32 vcc, 2, v0
	s_waitcnt vmcnt(0)
	ds_write_b64 v110, v[107:108]
	s_waitcnt lgkmcnt(0)
	; wave barrier
	s_and_saveexec_b64 s[8:9], vcc
	s_cbranch_execz .LBB116_23
; %bb.20:
	buffer_load_dword v112, v111, s[0:3], 0 offen offset:4
	buffer_load_dword v113, v111, s[0:3], 0 offen
	ds_read_b64 v[107:108], v110
	s_waitcnt vmcnt(1) lgkmcnt(0)
	v_mul_f32_e32 v111, v108, v112
	v_mul_f32_e32 v112, v107, v112
	s_waitcnt vmcnt(0)
	v_fma_f32 v107, v107, v113, -v111
	v_fmac_f32_e32 v112, v108, v113
	v_add_f32_e32 v108, 0, v107
	v_add_f32_e32 v107, 0, v112
	s_and_saveexec_b64 s[16:17], s[4:5]
	s_cbranch_execz .LBB116_22
; %bb.21:
	buffer_load_dword v113, off, s[0:3], 0 offset:12
	buffer_load_dword v114, off, s[0:3], 0 offset:8
	v_mov_b32_e32 v111, 0
	ds_read_b64 v[111:112], v111 offset:440
	s_waitcnt vmcnt(1) lgkmcnt(0)
	v_mul_f32_e32 v115, v111, v113
	v_mul_f32_e32 v113, v112, v113
	s_waitcnt vmcnt(0)
	v_fmac_f32_e32 v115, v112, v114
	v_fma_f32 v111, v111, v114, -v113
	v_add_f32_e32 v107, v107, v115
	v_add_f32_e32 v108, v108, v111
.LBB116_22:
	s_or_b64 exec, exec, s[16:17]
	v_mov_b32_e32 v111, 0
	ds_read_b64 v[111:112], v111 offset:16
	s_waitcnt lgkmcnt(0)
	v_mul_f32_e32 v113, v107, v112
	v_mul_f32_e32 v112, v108, v112
	v_fma_f32 v108, v108, v111, -v113
	v_fmac_f32_e32 v112, v107, v111
	buffer_store_dword v108, off, s[0:3], 0 offset:16
	buffer_store_dword v112, off, s[0:3], 0 offset:20
.LBB116_23:
	s_or_b64 exec, exec, s[8:9]
	; wave barrier
	buffer_load_dword v107, off, s[0:3], 0 offset:24
	buffer_load_dword v108, off, s[0:3], 0 offset:28
	v_cmp_gt_u32_e32 vcc, 3, v0
	s_waitcnt vmcnt(0)
	ds_write_b64 v110, v[107:108]
	v_add_u32_e32 v107, -1, v0
	s_waitcnt lgkmcnt(0)
	; wave barrier
	s_and_saveexec_b64 s[4:5], vcc
	s_cbranch_execz .LBB116_27
; %bb.24:
	v_add_u32_e32 v111, -1, v0
	v_add_u32_e32 v112, 0x1b0, v109
	v_mov_b32_e32 v113, v109
	v_mov_b32_e32 v108, 0
	s_mov_b64 s[8:9], 0
	v_mov_b32_e32 v114, 0
.LBB116_25:                             ; =>This Inner Loop Header: Depth=1
	buffer_load_dword v117, v113, s[0:3], 0 offen offset:4
	buffer_load_dword v118, v113, s[0:3], 0 offen
	ds_read_b64 v[115:116], v112
	v_add_u32_e32 v111, 1, v111
	v_cmp_lt_u32_e32 vcc, 1, v111
	v_add_u32_e32 v112, 8, v112
	v_add_u32_e32 v113, 8, v113
	s_or_b64 s[8:9], vcc, s[8:9]
	s_waitcnt vmcnt(1) lgkmcnt(0)
	v_mul_f32_e32 v119, v116, v117
	v_mul_f32_e32 v117, v115, v117
	s_waitcnt vmcnt(0)
	v_fma_f32 v115, v115, v118, -v119
	v_fmac_f32_e32 v117, v116, v118
	v_add_f32_e32 v114, v114, v115
	v_add_f32_e32 v108, v108, v117
	s_andn2_b64 exec, exec, s[8:9]
	s_cbranch_execnz .LBB116_25
; %bb.26:
	s_or_b64 exec, exec, s[8:9]
	v_mov_b32_e32 v111, 0
	ds_read_b64 v[111:112], v111 offset:24
	s_waitcnt lgkmcnt(0)
	v_mul_f32_e32 v113, v108, v112
	v_mul_f32_e32 v112, v114, v112
	v_fma_f32 v113, v114, v111, -v113
	v_fmac_f32_e32 v112, v108, v111
	buffer_store_dword v113, off, s[0:3], 0 offset:24
	buffer_store_dword v112, off, s[0:3], 0 offset:28
.LBB116_27:
	s_or_b64 exec, exec, s[4:5]
	; wave barrier
	buffer_load_dword v111, off, s[0:3], 0 offset:32
	buffer_load_dword v112, off, s[0:3], 0 offset:36
	v_cmp_gt_u32_e32 vcc, 4, v0
	s_waitcnt vmcnt(0)
	ds_write_b64 v110, v[111:112]
	s_waitcnt lgkmcnt(0)
	; wave barrier
	s_and_saveexec_b64 s[4:5], vcc
	s_cbranch_execz .LBB116_31
; %bb.28:
	v_add_u32_e32 v111, -1, v0
	v_add_u32_e32 v112, 0x1b0, v109
	v_mov_b32_e32 v113, v109
	v_mov_b32_e32 v108, 0
	s_mov_b64 s[8:9], 0
	v_mov_b32_e32 v114, 0
.LBB116_29:                             ; =>This Inner Loop Header: Depth=1
	buffer_load_dword v117, v113, s[0:3], 0 offen offset:4
	buffer_load_dword v118, v113, s[0:3], 0 offen
	ds_read_b64 v[115:116], v112
	v_add_u32_e32 v111, 1, v111
	v_cmp_lt_u32_e32 vcc, 2, v111
	v_add_u32_e32 v112, 8, v112
	v_add_u32_e32 v113, 8, v113
	s_or_b64 s[8:9], vcc, s[8:9]
	s_waitcnt vmcnt(1) lgkmcnt(0)
	v_mul_f32_e32 v119, v116, v117
	v_mul_f32_e32 v117, v115, v117
	s_waitcnt vmcnt(0)
	v_fma_f32 v115, v115, v118, -v119
	v_fmac_f32_e32 v117, v116, v118
	v_add_f32_e32 v114, v114, v115
	v_add_f32_e32 v108, v108, v117
	s_andn2_b64 exec, exec, s[8:9]
	s_cbranch_execnz .LBB116_29
; %bb.30:
	s_or_b64 exec, exec, s[8:9]
	v_mov_b32_e32 v111, 0
	ds_read_b64 v[111:112], v111 offset:32
	s_waitcnt lgkmcnt(0)
	v_mul_f32_e32 v113, v108, v112
	v_mul_f32_e32 v112, v114, v112
	v_fma_f32 v113, v114, v111, -v113
	v_fmac_f32_e32 v112, v108, v111
	buffer_store_dword v113, off, s[0:3], 0 offset:32
	buffer_store_dword v112, off, s[0:3], 0 offset:36
.LBB116_31:
	s_or_b64 exec, exec, s[4:5]
	; wave barrier
	buffer_load_dword v111, off, s[0:3], 0 offset:40
	buffer_load_dword v112, off, s[0:3], 0 offset:44
	v_cmp_gt_u32_e32 vcc, 5, v0
	s_waitcnt vmcnt(0)
	ds_write_b64 v110, v[111:112]
	;; [unrolled: 49-line block ×19, first 2 shown]
	s_waitcnt lgkmcnt(0)
	; wave barrier
	s_and_saveexec_b64 s[4:5], vcc
	s_cbranch_execz .LBB116_103
; %bb.100:
	v_add_u32_e32 v111, -1, v0
	v_add_u32_e32 v112, 0x1b0, v109
	v_mov_b32_e32 v113, v109
	v_mov_b32_e32 v108, 0
	s_mov_b64 s[8:9], 0
	v_mov_b32_e32 v114, 0
.LBB116_101:                            ; =>This Inner Loop Header: Depth=1
	buffer_load_dword v117, v113, s[0:3], 0 offen offset:4
	buffer_load_dword v118, v113, s[0:3], 0 offen
	ds_read_b64 v[115:116], v112
	v_add_u32_e32 v111, 1, v111
	v_cmp_lt_u32_e32 vcc, 20, v111
	v_add_u32_e32 v112, 8, v112
	v_add_u32_e32 v113, 8, v113
	s_or_b64 s[8:9], vcc, s[8:9]
	s_waitcnt vmcnt(1) lgkmcnt(0)
	v_mul_f32_e32 v119, v116, v117
	v_mul_f32_e32 v117, v115, v117
	s_waitcnt vmcnt(0)
	v_fma_f32 v115, v115, v118, -v119
	v_fmac_f32_e32 v117, v116, v118
	v_add_f32_e32 v114, v114, v115
	v_add_f32_e32 v108, v108, v117
	s_andn2_b64 exec, exec, s[8:9]
	s_cbranch_execnz .LBB116_101
; %bb.102:
	s_or_b64 exec, exec, s[8:9]
	v_mov_b32_e32 v111, 0
	ds_read_b64 v[111:112], v111 offset:176
	s_waitcnt lgkmcnt(0)
	v_mul_f32_e32 v113, v108, v112
	v_mul_f32_e32 v112, v114, v112
	v_fma_f32 v113, v114, v111, -v113
	v_fmac_f32_e32 v112, v108, v111
	buffer_store_dword v113, off, s[0:3], 0 offset:176
	buffer_store_dword v112, off, s[0:3], 0 offset:180
.LBB116_103:
	s_or_b64 exec, exec, s[4:5]
	; wave barrier
	buffer_load_dword v111, off, s[0:3], 0 offset:184
	buffer_load_dword v112, off, s[0:3], 0 offset:188
	v_cmp_gt_u32_e32 vcc, 23, v0
	s_waitcnt vmcnt(0)
	ds_write_b64 v110, v[111:112]
	s_waitcnt lgkmcnt(0)
	; wave barrier
	s_and_saveexec_b64 s[4:5], vcc
	s_cbranch_execz .LBB116_107
; %bb.104:
	v_add_u32_e32 v111, -1, v0
	v_add_u32_e32 v112, 0x1b0, v109
	v_mov_b32_e32 v113, v109
	v_mov_b32_e32 v108, 0
	s_mov_b64 s[8:9], 0
	v_mov_b32_e32 v114, 0
.LBB116_105:                            ; =>This Inner Loop Header: Depth=1
	buffer_load_dword v117, v113, s[0:3], 0 offen offset:4
	buffer_load_dword v118, v113, s[0:3], 0 offen
	ds_read_b64 v[115:116], v112
	v_add_u32_e32 v111, 1, v111
	v_cmp_lt_u32_e32 vcc, 21, v111
	v_add_u32_e32 v112, 8, v112
	v_add_u32_e32 v113, 8, v113
	s_or_b64 s[8:9], vcc, s[8:9]
	s_waitcnt vmcnt(1) lgkmcnt(0)
	v_mul_f32_e32 v119, v116, v117
	v_mul_f32_e32 v117, v115, v117
	s_waitcnt vmcnt(0)
	v_fma_f32 v115, v115, v118, -v119
	v_fmac_f32_e32 v117, v116, v118
	v_add_f32_e32 v114, v114, v115
	v_add_f32_e32 v108, v108, v117
	s_andn2_b64 exec, exec, s[8:9]
	s_cbranch_execnz .LBB116_105
; %bb.106:
	s_or_b64 exec, exec, s[8:9]
	v_mov_b32_e32 v111, 0
	ds_read_b64 v[111:112], v111 offset:184
	s_waitcnt lgkmcnt(0)
	v_mul_f32_e32 v113, v108, v112
	v_mul_f32_e32 v112, v114, v112
	v_fma_f32 v113, v114, v111, -v113
	v_fmac_f32_e32 v112, v108, v111
	buffer_store_dword v113, off, s[0:3], 0 offset:184
	buffer_store_dword v112, off, s[0:3], 0 offset:188
.LBB116_107:
	s_or_b64 exec, exec, s[4:5]
	; wave barrier
	buffer_load_dword v111, off, s[0:3], 0 offset:192
	buffer_load_dword v112, off, s[0:3], 0 offset:196
	v_cmp_gt_u32_e32 vcc, 24, v0
	s_waitcnt vmcnt(0)
	ds_write_b64 v110, v[111:112]
	;; [unrolled: 49-line block ×29, first 2 shown]
	s_waitcnt lgkmcnt(0)
	; wave barrier
	s_and_saveexec_b64 s[4:5], vcc
	s_cbranch_execz .LBB116_219
; %bb.216:
	v_add_u32_e32 v111, -1, v0
	v_add_u32_e32 v112, 0x1b0, v109
	v_mov_b32_e32 v113, v109
	v_mov_b32_e32 v108, 0
	s_mov_b64 s[8:9], 0
	v_mov_b32_e32 v114, 0
.LBB116_217:                            ; =>This Inner Loop Header: Depth=1
	buffer_load_dword v117, v113, s[0:3], 0 offen offset:4
	buffer_load_dword v118, v113, s[0:3], 0 offen
	ds_read_b64 v[115:116], v112
	v_add_u32_e32 v111, 1, v111
	v_cmp_lt_u32_e32 vcc, 49, v111
	v_add_u32_e32 v112, 8, v112
	v_add_u32_e32 v113, 8, v113
	s_or_b64 s[8:9], vcc, s[8:9]
	s_waitcnt vmcnt(1) lgkmcnt(0)
	v_mul_f32_e32 v119, v116, v117
	v_mul_f32_e32 v117, v115, v117
	s_waitcnt vmcnt(0)
	v_fma_f32 v115, v115, v118, -v119
	v_fmac_f32_e32 v117, v116, v118
	v_add_f32_e32 v114, v114, v115
	v_add_f32_e32 v108, v108, v117
	s_andn2_b64 exec, exec, s[8:9]
	s_cbranch_execnz .LBB116_217
; %bb.218:
	s_or_b64 exec, exec, s[8:9]
	v_mov_b32_e32 v111, 0
	ds_read_b64 v[111:112], v111 offset:408
	s_waitcnt lgkmcnt(0)
	v_mul_f32_e32 v113, v108, v112
	v_mul_f32_e32 v112, v114, v112
	v_fma_f32 v113, v114, v111, -v113
	v_fmac_f32_e32 v112, v108, v111
	buffer_store_dword v113, off, s[0:3], 0 offset:408
	buffer_store_dword v112, off, s[0:3], 0 offset:412
.LBB116_219:
	s_or_b64 exec, exec, s[4:5]
	; wave barrier
	buffer_load_dword v111, off, s[0:3], 0 offset:416
	buffer_load_dword v112, off, s[0:3], 0 offset:420
	v_cmp_ne_u32_e32 vcc, 52, v0
	s_waitcnt vmcnt(0)
	ds_write_b64 v110, v[111:112]
	s_waitcnt lgkmcnt(0)
	; wave barrier
	s_and_saveexec_b64 s[4:5], vcc
	s_cbranch_execz .LBB116_223
; %bb.220:
	v_add_u32_e32 v110, 0x1b0, v109
	v_mov_b32_e32 v108, 0
	s_mov_b64 s[8:9], 0
	v_mov_b32_e32 v111, 0
.LBB116_221:                            ; =>This Inner Loop Header: Depth=1
	buffer_load_dword v114, v109, s[0:3], 0 offen offset:4
	buffer_load_dword v115, v109, s[0:3], 0 offen
	ds_read_b64 v[112:113], v110
	v_add_u32_e32 v107, 1, v107
	v_cmp_lt_u32_e32 vcc, 50, v107
	v_add_u32_e32 v110, 8, v110
	v_add_u32_e32 v109, 8, v109
	s_or_b64 s[8:9], vcc, s[8:9]
	s_waitcnt vmcnt(1) lgkmcnt(0)
	v_mul_f32_e32 v116, v113, v114
	v_mul_f32_e32 v114, v112, v114
	s_waitcnt vmcnt(0)
	v_fma_f32 v112, v112, v115, -v116
	v_fmac_f32_e32 v114, v113, v115
	v_add_f32_e32 v111, v111, v112
	v_add_f32_e32 v108, v108, v114
	s_andn2_b64 exec, exec, s[8:9]
	s_cbranch_execnz .LBB116_221
; %bb.222:
	s_or_b64 exec, exec, s[8:9]
	v_mov_b32_e32 v107, 0
	ds_read_b64 v[109:110], v107 offset:416
	s_waitcnt lgkmcnt(0)
	v_mul_f32_e32 v107, v108, v110
	v_mul_f32_e32 v110, v111, v110
	v_fma_f32 v107, v111, v109, -v107
	v_fmac_f32_e32 v110, v108, v109
	buffer_store_dword v107, off, s[0:3], 0 offset:416
	buffer_store_dword v110, off, s[0:3], 0 offset:420
.LBB116_223:
	s_or_b64 exec, exec, s[4:5]
	s_mov_b64 s[8:9], -1
	; wave barrier
.LBB116_224:
	s_and_b64 vcc, exec, s[8:9]
	s_cbranch_vccz .LBB116_226
; %bb.225:
	s_lshl_b64 s[4:5], s[6:7], 2
	s_add_u32 s4, s10, s4
	s_addc_u32 s5, s11, s5
	v_mov_b32_e32 v107, 0
	global_load_dword v107, v107, s[4:5]
	s_waitcnt vmcnt(0)
	v_cmp_ne_u32_e32 vcc, 0, v107
	s_cbranch_vccz .LBB116_227
.LBB116_226:
	s_endpgm
.LBB116_227:
	v_mov_b32_e32 v107, 0x1b0
	v_lshl_add_u32 v107, v0, 3, v107
	v_cmp_eq_u32_e32 vcc, 52, v0
	s_and_saveexec_b64 s[4:5], vcc
	s_cbranch_execz .LBB116_229
; %bb.228:
	buffer_load_dword v108, off, s[0:3], 0 offset:408
	buffer_load_dword v109, off, s[0:3], 0 offset:412
	v_mov_b32_e32 v110, 0
	buffer_store_dword v110, off, s[0:3], 0 offset:408
	buffer_store_dword v110, off, s[0:3], 0 offset:412
	s_waitcnt vmcnt(2)
	ds_write_b64 v107, v[108:109]
.LBB116_229:
	s_or_b64 exec, exec, s[4:5]
	s_waitcnt lgkmcnt(0)
	; wave barrier
	buffer_load_dword v111, off, s[0:3], 0 offset:420
	buffer_load_dword v112, off, s[0:3], 0 offset:416
	;; [unrolled: 1-line block ×4, first 2 shown]
	v_mov_b32_e32 v108, 0
	ds_read_b64 v[109:110], v108 offset:848
	v_cmp_lt_u32_e32 vcc, 50, v0
	s_waitcnt vmcnt(3) lgkmcnt(0)
	v_mul_f32_e32 v115, v109, v111
	v_mul_f32_e32 v111, v110, v111
	s_waitcnt vmcnt(2)
	v_fma_f32 v109, v109, v112, -v111
	v_fmac_f32_e32 v115, v110, v112
	v_add_f32_e32 v109, 0, v109
	v_add_f32_e32 v110, 0, v115
	s_waitcnt vmcnt(1)
	v_sub_f32_e32 v109, v113, v109
	s_waitcnt vmcnt(0)
	v_sub_f32_e32 v110, v114, v110
	buffer_store_dword v109, off, s[0:3], 0 offset:408
	buffer_store_dword v110, off, s[0:3], 0 offset:412
	s_and_saveexec_b64 s[4:5], vcc
	s_cbranch_execz .LBB116_231
; %bb.230:
	buffer_load_dword v109, off, s[0:3], 0 offset:400
	buffer_load_dword v110, off, s[0:3], 0 offset:404
	s_waitcnt vmcnt(0)
	ds_write_b64 v107, v[109:110]
	buffer_store_dword v108, off, s[0:3], 0 offset:400
	buffer_store_dword v108, off, s[0:3], 0 offset:404
.LBB116_231:
	s_or_b64 exec, exec, s[4:5]
	s_waitcnt lgkmcnt(0)
	; wave barrier
	buffer_load_dword v112, off, s[0:3], 0 offset:412
	buffer_load_dword v113, off, s[0:3], 0 offset:420
	;; [unrolled: 1-line block ×6, first 2 shown]
	ds_read2_b64 v[108:111], v108 offset0:105 offset1:106
	v_cmp_lt_u32_e32 vcc, 49, v0
	s_waitcnt vmcnt(5) lgkmcnt(0)
	v_mul_f32_e32 v118, v108, v112
	v_mul_f32_e32 v112, v109, v112
	s_waitcnt vmcnt(4)
	v_mul_f32_e32 v119, v110, v113
	v_mul_f32_e32 v113, v111, v113
	s_waitcnt vmcnt(3)
	v_fma_f32 v108, v108, v114, -v112
	v_fmac_f32_e32 v118, v109, v114
	s_waitcnt vmcnt(2)
	v_fma_f32 v109, v110, v115, -v113
	v_add_f32_e32 v108, 0, v108
	v_fmac_f32_e32 v119, v111, v115
	v_add_f32_e32 v110, 0, v118
	v_add_f32_e32 v108, v108, v109
	;; [unrolled: 1-line block ×3, first 2 shown]
	s_waitcnt vmcnt(1)
	v_sub_f32_e32 v108, v116, v108
	s_waitcnt vmcnt(0)
	v_sub_f32_e32 v109, v117, v110
	buffer_store_dword v108, off, s[0:3], 0 offset:400
	buffer_store_dword v109, off, s[0:3], 0 offset:404
	s_and_saveexec_b64 s[4:5], vcc
	s_cbranch_execz .LBB116_233
; %bb.232:
	buffer_load_dword v108, off, s[0:3], 0 offset:392
	buffer_load_dword v109, off, s[0:3], 0 offset:396
	v_mov_b32_e32 v110, 0
	buffer_store_dword v110, off, s[0:3], 0 offset:392
	buffer_store_dword v110, off, s[0:3], 0 offset:396
	s_waitcnt vmcnt(2)
	ds_write_b64 v107, v[108:109]
.LBB116_233:
	s_or_b64 exec, exec, s[4:5]
	s_waitcnt lgkmcnt(0)
	; wave barrier
	buffer_load_dword v115, off, s[0:3], 0 offset:404
	buffer_load_dword v116, off, s[0:3], 0 offset:412
	;; [unrolled: 1-line block ×8, first 2 shown]
	v_mov_b32_e32 v108, 0
	ds_read_b128 v[109:112], v108 offset:832
	ds_read_b64 v[113:114], v108 offset:848
	v_cmp_lt_u32_e32 vcc, 48, v0
	s_waitcnt vmcnt(7) lgkmcnt(1)
	v_mul_f32_e32 v123, v109, v115
	v_mul_f32_e32 v115, v110, v115
	s_waitcnt vmcnt(6)
	v_mul_f32_e32 v124, v111, v116
	v_mul_f32_e32 v116, v112, v116
	s_waitcnt vmcnt(4)
	v_fma_f32 v109, v109, v118, -v115
	s_waitcnt lgkmcnt(0)
	v_mul_f32_e32 v125, v113, v117
	v_mul_f32_e32 v117, v114, v117
	v_fmac_f32_e32 v123, v110, v118
	s_waitcnt vmcnt(3)
	v_fma_f32 v110, v111, v119, -v116
	v_add_f32_e32 v109, 0, v109
	v_fmac_f32_e32 v124, v112, v119
	s_waitcnt vmcnt(2)
	v_fma_f32 v111, v113, v120, -v117
	v_add_f32_e32 v112, 0, v123
	v_add_f32_e32 v109, v109, v110
	v_fmac_f32_e32 v125, v114, v120
	v_add_f32_e32 v112, v112, v124
	v_add_f32_e32 v109, v109, v111
	;; [unrolled: 1-line block ×3, first 2 shown]
	s_waitcnt vmcnt(1)
	v_sub_f32_e32 v109, v121, v109
	s_waitcnt vmcnt(0)
	v_sub_f32_e32 v110, v122, v110
	buffer_store_dword v109, off, s[0:3], 0 offset:392
	buffer_store_dword v110, off, s[0:3], 0 offset:396
	s_and_saveexec_b64 s[4:5], vcc
	s_cbranch_execz .LBB116_235
; %bb.234:
	buffer_load_dword v109, off, s[0:3], 0 offset:384
	buffer_load_dword v110, off, s[0:3], 0 offset:388
	s_waitcnt vmcnt(0)
	ds_write_b64 v107, v[109:110]
	buffer_store_dword v108, off, s[0:3], 0 offset:384
	buffer_store_dword v108, off, s[0:3], 0 offset:388
.LBB116_235:
	s_or_b64 exec, exec, s[4:5]
	s_waitcnt lgkmcnt(0)
	; wave barrier
	buffer_load_dword v117, off, s[0:3], 0 offset:396
	buffer_load_dword v118, off, s[0:3], 0 offset:404
	;; [unrolled: 1-line block ×10, first 2 shown]
	ds_read2_b64 v[109:112], v108 offset0:103 offset1:104
	ds_read2_b64 v[113:116], v108 offset0:105 offset1:106
	v_cmp_lt_u32_e32 vcc, 47, v0
	s_waitcnt vmcnt(9) lgkmcnt(1)
	v_mul_f32_e32 v108, v109, v117
	v_mul_f32_e32 v117, v110, v117
	s_waitcnt vmcnt(8)
	v_mul_f32_e32 v127, v111, v118
	v_mul_f32_e32 v118, v112, v118
	s_waitcnt vmcnt(5)
	v_fma_f32 v109, v109, v121, -v117
	s_waitcnt lgkmcnt(0)
	v_mul_f32_e32 v128, v113, v119
	v_mul_f32_e32 v119, v114, v119
	v_fmac_f32_e32 v108, v110, v121
	s_waitcnt vmcnt(4)
	v_fma_f32 v110, v111, v122, -v118
	v_add_f32_e32 v109, 0, v109
	v_mul_f32_e32 v129, v115, v120
	v_mul_f32_e32 v120, v116, v120
	v_fmac_f32_e32 v127, v112, v122
	s_waitcnt vmcnt(3)
	v_fma_f32 v111, v113, v123, -v119
	v_add_f32_e32 v108, 0, v108
	v_add_f32_e32 v109, v109, v110
	v_fmac_f32_e32 v128, v114, v123
	s_waitcnt vmcnt(2)
	v_fma_f32 v112, v115, v124, -v120
	v_add_f32_e32 v108, v108, v127
	v_add_f32_e32 v109, v109, v111
	v_fmac_f32_e32 v129, v116, v124
	v_add_f32_e32 v108, v108, v128
	v_add_f32_e32 v109, v109, v112
	;; [unrolled: 1-line block ×3, first 2 shown]
	s_waitcnt vmcnt(1)
	v_sub_f32_e32 v109, v125, v109
	s_waitcnt vmcnt(0)
	v_sub_f32_e32 v108, v126, v108
	buffer_store_dword v109, off, s[0:3], 0 offset:384
	buffer_store_dword v108, off, s[0:3], 0 offset:388
	s_and_saveexec_b64 s[4:5], vcc
	s_cbranch_execz .LBB116_237
; %bb.236:
	buffer_load_dword v108, off, s[0:3], 0 offset:376
	buffer_load_dword v109, off, s[0:3], 0 offset:380
	v_mov_b32_e32 v110, 0
	buffer_store_dword v110, off, s[0:3], 0 offset:376
	buffer_store_dword v110, off, s[0:3], 0 offset:380
	s_waitcnt vmcnt(2)
	ds_write_b64 v107, v[108:109]
.LBB116_237:
	s_or_b64 exec, exec, s[4:5]
	s_waitcnt lgkmcnt(0)
	; wave barrier
	buffer_load_dword v119, off, s[0:3], 0 offset:388
	buffer_load_dword v120, off, s[0:3], 0 offset:396
	;; [unrolled: 1-line block ×12, first 2 shown]
	v_mov_b32_e32 v108, 0
	ds_read_b128 v[109:112], v108 offset:816
	ds_read_b128 v[113:116], v108 offset:832
	ds_read_b64 v[117:118], v108 offset:848
	v_cmp_lt_u32_e32 vcc, 46, v0
	s_waitcnt vmcnt(11) lgkmcnt(2)
	v_mul_f32_e32 v131, v109, v119
	v_mul_f32_e32 v119, v110, v119
	s_waitcnt vmcnt(10)
	v_mul_f32_e32 v132, v111, v120
	v_mul_f32_e32 v120, v112, v120
	s_waitcnt vmcnt(9) lgkmcnt(1)
	v_mul_f32_e32 v133, v113, v121
	s_waitcnt vmcnt(6)
	v_fma_f32 v109, v109, v124, -v119
	v_mul_f32_e32 v121, v114, v121
	v_fmac_f32_e32 v131, v110, v124
	s_waitcnt vmcnt(5)
	v_fma_f32 v110, v111, v125, -v120
	v_add_f32_e32 v109, 0, v109
	v_mul_f32_e32 v134, v115, v122
	v_mul_f32_e32 v122, v116, v122
	v_fmac_f32_e32 v132, v112, v125
	s_waitcnt vmcnt(4)
	v_fmac_f32_e32 v133, v114, v126
	v_fma_f32 v111, v113, v126, -v121
	v_add_f32_e32 v114, 0, v131
	v_add_f32_e32 v109, v109, v110
	s_waitcnt lgkmcnt(0)
	v_mul_f32_e32 v135, v117, v123
	v_mul_f32_e32 v123, v118, v123
	s_waitcnt vmcnt(3)
	v_fma_f32 v112, v115, v127, -v122
	v_add_f32_e32 v114, v114, v132
	v_add_f32_e32 v109, v109, v111
	v_fmac_f32_e32 v134, v116, v127
	s_waitcnt vmcnt(2)
	v_fma_f32 v113, v117, v128, -v123
	v_add_f32_e32 v110, v114, v133
	v_add_f32_e32 v109, v109, v112
	v_fmac_f32_e32 v135, v118, v128
	v_add_f32_e32 v110, v110, v134
	v_add_f32_e32 v109, v109, v113
	;; [unrolled: 1-line block ×3, first 2 shown]
	s_waitcnt vmcnt(1)
	v_sub_f32_e32 v109, v129, v109
	s_waitcnt vmcnt(0)
	v_sub_f32_e32 v110, v130, v110
	buffer_store_dword v109, off, s[0:3], 0 offset:376
	buffer_store_dword v110, off, s[0:3], 0 offset:380
	s_and_saveexec_b64 s[4:5], vcc
	s_cbranch_execz .LBB116_239
; %bb.238:
	buffer_load_dword v109, off, s[0:3], 0 offset:368
	buffer_load_dword v110, off, s[0:3], 0 offset:372
	s_waitcnt vmcnt(0)
	ds_write_b64 v107, v[109:110]
	buffer_store_dword v108, off, s[0:3], 0 offset:368
	buffer_store_dword v108, off, s[0:3], 0 offset:372
.LBB116_239:
	s_or_b64 exec, exec, s[4:5]
	s_waitcnt lgkmcnt(0)
	; wave barrier
	buffer_load_dword v121, off, s[0:3], 0 offset:380
	buffer_load_dword v122, off, s[0:3], 0 offset:388
	;; [unrolled: 1-line block ×14, first 2 shown]
	ds_read2_b64 v[109:112], v108 offset0:101 offset1:102
	ds_read2_b64 v[113:116], v108 offset0:103 offset1:104
	;; [unrolled: 1-line block ×3, first 2 shown]
	v_cmp_lt_u32_e32 vcc, 45, v0
	s_waitcnt vmcnt(13) lgkmcnt(2)
	v_mul_f32_e32 v108, v109, v121
	v_mul_f32_e32 v121, v110, v121
	s_waitcnt vmcnt(12)
	v_mul_f32_e32 v135, v111, v122
	v_mul_f32_e32 v122, v112, v122
	s_waitcnt vmcnt(11) lgkmcnt(1)
	v_mul_f32_e32 v136, v113, v123
	v_mul_f32_e32 v123, v114, v123
	s_waitcnt vmcnt(7)
	v_fma_f32 v109, v109, v127, -v121
	v_fmac_f32_e32 v108, v110, v127
	s_waitcnt vmcnt(6)
	v_fma_f32 v110, v111, v128, -v122
	v_add_f32_e32 v109, 0, v109
	v_mul_f32_e32 v137, v115, v124
	v_mul_f32_e32 v124, v116, v124
	v_fmac_f32_e32 v135, v112, v128
	s_waitcnt vmcnt(5)
	v_fma_f32 v111, v113, v129, -v123
	v_add_f32_e32 v108, 0, v108
	v_add_f32_e32 v109, v109, v110
	s_waitcnt lgkmcnt(0)
	v_mul_f32_e32 v138, v117, v125
	v_mul_f32_e32 v125, v118, v125
	v_fmac_f32_e32 v136, v114, v129
	s_waitcnt vmcnt(4)
	v_fma_f32 v112, v115, v130, -v124
	v_add_f32_e32 v108, v108, v135
	v_add_f32_e32 v109, v109, v111
	v_mul_f32_e32 v139, v119, v126
	v_mul_f32_e32 v126, v120, v126
	v_fmac_f32_e32 v137, v116, v130
	s_waitcnt vmcnt(3)
	v_fma_f32 v113, v117, v131, -v125
	v_add_f32_e32 v108, v108, v136
	v_add_f32_e32 v109, v109, v112
	v_fmac_f32_e32 v138, v118, v131
	s_waitcnt vmcnt(2)
	v_fma_f32 v114, v119, v132, -v126
	v_add_f32_e32 v108, v108, v137
	v_add_f32_e32 v109, v109, v113
	v_fmac_f32_e32 v139, v120, v132
	v_add_f32_e32 v108, v108, v138
	v_add_f32_e32 v109, v109, v114
	;; [unrolled: 1-line block ×3, first 2 shown]
	s_waitcnt vmcnt(1)
	v_sub_f32_e32 v109, v133, v109
	s_waitcnt vmcnt(0)
	v_sub_f32_e32 v108, v134, v108
	buffer_store_dword v109, off, s[0:3], 0 offset:368
	buffer_store_dword v108, off, s[0:3], 0 offset:372
	s_and_saveexec_b64 s[4:5], vcc
	s_cbranch_execz .LBB116_241
; %bb.240:
	buffer_load_dword v108, off, s[0:3], 0 offset:360
	buffer_load_dword v109, off, s[0:3], 0 offset:364
	v_mov_b32_e32 v110, 0
	buffer_store_dword v110, off, s[0:3], 0 offset:360
	buffer_store_dword v110, off, s[0:3], 0 offset:364
	s_waitcnt vmcnt(2)
	ds_write_b64 v107, v[108:109]
.LBB116_241:
	s_or_b64 exec, exec, s[4:5]
	s_waitcnt lgkmcnt(0)
	; wave barrier
	buffer_load_dword v123, off, s[0:3], 0 offset:372
	buffer_load_dword v124, off, s[0:3], 0 offset:380
	buffer_load_dword v125, off, s[0:3], 0 offset:388
	buffer_load_dword v126, off, s[0:3], 0 offset:396
	buffer_load_dword v127, off, s[0:3], 0 offset:404
	buffer_load_dword v128, off, s[0:3], 0 offset:412
	buffer_load_dword v129, off, s[0:3], 0 offset:420
	buffer_load_dword v130, off, s[0:3], 0 offset:368
	buffer_load_dword v131, off, s[0:3], 0 offset:376
	buffer_load_dword v132, off, s[0:3], 0 offset:384
	buffer_load_dword v133, off, s[0:3], 0 offset:392
	buffer_load_dword v134, off, s[0:3], 0 offset:400
	buffer_load_dword v135, off, s[0:3], 0 offset:408
	buffer_load_dword v136, off, s[0:3], 0 offset:416
	buffer_load_dword v137, off, s[0:3], 0 offset:360
	buffer_load_dword v138, off, s[0:3], 0 offset:364
	v_mov_b32_e32 v108, 0
	ds_read_b128 v[109:112], v108 offset:800
	ds_read_b128 v[113:116], v108 offset:816
	;; [unrolled: 1-line block ×3, first 2 shown]
	ds_read_b64 v[121:122], v108 offset:848
	v_cmp_lt_u32_e32 vcc, 44, v0
	s_waitcnt vmcnt(15) lgkmcnt(3)
	v_mul_f32_e32 v139, v109, v123
	v_mul_f32_e32 v123, v110, v123
	s_waitcnt vmcnt(14)
	v_mul_f32_e32 v140, v111, v124
	v_mul_f32_e32 v124, v112, v124
	s_waitcnt vmcnt(13) lgkmcnt(2)
	v_mul_f32_e32 v141, v113, v125
	s_waitcnt vmcnt(12)
	v_mul_f32_e32 v142, v115, v126
	v_mul_f32_e32 v125, v114, v125
	s_waitcnt vmcnt(8)
	v_fma_f32 v109, v109, v130, -v123
	v_fmac_f32_e32 v139, v110, v130
	s_waitcnt vmcnt(7)
	v_fma_f32 v110, v111, v131, -v124
	v_add_f32_e32 v109, 0, v109
	v_mul_f32_e32 v126, v116, v126
	v_fmac_f32_e32 v140, v112, v131
	s_waitcnt vmcnt(5)
	v_fmac_f32_e32 v142, v116, v133
	v_fma_f32 v111, v113, v132, -v125
	v_add_f32_e32 v116, 0, v139
	v_add_f32_e32 v109, v109, v110
	s_waitcnt lgkmcnt(1)
	v_mul_f32_e32 v143, v117, v127
	v_mul_f32_e32 v127, v118, v127
	v_fmac_f32_e32 v141, v114, v132
	v_fma_f32 v112, v115, v133, -v126
	v_add_f32_e32 v116, v116, v140
	v_add_f32_e32 v109, v109, v111
	v_mul_f32_e32 v144, v119, v128
	v_mul_f32_e32 v128, v120, v128
	s_waitcnt vmcnt(4)
	v_fma_f32 v113, v117, v134, -v127
	v_add_f32_e32 v110, v116, v141
	v_add_f32_e32 v109, v109, v112
	s_waitcnt lgkmcnt(0)
	v_mul_f32_e32 v145, v121, v129
	v_mul_f32_e32 v129, v122, v129
	v_fmac_f32_e32 v143, v118, v134
	s_waitcnt vmcnt(3)
	v_fma_f32 v114, v119, v135, -v128
	v_add_f32_e32 v110, v110, v142
	v_add_f32_e32 v109, v109, v113
	v_fmac_f32_e32 v144, v120, v135
	s_waitcnt vmcnt(2)
	v_fma_f32 v115, v121, v136, -v129
	v_add_f32_e32 v110, v110, v143
	v_add_f32_e32 v109, v109, v114
	v_fmac_f32_e32 v145, v122, v136
	v_add_f32_e32 v110, v110, v144
	v_add_f32_e32 v109, v109, v115
	;; [unrolled: 1-line block ×3, first 2 shown]
	s_waitcnt vmcnt(1)
	v_sub_f32_e32 v109, v137, v109
	s_waitcnt vmcnt(0)
	v_sub_f32_e32 v110, v138, v110
	buffer_store_dword v109, off, s[0:3], 0 offset:360
	buffer_store_dword v110, off, s[0:3], 0 offset:364
	s_and_saveexec_b64 s[4:5], vcc
	s_cbranch_execz .LBB116_243
; %bb.242:
	buffer_load_dword v109, off, s[0:3], 0 offset:352
	buffer_load_dword v110, off, s[0:3], 0 offset:356
	s_waitcnt vmcnt(0)
	ds_write_b64 v107, v[109:110]
	buffer_store_dword v108, off, s[0:3], 0 offset:352
	buffer_store_dword v108, off, s[0:3], 0 offset:356
.LBB116_243:
	s_or_b64 exec, exec, s[4:5]
	s_waitcnt lgkmcnt(0)
	; wave barrier
	buffer_load_dword v125, off, s[0:3], 0 offset:364
	buffer_load_dword v126, off, s[0:3], 0 offset:372
	;; [unrolled: 1-line block ×18, first 2 shown]
	ds_read2_b64 v[109:112], v108 offset0:99 offset1:100
	ds_read2_b64 v[113:116], v108 offset0:101 offset1:102
	;; [unrolled: 1-line block ×4, first 2 shown]
	v_cmp_lt_u32_e32 vcc, 43, v0
	s_waitcnt vmcnt(17) lgkmcnt(3)
	v_mul_f32_e32 v108, v109, v125
	v_mul_f32_e32 v125, v110, v125
	s_waitcnt vmcnt(16)
	v_mul_f32_e32 v143, v111, v126
	v_mul_f32_e32 v126, v112, v126
	s_waitcnt vmcnt(15) lgkmcnt(2)
	v_mul_f32_e32 v144, v113, v127
	v_mul_f32_e32 v127, v114, v127
	s_waitcnt vmcnt(14)
	v_mul_f32_e32 v145, v115, v128
	v_mul_f32_e32 v128, v116, v128
	s_waitcnt vmcnt(9)
	v_fma_f32 v109, v109, v133, -v125
	v_fmac_f32_e32 v108, v110, v133
	s_waitcnt vmcnt(8)
	v_fma_f32 v110, v111, v134, -v126
	v_add_f32_e32 v109, 0, v109
	v_fmac_f32_e32 v143, v112, v134
	s_waitcnt vmcnt(7)
	v_fma_f32 v111, v113, v135, -v127
	v_add_f32_e32 v108, 0, v108
	v_add_f32_e32 v109, v109, v110
	s_waitcnt lgkmcnt(1)
	v_mul_f32_e32 v146, v117, v129
	v_mul_f32_e32 v129, v118, v129
	v_fmac_f32_e32 v144, v114, v135
	s_waitcnt vmcnt(6)
	v_fma_f32 v112, v115, v136, -v128
	v_add_f32_e32 v108, v108, v143
	v_add_f32_e32 v109, v109, v111
	v_mul_f32_e32 v147, v119, v130
	v_mul_f32_e32 v130, v120, v130
	v_fmac_f32_e32 v145, v116, v136
	s_waitcnt vmcnt(5)
	v_fma_f32 v113, v117, v137, -v129
	v_add_f32_e32 v108, v108, v144
	v_add_f32_e32 v109, v109, v112
	s_waitcnt lgkmcnt(0)
	v_mul_f32_e32 v148, v121, v131
	v_mul_f32_e32 v131, v122, v131
	v_fmac_f32_e32 v146, v118, v137
	s_waitcnt vmcnt(4)
	v_fma_f32 v114, v119, v138, -v130
	v_add_f32_e32 v108, v108, v145
	v_add_f32_e32 v109, v109, v113
	v_mul_f32_e32 v149, v123, v132
	v_mul_f32_e32 v132, v124, v132
	v_fmac_f32_e32 v147, v120, v138
	s_waitcnt vmcnt(3)
	v_fma_f32 v115, v121, v139, -v131
	v_add_f32_e32 v108, v108, v146
	v_add_f32_e32 v109, v109, v114
	v_fmac_f32_e32 v148, v122, v139
	s_waitcnt vmcnt(2)
	v_fma_f32 v116, v123, v140, -v132
	v_add_f32_e32 v108, v108, v147
	v_add_f32_e32 v109, v109, v115
	v_fmac_f32_e32 v149, v124, v140
	v_add_f32_e32 v108, v108, v148
	v_add_f32_e32 v109, v109, v116
	;; [unrolled: 1-line block ×3, first 2 shown]
	s_waitcnt vmcnt(1)
	v_sub_f32_e32 v109, v141, v109
	s_waitcnt vmcnt(0)
	v_sub_f32_e32 v108, v142, v108
	buffer_store_dword v109, off, s[0:3], 0 offset:352
	buffer_store_dword v108, off, s[0:3], 0 offset:356
	s_and_saveexec_b64 s[4:5], vcc
	s_cbranch_execz .LBB116_245
; %bb.244:
	buffer_load_dword v108, off, s[0:3], 0 offset:344
	buffer_load_dword v109, off, s[0:3], 0 offset:348
	v_mov_b32_e32 v110, 0
	buffer_store_dword v110, off, s[0:3], 0 offset:344
	buffer_store_dword v110, off, s[0:3], 0 offset:348
	s_waitcnt vmcnt(2)
	ds_write_b64 v107, v[108:109]
.LBB116_245:
	s_or_b64 exec, exec, s[4:5]
	s_waitcnt lgkmcnt(0)
	; wave barrier
	buffer_load_dword v127, off, s[0:3], 0 offset:356
	buffer_load_dword v128, off, s[0:3], 0 offset:364
	;; [unrolled: 1-line block ×20, first 2 shown]
	v_mov_b32_e32 v108, 0
	ds_read_b128 v[109:112], v108 offset:784
	ds_read_b128 v[113:116], v108 offset:800
	;; [unrolled: 1-line block ×4, first 2 shown]
	ds_read_b64 v[125:126], v108 offset:848
	v_cmp_lt_u32_e32 vcc, 42, v0
	s_waitcnt vmcnt(19) lgkmcnt(4)
	v_mul_f32_e32 v147, v109, v127
	v_mul_f32_e32 v127, v110, v127
	s_waitcnt vmcnt(18)
	v_mul_f32_e32 v148, v111, v128
	v_mul_f32_e32 v128, v112, v128
	s_waitcnt vmcnt(17) lgkmcnt(3)
	v_mul_f32_e32 v149, v113, v129
	s_waitcnt vmcnt(15) lgkmcnt(2)
	v_mul_f32_e32 v151, v117, v131
	v_mul_f32_e32 v129, v114, v129
	;; [unrolled: 1-line block ×4, first 2 shown]
	s_waitcnt vmcnt(10)
	v_fma_f32 v109, v109, v136, -v127
	v_fmac_f32_e32 v147, v110, v136
	s_waitcnt vmcnt(9)
	v_fma_f32 v110, v111, v137, -v128
	v_add_f32_e32 v109, 0, v109
	v_mul_f32_e32 v131, v118, v131
	v_fmac_f32_e32 v148, v112, v137
	s_waitcnt vmcnt(6)
	v_fmac_f32_e32 v151, v118, v140
	v_fma_f32 v111, v113, v138, -v129
	v_add_f32_e32 v118, 0, v147
	v_add_f32_e32 v109, v109, v110
	v_fmac_f32_e32 v149, v114, v138
	v_fma_f32 v112, v115, v139, -v130
	v_add_f32_e32 v118, v118, v148
	v_add_f32_e32 v109, v109, v111
	v_mul_f32_e32 v152, v119, v132
	v_mul_f32_e32 v132, v120, v132
	v_fmac_f32_e32 v150, v116, v139
	v_fma_f32 v113, v117, v140, -v131
	v_add_f32_e32 v110, v118, v149
	v_add_f32_e32 v109, v109, v112
	s_waitcnt lgkmcnt(1)
	v_mul_f32_e32 v153, v121, v133
	v_mul_f32_e32 v133, v122, v133
	s_waitcnt vmcnt(5)
	v_fma_f32 v114, v119, v141, -v132
	v_add_f32_e32 v110, v110, v150
	v_add_f32_e32 v109, v109, v113
	v_mul_f32_e32 v154, v123, v134
	v_mul_f32_e32 v134, v124, v134
	v_fmac_f32_e32 v152, v120, v141
	s_waitcnt vmcnt(4)
	v_fma_f32 v115, v121, v142, -v133
	v_add_f32_e32 v110, v110, v151
	v_add_f32_e32 v109, v109, v114
	s_waitcnt lgkmcnt(0)
	v_mul_f32_e32 v155, v125, v135
	v_mul_f32_e32 v135, v126, v135
	v_fmac_f32_e32 v153, v122, v142
	s_waitcnt vmcnt(3)
	v_fma_f32 v116, v123, v143, -v134
	v_add_f32_e32 v110, v110, v152
	v_add_f32_e32 v109, v109, v115
	v_fmac_f32_e32 v154, v124, v143
	s_waitcnt vmcnt(2)
	v_fma_f32 v117, v125, v144, -v135
	v_add_f32_e32 v110, v110, v153
	v_add_f32_e32 v109, v109, v116
	v_fmac_f32_e32 v155, v126, v144
	v_add_f32_e32 v110, v110, v154
	v_add_f32_e32 v109, v109, v117
	;; [unrolled: 1-line block ×3, first 2 shown]
	s_waitcnt vmcnt(1)
	v_sub_f32_e32 v109, v145, v109
	s_waitcnt vmcnt(0)
	v_sub_f32_e32 v110, v146, v110
	buffer_store_dword v109, off, s[0:3], 0 offset:344
	buffer_store_dword v110, off, s[0:3], 0 offset:348
	s_and_saveexec_b64 s[4:5], vcc
	s_cbranch_execz .LBB116_247
; %bb.246:
	buffer_load_dword v109, off, s[0:3], 0 offset:336
	buffer_load_dword v110, off, s[0:3], 0 offset:340
	s_waitcnt vmcnt(0)
	ds_write_b64 v107, v[109:110]
	buffer_store_dword v108, off, s[0:3], 0 offset:336
	buffer_store_dword v108, off, s[0:3], 0 offset:340
.LBB116_247:
	s_or_b64 exec, exec, s[4:5]
	s_waitcnt lgkmcnt(0)
	; wave barrier
	buffer_load_dword v129, off, s[0:3], 0 offset:348
	buffer_load_dword v130, off, s[0:3], 0 offset:356
	;; [unrolled: 1-line block ×22, first 2 shown]
	ds_read2_b64 v[109:112], v108 offset0:97 offset1:98
	ds_read2_b64 v[113:116], v108 offset0:99 offset1:100
	;; [unrolled: 1-line block ×5, first 2 shown]
	v_cmp_lt_u32_e32 vcc, 41, v0
	s_waitcnt vmcnt(21) lgkmcnt(4)
	v_mul_f32_e32 v108, v109, v129
	v_mul_f32_e32 v129, v110, v129
	s_waitcnt vmcnt(20)
	v_mul_f32_e32 v151, v111, v130
	v_mul_f32_e32 v130, v112, v130
	s_waitcnt vmcnt(19) lgkmcnt(3)
	v_mul_f32_e32 v152, v113, v131
	v_mul_f32_e32 v131, v114, v131
	s_waitcnt vmcnt(18)
	v_mul_f32_e32 v153, v115, v132
	v_mul_f32_e32 v132, v116, v132
	s_waitcnt vmcnt(17) lgkmcnt(2)
	v_mul_f32_e32 v154, v117, v133
	v_mul_f32_e32 v133, v118, v133
	s_waitcnt vmcnt(11)
	v_fma_f32 v109, v109, v139, -v129
	v_fmac_f32_e32 v108, v110, v139
	s_waitcnt vmcnt(10)
	v_fma_f32 v110, v111, v140, -v130
	v_add_f32_e32 v109, 0, v109
	v_fmac_f32_e32 v151, v112, v140
	s_waitcnt vmcnt(9)
	v_fma_f32 v111, v113, v141, -v131
	v_add_f32_e32 v108, 0, v108
	v_add_f32_e32 v109, v109, v110
	v_fmac_f32_e32 v152, v114, v141
	s_waitcnt vmcnt(8)
	v_fma_f32 v112, v115, v142, -v132
	v_add_f32_e32 v108, v108, v151
	v_add_f32_e32 v109, v109, v111
	v_mul_f32_e32 v155, v119, v134
	v_mul_f32_e32 v134, v120, v134
	v_fmac_f32_e32 v153, v116, v142
	s_waitcnt vmcnt(7)
	v_fma_f32 v113, v117, v143, -v133
	v_add_f32_e32 v108, v108, v152
	v_add_f32_e32 v109, v109, v112
	s_waitcnt lgkmcnt(1)
	v_mul_f32_e32 v156, v121, v135
	v_mul_f32_e32 v135, v122, v135
	v_fmac_f32_e32 v154, v118, v143
	s_waitcnt vmcnt(6)
	v_fma_f32 v114, v119, v144, -v134
	v_add_f32_e32 v108, v108, v153
	v_add_f32_e32 v109, v109, v113
	v_mul_f32_e32 v157, v123, v136
	v_mul_f32_e32 v136, v124, v136
	v_fmac_f32_e32 v155, v120, v144
	s_waitcnt vmcnt(5)
	v_fma_f32 v115, v121, v145, -v135
	v_add_f32_e32 v108, v108, v154
	v_add_f32_e32 v109, v109, v114
	s_waitcnt lgkmcnt(0)
	v_mul_f32_e32 v158, v125, v137
	v_mul_f32_e32 v137, v126, v137
	v_fmac_f32_e32 v156, v122, v145
	s_waitcnt vmcnt(4)
	v_fma_f32 v116, v123, v146, -v136
	v_add_f32_e32 v108, v108, v155
	v_add_f32_e32 v109, v109, v115
	v_mul_f32_e32 v159, v127, v138
	v_mul_f32_e32 v138, v128, v138
	v_fmac_f32_e32 v157, v124, v146
	s_waitcnt vmcnt(3)
	v_fma_f32 v117, v125, v147, -v137
	v_add_f32_e32 v108, v108, v156
	v_add_f32_e32 v109, v109, v116
	v_fmac_f32_e32 v158, v126, v147
	s_waitcnt vmcnt(2)
	v_fma_f32 v118, v127, v148, -v138
	v_add_f32_e32 v108, v108, v157
	v_add_f32_e32 v109, v109, v117
	v_fmac_f32_e32 v159, v128, v148
	v_add_f32_e32 v108, v108, v158
	v_add_f32_e32 v109, v109, v118
	;; [unrolled: 1-line block ×3, first 2 shown]
	s_waitcnt vmcnt(1)
	v_sub_f32_e32 v109, v149, v109
	s_waitcnt vmcnt(0)
	v_sub_f32_e32 v108, v150, v108
	buffer_store_dword v109, off, s[0:3], 0 offset:336
	buffer_store_dword v108, off, s[0:3], 0 offset:340
	s_and_saveexec_b64 s[4:5], vcc
	s_cbranch_execz .LBB116_249
; %bb.248:
	buffer_load_dword v108, off, s[0:3], 0 offset:328
	buffer_load_dword v109, off, s[0:3], 0 offset:332
	v_mov_b32_e32 v110, 0
	buffer_store_dword v110, off, s[0:3], 0 offset:328
	buffer_store_dword v110, off, s[0:3], 0 offset:332
	s_waitcnt vmcnt(2)
	ds_write_b64 v107, v[108:109]
.LBB116_249:
	s_or_b64 exec, exec, s[4:5]
	s_waitcnt lgkmcnt(0)
	; wave barrier
	buffer_load_dword v131, off, s[0:3], 0 offset:340
	buffer_load_dword v132, off, s[0:3], 0 offset:348
	buffer_load_dword v133, off, s[0:3], 0 offset:356
	buffer_load_dword v134, off, s[0:3], 0 offset:364
	buffer_load_dword v135, off, s[0:3], 0 offset:372
	buffer_load_dword v136, off, s[0:3], 0 offset:380
	buffer_load_dword v137, off, s[0:3], 0 offset:388
	buffer_load_dword v138, off, s[0:3], 0 offset:396
	buffer_load_dword v139, off, s[0:3], 0 offset:404
	buffer_load_dword v140, off, s[0:3], 0 offset:412
	buffer_load_dword v141, off, s[0:3], 0 offset:420
	buffer_load_dword v142, off, s[0:3], 0 offset:336
	buffer_load_dword v143, off, s[0:3], 0 offset:344
	buffer_load_dword v144, off, s[0:3], 0 offset:352
	buffer_load_dword v145, off, s[0:3], 0 offset:360
	buffer_load_dword v146, off, s[0:3], 0 offset:368
	buffer_load_dword v147, off, s[0:3], 0 offset:376
	buffer_load_dword v148, off, s[0:3], 0 offset:384
	buffer_load_dword v149, off, s[0:3], 0 offset:392
	buffer_load_dword v150, off, s[0:3], 0 offset:400
	buffer_load_dword v151, off, s[0:3], 0 offset:408
	buffer_load_dword v152, off, s[0:3], 0 offset:416
	buffer_load_dword v153, off, s[0:3], 0 offset:328
	buffer_load_dword v154, off, s[0:3], 0 offset:332
	v_mov_b32_e32 v108, 0
	ds_read_b128 v[109:112], v108 offset:768
	ds_read_b128 v[113:116], v108 offset:784
	;; [unrolled: 1-line block ×5, first 2 shown]
	ds_read_b64 v[129:130], v108 offset:848
	v_cmp_lt_u32_e32 vcc, 40, v0
	s_waitcnt vmcnt(23) lgkmcnt(5)
	v_mul_f32_e32 v155, v109, v131
	v_mul_f32_e32 v131, v110, v131
	s_waitcnt vmcnt(22)
	v_mul_f32_e32 v156, v111, v132
	v_mul_f32_e32 v132, v112, v132
	s_waitcnt vmcnt(21) lgkmcnt(4)
	v_mul_f32_e32 v157, v113, v133
	v_mul_f32_e32 v133, v114, v133
	s_waitcnt vmcnt(20)
	v_mul_f32_e32 v158, v115, v134
	s_waitcnt vmcnt(19) lgkmcnt(3)
	v_mul_f32_e32 v159, v117, v135
	v_mul_f32_e32 v134, v116, v134
	;; [unrolled: 1-line block ×3, first 2 shown]
	s_waitcnt vmcnt(18)
	v_mul_f32_e32 v160, v119, v136
	s_waitcnt vmcnt(12)
	v_fma_f32 v109, v109, v142, -v131
	v_fmac_f32_e32 v155, v110, v142
	s_waitcnt vmcnt(11)
	v_fma_f32 v110, v111, v143, -v132
	v_add_f32_e32 v109, 0, v109
	s_waitcnt vmcnt(10)
	v_fma_f32 v111, v113, v144, -v133
	v_add_f32_e32 v109, v109, v110
	v_fmac_f32_e32 v156, v112, v143
	s_waitcnt vmcnt(8)
	v_fmac_f32_e32 v159, v118, v146
	v_fma_f32 v112, v115, v145, -v134
	v_add_f32_e32 v118, 0, v155
	v_add_f32_e32 v109, v109, v111
	v_mul_f32_e32 v136, v120, v136
	v_fmac_f32_e32 v157, v114, v144
	v_fma_f32 v113, v117, v146, -v135
	v_add_f32_e32 v118, v118, v156
	v_add_f32_e32 v109, v109, v112
	s_waitcnt lgkmcnt(2)
	v_mul_f32_e32 v161, v121, v137
	v_mul_f32_e32 v137, v122, v137
	v_fmac_f32_e32 v158, v116, v145
	s_waitcnt vmcnt(7)
	v_fma_f32 v114, v119, v147, -v136
	v_add_f32_e32 v110, v118, v157
	v_add_f32_e32 v109, v109, v113
	v_mul_f32_e32 v162, v123, v138
	v_mul_f32_e32 v138, v124, v138
	s_waitcnt vmcnt(6)
	v_fma_f32 v115, v121, v148, -v137
	v_add_f32_e32 v110, v110, v158
	v_add_f32_e32 v109, v109, v114
	s_waitcnt lgkmcnt(1)
	v_mul_f32_e32 v163, v125, v139
	v_mul_f32_e32 v139, v126, v139
	v_fmac_f32_e32 v160, v120, v147
	s_waitcnt vmcnt(5)
	v_fma_f32 v116, v123, v149, -v138
	v_add_f32_e32 v110, v110, v159
	v_add_f32_e32 v109, v109, v115
	v_fmac_f32_e32 v161, v122, v148
	s_waitcnt vmcnt(4)
	v_fma_f32 v117, v125, v150, -v139
	v_add_f32_e32 v110, v110, v160
	v_add_f32_e32 v109, v109, v116
	v_mul_f32_e32 v111, v128, v140
	v_fmac_f32_e32 v162, v124, v149
	v_add_f32_e32 v110, v110, v161
	v_add_f32_e32 v109, v109, v117
	s_waitcnt vmcnt(3)
	v_fma_f32 v111, v127, v151, -v111
	v_mul_f32_e32 v164, v127, v140
	v_fmac_f32_e32 v163, v126, v150
	v_add_f32_e32 v110, v110, v162
	v_add_f32_e32 v109, v109, v111
	s_waitcnt lgkmcnt(0)
	v_mul_f32_e32 v111, v130, v141
	v_mul_f32_e32 v165, v129, v141
	v_fmac_f32_e32 v164, v128, v151
	v_add_f32_e32 v110, v110, v163
	s_waitcnt vmcnt(2)
	v_fma_f32 v111, v129, v152, -v111
	v_fmac_f32_e32 v165, v130, v152
	v_add_f32_e32 v110, v110, v164
	v_add_f32_e32 v109, v109, v111
	;; [unrolled: 1-line block ×3, first 2 shown]
	s_waitcnt vmcnt(1)
	v_sub_f32_e32 v109, v153, v109
	s_waitcnt vmcnt(0)
	v_sub_f32_e32 v110, v154, v110
	buffer_store_dword v109, off, s[0:3], 0 offset:328
	buffer_store_dword v110, off, s[0:3], 0 offset:332
	s_and_saveexec_b64 s[4:5], vcc
	s_cbranch_execz .LBB116_251
; %bb.250:
	buffer_load_dword v109, off, s[0:3], 0 offset:320
	buffer_load_dword v110, off, s[0:3], 0 offset:324
	s_waitcnt vmcnt(0)
	ds_write_b64 v107, v[109:110]
	buffer_store_dword v108, off, s[0:3], 0 offset:320
	buffer_store_dword v108, off, s[0:3], 0 offset:324
.LBB116_251:
	s_or_b64 exec, exec, s[4:5]
	s_waitcnt lgkmcnt(0)
	; wave barrier
	buffer_load_dword v133, off, s[0:3], 0 offset:332
	buffer_load_dword v134, off, s[0:3], 0 offset:340
	;; [unrolled: 1-line block ×26, first 2 shown]
	ds_read2_b64 v[109:112], v108 offset0:95 offset1:96
	ds_read2_b64 v[113:116], v108 offset0:97 offset1:98
	;; [unrolled: 1-line block ×6, first 2 shown]
	v_cmp_lt_u32_e32 vcc, 39, v0
	s_waitcnt vmcnt(25) lgkmcnt(5)
	v_mul_f32_e32 v108, v109, v133
	v_mul_f32_e32 v133, v110, v133
	s_waitcnt vmcnt(24)
	v_mul_f32_e32 v159, v111, v134
	v_mul_f32_e32 v134, v112, v134
	s_waitcnt vmcnt(23) lgkmcnt(4)
	v_mul_f32_e32 v160, v113, v135
	v_mul_f32_e32 v135, v114, v135
	s_waitcnt vmcnt(22)
	v_mul_f32_e32 v161, v115, v136
	v_mul_f32_e32 v136, v116, v136
	;; [unrolled: 6-line block ×3, first 2 shown]
	s_waitcnt vmcnt(13)
	v_fma_f32 v109, v109, v145, -v133
	v_fmac_f32_e32 v108, v110, v145
	s_waitcnt vmcnt(12)
	v_fma_f32 v110, v111, v146, -v134
	v_add_f32_e32 v109, 0, v109
	s_waitcnt vmcnt(11)
	v_fma_f32 v111, v113, v147, -v135
	v_add_f32_e32 v109, v109, v110
	v_fmac_f32_e32 v159, v112, v146
	s_waitcnt vmcnt(10)
	v_fma_f32 v112, v115, v148, -v136
	v_add_f32_e32 v109, v109, v111
	s_waitcnt vmcnt(9)
	v_fma_f32 v113, v117, v149, -v137
	v_add_f32_e32 v109, v109, v112
	s_waitcnt lgkmcnt(2)
	v_mul_f32_e32 v164, v121, v139
	v_mul_f32_e32 v139, v122, v139
	v_fmac_f32_e32 v160, v114, v147
	s_waitcnt vmcnt(8)
	v_fma_f32 v114, v119, v150, -v138
	v_add_f32_e32 v108, 0, v108
	v_add_f32_e32 v109, v109, v113
	v_mul_f32_e32 v165, v123, v140
	v_mul_f32_e32 v140, v124, v140
	s_waitcnt vmcnt(7)
	v_fma_f32 v115, v121, v151, -v139
	v_add_f32_e32 v108, v108, v159
	v_add_f32_e32 v109, v109, v114
	v_fmac_f32_e32 v161, v116, v148
	s_waitcnt vmcnt(6)
	v_fma_f32 v116, v123, v152, -v140
	v_add_f32_e32 v108, v108, v160
	v_add_f32_e32 v109, v109, v115
	s_waitcnt lgkmcnt(1)
	v_mul_f32_e32 v110, v126, v141
	v_fmac_f32_e32 v162, v118, v149
	v_add_f32_e32 v108, v108, v161
	v_add_f32_e32 v109, v109, v116
	s_waitcnt vmcnt(5)
	v_fma_f32 v110, v125, v153, -v110
	v_fmac_f32_e32 v163, v120, v150
	v_add_f32_e32 v108, v108, v162
	v_add_f32_e32 v109, v109, v110
	v_mul_f32_e32 v110, v128, v142
	v_fmac_f32_e32 v164, v122, v151
	v_add_f32_e32 v108, v108, v163
	s_waitcnt vmcnt(4)
	v_fma_f32 v110, v127, v154, -v110
	v_mul_f32_e32 v166, v125, v141
	v_fmac_f32_e32 v165, v124, v152
	v_add_f32_e32 v108, v108, v164
	v_add_f32_e32 v109, v109, v110
	s_waitcnt lgkmcnt(0)
	v_mul_f32_e32 v110, v130, v143
	v_mul_f32_e32 v167, v127, v142
	v_fmac_f32_e32 v166, v126, v153
	v_add_f32_e32 v108, v108, v165
	s_waitcnt vmcnt(3)
	v_fma_f32 v110, v129, v155, -v110
	v_mul_f32_e32 v168, v129, v143
	v_fmac_f32_e32 v167, v128, v154
	v_add_f32_e32 v108, v108, v166
	v_add_f32_e32 v109, v109, v110
	v_mul_f32_e32 v110, v132, v144
	v_mul_f32_e32 v169, v131, v144
	v_fmac_f32_e32 v168, v130, v155
	v_add_f32_e32 v108, v108, v167
	s_waitcnt vmcnt(2)
	v_fma_f32 v110, v131, v156, -v110
	v_fmac_f32_e32 v169, v132, v156
	v_add_f32_e32 v108, v108, v168
	v_add_f32_e32 v109, v109, v110
	;; [unrolled: 1-line block ×3, first 2 shown]
	s_waitcnt vmcnt(1)
	v_sub_f32_e32 v109, v157, v109
	s_waitcnt vmcnt(0)
	v_sub_f32_e32 v108, v158, v108
	buffer_store_dword v109, off, s[0:3], 0 offset:320
	buffer_store_dword v108, off, s[0:3], 0 offset:324
	s_and_saveexec_b64 s[4:5], vcc
	s_cbranch_execz .LBB116_253
; %bb.252:
	buffer_load_dword v108, off, s[0:3], 0 offset:312
	buffer_load_dword v109, off, s[0:3], 0 offset:316
	v_mov_b32_e32 v110, 0
	buffer_store_dword v110, off, s[0:3], 0 offset:312
	buffer_store_dword v110, off, s[0:3], 0 offset:316
	s_waitcnt vmcnt(2)
	ds_write_b64 v107, v[108:109]
.LBB116_253:
	s_or_b64 exec, exec, s[4:5]
	s_waitcnt lgkmcnt(0)
	; wave barrier
	buffer_load_dword v135, off, s[0:3], 0 offset:324
	buffer_load_dword v136, off, s[0:3], 0 offset:332
	buffer_load_dword v137, off, s[0:3], 0 offset:340
	buffer_load_dword v138, off, s[0:3], 0 offset:348
	buffer_load_dword v139, off, s[0:3], 0 offset:356
	buffer_load_dword v140, off, s[0:3], 0 offset:364
	buffer_load_dword v141, off, s[0:3], 0 offset:372
	buffer_load_dword v142, off, s[0:3], 0 offset:380
	buffer_load_dword v143, off, s[0:3], 0 offset:388
	buffer_load_dword v144, off, s[0:3], 0 offset:396
	buffer_load_dword v145, off, s[0:3], 0 offset:404
	buffer_load_dword v146, off, s[0:3], 0 offset:412
	buffer_load_dword v147, off, s[0:3], 0 offset:420
	buffer_load_dword v148, off, s[0:3], 0 offset:320
	buffer_load_dword v149, off, s[0:3], 0 offset:328
	buffer_load_dword v150, off, s[0:3], 0 offset:336
	buffer_load_dword v151, off, s[0:3], 0 offset:344
	buffer_load_dword v152, off, s[0:3], 0 offset:352
	buffer_load_dword v153, off, s[0:3], 0 offset:360
	buffer_load_dword v154, off, s[0:3], 0 offset:368
	buffer_load_dword v155, off, s[0:3], 0 offset:376
	buffer_load_dword v156, off, s[0:3], 0 offset:384
	buffer_load_dword v157, off, s[0:3], 0 offset:392
	buffer_load_dword v158, off, s[0:3], 0 offset:400
	buffer_load_dword v159, off, s[0:3], 0 offset:408
	buffer_load_dword v160, off, s[0:3], 0 offset:416
	buffer_load_dword v161, off, s[0:3], 0 offset:312
	buffer_load_dword v162, off, s[0:3], 0 offset:316
	v_mov_b32_e32 v108, 0
	ds_read_b128 v[109:112], v108 offset:752
	ds_read_b128 v[113:116], v108 offset:768
	;; [unrolled: 1-line block ×6, first 2 shown]
	ds_read_b64 v[133:134], v108 offset:848
	v_cmp_lt_u32_e32 vcc, 38, v0
	s_waitcnt vmcnt(27) lgkmcnt(6)
	v_mul_f32_e32 v163, v109, v135
	v_mul_f32_e32 v135, v110, v135
	s_waitcnt vmcnt(26)
	v_mul_f32_e32 v164, v111, v136
	v_mul_f32_e32 v136, v112, v136
	s_waitcnt vmcnt(25) lgkmcnt(5)
	v_mul_f32_e32 v165, v113, v137
	v_mul_f32_e32 v137, v114, v137
	s_waitcnt vmcnt(24)
	v_mul_f32_e32 v166, v115, v138
	v_mul_f32_e32 v138, v116, v138
	;; [unrolled: 6-line block ×3, first 2 shown]
	s_waitcnt vmcnt(21) lgkmcnt(3)
	v_mul_f32_e32 v169, v121, v141
	s_waitcnt vmcnt(14)
	v_fma_f32 v109, v109, v148, -v135
	v_fmac_f32_e32 v163, v110, v148
	s_waitcnt vmcnt(13)
	v_fma_f32 v110, v111, v149, -v136
	v_add_f32_e32 v109, 0, v109
	s_waitcnt vmcnt(12)
	v_fma_f32 v111, v113, v150, -v137
	v_add_f32_e32 v109, v109, v110
	v_fmac_f32_e32 v164, v112, v149
	s_waitcnt vmcnt(11)
	v_fma_f32 v112, v115, v151, -v138
	v_add_f32_e32 v109, v109, v111
	s_waitcnt vmcnt(10)
	v_fma_f32 v113, v117, v152, -v139
	v_add_f32_e32 v109, v109, v112
	v_fmac_f32_e32 v165, v114, v150
	s_waitcnt vmcnt(9)
	v_fma_f32 v114, v119, v153, -v140
	v_add_f32_e32 v109, v109, v113
	v_mul_f32_e32 v111, v122, v141
	v_add_f32_e32 v109, v109, v114
	s_waitcnt vmcnt(8)
	v_fma_f32 v111, v121, v154, -v111
	v_add_f32_e32 v109, v109, v111
	v_mul_f32_e32 v111, v124, v142
	v_add_f32_e32 v115, 0, v163
	s_waitcnt vmcnt(7)
	v_fma_f32 v111, v123, v155, -v111
	v_add_f32_e32 v115, v115, v164
	v_add_f32_e32 v109, v109, v111
	s_waitcnt lgkmcnt(2)
	v_mul_f32_e32 v111, v126, v143
	v_fmac_f32_e32 v166, v116, v151
	v_add_f32_e32 v110, v115, v165
	s_waitcnt vmcnt(6)
	v_fma_f32 v111, v125, v156, -v111
	v_fmac_f32_e32 v167, v118, v152
	v_add_f32_e32 v110, v110, v166
	v_add_f32_e32 v109, v109, v111
	v_mul_f32_e32 v111, v128, v144
	v_fmac_f32_e32 v168, v120, v153
	v_add_f32_e32 v110, v110, v167
	s_waitcnt vmcnt(5)
	v_fma_f32 v111, v127, v157, -v111
	v_mul_f32_e32 v170, v123, v142
	v_fmac_f32_e32 v169, v122, v154
	v_add_f32_e32 v110, v110, v168
	v_add_f32_e32 v109, v109, v111
	s_waitcnt lgkmcnt(1)
	v_mul_f32_e32 v111, v130, v145
	v_mul_f32_e32 v171, v125, v143
	v_fmac_f32_e32 v170, v124, v155
	v_add_f32_e32 v110, v110, v169
	s_waitcnt vmcnt(4)
	v_fma_f32 v111, v129, v158, -v111
	v_mul_f32_e32 v172, v127, v144
	v_fmac_f32_e32 v171, v126, v156
	v_add_f32_e32 v110, v110, v170
	v_add_f32_e32 v109, v109, v111
	v_mul_f32_e32 v111, v132, v146
	v_mul_f32_e32 v173, v129, v145
	v_fmac_f32_e32 v172, v128, v157
	v_add_f32_e32 v110, v110, v171
	s_waitcnt vmcnt(3)
	v_fma_f32 v111, v131, v159, -v111
	v_mul_f32_e32 v174, v131, v146
	v_fmac_f32_e32 v173, v130, v158
	v_add_f32_e32 v110, v110, v172
	v_add_f32_e32 v109, v109, v111
	s_waitcnt lgkmcnt(0)
	v_mul_f32_e32 v111, v134, v147
	v_mul_f32_e32 v175, v133, v147
	v_fmac_f32_e32 v174, v132, v159
	v_add_f32_e32 v110, v110, v173
	s_waitcnt vmcnt(2)
	v_fma_f32 v111, v133, v160, -v111
	v_fmac_f32_e32 v175, v134, v160
	v_add_f32_e32 v110, v110, v174
	v_add_f32_e32 v109, v109, v111
	;; [unrolled: 1-line block ×3, first 2 shown]
	s_waitcnt vmcnt(1)
	v_sub_f32_e32 v109, v161, v109
	s_waitcnt vmcnt(0)
	v_sub_f32_e32 v110, v162, v110
	buffer_store_dword v109, off, s[0:3], 0 offset:312
	buffer_store_dword v110, off, s[0:3], 0 offset:316
	s_and_saveexec_b64 s[4:5], vcc
	s_cbranch_execz .LBB116_255
; %bb.254:
	buffer_load_dword v109, off, s[0:3], 0 offset:304
	buffer_load_dword v110, off, s[0:3], 0 offset:308
	s_waitcnt vmcnt(0)
	ds_write_b64 v107, v[109:110]
	buffer_store_dword v108, off, s[0:3], 0 offset:304
	buffer_store_dword v108, off, s[0:3], 0 offset:308
.LBB116_255:
	s_or_b64 exec, exec, s[4:5]
	s_waitcnt lgkmcnt(0)
	; wave barrier
	buffer_load_dword v137, off, s[0:3], 0 offset:316
	buffer_load_dword v138, off, s[0:3], 0 offset:324
	;; [unrolled: 1-line block ×30, first 2 shown]
	ds_read2_b64 v[109:112], v108 offset0:93 offset1:94
	ds_read2_b64 v[113:116], v108 offset0:95 offset1:96
	;; [unrolled: 1-line block ×7, first 2 shown]
	v_cmp_lt_u32_e32 vcc, 37, v0
	s_waitcnt vmcnt(29) lgkmcnt(6)
	v_mul_f32_e32 v108, v109, v137
	v_mul_f32_e32 v137, v110, v137
	s_waitcnt vmcnt(28)
	v_mul_f32_e32 v167, v111, v138
	v_mul_f32_e32 v138, v112, v138
	s_waitcnt vmcnt(27) lgkmcnt(5)
	v_mul_f32_e32 v168, v113, v139
	v_mul_f32_e32 v139, v114, v139
	s_waitcnt vmcnt(26)
	v_mul_f32_e32 v169, v115, v140
	v_mul_f32_e32 v140, v116, v140
	s_waitcnt vmcnt(25) lgkmcnt(4)
	v_mul_f32_e32 v170, v117, v141
	v_mul_f32_e32 v141, v118, v141
	s_waitcnt vmcnt(24)
	v_mul_f32_e32 v171, v119, v142
	s_waitcnt vmcnt(23) lgkmcnt(3)
	v_mul_f32_e32 v172, v121, v143
	s_waitcnt vmcnt(22)
	v_mul_f32_e32 v173, v123, v144
	s_waitcnt vmcnt(21) lgkmcnt(2)
	v_mul_f32_e32 v174, v125, v145
	s_waitcnt vmcnt(15)
	v_fma_f32 v109, v109, v151, -v137
	v_fmac_f32_e32 v108, v110, v151
	s_waitcnt vmcnt(14)
	v_fma_f32 v110, v111, v152, -v138
	v_add_f32_e32 v109, 0, v109
	s_waitcnt vmcnt(13)
	v_fma_f32 v111, v113, v153, -v139
	v_add_f32_e32 v109, v109, v110
	v_fmac_f32_e32 v167, v112, v152
	s_waitcnt vmcnt(12)
	v_fma_f32 v112, v115, v154, -v140
	v_add_f32_e32 v109, v109, v111
	s_waitcnt vmcnt(11)
	v_fma_f32 v113, v117, v155, -v141
	v_add_f32_e32 v109, v109, v112
	v_mul_f32_e32 v110, v120, v142
	v_add_f32_e32 v109, v109, v113
	s_waitcnt vmcnt(10)
	v_fma_f32 v110, v119, v156, -v110
	v_add_f32_e32 v109, v109, v110
	v_mul_f32_e32 v110, v122, v143
	s_waitcnt vmcnt(9)
	v_fma_f32 v110, v121, v157, -v110
	v_add_f32_e32 v109, v109, v110
	v_mul_f32_e32 v110, v124, v144
	s_waitcnt vmcnt(8)
	v_fma_f32 v110, v123, v158, -v110
	v_add_f32_e32 v108, 0, v108
	v_add_f32_e32 v109, v109, v110
	v_mul_f32_e32 v110, v126, v145
	v_fmac_f32_e32 v168, v114, v153
	v_add_f32_e32 v108, v108, v167
	s_waitcnt vmcnt(7)
	v_fma_f32 v110, v125, v159, -v110
	v_fmac_f32_e32 v169, v116, v154
	v_add_f32_e32 v108, v108, v168
	v_add_f32_e32 v109, v109, v110
	v_mul_f32_e32 v110, v128, v146
	v_fmac_f32_e32 v170, v118, v155
	v_add_f32_e32 v108, v108, v169
	s_waitcnt vmcnt(6)
	v_fma_f32 v110, v127, v160, -v110
	v_fmac_f32_e32 v171, v120, v156
	v_add_f32_e32 v108, v108, v170
	v_add_f32_e32 v109, v109, v110
	s_waitcnt lgkmcnt(1)
	v_mul_f32_e32 v110, v130, v147
	v_fmac_f32_e32 v172, v122, v157
	v_add_f32_e32 v108, v108, v171
	s_waitcnt vmcnt(5)
	v_fma_f32 v110, v129, v161, -v110
	v_fmac_f32_e32 v173, v124, v158
	v_add_f32_e32 v108, v108, v172
	v_add_f32_e32 v109, v109, v110
	v_mul_f32_e32 v110, v132, v148
	v_mul_f32_e32 v175, v127, v146
	v_fmac_f32_e32 v174, v126, v159
	v_add_f32_e32 v108, v108, v173
	s_waitcnt vmcnt(4)
	v_fma_f32 v110, v131, v162, -v110
	v_mul_f32_e32 v176, v129, v147
	v_fmac_f32_e32 v175, v128, v160
	v_add_f32_e32 v108, v108, v174
	v_add_f32_e32 v109, v109, v110
	s_waitcnt lgkmcnt(0)
	v_mul_f32_e32 v110, v134, v149
	v_mul_f32_e32 v177, v131, v148
	v_fmac_f32_e32 v176, v130, v161
	v_add_f32_e32 v108, v108, v175
	s_waitcnt vmcnt(3)
	v_fma_f32 v110, v133, v163, -v110
	v_mul_f32_e32 v178, v133, v149
	v_fmac_f32_e32 v177, v132, v162
	v_add_f32_e32 v108, v108, v176
	v_add_f32_e32 v109, v109, v110
	v_mul_f32_e32 v110, v136, v150
	v_mul_f32_e32 v179, v135, v150
	v_fmac_f32_e32 v178, v134, v163
	v_add_f32_e32 v108, v108, v177
	s_waitcnt vmcnt(2)
	v_fma_f32 v110, v135, v164, -v110
	v_fmac_f32_e32 v179, v136, v164
	v_add_f32_e32 v108, v108, v178
	v_add_f32_e32 v109, v109, v110
	;; [unrolled: 1-line block ×3, first 2 shown]
	s_waitcnt vmcnt(1)
	v_sub_f32_e32 v109, v165, v109
	s_waitcnt vmcnt(0)
	v_sub_f32_e32 v108, v166, v108
	buffer_store_dword v109, off, s[0:3], 0 offset:304
	buffer_store_dword v108, off, s[0:3], 0 offset:308
	s_and_saveexec_b64 s[4:5], vcc
	s_cbranch_execz .LBB116_257
; %bb.256:
	buffer_load_dword v108, off, s[0:3], 0 offset:296
	buffer_load_dword v109, off, s[0:3], 0 offset:300
	v_mov_b32_e32 v110, 0
	buffer_store_dword v110, off, s[0:3], 0 offset:296
	buffer_store_dword v110, off, s[0:3], 0 offset:300
	s_waitcnt vmcnt(2)
	ds_write_b64 v107, v[108:109]
.LBB116_257:
	s_or_b64 exec, exec, s[4:5]
	s_waitcnt lgkmcnt(0)
	; wave barrier
	buffer_load_dword v139, off, s[0:3], 0 offset:308
	buffer_load_dword v140, off, s[0:3], 0 offset:316
	;; [unrolled: 1-line block ×32, first 2 shown]
	v_mov_b32_e32 v108, 0
	ds_read_b128 v[109:112], v108 offset:736
	ds_read_b128 v[113:116], v108 offset:752
	;; [unrolled: 1-line block ×7, first 2 shown]
	ds_read_b64 v[137:138], v108 offset:848
	v_cmp_lt_u32_e32 vcc, 36, v0
	s_waitcnt vmcnt(31) lgkmcnt(7)
	v_mul_f32_e32 v171, v109, v139
	v_mul_f32_e32 v139, v110, v139
	s_waitcnt vmcnt(30)
	v_mul_f32_e32 v172, v111, v140
	v_mul_f32_e32 v140, v112, v140
	s_waitcnt vmcnt(29) lgkmcnt(6)
	v_mul_f32_e32 v173, v113, v141
	v_mul_f32_e32 v141, v114, v141
	s_waitcnt vmcnt(28)
	v_mul_f32_e32 v174, v115, v142
	s_waitcnt vmcnt(27) lgkmcnt(5)
	v_mul_f32_e32 v175, v117, v143
	s_waitcnt vmcnt(26)
	v_mul_f32_e32 v176, v119, v144
	s_waitcnt vmcnt(25) lgkmcnt(4)
	v_mul_f32_e32 v177, v121, v145
	s_waitcnt vmcnt(24)
	v_mul_f32_e32 v178, v123, v146
	s_waitcnt vmcnt(23) lgkmcnt(3)
	v_mul_f32_e32 v179, v125, v147
	s_waitcnt vmcnt(22)
	v_mul_f32_e32 v180, v127, v148
	s_waitcnt vmcnt(21) lgkmcnt(2)
	v_mul_f32_e32 v181, v129, v149
	s_waitcnt vmcnt(20)
	v_mul_f32_e32 v182, v131, v150
	s_waitcnt vmcnt(16)
	v_fma_f32 v109, v109, v154, -v139
	v_fmac_f32_e32 v171, v110, v154
	s_waitcnt vmcnt(15)
	v_fma_f32 v110, v111, v155, -v140
	v_add_f32_e32 v109, 0, v109
	s_waitcnt vmcnt(14)
	v_fma_f32 v111, v113, v156, -v141
	v_add_f32_e32 v109, v109, v110
	v_add_f32_e32 v109, v109, v111
	v_mul_f32_e32 v111, v116, v142
	s_waitcnt vmcnt(13)
	v_fma_f32 v111, v115, v157, -v111
	v_add_f32_e32 v109, v109, v111
	v_mul_f32_e32 v111, v118, v143
	s_waitcnt vmcnt(12)
	v_fma_f32 v111, v117, v158, -v111
	;; [unrolled: 4-line block ×5, first 2 shown]
	v_add_f32_e32 v109, v109, v111
	v_mul_f32_e32 v111, v126, v147
	v_fmac_f32_e32 v172, v112, v155
	v_add_f32_e32 v112, 0, v171
	s_waitcnt vmcnt(8)
	v_fma_f32 v111, v125, v162, -v111
	v_fmac_f32_e32 v173, v114, v156
	v_add_f32_e32 v112, v112, v172
	v_add_f32_e32 v109, v109, v111
	v_mul_f32_e32 v111, v128, v148
	v_fmac_f32_e32 v174, v116, v157
	v_add_f32_e32 v110, v112, v173
	s_waitcnt vmcnt(7)
	v_fma_f32 v111, v127, v163, -v111
	v_fmac_f32_e32 v175, v118, v158
	v_add_f32_e32 v110, v110, v174
	;; [unrolled: 8-line block ×4, first 2 shown]
	v_add_f32_e32 v109, v109, v111
	s_waitcnt lgkmcnt(1)
	v_mul_f32_e32 v111, v134, v151
	v_fmac_f32_e32 v180, v128, v163
	v_add_f32_e32 v110, v110, v179
	s_waitcnt vmcnt(4)
	v_fma_f32 v111, v133, v166, -v111
	v_fmac_f32_e32 v181, v130, v164
	v_add_f32_e32 v110, v110, v180
	v_add_f32_e32 v109, v109, v111
	v_mul_f32_e32 v111, v136, v152
	v_mul_f32_e32 v183, v133, v151
	v_fmac_f32_e32 v182, v132, v165
	v_add_f32_e32 v110, v110, v181
	s_waitcnt vmcnt(3)
	v_fma_f32 v111, v135, v167, -v111
	v_mul_f32_e32 v184, v135, v152
	v_fmac_f32_e32 v183, v134, v166
	v_add_f32_e32 v110, v110, v182
	v_add_f32_e32 v109, v109, v111
	s_waitcnt lgkmcnt(0)
	v_mul_f32_e32 v111, v138, v153
	v_mul_f32_e32 v185, v137, v153
	v_fmac_f32_e32 v184, v136, v167
	v_add_f32_e32 v110, v110, v183
	s_waitcnt vmcnt(2)
	v_fma_f32 v111, v137, v168, -v111
	v_fmac_f32_e32 v185, v138, v168
	v_add_f32_e32 v110, v110, v184
	v_add_f32_e32 v109, v109, v111
	;; [unrolled: 1-line block ×3, first 2 shown]
	s_waitcnt vmcnt(1)
	v_sub_f32_e32 v109, v169, v109
	s_waitcnt vmcnt(0)
	v_sub_f32_e32 v110, v170, v110
	buffer_store_dword v109, off, s[0:3], 0 offset:296
	buffer_store_dword v110, off, s[0:3], 0 offset:300
	s_and_saveexec_b64 s[4:5], vcc
	s_cbranch_execz .LBB116_259
; %bb.258:
	buffer_load_dword v109, off, s[0:3], 0 offset:288
	buffer_load_dword v110, off, s[0:3], 0 offset:292
	s_waitcnt vmcnt(0)
	ds_write_b64 v107, v[109:110]
	buffer_store_dword v108, off, s[0:3], 0 offset:288
	buffer_store_dword v108, off, s[0:3], 0 offset:292
.LBB116_259:
	s_or_b64 exec, exec, s[4:5]
	s_waitcnt lgkmcnt(0)
	; wave barrier
	buffer_load_dword v141, off, s[0:3], 0 offset:300
	buffer_load_dword v142, off, s[0:3], 0 offset:308
	;; [unrolled: 1-line block ×34, first 2 shown]
	ds_read2_b64 v[109:112], v108 offset0:91 offset1:92
	ds_read2_b64 v[113:116], v108 offset0:93 offset1:94
	;; [unrolled: 1-line block ×8, first 2 shown]
	v_cmp_lt_u32_e32 vcc, 35, v0
	s_waitcnt vmcnt(33) lgkmcnt(7)
	v_mul_f32_e32 v108, v109, v141
	v_mul_f32_e32 v141, v110, v141
	s_waitcnt vmcnt(32)
	v_mul_f32_e32 v175, v111, v142
	v_mul_f32_e32 v142, v112, v142
	s_waitcnt vmcnt(31) lgkmcnt(6)
	v_mul_f32_e32 v176, v113, v143
	s_waitcnt vmcnt(30)
	v_mul_f32_e32 v177, v115, v144
	s_waitcnt vmcnt(29) lgkmcnt(5)
	v_mul_f32_e32 v178, v117, v145
	s_waitcnt vmcnt(28)
	;; [unrolled: 4-line block ×6, first 2 shown]
	v_mul_f32_e32 v187, v135, v154
	s_waitcnt vmcnt(17)
	v_fma_f32 v109, v109, v157, -v141
	v_fmac_f32_e32 v108, v110, v157
	s_waitcnt vmcnt(16)
	v_fma_f32 v110, v111, v158, -v142
	v_add_f32_e32 v109, 0, v109
	v_add_f32_e32 v109, v109, v110
	v_mul_f32_e32 v110, v114, v143
	s_waitcnt vmcnt(15)
	v_fma_f32 v110, v113, v159, -v110
	v_add_f32_e32 v109, v109, v110
	v_mul_f32_e32 v110, v116, v144
	s_waitcnt vmcnt(14)
	v_fma_f32 v110, v115, v160, -v110
	v_add_f32_e32 v109, v109, v110
	v_mul_f32_e32 v110, v118, v145
	s_waitcnt vmcnt(13)
	v_fma_f32 v110, v117, v161, -v110
	v_add_f32_e32 v109, v109, v110
	v_mul_f32_e32 v110, v120, v146
	s_waitcnt vmcnt(12)
	v_fma_f32 v110, v119, v162, -v110
	v_add_f32_e32 v109, v109, v110
	v_mul_f32_e32 v110, v122, v147
	s_waitcnt vmcnt(11)
	v_fma_f32 v110, v121, v163, -v110
	v_add_f32_e32 v109, v109, v110
	v_mul_f32_e32 v110, v124, v148
	s_waitcnt vmcnt(10)
	v_fma_f32 v110, v123, v164, -v110
	v_add_f32_e32 v109, v109, v110
	v_mul_f32_e32 v110, v126, v149
	s_waitcnt vmcnt(9)
	v_fma_f32 v110, v125, v165, -v110
	v_fmac_f32_e32 v175, v112, v158
	v_add_f32_e32 v108, 0, v108
	v_add_f32_e32 v109, v109, v110
	v_mul_f32_e32 v110, v128, v150
	v_fmac_f32_e32 v176, v114, v159
	v_add_f32_e32 v108, v108, v175
	s_waitcnt vmcnt(8)
	v_fma_f32 v110, v127, v166, -v110
	v_fmac_f32_e32 v177, v116, v160
	v_add_f32_e32 v108, v108, v176
	v_add_f32_e32 v109, v109, v110
	v_mul_f32_e32 v110, v130, v151
	v_fmac_f32_e32 v178, v118, v161
	v_add_f32_e32 v108, v108, v177
	s_waitcnt vmcnt(7)
	v_fma_f32 v110, v129, v167, -v110
	;; [unrolled: 8-line block ×5, first 2 shown]
	v_fmac_f32_e32 v185, v132, v168
	v_add_f32_e32 v108, v108, v184
	v_add_f32_e32 v109, v109, v110
	s_waitcnt lgkmcnt(0)
	v_mul_f32_e32 v110, v138, v155
	v_fmac_f32_e32 v186, v134, v169
	v_add_f32_e32 v108, v108, v185
	s_waitcnt vmcnt(3)
	v_fma_f32 v110, v137, v171, -v110
	v_mul_f32_e32 v188, v137, v155
	v_fmac_f32_e32 v187, v136, v170
	v_add_f32_e32 v108, v108, v186
	v_add_f32_e32 v109, v109, v110
	v_mul_f32_e32 v110, v140, v156
	v_mul_f32_e32 v189, v139, v156
	v_fmac_f32_e32 v188, v138, v171
	v_add_f32_e32 v108, v108, v187
	s_waitcnt vmcnt(2)
	v_fma_f32 v110, v139, v172, -v110
	v_fmac_f32_e32 v189, v140, v172
	v_add_f32_e32 v108, v108, v188
	v_add_f32_e32 v109, v109, v110
	;; [unrolled: 1-line block ×3, first 2 shown]
	s_waitcnt vmcnt(1)
	v_sub_f32_e32 v109, v173, v109
	s_waitcnt vmcnt(0)
	v_sub_f32_e32 v108, v174, v108
	buffer_store_dword v109, off, s[0:3], 0 offset:288
	buffer_store_dword v108, off, s[0:3], 0 offset:292
	s_and_saveexec_b64 s[4:5], vcc
	s_cbranch_execz .LBB116_261
; %bb.260:
	buffer_load_dword v108, off, s[0:3], 0 offset:280
	buffer_load_dword v109, off, s[0:3], 0 offset:284
	v_mov_b32_e32 v110, 0
	buffer_store_dword v110, off, s[0:3], 0 offset:280
	buffer_store_dword v110, off, s[0:3], 0 offset:284
	s_waitcnt vmcnt(2)
	ds_write_b64 v107, v[108:109]
.LBB116_261:
	s_or_b64 exec, exec, s[4:5]
	s_waitcnt lgkmcnt(0)
	; wave barrier
	buffer_load_dword v143, off, s[0:3], 0 offset:292
	buffer_load_dword v144, off, s[0:3], 0 offset:300
	;; [unrolled: 1-line block ×36, first 2 shown]
	v_mov_b32_e32 v108, 0
	ds_read_b128 v[109:112], v108 offset:720
	ds_read_b128 v[113:116], v108 offset:736
	;; [unrolled: 1-line block ×8, first 2 shown]
	ds_read_b64 v[141:142], v108 offset:848
	v_cmp_lt_u32_e32 vcc, 34, v0
	s_waitcnt vmcnt(35) lgkmcnt(8)
	v_mul_f32_e32 v179, v109, v143
	s_waitcnt vmcnt(34)
	v_mul_f32_e32 v180, v111, v144
	s_waitcnt vmcnt(33) lgkmcnt(7)
	v_mul_f32_e32 v181, v113, v145
	s_waitcnt vmcnt(32)
	v_mul_f32_e32 v182, v115, v146
	;; [unrolled: 4-line block ×8, first 2 shown]
	s_waitcnt vmcnt(19) lgkmcnt(0)
	v_mul_f32_e32 v195, v141, v159
	s_waitcnt vmcnt(18)
	v_fmac_f32_e32 v179, v110, v160
	v_mul_f32_e32 v110, v110, v143
	v_fma_f32 v109, v109, v160, -v110
	v_mul_f32_e32 v110, v112, v144
	v_add_f32_e32 v109, 0, v109
	s_waitcnt vmcnt(17)
	v_fma_f32 v110, v111, v161, -v110
	v_add_f32_e32 v109, v109, v110
	v_mul_f32_e32 v110, v114, v145
	s_waitcnt vmcnt(16)
	v_fma_f32 v110, v113, v162, -v110
	v_add_f32_e32 v109, v109, v110
	v_mul_f32_e32 v110, v116, v146
	;; [unrolled: 4-line block ×8, first 2 shown]
	v_fmac_f32_e32 v180, v112, v161
	v_add_f32_e32 v179, 0, v179
	s_waitcnt vmcnt(9)
	v_fma_f32 v110, v127, v169, -v110
	v_fmac_f32_e32 v181, v114, v162
	v_add_f32_e32 v179, v179, v180
	v_add_f32_e32 v109, v109, v110
	v_mul_f32_e32 v110, v130, v153
	v_fmac_f32_e32 v182, v116, v163
	v_add_f32_e32 v179, v179, v181
	s_waitcnt vmcnt(8)
	v_fma_f32 v110, v129, v170, -v110
	v_fmac_f32_e32 v183, v118, v164
	v_add_f32_e32 v179, v179, v182
	v_add_f32_e32 v109, v109, v110
	v_mul_f32_e32 v110, v132, v154
	;; [unrolled: 8-line block ×7, first 2 shown]
	v_fmac_f32_e32 v194, v140, v175
	v_add_f32_e32 v179, v179, v193
	s_waitcnt vmcnt(2)
	v_fma_f32 v110, v141, v176, -v110
	v_fmac_f32_e32 v195, v142, v176
	v_add_f32_e32 v179, v179, v194
	v_add_f32_e32 v109, v109, v110
	;; [unrolled: 1-line block ×3, first 2 shown]
	s_waitcnt vmcnt(1)
	v_sub_f32_e32 v109, v177, v109
	s_waitcnt vmcnt(0)
	v_sub_f32_e32 v110, v178, v179
	buffer_store_dword v109, off, s[0:3], 0 offset:280
	buffer_store_dword v110, off, s[0:3], 0 offset:284
	s_and_saveexec_b64 s[4:5], vcc
	s_cbranch_execz .LBB116_263
; %bb.262:
	buffer_load_dword v109, off, s[0:3], 0 offset:272
	buffer_load_dword v110, off, s[0:3], 0 offset:276
	s_waitcnt vmcnt(0)
	ds_write_b64 v107, v[109:110]
	buffer_store_dword v108, off, s[0:3], 0 offset:272
	buffer_store_dword v108, off, s[0:3], 0 offset:276
.LBB116_263:
	s_or_b64 exec, exec, s[4:5]
	s_waitcnt lgkmcnt(0)
	; wave barrier
	buffer_load_dword v145, off, s[0:3], 0 offset:284
	buffer_load_dword v146, off, s[0:3], 0 offset:292
	;; [unrolled: 1-line block ×38, first 2 shown]
	ds_read2_b64 v[109:112], v108 offset0:89 offset1:90
	ds_read2_b64 v[113:116], v108 offset0:91 offset1:92
	;; [unrolled: 1-line block ×9, first 2 shown]
	v_cmp_lt_u32_e32 vcc, 33, v0
	s_waitcnt vmcnt(37) lgkmcnt(8)
	v_mul_f32_e32 v108, v109, v145
	s_waitcnt vmcnt(36)
	v_mul_f32_e32 v183, v111, v146
	s_waitcnt vmcnt(35) lgkmcnt(7)
	v_mul_f32_e32 v184, v113, v147
	s_waitcnt vmcnt(34)
	v_mul_f32_e32 v185, v115, v148
	;; [unrolled: 4-line block ×8, first 2 shown]
	s_waitcnt vmcnt(21) lgkmcnt(0)
	v_mul_f32_e32 v198, v141, v161
	s_waitcnt vmcnt(20)
	v_fmac_f32_e32 v108, v110, v162
	v_mul_f32_e32 v110, v110, v145
	v_fma_f32 v109, v109, v162, -v110
	v_mul_f32_e32 v110, v112, v146
	v_add_f32_e32 v109, 0, v109
	s_waitcnt vmcnt(19)
	v_fma_f32 v110, v111, v163, -v110
	v_add_f32_e32 v109, v109, v110
	v_mul_f32_e32 v110, v114, v147
	s_waitcnt vmcnt(18)
	v_fma_f32 v110, v113, v164, -v110
	v_add_f32_e32 v109, v109, v110
	v_mul_f32_e32 v110, v116, v148
	s_waitcnt vmcnt(17)
	v_fma_f32 v110, v115, v165, -v110
	v_add_f32_e32 v109, v109, v110
	v_mul_f32_e32 v110, v118, v149
	s_waitcnt vmcnt(16)
	v_fma_f32 v110, v117, v166, -v110
	v_add_f32_e32 v109, v109, v110
	v_mul_f32_e32 v110, v120, v150
	s_waitcnt vmcnt(15)
	v_fma_f32 v110, v119, v167, -v110
	v_add_f32_e32 v109, v109, v110
	v_mul_f32_e32 v110, v122, v151
	s_waitcnt vmcnt(14)
	v_fma_f32 v110, v121, v168, -v110
	v_add_f32_e32 v109, v109, v110
	v_mul_f32_e32 v110, v124, v152
	s_waitcnt vmcnt(13)
	v_fma_f32 v110, v123, v169, -v110
	v_add_f32_e32 v109, v109, v110
	v_mul_f32_e32 v110, v126, v153
	s_waitcnt vmcnt(12)
	v_fma_f32 v110, v125, v170, -v110
	v_add_f32_e32 v109, v109, v110
	v_mul_f32_e32 v110, v128, v154
	s_waitcnt vmcnt(11)
	v_fma_f32 v110, v127, v171, -v110
	v_fmac_f32_e32 v183, v112, v163
	v_add_f32_e32 v108, 0, v108
	v_add_f32_e32 v109, v109, v110
	v_mul_f32_e32 v110, v130, v155
	v_fmac_f32_e32 v184, v114, v164
	v_add_f32_e32 v108, v108, v183
	s_waitcnt vmcnt(10)
	v_fma_f32 v110, v129, v172, -v110
	v_fmac_f32_e32 v185, v116, v165
	v_add_f32_e32 v108, v108, v184
	v_add_f32_e32 v109, v109, v110
	v_mul_f32_e32 v110, v132, v156
	v_fmac_f32_e32 v186, v118, v166
	v_add_f32_e32 v108, v108, v185
	;; [unrolled: 8-line block ×7, first 2 shown]
	s_waitcnt vmcnt(4)
	v_fma_f32 v110, v141, v178, -v110
	v_fmac_f32_e32 v197, v140, v177
	v_add_f32_e32 v108, v108, v196
	v_add_f32_e32 v109, v109, v110
	s_waitcnt vmcnt(3)
	v_mul_f32_e32 v110, v144, v179
	v_add_f32_e32 v108, v108, v197
	v_fmac_f32_e32 v198, v142, v178
	v_mul_f32_e32 v183, v143, v179
	s_waitcnt vmcnt(2)
	v_fma_f32 v110, v143, v180, -v110
	v_add_f32_e32 v108, v108, v198
	v_fmac_f32_e32 v183, v144, v180
	v_add_f32_e32 v109, v109, v110
	v_add_f32_e32 v108, v108, v183
	s_waitcnt vmcnt(1)
	v_sub_f32_e32 v109, v181, v109
	s_waitcnt vmcnt(0)
	v_sub_f32_e32 v108, v182, v108
	buffer_store_dword v109, off, s[0:3], 0 offset:272
	buffer_store_dword v108, off, s[0:3], 0 offset:276
	s_and_saveexec_b64 s[4:5], vcc
	s_cbranch_execz .LBB116_265
; %bb.264:
	buffer_load_dword v108, off, s[0:3], 0 offset:264
	buffer_load_dword v109, off, s[0:3], 0 offset:268
	v_mov_b32_e32 v110, 0
	buffer_store_dword v110, off, s[0:3], 0 offset:264
	buffer_store_dword v110, off, s[0:3], 0 offset:268
	s_waitcnt vmcnt(2)
	ds_write_b64 v107, v[108:109]
.LBB116_265:
	s_or_b64 exec, exec, s[4:5]
	s_waitcnt lgkmcnt(0)
	; wave barrier
	buffer_load_dword v147, off, s[0:3], 0 offset:276
	buffer_load_dword v148, off, s[0:3], 0 offset:284
	;; [unrolled: 1-line block ×40, first 2 shown]
	v_mov_b32_e32 v108, 0
	ds_read_b128 v[109:112], v108 offset:704
	ds_read_b128 v[113:116], v108 offset:720
	;; [unrolled: 1-line block ×9, first 2 shown]
	v_cmp_lt_u32_e32 vcc, 32, v0
	s_waitcnt vmcnt(39) lgkmcnt(8)
	v_mul_f32_e32 v145, v109, v147
	s_waitcnt vmcnt(38)
	v_mul_f32_e32 v146, v111, v148
	s_waitcnt vmcnt(37) lgkmcnt(7)
	v_mul_f32_e32 v187, v113, v149
	s_waitcnt vmcnt(36)
	v_mul_f32_e32 v188, v115, v150
	;; [unrolled: 4-line block ×7, first 2 shown]
	s_waitcnt vmcnt(25) lgkmcnt(1)
	v_mul_f32_e32 v199, v137, v161
	s_waitcnt vmcnt(24)
	v_fmac_f32_e32 v145, v110, v162
	v_mul_f32_e32 v110, v110, v147
	v_fma_f32 v109, v109, v162, -v110
	v_mul_f32_e32 v110, v112, v148
	v_add_f32_e32 v109, 0, v109
	s_waitcnt vmcnt(23)
	v_fma_f32 v110, v111, v163, -v110
	v_add_f32_e32 v109, v109, v110
	v_mul_f32_e32 v110, v114, v149
	s_waitcnt vmcnt(22)
	v_fma_f32 v110, v113, v164, -v110
	v_add_f32_e32 v109, v109, v110
	v_mul_f32_e32 v110, v116, v150
	;; [unrolled: 4-line block ×6, first 2 shown]
	s_waitcnt vmcnt(17)
	v_fma_f32 v110, v123, v169, -v110
	v_fmac_f32_e32 v146, v112, v163
	v_add_f32_e32 v145, 0, v145
	v_add_f32_e32 v109, v109, v110
	v_mul_f32_e32 v110, v126, v155
	v_fmac_f32_e32 v187, v114, v164
	v_add_f32_e32 v145, v145, v146
	s_waitcnt vmcnt(16)
	v_fma_f32 v110, v125, v170, -v110
	v_fmac_f32_e32 v188, v116, v165
	v_add_f32_e32 v145, v145, v187
	v_add_f32_e32 v109, v109, v110
	v_mul_f32_e32 v110, v128, v156
	v_fmac_f32_e32 v189, v118, v166
	v_add_f32_e32 v145, v145, v188
	;; [unrolled: 8-line block ×6, first 2 shown]
	s_waitcnt vmcnt(11)
	v_fma_f32 v110, v135, v175, -v110
	v_fmac_f32_e32 v198, v136, v175
	v_add_f32_e32 v145, v145, v197
	v_add_f32_e32 v109, v109, v110
	v_mul_f32_e32 v110, v138, v161
	s_waitcnt vmcnt(10)
	v_fmac_f32_e32 v199, v138, v176
	v_add_f32_e32 v145, v145, v198
	s_waitcnt vmcnt(9)
	v_mul_f32_e32 v146, v139, v177
	v_fma_f32 v110, v137, v176, -v110
	v_add_f32_e32 v145, v145, v199
	s_waitcnt vmcnt(8)
	v_fmac_f32_e32 v146, v140, v178
	v_add_f32_e32 v109, v109, v110
	v_mul_f32_e32 v110, v140, v177
	v_add_f32_e32 v187, v145, v146
	ds_read_b64 v[145:146], v108 offset:848
	v_fma_f32 v110, v139, v178, -v110
	v_add_f32_e32 v109, v109, v110
	s_waitcnt vmcnt(7) lgkmcnt(1)
	v_mul_f32_e32 v110, v142, v179
	v_mul_f32_e32 v188, v141, v179
	s_waitcnt vmcnt(6)
	v_fma_f32 v110, v141, v180, -v110
	v_fmac_f32_e32 v188, v142, v180
	v_add_f32_e32 v109, v109, v110
	s_waitcnt vmcnt(5)
	v_mul_f32_e32 v110, v144, v181
	v_add_f32_e32 v187, v187, v188
	v_mul_f32_e32 v188, v143, v181
	s_waitcnt vmcnt(4)
	v_fma_f32 v110, v143, v182, -v110
	v_fmac_f32_e32 v188, v144, v182
	v_add_f32_e32 v109, v109, v110
	s_waitcnt vmcnt(3) lgkmcnt(0)
	v_mul_f32_e32 v110, v146, v183
	v_add_f32_e32 v187, v187, v188
	v_mul_f32_e32 v188, v145, v183
	s_waitcnt vmcnt(2)
	v_fma_f32 v110, v145, v184, -v110
	v_fmac_f32_e32 v188, v146, v184
	v_add_f32_e32 v109, v109, v110
	v_add_f32_e32 v187, v187, v188
	s_waitcnt vmcnt(1)
	v_sub_f32_e32 v109, v185, v109
	s_waitcnt vmcnt(0)
	v_sub_f32_e32 v110, v186, v187
	buffer_store_dword v109, off, s[0:3], 0 offset:264
	buffer_store_dword v110, off, s[0:3], 0 offset:268
	s_and_saveexec_b64 s[4:5], vcc
	s_cbranch_execz .LBB116_267
; %bb.266:
	buffer_load_dword v109, off, s[0:3], 0 offset:256
	buffer_load_dword v110, off, s[0:3], 0 offset:260
	s_waitcnt vmcnt(0)
	ds_write_b64 v107, v[109:110]
	buffer_store_dword v108, off, s[0:3], 0 offset:256
	buffer_store_dword v108, off, s[0:3], 0 offset:260
.LBB116_267:
	s_or_b64 exec, exec, s[4:5]
	s_waitcnt lgkmcnt(0)
	; wave barrier
	buffer_load_dword v149, off, s[0:3], 0 offset:268
	buffer_load_dword v150, off, s[0:3], 0 offset:276
	;; [unrolled: 1-line block ×42, first 2 shown]
	ds_read2_b64 v[109:112], v108 offset0:87 offset1:88
	ds_read2_b64 v[113:116], v108 offset0:89 offset1:90
	ds_read2_b64 v[117:120], v108 offset0:91 offset1:92
	ds_read2_b64 v[121:124], v108 offset0:93 offset1:94
	ds_read2_b64 v[125:128], v108 offset0:95 offset1:96
	ds_read2_b64 v[129:132], v108 offset0:97 offset1:98
	ds_read2_b64 v[133:136], v108 offset0:99 offset1:100
	ds_read2_b64 v[137:140], v108 offset0:101 offset1:102
	v_cmp_lt_u32_e32 vcc, 31, v0
	s_waitcnt vmcnt(41) lgkmcnt(7)
	v_mul_f32_e32 v141, v109, v149
	s_waitcnt vmcnt(40)
	v_mul_f32_e32 v142, v111, v150
	s_waitcnt vmcnt(39) lgkmcnt(6)
	v_mul_f32_e32 v143, v113, v151
	s_waitcnt vmcnt(38)
	v_mul_f32_e32 v144, v115, v152
	;; [unrolled: 4-line block ×7, first 2 shown]
	s_waitcnt vmcnt(27) lgkmcnt(0)
	v_mul_f32_e32 v197, v137, v163
	s_waitcnt vmcnt(26)
	v_fmac_f32_e32 v141, v110, v164
	v_mul_f32_e32 v110, v110, v149
	v_fma_f32 v109, v109, v164, -v110
	v_mul_f32_e32 v110, v112, v150
	v_add_f32_e32 v109, 0, v109
	s_waitcnt vmcnt(25)
	v_fma_f32 v110, v111, v165, -v110
	v_add_f32_e32 v109, v109, v110
	v_mul_f32_e32 v110, v114, v151
	s_waitcnt vmcnt(24)
	v_fma_f32 v110, v113, v166, -v110
	v_add_f32_e32 v109, v109, v110
	v_mul_f32_e32 v110, v116, v152
	;; [unrolled: 4-line block ×5, first 2 shown]
	v_fmac_f32_e32 v142, v112, v165
	v_add_f32_e32 v141, 0, v141
	s_waitcnt vmcnt(20)
	v_fma_f32 v110, v121, v170, -v110
	v_fmac_f32_e32 v143, v114, v166
	v_add_f32_e32 v141, v141, v142
	v_add_f32_e32 v109, v109, v110
	v_mul_f32_e32 v110, v124, v156
	v_fmac_f32_e32 v144, v116, v167
	v_add_f32_e32 v141, v141, v143
	s_waitcnt vmcnt(19)
	v_fma_f32 v110, v123, v171, -v110
	v_fmac_f32_e32 v145, v118, v168
	v_add_f32_e32 v141, v141, v144
	v_add_f32_e32 v109, v109, v110
	v_mul_f32_e32 v110, v126, v157
	;; [unrolled: 8-line block ×5, first 2 shown]
	s_waitcnt vmcnt(15)
	v_fmac_f32_e32 v194, v132, v175
	v_add_f32_e32 v141, v141, v193
	v_fma_f32 v110, v131, v175, -v110
	s_waitcnt vmcnt(14)
	v_fmac_f32_e32 v195, v134, v176
	v_add_f32_e32 v141, v141, v194
	v_add_f32_e32 v109, v109, v110
	v_mul_f32_e32 v110, v134, v161
	s_waitcnt vmcnt(13)
	v_fmac_f32_e32 v196, v136, v177
	v_add_f32_e32 v141, v141, v195
	v_fma_f32 v110, v133, v176, -v110
	s_waitcnt vmcnt(12)
	v_fmac_f32_e32 v197, v138, v178
	v_add_f32_e32 v141, v141, v196
	v_add_f32_e32 v109, v109, v110
	v_mul_f32_e32 v110, v136, v162
	v_add_f32_e32 v145, v141, v197
	ds_read2_b64 v[141:144], v108 offset0:103 offset1:104
	v_fma_f32 v110, v135, v177, -v110
	v_add_f32_e32 v109, v109, v110
	v_mul_f32_e32 v110, v138, v163
	s_waitcnt vmcnt(11)
	v_mul_f32_e32 v146, v139, v179
	v_fma_f32 v110, v137, v178, -v110
	s_waitcnt vmcnt(10)
	v_fmac_f32_e32 v146, v140, v180
	v_add_f32_e32 v109, v109, v110
	v_mul_f32_e32 v110, v140, v179
	v_add_f32_e32 v191, v145, v146
	ds_read2_b64 v[145:148], v108 offset0:105 offset1:106
	v_fma_f32 v110, v139, v180, -v110
	v_add_f32_e32 v109, v109, v110
	s_waitcnt vmcnt(9) lgkmcnt(1)
	v_mul_f32_e32 v110, v142, v181
	v_mul_f32_e32 v108, v141, v181
	s_waitcnt vmcnt(8)
	v_fma_f32 v110, v141, v182, -v110
	v_fmac_f32_e32 v108, v142, v182
	v_add_f32_e32 v109, v109, v110
	s_waitcnt vmcnt(7)
	v_mul_f32_e32 v110, v144, v183
	v_add_f32_e32 v108, v191, v108
	v_mul_f32_e32 v191, v143, v183
	s_waitcnt vmcnt(6)
	v_fma_f32 v110, v143, v184, -v110
	v_fmac_f32_e32 v191, v144, v184
	v_add_f32_e32 v109, v109, v110
	s_waitcnt vmcnt(5) lgkmcnt(0)
	v_mul_f32_e32 v110, v146, v185
	v_add_f32_e32 v108, v108, v191
	v_mul_f32_e32 v191, v145, v185
	s_waitcnt vmcnt(4)
	v_fma_f32 v110, v145, v186, -v110
	v_fmac_f32_e32 v191, v146, v186
	v_add_f32_e32 v109, v109, v110
	s_waitcnt vmcnt(3)
	v_mul_f32_e32 v110, v148, v187
	v_add_f32_e32 v108, v108, v191
	v_mul_f32_e32 v191, v147, v187
	s_waitcnt vmcnt(2)
	v_fma_f32 v110, v147, v188, -v110
	v_fmac_f32_e32 v191, v148, v188
	v_add_f32_e32 v109, v109, v110
	v_add_f32_e32 v108, v108, v191
	s_waitcnt vmcnt(1)
	v_sub_f32_e32 v109, v189, v109
	s_waitcnt vmcnt(0)
	v_sub_f32_e32 v108, v190, v108
	buffer_store_dword v109, off, s[0:3], 0 offset:256
	buffer_store_dword v108, off, s[0:3], 0 offset:260
	s_and_saveexec_b64 s[4:5], vcc
	s_cbranch_execz .LBB116_269
; %bb.268:
	buffer_load_dword v108, off, s[0:3], 0 offset:248
	buffer_load_dword v109, off, s[0:3], 0 offset:252
	v_mov_b32_e32 v110, 0
	buffer_store_dword v110, off, s[0:3], 0 offset:248
	buffer_store_dword v110, off, s[0:3], 0 offset:252
	s_waitcnt vmcnt(2)
	ds_write_b64 v107, v[108:109]
.LBB116_269:
	s_or_b64 exec, exec, s[4:5]
	s_waitcnt lgkmcnt(0)
	; wave barrier
	buffer_load_dword v151, off, s[0:3], 0 offset:260
	buffer_load_dword v152, off, s[0:3], 0 offset:268
	;; [unrolled: 1-line block ×44, first 2 shown]
	v_mov_b32_e32 v108, 0
	ds_read_b128 v[109:112], v108 offset:688
	ds_read_b128 v[113:116], v108 offset:704
	;; [unrolled: 1-line block ×8, first 2 shown]
	v_cmp_lt_u32_e32 vcc, 30, v0
	s_waitcnt vmcnt(43) lgkmcnt(7)
	v_mul_f32_e32 v141, v109, v151
	s_waitcnt vmcnt(42)
	v_mul_f32_e32 v142, v111, v152
	s_waitcnt vmcnt(41) lgkmcnt(6)
	v_mul_f32_e32 v143, v113, v153
	s_waitcnt vmcnt(40)
	v_mul_f32_e32 v144, v115, v154
	;; [unrolled: 4-line block ×7, first 2 shown]
	s_waitcnt vmcnt(29)
	v_fmac_f32_e32 v141, v110, v165
	v_mul_f32_e32 v110, v110, v151
	v_fma_f32 v109, v109, v165, -v110
	v_mul_f32_e32 v110, v112, v152
	v_add_f32_e32 v109, 0, v109
	s_waitcnt vmcnt(28)
	v_fma_f32 v110, v111, v166, -v110
	v_add_f32_e32 v109, v109, v110
	v_mul_f32_e32 v110, v114, v153
	s_waitcnt vmcnt(27)
	v_fma_f32 v110, v113, v167, -v110
	v_add_f32_e32 v109, v109, v110
	v_mul_f32_e32 v110, v116, v154
	;; [unrolled: 4-line block ×4, first 2 shown]
	s_waitcnt vmcnt(24)
	v_fma_f32 v110, v119, v170, -v110
	v_fmac_f32_e32 v142, v112, v166
	v_add_f32_e32 v141, 0, v141
	v_add_f32_e32 v109, v109, v110
	v_mul_f32_e32 v110, v122, v157
	v_fmac_f32_e32 v143, v114, v167
	v_add_f32_e32 v141, v141, v142
	s_waitcnt vmcnt(23)
	v_fma_f32 v110, v121, v171, -v110
	v_fmac_f32_e32 v144, v116, v168
	v_add_f32_e32 v141, v141, v143
	v_add_f32_e32 v109, v109, v110
	v_mul_f32_e32 v110, v124, v158
	v_fmac_f32_e32 v145, v118, v169
	v_add_f32_e32 v141, v141, v144
	;; [unrolled: 8-line block ×4, first 2 shown]
	s_waitcnt vmcnt(20)
	v_fma_f32 v110, v127, v174, -v110
	v_fmac_f32_e32 v150, v128, v174
	v_add_f32_e32 v141, v141, v149
	v_add_f32_e32 v109, v109, v110
	v_mul_f32_e32 v110, v130, v161
	s_waitcnt vmcnt(19)
	v_fmac_f32_e32 v195, v130, v175
	v_add_f32_e32 v141, v141, v150
	v_fma_f32 v110, v129, v175, -v110
	s_waitcnt vmcnt(18)
	v_fmac_f32_e32 v196, v132, v176
	v_add_f32_e32 v141, v141, v195
	v_add_f32_e32 v109, v109, v110
	v_mul_f32_e32 v110, v132, v162
	s_waitcnt vmcnt(17)
	v_fmac_f32_e32 v197, v134, v177
	v_add_f32_e32 v141, v141, v196
	v_fma_f32 v110, v131, v176, -v110
	v_add_f32_e32 v141, v141, v197
	s_waitcnt vmcnt(16)
	v_fmac_f32_e32 v198, v136, v178
	s_waitcnt vmcnt(15) lgkmcnt(0)
	v_mul_f32_e32 v142, v137, v179
	v_add_f32_e32 v109, v109, v110
	v_mul_f32_e32 v110, v134, v163
	v_add_f32_e32 v141, v141, v198
	s_waitcnt vmcnt(14)
	v_fmac_f32_e32 v142, v138, v180
	v_fma_f32 v110, v133, v177, -v110
	v_add_f32_e32 v145, v141, v142
	ds_read_b128 v[141:144], v108 offset:816
	v_add_f32_e32 v109, v109, v110
	v_mul_f32_e32 v110, v136, v164
	v_fma_f32 v110, v135, v178, -v110
	v_add_f32_e32 v109, v109, v110
	v_mul_f32_e32 v110, v138, v179
	s_waitcnt vmcnt(13)
	v_mul_f32_e32 v146, v139, v181
	v_fma_f32 v110, v137, v180, -v110
	s_waitcnt vmcnt(12)
	v_fmac_f32_e32 v146, v140, v182
	v_add_f32_e32 v109, v109, v110
	v_mul_f32_e32 v110, v140, v181
	v_add_f32_e32 v149, v145, v146
	ds_read_b128 v[145:148], v108 offset:832
	s_waitcnt vmcnt(11) lgkmcnt(1)
	v_mul_f32_e32 v150, v141, v183
	v_fma_f32 v110, v139, v182, -v110
	s_waitcnt vmcnt(10)
	v_fmac_f32_e32 v150, v142, v184
	v_add_f32_e32 v109, v109, v110
	v_mul_f32_e32 v110, v142, v183
	v_add_f32_e32 v149, v149, v150
	s_waitcnt vmcnt(9)
	v_mul_f32_e32 v150, v143, v185
	v_fma_f32 v110, v141, v184, -v110
	s_waitcnt vmcnt(8)
	v_fmac_f32_e32 v150, v144, v186
	v_add_f32_e32 v109, v109, v110
	v_mul_f32_e32 v110, v144, v185
	v_add_f32_e32 v195, v149, v150
	ds_read_b64 v[149:150], v108 offset:848
	v_fma_f32 v110, v143, v186, -v110
	v_add_f32_e32 v109, v109, v110
	s_waitcnt vmcnt(7) lgkmcnt(1)
	v_mul_f32_e32 v110, v146, v187
	v_mul_f32_e32 v196, v145, v187
	s_waitcnt vmcnt(6)
	v_fma_f32 v110, v145, v188, -v110
	v_fmac_f32_e32 v196, v146, v188
	v_add_f32_e32 v109, v109, v110
	s_waitcnt vmcnt(5)
	v_mul_f32_e32 v110, v148, v189
	v_add_f32_e32 v195, v195, v196
	v_mul_f32_e32 v196, v147, v189
	s_waitcnt vmcnt(4)
	v_fma_f32 v110, v147, v190, -v110
	v_fmac_f32_e32 v196, v148, v190
	v_add_f32_e32 v109, v109, v110
	s_waitcnt vmcnt(3) lgkmcnt(0)
	v_mul_f32_e32 v110, v150, v191
	v_add_f32_e32 v195, v195, v196
	v_mul_f32_e32 v196, v149, v191
	s_waitcnt vmcnt(2)
	v_fma_f32 v110, v149, v192, -v110
	v_fmac_f32_e32 v196, v150, v192
	v_add_f32_e32 v109, v109, v110
	v_add_f32_e32 v195, v195, v196
	s_waitcnt vmcnt(1)
	v_sub_f32_e32 v109, v193, v109
	s_waitcnt vmcnt(0)
	v_sub_f32_e32 v110, v194, v195
	buffer_store_dword v109, off, s[0:3], 0 offset:248
	buffer_store_dword v110, off, s[0:3], 0 offset:252
	s_and_saveexec_b64 s[4:5], vcc
	s_cbranch_execz .LBB116_271
; %bb.270:
	buffer_load_dword v109, off, s[0:3], 0 offset:240
	buffer_load_dword v110, off, s[0:3], 0 offset:244
	s_waitcnt vmcnt(0)
	ds_write_b64 v107, v[109:110]
	buffer_store_dword v108, off, s[0:3], 0 offset:240
	buffer_store_dword v108, off, s[0:3], 0 offset:244
.LBB116_271:
	s_or_b64 exec, exec, s[4:5]
	s_waitcnt lgkmcnt(0)
	; wave barrier
	buffer_load_dword v153, off, s[0:3], 0 offset:252
	buffer_load_dword v154, off, s[0:3], 0 offset:260
	;; [unrolled: 1-line block ×46, first 2 shown]
	ds_read2_b64 v[109:112], v108 offset0:85 offset1:86
	ds_read2_b64 v[113:116], v108 offset0:87 offset1:88
	ds_read2_b64 v[117:120], v108 offset0:89 offset1:90
	ds_read2_b64 v[121:124], v108 offset0:91 offset1:92
	ds_read2_b64 v[125:128], v108 offset0:93 offset1:94
	ds_read2_b64 v[129:132], v108 offset0:95 offset1:96
	ds_read2_b64 v[133:136], v108 offset0:97 offset1:98
	ds_read2_b64 v[137:140], v108 offset0:99 offset1:100
	v_cmp_lt_u32_e32 vcc, 29, v0
	s_waitcnt vmcnt(45) lgkmcnt(7)
	v_mul_f32_e32 v141, v109, v153
	s_waitcnt vmcnt(44)
	v_mul_f32_e32 v142, v111, v154
	s_waitcnt vmcnt(43) lgkmcnt(6)
	v_mul_f32_e32 v143, v113, v155
	s_waitcnt vmcnt(42)
	v_mul_f32_e32 v144, v115, v156
	;; [unrolled: 4-line block ×6, first 2 shown]
	s_waitcnt vmcnt(33) lgkmcnt(1)
	v_mul_f32_e32 v199, v133, v165
	s_waitcnt vmcnt(32)
	v_fmac_f32_e32 v141, v110, v166
	v_mul_f32_e32 v110, v110, v153
	v_fma_f32 v109, v109, v166, -v110
	v_mul_f32_e32 v110, v112, v154
	v_add_f32_e32 v109, 0, v109
	s_waitcnt vmcnt(31)
	v_fma_f32 v110, v111, v167, -v110
	v_add_f32_e32 v109, v109, v110
	v_mul_f32_e32 v110, v114, v155
	s_waitcnt vmcnt(30)
	v_fma_f32 v110, v113, v168, -v110
	v_add_f32_e32 v109, v109, v110
	v_mul_f32_e32 v110, v116, v156
	;; [unrolled: 4-line block ×4, first 2 shown]
	v_fmac_f32_e32 v142, v112, v167
	v_add_f32_e32 v141, 0, v141
	s_waitcnt vmcnt(27)
	v_fma_f32 v110, v119, v171, -v110
	v_fmac_f32_e32 v143, v114, v168
	v_add_f32_e32 v141, v141, v142
	v_add_f32_e32 v109, v109, v110
	v_mul_f32_e32 v110, v122, v159
	v_fmac_f32_e32 v144, v116, v169
	v_add_f32_e32 v141, v141, v143
	s_waitcnt vmcnt(26)
	v_fma_f32 v110, v121, v172, -v110
	v_fmac_f32_e32 v145, v118, v170
	v_add_f32_e32 v141, v141, v144
	v_add_f32_e32 v109, v109, v110
	v_mul_f32_e32 v110, v124, v160
	;; [unrolled: 8-line block ×4, first 2 shown]
	s_waitcnt vmcnt(23)
	v_fmac_f32_e32 v150, v128, v175
	v_add_f32_e32 v141, v141, v149
	v_fma_f32 v110, v127, v175, -v110
	s_waitcnt vmcnt(22)
	v_fmac_f32_e32 v151, v130, v176
	v_add_f32_e32 v141, v141, v150
	v_add_f32_e32 v109, v109, v110
	v_mul_f32_e32 v110, v130, v163
	s_waitcnt vmcnt(21)
	v_fmac_f32_e32 v152, v132, v177
	v_add_f32_e32 v141, v141, v151
	v_fma_f32 v110, v129, v176, -v110
	s_waitcnt vmcnt(20)
	v_fmac_f32_e32 v199, v134, v178
	v_add_f32_e32 v141, v141, v152
	s_waitcnt vmcnt(19)
	v_mul_f32_e32 v142, v135, v179
	v_add_f32_e32 v109, v109, v110
	v_mul_f32_e32 v110, v132, v164
	v_add_f32_e32 v141, v141, v199
	s_waitcnt vmcnt(18)
	v_fmac_f32_e32 v142, v136, v180
	v_fma_f32 v110, v131, v177, -v110
	v_add_f32_e32 v141, v141, v142
	s_waitcnt vmcnt(17) lgkmcnt(0)
	v_mul_f32_e32 v142, v137, v181
	v_add_f32_e32 v109, v109, v110
	v_mul_f32_e32 v110, v134, v165
	s_waitcnt vmcnt(16)
	v_fmac_f32_e32 v142, v138, v182
	v_fma_f32 v110, v133, v178, -v110
	v_add_f32_e32 v145, v141, v142
	ds_read2_b64 v[141:144], v108 offset0:101 offset1:102
	v_add_f32_e32 v109, v109, v110
	v_mul_f32_e32 v110, v136, v179
	v_fma_f32 v110, v135, v180, -v110
	v_add_f32_e32 v109, v109, v110
	v_mul_f32_e32 v110, v138, v181
	s_waitcnt vmcnt(15)
	v_mul_f32_e32 v146, v139, v183
	v_fma_f32 v110, v137, v182, -v110
	s_waitcnt vmcnt(14)
	v_fmac_f32_e32 v146, v140, v184
	v_add_f32_e32 v109, v109, v110
	v_mul_f32_e32 v110, v140, v183
	v_add_f32_e32 v149, v145, v146
	ds_read2_b64 v[145:148], v108 offset0:103 offset1:104
	s_waitcnt vmcnt(13) lgkmcnt(1)
	v_mul_f32_e32 v150, v141, v185
	v_fma_f32 v110, v139, v184, -v110
	s_waitcnt vmcnt(12)
	v_fmac_f32_e32 v150, v142, v186
	v_add_f32_e32 v109, v109, v110
	v_mul_f32_e32 v110, v142, v185
	v_add_f32_e32 v149, v149, v150
	s_waitcnt vmcnt(11)
	v_mul_f32_e32 v150, v143, v187
	v_fma_f32 v110, v141, v186, -v110
	s_waitcnt vmcnt(10)
	v_fmac_f32_e32 v150, v144, v188
	v_add_f32_e32 v109, v109, v110
	v_mul_f32_e32 v110, v144, v187
	v_add_f32_e32 v199, v149, v150
	ds_read2_b64 v[149:152], v108 offset0:105 offset1:106
	v_fma_f32 v110, v143, v188, -v110
	v_add_f32_e32 v109, v109, v110
	s_waitcnt vmcnt(9) lgkmcnt(1)
	v_mul_f32_e32 v110, v146, v189
	v_mul_f32_e32 v200, v145, v189
	s_waitcnt vmcnt(8)
	v_fma_f32 v110, v145, v190, -v110
	v_fmac_f32_e32 v200, v146, v190
	v_add_f32_e32 v109, v109, v110
	s_waitcnt vmcnt(7)
	v_mul_f32_e32 v110, v148, v191
	v_add_f32_e32 v108, v199, v200
	v_mul_f32_e32 v199, v147, v191
	s_waitcnt vmcnt(6)
	v_fma_f32 v110, v147, v192, -v110
	v_fmac_f32_e32 v199, v148, v192
	v_add_f32_e32 v109, v109, v110
	s_waitcnt vmcnt(5) lgkmcnt(0)
	v_mul_f32_e32 v110, v150, v193
	v_add_f32_e32 v108, v108, v199
	v_mul_f32_e32 v199, v149, v193
	s_waitcnt vmcnt(4)
	v_fma_f32 v110, v149, v194, -v110
	v_fmac_f32_e32 v199, v150, v194
	v_add_f32_e32 v109, v109, v110
	s_waitcnt vmcnt(3)
	v_mul_f32_e32 v110, v152, v195
	v_add_f32_e32 v108, v108, v199
	v_mul_f32_e32 v199, v151, v195
	s_waitcnt vmcnt(2)
	v_fma_f32 v110, v151, v196, -v110
	v_fmac_f32_e32 v199, v152, v196
	v_add_f32_e32 v109, v109, v110
	v_add_f32_e32 v108, v108, v199
	s_waitcnt vmcnt(1)
	v_sub_f32_e32 v109, v197, v109
	s_waitcnt vmcnt(0)
	v_sub_f32_e32 v108, v198, v108
	buffer_store_dword v109, off, s[0:3], 0 offset:240
	buffer_store_dword v108, off, s[0:3], 0 offset:244
	s_and_saveexec_b64 s[4:5], vcc
	s_cbranch_execz .LBB116_273
; %bb.272:
	buffer_load_dword v108, off, s[0:3], 0 offset:232
	buffer_load_dword v109, off, s[0:3], 0 offset:236
	v_mov_b32_e32 v110, 0
	buffer_store_dword v110, off, s[0:3], 0 offset:232
	buffer_store_dword v110, off, s[0:3], 0 offset:236
	s_waitcnt vmcnt(2)
	ds_write_b64 v107, v[108:109]
.LBB116_273:
	s_or_b64 exec, exec, s[4:5]
	s_waitcnt lgkmcnt(0)
	; wave barrier
	buffer_load_dword v155, off, s[0:3], 0 offset:244
	buffer_load_dword v156, off, s[0:3], 0 offset:252
	;; [unrolled: 1-line block ×48, first 2 shown]
	v_mov_b32_e32 v108, 0
	ds_read_b128 v[109:112], v108 offset:672
	ds_read_b128 v[113:116], v108 offset:688
	;; [unrolled: 1-line block ×7, first 2 shown]
	v_cmp_lt_u32_e32 vcc, 28, v0
	s_waitcnt vmcnt(47) lgkmcnt(6)
	v_mul_f32_e32 v137, v109, v155
	s_waitcnt vmcnt(46)
	v_mul_f32_e32 v138, v111, v156
	s_waitcnt vmcnt(45) lgkmcnt(5)
	v_mul_f32_e32 v139, v113, v157
	s_waitcnt vmcnt(44)
	v_mul_f32_e32 v140, v115, v158
	;; [unrolled: 4-line block ×6, first 2 shown]
	s_waitcnt vmcnt(35)
	v_fmac_f32_e32 v137, v110, v167
	v_mul_f32_e32 v110, v110, v155
	v_fma_f32 v109, v109, v167, -v110
	v_mul_f32_e32 v110, v112, v156
	v_add_f32_e32 v109, 0, v109
	s_waitcnt vmcnt(34)
	v_fma_f32 v110, v111, v168, -v110
	v_add_f32_e32 v109, v109, v110
	v_mul_f32_e32 v110, v114, v157
	s_waitcnt vmcnt(33)
	v_fma_f32 v110, v113, v169, -v110
	v_fmac_f32_e32 v138, v112, v168
	v_add_f32_e32 v137, 0, v137
	v_add_f32_e32 v109, v109, v110
	v_mul_f32_e32 v110, v116, v158
	v_fmac_f32_e32 v139, v114, v169
	v_add_f32_e32 v137, v137, v138
	s_waitcnt vmcnt(32)
	v_fma_f32 v110, v115, v170, -v110
	v_fmac_f32_e32 v140, v116, v170
	v_add_f32_e32 v137, v137, v139
	v_add_f32_e32 v109, v109, v110
	v_mul_f32_e32 v110, v118, v159
	s_waitcnt vmcnt(31)
	v_fmac_f32_e32 v141, v118, v171
	v_add_f32_e32 v137, v137, v140
	v_fma_f32 v110, v117, v171, -v110
	s_waitcnt vmcnt(30)
	v_fmac_f32_e32 v142, v120, v172
	v_add_f32_e32 v137, v137, v141
	v_add_f32_e32 v109, v109, v110
	v_mul_f32_e32 v110, v120, v160
	s_waitcnt vmcnt(29)
	v_fmac_f32_e32 v143, v122, v173
	v_add_f32_e32 v137, v137, v142
	v_fma_f32 v110, v119, v172, -v110
	s_waitcnt vmcnt(28)
	;; [unrolled: 9-line block ×4, first 2 shown]
	v_fmac_f32_e32 v148, v132, v178
	v_add_f32_e32 v137, v137, v147
	v_add_f32_e32 v109, v109, v110
	v_mul_f32_e32 v110, v126, v163
	v_add_f32_e32 v141, v137, v148
	ds_read_b128 v[137:140], v108 offset:784
	v_fma_f32 v110, v125, v175, -v110
	s_waitcnt vmcnt(23) lgkmcnt(1)
	v_mul_f32_e32 v142, v133, v179
	v_add_f32_e32 v109, v109, v110
	v_mul_f32_e32 v110, v128, v164
	s_waitcnt vmcnt(22)
	v_fmac_f32_e32 v142, v134, v180
	v_fma_f32 v110, v127, v176, -v110
	v_add_f32_e32 v141, v141, v142
	s_waitcnt vmcnt(21)
	v_mul_f32_e32 v142, v135, v181
	v_add_f32_e32 v109, v109, v110
	v_mul_f32_e32 v110, v130, v165
	s_waitcnt vmcnt(20)
	v_fmac_f32_e32 v142, v136, v182
	v_fma_f32 v110, v129, v177, -v110
	v_add_f32_e32 v141, v141, v142
	s_waitcnt vmcnt(19) lgkmcnt(0)
	v_mul_f32_e32 v142, v137, v183
	v_add_f32_e32 v109, v109, v110
	v_mul_f32_e32 v110, v132, v166
	s_waitcnt vmcnt(18)
	v_fmac_f32_e32 v142, v138, v184
	v_fma_f32 v110, v131, v178, -v110
	v_add_f32_e32 v145, v141, v142
	ds_read_b128 v[141:144], v108 offset:800
	v_add_f32_e32 v109, v109, v110
	v_mul_f32_e32 v110, v134, v179
	v_fma_f32 v110, v133, v180, -v110
	s_waitcnt vmcnt(17)
	v_mul_f32_e32 v146, v139, v185
	v_add_f32_e32 v109, v109, v110
	v_mul_f32_e32 v110, v136, v181
	s_waitcnt vmcnt(16)
	v_fmac_f32_e32 v146, v140, v186
	v_fma_f32 v110, v135, v182, -v110
	v_add_f32_e32 v149, v145, v146
	ds_read_b128 v[145:148], v108 offset:816
	v_add_f32_e32 v109, v109, v110
	v_mul_f32_e32 v110, v138, v183
	s_waitcnt vmcnt(15) lgkmcnt(1)
	v_mul_f32_e32 v150, v141, v187
	v_fma_f32 v110, v137, v184, -v110
	s_waitcnt vmcnt(14)
	v_fmac_f32_e32 v150, v142, v188
	v_add_f32_e32 v109, v109, v110
	v_mul_f32_e32 v110, v140, v185
	v_add_f32_e32 v149, v149, v150
	s_waitcnt vmcnt(13)
	v_mul_f32_e32 v150, v143, v189
	v_fma_f32 v110, v139, v186, -v110
	s_waitcnt vmcnt(12)
	v_fmac_f32_e32 v150, v144, v190
	v_add_f32_e32 v109, v109, v110
	v_mul_f32_e32 v110, v142, v187
	v_add_f32_e32 v149, v149, v150
	s_waitcnt vmcnt(11) lgkmcnt(0)
	v_mul_f32_e32 v150, v145, v191
	v_fma_f32 v110, v141, v188, -v110
	s_waitcnt vmcnt(10)
	v_fmac_f32_e32 v150, v146, v192
	v_add_f32_e32 v109, v109, v110
	v_mul_f32_e32 v110, v144, v189
	v_add_f32_e32 v153, v149, v150
	ds_read_b128 v[149:152], v108 offset:832
	v_fma_f32 v110, v143, v190, -v110
	v_add_f32_e32 v109, v109, v110
	v_mul_f32_e32 v110, v146, v191
	s_waitcnt vmcnt(9)
	v_mul_f32_e32 v154, v147, v193
	v_fma_f32 v110, v145, v192, -v110
	s_waitcnt vmcnt(8)
	v_fmac_f32_e32 v154, v148, v194
	v_add_f32_e32 v109, v109, v110
	v_mul_f32_e32 v110, v148, v193
	v_add_f32_e32 v203, v153, v154
	ds_read_b64 v[153:154], v108 offset:848
	v_fma_f32 v110, v147, v194, -v110
	v_add_f32_e32 v109, v109, v110
	s_waitcnt vmcnt(6) lgkmcnt(1)
	v_mul_f32_e32 v110, v150, v196
	v_mul_f32_e32 v204, v149, v196
	v_fma_f32 v110, v149, v195, -v110
	v_fmac_f32_e32 v204, v150, v195
	v_add_f32_e32 v109, v109, v110
	s_waitcnt vmcnt(3)
	v_mul_f32_e32 v110, v152, v199
	v_add_f32_e32 v203, v203, v204
	v_mul_f32_e32 v204, v151, v199
	s_waitcnt vmcnt(2)
	v_fma_f32 v110, v151, v200, -v110
	v_fmac_f32_e32 v204, v152, v200
	v_add_f32_e32 v109, v109, v110
	s_waitcnt vmcnt(0) lgkmcnt(0)
	v_mul_f32_e32 v110, v154, v202
	v_add_f32_e32 v203, v203, v204
	v_mul_f32_e32 v204, v153, v202
	v_fma_f32 v110, v153, v201, -v110
	v_fmac_f32_e32 v204, v154, v201
	v_add_f32_e32 v109, v109, v110
	v_add_f32_e32 v203, v203, v204
	v_sub_f32_e32 v109, v197, v109
	v_sub_f32_e32 v110, v198, v203
	buffer_store_dword v109, off, s[0:3], 0 offset:232
	buffer_store_dword v110, off, s[0:3], 0 offset:236
	s_and_saveexec_b64 s[4:5], vcc
	s_cbranch_execz .LBB116_275
; %bb.274:
	buffer_load_dword v109, off, s[0:3], 0 offset:224
	buffer_load_dword v110, off, s[0:3], 0 offset:228
	s_waitcnt vmcnt(0)
	ds_write_b64 v107, v[109:110]
	buffer_store_dword v108, off, s[0:3], 0 offset:224
	buffer_store_dword v108, off, s[0:3], 0 offset:228
.LBB116_275:
	s_or_b64 exec, exec, s[4:5]
	s_waitcnt lgkmcnt(0)
	; wave barrier
	buffer_load_dword v157, off, s[0:3], 0 offset:236
	buffer_load_dword v158, off, s[0:3], 0 offset:244
	;; [unrolled: 1-line block ×48, first 2 shown]
	ds_read2_b64 v[109:112], v108 offset0:83 offset1:84
	ds_read2_b64 v[113:116], v108 offset0:85 offset1:86
	buffer_load_dword v205, off, s[0:3], 0 offset:416
	buffer_load_dword v206, off, s[0:3], 0 offset:420
	ds_read2_b64 v[117:120], v108 offset0:87 offset1:88
	ds_read2_b64 v[121:124], v108 offset0:89 offset1:90
	;; [unrolled: 1-line block ×5, first 2 shown]
	v_cmp_lt_u32_e32 vcc, 27, v0
	s_waitcnt vmcnt(49) lgkmcnt(6)
	v_mul_f32_e32 v137, v109, v157
	s_waitcnt vmcnt(48)
	v_mul_f32_e32 v138, v111, v158
	s_waitcnt vmcnt(47) lgkmcnt(5)
	v_mul_f32_e32 v139, v113, v159
	s_waitcnt vmcnt(46)
	v_mul_f32_e32 v140, v115, v160
	;; [unrolled: 4-line block ×6, first 2 shown]
	s_waitcnt vmcnt(37)
	v_fmac_f32_e32 v137, v110, v169
	v_mul_f32_e32 v110, v110, v157
	v_fma_f32 v109, v109, v169, -v110
	v_mul_f32_e32 v110, v112, v158
	v_add_f32_e32 v109, 0, v109
	s_waitcnt vmcnt(36)
	v_fma_f32 v110, v111, v170, -v110
	v_add_f32_e32 v109, v109, v110
	v_mul_f32_e32 v110, v114, v159
	s_waitcnt vmcnt(35)
	v_fma_f32 v110, v113, v171, -v110
	v_fmac_f32_e32 v138, v112, v170
	v_add_f32_e32 v137, 0, v137
	v_add_f32_e32 v109, v109, v110
	v_mul_f32_e32 v110, v116, v160
	v_fmac_f32_e32 v139, v114, v171
	v_add_f32_e32 v137, v137, v138
	s_waitcnt vmcnt(34)
	v_fma_f32 v110, v115, v172, -v110
	v_fmac_f32_e32 v140, v116, v172
	v_add_f32_e32 v137, v137, v139
	v_add_f32_e32 v109, v109, v110
	v_mul_f32_e32 v110, v118, v161
	s_waitcnt vmcnt(33)
	v_fmac_f32_e32 v141, v118, v173
	v_add_f32_e32 v137, v137, v140
	v_fma_f32 v110, v117, v173, -v110
	s_waitcnt vmcnt(32)
	v_fmac_f32_e32 v142, v120, v174
	v_add_f32_e32 v137, v137, v141
	v_add_f32_e32 v109, v109, v110
	v_mul_f32_e32 v110, v120, v162
	s_waitcnt vmcnt(31)
	v_fmac_f32_e32 v143, v122, v175
	v_add_f32_e32 v137, v137, v142
	v_fma_f32 v110, v119, v174, -v110
	s_waitcnt vmcnt(30)
	;; [unrolled: 9-line block ×3, first 2 shown]
	v_fmac_f32_e32 v146, v128, v178
	v_add_f32_e32 v137, v137, v145
	v_add_f32_e32 v109, v109, v110
	v_mul_f32_e32 v110, v124, v164
	s_waitcnt vmcnt(27)
	v_fmac_f32_e32 v147, v130, v179
	v_add_f32_e32 v137, v137, v146
	v_fma_f32 v110, v123, v176, -v110
	v_add_f32_e32 v137, v137, v147
	s_waitcnt vmcnt(26)
	v_fmac_f32_e32 v148, v132, v180
	v_add_f32_e32 v109, v109, v110
	v_mul_f32_e32 v110, v126, v165
	v_add_f32_e32 v141, v137, v148
	ds_read2_b64 v[137:140], v108 offset0:97 offset1:98
	v_fma_f32 v110, v125, v177, -v110
	s_waitcnt vmcnt(25) lgkmcnt(1)
	v_mul_f32_e32 v142, v133, v181
	v_add_f32_e32 v109, v109, v110
	v_mul_f32_e32 v110, v128, v166
	s_waitcnt vmcnt(24)
	v_fmac_f32_e32 v142, v134, v182
	v_fma_f32 v110, v127, v178, -v110
	v_add_f32_e32 v141, v141, v142
	s_waitcnt vmcnt(23)
	v_mul_f32_e32 v142, v135, v183
	v_add_f32_e32 v109, v109, v110
	v_mul_f32_e32 v110, v130, v167
	s_waitcnt vmcnt(22)
	v_fmac_f32_e32 v142, v136, v184
	v_fma_f32 v110, v129, v179, -v110
	v_add_f32_e32 v141, v141, v142
	s_waitcnt vmcnt(21) lgkmcnt(0)
	v_mul_f32_e32 v142, v137, v185
	v_add_f32_e32 v109, v109, v110
	v_mul_f32_e32 v110, v132, v168
	s_waitcnt vmcnt(20)
	v_fmac_f32_e32 v142, v138, v186
	v_fma_f32 v110, v131, v180, -v110
	v_add_f32_e32 v145, v141, v142
	ds_read2_b64 v[141:144], v108 offset0:99 offset1:100
	v_add_f32_e32 v109, v109, v110
	v_mul_f32_e32 v110, v134, v181
	v_fma_f32 v110, v133, v182, -v110
	s_waitcnt vmcnt(19)
	v_mul_f32_e32 v146, v139, v187
	v_add_f32_e32 v109, v109, v110
	v_mul_f32_e32 v110, v136, v183
	s_waitcnt vmcnt(18)
	v_fmac_f32_e32 v146, v140, v188
	v_fma_f32 v110, v135, v184, -v110
	v_add_f32_e32 v149, v145, v146
	ds_read2_b64 v[145:148], v108 offset0:101 offset1:102
	v_add_f32_e32 v109, v109, v110
	v_mul_f32_e32 v110, v138, v185
	s_waitcnt vmcnt(17) lgkmcnt(1)
	v_mul_f32_e32 v150, v141, v189
	v_fma_f32 v110, v137, v186, -v110
	s_waitcnt vmcnt(16)
	v_fmac_f32_e32 v150, v142, v190
	v_add_f32_e32 v109, v109, v110
	v_mul_f32_e32 v110, v140, v187
	v_add_f32_e32 v149, v149, v150
	s_waitcnt vmcnt(15)
	v_mul_f32_e32 v150, v143, v191
	v_fma_f32 v110, v139, v188, -v110
	s_waitcnt vmcnt(14)
	v_fmac_f32_e32 v150, v144, v192
	v_add_f32_e32 v109, v109, v110
	v_mul_f32_e32 v110, v142, v189
	v_add_f32_e32 v149, v149, v150
	s_waitcnt vmcnt(13) lgkmcnt(0)
	v_mul_f32_e32 v150, v145, v193
	v_fma_f32 v110, v141, v190, -v110
	s_waitcnt vmcnt(12)
	v_fmac_f32_e32 v150, v146, v194
	v_add_f32_e32 v109, v109, v110
	v_mul_f32_e32 v110, v144, v191
	v_add_f32_e32 v153, v149, v150
	ds_read2_b64 v[149:152], v108 offset0:103 offset1:104
	v_fma_f32 v110, v143, v192, -v110
	v_add_f32_e32 v109, v109, v110
	v_mul_f32_e32 v110, v146, v193
	s_waitcnt vmcnt(11)
	v_mul_f32_e32 v154, v147, v195
	v_fma_f32 v110, v145, v194, -v110
	s_waitcnt vmcnt(10)
	v_fmac_f32_e32 v154, v148, v196
	v_add_f32_e32 v109, v109, v110
	v_mul_f32_e32 v110, v148, v195
	v_add_f32_e32 v207, v153, v154
	ds_read2_b64 v[153:156], v108 offset0:105 offset1:106
	v_fma_f32 v110, v147, v196, -v110
	v_add_f32_e32 v109, v109, v110
	s_waitcnt vmcnt(7) lgkmcnt(1)
	v_mul_f32_e32 v110, v150, v199
	v_mul_f32_e32 v108, v149, v199
	s_waitcnt vmcnt(6)
	v_fma_f32 v110, v149, v200, -v110
	v_fmac_f32_e32 v108, v150, v200
	v_add_f32_e32 v109, v109, v110
	s_waitcnt vmcnt(4)
	v_mul_f32_e32 v110, v152, v202
	v_add_f32_e32 v108, v207, v108
	v_mul_f32_e32 v207, v151, v202
	v_fma_f32 v110, v151, v201, -v110
	v_fmac_f32_e32 v207, v152, v201
	v_add_f32_e32 v109, v109, v110
	s_waitcnt vmcnt(2) lgkmcnt(0)
	v_mul_f32_e32 v110, v154, v204
	v_add_f32_e32 v108, v108, v207
	v_mul_f32_e32 v207, v153, v204
	v_fma_f32 v110, v153, v203, -v110
	v_fmac_f32_e32 v207, v154, v203
	v_add_f32_e32 v109, v109, v110
	s_waitcnt vmcnt(0)
	v_mul_f32_e32 v110, v156, v206
	v_add_f32_e32 v108, v108, v207
	v_mul_f32_e32 v207, v155, v206
	v_fma_f32 v110, v155, v205, -v110
	v_fmac_f32_e32 v207, v156, v205
	v_add_f32_e32 v109, v109, v110
	v_add_f32_e32 v108, v108, v207
	v_sub_f32_e32 v109, v197, v109
	v_sub_f32_e32 v108, v198, v108
	buffer_store_dword v109, off, s[0:3], 0 offset:224
	buffer_store_dword v108, off, s[0:3], 0 offset:228
	s_and_saveexec_b64 s[4:5], vcc
	s_cbranch_execz .LBB116_277
; %bb.276:
	buffer_load_dword v108, off, s[0:3], 0 offset:216
	buffer_load_dword v109, off, s[0:3], 0 offset:220
	v_mov_b32_e32 v110, 0
	buffer_store_dword v110, off, s[0:3], 0 offset:216
	buffer_store_dword v110, off, s[0:3], 0 offset:220
	s_waitcnt vmcnt(2)
	ds_write_b64 v107, v[108:109]
.LBB116_277:
	s_or_b64 exec, exec, s[4:5]
	s_waitcnt lgkmcnt(0)
	; wave barrier
	buffer_load_dword v159, off, s[0:3], 0 offset:228
	buffer_load_dword v160, off, s[0:3], 0 offset:236
	;; [unrolled: 1-line block ×52, first 2 shown]
	v_mov_b32_e32 v108, 0
	ds_read_b128 v[109:112], v108 offset:656
	ds_read_b128 v[113:116], v108 offset:672
	;; [unrolled: 1-line block ×6, first 2 shown]
	v_cmp_lt_u32_e32 vcc, 26, v0
	s_waitcnt vmcnt(51) lgkmcnt(5)
	v_mul_f32_e32 v133, v109, v159
	s_waitcnt vmcnt(50)
	v_mul_f32_e32 v134, v111, v160
	s_waitcnt vmcnt(49) lgkmcnt(4)
	v_mul_f32_e32 v135, v113, v161
	s_waitcnt vmcnt(48)
	v_mul_f32_e32 v136, v115, v162
	;; [unrolled: 4-line block ×5, first 2 shown]
	s_waitcnt vmcnt(41) lgkmcnt(0)
	v_mul_f32_e32 v143, v129, v169
	s_waitcnt vmcnt(40)
	v_fmac_f32_e32 v133, v110, v170
	v_mul_f32_e32 v110, v110, v159
	s_waitcnt vmcnt(39)
	v_fmac_f32_e32 v134, v112, v171
	v_add_f32_e32 v133, 0, v133
	v_fma_f32 v109, v109, v170, -v110
	v_mul_f32_e32 v110, v112, v160
	s_waitcnt vmcnt(38)
	v_fmac_f32_e32 v135, v114, v172
	v_add_f32_e32 v133, v133, v134
	v_add_f32_e32 v109, 0, v109
	v_fma_f32 v110, v111, v171, -v110
	s_waitcnt vmcnt(37)
	v_fmac_f32_e32 v136, v116, v173
	v_add_f32_e32 v133, v133, v135
	v_add_f32_e32 v109, v109, v110
	v_mul_f32_e32 v110, v114, v161
	s_waitcnt vmcnt(36)
	v_fmac_f32_e32 v137, v118, v174
	v_add_f32_e32 v133, v133, v136
	v_fma_f32 v110, v113, v172, -v110
	s_waitcnt vmcnt(35)
	v_fmac_f32_e32 v138, v120, v175
	v_add_f32_e32 v133, v133, v137
	v_add_f32_e32 v109, v109, v110
	v_mul_f32_e32 v110, v116, v162
	s_waitcnt vmcnt(34)
	v_fmac_f32_e32 v139, v122, v176
	;; [unrolled: 9-line block ×3, first 2 shown]
	v_add_f32_e32 v133, v133, v140
	v_fma_f32 v110, v117, v174, -v110
	s_waitcnt vmcnt(31)
	v_fmac_f32_e32 v142, v128, v179
	v_add_f32_e32 v133, v133, v141
	v_add_f32_e32 v109, v109, v110
	v_mul_f32_e32 v110, v120, v164
	v_add_f32_e32 v133, v133, v142
	s_waitcnt vmcnt(30)
	v_fmac_f32_e32 v143, v130, v180
	v_fma_f32 v110, v119, v175, -v110
	v_add_f32_e32 v137, v133, v143
	ds_read_b128 v[133:136], v108 offset:752
	v_add_f32_e32 v109, v109, v110
	v_mul_f32_e32 v110, v122, v165
	v_fma_f32 v110, v121, v176, -v110
	s_waitcnt vmcnt(29)
	v_mul_f32_e32 v138, v131, v181
	v_add_f32_e32 v109, v109, v110
	v_mul_f32_e32 v110, v124, v166
	s_waitcnt vmcnt(28)
	v_fmac_f32_e32 v138, v132, v182
	v_fma_f32 v110, v123, v177, -v110
	v_add_f32_e32 v141, v137, v138
	ds_read_b128 v[137:140], v108 offset:768
	v_add_f32_e32 v109, v109, v110
	v_mul_f32_e32 v110, v126, v167
	s_waitcnt vmcnt(27) lgkmcnt(1)
	v_mul_f32_e32 v142, v133, v183
	v_fma_f32 v110, v125, v178, -v110
	s_waitcnt vmcnt(26)
	v_fmac_f32_e32 v142, v134, v184
	v_add_f32_e32 v109, v109, v110
	v_mul_f32_e32 v110, v128, v168
	v_add_f32_e32 v141, v141, v142
	s_waitcnt vmcnt(25)
	v_mul_f32_e32 v142, v135, v185
	v_fma_f32 v110, v127, v179, -v110
	s_waitcnt vmcnt(24)
	v_fmac_f32_e32 v142, v136, v186
	v_add_f32_e32 v109, v109, v110
	v_mul_f32_e32 v110, v130, v169
	v_add_f32_e32 v141, v141, v142
	s_waitcnt vmcnt(23) lgkmcnt(0)
	v_mul_f32_e32 v142, v137, v187
	v_fma_f32 v110, v129, v180, -v110
	s_waitcnt vmcnt(22)
	v_fmac_f32_e32 v142, v138, v188
	v_add_f32_e32 v109, v109, v110
	v_mul_f32_e32 v110, v132, v181
	v_add_f32_e32 v145, v141, v142
	ds_read_b128 v[141:144], v108 offset:784
	v_fma_f32 v110, v131, v182, -v110
	v_add_f32_e32 v109, v109, v110
	v_mul_f32_e32 v110, v134, v183
	s_waitcnt vmcnt(21)
	v_mul_f32_e32 v146, v139, v189
	v_fma_f32 v110, v133, v184, -v110
	s_waitcnt vmcnt(20)
	v_fmac_f32_e32 v146, v140, v190
	v_add_f32_e32 v109, v109, v110
	v_mul_f32_e32 v110, v136, v185
	v_add_f32_e32 v149, v145, v146
	ds_read_b128 v[145:148], v108 offset:800
	v_fma_f32 v110, v135, v186, -v110
	s_waitcnt vmcnt(19) lgkmcnt(1)
	v_mul_f32_e32 v150, v141, v191
	v_add_f32_e32 v109, v109, v110
	v_mul_f32_e32 v110, v138, v187
	s_waitcnt vmcnt(18)
	v_fmac_f32_e32 v150, v142, v192
	v_fma_f32 v110, v137, v188, -v110
	v_add_f32_e32 v149, v149, v150
	s_waitcnt vmcnt(17)
	v_mul_f32_e32 v150, v143, v193
	v_add_f32_e32 v109, v109, v110
	v_mul_f32_e32 v110, v140, v189
	s_waitcnt vmcnt(16)
	v_fmac_f32_e32 v150, v144, v194
	v_fma_f32 v110, v139, v190, -v110
	v_add_f32_e32 v149, v149, v150
	s_waitcnt vmcnt(14) lgkmcnt(0)
	v_mul_f32_e32 v150, v145, v196
	v_add_f32_e32 v109, v109, v110
	v_mul_f32_e32 v110, v142, v191
	v_fmac_f32_e32 v150, v146, v195
	v_fma_f32 v110, v141, v192, -v110
	v_add_f32_e32 v153, v149, v150
	ds_read_b128 v[149:152], v108 offset:816
	v_add_f32_e32 v109, v109, v110
	v_mul_f32_e32 v110, v144, v193
	v_fma_f32 v110, v143, v194, -v110
	v_add_f32_e32 v109, v109, v110
	v_mul_f32_e32 v110, v146, v196
	s_waitcnt vmcnt(11)
	v_mul_f32_e32 v154, v147, v199
	v_fma_f32 v110, v145, v195, -v110
	s_waitcnt vmcnt(10)
	v_fmac_f32_e32 v154, v148, v200
	v_add_f32_e32 v109, v109, v110
	v_mul_f32_e32 v110, v148, v199
	v_add_f32_e32 v157, v153, v154
	ds_read_b128 v[153:156], v108 offset:832
	s_waitcnt vmcnt(8) lgkmcnt(1)
	v_mul_f32_e32 v158, v149, v202
	v_fma_f32 v110, v147, v200, -v110
	v_fmac_f32_e32 v158, v150, v201
	v_add_f32_e32 v109, v109, v110
	v_mul_f32_e32 v110, v150, v202
	v_add_f32_e32 v157, v157, v158
	s_waitcnt vmcnt(6)
	v_mul_f32_e32 v158, v151, v204
	v_fma_f32 v110, v149, v201, -v110
	v_fmac_f32_e32 v158, v152, v203
	v_add_f32_e32 v109, v109, v110
	v_mul_f32_e32 v110, v152, v204
	v_add_f32_e32 v211, v157, v158
	ds_read_b64 v[157:158], v108 offset:848
	v_fma_f32 v110, v151, v203, -v110
	v_add_f32_e32 v109, v109, v110
	s_waitcnt vmcnt(4) lgkmcnt(1)
	v_mul_f32_e32 v110, v154, v206
	v_mul_f32_e32 v212, v153, v206
	v_fma_f32 v110, v153, v205, -v110
	v_fmac_f32_e32 v212, v154, v205
	v_add_f32_e32 v109, v109, v110
	s_waitcnt vmcnt(2)
	v_mul_f32_e32 v110, v156, v208
	v_add_f32_e32 v211, v211, v212
	v_mul_f32_e32 v212, v155, v208
	v_fma_f32 v110, v155, v207, -v110
	v_fmac_f32_e32 v212, v156, v207
	v_add_f32_e32 v109, v109, v110
	s_waitcnt vmcnt(0) lgkmcnt(0)
	v_mul_f32_e32 v110, v158, v210
	v_add_f32_e32 v211, v211, v212
	v_mul_f32_e32 v212, v157, v210
	v_fma_f32 v110, v157, v209, -v110
	v_fmac_f32_e32 v212, v158, v209
	v_add_f32_e32 v109, v109, v110
	v_add_f32_e32 v211, v211, v212
	v_sub_f32_e32 v109, v197, v109
	v_sub_f32_e32 v110, v198, v211
	buffer_store_dword v109, off, s[0:3], 0 offset:216
	buffer_store_dword v110, off, s[0:3], 0 offset:220
	s_and_saveexec_b64 s[4:5], vcc
	s_cbranch_execz .LBB116_279
; %bb.278:
	buffer_load_dword v109, off, s[0:3], 0 offset:208
	buffer_load_dword v110, off, s[0:3], 0 offset:212
	s_waitcnt vmcnt(0)
	ds_write_b64 v107, v[109:110]
	buffer_store_dword v108, off, s[0:3], 0 offset:208
	buffer_store_dword v108, off, s[0:3], 0 offset:212
.LBB116_279:
	s_or_b64 exec, exec, s[4:5]
	s_waitcnt lgkmcnt(0)
	; wave barrier
	buffer_load_dword v161, off, s[0:3], 0 offset:220
	buffer_load_dword v162, off, s[0:3], 0 offset:228
	;; [unrolled: 1-line block ×42, first 2 shown]
	ds_read2_b64 v[109:112], v108 offset0:81 offset1:82
	ds_read2_b64 v[113:116], v108 offset0:83 offset1:84
	;; [unrolled: 1-line block ×4, first 2 shown]
	buffer_load_dword v203, off, s[0:3], 0 offset:380
	buffer_load_dword v204, off, s[0:3], 0 offset:376
	;; [unrolled: 1-line block ×6, first 2 shown]
	ds_read2_b64 v[125:128], v108 offset0:89 offset1:90
	ds_read2_b64 v[129:132], v108 offset0:91 offset1:92
	buffer_load_dword v209, off, s[0:3], 0 offset:400
	buffer_load_dword v210, off, s[0:3], 0 offset:404
	;; [unrolled: 1-line block ×6, first 2 shown]
	v_cmp_lt_u32_e32 vcc, 25, v0
	s_waitcnt vmcnt(53) lgkmcnt(5)
	v_mul_f32_e32 v133, v109, v161
	s_waitcnt vmcnt(52)
	v_mul_f32_e32 v134, v111, v162
	s_waitcnt vmcnt(51) lgkmcnt(4)
	v_mul_f32_e32 v135, v113, v163
	s_waitcnt vmcnt(50)
	v_mul_f32_e32 v136, v115, v164
	;; [unrolled: 4-line block ×5, first 2 shown]
	s_waitcnt vmcnt(43)
	v_fmac_f32_e32 v133, v110, v171
	v_mul_f32_e32 v110, v110, v161
	s_waitcnt vmcnt(42)
	v_fmac_f32_e32 v134, v112, v172
	v_add_f32_e32 v133, 0, v133
	v_fma_f32 v109, v109, v171, -v110
	v_mul_f32_e32 v110, v112, v162
	s_waitcnt vmcnt(41)
	v_fmac_f32_e32 v135, v114, v173
	v_add_f32_e32 v133, v133, v134
	v_add_f32_e32 v109, 0, v109
	v_fma_f32 v110, v111, v172, -v110
	s_waitcnt vmcnt(40)
	v_fmac_f32_e32 v136, v116, v174
	v_add_f32_e32 v133, v133, v135
	v_add_f32_e32 v109, v109, v110
	v_mul_f32_e32 v110, v114, v163
	s_waitcnt vmcnt(39)
	v_fmac_f32_e32 v137, v118, v175
	v_add_f32_e32 v133, v133, v136
	v_fma_f32 v110, v113, v173, -v110
	s_waitcnt vmcnt(38)
	v_fmac_f32_e32 v138, v120, v176
	v_add_f32_e32 v133, v133, v137
	v_add_f32_e32 v109, v109, v110
	v_mul_f32_e32 v110, v116, v164
	s_waitcnt vmcnt(37)
	v_fmac_f32_e32 v139, v122, v177
	;; [unrolled: 9-line block ×3, first 2 shown]
	v_add_f32_e32 v133, v133, v140
	v_fma_f32 v110, v117, v175, -v110
	s_waitcnt vmcnt(34)
	v_fmac_f32_e32 v142, v128, v180
	v_add_f32_e32 v133, v133, v141
	s_waitcnt vmcnt(33) lgkmcnt(0)
	v_mul_f32_e32 v134, v129, v181
	v_add_f32_e32 v109, v109, v110
	v_mul_f32_e32 v110, v120, v166
	v_add_f32_e32 v133, v133, v142
	s_waitcnt vmcnt(32)
	v_fmac_f32_e32 v134, v130, v182
	v_fma_f32 v110, v119, v176, -v110
	v_add_f32_e32 v137, v133, v134
	ds_read2_b64 v[133:136], v108 offset0:93 offset1:94
	v_add_f32_e32 v109, v109, v110
	v_mul_f32_e32 v110, v122, v167
	v_fma_f32 v110, v121, v177, -v110
	s_waitcnt vmcnt(31)
	v_mul_f32_e32 v138, v131, v183
	v_add_f32_e32 v109, v109, v110
	v_mul_f32_e32 v110, v124, v168
	s_waitcnt vmcnt(30)
	v_fmac_f32_e32 v138, v132, v184
	v_fma_f32 v110, v123, v178, -v110
	v_add_f32_e32 v141, v137, v138
	ds_read2_b64 v[137:140], v108 offset0:95 offset1:96
	v_add_f32_e32 v109, v109, v110
	v_mul_f32_e32 v110, v126, v169
	s_waitcnt vmcnt(29) lgkmcnt(1)
	v_mul_f32_e32 v142, v133, v185
	v_fma_f32 v110, v125, v179, -v110
	s_waitcnt vmcnt(28)
	v_fmac_f32_e32 v142, v134, v186
	v_add_f32_e32 v109, v109, v110
	v_mul_f32_e32 v110, v128, v170
	v_add_f32_e32 v141, v141, v142
	s_waitcnt vmcnt(27)
	v_mul_f32_e32 v142, v135, v187
	v_fma_f32 v110, v127, v180, -v110
	s_waitcnt vmcnt(26)
	v_fmac_f32_e32 v142, v136, v188
	v_add_f32_e32 v109, v109, v110
	v_mul_f32_e32 v110, v130, v181
	v_add_f32_e32 v141, v141, v142
	s_waitcnt vmcnt(25) lgkmcnt(0)
	v_mul_f32_e32 v142, v137, v189
	v_fma_f32 v110, v129, v182, -v110
	s_waitcnt vmcnt(24)
	v_fmac_f32_e32 v142, v138, v190
	v_add_f32_e32 v109, v109, v110
	v_mul_f32_e32 v110, v132, v183
	v_add_f32_e32 v145, v141, v142
	ds_read2_b64 v[141:144], v108 offset0:97 offset1:98
	v_fma_f32 v110, v131, v184, -v110
	v_add_f32_e32 v109, v109, v110
	v_mul_f32_e32 v110, v134, v185
	s_waitcnt vmcnt(23)
	v_mul_f32_e32 v146, v139, v191
	v_fma_f32 v110, v133, v186, -v110
	s_waitcnt vmcnt(22)
	v_fmac_f32_e32 v146, v140, v192
	v_add_f32_e32 v109, v109, v110
	v_mul_f32_e32 v110, v136, v187
	v_add_f32_e32 v149, v145, v146
	ds_read2_b64 v[145:148], v108 offset0:99 offset1:100
	v_fma_f32 v110, v135, v188, -v110
	s_waitcnt vmcnt(21) lgkmcnt(1)
	v_mul_f32_e32 v150, v141, v193
	v_add_f32_e32 v109, v109, v110
	v_mul_f32_e32 v110, v138, v189
	s_waitcnt vmcnt(20)
	v_fmac_f32_e32 v150, v142, v194
	v_fma_f32 v110, v137, v190, -v110
	v_add_f32_e32 v149, v149, v150
	s_waitcnt vmcnt(18)
	v_mul_f32_e32 v150, v143, v196
	v_add_f32_e32 v109, v109, v110
	v_mul_f32_e32 v110, v140, v191
	v_fmac_f32_e32 v150, v144, v195
	v_fma_f32 v110, v139, v192, -v110
	v_add_f32_e32 v149, v149, v150
	s_waitcnt vmcnt(15) lgkmcnt(0)
	v_mul_f32_e32 v150, v145, v199
	v_add_f32_e32 v109, v109, v110
	v_mul_f32_e32 v110, v142, v193
	s_waitcnt vmcnt(14)
	v_fmac_f32_e32 v150, v146, v200
	v_fma_f32 v110, v141, v194, -v110
	v_add_f32_e32 v153, v149, v150
	ds_read2_b64 v[149:152], v108 offset0:101 offset1:102
	v_add_f32_e32 v109, v109, v110
	v_mul_f32_e32 v110, v144, v196
	v_fma_f32 v110, v143, v195, -v110
	v_add_f32_e32 v109, v109, v110
	v_mul_f32_e32 v110, v146, v199
	s_waitcnt vmcnt(12)
	v_mul_f32_e32 v154, v147, v202
	v_fma_f32 v110, v145, v200, -v110
	v_fmac_f32_e32 v154, v148, v201
	v_add_f32_e32 v109, v109, v110
	v_mul_f32_e32 v110, v148, v202
	v_add_f32_e32 v157, v153, v154
	ds_read2_b64 v[153:156], v108 offset0:103 offset1:104
	s_waitcnt vmcnt(11) lgkmcnt(1)
	v_mul_f32_e32 v158, v149, v203
	v_fma_f32 v110, v147, v201, -v110
	s_waitcnt vmcnt(10)
	v_fmac_f32_e32 v158, v150, v204
	v_add_f32_e32 v109, v109, v110
	v_mul_f32_e32 v110, v150, v203
	v_add_f32_e32 v157, v157, v158
	s_waitcnt vmcnt(8)
	v_mul_f32_e32 v158, v151, v206
	v_fma_f32 v110, v149, v204, -v110
	v_fmac_f32_e32 v158, v152, v205
	v_add_f32_e32 v109, v109, v110
	v_mul_f32_e32 v110, v152, v206
	v_add_f32_e32 v215, v157, v158
	ds_read2_b64 v[157:160], v108 offset0:105 offset1:106
	v_fma_f32 v110, v151, v205, -v110
	v_add_f32_e32 v109, v109, v110
	s_waitcnt vmcnt(6) lgkmcnt(1)
	v_mul_f32_e32 v110, v154, v208
	v_mul_f32_e32 v216, v153, v208
	v_fma_f32 v110, v153, v207, -v110
	v_fmac_f32_e32 v216, v154, v207
	v_add_f32_e32 v109, v109, v110
	s_waitcnt vmcnt(4)
	v_mul_f32_e32 v110, v156, v210
	v_add_f32_e32 v108, v215, v216
	v_mul_f32_e32 v215, v155, v210
	v_fma_f32 v110, v155, v209, -v110
	v_fmac_f32_e32 v215, v156, v209
	v_add_f32_e32 v109, v109, v110
	s_waitcnt vmcnt(2) lgkmcnt(0)
	v_mul_f32_e32 v110, v158, v212
	v_add_f32_e32 v108, v108, v215
	v_mul_f32_e32 v215, v157, v212
	v_fma_f32 v110, v157, v211, -v110
	v_fmac_f32_e32 v215, v158, v211
	v_add_f32_e32 v109, v109, v110
	s_waitcnt vmcnt(0)
	v_mul_f32_e32 v110, v160, v214
	v_add_f32_e32 v108, v108, v215
	v_mul_f32_e32 v215, v159, v214
	v_fma_f32 v110, v159, v213, -v110
	v_fmac_f32_e32 v215, v160, v213
	v_add_f32_e32 v109, v109, v110
	v_add_f32_e32 v108, v108, v215
	v_sub_f32_e32 v109, v197, v109
	v_sub_f32_e32 v108, v198, v108
	buffer_store_dword v109, off, s[0:3], 0 offset:208
	buffer_store_dword v108, off, s[0:3], 0 offset:212
	s_and_saveexec_b64 s[4:5], vcc
	s_cbranch_execz .LBB116_281
; %bb.280:
	buffer_load_dword v108, off, s[0:3], 0 offset:200
	buffer_load_dword v109, off, s[0:3], 0 offset:204
	v_mov_b32_e32 v110, 0
	buffer_store_dword v110, off, s[0:3], 0 offset:200
	buffer_store_dword v110, off, s[0:3], 0 offset:204
	s_waitcnt vmcnt(2)
	ds_write_b64 v107, v[108:109]
.LBB116_281:
	s_or_b64 exec, exec, s[4:5]
	s_waitcnt lgkmcnt(0)
	; wave barrier
	buffer_load_dword v163, off, s[0:3], 0 offset:212
	buffer_load_dword v164, off, s[0:3], 0 offset:220
	;; [unrolled: 1-line block ×56, first 2 shown]
	v_mov_b32_e32 v108, 0
	ds_read_b128 v[109:112], v108 offset:640
	ds_read_b128 v[113:116], v108 offset:656
	ds_read_b128 v[117:120], v108 offset:672
	ds_read_b128 v[121:124], v108 offset:688
	ds_read_b128 v[125:128], v108 offset:704
	ds_read_b128 v[129:132], v108 offset:720
	v_cmp_lt_u32_e32 vcc, 24, v0
	s_waitcnt vmcnt(55) lgkmcnt(5)
	v_mul_f32_e32 v133, v109, v163
	s_waitcnt vmcnt(54)
	v_mul_f32_e32 v134, v111, v164
	s_waitcnt vmcnt(53) lgkmcnt(4)
	v_mul_f32_e32 v135, v113, v165
	s_waitcnt vmcnt(52)
	v_mul_f32_e32 v136, v115, v166
	;; [unrolled: 4-line block ×4, first 2 shown]
	s_waitcnt vmcnt(47) lgkmcnt(1)
	v_mul_f32_e32 v141, v125, v171
	s_waitcnt vmcnt(46)
	v_fmac_f32_e32 v133, v110, v172
	s_waitcnt vmcnt(45)
	v_fmac_f32_e32 v134, v112, v173
	v_add_f32_e32 v133, 0, v133
	s_waitcnt vmcnt(44)
	v_fmac_f32_e32 v135, v114, v174
	v_add_f32_e32 v133, v133, v134
	;; [unrolled: 3-line block ×3, first 2 shown]
	v_mul_f32_e32 v110, v110, v163
	s_waitcnt vmcnt(42)
	v_fmac_f32_e32 v137, v118, v176
	v_add_f32_e32 v133, v133, v136
	v_fma_f32 v109, v109, v172, -v110
	v_mul_f32_e32 v110, v112, v164
	s_waitcnt vmcnt(41)
	v_fmac_f32_e32 v138, v120, v177
	v_add_f32_e32 v133, v133, v137
	v_add_f32_e32 v109, 0, v109
	v_fma_f32 v110, v111, v173, -v110
	s_waitcnt vmcnt(40)
	v_fmac_f32_e32 v139, v122, v178
	v_add_f32_e32 v133, v133, v138
	v_add_f32_e32 v109, v109, v110
	v_mul_f32_e32 v110, v114, v165
	s_waitcnt vmcnt(39)
	v_fmac_f32_e32 v140, v124, v179
	v_add_f32_e32 v133, v133, v139
	v_fma_f32 v110, v113, v174, -v110
	v_add_f32_e32 v133, v133, v140
	s_waitcnt vmcnt(38)
	v_fmac_f32_e32 v141, v126, v180
	s_waitcnt vmcnt(37)
	v_mul_f32_e32 v134, v127, v181
	v_add_f32_e32 v109, v109, v110
	v_mul_f32_e32 v110, v116, v166
	v_add_f32_e32 v133, v133, v141
	s_waitcnt vmcnt(36)
	v_fmac_f32_e32 v134, v128, v182
	v_fma_f32 v110, v115, v175, -v110
	v_add_f32_e32 v133, v133, v134
	s_waitcnt vmcnt(35) lgkmcnt(0)
	v_mul_f32_e32 v134, v129, v183
	v_add_f32_e32 v109, v109, v110
	v_mul_f32_e32 v110, v118, v167
	s_waitcnt vmcnt(34)
	v_fmac_f32_e32 v134, v130, v184
	v_fma_f32 v110, v117, v176, -v110
	v_add_f32_e32 v137, v133, v134
	ds_read_b128 v[133:136], v108 offset:736
	v_add_f32_e32 v109, v109, v110
	v_mul_f32_e32 v110, v120, v168
	v_fma_f32 v110, v119, v177, -v110
	s_waitcnt vmcnt(33)
	v_mul_f32_e32 v138, v131, v185
	v_add_f32_e32 v109, v109, v110
	v_mul_f32_e32 v110, v122, v169
	s_waitcnt vmcnt(32)
	v_fmac_f32_e32 v138, v132, v186
	v_fma_f32 v110, v121, v178, -v110
	v_add_f32_e32 v141, v137, v138
	ds_read_b128 v[137:140], v108 offset:752
	v_add_f32_e32 v109, v109, v110
	v_mul_f32_e32 v110, v124, v170
	s_waitcnt vmcnt(31) lgkmcnt(1)
	v_mul_f32_e32 v142, v133, v187
	v_fma_f32 v110, v123, v179, -v110
	s_waitcnt vmcnt(30)
	v_fmac_f32_e32 v142, v134, v188
	v_add_f32_e32 v109, v109, v110
	v_mul_f32_e32 v110, v126, v171
	v_add_f32_e32 v141, v141, v142
	s_waitcnt vmcnt(29)
	v_mul_f32_e32 v142, v135, v189
	v_fma_f32 v110, v125, v180, -v110
	s_waitcnt vmcnt(28)
	v_fmac_f32_e32 v142, v136, v190
	v_add_f32_e32 v109, v109, v110
	v_mul_f32_e32 v110, v128, v181
	v_add_f32_e32 v141, v141, v142
	s_waitcnt vmcnt(27) lgkmcnt(0)
	v_mul_f32_e32 v142, v137, v191
	v_fma_f32 v110, v127, v182, -v110
	s_waitcnt vmcnt(26)
	v_fmac_f32_e32 v142, v138, v192
	v_add_f32_e32 v109, v109, v110
	v_mul_f32_e32 v110, v130, v183
	v_add_f32_e32 v145, v141, v142
	ds_read_b128 v[141:144], v108 offset:768
	v_fma_f32 v110, v129, v184, -v110
	v_add_f32_e32 v109, v109, v110
	v_mul_f32_e32 v110, v132, v185
	s_waitcnt vmcnt(24)
	v_mul_f32_e32 v146, v139, v194
	v_fma_f32 v110, v131, v186, -v110
	v_fmac_f32_e32 v146, v140, v193
	v_add_f32_e32 v109, v109, v110
	v_mul_f32_e32 v110, v134, v187
	v_add_f32_e32 v149, v145, v146
	ds_read_b128 v[145:148], v108 offset:784
	v_fma_f32 v110, v133, v188, -v110
	s_waitcnt vmcnt(21) lgkmcnt(1)
	v_mul_f32_e32 v150, v141, v197
	v_add_f32_e32 v109, v109, v110
	v_mul_f32_e32 v110, v136, v189
	s_waitcnt vmcnt(20)
	v_fmac_f32_e32 v150, v142, v198
	v_fma_f32 v110, v135, v190, -v110
	v_add_f32_e32 v149, v149, v150
	s_waitcnt vmcnt(18)
	v_mul_f32_e32 v150, v143, v200
	v_add_f32_e32 v109, v109, v110
	v_mul_f32_e32 v110, v138, v191
	v_fmac_f32_e32 v150, v144, v199
	v_fma_f32 v110, v137, v192, -v110
	v_add_f32_e32 v149, v149, v150
	s_waitcnt vmcnt(16) lgkmcnt(0)
	v_mul_f32_e32 v150, v145, v202
	v_add_f32_e32 v109, v109, v110
	v_mul_f32_e32 v110, v140, v194
	v_fmac_f32_e32 v150, v146, v201
	v_fma_f32 v110, v139, v193, -v110
	v_add_f32_e32 v153, v149, v150
	ds_read_b128 v[149:152], v108 offset:800
	v_add_f32_e32 v109, v109, v110
	v_mul_f32_e32 v110, v142, v197
	v_fma_f32 v110, v141, v198, -v110
	s_waitcnt vmcnt(14)
	v_mul_f32_e32 v154, v147, v204
	v_add_f32_e32 v109, v109, v110
	v_mul_f32_e32 v110, v144, v200
	v_fmac_f32_e32 v154, v148, v203
	v_fma_f32 v110, v143, v199, -v110
	v_add_f32_e32 v157, v153, v154
	ds_read_b128 v[153:156], v108 offset:816
	v_add_f32_e32 v109, v109, v110
	v_mul_f32_e32 v110, v146, v202
	s_waitcnt vmcnt(12) lgkmcnt(1)
	v_mul_f32_e32 v158, v149, v206
	v_fma_f32 v110, v145, v201, -v110
	v_fmac_f32_e32 v158, v150, v205
	v_add_f32_e32 v109, v109, v110
	v_mul_f32_e32 v110, v148, v204
	v_add_f32_e32 v157, v157, v158
	s_waitcnt vmcnt(10)
	v_mul_f32_e32 v158, v151, v208
	v_fma_f32 v110, v147, v203, -v110
	v_fmac_f32_e32 v158, v152, v207
	v_add_f32_e32 v109, v109, v110
	v_mul_f32_e32 v110, v150, v206
	v_add_f32_e32 v157, v157, v158
	s_waitcnt vmcnt(8) lgkmcnt(0)
	v_mul_f32_e32 v158, v153, v210
	v_fma_f32 v110, v149, v205, -v110
	v_fmac_f32_e32 v158, v154, v209
	v_add_f32_e32 v109, v109, v110
	v_mul_f32_e32 v110, v152, v208
	v_add_f32_e32 v161, v157, v158
	ds_read_b128 v[157:160], v108 offset:832
	v_fma_f32 v110, v151, v207, -v110
	v_add_f32_e32 v109, v109, v110
	v_mul_f32_e32 v110, v154, v210
	s_waitcnt vmcnt(6)
	v_mul_f32_e32 v162, v155, v212
	v_fma_f32 v110, v153, v209, -v110
	v_fmac_f32_e32 v162, v156, v211
	v_add_f32_e32 v109, v109, v110
	v_mul_f32_e32 v110, v156, v212
	v_add_f32_e32 v219, v161, v162
	ds_read_b64 v[161:162], v108 offset:848
	v_fma_f32 v110, v155, v211, -v110
	v_add_f32_e32 v109, v109, v110
	s_waitcnt vmcnt(4) lgkmcnt(1)
	v_mul_f32_e32 v110, v158, v214
	v_mul_f32_e32 v220, v157, v214
	v_fma_f32 v110, v157, v213, -v110
	v_fmac_f32_e32 v220, v158, v213
	v_add_f32_e32 v109, v109, v110
	s_waitcnt vmcnt(2)
	v_mul_f32_e32 v110, v160, v216
	v_add_f32_e32 v219, v219, v220
	v_mul_f32_e32 v220, v159, v216
	v_fma_f32 v110, v159, v215, -v110
	v_fmac_f32_e32 v220, v160, v215
	v_add_f32_e32 v109, v109, v110
	s_waitcnt vmcnt(0) lgkmcnt(0)
	v_mul_f32_e32 v110, v162, v218
	v_add_f32_e32 v219, v219, v220
	v_mul_f32_e32 v220, v161, v218
	v_fma_f32 v110, v161, v217, -v110
	v_fmac_f32_e32 v220, v162, v217
	v_add_f32_e32 v109, v109, v110
	v_add_f32_e32 v219, v219, v220
	v_sub_f32_e32 v109, v195, v109
	v_sub_f32_e32 v110, v196, v219
	buffer_store_dword v109, off, s[0:3], 0 offset:200
	buffer_store_dword v110, off, s[0:3], 0 offset:204
	s_and_saveexec_b64 s[4:5], vcc
	s_cbranch_execz .LBB116_283
; %bb.282:
	buffer_load_dword v109, off, s[0:3], 0 offset:192
	buffer_load_dword v110, off, s[0:3], 0 offset:196
	s_waitcnt vmcnt(0)
	ds_write_b64 v107, v[109:110]
	buffer_store_dword v108, off, s[0:3], 0 offset:192
	buffer_store_dword v108, off, s[0:3], 0 offset:196
.LBB116_283:
	s_or_b64 exec, exec, s[4:5]
	s_waitcnt lgkmcnt(0)
	; wave barrier
	buffer_load_dword v165, off, s[0:3], 0 offset:204
	buffer_load_dword v166, off, s[0:3], 0 offset:212
	;; [unrolled: 1-line block ×34, first 2 shown]
	ds_read2_b64 v[109:112], v108 offset0:79 offset1:80
	ds_read2_b64 v[113:116], v108 offset0:81 offset1:82
	buffer_load_dword v199, off, s[0:3], 0 offset:332
	buffer_load_dword v200, off, s[0:3], 0 offset:328
	;; [unrolled: 1-line block ×6, first 2 shown]
	ds_read2_b64 v[117:120], v108 offset0:83 offset1:84
	ds_read2_b64 v[121:124], v108 offset0:85 offset1:86
	;; [unrolled: 1-line block ×4, first 2 shown]
	buffer_load_dword v205, off, s[0:3], 0 offset:356
	buffer_load_dword v206, off, s[0:3], 0 offset:352
	;; [unrolled: 1-line block ×18, first 2 shown]
	v_cmp_lt_u32_e32 vcc, 23, v0
	s_waitcnt vmcnt(57) lgkmcnt(5)
	v_mul_f32_e32 v133, v109, v165
	s_waitcnt vmcnt(56)
	v_mul_f32_e32 v134, v111, v166
	s_waitcnt vmcnt(55) lgkmcnt(4)
	v_mul_f32_e32 v135, v113, v167
	s_waitcnt vmcnt(54)
	v_mul_f32_e32 v136, v115, v168
	;; [unrolled: 4-line block ×4, first 2 shown]
	s_waitcnt vmcnt(49)
	v_fmac_f32_e32 v133, v110, v173
	s_waitcnt vmcnt(48)
	v_fmac_f32_e32 v134, v112, v174
	v_add_f32_e32 v133, 0, v133
	s_waitcnt vmcnt(47)
	v_fmac_f32_e32 v135, v114, v175
	v_add_f32_e32 v133, v133, v134
	;; [unrolled: 3-line block ×4, first 2 shown]
	v_mul_f32_e32 v110, v110, v165
	s_waitcnt vmcnt(44)
	v_fmac_f32_e32 v138, v120, v178
	v_add_f32_e32 v133, v133, v137
	v_fma_f32 v109, v109, v173, -v110
	v_mul_f32_e32 v110, v112, v166
	s_waitcnt vmcnt(43)
	v_fmac_f32_e32 v139, v122, v179
	v_add_f32_e32 v133, v133, v138
	v_add_f32_e32 v109, 0, v109
	v_fma_f32 v110, v111, v174, -v110
	s_waitcnt vmcnt(42)
	v_fmac_f32_e32 v140, v124, v180
	v_add_f32_e32 v133, v133, v139
	s_waitcnt vmcnt(41) lgkmcnt(1)
	v_mul_f32_e32 v134, v125, v181
	v_add_f32_e32 v109, v109, v110
	v_mul_f32_e32 v110, v114, v167
	v_add_f32_e32 v133, v133, v140
	s_waitcnt vmcnt(40)
	v_fmac_f32_e32 v134, v126, v182
	v_fma_f32 v110, v113, v175, -v110
	v_add_f32_e32 v133, v133, v134
	s_waitcnt vmcnt(39)
	v_mul_f32_e32 v134, v127, v183
	v_add_f32_e32 v109, v109, v110
	v_mul_f32_e32 v110, v116, v168
	s_waitcnt vmcnt(38)
	v_fmac_f32_e32 v134, v128, v184
	v_fma_f32 v110, v115, v176, -v110
	v_add_f32_e32 v133, v133, v134
	s_waitcnt vmcnt(37) lgkmcnt(0)
	v_mul_f32_e32 v134, v129, v185
	v_add_f32_e32 v109, v109, v110
	v_mul_f32_e32 v110, v118, v169
	s_waitcnt vmcnt(36)
	v_fmac_f32_e32 v134, v130, v186
	v_fma_f32 v110, v117, v177, -v110
	v_add_f32_e32 v137, v133, v134
	ds_read2_b64 v[133:136], v108 offset0:91 offset1:92
	v_add_f32_e32 v109, v109, v110
	v_mul_f32_e32 v110, v120, v170
	v_fma_f32 v110, v119, v178, -v110
	s_waitcnt vmcnt(35)
	v_mul_f32_e32 v138, v131, v187
	v_add_f32_e32 v109, v109, v110
	v_mul_f32_e32 v110, v122, v171
	s_waitcnt vmcnt(34)
	v_fmac_f32_e32 v138, v132, v188
	v_fma_f32 v110, v121, v179, -v110
	v_add_f32_e32 v141, v137, v138
	ds_read2_b64 v[137:140], v108 offset0:93 offset1:94
	v_add_f32_e32 v109, v109, v110
	v_mul_f32_e32 v110, v124, v172
	s_waitcnt vmcnt(33) lgkmcnt(1)
	v_mul_f32_e32 v142, v133, v189
	v_fma_f32 v110, v123, v180, -v110
	s_waitcnt vmcnt(32)
	v_fmac_f32_e32 v142, v134, v190
	v_add_f32_e32 v109, v109, v110
	v_mul_f32_e32 v110, v126, v181
	v_add_f32_e32 v141, v141, v142
	s_waitcnt vmcnt(31)
	v_mul_f32_e32 v142, v135, v191
	v_fma_f32 v110, v125, v182, -v110
	s_waitcnt vmcnt(30)
	v_fmac_f32_e32 v142, v136, v192
	v_add_f32_e32 v109, v109, v110
	v_mul_f32_e32 v110, v128, v183
	v_add_f32_e32 v141, v141, v142
	s_waitcnt vmcnt(29) lgkmcnt(0)
	v_mul_f32_e32 v142, v137, v193
	v_fma_f32 v110, v127, v184, -v110
	s_waitcnt vmcnt(28)
	v_fmac_f32_e32 v142, v138, v194
	v_add_f32_e32 v109, v109, v110
	v_mul_f32_e32 v110, v130, v185
	v_add_f32_e32 v145, v141, v142
	ds_read2_b64 v[141:144], v108 offset0:95 offset1:96
	v_fma_f32 v110, v129, v186, -v110
	v_add_f32_e32 v109, v109, v110
	v_mul_f32_e32 v110, v132, v187
	s_waitcnt vmcnt(25)
	v_mul_f32_e32 v146, v139, v197
	v_fma_f32 v110, v131, v188, -v110
	s_waitcnt vmcnt(24)
	v_fmac_f32_e32 v146, v140, v198
	v_add_f32_e32 v109, v109, v110
	v_mul_f32_e32 v110, v134, v189
	v_add_f32_e32 v149, v145, v146
	ds_read2_b64 v[145:148], v108 offset0:97 offset1:98
	v_fma_f32 v110, v133, v190, -v110
	s_waitcnt vmcnt(23) lgkmcnt(1)
	v_mul_f32_e32 v150, v141, v199
	v_add_f32_e32 v109, v109, v110
	v_mul_f32_e32 v110, v136, v191
	s_waitcnt vmcnt(22)
	v_fmac_f32_e32 v150, v142, v200
	v_fma_f32 v110, v135, v192, -v110
	v_add_f32_e32 v149, v149, v150
	s_waitcnt vmcnt(20)
	v_mul_f32_e32 v150, v143, v202
	v_add_f32_e32 v109, v109, v110
	v_mul_f32_e32 v110, v138, v193
	v_fmac_f32_e32 v150, v144, v201
	v_fma_f32 v110, v137, v194, -v110
	v_add_f32_e32 v149, v149, v150
	s_waitcnt vmcnt(18) lgkmcnt(0)
	v_mul_f32_e32 v150, v145, v204
	v_add_f32_e32 v109, v109, v110
	v_mul_f32_e32 v110, v140, v197
	v_fmac_f32_e32 v150, v146, v203
	v_fma_f32 v110, v139, v198, -v110
	v_add_f32_e32 v153, v149, v150
	ds_read2_b64 v[149:152], v108 offset0:99 offset1:100
	v_add_f32_e32 v109, v109, v110
	v_mul_f32_e32 v110, v142, v199
	v_fma_f32 v110, v141, v200, -v110
	s_waitcnt vmcnt(17)
	v_mul_f32_e32 v154, v147, v205
	v_add_f32_e32 v109, v109, v110
	v_mul_f32_e32 v110, v144, v202
	s_waitcnt vmcnt(16)
	v_fmac_f32_e32 v154, v148, v206
	v_fma_f32 v110, v143, v201, -v110
	v_add_f32_e32 v157, v153, v154
	ds_read2_b64 v[153:156], v108 offset0:101 offset1:102
	v_add_f32_e32 v109, v109, v110
	v_mul_f32_e32 v110, v146, v204
	s_waitcnt vmcnt(14) lgkmcnt(1)
	v_mul_f32_e32 v158, v149, v208
	v_fma_f32 v110, v145, v203, -v110
	v_fmac_f32_e32 v158, v150, v207
	v_add_f32_e32 v109, v109, v110
	v_mul_f32_e32 v110, v148, v205
	v_add_f32_e32 v157, v157, v158
	s_waitcnt vmcnt(12)
	v_mul_f32_e32 v158, v151, v210
	v_fma_f32 v110, v147, v206, -v110
	v_fmac_f32_e32 v158, v152, v209
	v_add_f32_e32 v109, v109, v110
	v_mul_f32_e32 v110, v150, v208
	v_add_f32_e32 v157, v157, v158
	s_waitcnt vmcnt(10) lgkmcnt(0)
	v_mul_f32_e32 v158, v153, v212
	v_fma_f32 v110, v149, v207, -v110
	v_fmac_f32_e32 v158, v154, v211
	v_add_f32_e32 v109, v109, v110
	v_mul_f32_e32 v110, v152, v210
	v_add_f32_e32 v161, v157, v158
	ds_read2_b64 v[157:160], v108 offset0:103 offset1:104
	v_fma_f32 v110, v151, v209, -v110
	v_add_f32_e32 v109, v109, v110
	v_mul_f32_e32 v110, v154, v212
	s_waitcnt vmcnt(8)
	v_mul_f32_e32 v162, v155, v214
	v_fma_f32 v110, v153, v211, -v110
	v_fmac_f32_e32 v162, v156, v213
	v_add_f32_e32 v109, v109, v110
	v_mul_f32_e32 v110, v156, v214
	v_add_f32_e32 v223, v161, v162
	ds_read2_b64 v[161:164], v108 offset0:105 offset1:106
	v_fma_f32 v110, v155, v213, -v110
	v_add_f32_e32 v109, v109, v110
	s_waitcnt vmcnt(6) lgkmcnt(1)
	v_mul_f32_e32 v110, v158, v216
	v_mul_f32_e32 v108, v157, v216
	v_fma_f32 v110, v157, v215, -v110
	v_fmac_f32_e32 v108, v158, v215
	v_add_f32_e32 v109, v109, v110
	s_waitcnt vmcnt(4)
	v_mul_f32_e32 v110, v160, v218
	v_add_f32_e32 v108, v223, v108
	v_mul_f32_e32 v223, v159, v218
	v_fma_f32 v110, v159, v217, -v110
	v_fmac_f32_e32 v223, v160, v217
	v_add_f32_e32 v109, v109, v110
	s_waitcnt vmcnt(2) lgkmcnt(0)
	v_mul_f32_e32 v110, v162, v220
	v_add_f32_e32 v108, v108, v223
	v_mul_f32_e32 v223, v161, v220
	v_fma_f32 v110, v161, v219, -v110
	v_fmac_f32_e32 v223, v162, v219
	v_add_f32_e32 v109, v109, v110
	s_waitcnt vmcnt(0)
	v_mul_f32_e32 v110, v164, v222
	v_add_f32_e32 v108, v108, v223
	v_mul_f32_e32 v223, v163, v222
	v_fma_f32 v110, v163, v221, -v110
	v_fmac_f32_e32 v223, v164, v221
	v_add_f32_e32 v109, v109, v110
	v_add_f32_e32 v108, v108, v223
	v_sub_f32_e32 v109, v195, v109
	v_sub_f32_e32 v108, v196, v108
	buffer_store_dword v109, off, s[0:3], 0 offset:192
	buffer_store_dword v108, off, s[0:3], 0 offset:196
	s_and_saveexec_b64 s[4:5], vcc
	s_cbranch_execz .LBB116_285
; %bb.284:
	buffer_load_dword v108, off, s[0:3], 0 offset:184
	buffer_load_dword v109, off, s[0:3], 0 offset:188
	v_mov_b32_e32 v110, 0
	buffer_store_dword v110, off, s[0:3], 0 offset:184
	buffer_store_dword v110, off, s[0:3], 0 offset:188
	s_waitcnt vmcnt(2)
	ds_write_b64 v107, v[108:109]
.LBB116_285:
	s_or_b64 exec, exec, s[4:5]
	s_waitcnt lgkmcnt(0)
	; wave barrier
	buffer_load_dword v167, off, s[0:3], 0 offset:196
	buffer_load_dword v168, off, s[0:3], 0 offset:204
	;; [unrolled: 1-line block ×60, first 2 shown]
	v_mov_b32_e32 v108, 0
	ds_read_b128 v[109:112], v108 offset:624
	ds_read_b128 v[113:116], v108 offset:640
	;; [unrolled: 1-line block ×5, first 2 shown]
	v_cmp_lt_u32_e32 vcc, 22, v0
	s_waitcnt vmcnt(59) lgkmcnt(4)
	v_mul_f32_e32 v129, v109, v167
	s_waitcnt vmcnt(58)
	v_mul_f32_e32 v130, v111, v168
	s_waitcnt vmcnt(57) lgkmcnt(3)
	v_mul_f32_e32 v131, v113, v169
	s_waitcnt vmcnt(56)
	v_mul_f32_e32 v132, v115, v170
	s_waitcnt vmcnt(55) lgkmcnt(2)
	v_mul_f32_e32 v133, v117, v171
	s_waitcnt vmcnt(54)
	v_mul_f32_e32 v134, v119, v172
	s_waitcnt vmcnt(53) lgkmcnt(1)
	v_mul_f32_e32 v135, v121, v173
	s_waitcnt vmcnt(52)
	v_fmac_f32_e32 v129, v110, v174
	s_waitcnt vmcnt(51)
	v_fmac_f32_e32 v130, v112, v175
	v_add_f32_e32 v129, 0, v129
	s_waitcnt vmcnt(50)
	v_fmac_f32_e32 v131, v114, v176
	v_add_f32_e32 v129, v129, v130
	;; [unrolled: 3-line block ×6, first 2 shown]
	s_waitcnt vmcnt(45)
	v_mul_f32_e32 v130, v123, v181
	v_add_f32_e32 v129, v129, v135
	s_waitcnt vmcnt(44)
	v_fmac_f32_e32 v130, v124, v182
	v_mul_f32_e32 v110, v110, v167
	v_add_f32_e32 v133, v129, v130
	ds_read_b128 v[129:132], v108 offset:704
	v_fma_f32 v109, v109, v174, -v110
	v_mul_f32_e32 v110, v112, v168
	s_waitcnt vmcnt(43) lgkmcnt(1)
	v_mul_f32_e32 v134, v125, v183
	v_add_f32_e32 v109, 0, v109
	v_fma_f32 v110, v111, v175, -v110
	s_waitcnt vmcnt(42)
	v_fmac_f32_e32 v134, v126, v184
	v_add_f32_e32 v109, v109, v110
	v_mul_f32_e32 v110, v114, v169
	v_add_f32_e32 v133, v133, v134
	s_waitcnt vmcnt(41)
	v_mul_f32_e32 v134, v127, v185
	v_fma_f32 v110, v113, v176, -v110
	s_waitcnt vmcnt(40)
	v_fmac_f32_e32 v134, v128, v186
	v_add_f32_e32 v109, v109, v110
	v_mul_f32_e32 v110, v116, v170
	v_add_f32_e32 v133, v133, v134
	s_waitcnt vmcnt(39) lgkmcnt(0)
	v_mul_f32_e32 v134, v129, v187
	v_fma_f32 v110, v115, v177, -v110
	s_waitcnt vmcnt(38)
	v_fmac_f32_e32 v134, v130, v188
	v_add_f32_e32 v109, v109, v110
	v_mul_f32_e32 v110, v118, v171
	v_add_f32_e32 v137, v133, v134
	ds_read_b128 v[133:136], v108 offset:720
	v_fma_f32 v110, v117, v178, -v110
	v_add_f32_e32 v109, v109, v110
	v_mul_f32_e32 v110, v120, v172
	s_waitcnt vmcnt(37)
	v_mul_f32_e32 v138, v131, v189
	v_fma_f32 v110, v119, v179, -v110
	s_waitcnt vmcnt(36)
	v_fmac_f32_e32 v138, v132, v190
	v_add_f32_e32 v109, v109, v110
	v_mul_f32_e32 v110, v122, v173
	v_add_f32_e32 v141, v137, v138
	ds_read_b128 v[137:140], v108 offset:736
	v_fma_f32 v110, v121, v180, -v110
	s_waitcnt vmcnt(34) lgkmcnt(1)
	v_mul_f32_e32 v142, v133, v192
	v_add_f32_e32 v109, v109, v110
	v_mul_f32_e32 v110, v124, v181
	v_fmac_f32_e32 v142, v134, v191
	v_fma_f32 v110, v123, v182, -v110
	v_add_f32_e32 v141, v141, v142
	s_waitcnt vmcnt(31)
	v_mul_f32_e32 v142, v135, v195
	v_add_f32_e32 v109, v109, v110
	v_mul_f32_e32 v110, v126, v183
	s_waitcnt vmcnt(30)
	v_fmac_f32_e32 v142, v136, v196
	v_fma_f32 v110, v125, v184, -v110
	v_add_f32_e32 v141, v141, v142
	s_waitcnt vmcnt(28) lgkmcnt(0)
	v_mul_f32_e32 v142, v137, v198
	v_add_f32_e32 v109, v109, v110
	v_mul_f32_e32 v110, v128, v185
	v_fmac_f32_e32 v142, v138, v197
	v_fma_f32 v110, v127, v186, -v110
	v_add_f32_e32 v145, v141, v142
	ds_read_b128 v[141:144], v108 offset:752
	v_add_f32_e32 v109, v109, v110
	v_mul_f32_e32 v110, v130, v187
	v_fma_f32 v110, v129, v188, -v110
	s_waitcnt vmcnt(26)
	v_mul_f32_e32 v146, v139, v200
	v_add_f32_e32 v109, v109, v110
	v_mul_f32_e32 v110, v132, v189
	v_fmac_f32_e32 v146, v140, v199
	v_fma_f32 v110, v131, v190, -v110
	v_add_f32_e32 v149, v145, v146
	ds_read_b128 v[145:148], v108 offset:768
	v_add_f32_e32 v109, v109, v110
	v_mul_f32_e32 v110, v134, v192
	s_waitcnt vmcnt(24) lgkmcnt(1)
	v_mul_f32_e32 v150, v141, v202
	v_fma_f32 v110, v133, v191, -v110
	v_fmac_f32_e32 v150, v142, v201
	v_add_f32_e32 v109, v109, v110
	v_mul_f32_e32 v110, v136, v195
	v_add_f32_e32 v149, v149, v150
	s_waitcnt vmcnt(22)
	v_mul_f32_e32 v150, v143, v204
	v_fma_f32 v110, v135, v196, -v110
	v_fmac_f32_e32 v150, v144, v203
	v_add_f32_e32 v109, v109, v110
	v_mul_f32_e32 v110, v138, v198
	v_add_f32_e32 v149, v149, v150
	s_waitcnt vmcnt(20) lgkmcnt(0)
	v_mul_f32_e32 v150, v145, v206
	v_fma_f32 v110, v137, v197, -v110
	v_fmac_f32_e32 v150, v146, v205
	v_add_f32_e32 v109, v109, v110
	v_mul_f32_e32 v110, v140, v200
	v_add_f32_e32 v153, v149, v150
	ds_read_b128 v[149:152], v108 offset:784
	v_fma_f32 v110, v139, v199, -v110
	v_add_f32_e32 v109, v109, v110
	v_mul_f32_e32 v110, v142, v202
	s_waitcnt vmcnt(18)
	v_mul_f32_e32 v154, v147, v208
	v_fma_f32 v110, v141, v201, -v110
	v_fmac_f32_e32 v154, v148, v207
	v_add_f32_e32 v109, v109, v110
	v_mul_f32_e32 v110, v144, v204
	v_add_f32_e32 v157, v153, v154
	ds_read_b128 v[153:156], v108 offset:800
	v_fma_f32 v110, v143, v203, -v110
	s_waitcnt vmcnt(16) lgkmcnt(1)
	v_mul_f32_e32 v158, v149, v210
	v_add_f32_e32 v109, v109, v110
	v_mul_f32_e32 v110, v146, v206
	v_fmac_f32_e32 v158, v150, v209
	v_fma_f32 v110, v145, v205, -v110
	v_add_f32_e32 v157, v157, v158
	s_waitcnt vmcnt(14)
	v_mul_f32_e32 v158, v151, v212
	v_add_f32_e32 v109, v109, v110
	v_mul_f32_e32 v110, v148, v208
	v_fmac_f32_e32 v158, v152, v211
	v_fma_f32 v110, v147, v207, -v110
	v_add_f32_e32 v157, v157, v158
	s_waitcnt vmcnt(12) lgkmcnt(0)
	v_mul_f32_e32 v158, v153, v214
	v_add_f32_e32 v109, v109, v110
	v_mul_f32_e32 v110, v150, v210
	v_fmac_f32_e32 v158, v154, v213
	v_fma_f32 v110, v149, v209, -v110
	v_add_f32_e32 v161, v157, v158
	ds_read_b128 v[157:160], v108 offset:816
	v_add_f32_e32 v109, v109, v110
	v_mul_f32_e32 v110, v152, v212
	v_fma_f32 v110, v151, v211, -v110
	v_add_f32_e32 v109, v109, v110
	v_mul_f32_e32 v110, v154, v214
	s_waitcnt vmcnt(10)
	v_mul_f32_e32 v162, v155, v216
	v_fma_f32 v110, v153, v213, -v110
	v_fmac_f32_e32 v162, v156, v215
	v_add_f32_e32 v109, v109, v110
	v_mul_f32_e32 v110, v156, v216
	v_add_f32_e32 v165, v161, v162
	ds_read_b128 v[161:164], v108 offset:832
	s_waitcnt vmcnt(8) lgkmcnt(1)
	v_mul_f32_e32 v166, v157, v218
	v_fma_f32 v110, v155, v215, -v110
	v_fmac_f32_e32 v166, v158, v217
	v_add_f32_e32 v109, v109, v110
	v_mul_f32_e32 v110, v158, v218
	v_add_f32_e32 v165, v165, v166
	s_waitcnt vmcnt(6)
	v_mul_f32_e32 v166, v159, v220
	v_fma_f32 v110, v157, v217, -v110
	v_fmac_f32_e32 v166, v160, v219
	v_add_f32_e32 v109, v109, v110
	v_mul_f32_e32 v110, v160, v220
	v_add_f32_e32 v227, v165, v166
	ds_read_b64 v[165:166], v108 offset:848
	v_fma_f32 v110, v159, v219, -v110
	v_add_f32_e32 v109, v109, v110
	s_waitcnt vmcnt(4) lgkmcnt(1)
	v_mul_f32_e32 v110, v162, v222
	v_mul_f32_e32 v228, v161, v222
	v_fma_f32 v110, v161, v221, -v110
	v_fmac_f32_e32 v228, v162, v221
	v_add_f32_e32 v109, v109, v110
	s_waitcnt vmcnt(2)
	v_mul_f32_e32 v110, v164, v224
	v_add_f32_e32 v227, v227, v228
	v_mul_f32_e32 v228, v163, v224
	v_fma_f32 v110, v163, v223, -v110
	v_fmac_f32_e32 v228, v164, v223
	v_add_f32_e32 v109, v109, v110
	s_waitcnt vmcnt(0) lgkmcnt(0)
	v_mul_f32_e32 v110, v166, v226
	v_add_f32_e32 v227, v227, v228
	v_mul_f32_e32 v228, v165, v226
	v_fma_f32 v110, v165, v225, -v110
	v_fmac_f32_e32 v228, v166, v225
	v_add_f32_e32 v109, v109, v110
	v_add_f32_e32 v227, v227, v228
	v_sub_f32_e32 v109, v193, v109
	v_sub_f32_e32 v110, v194, v227
	buffer_store_dword v109, off, s[0:3], 0 offset:184
	buffer_store_dword v110, off, s[0:3], 0 offset:188
	s_and_saveexec_b64 s[4:5], vcc
	s_cbranch_execz .LBB116_287
; %bb.286:
	buffer_load_dword v109, off, s[0:3], 0 offset:176
	buffer_load_dword v110, off, s[0:3], 0 offset:180
	s_waitcnt vmcnt(0)
	ds_write_b64 v107, v[109:110]
	buffer_store_dword v108, off, s[0:3], 0 offset:176
	buffer_store_dword v108, off, s[0:3], 0 offset:180
.LBB116_287:
	s_or_b64 exec, exec, s[4:5]
	s_waitcnt lgkmcnt(0)
	; wave barrier
	buffer_load_dword v169, off, s[0:3], 0 offset:188
	buffer_load_dword v170, off, s[0:3], 0 offset:196
	;; [unrolled: 1-line block ×32, first 2 shown]
	ds_read2_b64 v[109:112], v108 offset0:77 offset1:78
	ds_read2_b64 v[113:116], v108 offset0:79 offset1:80
	;; [unrolled: 1-line block ×4, first 2 shown]
	buffer_load_dword v201, off, s[0:3], 0 offset:308
	buffer_load_dword v202, off, s[0:3], 0 offset:304
	;; [unrolled: 1-line block ×30, first 2 shown]
	v_cmp_lt_u32_e32 vcc, 21, v0
	s_waitcnt vmcnt(61) lgkmcnt(3)
	v_mul_f32_e32 v125, v109, v169
	s_waitcnt vmcnt(60)
	v_mul_f32_e32 v126, v111, v170
	s_waitcnt vmcnt(59) lgkmcnt(2)
	v_mul_f32_e32 v127, v113, v171
	s_waitcnt vmcnt(58)
	v_mul_f32_e32 v128, v115, v172
	;; [unrolled: 4-line block ×3, first 2 shown]
	s_waitcnt vmcnt(55) lgkmcnt(0)
	v_mul_f32_e32 v131, v121, v175
	s_waitcnt vmcnt(54)
	v_fmac_f32_e32 v125, v110, v176
	s_waitcnt vmcnt(53)
	v_fmac_f32_e32 v126, v112, v177
	v_add_f32_e32 v125, 0, v125
	s_waitcnt vmcnt(52)
	v_fmac_f32_e32 v127, v114, v178
	v_add_f32_e32 v125, v125, v126
	;; [unrolled: 3-line block ×6, first 2 shown]
	v_add_f32_e32 v129, v125, v131
	ds_read2_b64 v[125:128], v108 offset0:85 offset1:86
	s_waitcnt vmcnt(47)
	v_mul_f32_e32 v130, v123, v183
	s_waitcnt vmcnt(46)
	v_fmac_f32_e32 v130, v124, v184
	v_mul_f32_e32 v110, v110, v169
	v_add_f32_e32 v133, v129, v130
	ds_read2_b64 v[129:132], v108 offset0:87 offset1:88
	v_fma_f32 v109, v109, v176, -v110
	v_mul_f32_e32 v110, v112, v170
	s_waitcnt vmcnt(45) lgkmcnt(1)
	v_mul_f32_e32 v134, v125, v185
	v_add_f32_e32 v109, 0, v109
	v_fma_f32 v110, v111, v177, -v110
	s_waitcnt vmcnt(44)
	v_fmac_f32_e32 v134, v126, v186
	v_add_f32_e32 v109, v109, v110
	v_mul_f32_e32 v110, v114, v171
	v_add_f32_e32 v133, v133, v134
	s_waitcnt vmcnt(43)
	v_mul_f32_e32 v134, v127, v187
	v_fma_f32 v110, v113, v178, -v110
	s_waitcnt vmcnt(42)
	v_fmac_f32_e32 v134, v128, v188
	v_add_f32_e32 v109, v109, v110
	v_mul_f32_e32 v110, v116, v172
	v_add_f32_e32 v133, v133, v134
	s_waitcnt vmcnt(41) lgkmcnt(0)
	v_mul_f32_e32 v134, v129, v189
	v_fma_f32 v110, v115, v179, -v110
	s_waitcnt vmcnt(40)
	v_fmac_f32_e32 v134, v130, v190
	v_add_f32_e32 v109, v109, v110
	v_mul_f32_e32 v110, v118, v173
	v_add_f32_e32 v137, v133, v134
	ds_read2_b64 v[133:136], v108 offset0:89 offset1:90
	v_fma_f32 v110, v117, v180, -v110
	v_add_f32_e32 v109, v109, v110
	v_mul_f32_e32 v110, v120, v174
	s_waitcnt vmcnt(39)
	v_mul_f32_e32 v138, v131, v191
	v_fma_f32 v110, v119, v181, -v110
	s_waitcnt vmcnt(38)
	v_fmac_f32_e32 v138, v132, v192
	v_add_f32_e32 v109, v109, v110
	v_mul_f32_e32 v110, v122, v175
	v_add_f32_e32 v141, v137, v138
	ds_read2_b64 v[137:140], v108 offset0:91 offset1:92
	v_fma_f32 v110, v121, v182, -v110
	s_waitcnt vmcnt(35) lgkmcnt(1)
	v_mul_f32_e32 v142, v133, v195
	v_add_f32_e32 v109, v109, v110
	v_mul_f32_e32 v110, v124, v183
	s_waitcnt vmcnt(34)
	v_fmac_f32_e32 v142, v134, v196
	v_fma_f32 v110, v123, v184, -v110
	v_add_f32_e32 v141, v141, v142
	s_waitcnt vmcnt(32)
	v_mul_f32_e32 v142, v135, v198
	v_add_f32_e32 v109, v109, v110
	v_mul_f32_e32 v110, v126, v185
	v_fmac_f32_e32 v142, v136, v197
	v_fma_f32 v110, v125, v186, -v110
	v_add_f32_e32 v141, v141, v142
	s_waitcnt vmcnt(30) lgkmcnt(0)
	v_mul_f32_e32 v142, v137, v200
	v_add_f32_e32 v109, v109, v110
	v_mul_f32_e32 v110, v128, v187
	v_fmac_f32_e32 v142, v138, v199
	v_fma_f32 v110, v127, v188, -v110
	v_add_f32_e32 v145, v141, v142
	ds_read2_b64 v[141:144], v108 offset0:93 offset1:94
	v_add_f32_e32 v109, v109, v110
	v_mul_f32_e32 v110, v130, v189
	v_fma_f32 v110, v129, v190, -v110
	s_waitcnt vmcnt(29)
	v_mul_f32_e32 v146, v139, v201
	v_add_f32_e32 v109, v109, v110
	v_mul_f32_e32 v110, v132, v191
	s_waitcnt vmcnt(28)
	v_fmac_f32_e32 v146, v140, v202
	v_fma_f32 v110, v131, v192, -v110
	v_add_f32_e32 v149, v145, v146
	ds_read2_b64 v[145:148], v108 offset0:95 offset1:96
	v_add_f32_e32 v109, v109, v110
	v_mul_f32_e32 v110, v134, v195
	s_waitcnt vmcnt(26) lgkmcnt(1)
	v_mul_f32_e32 v150, v141, v204
	v_fma_f32 v110, v133, v196, -v110
	v_fmac_f32_e32 v150, v142, v203
	v_add_f32_e32 v109, v109, v110
	v_mul_f32_e32 v110, v136, v198
	v_add_f32_e32 v149, v149, v150
	s_waitcnt vmcnt(24)
	v_mul_f32_e32 v150, v143, v206
	v_fma_f32 v110, v135, v197, -v110
	v_fmac_f32_e32 v150, v144, v205
	v_add_f32_e32 v109, v109, v110
	v_mul_f32_e32 v110, v138, v200
	v_add_f32_e32 v149, v149, v150
	s_waitcnt vmcnt(22) lgkmcnt(0)
	v_mul_f32_e32 v150, v145, v208
	v_fma_f32 v110, v137, v199, -v110
	v_fmac_f32_e32 v150, v146, v207
	v_add_f32_e32 v109, v109, v110
	v_mul_f32_e32 v110, v140, v201
	v_add_f32_e32 v153, v149, v150
	ds_read2_b64 v[149:152], v108 offset0:97 offset1:98
	v_fma_f32 v110, v139, v202, -v110
	v_add_f32_e32 v109, v109, v110
	v_mul_f32_e32 v110, v142, v204
	s_waitcnt vmcnt(20)
	v_mul_f32_e32 v154, v147, v210
	v_fma_f32 v110, v141, v203, -v110
	v_fmac_f32_e32 v154, v148, v209
	v_add_f32_e32 v109, v109, v110
	v_mul_f32_e32 v110, v144, v206
	v_add_f32_e32 v157, v153, v154
	ds_read2_b64 v[153:156], v108 offset0:99 offset1:100
	v_fma_f32 v110, v143, v205, -v110
	s_waitcnt vmcnt(18) lgkmcnt(1)
	v_mul_f32_e32 v158, v149, v212
	v_add_f32_e32 v109, v109, v110
	v_mul_f32_e32 v110, v146, v208
	v_fmac_f32_e32 v158, v150, v211
	v_fma_f32 v110, v145, v207, -v110
	v_add_f32_e32 v157, v157, v158
	s_waitcnt vmcnt(16)
	v_mul_f32_e32 v158, v151, v214
	v_add_f32_e32 v109, v109, v110
	v_mul_f32_e32 v110, v148, v210
	v_fmac_f32_e32 v158, v152, v213
	v_fma_f32 v110, v147, v209, -v110
	v_add_f32_e32 v157, v157, v158
	s_waitcnt vmcnt(14) lgkmcnt(0)
	v_mul_f32_e32 v158, v153, v216
	v_add_f32_e32 v109, v109, v110
	v_mul_f32_e32 v110, v150, v212
	v_fmac_f32_e32 v158, v154, v215
	v_fma_f32 v110, v149, v211, -v110
	v_add_f32_e32 v161, v157, v158
	ds_read2_b64 v[157:160], v108 offset0:101 offset1:102
	v_add_f32_e32 v109, v109, v110
	v_mul_f32_e32 v110, v152, v214
	v_fma_f32 v110, v151, v213, -v110
	v_add_f32_e32 v109, v109, v110
	v_mul_f32_e32 v110, v154, v216
	s_waitcnt vmcnt(12)
	v_mul_f32_e32 v162, v155, v218
	v_fma_f32 v110, v153, v215, -v110
	v_fmac_f32_e32 v162, v156, v217
	v_add_f32_e32 v109, v109, v110
	v_mul_f32_e32 v110, v156, v218
	v_add_f32_e32 v165, v161, v162
	ds_read2_b64 v[161:164], v108 offset0:103 offset1:104
	s_waitcnt vmcnt(10) lgkmcnt(1)
	v_mul_f32_e32 v166, v157, v220
	v_fma_f32 v110, v155, v217, -v110
	v_fmac_f32_e32 v166, v158, v219
	v_add_f32_e32 v109, v109, v110
	v_mul_f32_e32 v110, v158, v220
	v_add_f32_e32 v165, v165, v166
	s_waitcnt vmcnt(8)
	v_mul_f32_e32 v166, v159, v222
	v_fma_f32 v110, v157, v219, -v110
	v_fmac_f32_e32 v166, v160, v221
	v_add_f32_e32 v109, v109, v110
	v_mul_f32_e32 v110, v160, v222
	v_add_f32_e32 v231, v165, v166
	ds_read2_b64 v[165:168], v108 offset0:105 offset1:106
	v_fma_f32 v110, v159, v221, -v110
	v_add_f32_e32 v109, v109, v110
	s_waitcnt vmcnt(6) lgkmcnt(1)
	v_mul_f32_e32 v110, v162, v224
	v_mul_f32_e32 v232, v161, v224
	v_fma_f32 v110, v161, v223, -v110
	v_fmac_f32_e32 v232, v162, v223
	v_add_f32_e32 v109, v109, v110
	s_waitcnt vmcnt(4)
	v_mul_f32_e32 v110, v164, v226
	v_add_f32_e32 v108, v231, v232
	v_mul_f32_e32 v231, v163, v226
	v_fma_f32 v110, v163, v225, -v110
	v_fmac_f32_e32 v231, v164, v225
	v_add_f32_e32 v109, v109, v110
	s_waitcnt vmcnt(2) lgkmcnt(0)
	v_mul_f32_e32 v110, v166, v228
	v_add_f32_e32 v108, v108, v231
	v_mul_f32_e32 v231, v165, v228
	v_fma_f32 v110, v165, v227, -v110
	v_fmac_f32_e32 v231, v166, v227
	v_add_f32_e32 v109, v109, v110
	s_waitcnt vmcnt(0)
	v_mul_f32_e32 v110, v168, v230
	v_add_f32_e32 v108, v108, v231
	v_mul_f32_e32 v231, v167, v230
	v_fma_f32 v110, v167, v229, -v110
	v_fmac_f32_e32 v231, v168, v229
	v_add_f32_e32 v109, v109, v110
	v_add_f32_e32 v108, v108, v231
	v_sub_f32_e32 v109, v193, v109
	v_sub_f32_e32 v108, v194, v108
	buffer_store_dword v109, off, s[0:3], 0 offset:176
	buffer_store_dword v108, off, s[0:3], 0 offset:180
	s_and_saveexec_b64 s[4:5], vcc
	s_cbranch_execz .LBB116_289
; %bb.288:
	buffer_load_dword v108, off, s[0:3], 0 offset:168
	buffer_load_dword v109, off, s[0:3], 0 offset:172
	v_mov_b32_e32 v110, 0
	buffer_store_dword v110, off, s[0:3], 0 offset:168
	buffer_store_dword v110, off, s[0:3], 0 offset:172
	s_waitcnt vmcnt(2)
	ds_write_b64 v107, v[108:109]
.LBB116_289:
	s_or_b64 exec, exec, s[4:5]
	s_waitcnt lgkmcnt(0)
	; wave barrier
	buffer_load_dword v171, off, s[0:3], 0 offset:180
	buffer_load_dword v172, off, s[0:3], 0 offset:188
	;; [unrolled: 1-line block ×56, first 2 shown]
	v_mov_b32_e32 v108, 0
	ds_read_b128 v[109:112], v108 offset:608
	buffer_load_dword v227, off, s[0:3], 0 offset:392
	buffer_load_dword v228, off, s[0:3], 0 offset:396
	;; [unrolled: 1-line block ×4, first 2 shown]
	ds_read_b128 v[113:116], v108 offset:624
	ds_read_b128 v[117:120], v108 offset:640
	;; [unrolled: 1-line block ×3, first 2 shown]
	v_cmp_lt_u32_e32 vcc, 20, v0
	s_waitcnt vmcnt(59) lgkmcnt(3)
	v_mul_f32_e32 v125, v109, v171
	s_waitcnt vmcnt(58)
	v_mul_f32_e32 v126, v111, v172
	s_waitcnt vmcnt(57) lgkmcnt(2)
	v_mul_f32_e32 v127, v113, v173
	s_waitcnt vmcnt(56)
	v_mul_f32_e32 v128, v115, v174
	;; [unrolled: 4-line block ×4, first 2 shown]
	s_waitcnt vmcnt(51)
	v_fmac_f32_e32 v125, v110, v179
	s_waitcnt vmcnt(50)
	v_fmac_f32_e32 v126, v112, v180
	v_add_f32_e32 v125, 0, v125
	s_waitcnt vmcnt(49)
	v_fmac_f32_e32 v127, v114, v181
	v_add_f32_e32 v125, v125, v126
	;; [unrolled: 3-line block ×6, first 2 shown]
	v_add_f32_e32 v129, v125, v131
	ds_read_b128 v[125:128], v108 offset:672
	buffer_load_dword v231, off, s[0:3], 0 offset:412
	buffer_load_dword v232, off, s[0:3], 0 offset:408
	buffer_load_dword v233, off, s[0:3], 0 offset:416
	buffer_load_dword v234, off, s[0:3], 0 offset:420
	s_waitcnt vmcnt(48)
	v_fmac_f32_e32 v132, v124, v186
	v_add_f32_e32 v133, v129, v132
	ds_read_b128 v[129:132], v108 offset:688
	s_waitcnt vmcnt(47) lgkmcnt(1)
	v_mul_f32_e32 v134, v125, v187
	v_mul_f32_e32 v110, v110, v171
	s_waitcnt vmcnt(46)
	v_fmac_f32_e32 v134, v126, v188
	v_fma_f32 v109, v109, v179, -v110
	v_mul_f32_e32 v110, v112, v172
	v_add_f32_e32 v133, v133, v134
	s_waitcnt vmcnt(45)
	v_mul_f32_e32 v134, v127, v189
	v_add_f32_e32 v109, 0, v109
	v_fma_f32 v110, v111, v180, -v110
	s_waitcnt vmcnt(44)
	v_fmac_f32_e32 v134, v128, v190
	v_add_f32_e32 v109, v109, v110
	v_mul_f32_e32 v110, v114, v173
	v_add_f32_e32 v133, v133, v134
	s_waitcnt vmcnt(42) lgkmcnt(0)
	v_mul_f32_e32 v134, v129, v192
	v_fma_f32 v110, v113, v181, -v110
	v_fmac_f32_e32 v134, v130, v191
	v_add_f32_e32 v109, v109, v110
	v_mul_f32_e32 v110, v116, v174
	v_add_f32_e32 v137, v133, v134
	ds_read_b128 v[133:136], v108 offset:704
	v_fma_f32 v110, v115, v182, -v110
	v_add_f32_e32 v109, v109, v110
	v_mul_f32_e32 v110, v118, v175
	s_waitcnt vmcnt(39)
	v_mul_f32_e32 v138, v131, v195
	v_fma_f32 v110, v117, v183, -v110
	s_waitcnt vmcnt(38)
	v_fmac_f32_e32 v138, v132, v196
	v_add_f32_e32 v109, v109, v110
	v_mul_f32_e32 v110, v120, v176
	v_add_f32_e32 v141, v137, v138
	ds_read_b128 v[137:140], v108 offset:720
	v_fma_f32 v110, v119, v184, -v110
	s_waitcnt vmcnt(36) lgkmcnt(1)
	v_mul_f32_e32 v142, v133, v198
	v_add_f32_e32 v109, v109, v110
	v_mul_f32_e32 v110, v122, v177
	v_fmac_f32_e32 v142, v134, v197
	v_fma_f32 v110, v121, v185, -v110
	v_add_f32_e32 v141, v141, v142
	s_waitcnt vmcnt(34)
	v_mul_f32_e32 v142, v135, v200
	v_add_f32_e32 v109, v109, v110
	v_mul_f32_e32 v110, v124, v178
	v_fmac_f32_e32 v142, v136, v199
	v_fma_f32 v110, v123, v186, -v110
	v_add_f32_e32 v141, v141, v142
	s_waitcnt vmcnt(32) lgkmcnt(0)
	v_mul_f32_e32 v142, v137, v202
	v_add_f32_e32 v109, v109, v110
	v_mul_f32_e32 v110, v126, v187
	v_fmac_f32_e32 v142, v138, v201
	v_fma_f32 v110, v125, v188, -v110
	v_add_f32_e32 v145, v141, v142
	ds_read_b128 v[141:144], v108 offset:736
	v_add_f32_e32 v109, v109, v110
	v_mul_f32_e32 v110, v128, v189
	v_fma_f32 v110, v127, v190, -v110
	s_waitcnt vmcnt(30)
	v_mul_f32_e32 v146, v139, v204
	v_add_f32_e32 v109, v109, v110
	v_mul_f32_e32 v110, v130, v192
	v_fmac_f32_e32 v146, v140, v203
	v_fma_f32 v110, v129, v191, -v110
	v_add_f32_e32 v149, v145, v146
	ds_read_b128 v[145:148], v108 offset:752
	v_add_f32_e32 v109, v109, v110
	v_mul_f32_e32 v110, v132, v195
	s_waitcnt vmcnt(28) lgkmcnt(1)
	v_mul_f32_e32 v150, v141, v206
	v_fma_f32 v110, v131, v196, -v110
	v_fmac_f32_e32 v150, v142, v205
	v_add_f32_e32 v109, v109, v110
	v_mul_f32_e32 v110, v134, v198
	v_add_f32_e32 v149, v149, v150
	s_waitcnt vmcnt(26)
	v_mul_f32_e32 v150, v143, v208
	v_fma_f32 v110, v133, v197, -v110
	v_fmac_f32_e32 v150, v144, v207
	v_add_f32_e32 v109, v109, v110
	v_mul_f32_e32 v110, v136, v200
	v_add_f32_e32 v149, v149, v150
	s_waitcnt vmcnt(24) lgkmcnt(0)
	v_mul_f32_e32 v150, v145, v210
	v_fma_f32 v110, v135, v199, -v110
	v_fmac_f32_e32 v150, v146, v209
	v_add_f32_e32 v109, v109, v110
	v_mul_f32_e32 v110, v138, v202
	v_add_f32_e32 v153, v149, v150
	ds_read_b128 v[149:152], v108 offset:768
	v_fma_f32 v110, v137, v201, -v110
	v_add_f32_e32 v109, v109, v110
	v_mul_f32_e32 v110, v140, v204
	s_waitcnt vmcnt(22)
	v_mul_f32_e32 v154, v147, v212
	v_fma_f32 v110, v139, v203, -v110
	v_fmac_f32_e32 v154, v148, v211
	v_add_f32_e32 v109, v109, v110
	v_mul_f32_e32 v110, v142, v206
	v_add_f32_e32 v157, v153, v154
	ds_read_b128 v[153:156], v108 offset:784
	v_fma_f32 v110, v141, v205, -v110
	s_waitcnt vmcnt(20) lgkmcnt(1)
	v_mul_f32_e32 v158, v149, v214
	v_add_f32_e32 v109, v109, v110
	v_mul_f32_e32 v110, v144, v208
	v_fmac_f32_e32 v158, v150, v213
	v_fma_f32 v110, v143, v207, -v110
	v_add_f32_e32 v157, v157, v158
	s_waitcnt vmcnt(18)
	v_mul_f32_e32 v158, v151, v216
	v_add_f32_e32 v109, v109, v110
	v_mul_f32_e32 v110, v146, v210
	v_fmac_f32_e32 v158, v152, v215
	v_fma_f32 v110, v145, v209, -v110
	v_add_f32_e32 v157, v157, v158
	s_waitcnt vmcnt(16) lgkmcnt(0)
	v_mul_f32_e32 v158, v153, v218
	v_add_f32_e32 v109, v109, v110
	v_mul_f32_e32 v110, v148, v212
	v_fmac_f32_e32 v158, v154, v217
	v_fma_f32 v110, v147, v211, -v110
	v_add_f32_e32 v161, v157, v158
	ds_read_b128 v[157:160], v108 offset:800
	v_add_f32_e32 v109, v109, v110
	v_mul_f32_e32 v110, v150, v214
	v_fma_f32 v110, v149, v213, -v110
	s_waitcnt vmcnt(14)
	v_mul_f32_e32 v162, v155, v220
	v_add_f32_e32 v109, v109, v110
	v_mul_f32_e32 v110, v152, v216
	v_fmac_f32_e32 v162, v156, v219
	v_fma_f32 v110, v151, v215, -v110
	v_add_f32_e32 v165, v161, v162
	ds_read_b128 v[161:164], v108 offset:816
	v_add_f32_e32 v109, v109, v110
	v_mul_f32_e32 v110, v154, v218
	s_waitcnt vmcnt(12) lgkmcnt(1)
	v_mul_f32_e32 v166, v157, v222
	v_fma_f32 v110, v153, v217, -v110
	v_fmac_f32_e32 v166, v158, v221
	v_add_f32_e32 v109, v109, v110
	v_mul_f32_e32 v110, v156, v220
	v_add_f32_e32 v165, v165, v166
	s_waitcnt vmcnt(10)
	v_mul_f32_e32 v166, v159, v224
	v_fma_f32 v110, v155, v219, -v110
	v_fmac_f32_e32 v166, v160, v223
	v_add_f32_e32 v109, v109, v110
	v_mul_f32_e32 v110, v158, v222
	v_add_f32_e32 v165, v165, v166
	s_waitcnt vmcnt(8) lgkmcnt(0)
	v_mul_f32_e32 v166, v161, v226
	v_fma_f32 v110, v157, v221, -v110
	v_fmac_f32_e32 v166, v162, v225
	v_add_f32_e32 v109, v109, v110
	v_mul_f32_e32 v110, v160, v224
	v_add_f32_e32 v169, v165, v166
	ds_read_b128 v[165:168], v108 offset:832
	v_fma_f32 v110, v159, v223, -v110
	v_add_f32_e32 v109, v109, v110
	v_mul_f32_e32 v110, v162, v226
	s_waitcnt vmcnt(6)
	v_mul_f32_e32 v170, v163, v228
	v_fma_f32 v110, v161, v225, -v110
	v_fmac_f32_e32 v170, v164, v227
	v_add_f32_e32 v109, v109, v110
	v_mul_f32_e32 v110, v164, v228
	v_add_f32_e32 v235, v169, v170
	ds_read_b64 v[169:170], v108 offset:848
	v_fma_f32 v110, v163, v227, -v110
	v_add_f32_e32 v109, v109, v110
	s_waitcnt vmcnt(4) lgkmcnt(1)
	v_mul_f32_e32 v110, v166, v230
	v_mul_f32_e32 v236, v165, v230
	v_fma_f32 v110, v165, v229, -v110
	v_fmac_f32_e32 v236, v166, v229
	v_add_f32_e32 v109, v109, v110
	s_waitcnt vmcnt(3)
	v_mul_f32_e32 v110, v168, v231
	v_add_f32_e32 v235, v235, v236
	v_mul_f32_e32 v236, v167, v231
	s_waitcnt vmcnt(2)
	v_fma_f32 v110, v167, v232, -v110
	v_fmac_f32_e32 v236, v168, v232
	v_add_f32_e32 v109, v109, v110
	s_waitcnt vmcnt(0) lgkmcnt(0)
	v_mul_f32_e32 v110, v170, v234
	v_add_f32_e32 v235, v235, v236
	v_mul_f32_e32 v236, v169, v234
	v_fma_f32 v110, v169, v233, -v110
	v_fmac_f32_e32 v236, v170, v233
	v_add_f32_e32 v109, v109, v110
	v_add_f32_e32 v235, v235, v236
	v_sub_f32_e32 v109, v193, v109
	v_sub_f32_e32 v110, v194, v235
	buffer_store_dword v109, off, s[0:3], 0 offset:168
	buffer_store_dword v110, off, s[0:3], 0 offset:172
	s_and_saveexec_b64 s[4:5], vcc
	s_cbranch_execz .LBB116_291
; %bb.290:
	buffer_load_dword v109, off, s[0:3], 0 offset:160
	buffer_load_dword v110, off, s[0:3], 0 offset:164
	s_waitcnt vmcnt(0)
	ds_write_b64 v107, v[109:110]
	buffer_store_dword v108, off, s[0:3], 0 offset:160
	buffer_store_dword v108, off, s[0:3], 0 offset:164
.LBB116_291:
	s_or_b64 exec, exec, s[4:5]
	s_waitcnt lgkmcnt(0)
	; wave barrier
	buffer_load_dword v173, off, s[0:3], 0 offset:172
	buffer_load_dword v174, off, s[0:3], 0 offset:180
	;; [unrolled: 1-line block ×26, first 2 shown]
	ds_read2_b64 v[109:112], v108 offset0:75 offset1:76
	ds_read2_b64 v[113:116], v108 offset0:77 offset1:78
	;; [unrolled: 1-line block ×4, first 2 shown]
	buffer_load_dword v199, off, s[0:3], 0 offset:268
	buffer_load_dword v200, off, s[0:3], 0 offset:264
	;; [unrolled: 1-line block ×34, first 2 shown]
	v_cmp_lt_u32_e32 vcc, 19, v0
	s_waitcnt vmcnt(59) lgkmcnt(3)
	v_mul_f32_e32 v125, v109, v173
	s_waitcnt vmcnt(58)
	v_mul_f32_e32 v126, v111, v174
	s_waitcnt vmcnt(57) lgkmcnt(2)
	v_mul_f32_e32 v127, v113, v175
	s_waitcnt vmcnt(56)
	v_mul_f32_e32 v128, v115, v176
	;; [unrolled: 4-line block ×4, first 2 shown]
	s_waitcnt vmcnt(51)
	v_fmac_f32_e32 v125, v110, v181
	s_waitcnt vmcnt(50)
	v_fmac_f32_e32 v126, v112, v182
	v_add_f32_e32 v125, 0, v125
	s_waitcnt vmcnt(49)
	v_fmac_f32_e32 v127, v114, v183
	v_add_f32_e32 v125, v125, v126
	;; [unrolled: 3-line block ×7, first 2 shown]
	v_add_f32_e32 v133, v125, v132
	ds_read2_b64 v[125:128], v108 offset0:83 offset1:84
	buffer_load_dword v233, off, s[0:3], 0 offset:404
	buffer_load_dword v234, off, s[0:3], 0 offset:400
	;; [unrolled: 1-line block ×4, first 2 shown]
	ds_read2_b64 v[129:132], v108 offset0:85 offset1:86
	buffer_load_dword v237, off, s[0:3], 0 offset:416
	buffer_load_dword v238, off, s[0:3], 0 offset:420
	v_mul_f32_e32 v110, v110, v173
	s_waitcnt vmcnt(49) lgkmcnt(1)
	v_mul_f32_e32 v134, v125, v189
	s_waitcnt vmcnt(48)
	v_fmac_f32_e32 v134, v126, v190
	v_fma_f32 v109, v109, v181, -v110
	v_mul_f32_e32 v110, v112, v174
	v_add_f32_e32 v133, v133, v134
	s_waitcnt vmcnt(46)
	v_mul_f32_e32 v134, v127, v192
	v_add_f32_e32 v109, 0, v109
	v_fma_f32 v110, v111, v182, -v110
	v_fmac_f32_e32 v134, v128, v191
	v_add_f32_e32 v109, v109, v110
	v_mul_f32_e32 v110, v114, v175
	v_add_f32_e32 v133, v133, v134
	s_waitcnt vmcnt(43) lgkmcnt(0)
	v_mul_f32_e32 v134, v129, v195
	v_fma_f32 v110, v113, v183, -v110
	s_waitcnt vmcnt(42)
	v_fmac_f32_e32 v134, v130, v196
	v_add_f32_e32 v109, v109, v110
	v_mul_f32_e32 v110, v116, v176
	v_add_f32_e32 v137, v133, v134
	ds_read2_b64 v[133:136], v108 offset0:87 offset1:88
	v_fma_f32 v110, v115, v184, -v110
	v_add_f32_e32 v109, v109, v110
	v_mul_f32_e32 v110, v118, v177
	s_waitcnt vmcnt(40)
	v_mul_f32_e32 v138, v131, v198
	v_fma_f32 v110, v117, v185, -v110
	v_fmac_f32_e32 v138, v132, v197
	v_add_f32_e32 v109, v109, v110
	v_mul_f32_e32 v110, v120, v178
	v_add_f32_e32 v141, v137, v138
	ds_read2_b64 v[137:140], v108 offset0:89 offset1:90
	v_fma_f32 v110, v119, v186, -v110
	s_waitcnt vmcnt(39) lgkmcnt(1)
	v_mul_f32_e32 v142, v133, v199
	v_add_f32_e32 v109, v109, v110
	v_mul_f32_e32 v110, v122, v179
	s_waitcnt vmcnt(38)
	v_fmac_f32_e32 v142, v134, v200
	v_fma_f32 v110, v121, v187, -v110
	v_add_f32_e32 v141, v141, v142
	s_waitcnt vmcnt(36)
	v_mul_f32_e32 v142, v135, v202
	v_add_f32_e32 v109, v109, v110
	v_mul_f32_e32 v110, v124, v180
	v_fmac_f32_e32 v142, v136, v201
	v_fma_f32 v110, v123, v188, -v110
	v_add_f32_e32 v141, v141, v142
	s_waitcnt vmcnt(34) lgkmcnt(0)
	v_mul_f32_e32 v142, v137, v204
	v_add_f32_e32 v109, v109, v110
	v_mul_f32_e32 v110, v126, v189
	v_fmac_f32_e32 v142, v138, v203
	v_fma_f32 v110, v125, v190, -v110
	v_add_f32_e32 v145, v141, v142
	ds_read2_b64 v[141:144], v108 offset0:91 offset1:92
	v_add_f32_e32 v109, v109, v110
	v_mul_f32_e32 v110, v128, v192
	v_fma_f32 v110, v127, v191, -v110
	s_waitcnt vmcnt(32)
	v_mul_f32_e32 v146, v139, v206
	v_add_f32_e32 v109, v109, v110
	v_mul_f32_e32 v110, v130, v195
	v_fmac_f32_e32 v146, v140, v205
	v_fma_f32 v110, v129, v196, -v110
	v_add_f32_e32 v149, v145, v146
	ds_read2_b64 v[145:148], v108 offset0:93 offset1:94
	v_add_f32_e32 v109, v109, v110
	v_mul_f32_e32 v110, v132, v198
	s_waitcnt vmcnt(30) lgkmcnt(1)
	v_mul_f32_e32 v150, v141, v208
	v_fma_f32 v110, v131, v197, -v110
	v_fmac_f32_e32 v150, v142, v207
	v_add_f32_e32 v109, v109, v110
	v_mul_f32_e32 v110, v134, v199
	v_add_f32_e32 v149, v149, v150
	s_waitcnt vmcnt(28)
	v_mul_f32_e32 v150, v143, v210
	v_fma_f32 v110, v133, v200, -v110
	v_fmac_f32_e32 v150, v144, v209
	v_add_f32_e32 v109, v109, v110
	v_mul_f32_e32 v110, v136, v202
	v_add_f32_e32 v149, v149, v150
	s_waitcnt vmcnt(26) lgkmcnt(0)
	v_mul_f32_e32 v150, v145, v212
	v_fma_f32 v110, v135, v201, -v110
	v_fmac_f32_e32 v150, v146, v211
	v_add_f32_e32 v109, v109, v110
	v_mul_f32_e32 v110, v138, v204
	v_add_f32_e32 v153, v149, v150
	ds_read2_b64 v[149:152], v108 offset0:95 offset1:96
	v_fma_f32 v110, v137, v203, -v110
	v_add_f32_e32 v109, v109, v110
	v_mul_f32_e32 v110, v140, v206
	s_waitcnt vmcnt(24)
	v_mul_f32_e32 v154, v147, v214
	v_fma_f32 v110, v139, v205, -v110
	v_fmac_f32_e32 v154, v148, v213
	v_add_f32_e32 v109, v109, v110
	v_mul_f32_e32 v110, v142, v208
	v_add_f32_e32 v157, v153, v154
	ds_read2_b64 v[153:156], v108 offset0:97 offset1:98
	v_fma_f32 v110, v141, v207, -v110
	s_waitcnt vmcnt(22) lgkmcnt(1)
	v_mul_f32_e32 v158, v149, v216
	v_add_f32_e32 v109, v109, v110
	v_mul_f32_e32 v110, v144, v210
	v_fmac_f32_e32 v158, v150, v215
	v_fma_f32 v110, v143, v209, -v110
	v_add_f32_e32 v157, v157, v158
	s_waitcnt vmcnt(20)
	v_mul_f32_e32 v158, v151, v218
	v_add_f32_e32 v109, v109, v110
	v_mul_f32_e32 v110, v146, v212
	v_fmac_f32_e32 v158, v152, v217
	v_fma_f32 v110, v145, v211, -v110
	v_add_f32_e32 v157, v157, v158
	s_waitcnt vmcnt(18) lgkmcnt(0)
	v_mul_f32_e32 v158, v153, v220
	v_add_f32_e32 v109, v109, v110
	v_mul_f32_e32 v110, v148, v214
	v_fmac_f32_e32 v158, v154, v219
	v_fma_f32 v110, v147, v213, -v110
	v_add_f32_e32 v161, v157, v158
	ds_read2_b64 v[157:160], v108 offset0:99 offset1:100
	v_add_f32_e32 v109, v109, v110
	v_mul_f32_e32 v110, v150, v216
	v_fma_f32 v110, v149, v215, -v110
	s_waitcnt vmcnt(16)
	v_mul_f32_e32 v162, v155, v222
	v_add_f32_e32 v109, v109, v110
	v_mul_f32_e32 v110, v152, v218
	v_fmac_f32_e32 v162, v156, v221
	v_fma_f32 v110, v151, v217, -v110
	v_add_f32_e32 v165, v161, v162
	ds_read2_b64 v[161:164], v108 offset0:101 offset1:102
	v_add_f32_e32 v109, v109, v110
	v_mul_f32_e32 v110, v154, v220
	s_waitcnt vmcnt(14) lgkmcnt(1)
	v_mul_f32_e32 v166, v157, v224
	v_fma_f32 v110, v153, v219, -v110
	v_fmac_f32_e32 v166, v158, v223
	v_add_f32_e32 v109, v109, v110
	v_mul_f32_e32 v110, v156, v222
	v_add_f32_e32 v165, v165, v166
	s_waitcnt vmcnt(12)
	v_mul_f32_e32 v166, v159, v226
	v_fma_f32 v110, v155, v221, -v110
	v_fmac_f32_e32 v166, v160, v225
	v_add_f32_e32 v109, v109, v110
	v_mul_f32_e32 v110, v158, v224
	v_add_f32_e32 v165, v165, v166
	s_waitcnt vmcnt(10) lgkmcnt(0)
	v_mul_f32_e32 v166, v161, v228
	v_fma_f32 v110, v157, v223, -v110
	v_fmac_f32_e32 v166, v162, v227
	v_add_f32_e32 v109, v109, v110
	v_mul_f32_e32 v110, v160, v226
	v_add_f32_e32 v169, v165, v166
	ds_read2_b64 v[165:168], v108 offset0:103 offset1:104
	v_fma_f32 v110, v159, v225, -v110
	v_add_f32_e32 v109, v109, v110
	v_mul_f32_e32 v110, v162, v228
	s_waitcnt vmcnt(8)
	v_mul_f32_e32 v170, v163, v230
	v_fma_f32 v110, v161, v227, -v110
	v_fmac_f32_e32 v170, v164, v229
	v_add_f32_e32 v109, v109, v110
	v_mul_f32_e32 v110, v164, v230
	v_add_f32_e32 v239, v169, v170
	ds_read2_b64 v[169:172], v108 offset0:105 offset1:106
	v_fma_f32 v110, v163, v229, -v110
	v_add_f32_e32 v109, v109, v110
	s_waitcnt vmcnt(6) lgkmcnt(1)
	v_mul_f32_e32 v110, v166, v232
	v_mul_f32_e32 v108, v165, v232
	v_fma_f32 v110, v165, v231, -v110
	v_fmac_f32_e32 v108, v166, v231
	v_add_f32_e32 v109, v109, v110
	s_waitcnt vmcnt(5)
	v_mul_f32_e32 v110, v168, v233
	v_add_f32_e32 v108, v239, v108
	v_mul_f32_e32 v239, v167, v233
	s_waitcnt vmcnt(4)
	v_fma_f32 v110, v167, v234, -v110
	v_fmac_f32_e32 v239, v168, v234
	v_add_f32_e32 v109, v109, v110
	s_waitcnt vmcnt(2) lgkmcnt(0)
	v_mul_f32_e32 v110, v170, v236
	v_add_f32_e32 v108, v108, v239
	v_mul_f32_e32 v239, v169, v236
	v_fma_f32 v110, v169, v235, -v110
	v_fmac_f32_e32 v239, v170, v235
	v_add_f32_e32 v109, v109, v110
	s_waitcnt vmcnt(0)
	v_mul_f32_e32 v110, v172, v238
	v_add_f32_e32 v108, v108, v239
	v_mul_f32_e32 v239, v171, v238
	v_fma_f32 v110, v171, v237, -v110
	v_fmac_f32_e32 v239, v172, v237
	v_add_f32_e32 v109, v109, v110
	v_add_f32_e32 v108, v108, v239
	v_sub_f32_e32 v109, v193, v109
	v_sub_f32_e32 v108, v194, v108
	buffer_store_dword v109, off, s[0:3], 0 offset:160
	buffer_store_dword v108, off, s[0:3], 0 offset:164
	s_and_saveexec_b64 s[4:5], vcc
	s_cbranch_execz .LBB116_293
; %bb.292:
	buffer_load_dword v108, off, s[0:3], 0 offset:152
	buffer_load_dword v109, off, s[0:3], 0 offset:156
	v_mov_b32_e32 v110, 0
	buffer_store_dword v110, off, s[0:3], 0 offset:152
	buffer_store_dword v110, off, s[0:3], 0 offset:156
	s_waitcnt vmcnt(2)
	ds_write_b64 v107, v[108:109]
.LBB116_293:
	s_or_b64 exec, exec, s[4:5]
	s_waitcnt lgkmcnt(0)
	; wave barrier
	buffer_load_dword v175, off, s[0:3], 0 offset:164
	buffer_load_dword v176, off, s[0:3], 0 offset:172
	;; [unrolled: 1-line block ×58, first 2 shown]
	v_mov_b32_e32 v108, 0
	ds_read_b128 v[109:112], v108 offset:592
	ds_read_b128 v[113:116], v108 offset:608
	;; [unrolled: 1-line block ×5, first 2 shown]
	buffer_load_dword v233, off, s[0:3], 0 offset:384
	buffer_load_dword v234, off, s[0:3], 0 offset:388
	v_cmp_lt_u32_e32 vcc, 18, v0
	s_waitcnt vmcnt(59) lgkmcnt(4)
	v_mul_f32_e32 v129, v109, v175
	s_waitcnt vmcnt(58)
	v_mul_f32_e32 v130, v111, v176
	s_waitcnt vmcnt(57) lgkmcnt(3)
	v_mul_f32_e32 v131, v113, v177
	s_waitcnt vmcnt(56)
	v_mul_f32_e32 v132, v115, v178
	;; [unrolled: 4-line block ×4, first 2 shown]
	s_waitcnt vmcnt(51)
	v_fmac_f32_e32 v129, v110, v183
	s_waitcnt vmcnt(50)
	v_fmac_f32_e32 v130, v112, v184
	v_add_f32_e32 v129, 0, v129
	s_waitcnt vmcnt(49)
	v_fmac_f32_e32 v131, v114, v185
	v_add_f32_e32 v129, v129, v130
	;; [unrolled: 3-line block ×7, first 2 shown]
	v_add_f32_e32 v133, v129, v136
	ds_read_b128 v[129:132], v108 offset:672
	buffer_load_dword v235, off, s[0:3], 0 offset:396
	buffer_load_dword v236, off, s[0:3], 0 offset:392
	;; [unrolled: 1-line block ×8, first 2 shown]
	s_waitcnt vmcnt(51) lgkmcnt(1)
	v_mul_f32_e32 v134, v125, v191
	s_waitcnt vmcnt(50)
	v_fmac_f32_e32 v134, v126, v192
	v_mul_f32_e32 v110, v110, v175
	v_add_f32_e32 v133, v133, v134
	s_waitcnt vmcnt(49)
	v_mul_f32_e32 v134, v127, v193
	v_fma_f32 v109, v109, v183, -v110
	v_mul_f32_e32 v110, v112, v176
	s_waitcnt vmcnt(46)
	v_fmac_f32_e32 v134, v128, v196
	v_add_f32_e32 v109, 0, v109
	v_fma_f32 v110, v111, v184, -v110
	v_add_f32_e32 v133, v133, v134
	s_waitcnt vmcnt(44) lgkmcnt(0)
	v_mul_f32_e32 v134, v129, v198
	v_add_f32_e32 v109, v109, v110
	v_mul_f32_e32 v110, v114, v177
	v_fmac_f32_e32 v134, v130, v197
	v_fma_f32 v110, v113, v185, -v110
	v_add_f32_e32 v137, v133, v134
	ds_read_b128 v[133:136], v108 offset:688
	v_add_f32_e32 v109, v109, v110
	v_mul_f32_e32 v110, v116, v178
	v_fma_f32 v110, v115, v186, -v110
	s_waitcnt vmcnt(42)
	v_mul_f32_e32 v138, v131, v200
	v_add_f32_e32 v109, v109, v110
	v_mul_f32_e32 v110, v118, v179
	v_fmac_f32_e32 v138, v132, v199
	v_fma_f32 v110, v117, v187, -v110
	v_add_f32_e32 v141, v137, v138
	ds_read_b128 v[137:140], v108 offset:704
	v_add_f32_e32 v109, v109, v110
	v_mul_f32_e32 v110, v120, v180
	s_waitcnt vmcnt(40) lgkmcnt(1)
	v_mul_f32_e32 v142, v133, v202
	v_fma_f32 v110, v119, v188, -v110
	v_fmac_f32_e32 v142, v134, v201
	v_add_f32_e32 v109, v109, v110
	v_mul_f32_e32 v110, v122, v181
	v_add_f32_e32 v141, v141, v142
	s_waitcnt vmcnt(38)
	v_mul_f32_e32 v142, v135, v204
	v_fma_f32 v110, v121, v189, -v110
	v_fmac_f32_e32 v142, v136, v203
	v_add_f32_e32 v109, v109, v110
	v_mul_f32_e32 v110, v124, v182
	v_add_f32_e32 v141, v141, v142
	s_waitcnt vmcnt(36) lgkmcnt(0)
	v_mul_f32_e32 v142, v137, v206
	v_fma_f32 v110, v123, v190, -v110
	v_fmac_f32_e32 v142, v138, v205
	v_add_f32_e32 v109, v109, v110
	v_mul_f32_e32 v110, v126, v191
	v_add_f32_e32 v145, v141, v142
	ds_read_b128 v[141:144], v108 offset:720
	v_fma_f32 v110, v125, v192, -v110
	v_add_f32_e32 v109, v109, v110
	v_mul_f32_e32 v110, v128, v193
	s_waitcnt vmcnt(34)
	v_mul_f32_e32 v146, v139, v208
	v_fma_f32 v110, v127, v196, -v110
	v_fmac_f32_e32 v146, v140, v207
	v_add_f32_e32 v109, v109, v110
	v_mul_f32_e32 v110, v130, v198
	v_add_f32_e32 v149, v145, v146
	ds_read_b128 v[145:148], v108 offset:736
	v_fma_f32 v110, v129, v197, -v110
	s_waitcnt vmcnt(32) lgkmcnt(1)
	v_mul_f32_e32 v150, v141, v210
	v_add_f32_e32 v109, v109, v110
	v_mul_f32_e32 v110, v132, v200
	v_fmac_f32_e32 v150, v142, v209
	v_fma_f32 v110, v131, v199, -v110
	v_add_f32_e32 v149, v149, v150
	s_waitcnt vmcnt(30)
	v_mul_f32_e32 v150, v143, v212
	v_add_f32_e32 v109, v109, v110
	v_mul_f32_e32 v110, v134, v202
	v_fmac_f32_e32 v150, v144, v211
	v_fma_f32 v110, v133, v201, -v110
	v_add_f32_e32 v149, v149, v150
	s_waitcnt vmcnt(28) lgkmcnt(0)
	v_mul_f32_e32 v150, v145, v214
	v_add_f32_e32 v109, v109, v110
	v_mul_f32_e32 v110, v136, v204
	v_fmac_f32_e32 v150, v146, v213
	v_fma_f32 v110, v135, v203, -v110
	v_add_f32_e32 v153, v149, v150
	ds_read_b128 v[149:152], v108 offset:752
	v_add_f32_e32 v109, v109, v110
	v_mul_f32_e32 v110, v138, v206
	v_fma_f32 v110, v137, v205, -v110
	s_waitcnt vmcnt(26)
	v_mul_f32_e32 v154, v147, v216
	v_add_f32_e32 v109, v109, v110
	v_mul_f32_e32 v110, v140, v208
	v_fmac_f32_e32 v154, v148, v215
	v_fma_f32 v110, v139, v207, -v110
	v_add_f32_e32 v157, v153, v154
	ds_read_b128 v[153:156], v108 offset:768
	v_add_f32_e32 v109, v109, v110
	v_mul_f32_e32 v110, v142, v210
	s_waitcnt vmcnt(24) lgkmcnt(1)
	v_mul_f32_e32 v158, v149, v218
	v_fma_f32 v110, v141, v209, -v110
	v_fmac_f32_e32 v158, v150, v217
	v_add_f32_e32 v109, v109, v110
	v_mul_f32_e32 v110, v144, v212
	v_add_f32_e32 v157, v157, v158
	s_waitcnt vmcnt(22)
	v_mul_f32_e32 v158, v151, v220
	v_fma_f32 v110, v143, v211, -v110
	v_fmac_f32_e32 v158, v152, v219
	v_add_f32_e32 v109, v109, v110
	v_mul_f32_e32 v110, v146, v214
	v_add_f32_e32 v157, v157, v158
	s_waitcnt vmcnt(20) lgkmcnt(0)
	v_mul_f32_e32 v158, v153, v222
	v_fma_f32 v110, v145, v213, -v110
	v_fmac_f32_e32 v158, v154, v221
	v_add_f32_e32 v109, v109, v110
	v_mul_f32_e32 v110, v148, v216
	v_add_f32_e32 v161, v157, v158
	ds_read_b128 v[157:160], v108 offset:784
	v_fma_f32 v110, v147, v215, -v110
	v_add_f32_e32 v109, v109, v110
	v_mul_f32_e32 v110, v150, v218
	s_waitcnt vmcnt(18)
	v_mul_f32_e32 v162, v155, v224
	v_fma_f32 v110, v149, v217, -v110
	v_fmac_f32_e32 v162, v156, v223
	v_add_f32_e32 v109, v109, v110
	v_mul_f32_e32 v110, v152, v220
	v_add_f32_e32 v165, v161, v162
	ds_read_b128 v[161:164], v108 offset:800
	v_fma_f32 v110, v151, v219, -v110
	s_waitcnt vmcnt(16) lgkmcnt(1)
	v_mul_f32_e32 v166, v157, v226
	v_add_f32_e32 v109, v109, v110
	v_mul_f32_e32 v110, v154, v222
	v_fmac_f32_e32 v166, v158, v225
	v_fma_f32 v110, v153, v221, -v110
	v_add_f32_e32 v165, v165, v166
	s_waitcnt vmcnt(14)
	v_mul_f32_e32 v166, v159, v228
	v_add_f32_e32 v109, v109, v110
	v_mul_f32_e32 v110, v156, v224
	v_fmac_f32_e32 v166, v160, v227
	v_fma_f32 v110, v155, v223, -v110
	v_add_f32_e32 v165, v165, v166
	s_waitcnt vmcnt(12) lgkmcnt(0)
	v_mul_f32_e32 v166, v161, v230
	v_add_f32_e32 v109, v109, v110
	v_mul_f32_e32 v110, v158, v226
	v_fmac_f32_e32 v166, v162, v229
	v_fma_f32 v110, v157, v225, -v110
	v_add_f32_e32 v169, v165, v166
	ds_read_b128 v[165:168], v108 offset:816
	v_add_f32_e32 v109, v109, v110
	v_mul_f32_e32 v110, v160, v228
	v_fma_f32 v110, v159, v227, -v110
	v_add_f32_e32 v109, v109, v110
	v_mul_f32_e32 v110, v162, v230
	s_waitcnt vmcnt(10)
	v_mul_f32_e32 v170, v163, v232
	v_fma_f32 v110, v161, v229, -v110
	v_fmac_f32_e32 v170, v164, v231
	v_add_f32_e32 v109, v109, v110
	v_mul_f32_e32 v110, v164, v232
	v_add_f32_e32 v173, v169, v170
	ds_read_b128 v[169:172], v108 offset:832
	s_waitcnt vmcnt(8) lgkmcnt(1)
	v_mul_f32_e32 v174, v165, v234
	v_fma_f32 v110, v163, v231, -v110
	v_fmac_f32_e32 v174, v166, v233
	v_add_f32_e32 v109, v109, v110
	v_mul_f32_e32 v110, v166, v234
	v_add_f32_e32 v173, v173, v174
	s_waitcnt vmcnt(7)
	v_mul_f32_e32 v174, v167, v235
	v_fma_f32 v110, v165, v233, -v110
	s_waitcnt vmcnt(6)
	v_fmac_f32_e32 v174, v168, v236
	v_add_f32_e32 v109, v109, v110
	v_mul_f32_e32 v110, v168, v235
	v_add_f32_e32 v243, v173, v174
	ds_read_b64 v[173:174], v108 offset:848
	v_fma_f32 v110, v167, v236, -v110
	v_add_f32_e32 v109, v109, v110
	s_waitcnt vmcnt(4) lgkmcnt(1)
	v_mul_f32_e32 v110, v170, v238
	v_mul_f32_e32 v244, v169, v238
	v_fma_f32 v110, v169, v237, -v110
	v_fmac_f32_e32 v244, v170, v237
	v_add_f32_e32 v109, v109, v110
	s_waitcnt vmcnt(3)
	v_mul_f32_e32 v110, v172, v239
	v_add_f32_e32 v243, v243, v244
	v_mul_f32_e32 v244, v171, v239
	s_waitcnt vmcnt(2)
	v_fma_f32 v110, v171, v240, -v110
	v_fmac_f32_e32 v244, v172, v240
	v_add_f32_e32 v109, v109, v110
	s_waitcnt vmcnt(0) lgkmcnt(0)
	v_mul_f32_e32 v110, v174, v242
	v_add_f32_e32 v243, v243, v244
	v_mul_f32_e32 v244, v173, v242
	v_fma_f32 v110, v173, v241, -v110
	v_fmac_f32_e32 v244, v174, v241
	v_add_f32_e32 v109, v109, v110
	v_add_f32_e32 v243, v243, v244
	v_sub_f32_e32 v109, v194, v109
	v_sub_f32_e32 v110, v195, v243
	buffer_store_dword v109, off, s[0:3], 0 offset:152
	buffer_store_dword v110, off, s[0:3], 0 offset:156
	s_and_saveexec_b64 s[4:5], vcc
	s_cbranch_execz .LBB116_295
; %bb.294:
	buffer_load_dword v109, off, s[0:3], 0 offset:144
	buffer_load_dword v110, off, s[0:3], 0 offset:148
	s_waitcnt vmcnt(0)
	ds_write_b64 v107, v[109:110]
	buffer_store_dword v108, off, s[0:3], 0 offset:144
	buffer_store_dword v108, off, s[0:3], 0 offset:148
.LBB116_295:
	s_or_b64 exec, exec, s[4:5]
	s_waitcnt lgkmcnt(0)
	; wave barrier
	buffer_load_dword v177, off, s[0:3], 0 offset:156
	buffer_load_dword v178, off, s[0:3], 0 offset:164
	;; [unrolled: 1-line block ×24, first 2 shown]
	ds_read2_b64 v[109:112], v108 offset0:73 offset1:74
	ds_read2_b64 v[113:116], v108 offset0:75 offset1:76
	ds_read2_b64 v[117:120], v108 offset0:77 offset1:78
	ds_read2_b64 v[121:124], v108 offset0:79 offset1:80
	ds_read2_b64 v[125:128], v108 offset0:81 offset1:82
	ds_read2_b64 v[129:132], v108 offset0:83 offset1:84
	buffer_load_dword v201, off, s[0:3], 0 offset:244
	buffer_load_dword v202, off, s[0:3], 0 offset:240
	buffer_load_dword v203, off, s[0:3], 0 offset:248
	buffer_load_dword v204, off, s[0:3], 0 offset:252
	buffer_load_dword v205, off, s[0:3], 0 offset:256
	buffer_load_dword v206, off, s[0:3], 0 offset:260
	buffer_load_dword v207, off, s[0:3], 0 offset:264
	buffer_load_dword v208, off, s[0:3], 0 offset:268
	buffer_load_dword v209, off, s[0:3], 0 offset:272
	buffer_load_dword v210, off, s[0:3], 0 offset:276
	buffer_load_dword v211, off, s[0:3], 0 offset:280
	buffer_load_dword v212, off, s[0:3], 0 offset:284
	buffer_load_dword v213, off, s[0:3], 0 offset:288
	buffer_load_dword v214, off, s[0:3], 0 offset:292
	buffer_load_dword v215, off, s[0:3], 0 offset:296
	buffer_load_dword v216, off, s[0:3], 0 offset:300
	buffer_load_dword v217, off, s[0:3], 0 offset:304
	buffer_load_dword v218, off, s[0:3], 0 offset:308
	buffer_load_dword v219, off, s[0:3], 0 offset:312
	buffer_load_dword v220, off, s[0:3], 0 offset:316
	buffer_load_dword v221, off, s[0:3], 0 offset:320
	buffer_load_dword v222, off, s[0:3], 0 offset:324
	buffer_load_dword v223, off, s[0:3], 0 offset:328
	buffer_load_dword v224, off, s[0:3], 0 offset:332
	buffer_load_dword v225, off, s[0:3], 0 offset:336
	buffer_load_dword v226, off, s[0:3], 0 offset:340
	buffer_load_dword v227, off, s[0:3], 0 offset:344
	buffer_load_dword v228, off, s[0:3], 0 offset:348
	buffer_load_dword v229, off, s[0:3], 0 offset:352
	buffer_load_dword v230, off, s[0:3], 0 offset:356
	buffer_load_dword v231, off, s[0:3], 0 offset:360
	buffer_load_dword v232, off, s[0:3], 0 offset:364
	buffer_load_dword v233, off, s[0:3], 0 offset:368
	buffer_load_dword v234, off, s[0:3], 0 offset:372
	buffer_load_dword v235, off, s[0:3], 0 offset:376
	buffer_load_dword v236, off, s[0:3], 0 offset:380
	buffer_load_dword v237, off, s[0:3], 0 offset:388
	buffer_load_dword v238, off, s[0:3], 0 offset:384
	buffer_load_dword v239, off, s[0:3], 0 offset:392
	buffer_load_dword v240, off, s[0:3], 0 offset:396
	buffer_load_dword v241, off, s[0:3], 0 offset:400
	buffer_load_dword v242, off, s[0:3], 0 offset:404
	buffer_load_dword v243, off, s[0:3], 0 offset:412
	buffer_load_dword v244, off, s[0:3], 0 offset:408
	buffer_load_dword v245, off, s[0:3], 0 offset:416
	buffer_load_dword v246, off, s[0:3], 0 offset:420
	v_cmp_lt_u32_e32 vcc, 17, v0
	s_waitcnt vmcnt(62) lgkmcnt(5)
	v_mul_f32_e32 v133, v109, v177
	v_mul_f32_e32 v134, v111, v178
	s_waitcnt lgkmcnt(4)
	v_mul_f32_e32 v135, v113, v179
	v_mul_f32_e32 v136, v115, v180
	s_waitcnt lgkmcnt(3)
	;; [unrolled: 3-line block ×3, first 2 shown]
	v_mul_f32_e32 v139, v121, v183
	v_mul_f32_e32 v140, v123, v184
	s_waitcnt vmcnt(61)
	v_fmac_f32_e32 v133, v110, v185
	s_waitcnt vmcnt(60)
	v_fmac_f32_e32 v134, v112, v186
	v_add_f32_e32 v133, 0, v133
	s_waitcnt vmcnt(59)
	v_fmac_f32_e32 v135, v114, v187
	v_add_f32_e32 v133, v133, v134
	;; [unrolled: 3-line block ×7, first 2 shown]
	s_waitcnt vmcnt(53) lgkmcnt(1)
	v_mul_f32_e32 v134, v125, v193
	v_add_f32_e32 v133, v133, v140
	s_waitcnt vmcnt(52)
	v_fmac_f32_e32 v134, v126, v194
	v_mul_f32_e32 v110, v110, v177
	v_add_f32_e32 v133, v133, v134
	s_waitcnt vmcnt(51)
	v_mul_f32_e32 v134, v127, v195
	v_fma_f32 v109, v109, v185, -v110
	v_mul_f32_e32 v110, v112, v178
	s_waitcnt vmcnt(50)
	v_fmac_f32_e32 v134, v128, v196
	v_add_f32_e32 v109, 0, v109
	v_fma_f32 v110, v111, v186, -v110
	v_add_f32_e32 v133, v133, v134
	s_waitcnt vmcnt(47) lgkmcnt(0)
	v_mul_f32_e32 v134, v129, v199
	v_add_f32_e32 v109, v109, v110
	v_mul_f32_e32 v110, v114, v179
	s_waitcnt vmcnt(46)
	v_fmac_f32_e32 v134, v130, v200
	v_fma_f32 v110, v113, v187, -v110
	v_add_f32_e32 v137, v133, v134
	ds_read2_b64 v[133:136], v108 offset0:85 offset1:86
	v_add_f32_e32 v109, v109, v110
	v_mul_f32_e32 v110, v116, v180
	v_fma_f32 v110, v115, v188, -v110
	s_waitcnt vmcnt(45)
	v_mul_f32_e32 v138, v131, v201
	v_add_f32_e32 v109, v109, v110
	v_mul_f32_e32 v110, v118, v181
	s_waitcnt vmcnt(44)
	v_fmac_f32_e32 v138, v132, v202
	v_fma_f32 v110, v117, v189, -v110
	v_add_f32_e32 v141, v137, v138
	ds_read2_b64 v[137:140], v108 offset0:87 offset1:88
	v_add_f32_e32 v109, v109, v110
	v_mul_f32_e32 v110, v120, v182
	s_waitcnt vmcnt(42) lgkmcnt(1)
	v_mul_f32_e32 v142, v133, v204
	v_fma_f32 v110, v119, v190, -v110
	v_fmac_f32_e32 v142, v134, v203
	v_add_f32_e32 v109, v109, v110
	v_mul_f32_e32 v110, v122, v183
	v_add_f32_e32 v141, v141, v142
	s_waitcnt vmcnt(40)
	v_mul_f32_e32 v142, v135, v206
	v_fma_f32 v110, v121, v191, -v110
	v_fmac_f32_e32 v142, v136, v205
	v_add_f32_e32 v109, v109, v110
	v_mul_f32_e32 v110, v124, v184
	v_add_f32_e32 v141, v141, v142
	s_waitcnt vmcnt(38) lgkmcnt(0)
	v_mul_f32_e32 v142, v137, v208
	v_fma_f32 v110, v123, v192, -v110
	v_fmac_f32_e32 v142, v138, v207
	v_add_f32_e32 v109, v109, v110
	v_mul_f32_e32 v110, v126, v193
	v_add_f32_e32 v145, v141, v142
	ds_read2_b64 v[141:144], v108 offset0:89 offset1:90
	v_fma_f32 v110, v125, v194, -v110
	v_add_f32_e32 v109, v109, v110
	v_mul_f32_e32 v110, v128, v195
	s_waitcnt vmcnt(36)
	v_mul_f32_e32 v146, v139, v210
	v_fma_f32 v110, v127, v196, -v110
	v_fmac_f32_e32 v146, v140, v209
	v_add_f32_e32 v109, v109, v110
	v_mul_f32_e32 v110, v130, v199
	v_add_f32_e32 v149, v145, v146
	ds_read2_b64 v[145:148], v108 offset0:91 offset1:92
	v_fma_f32 v110, v129, v200, -v110
	s_waitcnt vmcnt(34) lgkmcnt(1)
	v_mul_f32_e32 v150, v141, v212
	v_add_f32_e32 v109, v109, v110
	v_mul_f32_e32 v110, v132, v201
	v_fmac_f32_e32 v150, v142, v211
	v_fma_f32 v110, v131, v202, -v110
	v_add_f32_e32 v149, v149, v150
	s_waitcnt vmcnt(32)
	v_mul_f32_e32 v150, v143, v214
	v_add_f32_e32 v109, v109, v110
	v_mul_f32_e32 v110, v134, v204
	v_fmac_f32_e32 v150, v144, v213
	v_fma_f32 v110, v133, v203, -v110
	v_add_f32_e32 v149, v149, v150
	s_waitcnt vmcnt(30) lgkmcnt(0)
	v_mul_f32_e32 v150, v145, v216
	v_add_f32_e32 v109, v109, v110
	v_mul_f32_e32 v110, v136, v206
	v_fmac_f32_e32 v150, v146, v215
	v_fma_f32 v110, v135, v205, -v110
	v_add_f32_e32 v153, v149, v150
	ds_read2_b64 v[149:152], v108 offset0:93 offset1:94
	v_add_f32_e32 v109, v109, v110
	v_mul_f32_e32 v110, v138, v208
	v_fma_f32 v110, v137, v207, -v110
	s_waitcnt vmcnt(28)
	v_mul_f32_e32 v154, v147, v218
	v_add_f32_e32 v109, v109, v110
	v_mul_f32_e32 v110, v140, v210
	v_fmac_f32_e32 v154, v148, v217
	v_fma_f32 v110, v139, v209, -v110
	v_add_f32_e32 v157, v153, v154
	ds_read2_b64 v[153:156], v108 offset0:95 offset1:96
	v_add_f32_e32 v109, v109, v110
	v_mul_f32_e32 v110, v142, v212
	s_waitcnt vmcnt(26) lgkmcnt(1)
	v_mul_f32_e32 v158, v149, v220
	v_fma_f32 v110, v141, v211, -v110
	v_fmac_f32_e32 v158, v150, v219
	v_add_f32_e32 v109, v109, v110
	v_mul_f32_e32 v110, v144, v214
	v_add_f32_e32 v157, v157, v158
	s_waitcnt vmcnt(24)
	v_mul_f32_e32 v158, v151, v222
	v_fma_f32 v110, v143, v213, -v110
	v_fmac_f32_e32 v158, v152, v221
	v_add_f32_e32 v109, v109, v110
	v_mul_f32_e32 v110, v146, v216
	v_add_f32_e32 v157, v157, v158
	s_waitcnt vmcnt(22) lgkmcnt(0)
	v_mul_f32_e32 v158, v153, v224
	v_fma_f32 v110, v145, v215, -v110
	v_fmac_f32_e32 v158, v154, v223
	v_add_f32_e32 v109, v109, v110
	v_mul_f32_e32 v110, v148, v218
	v_add_f32_e32 v161, v157, v158
	ds_read2_b64 v[157:160], v108 offset0:97 offset1:98
	v_fma_f32 v110, v147, v217, -v110
	v_add_f32_e32 v109, v109, v110
	v_mul_f32_e32 v110, v150, v220
	s_waitcnt vmcnt(20)
	v_mul_f32_e32 v162, v155, v226
	v_fma_f32 v110, v149, v219, -v110
	v_fmac_f32_e32 v162, v156, v225
	v_add_f32_e32 v109, v109, v110
	v_mul_f32_e32 v110, v152, v222
	v_add_f32_e32 v165, v161, v162
	ds_read2_b64 v[161:164], v108 offset0:99 offset1:100
	v_fma_f32 v110, v151, v221, -v110
	s_waitcnt vmcnt(18) lgkmcnt(1)
	v_mul_f32_e32 v166, v157, v228
	v_add_f32_e32 v109, v109, v110
	v_mul_f32_e32 v110, v154, v224
	v_fmac_f32_e32 v166, v158, v227
	v_fma_f32 v110, v153, v223, -v110
	v_add_f32_e32 v165, v165, v166
	s_waitcnt vmcnt(16)
	v_mul_f32_e32 v166, v159, v230
	v_add_f32_e32 v109, v109, v110
	v_mul_f32_e32 v110, v156, v226
	v_fmac_f32_e32 v166, v160, v229
	v_fma_f32 v110, v155, v225, -v110
	v_add_f32_e32 v165, v165, v166
	s_waitcnt vmcnt(14) lgkmcnt(0)
	v_mul_f32_e32 v166, v161, v232
	v_add_f32_e32 v109, v109, v110
	v_mul_f32_e32 v110, v158, v228
	v_fmac_f32_e32 v166, v162, v231
	v_fma_f32 v110, v157, v227, -v110
	v_add_f32_e32 v169, v165, v166
	ds_read2_b64 v[165:168], v108 offset0:101 offset1:102
	v_add_f32_e32 v109, v109, v110
	v_mul_f32_e32 v110, v160, v230
	v_fma_f32 v110, v159, v229, -v110
	v_add_f32_e32 v109, v109, v110
	v_mul_f32_e32 v110, v162, v232
	s_waitcnt vmcnt(12)
	v_mul_f32_e32 v170, v163, v234
	v_fma_f32 v110, v161, v231, -v110
	v_fmac_f32_e32 v170, v164, v233
	v_add_f32_e32 v109, v109, v110
	v_mul_f32_e32 v110, v164, v234
	v_add_f32_e32 v173, v169, v170
	ds_read2_b64 v[169:172], v108 offset0:103 offset1:104
	s_waitcnt vmcnt(10) lgkmcnt(1)
	v_mul_f32_e32 v174, v165, v236
	v_fma_f32 v110, v163, v233, -v110
	v_fmac_f32_e32 v174, v166, v235
	v_add_f32_e32 v109, v109, v110
	v_mul_f32_e32 v110, v166, v236
	v_add_f32_e32 v173, v173, v174
	s_waitcnt vmcnt(9)
	v_mul_f32_e32 v174, v167, v237
	v_fma_f32 v110, v165, v235, -v110
	s_waitcnt vmcnt(8)
	v_fmac_f32_e32 v174, v168, v238
	v_add_f32_e32 v109, v109, v110
	v_mul_f32_e32 v110, v168, v237
	v_add_f32_e32 v247, v173, v174
	ds_read2_b64 v[173:176], v108 offset0:105 offset1:106
	v_fma_f32 v110, v167, v238, -v110
	v_add_f32_e32 v109, v109, v110
	s_waitcnt vmcnt(6) lgkmcnt(1)
	v_mul_f32_e32 v110, v170, v240
	v_mul_f32_e32 v248, v169, v240
	v_fma_f32 v110, v169, v239, -v110
	v_fmac_f32_e32 v248, v170, v239
	v_add_f32_e32 v109, v109, v110
	s_waitcnt vmcnt(4)
	v_mul_f32_e32 v110, v172, v242
	v_add_f32_e32 v108, v247, v248
	v_mul_f32_e32 v247, v171, v242
	v_fma_f32 v110, v171, v241, -v110
	v_fmac_f32_e32 v247, v172, v241
	v_add_f32_e32 v109, v109, v110
	s_waitcnt vmcnt(3) lgkmcnt(0)
	v_mul_f32_e32 v110, v174, v243
	v_add_f32_e32 v108, v108, v247
	v_mul_f32_e32 v247, v173, v243
	s_waitcnt vmcnt(2)
	v_fma_f32 v110, v173, v244, -v110
	v_fmac_f32_e32 v247, v174, v244
	v_add_f32_e32 v109, v109, v110
	s_waitcnt vmcnt(0)
	v_mul_f32_e32 v110, v176, v246
	v_add_f32_e32 v108, v108, v247
	v_mul_f32_e32 v247, v175, v246
	v_fma_f32 v110, v175, v245, -v110
	v_fmac_f32_e32 v247, v176, v245
	v_add_f32_e32 v109, v109, v110
	v_add_f32_e32 v108, v108, v247
	v_sub_f32_e32 v109, v197, v109
	v_sub_f32_e32 v108, v198, v108
	buffer_store_dword v109, off, s[0:3], 0 offset:144
	buffer_store_dword v108, off, s[0:3], 0 offset:148
	s_and_saveexec_b64 s[4:5], vcc
	s_cbranch_execz .LBB116_297
; %bb.296:
	buffer_load_dword v108, off, s[0:3], 0 offset:136
	buffer_load_dword v109, off, s[0:3], 0 offset:140
	v_mov_b32_e32 v110, 0
	buffer_store_dword v110, off, s[0:3], 0 offset:136
	buffer_store_dword v110, off, s[0:3], 0 offset:140
	s_waitcnt vmcnt(2)
	ds_write_b64 v107, v[108:109]
.LBB116_297:
	s_or_b64 exec, exec, s[4:5]
	s_waitcnt lgkmcnt(0)
	; wave barrier
	buffer_load_dword v179, off, s[0:3], 0 offset:148
	buffer_load_dword v180, off, s[0:3], 0 offset:156
	;; [unrolled: 1-line block ×56, first 2 shown]
	v_mov_b32_e32 v108, 0
	ds_read_b128 v[109:112], v108 offset:576
	ds_read_b128 v[113:116], v108 offset:592
	;; [unrolled: 1-line block ×6, first 2 shown]
	buffer_load_dword v235, off, s[0:3], 0 offset:360
	buffer_load_dword v236, off, s[0:3], 0 offset:364
	;; [unrolled: 1-line block ×12, first 2 shown]
	v_cmp_lt_u32_e32 vcc, 16, v0
	s_waitcnt vmcnt(62) lgkmcnt(5)
	v_mul_f32_e32 v133, v109, v179
	v_mul_f32_e32 v134, v111, v180
	s_waitcnt lgkmcnt(4)
	v_mul_f32_e32 v135, v113, v181
	v_mul_f32_e32 v136, v115, v182
	s_waitcnt lgkmcnt(3)
	v_mul_f32_e32 v137, v117, v183
	v_mul_f32_e32 v138, v119, v184
	s_waitcnt vmcnt(61) lgkmcnt(2)
	v_mul_f32_e32 v139, v121, v185
	s_waitcnt vmcnt(60)
	v_mul_f32_e32 v140, v123, v186
	s_waitcnt vmcnt(59) lgkmcnt(1)
	v_mul_f32_e32 v141, v125, v187
	s_waitcnt vmcnt(58)
	v_fmac_f32_e32 v133, v110, v188
	s_waitcnt vmcnt(57)
	v_fmac_f32_e32 v134, v112, v189
	v_add_f32_e32 v133, 0, v133
	s_waitcnt vmcnt(56)
	v_fmac_f32_e32 v135, v114, v190
	v_add_f32_e32 v133, v133, v134
	;; [unrolled: 3-line block ×7, first 2 shown]
	v_add_f32_e32 v133, v133, v140
	s_waitcnt vmcnt(50)
	v_fmac_f32_e32 v141, v126, v196
	s_waitcnt vmcnt(49)
	v_mul_f32_e32 v134, v127, v197
	v_add_f32_e32 v133, v133, v141
	s_waitcnt vmcnt(48)
	v_fmac_f32_e32 v134, v128, v198
	v_add_f32_e32 v133, v133, v134
	s_waitcnt vmcnt(47) lgkmcnt(0)
	v_mul_f32_e32 v134, v129, v199
	s_waitcnt vmcnt(44)
	v_fmac_f32_e32 v134, v130, v202
	v_add_f32_e32 v137, v133, v134
	ds_read_b128 v[133:136], v108 offset:672
	buffer_load_dword v247, off, s[0:3], 0 offset:412
	buffer_load_dword v248, off, s[0:3], 0 offset:408
	buffer_load_dword v249, off, s[0:3], 0 offset:416
	buffer_load_dword v250, off, s[0:3], 0 offset:420
	v_mul_f32_e32 v110, v110, v179
	v_fma_f32 v109, v109, v188, -v110
	v_mul_f32_e32 v110, v112, v180
	v_add_f32_e32 v109, 0, v109
	v_fma_f32 v110, v111, v189, -v110
	v_add_f32_e32 v109, v109, v110
	v_mul_f32_e32 v110, v114, v181
	v_fma_f32 v110, v113, v190, -v110
	s_waitcnt vmcnt(46)
	v_mul_f32_e32 v138, v131, v204
	v_add_f32_e32 v109, v109, v110
	v_mul_f32_e32 v110, v116, v182
	v_fmac_f32_e32 v138, v132, v203
	v_fma_f32 v110, v115, v191, -v110
	v_add_f32_e32 v141, v137, v138
	ds_read_b128 v[137:140], v108 offset:688
	v_add_f32_e32 v109, v109, v110
	v_mul_f32_e32 v110, v118, v183
	s_waitcnt vmcnt(44) lgkmcnt(1)
	v_mul_f32_e32 v142, v133, v206
	v_fma_f32 v110, v117, v192, -v110
	v_fmac_f32_e32 v142, v134, v205
	v_add_f32_e32 v109, v109, v110
	v_mul_f32_e32 v110, v120, v184
	v_add_f32_e32 v141, v141, v142
	s_waitcnt vmcnt(42)
	v_mul_f32_e32 v142, v135, v208
	v_fma_f32 v110, v119, v193, -v110
	v_fmac_f32_e32 v142, v136, v207
	v_add_f32_e32 v109, v109, v110
	v_mul_f32_e32 v110, v122, v185
	v_add_f32_e32 v141, v141, v142
	s_waitcnt vmcnt(40) lgkmcnt(0)
	v_mul_f32_e32 v142, v137, v210
	v_fma_f32 v110, v121, v194, -v110
	v_fmac_f32_e32 v142, v138, v209
	v_add_f32_e32 v109, v109, v110
	v_mul_f32_e32 v110, v124, v186
	v_add_f32_e32 v145, v141, v142
	ds_read_b128 v[141:144], v108 offset:704
	v_fma_f32 v110, v123, v195, -v110
	v_add_f32_e32 v109, v109, v110
	v_mul_f32_e32 v110, v126, v187
	s_waitcnt vmcnt(38)
	v_mul_f32_e32 v146, v139, v212
	v_fma_f32 v110, v125, v196, -v110
	v_fmac_f32_e32 v146, v140, v211
	v_add_f32_e32 v109, v109, v110
	v_mul_f32_e32 v110, v128, v197
	v_add_f32_e32 v149, v145, v146
	ds_read_b128 v[145:148], v108 offset:720
	v_fma_f32 v110, v127, v198, -v110
	s_waitcnt vmcnt(36) lgkmcnt(1)
	v_mul_f32_e32 v150, v141, v214
	v_add_f32_e32 v109, v109, v110
	v_mul_f32_e32 v110, v130, v199
	v_fmac_f32_e32 v150, v142, v213
	v_fma_f32 v110, v129, v202, -v110
	v_add_f32_e32 v149, v149, v150
	s_waitcnt vmcnt(34)
	v_mul_f32_e32 v150, v143, v216
	v_add_f32_e32 v109, v109, v110
	v_mul_f32_e32 v110, v132, v204
	v_fmac_f32_e32 v150, v144, v215
	v_fma_f32 v110, v131, v203, -v110
	v_add_f32_e32 v149, v149, v150
	s_waitcnt vmcnt(32) lgkmcnt(0)
	v_mul_f32_e32 v150, v145, v218
	v_add_f32_e32 v109, v109, v110
	v_mul_f32_e32 v110, v134, v206
	v_fmac_f32_e32 v150, v146, v217
	v_fma_f32 v110, v133, v205, -v110
	v_add_f32_e32 v153, v149, v150
	ds_read_b128 v[149:152], v108 offset:736
	v_add_f32_e32 v109, v109, v110
	v_mul_f32_e32 v110, v136, v208
	v_fma_f32 v110, v135, v207, -v110
	s_waitcnt vmcnt(30)
	v_mul_f32_e32 v154, v147, v220
	v_add_f32_e32 v109, v109, v110
	v_mul_f32_e32 v110, v138, v210
	v_fmac_f32_e32 v154, v148, v219
	v_fma_f32 v110, v137, v209, -v110
	v_add_f32_e32 v157, v153, v154
	ds_read_b128 v[153:156], v108 offset:752
	v_add_f32_e32 v109, v109, v110
	v_mul_f32_e32 v110, v140, v212
	s_waitcnt vmcnt(28) lgkmcnt(1)
	v_mul_f32_e32 v158, v149, v222
	v_fma_f32 v110, v139, v211, -v110
	v_fmac_f32_e32 v158, v150, v221
	v_add_f32_e32 v109, v109, v110
	v_mul_f32_e32 v110, v142, v214
	v_add_f32_e32 v157, v157, v158
	s_waitcnt vmcnt(26)
	v_mul_f32_e32 v158, v151, v224
	v_fma_f32 v110, v141, v213, -v110
	v_fmac_f32_e32 v158, v152, v223
	v_add_f32_e32 v109, v109, v110
	v_mul_f32_e32 v110, v144, v216
	v_add_f32_e32 v157, v157, v158
	s_waitcnt vmcnt(24) lgkmcnt(0)
	v_mul_f32_e32 v158, v153, v226
	v_fma_f32 v110, v143, v215, -v110
	v_fmac_f32_e32 v158, v154, v225
	v_add_f32_e32 v109, v109, v110
	v_mul_f32_e32 v110, v146, v218
	v_add_f32_e32 v161, v157, v158
	ds_read_b128 v[157:160], v108 offset:768
	v_fma_f32 v110, v145, v217, -v110
	v_add_f32_e32 v109, v109, v110
	v_mul_f32_e32 v110, v148, v220
	s_waitcnt vmcnt(22)
	v_mul_f32_e32 v162, v155, v228
	v_fma_f32 v110, v147, v219, -v110
	v_fmac_f32_e32 v162, v156, v227
	v_add_f32_e32 v109, v109, v110
	v_mul_f32_e32 v110, v150, v222
	v_add_f32_e32 v165, v161, v162
	ds_read_b128 v[161:164], v108 offset:784
	v_fma_f32 v110, v149, v221, -v110
	s_waitcnt vmcnt(20) lgkmcnt(1)
	v_mul_f32_e32 v166, v157, v230
	v_add_f32_e32 v109, v109, v110
	v_mul_f32_e32 v110, v152, v224
	v_fmac_f32_e32 v166, v158, v229
	v_fma_f32 v110, v151, v223, -v110
	v_add_f32_e32 v165, v165, v166
	s_waitcnt vmcnt(18)
	v_mul_f32_e32 v166, v159, v232
	v_add_f32_e32 v109, v109, v110
	v_mul_f32_e32 v110, v154, v226
	v_fmac_f32_e32 v166, v160, v231
	v_fma_f32 v110, v153, v225, -v110
	v_add_f32_e32 v165, v165, v166
	s_waitcnt vmcnt(16) lgkmcnt(0)
	v_mul_f32_e32 v166, v161, v234
	v_add_f32_e32 v109, v109, v110
	v_mul_f32_e32 v110, v156, v228
	v_fmac_f32_e32 v166, v162, v233
	v_fma_f32 v110, v155, v227, -v110
	v_add_f32_e32 v169, v165, v166
	ds_read_b128 v[165:168], v108 offset:800
	v_add_f32_e32 v109, v109, v110
	v_mul_f32_e32 v110, v158, v230
	v_fma_f32 v110, v157, v229, -v110
	s_waitcnt vmcnt(14)
	v_mul_f32_e32 v170, v163, v236
	v_add_f32_e32 v109, v109, v110
	v_mul_f32_e32 v110, v160, v232
	v_fmac_f32_e32 v170, v164, v235
	v_fma_f32 v110, v159, v231, -v110
	v_add_f32_e32 v173, v169, v170
	ds_read_b128 v[169:172], v108 offset:816
	v_add_f32_e32 v109, v109, v110
	v_mul_f32_e32 v110, v162, v234
	s_waitcnt vmcnt(12) lgkmcnt(1)
	v_mul_f32_e32 v174, v165, v238
	v_fma_f32 v110, v161, v233, -v110
	v_fmac_f32_e32 v174, v166, v237
	v_add_f32_e32 v109, v109, v110
	v_mul_f32_e32 v110, v164, v236
	v_add_f32_e32 v173, v173, v174
	s_waitcnt vmcnt(11)
	v_mul_f32_e32 v174, v167, v239
	v_fma_f32 v110, v163, v235, -v110
	s_waitcnt vmcnt(10)
	v_fmac_f32_e32 v174, v168, v240
	v_add_f32_e32 v109, v109, v110
	v_mul_f32_e32 v110, v166, v238
	v_add_f32_e32 v173, v173, v174
	s_waitcnt vmcnt(8) lgkmcnt(0)
	v_mul_f32_e32 v174, v169, v242
	v_fma_f32 v110, v165, v237, -v110
	v_fmac_f32_e32 v174, v170, v241
	v_add_f32_e32 v109, v109, v110
	v_mul_f32_e32 v110, v168, v239
	v_add_f32_e32 v177, v173, v174
	ds_read_b128 v[173:176], v108 offset:832
	v_fma_f32 v110, v167, v240, -v110
	v_add_f32_e32 v109, v109, v110
	v_mul_f32_e32 v110, v170, v242
	s_waitcnt vmcnt(6)
	v_mul_f32_e32 v178, v171, v244
	v_fma_f32 v110, v169, v241, -v110
	v_fmac_f32_e32 v178, v172, v243
	v_add_f32_e32 v109, v109, v110
	v_mul_f32_e32 v110, v172, v244
	v_add_f32_e32 v251, v177, v178
	ds_read_b64 v[177:178], v108 offset:848
	v_fma_f32 v110, v171, v243, -v110
	v_add_f32_e32 v109, v109, v110
	s_waitcnt vmcnt(4) lgkmcnt(1)
	v_mul_f32_e32 v110, v174, v246
	v_mul_f32_e32 v252, v173, v246
	v_fma_f32 v110, v173, v245, -v110
	v_fmac_f32_e32 v252, v174, v245
	v_add_f32_e32 v109, v109, v110
	s_waitcnt vmcnt(3)
	v_mul_f32_e32 v110, v176, v247
	v_add_f32_e32 v251, v251, v252
	v_mul_f32_e32 v252, v175, v247
	s_waitcnt vmcnt(2)
	v_fma_f32 v110, v175, v248, -v110
	v_fmac_f32_e32 v252, v176, v248
	v_add_f32_e32 v109, v109, v110
	s_waitcnt vmcnt(0) lgkmcnt(0)
	v_mul_f32_e32 v110, v178, v250
	v_add_f32_e32 v251, v251, v252
	v_mul_f32_e32 v252, v177, v250
	v_fma_f32 v110, v177, v249, -v110
	v_fmac_f32_e32 v252, v178, v249
	v_add_f32_e32 v109, v109, v110
	v_add_f32_e32 v251, v251, v252
	v_sub_f32_e32 v109, v200, v109
	v_sub_f32_e32 v110, v201, v251
	buffer_store_dword v109, off, s[0:3], 0 offset:136
	buffer_store_dword v110, off, s[0:3], 0 offset:140
	s_and_saveexec_b64 s[4:5], vcc
	s_cbranch_execz .LBB116_299
; %bb.298:
	buffer_load_dword v109, off, s[0:3], 0 offset:128
	buffer_load_dword v110, off, s[0:3], 0 offset:132
	s_waitcnt vmcnt(0)
	ds_write_b64 v107, v[109:110]
	buffer_store_dword v108, off, s[0:3], 0 offset:128
	buffer_store_dword v108, off, s[0:3], 0 offset:132
.LBB116_299:
	s_or_b64 exec, exec, s[4:5]
	s_waitcnt lgkmcnt(0)
	; wave barrier
	buffer_load_dword v181, off, s[0:3], 0 offset:140
	buffer_load_dword v182, off, s[0:3], 0 offset:148
	;; [unrolled: 1-line block ×26, first 2 shown]
	ds_read2_b64 v[109:112], v108 offset0:71 offset1:72
	ds_read2_b64 v[113:116], v108 offset0:73 offset1:74
	;; [unrolled: 1-line block ×6, first 2 shown]
	buffer_load_dword v207, off, s[0:3], 0 offset:232
	buffer_load_dword v208, off, s[0:3], 0 offset:236
	;; [unrolled: 1-line block ×46, first 2 shown]
	v_cmp_lt_u32_e32 vcc, 15, v0
	s_waitcnt vmcnt(62) lgkmcnt(5)
	v_mul_f32_e32 v133, v109, v181
	v_mul_f32_e32 v134, v111, v182
	s_waitcnt lgkmcnt(4)
	v_mul_f32_e32 v135, v113, v183
	v_mul_f32_e32 v136, v115, v184
	s_waitcnt lgkmcnt(3)
	;; [unrolled: 3-line block ×4, first 2 shown]
	v_mul_f32_e32 v141, v125, v189
	v_fmac_f32_e32 v135, v114, v190
	s_waitcnt vmcnt(61)
	v_fmac_f32_e32 v134, v112, v191
	s_waitcnt vmcnt(60)
	v_fmac_f32_e32 v133, v110, v192
	v_add_f32_e32 v133, 0, v133
	v_add_f32_e32 v133, v133, v134
	;; [unrolled: 1-line block ×3, first 2 shown]
	s_waitcnt vmcnt(56)
	v_fmac_f32_e32 v136, v116, v196
	v_fmac_f32_e32 v137, v118, v195
	v_add_f32_e32 v133, v133, v136
	v_fmac_f32_e32 v138, v120, v194
	v_add_f32_e32 v133, v133, v137
	;; [unrolled: 2-line block ×3, first 2 shown]
	s_waitcnt vmcnt(52)
	v_fmac_f32_e32 v140, v124, v200
	v_add_f32_e32 v133, v133, v139
	v_fmac_f32_e32 v141, v126, v199
	v_add_f32_e32 v133, v133, v140
	s_waitcnt vmcnt(51)
	v_mul_f32_e32 v134, v127, v201
	v_add_f32_e32 v133, v133, v141
	v_fmac_f32_e32 v134, v128, v198
	v_add_f32_e32 v133, v133, v134
	s_waitcnt vmcnt(50) lgkmcnt(0)
	v_mul_f32_e32 v134, v129, v202
	v_fmac_f32_e32 v134, v130, v197
	s_waitcnt vmcnt(46)
	v_mul_f32_e32 v138, v131, v206
	v_add_f32_e32 v137, v133, v134
	v_fmac_f32_e32 v138, v132, v205
	ds_read2_b64 v[133:136], v108 offset0:83 offset1:84
	v_add_f32_e32 v141, v137, v138
	ds_read2_b64 v[137:140], v108 offset0:85 offset1:86
	buffer_load_dword v253, off, s[0:3], 0 offset:416
	buffer_load_dword v254, off, s[0:3], 0 offset:420
	v_mul_f32_e32 v110, v110, v181
	v_fma_f32 v109, v109, v192, -v110
	v_mul_f32_e32 v110, v112, v182
	v_add_f32_e32 v109, 0, v109
	v_fma_f32 v110, v111, v191, -v110
	v_add_f32_e32 v109, v109, v110
	v_mul_f32_e32 v110, v114, v183
	v_fma_f32 v110, v113, v190, -v110
	v_add_f32_e32 v109, v109, v110
	v_mul_f32_e32 v110, v116, v184
	;; [unrolled: 3-line block ×3, first 2 shown]
	s_waitcnt vmcnt(46) lgkmcnt(1)
	v_mul_f32_e32 v142, v133, v208
	v_fma_f32 v110, v117, v195, -v110
	v_fmac_f32_e32 v142, v134, v207
	v_add_f32_e32 v109, v109, v110
	v_mul_f32_e32 v110, v120, v186
	v_add_f32_e32 v141, v141, v142
	s_waitcnt vmcnt(44)
	v_mul_f32_e32 v142, v135, v210
	v_fma_f32 v110, v119, v194, -v110
	v_fmac_f32_e32 v142, v136, v209
	v_add_f32_e32 v109, v109, v110
	v_mul_f32_e32 v110, v122, v187
	v_add_f32_e32 v141, v141, v142
	s_waitcnt vmcnt(42) lgkmcnt(0)
	v_mul_f32_e32 v142, v137, v212
	v_fma_f32 v110, v121, v193, -v110
	v_fmac_f32_e32 v142, v138, v211
	v_add_f32_e32 v109, v109, v110
	v_mul_f32_e32 v110, v124, v188
	v_add_f32_e32 v145, v141, v142
	ds_read2_b64 v[141:144], v108 offset0:87 offset1:88
	v_fma_f32 v110, v123, v200, -v110
	v_add_f32_e32 v109, v109, v110
	v_mul_f32_e32 v110, v126, v189
	s_waitcnt vmcnt(40)
	v_mul_f32_e32 v146, v139, v214
	v_fma_f32 v110, v125, v199, -v110
	v_fmac_f32_e32 v146, v140, v213
	v_add_f32_e32 v109, v109, v110
	v_mul_f32_e32 v110, v128, v201
	v_add_f32_e32 v149, v145, v146
	ds_read2_b64 v[145:148], v108 offset0:89 offset1:90
	v_fma_f32 v110, v127, v198, -v110
	s_waitcnt vmcnt(38) lgkmcnt(1)
	v_mul_f32_e32 v150, v141, v216
	v_add_f32_e32 v109, v109, v110
	v_mul_f32_e32 v110, v130, v202
	v_fmac_f32_e32 v150, v142, v215
	v_fma_f32 v110, v129, v197, -v110
	v_add_f32_e32 v149, v149, v150
	s_waitcnt vmcnt(36)
	v_mul_f32_e32 v150, v143, v218
	v_add_f32_e32 v109, v109, v110
	v_mul_f32_e32 v110, v132, v206
	v_fmac_f32_e32 v150, v144, v217
	v_fma_f32 v110, v131, v205, -v110
	v_add_f32_e32 v149, v149, v150
	s_waitcnt vmcnt(34) lgkmcnt(0)
	v_mul_f32_e32 v150, v145, v220
	v_add_f32_e32 v109, v109, v110
	v_mul_f32_e32 v110, v134, v208
	v_fmac_f32_e32 v150, v146, v219
	v_fma_f32 v110, v133, v207, -v110
	v_add_f32_e32 v153, v149, v150
	ds_read2_b64 v[149:152], v108 offset0:91 offset1:92
	v_add_f32_e32 v109, v109, v110
	v_mul_f32_e32 v110, v136, v210
	v_fma_f32 v110, v135, v209, -v110
	s_waitcnt vmcnt(32)
	v_mul_f32_e32 v154, v147, v222
	v_add_f32_e32 v109, v109, v110
	v_mul_f32_e32 v110, v138, v212
	v_fmac_f32_e32 v154, v148, v221
	v_fma_f32 v110, v137, v211, -v110
	v_add_f32_e32 v157, v153, v154
	ds_read2_b64 v[153:156], v108 offset0:93 offset1:94
	v_add_f32_e32 v109, v109, v110
	v_mul_f32_e32 v110, v140, v214
	s_waitcnt vmcnt(30) lgkmcnt(1)
	v_mul_f32_e32 v158, v149, v224
	v_fma_f32 v110, v139, v213, -v110
	v_fmac_f32_e32 v158, v150, v223
	v_add_f32_e32 v109, v109, v110
	v_mul_f32_e32 v110, v142, v216
	v_add_f32_e32 v157, v157, v158
	s_waitcnt vmcnt(28)
	v_mul_f32_e32 v158, v151, v226
	v_fma_f32 v110, v141, v215, -v110
	v_fmac_f32_e32 v158, v152, v225
	v_add_f32_e32 v109, v109, v110
	v_mul_f32_e32 v110, v144, v218
	v_add_f32_e32 v157, v157, v158
	s_waitcnt vmcnt(26) lgkmcnt(0)
	v_mul_f32_e32 v158, v153, v228
	v_fma_f32 v110, v143, v217, -v110
	v_fmac_f32_e32 v158, v154, v227
	v_add_f32_e32 v109, v109, v110
	v_mul_f32_e32 v110, v146, v220
	v_add_f32_e32 v161, v157, v158
	ds_read2_b64 v[157:160], v108 offset0:95 offset1:96
	v_fma_f32 v110, v145, v219, -v110
	v_add_f32_e32 v109, v109, v110
	v_mul_f32_e32 v110, v148, v222
	s_waitcnt vmcnt(24)
	v_mul_f32_e32 v162, v155, v230
	v_fma_f32 v110, v147, v221, -v110
	v_fmac_f32_e32 v162, v156, v229
	v_add_f32_e32 v109, v109, v110
	v_mul_f32_e32 v110, v150, v224
	v_add_f32_e32 v165, v161, v162
	ds_read2_b64 v[161:164], v108 offset0:97 offset1:98
	v_fma_f32 v110, v149, v223, -v110
	s_waitcnt vmcnt(22) lgkmcnt(1)
	v_mul_f32_e32 v166, v157, v232
	v_add_f32_e32 v109, v109, v110
	v_mul_f32_e32 v110, v152, v226
	v_fmac_f32_e32 v166, v158, v231
	v_fma_f32 v110, v151, v225, -v110
	v_add_f32_e32 v165, v165, v166
	s_waitcnt vmcnt(20)
	v_mul_f32_e32 v166, v159, v234
	v_add_f32_e32 v109, v109, v110
	v_mul_f32_e32 v110, v154, v228
	v_fmac_f32_e32 v166, v160, v233
	v_fma_f32 v110, v153, v227, -v110
	v_add_f32_e32 v165, v165, v166
	s_waitcnt vmcnt(18) lgkmcnt(0)
	v_mul_f32_e32 v166, v161, v236
	v_add_f32_e32 v109, v109, v110
	v_mul_f32_e32 v110, v156, v230
	v_fmac_f32_e32 v166, v162, v235
	v_fma_f32 v110, v155, v229, -v110
	v_add_f32_e32 v169, v165, v166
	ds_read2_b64 v[165:168], v108 offset0:99 offset1:100
	v_add_f32_e32 v109, v109, v110
	v_mul_f32_e32 v110, v158, v232
	v_fma_f32 v110, v157, v231, -v110
	s_waitcnt vmcnt(16)
	v_mul_f32_e32 v170, v163, v238
	v_add_f32_e32 v109, v109, v110
	v_mul_f32_e32 v110, v160, v234
	v_fmac_f32_e32 v170, v164, v237
	v_fma_f32 v110, v159, v233, -v110
	v_add_f32_e32 v173, v169, v170
	ds_read2_b64 v[169:172], v108 offset0:101 offset1:102
	v_add_f32_e32 v109, v109, v110
	v_mul_f32_e32 v110, v162, v236
	s_waitcnt vmcnt(14) lgkmcnt(1)
	v_mul_f32_e32 v174, v165, v240
	v_fma_f32 v110, v161, v235, -v110
	v_fmac_f32_e32 v174, v166, v239
	v_add_f32_e32 v109, v109, v110
	v_mul_f32_e32 v110, v164, v238
	v_add_f32_e32 v173, v173, v174
	s_waitcnt vmcnt(13)
	v_mul_f32_e32 v174, v167, v241
	v_fma_f32 v110, v163, v237, -v110
	s_waitcnt vmcnt(10)
	v_fmac_f32_e32 v174, v168, v244
	v_add_f32_e32 v109, v109, v110
	v_mul_f32_e32 v110, v166, v240
	v_add_f32_e32 v173, v173, v174
	s_waitcnt lgkmcnt(0)
	v_mul_f32_e32 v174, v169, v243
	v_fma_f32 v110, v165, v239, -v110
	v_fmac_f32_e32 v174, v170, v242
	v_add_f32_e32 v109, v109, v110
	v_mul_f32_e32 v110, v168, v241
	v_add_f32_e32 v177, v173, v174
	ds_read2_b64 v[173:176], v108 offset0:103 offset1:104
	v_fma_f32 v110, v167, v244, -v110
	v_add_f32_e32 v109, v109, v110
	v_mul_f32_e32 v110, v170, v243
	s_waitcnt vmcnt(8)
	v_mul_f32_e32 v178, v171, v246
	v_fma_f32 v110, v169, v242, -v110
	v_fmac_f32_e32 v178, v172, v245
	v_add_f32_e32 v109, v109, v110
	v_mul_f32_e32 v110, v172, v246
	v_add_f32_e32 v255, v177, v178
	ds_read2_b64 v[177:180], v108 offset0:105 offset1:106
	v_fma_f32 v110, v171, v245, -v110
	v_add_f32_e32 v109, v109, v110
	s_waitcnt vmcnt(6) lgkmcnt(1)
	v_mul_f32_e32 v110, v174, v248
	v_mul_f32_e32 v108, v173, v248
	v_fma_f32 v110, v173, v247, -v110
	v_fmac_f32_e32 v108, v174, v247
	v_add_f32_e32 v109, v109, v110
	s_waitcnt vmcnt(5)
	v_mul_f32_e32 v110, v176, v249
	v_add_f32_e32 v108, v255, v108
	v_mul_f32_e32 v255, v175, v249
	s_waitcnt vmcnt(2)
	v_fma_f32 v110, v175, v252, -v110
	v_fmac_f32_e32 v255, v176, v252
	v_add_f32_e32 v109, v109, v110
	s_waitcnt lgkmcnt(0)
	v_mul_f32_e32 v110, v178, v251
	v_add_f32_e32 v108, v108, v255
	v_mul_f32_e32 v255, v177, v251
	v_fma_f32 v110, v177, v250, -v110
	v_fmac_f32_e32 v255, v178, v250
	v_add_f32_e32 v109, v109, v110
	s_waitcnt vmcnt(0)
	v_mul_f32_e32 v110, v180, v254
	v_add_f32_e32 v108, v108, v255
	v_mul_f32_e32 v255, v179, v254
	v_fma_f32 v110, v179, v253, -v110
	v_fmac_f32_e32 v255, v180, v253
	v_add_f32_e32 v109, v109, v110
	v_add_f32_e32 v108, v108, v255
	v_sub_f32_e32 v109, v203, v109
	v_sub_f32_e32 v108, v204, v108
	buffer_store_dword v109, off, s[0:3], 0 offset:128
	buffer_store_dword v108, off, s[0:3], 0 offset:132
	s_and_saveexec_b64 s[4:5], vcc
	s_cbranch_execz .LBB116_301
; %bb.300:
	buffer_load_dword v108, off, s[0:3], 0 offset:120
	buffer_load_dword v109, off, s[0:3], 0 offset:124
	v_mov_b32_e32 v110, 0
	buffer_store_dword v110, off, s[0:3], 0 offset:120
	buffer_store_dword v110, off, s[0:3], 0 offset:124
	s_waitcnt vmcnt(2)
	ds_write_b64 v107, v[108:109]
.LBB116_301:
	s_or_b64 exec, exec, s[4:5]
	s_waitcnt lgkmcnt(0)
	; wave barrier
	buffer_load_dword v183, off, s[0:3], 0 offset:132
	buffer_load_dword v184, off, s[0:3], 0 offset:140
	;; [unrolled: 1-line block ×50, first 2 shown]
	v_mov_b32_e32 v108, 0
	ds_read_b128 v[109:112], v108 offset:560
	ds_read_b128 v[113:116], v108 offset:576
	;; [unrolled: 1-line block ×6, first 2 shown]
	buffer_load_dword v233, off, s[0:3], 0 offset:320
	buffer_load_dword v234, off, s[0:3], 0 offset:324
	buffer_load_dword v235, off, s[0:3], 0 offset:332
	buffer_load_dword v236, off, s[0:3], 0 offset:336
	buffer_load_dword v237, off, s[0:3], 0 offset:340
	buffer_load_dword v238, off, s[0:3], 0 offset:328
	buffer_load_dword v239, off, s[0:3], 0 offset:344
	buffer_load_dword v240, off, s[0:3], 0 offset:348
	buffer_load_dword v241, off, s[0:3], 0 offset:352
	buffer_load_dword v242, off, s[0:3], 0 offset:356
	buffer_load_dword v243, off, s[0:3], 0 offset:364
	buffer_load_dword v244, off, s[0:3], 0 offset:368
	buffer_load_dword v245, off, s[0:3], 0 offset:372
	buffer_load_dword v246, off, s[0:3], 0 offset:360
	buffer_load_dword v247, off, s[0:3], 0 offset:376
	buffer_load_dword v248, off, s[0:3], 0 offset:380
	v_cmp_lt_u32_e32 vcc, 14, v0
	s_waitcnt vmcnt(62) lgkmcnt(5)
	v_mul_f32_e32 v133, v109, v183
	v_mul_f32_e32 v134, v111, v184
	s_waitcnt lgkmcnt(4)
	v_mul_f32_e32 v135, v113, v185
	v_mul_f32_e32 v136, v115, v186
	s_waitcnt vmcnt(61) lgkmcnt(3)
	v_mul_f32_e32 v137, v117, v187
	s_waitcnt vmcnt(60)
	v_mul_f32_e32 v138, v119, v188
	s_waitcnt vmcnt(59) lgkmcnt(2)
	v_mul_f32_e32 v139, v121, v189
	s_waitcnt vmcnt(58)
	v_mul_f32_e32 v140, v123, v190
	s_waitcnt vmcnt(57) lgkmcnt(1)
	v_mul_f32_e32 v141, v125, v191
	s_waitcnt vmcnt(56)
	v_fmac_f32_e32 v135, v114, v192
	s_waitcnt vmcnt(55)
	v_fmac_f32_e32 v134, v112, v193
	s_waitcnt vmcnt(54)
	v_fmac_f32_e32 v133, v110, v194
	v_add_f32_e32 v133, 0, v133
	v_add_f32_e32 v133, v133, v134
	;; [unrolled: 1-line block ×3, first 2 shown]
	s_waitcnt vmcnt(50)
	v_fmac_f32_e32 v136, v116, v198
	v_fmac_f32_e32 v137, v118, v197
	v_add_f32_e32 v133, v133, v136
	v_fmac_f32_e32 v138, v120, v196
	v_add_f32_e32 v133, v133, v137
	;; [unrolled: 2-line block ×3, first 2 shown]
	s_waitcnt vmcnt(46)
	v_fmac_f32_e32 v140, v124, v202
	v_add_f32_e32 v133, v133, v139
	v_fmac_f32_e32 v141, v126, v201
	v_add_f32_e32 v133, v133, v140
	s_waitcnt vmcnt(45)
	v_mul_f32_e32 v134, v127, v203
	v_add_f32_e32 v133, v133, v141
	v_fmac_f32_e32 v134, v128, v200
	v_add_f32_e32 v133, v133, v134
	s_waitcnt vmcnt(44) lgkmcnt(0)
	v_mul_f32_e32 v134, v129, v204
	v_fmac_f32_e32 v134, v130, v199
	v_add_f32_e32 v137, v133, v134
	ds_read_b128 v[133:136], v108 offset:656
	buffer_load_dword v249, off, s[0:3], 0 offset:384
	buffer_load_dword v250, off, s[0:3], 0 offset:388
	;; [unrolled: 1-line block ×6, first 2 shown]
	s_waitcnt vmcnt(49)
	v_mul_f32_e32 v138, v131, v205
	s_waitcnt vmcnt(42)
	v_fmac_f32_e32 v138, v132, v212
	v_add_f32_e32 v141, v137, v138
	ds_read_b128 v[137:140], v108 offset:672
	buffer_load_dword v255, off, s[0:3], 0 offset:412
	buffer_load_dword v3, off, s[0:3], 0 offset:416
	;; [unrolled: 1-line block ×4, first 2 shown]
	s_waitcnt lgkmcnt(1)
	v_mul_f32_e32 v142, v133, v207
	v_fmac_f32_e32 v142, v134, v206
	v_add_f32_e32 v6, v141, v142
	v_mul_f32_e32 v141, v135, v209
	v_fmac_f32_e32 v141, v136, v208
	v_add_f32_e32 v6, v6, v141
	s_waitcnt lgkmcnt(0)
	v_mul_f32_e32 v141, v137, v211
	v_fmac_f32_e32 v141, v138, v210
	v_add_f32_e32 v6, v6, v141
	ds_read_b128 v[141:144], v108 offset:688
	s_waitcnt vmcnt(42)
	v_mul_f32_e32 v145, v139, v216
	v_fmac_f32_e32 v145, v140, v215
	v_add_f32_e32 v6, v6, v145
	ds_read_b128 v[145:148], v108 offset:704
	s_waitcnt vmcnt(40) lgkmcnt(1)
	v_mul_f32_e32 v149, v141, v218
	v_fmac_f32_e32 v149, v142, v217
	v_add_f32_e32 v6, v6, v149
	s_waitcnt vmcnt(38)
	v_mul_f32_e32 v149, v143, v220
	v_fmac_f32_e32 v149, v144, v219
	v_add_f32_e32 v6, v6, v149
	s_waitcnt vmcnt(36) lgkmcnt(0)
	v_mul_f32_e32 v149, v145, v222
	v_fmac_f32_e32 v149, v146, v221
	v_add_f32_e32 v6, v6, v149
	ds_read_b128 v[149:152], v108 offset:720
	s_waitcnt vmcnt(34)
	v_mul_f32_e32 v153, v147, v224
	v_fmac_f32_e32 v153, v148, v223
	v_add_f32_e32 v6, v6, v153
	ds_read_b128 v[153:156], v108 offset:736
	s_waitcnt vmcnt(32) lgkmcnt(1)
	v_mul_f32_e32 v157, v149, v226
	v_fmac_f32_e32 v157, v150, v225
	v_add_f32_e32 v6, v6, v157
	s_waitcnt vmcnt(30)
	v_mul_f32_e32 v157, v151, v228
	v_fmac_f32_e32 v157, v152, v227
	v_add_f32_e32 v6, v6, v157
	s_waitcnt vmcnt(28) lgkmcnt(0)
	v_mul_f32_e32 v157, v153, v230
	v_fmac_f32_e32 v157, v154, v229
	v_add_f32_e32 v6, v6, v157
	ds_read_b128 v[157:160], v108 offset:752
	s_waitcnt vmcnt(26)
	v_mul_f32_e32 v161, v155, v232
	v_fmac_f32_e32 v161, v156, v231
	v_add_f32_e32 v6, v6, v161
	ds_read_b128 v[161:164], v108 offset:768
	s_waitcnt vmcnt(24) lgkmcnt(1)
	v_mul_f32_e32 v165, v157, v234
	v_fmac_f32_e32 v165, v158, v233
	v_add_f32_e32 v6, v6, v165
	s_waitcnt vmcnt(23)
	v_mul_f32_e32 v165, v159, v235
	s_waitcnt vmcnt(20)
	v_fmac_f32_e32 v165, v160, v238
	v_add_f32_e32 v6, v6, v165
	s_waitcnt lgkmcnt(0)
	v_mul_f32_e32 v165, v161, v237
	v_fmac_f32_e32 v165, v162, v236
	v_add_f32_e32 v6, v6, v165
	ds_read_b128 v[165:168], v108 offset:784
	s_waitcnt vmcnt(18)
	v_mul_f32_e32 v169, v163, v240
	v_fmac_f32_e32 v169, v164, v239
	v_add_f32_e32 v6, v6, v169
	ds_read_b128 v[169:172], v108 offset:800
	s_waitcnt vmcnt(16) lgkmcnt(1)
	v_mul_f32_e32 v173, v165, v242
	v_fmac_f32_e32 v173, v166, v241
	v_add_f32_e32 v6, v6, v173
	s_waitcnt vmcnt(15)
	v_mul_f32_e32 v173, v167, v243
	s_waitcnt vmcnt(12)
	v_fmac_f32_e32 v173, v168, v246
	v_add_f32_e32 v6, v6, v173
	s_waitcnt lgkmcnt(0)
	v_mul_f32_e32 v173, v169, v245
	v_fmac_f32_e32 v173, v170, v244
	v_add_f32_e32 v6, v6, v173
	ds_read_b128 v[173:176], v108 offset:816
	s_waitcnt vmcnt(10)
	v_mul_f32_e32 v177, v171, v248
	v_fmac_f32_e32 v177, v172, v247
	v_add_f32_e32 v6, v6, v177
	ds_read_b128 v[177:180], v108 offset:832
	s_waitcnt vmcnt(8) lgkmcnt(1)
	v_mul_f32_e32 v181, v173, v250
	v_fmac_f32_e32 v181, v174, v249
	v_add_f32_e32 v6, v6, v181
	s_waitcnt vmcnt(7)
	v_mul_f32_e32 v181, v175, v251
	s_waitcnt vmcnt(4)
	v_fmac_f32_e32 v181, v176, v254
	v_add_f32_e32 v6, v6, v181
	ds_read_b64 v[181:182], v108 offset:848
	s_waitcnt lgkmcnt(1)
	v_mul_f32_e32 v7, v177, v253
	v_fmac_f32_e32 v7, v178, v252
	v_add_f32_e32 v6, v6, v7
	s_waitcnt vmcnt(3)
	v_mul_f32_e32 v7, v179, v255
	s_waitcnt vmcnt(0)
	v_fmac_f32_e32 v7, v180, v5
	v_add_f32_e32 v6, v6, v7
	s_waitcnt lgkmcnt(0)
	v_mul_f32_e32 v7, v181, v4
	v_fmac_f32_e32 v7, v182, v3
	v_add_f32_e32 v6, v6, v7
	v_mul_f32_e32 v7, v110, v183
	v_fma_f32 v7, v109, v194, -v7
	v_mul_f32_e32 v8, v112, v184
	v_add_f32_e32 v7, 0, v7
	v_fma_f32 v8, v111, v193, -v8
	v_add_f32_e32 v7, v7, v8
	v_mul_f32_e32 v8, v114, v185
	v_fma_f32 v8, v113, v192, -v8
	v_add_f32_e32 v7, v7, v8
	v_mul_f32_e32 v8, v116, v186
	;; [unrolled: 3-line block ×34, first 2 shown]
	v_fma_f32 v5, v179, v5, -v8
	v_mul_f32_e32 v4, v182, v4
	v_add_f32_e32 v5, v7, v5
	v_fma_f32 v3, v181, v3, -v4
	v_add_f32_e32 v3, v5, v3
	v_sub_f32_e32 v3, v213, v3
	v_sub_f32_e32 v4, v214, v6
	buffer_store_dword v3, off, s[0:3], 0 offset:120
	buffer_store_dword v4, off, s[0:3], 0 offset:124
	s_and_saveexec_b64 s[4:5], vcc
	s_cbranch_execz .LBB116_303
; %bb.302:
	buffer_load_dword v109, off, s[0:3], 0 offset:112
	buffer_load_dword v110, off, s[0:3], 0 offset:116
	s_waitcnt vmcnt(0)
	ds_write_b64 v107, v[109:110]
	buffer_store_dword v108, off, s[0:3], 0 offset:112
	buffer_store_dword v108, off, s[0:3], 0 offset:116
.LBB116_303:
	s_or_b64 exec, exec, s[4:5]
	s_waitcnt lgkmcnt(0)
	; wave barrier
	buffer_load_dword v3, off, s[0:3], 0 offset:124
	buffer_load_dword v4, off, s[0:3], 0 offset:132
	;; [unrolled: 1-line block ×32, first 2 shown]
	ds_read2_b64 v[109:112], v108 offset0:69 offset1:70
	ds_read2_b64 v[113:116], v108 offset0:71 offset1:72
	ds_read2_b64 v[117:120], v108 offset0:73 offset1:74
	ds_read2_b64 v[121:124], v108 offset0:75 offset1:76
	ds_read2_b64 v[125:128], v108 offset0:77 offset1:78
	ds_read2_b64 v[129:132], v108 offset0:79 offset1:80
	buffer_load_dword v211, off, s[0:3], 0 offset:240
	buffer_load_dword v212, off, s[0:3], 0 offset:244
	;; [unrolled: 1-line block ×32, first 2 shown]
	v_cmp_lt_u32_e32 vcc, 13, v0
	s_waitcnt vmcnt(62) lgkmcnt(5)
	v_mul_f32_e32 v133, v109, v3
	v_mul_f32_e32 v134, v111, v4
	s_waitcnt vmcnt(61) lgkmcnt(4)
	v_mul_f32_e32 v135, v113, v5
	s_waitcnt vmcnt(60)
	v_mul_f32_e32 v136, v115, v6
	s_waitcnt vmcnt(59) lgkmcnt(3)
	v_mul_f32_e32 v137, v117, v7
	s_waitcnt vmcnt(58)
	;; [unrolled: 4-line block ×4, first 2 shown]
	v_mul_f32_e32 v142, v127, v188
	s_waitcnt vmcnt(53)
	v_fmac_f32_e32 v135, v114, v189
	s_waitcnt vmcnt(52)
	v_fmac_f32_e32 v134, v112, v190
	;; [unrolled: 2-line block ×3, first 2 shown]
	v_add_f32_e32 v133, 0, v133
	v_add_f32_e32 v133, v133, v134
	;; [unrolled: 1-line block ×3, first 2 shown]
	s_waitcnt vmcnt(47)
	v_fmac_f32_e32 v136, v116, v195
	v_fmac_f32_e32 v137, v118, v194
	v_add_f32_e32 v133, v133, v136
	v_fmac_f32_e32 v138, v120, v193
	v_add_f32_e32 v133, v133, v137
	;; [unrolled: 2-line block ×3, first 2 shown]
	s_waitcnt vmcnt(43)
	v_fmac_f32_e32 v140, v124, v199
	v_add_f32_e32 v133, v133, v139
	v_fmac_f32_e32 v141, v126, v198
	v_add_f32_e32 v133, v133, v140
	;; [unrolled: 2-line block ×3, first 2 shown]
	s_waitcnt vmcnt(42) lgkmcnt(0)
	v_mul_f32_e32 v134, v129, v200
	v_add_f32_e32 v133, v133, v142
	v_fmac_f32_e32 v134, v130, v196
	v_add_f32_e32 v137, v133, v134
	ds_read2_b64 v[133:136], v108 offset0:81 offset1:82
	buffer_load_dword v243, off, s[0:3], 0 offset:368
	buffer_load_dword v244, off, s[0:3], 0 offset:372
	s_waitcnt vmcnt(43)
	v_mul_f32_e32 v138, v131, v201
	s_waitcnt vmcnt(37)
	v_fmac_f32_e32 v138, v132, v207
	v_add_f32_e32 v141, v137, v138
	ds_read2_b64 v[137:140], v108 offset0:83 offset1:84
	buffer_load_dword v245, off, s[0:3], 0 offset:376
	buffer_load_dword v246, off, s[0:3], 0 offset:380
	;; [unrolled: 1-line block ×12, first 2 shown]
	v_mul_f32_e32 v3, v110, v3
	v_fma_f32 v3, v109, v191, -v3
	v_mul_f32_e32 v4, v112, v4
	v_add_f32_e32 v3, 0, v3
	v_fma_f32 v4, v111, v190, -v4
	v_add_f32_e32 v3, v3, v4
	v_mul_f32_e32 v4, v114, v5
	v_fma_f32 v4, v113, v189, -v4
	v_add_f32_e32 v3, v3, v4
	v_mul_f32_e32 v4, v116, v6
	v_fma_f32 v4, v115, v195, -v4
	s_waitcnt vmcnt(48) lgkmcnt(1)
	v_mul_f32_e32 v142, v133, v208
	v_add_f32_e32 v3, v3, v4
	v_mul_f32_e32 v4, v118, v7
	v_fmac_f32_e32 v142, v134, v206
	v_fma_f32 v4, v117, v194, -v4
	v_add_f32_e32 v141, v141, v142
	v_mul_f32_e32 v142, v135, v203
	v_add_f32_e32 v3, v3, v4
	v_mul_f32_e32 v4, v120, v8
	v_fmac_f32_e32 v142, v136, v202
	v_fma_f32 v4, v119, v193, -v4
	v_add_f32_e32 v10, v141, v142
	s_waitcnt lgkmcnt(0)
	v_mul_f32_e32 v141, v137, v205
	v_add_f32_e32 v3, v3, v4
	v_mul_f32_e32 v4, v122, v185
	v_fmac_f32_e32 v141, v138, v204
	v_fma_f32 v4, v121, v192, -v4
	v_add_f32_e32 v10, v10, v141
	ds_read2_b64 v[141:144], v108 offset0:85 offset1:86
	v_add_f32_e32 v3, v3, v4
	v_mul_f32_e32 v4, v124, v186
	v_fma_f32 v4, v123, v199, -v4
	s_waitcnt vmcnt(44)
	v_mul_f32_e32 v145, v139, v212
	v_add_f32_e32 v3, v3, v4
	v_mul_f32_e32 v4, v126, v187
	v_fmac_f32_e32 v145, v140, v211
	v_fma_f32 v4, v125, v198, -v4
	v_add_f32_e32 v10, v10, v145
	ds_read2_b64 v[145:148], v108 offset0:87 offset1:88
	v_add_f32_e32 v3, v3, v4
	v_mul_f32_e32 v4, v128, v188
	s_waitcnt vmcnt(42) lgkmcnt(1)
	v_mul_f32_e32 v149, v141, v214
	v_fma_f32 v4, v127, v197, -v4
	v_fmac_f32_e32 v149, v142, v213
	v_add_f32_e32 v3, v3, v4
	v_mul_f32_e32 v4, v130, v200
	v_add_f32_e32 v10, v10, v149
	s_waitcnt vmcnt(40)
	v_mul_f32_e32 v149, v143, v216
	v_fma_f32 v4, v129, v196, -v4
	v_fmac_f32_e32 v149, v144, v215
	v_add_f32_e32 v3, v3, v4
	v_mul_f32_e32 v4, v132, v201
	v_add_f32_e32 v10, v10, v149
	s_waitcnt vmcnt(38) lgkmcnt(0)
	v_mul_f32_e32 v149, v145, v218
	v_fma_f32 v4, v131, v207, -v4
	v_fmac_f32_e32 v149, v146, v217
	v_add_f32_e32 v3, v3, v4
	v_mul_f32_e32 v4, v134, v208
	v_add_f32_e32 v10, v10, v149
	ds_read2_b64 v[149:152], v108 offset0:89 offset1:90
	v_fma_f32 v4, v133, v206, -v4
	v_add_f32_e32 v3, v3, v4
	v_mul_f32_e32 v4, v136, v203
	s_waitcnt vmcnt(36)
	v_mul_f32_e32 v153, v147, v220
	v_fma_f32 v4, v135, v202, -v4
	v_fmac_f32_e32 v153, v148, v219
	v_add_f32_e32 v3, v3, v4
	v_mul_f32_e32 v4, v138, v205
	v_add_f32_e32 v10, v10, v153
	ds_read2_b64 v[153:156], v108 offset0:91 offset1:92
	v_fma_f32 v4, v137, v204, -v4
	s_waitcnt vmcnt(34) lgkmcnt(1)
	v_mul_f32_e32 v157, v149, v222
	v_add_f32_e32 v3, v3, v4
	v_mul_f32_e32 v4, v140, v212
	v_fmac_f32_e32 v157, v150, v221
	v_fma_f32 v4, v139, v211, -v4
	v_add_f32_e32 v10, v10, v157
	s_waitcnt vmcnt(32)
	v_mul_f32_e32 v157, v151, v224
	v_add_f32_e32 v3, v3, v4
	v_mul_f32_e32 v4, v142, v214
	v_fmac_f32_e32 v157, v152, v223
	v_fma_f32 v4, v141, v213, -v4
	v_add_f32_e32 v10, v10, v157
	s_waitcnt vmcnt(30) lgkmcnt(0)
	v_mul_f32_e32 v157, v153, v226
	v_add_f32_e32 v3, v3, v4
	v_mul_f32_e32 v4, v144, v216
	v_fmac_f32_e32 v157, v154, v225
	v_fma_f32 v4, v143, v215, -v4
	v_add_f32_e32 v10, v10, v157
	ds_read2_b64 v[157:160], v108 offset0:93 offset1:94
	v_add_f32_e32 v3, v3, v4
	v_mul_f32_e32 v4, v146, v218
	v_fma_f32 v4, v145, v217, -v4
	s_waitcnt vmcnt(28)
	v_mul_f32_e32 v161, v155, v228
	v_add_f32_e32 v3, v3, v4
	v_mul_f32_e32 v4, v148, v220
	v_fmac_f32_e32 v161, v156, v227
	v_fma_f32 v4, v147, v219, -v4
	v_add_f32_e32 v10, v10, v161
	ds_read2_b64 v[161:164], v108 offset0:95 offset1:96
	v_add_f32_e32 v3, v3, v4
	v_mul_f32_e32 v4, v150, v222
	s_waitcnt vmcnt(26) lgkmcnt(1)
	v_mul_f32_e32 v165, v157, v230
	v_fma_f32 v4, v149, v221, -v4
	v_fmac_f32_e32 v165, v158, v229
	v_add_f32_e32 v3, v3, v4
	v_mul_f32_e32 v4, v152, v224
	v_add_f32_e32 v10, v10, v165
	s_waitcnt vmcnt(25)
	v_mul_f32_e32 v165, v159, v231
	v_fma_f32 v4, v151, v223, -v4
	s_waitcnt vmcnt(22)
	v_fmac_f32_e32 v165, v160, v234
	v_add_f32_e32 v3, v3, v4
	v_mul_f32_e32 v4, v154, v226
	v_add_f32_e32 v10, v10, v165
	s_waitcnt lgkmcnt(0)
	v_mul_f32_e32 v165, v161, v233
	v_fma_f32 v4, v153, v225, -v4
	v_fmac_f32_e32 v165, v162, v232
	v_add_f32_e32 v3, v3, v4
	v_mul_f32_e32 v4, v156, v228
	v_add_f32_e32 v10, v10, v165
	ds_read2_b64 v[165:168], v108 offset0:97 offset1:98
	v_fma_f32 v4, v155, v227, -v4
	v_add_f32_e32 v3, v3, v4
	v_mul_f32_e32 v4, v158, v230
	s_waitcnt vmcnt(20)
	v_mul_f32_e32 v169, v163, v236
	v_fma_f32 v4, v157, v229, -v4
	v_fmac_f32_e32 v169, v164, v235
	v_add_f32_e32 v3, v3, v4
	v_mul_f32_e32 v4, v160, v231
	v_add_f32_e32 v10, v10, v169
	ds_read2_b64 v[169:172], v108 offset0:99 offset1:100
	v_fma_f32 v4, v159, v234, -v4
	s_waitcnt vmcnt(18) lgkmcnt(1)
	v_mul_f32_e32 v173, v165, v238
	v_add_f32_e32 v3, v3, v4
	v_mul_f32_e32 v4, v162, v233
	v_fmac_f32_e32 v173, v166, v237
	v_fma_f32 v4, v161, v232, -v4
	v_add_f32_e32 v10, v10, v173
	s_waitcnt vmcnt(17)
	v_mul_f32_e32 v173, v167, v239
	v_add_f32_e32 v3, v3, v4
	v_mul_f32_e32 v4, v164, v236
	s_waitcnt vmcnt(14)
	v_fmac_f32_e32 v173, v168, v242
	v_fma_f32 v4, v163, v235, -v4
	v_add_f32_e32 v10, v10, v173
	s_waitcnt lgkmcnt(0)
	v_mul_f32_e32 v173, v169, v241
	v_add_f32_e32 v3, v3, v4
	v_mul_f32_e32 v4, v166, v238
	v_fmac_f32_e32 v173, v170, v240
	v_fma_f32 v4, v165, v237, -v4
	v_add_f32_e32 v10, v10, v173
	ds_read2_b64 v[173:176], v108 offset0:101 offset1:102
	v_add_f32_e32 v3, v3, v4
	v_mul_f32_e32 v4, v168, v239
	v_fma_f32 v4, v167, v242, -v4
	v_add_f32_e32 v3, v3, v4
	v_mul_f32_e32 v4, v170, v241
	s_waitcnt vmcnt(12)
	v_mul_f32_e32 v177, v171, v244
	v_fma_f32 v4, v169, v240, -v4
	v_fmac_f32_e32 v177, v172, v243
	v_add_f32_e32 v3, v3, v4
	v_mul_f32_e32 v4, v172, v244
	v_add_f32_e32 v10, v10, v177
	ds_read2_b64 v[177:180], v108 offset0:103 offset1:104
	s_waitcnt vmcnt(10) lgkmcnt(1)
	v_mul_f32_e32 v181, v173, v246
	v_fma_f32 v4, v171, v243, -v4
	v_fmac_f32_e32 v181, v174, v245
	v_add_f32_e32 v3, v3, v4
	v_mul_f32_e32 v4, v174, v246
	v_add_f32_e32 v10, v10, v181
	s_waitcnt vmcnt(9)
	v_mul_f32_e32 v181, v175, v247
	v_fma_f32 v4, v173, v245, -v4
	s_waitcnt vmcnt(6)
	v_fmac_f32_e32 v181, v176, v250
	v_add_f32_e32 v3, v3, v4
	v_mul_f32_e32 v4, v176, v247
	v_add_f32_e32 v10, v10, v181
	ds_read2_b64 v[181:184], v108 offset0:105 offset1:106
	v_fma_f32 v4, v175, v250, -v4
	v_add_f32_e32 v3, v3, v4
	s_waitcnt lgkmcnt(1)
	v_mul_f32_e32 v4, v178, v249
	v_mul_f32_e32 v11, v177, v249
	v_fma_f32 v4, v177, v248, -v4
	v_fmac_f32_e32 v11, v178, v248
	v_add_f32_e32 v3, v3, v4
	s_waitcnt vmcnt(4)
	v_mul_f32_e32 v4, v180, v252
	v_add_f32_e32 v10, v10, v11
	v_mul_f32_e32 v11, v179, v252
	v_fma_f32 v4, v179, v251, -v4
	v_fmac_f32_e32 v11, v180, v251
	v_add_f32_e32 v3, v3, v4
	s_waitcnt vmcnt(3) lgkmcnt(0)
	v_mul_f32_e32 v4, v182, v253
	v_add_f32_e32 v10, v10, v11
	v_mul_f32_e32 v11, v181, v253
	s_waitcnt vmcnt(0)
	v_fma_f32 v4, v181, v9, -v4
	v_fmac_f32_e32 v11, v182, v9
	v_add_f32_e32 v3, v3, v4
	v_mul_f32_e32 v4, v184, v255
	v_add_f32_e32 v10, v10, v11
	v_mul_f32_e32 v11, v183, v255
	v_fma_f32 v4, v183, v254, -v4
	v_fmac_f32_e32 v11, v184, v254
	v_add_f32_e32 v3, v3, v4
	v_add_f32_e32 v10, v10, v11
	v_sub_f32_e32 v3, v209, v3
	v_sub_f32_e32 v4, v210, v10
	buffer_store_dword v3, off, s[0:3], 0 offset:112
	buffer_store_dword v4, off, s[0:3], 0 offset:116
	s_and_saveexec_b64 s[4:5], vcc
	s_cbranch_execz .LBB116_305
; %bb.304:
	buffer_load_dword v108, off, s[0:3], 0 offset:104
	buffer_load_dword v109, off, s[0:3], 0 offset:108
	v_mov_b32_e32 v3, 0
	buffer_store_dword v3, off, s[0:3], 0 offset:104
	buffer_store_dword v3, off, s[0:3], 0 offset:108
	s_waitcnt vmcnt(2)
	ds_write_b64 v107, v[108:109]
.LBB116_305:
	s_or_b64 exec, exec, s[4:5]
	s_waitcnt lgkmcnt(0)
	; wave barrier
	buffer_load_dword v3, off, s[0:3], 0 offset:116
	buffer_load_dword v4, off, s[0:3], 0 offset:124
	;; [unrolled: 1-line block ×50, first 2 shown]
	v_mov_b32_e32 v108, 0
	ds_read_b128 v[109:112], v108 offset:544
	ds_read_b128 v[113:116], v108 offset:560
	ds_read_b128 v[117:120], v108 offset:576
	ds_read_b128 v[121:124], v108 offset:592
	ds_read_b128 v[125:128], v108 offset:608
	ds_read_b128 v[129:132], v108 offset:624
	buffer_load_dword v227, off, s[0:3], 0 offset:304
	buffer_load_dword v228, off, s[0:3], 0 offset:308
	buffer_load_dword v229, off, s[0:3], 0 offset:316
	buffer_load_dword v230, off, s[0:3], 0 offset:320
	buffer_load_dword v231, off, s[0:3], 0 offset:324
	buffer_load_dword v232, off, s[0:3], 0 offset:312
	buffer_load_dword v233, off, s[0:3], 0 offset:328
	buffer_load_dword v234, off, s[0:3], 0 offset:332
	v_cmp_lt_u32_e32 vcc, 12, v0
	s_waitcnt vmcnt(57) lgkmcnt(5)
	v_mul_f32_e32 v133, v109, v3
	s_waitcnt vmcnt(56)
	v_mul_f32_e32 v134, v111, v4
	s_waitcnt vmcnt(55) lgkmcnt(4)
	v_mul_f32_e32 v135, v113, v5
	s_waitcnt vmcnt(54)
	v_mul_f32_e32 v136, v115, v6
	;; [unrolled: 4-line block ×5, first 2 shown]
	s_waitcnt vmcnt(47) lgkmcnt(0)
	v_mul_f32_e32 v143, v129, v187
	s_waitcnt vmcnt(46)
	v_fmac_f32_e32 v135, v114, v188
	s_waitcnt vmcnt(45)
	v_fmac_f32_e32 v134, v112, v189
	;; [unrolled: 2-line block ×3, first 2 shown]
	v_add_f32_e32 v133, 0, v133
	v_add_f32_e32 v133, v133, v134
	;; [unrolled: 1-line block ×3, first 2 shown]
	s_waitcnt vmcnt(40)
	v_fmac_f32_e32 v136, v116, v194
	v_fmac_f32_e32 v137, v118, v193
	v_add_f32_e32 v133, v133, v136
	v_fmac_f32_e32 v138, v120, v192
	v_add_f32_e32 v133, v133, v137
	;; [unrolled: 2-line block ×3, first 2 shown]
	s_waitcnt vmcnt(36)
	v_fmac_f32_e32 v140, v124, v198
	v_add_f32_e32 v133, v133, v139
	v_fmac_f32_e32 v141, v126, v197
	v_add_f32_e32 v133, v133, v140
	;; [unrolled: 2-line block ×3, first 2 shown]
	v_add_f32_e32 v133, v133, v142
	v_fmac_f32_e32 v143, v130, v195
	v_add_f32_e32 v137, v133, v143
	ds_read_b128 v[133:136], v108 offset:640
	buffer_load_dword v235, off, s[0:3], 0 offset:336
	buffer_load_dword v236, off, s[0:3], 0 offset:340
	;; [unrolled: 1-line block ×6, first 2 shown]
	s_waitcnt vmcnt(41)
	v_mul_f32_e32 v138, v131, v199
	s_waitcnt vmcnt(34)
	v_fmac_f32_e32 v138, v132, v206
	v_add_f32_e32 v141, v137, v138
	ds_read_b128 v[137:140], v108 offset:656
	buffer_load_dword v241, off, s[0:3], 0 offset:360
	buffer_load_dword v242, off, s[0:3], 0 offset:364
	;; [unrolled: 1-line block ×16, first 2 shown]
	v_mul_f32_e32 v3, v110, v3
	v_fma_f32 v3, v109, v190, -v3
	v_mul_f32_e32 v4, v112, v4
	v_add_f32_e32 v3, 0, v3
	v_fma_f32 v4, v111, v189, -v4
	v_add_f32_e32 v3, v3, v4
	v_mul_f32_e32 v4, v114, v5
	v_fma_f32 v4, v113, v188, -v4
	s_waitcnt lgkmcnt(1)
	v_mul_f32_e32 v142, v133, v201
	v_add_f32_e32 v3, v3, v4
	v_mul_f32_e32 v4, v116, v6
	v_fmac_f32_e32 v142, v134, v200
	v_fma_f32 v4, v115, v194, -v4
	v_add_f32_e32 v141, v141, v142
	v_mul_f32_e32 v142, v135, v203
	v_add_f32_e32 v3, v3, v4
	v_mul_f32_e32 v4, v118, v7
	v_fmac_f32_e32 v142, v136, v202
	v_fma_f32 v4, v117, v193, -v4
	v_add_f32_e32 v141, v141, v142
	s_waitcnt lgkmcnt(0)
	v_mul_f32_e32 v142, v137, v205
	v_add_f32_e32 v3, v3, v4
	v_mul_f32_e32 v4, v120, v8
	v_fmac_f32_e32 v142, v138, v204
	v_fma_f32 v4, v119, v192, -v4
	v_add_f32_e32 v145, v141, v142
	ds_read_b128 v[141:144], v108 offset:672
	v_add_f32_e32 v3, v3, v4
	v_mul_f32_e32 v4, v122, v9
	v_fma_f32 v4, v121, v191, -v4
	s_waitcnt vmcnt(46)
	v_mul_f32_e32 v14, v139, v210
	v_add_f32_e32 v3, v3, v4
	v_mul_f32_e32 v4, v124, v10
	v_fmac_f32_e32 v14, v140, v209
	v_fma_f32 v4, v123, v198, -v4
	v_add_f32_e32 v14, v145, v14
	ds_read_b128 v[145:148], v108 offset:688
	v_add_f32_e32 v3, v3, v4
	v_mul_f32_e32 v4, v126, v11
	s_waitcnt vmcnt(44) lgkmcnt(1)
	v_mul_f32_e32 v149, v141, v212
	v_fma_f32 v4, v125, v197, -v4
	v_fmac_f32_e32 v149, v142, v211
	v_add_f32_e32 v3, v3, v4
	v_mul_f32_e32 v4, v128, v12
	v_add_f32_e32 v14, v14, v149
	s_waitcnt vmcnt(42)
	v_mul_f32_e32 v149, v143, v214
	v_fma_f32 v4, v127, v196, -v4
	v_fmac_f32_e32 v149, v144, v213
	v_add_f32_e32 v3, v3, v4
	v_mul_f32_e32 v4, v130, v187
	v_add_f32_e32 v14, v14, v149
	s_waitcnt vmcnt(40) lgkmcnt(0)
	v_mul_f32_e32 v149, v145, v216
	v_fma_f32 v4, v129, v195, -v4
	v_fmac_f32_e32 v149, v146, v215
	v_add_f32_e32 v3, v3, v4
	v_mul_f32_e32 v4, v132, v199
	v_add_f32_e32 v14, v14, v149
	ds_read_b128 v[149:152], v108 offset:704
	v_fma_f32 v4, v131, v206, -v4
	v_add_f32_e32 v3, v3, v4
	v_mul_f32_e32 v4, v134, v201
	s_waitcnt vmcnt(38)
	v_mul_f32_e32 v153, v147, v218
	v_fma_f32 v4, v133, v200, -v4
	v_fmac_f32_e32 v153, v148, v217
	v_add_f32_e32 v3, v3, v4
	v_mul_f32_e32 v4, v136, v203
	v_add_f32_e32 v14, v14, v153
	ds_read_b128 v[153:156], v108 offset:720
	v_fma_f32 v4, v135, v202, -v4
	s_waitcnt vmcnt(36) lgkmcnt(1)
	v_mul_f32_e32 v157, v149, v220
	v_add_f32_e32 v3, v3, v4
	v_mul_f32_e32 v4, v138, v205
	v_fmac_f32_e32 v157, v150, v219
	v_fma_f32 v4, v137, v204, -v4
	v_add_f32_e32 v14, v14, v157
	s_waitcnt vmcnt(34)
	v_mul_f32_e32 v157, v151, v222
	v_add_f32_e32 v3, v3, v4
	v_mul_f32_e32 v4, v140, v210
	v_fmac_f32_e32 v157, v152, v221
	v_fma_f32 v4, v139, v209, -v4
	v_add_f32_e32 v14, v14, v157
	s_waitcnt vmcnt(32) lgkmcnt(0)
	v_mul_f32_e32 v157, v153, v224
	v_add_f32_e32 v3, v3, v4
	v_mul_f32_e32 v4, v142, v212
	v_fmac_f32_e32 v157, v154, v223
	v_fma_f32 v4, v141, v211, -v4
	v_add_f32_e32 v14, v14, v157
	ds_read_b128 v[157:160], v108 offset:736
	v_add_f32_e32 v3, v3, v4
	v_mul_f32_e32 v4, v144, v214
	v_fma_f32 v4, v143, v213, -v4
	s_waitcnt vmcnt(30)
	v_mul_f32_e32 v161, v155, v226
	v_add_f32_e32 v3, v3, v4
	v_mul_f32_e32 v4, v146, v216
	v_fmac_f32_e32 v161, v156, v225
	v_fma_f32 v4, v145, v215, -v4
	v_add_f32_e32 v14, v14, v161
	ds_read_b128 v[161:164], v108 offset:752
	v_add_f32_e32 v3, v3, v4
	v_mul_f32_e32 v4, v148, v218
	s_waitcnt vmcnt(28) lgkmcnt(1)
	v_mul_f32_e32 v165, v157, v228
	v_fma_f32 v4, v147, v217, -v4
	v_fmac_f32_e32 v165, v158, v227
	v_add_f32_e32 v3, v3, v4
	v_mul_f32_e32 v4, v150, v220
	v_add_f32_e32 v14, v14, v165
	s_waitcnt vmcnt(27)
	v_mul_f32_e32 v165, v159, v229
	v_fma_f32 v4, v149, v219, -v4
	s_waitcnt vmcnt(24)
	v_fmac_f32_e32 v165, v160, v232
	v_add_f32_e32 v3, v3, v4
	v_mul_f32_e32 v4, v152, v222
	v_add_f32_e32 v14, v14, v165
	s_waitcnt lgkmcnt(0)
	v_mul_f32_e32 v165, v161, v231
	v_fma_f32 v4, v151, v221, -v4
	v_fmac_f32_e32 v165, v162, v230
	v_add_f32_e32 v3, v3, v4
	v_mul_f32_e32 v4, v154, v224
	v_add_f32_e32 v14, v14, v165
	ds_read_b128 v[165:168], v108 offset:768
	v_fma_f32 v4, v153, v223, -v4
	v_add_f32_e32 v3, v3, v4
	v_mul_f32_e32 v4, v156, v226
	s_waitcnt vmcnt(22)
	v_mul_f32_e32 v169, v163, v234
	v_fma_f32 v4, v155, v225, -v4
	v_fmac_f32_e32 v169, v164, v233
	v_add_f32_e32 v3, v3, v4
	v_mul_f32_e32 v4, v158, v228
	v_add_f32_e32 v14, v14, v169
	ds_read_b128 v[169:172], v108 offset:784
	v_fma_f32 v4, v157, v227, -v4
	s_waitcnt vmcnt(20) lgkmcnt(1)
	v_mul_f32_e32 v173, v165, v236
	v_add_f32_e32 v3, v3, v4
	v_mul_f32_e32 v4, v160, v229
	v_fmac_f32_e32 v173, v166, v235
	v_fma_f32 v4, v159, v232, -v4
	v_add_f32_e32 v14, v14, v173
	s_waitcnt vmcnt(19)
	v_mul_f32_e32 v173, v167, v237
	v_add_f32_e32 v3, v3, v4
	v_mul_f32_e32 v4, v162, v231
	s_waitcnt vmcnt(16)
	v_fmac_f32_e32 v173, v168, v240
	v_fma_f32 v4, v161, v230, -v4
	v_add_f32_e32 v14, v14, v173
	s_waitcnt lgkmcnt(0)
	v_mul_f32_e32 v173, v169, v239
	v_add_f32_e32 v3, v3, v4
	v_mul_f32_e32 v4, v164, v234
	v_fmac_f32_e32 v173, v170, v238
	v_fma_f32 v4, v163, v233, -v4
	v_add_f32_e32 v14, v14, v173
	ds_read_b128 v[173:176], v108 offset:800
	v_add_f32_e32 v3, v3, v4
	v_mul_f32_e32 v4, v166, v236
	v_fma_f32 v4, v165, v235, -v4
	s_waitcnt vmcnt(14)
	v_mul_f32_e32 v177, v171, v242
	v_add_f32_e32 v3, v3, v4
	v_mul_f32_e32 v4, v168, v237
	v_fmac_f32_e32 v177, v172, v241
	v_fma_f32 v4, v167, v240, -v4
	v_add_f32_e32 v14, v14, v177
	ds_read_b128 v[177:180], v108 offset:816
	v_add_f32_e32 v3, v3, v4
	v_mul_f32_e32 v4, v170, v239
	s_waitcnt vmcnt(12) lgkmcnt(1)
	v_mul_f32_e32 v181, v173, v244
	v_fma_f32 v4, v169, v238, -v4
	v_fmac_f32_e32 v181, v174, v243
	v_add_f32_e32 v3, v3, v4
	v_mul_f32_e32 v4, v172, v242
	v_add_f32_e32 v14, v14, v181
	s_waitcnt vmcnt(11)
	v_mul_f32_e32 v181, v175, v245
	v_fma_f32 v4, v171, v241, -v4
	s_waitcnt vmcnt(8)
	v_fmac_f32_e32 v181, v176, v248
	v_add_f32_e32 v3, v3, v4
	v_mul_f32_e32 v4, v174, v244
	v_add_f32_e32 v14, v14, v181
	s_waitcnt lgkmcnt(0)
	v_mul_f32_e32 v181, v177, v247
	v_fma_f32 v4, v173, v243, -v4
	v_fmac_f32_e32 v181, v178, v246
	v_add_f32_e32 v3, v3, v4
	v_mul_f32_e32 v4, v176, v245
	v_add_f32_e32 v14, v14, v181
	ds_read_b128 v[181:184], v108 offset:832
	v_fma_f32 v4, v175, v248, -v4
	v_add_f32_e32 v3, v3, v4
	v_mul_f32_e32 v4, v178, v247
	s_waitcnt vmcnt(6)
	v_mul_f32_e32 v185, v179, v250
	v_fma_f32 v4, v177, v246, -v4
	v_fmac_f32_e32 v185, v180, v249
	v_add_f32_e32 v3, v3, v4
	v_mul_f32_e32 v4, v180, v250
	v_add_f32_e32 v14, v14, v185
	ds_read_b64 v[185:186], v108 offset:848
	v_fma_f32 v4, v179, v249, -v4
	v_add_f32_e32 v3, v3, v4
	s_waitcnt vmcnt(4) lgkmcnt(1)
	v_mul_f32_e32 v4, v182, v252
	v_mul_f32_e32 v15, v181, v252
	v_fma_f32 v4, v181, v251, -v4
	v_fmac_f32_e32 v15, v182, v251
	v_add_f32_e32 v3, v3, v4
	s_waitcnt vmcnt(3)
	v_mul_f32_e32 v4, v184, v253
	v_add_f32_e32 v14, v14, v15
	v_mul_f32_e32 v15, v183, v253
	s_waitcnt vmcnt(0)
	v_fma_f32 v4, v183, v13, -v4
	v_fmac_f32_e32 v15, v184, v13
	v_add_f32_e32 v3, v3, v4
	s_waitcnt lgkmcnt(0)
	v_mul_f32_e32 v4, v186, v255
	v_add_f32_e32 v14, v14, v15
	v_mul_f32_e32 v15, v185, v255
	v_fma_f32 v4, v185, v254, -v4
	v_fmac_f32_e32 v15, v186, v254
	v_add_f32_e32 v3, v3, v4
	v_add_f32_e32 v14, v14, v15
	v_sub_f32_e32 v3, v207, v3
	v_sub_f32_e32 v4, v208, v14
	buffer_store_dword v3, off, s[0:3], 0 offset:104
	buffer_store_dword v4, off, s[0:3], 0 offset:108
	s_and_saveexec_b64 s[4:5], vcc
	s_cbranch_execz .LBB116_307
; %bb.306:
	buffer_load_dword v109, off, s[0:3], 0 offset:96
	buffer_load_dword v110, off, s[0:3], 0 offset:100
	s_waitcnt vmcnt(0)
	ds_write_b64 v107, v[109:110]
	buffer_store_dword v108, off, s[0:3], 0 offset:96
	buffer_store_dword v108, off, s[0:3], 0 offset:100
.LBB116_307:
	s_or_b64 exec, exec, s[4:5]
	s_waitcnt lgkmcnt(0)
	; wave barrier
	buffer_load_dword v3, off, s[0:3], 0 offset:108
	buffer_load_dword v4, off, s[0:3], 0 offset:116
	;; [unrolled: 1-line block ×32, first 2 shown]
	ds_read2_b64 v[109:112], v108 offset0:67 offset1:68
	ds_read2_b64 v[113:116], v108 offset0:69 offset1:70
	;; [unrolled: 1-line block ×6, first 2 shown]
	buffer_load_dword v207, off, s[0:3], 0 offset:224
	buffer_load_dword v208, off, s[0:3], 0 offset:228
	;; [unrolled: 1-line block ×26, first 2 shown]
	v_cmp_lt_u32_e32 vcc, 11, v0
	s_waitcnt vmcnt(57) lgkmcnt(5)
	v_mul_f32_e32 v133, v109, v3
	s_waitcnt vmcnt(56)
	v_mul_f32_e32 v134, v111, v4
	s_waitcnt vmcnt(55) lgkmcnt(4)
	v_mul_f32_e32 v135, v113, v5
	s_waitcnt vmcnt(54)
	v_mul_f32_e32 v136, v115, v6
	;; [unrolled: 4-line block ×5, first 2 shown]
	s_waitcnt vmcnt(47) lgkmcnt(0)
	v_mul_f32_e32 v143, v129, v13
	s_waitcnt vmcnt(46)
	v_fmac_f32_e32 v135, v114, v14
	s_waitcnt vmcnt(45)
	v_fmac_f32_e32 v134, v112, v15
	;; [unrolled: 2-line block ×3, first 2 shown]
	v_add_f32_e32 v133, 0, v133
	v_add_f32_e32 v133, v133, v134
	;; [unrolled: 1-line block ×3, first 2 shown]
	s_waitcnt vmcnt(40)
	v_fmac_f32_e32 v136, v116, v192
	v_fmac_f32_e32 v137, v118, v191
	v_add_f32_e32 v133, v133, v136
	v_fmac_f32_e32 v138, v120, v190
	v_add_f32_e32 v133, v133, v137
	;; [unrolled: 2-line block ×3, first 2 shown]
	s_waitcnt vmcnt(36)
	v_fmac_f32_e32 v140, v124, v196
	v_add_f32_e32 v133, v133, v139
	v_fmac_f32_e32 v141, v126, v195
	v_add_f32_e32 v133, v133, v140
	;; [unrolled: 2-line block ×4, first 2 shown]
	v_add_f32_e32 v137, v133, v143
	ds_read2_b64 v[133:136], v108 offset0:79 offset1:80
	buffer_load_dword v233, off, s[0:3], 0 offset:328
	buffer_load_dword v234, off, s[0:3], 0 offset:332
	buffer_load_dword v235, off, s[0:3], 0 offset:340
	buffer_load_dword v236, off, s[0:3], 0 offset:344
	buffer_load_dword v237, off, s[0:3], 0 offset:348
	buffer_load_dword v238, off, s[0:3], 0 offset:336
	s_waitcnt vmcnt(41)
	v_mul_f32_e32 v138, v131, v197
	s_waitcnt vmcnt(35)
	v_fmac_f32_e32 v138, v132, v203
	v_add_f32_e32 v141, v137, v138
	ds_read2_b64 v[137:140], v108 offset0:81 offset1:82
	buffer_load_dword v239, off, s[0:3], 0 offset:352
	buffer_load_dword v240, off, s[0:3], 0 offset:356
	;; [unrolled: 1-line block ×10, first 2 shown]
	s_waitcnt vmcnt(44) lgkmcnt(1)
	v_mul_f32_e32 v142, v133, v204
	v_fmac_f32_e32 v142, v134, v202
	v_add_f32_e32 v141, v141, v142
	v_mul_f32_e32 v142, v135, v199
	v_fmac_f32_e32 v142, v136, v198
	v_add_f32_e32 v141, v141, v142
	s_waitcnt lgkmcnt(0)
	v_mul_f32_e32 v142, v137, v201
	buffer_load_dword v249, off, s[0:3], 0 offset:392
	buffer_load_dword v250, off, s[0:3], 0 offset:396
	;; [unrolled: 1-line block ×6, first 2 shown]
	v_fmac_f32_e32 v142, v138, v200
	s_waitcnt vmcnt(46)
	v_mul_f32_e32 v146, v139, v208
	v_add_f32_e32 v145, v141, v142
	v_fmac_f32_e32 v146, v140, v207
	ds_read2_b64 v[141:144], v108 offset0:83 offset1:84
	v_add_f32_e32 v149, v145, v146
	ds_read2_b64 v[145:148], v108 offset0:85 offset1:86
	buffer_load_dword v255, off, s[0:3], 0 offset:416
	buffer_load_dword v17, off, s[0:3], 0 offset:420
	v_mul_f32_e32 v3, v110, v3
	v_fma_f32 v3, v109, v16, -v3
	v_mul_f32_e32 v4, v112, v4
	v_add_f32_e32 v3, 0, v3
	v_fma_f32 v4, v111, v15, -v4
	v_add_f32_e32 v3, v3, v4
	v_mul_f32_e32 v4, v114, v5
	v_fma_f32 v4, v113, v14, -v4
	v_add_f32_e32 v3, v3, v4
	v_mul_f32_e32 v4, v116, v6
	v_fma_f32 v4, v115, v192, -v4
	v_add_f32_e32 v3, v3, v4
	v_mul_f32_e32 v4, v118, v7
	v_fma_f32 v4, v117, v191, -v4
	v_add_f32_e32 v3, v3, v4
	v_mul_f32_e32 v4, v120, v8
	v_fma_f32 v4, v119, v190, -v4
	v_add_f32_e32 v3, v3, v4
	v_mul_f32_e32 v4, v122, v9
	v_fma_f32 v4, v121, v189, -v4
	v_add_f32_e32 v3, v3, v4
	v_mul_f32_e32 v4, v124, v10
	v_fma_f32 v4, v123, v196, -v4
	v_add_f32_e32 v3, v3, v4
	v_mul_f32_e32 v4, v126, v11
	s_waitcnt vmcnt(46) lgkmcnt(1)
	v_mul_f32_e32 v18, v141, v210
	v_fma_f32 v4, v125, v195, -v4
	v_fmac_f32_e32 v18, v142, v209
	v_add_f32_e32 v3, v3, v4
	v_mul_f32_e32 v4, v128, v12
	v_add_f32_e32 v18, v149, v18
	s_waitcnt vmcnt(44)
	v_mul_f32_e32 v149, v143, v212
	v_fma_f32 v4, v127, v194, -v4
	v_fmac_f32_e32 v149, v144, v211
	v_add_f32_e32 v3, v3, v4
	v_mul_f32_e32 v4, v130, v13
	v_add_f32_e32 v18, v18, v149
	s_waitcnt vmcnt(42) lgkmcnt(0)
	v_mul_f32_e32 v149, v145, v214
	v_fma_f32 v4, v129, v193, -v4
	v_fmac_f32_e32 v149, v146, v213
	v_add_f32_e32 v3, v3, v4
	v_mul_f32_e32 v4, v132, v197
	v_add_f32_e32 v18, v18, v149
	ds_read2_b64 v[149:152], v108 offset0:87 offset1:88
	v_fma_f32 v4, v131, v203, -v4
	v_add_f32_e32 v3, v3, v4
	v_mul_f32_e32 v4, v134, v204
	s_waitcnt vmcnt(40)
	v_mul_f32_e32 v153, v147, v216
	v_fma_f32 v4, v133, v202, -v4
	v_fmac_f32_e32 v153, v148, v215
	v_add_f32_e32 v3, v3, v4
	v_mul_f32_e32 v4, v136, v199
	v_add_f32_e32 v18, v18, v153
	ds_read2_b64 v[153:156], v108 offset0:89 offset1:90
	v_fma_f32 v4, v135, v198, -v4
	s_waitcnt vmcnt(38) lgkmcnt(1)
	v_mul_f32_e32 v157, v149, v218
	v_add_f32_e32 v3, v3, v4
	v_mul_f32_e32 v4, v138, v201
	v_fmac_f32_e32 v157, v150, v217
	v_fma_f32 v4, v137, v200, -v4
	v_add_f32_e32 v18, v18, v157
	s_waitcnt vmcnt(36)
	v_mul_f32_e32 v157, v151, v220
	v_add_f32_e32 v3, v3, v4
	v_mul_f32_e32 v4, v140, v208
	v_fmac_f32_e32 v157, v152, v219
	v_fma_f32 v4, v139, v207, -v4
	v_add_f32_e32 v18, v18, v157
	s_waitcnt vmcnt(34) lgkmcnt(0)
	v_mul_f32_e32 v157, v153, v222
	v_add_f32_e32 v3, v3, v4
	v_mul_f32_e32 v4, v142, v210
	v_fmac_f32_e32 v157, v154, v221
	v_fma_f32 v4, v141, v209, -v4
	v_add_f32_e32 v18, v18, v157
	ds_read2_b64 v[157:160], v108 offset0:91 offset1:92
	v_add_f32_e32 v3, v3, v4
	v_mul_f32_e32 v4, v144, v212
	v_fma_f32 v4, v143, v211, -v4
	s_waitcnt vmcnt(32)
	v_mul_f32_e32 v161, v155, v224
	v_add_f32_e32 v3, v3, v4
	v_mul_f32_e32 v4, v146, v214
	v_fmac_f32_e32 v161, v156, v223
	v_fma_f32 v4, v145, v213, -v4
	v_add_f32_e32 v18, v18, v161
	ds_read2_b64 v[161:164], v108 offset0:93 offset1:94
	v_add_f32_e32 v3, v3, v4
	v_mul_f32_e32 v4, v148, v216
	s_waitcnt vmcnt(30) lgkmcnt(1)
	v_mul_f32_e32 v165, v157, v226
	v_fma_f32 v4, v147, v215, -v4
	v_fmac_f32_e32 v165, v158, v225
	v_add_f32_e32 v3, v3, v4
	v_mul_f32_e32 v4, v150, v218
	v_add_f32_e32 v18, v18, v165
	s_waitcnt vmcnt(29)
	v_mul_f32_e32 v165, v159, v227
	v_fma_f32 v4, v149, v217, -v4
	s_waitcnt vmcnt(26)
	v_fmac_f32_e32 v165, v160, v230
	v_add_f32_e32 v3, v3, v4
	v_mul_f32_e32 v4, v152, v220
	v_add_f32_e32 v18, v18, v165
	s_waitcnt lgkmcnt(0)
	v_mul_f32_e32 v165, v161, v229
	v_fma_f32 v4, v151, v219, -v4
	v_fmac_f32_e32 v165, v162, v228
	v_add_f32_e32 v3, v3, v4
	v_mul_f32_e32 v4, v154, v222
	v_add_f32_e32 v18, v18, v165
	ds_read2_b64 v[165:168], v108 offset0:95 offset1:96
	v_fma_f32 v4, v153, v221, -v4
	v_add_f32_e32 v3, v3, v4
	v_mul_f32_e32 v4, v156, v224
	s_waitcnt vmcnt(24)
	v_mul_f32_e32 v169, v163, v232
	v_fma_f32 v4, v155, v223, -v4
	v_fmac_f32_e32 v169, v164, v231
	v_add_f32_e32 v3, v3, v4
	v_mul_f32_e32 v4, v158, v226
	v_add_f32_e32 v18, v18, v169
	ds_read2_b64 v[169:172], v108 offset0:97 offset1:98
	v_fma_f32 v4, v157, v225, -v4
	s_waitcnt vmcnt(22) lgkmcnt(1)
	v_mul_f32_e32 v173, v165, v234
	v_add_f32_e32 v3, v3, v4
	v_mul_f32_e32 v4, v160, v227
	v_fmac_f32_e32 v173, v166, v233
	v_fma_f32 v4, v159, v230, -v4
	v_add_f32_e32 v18, v18, v173
	s_waitcnt vmcnt(21)
	v_mul_f32_e32 v173, v167, v235
	v_add_f32_e32 v3, v3, v4
	v_mul_f32_e32 v4, v162, v229
	s_waitcnt vmcnt(18)
	v_fmac_f32_e32 v173, v168, v238
	v_fma_f32 v4, v161, v228, -v4
	v_add_f32_e32 v18, v18, v173
	s_waitcnt lgkmcnt(0)
	v_mul_f32_e32 v173, v169, v237
	v_add_f32_e32 v3, v3, v4
	v_mul_f32_e32 v4, v164, v232
	v_fmac_f32_e32 v173, v170, v236
	v_fma_f32 v4, v163, v231, -v4
	v_add_f32_e32 v18, v18, v173
	ds_read2_b64 v[173:176], v108 offset0:99 offset1:100
	v_add_f32_e32 v3, v3, v4
	v_mul_f32_e32 v4, v166, v234
	v_fma_f32 v4, v165, v233, -v4
	s_waitcnt vmcnt(16)
	v_mul_f32_e32 v177, v171, v240
	v_add_f32_e32 v3, v3, v4
	v_mul_f32_e32 v4, v168, v235
	v_fmac_f32_e32 v177, v172, v239
	v_fma_f32 v4, v167, v238, -v4
	v_add_f32_e32 v18, v18, v177
	ds_read2_b64 v[177:180], v108 offset0:101 offset1:102
	v_add_f32_e32 v3, v3, v4
	v_mul_f32_e32 v4, v170, v237
	s_waitcnt vmcnt(14) lgkmcnt(1)
	v_mul_f32_e32 v181, v173, v242
	v_fma_f32 v4, v169, v236, -v4
	v_fmac_f32_e32 v181, v174, v241
	v_add_f32_e32 v3, v3, v4
	v_mul_f32_e32 v4, v172, v240
	v_add_f32_e32 v18, v18, v181
	s_waitcnt vmcnt(13)
	v_mul_f32_e32 v181, v175, v243
	v_fma_f32 v4, v171, v239, -v4
	s_waitcnt vmcnt(10)
	v_fmac_f32_e32 v181, v176, v246
	v_add_f32_e32 v3, v3, v4
	v_mul_f32_e32 v4, v174, v242
	v_add_f32_e32 v18, v18, v181
	s_waitcnt lgkmcnt(0)
	v_mul_f32_e32 v181, v177, v245
	v_fma_f32 v4, v173, v241, -v4
	v_fmac_f32_e32 v181, v178, v244
	v_add_f32_e32 v3, v3, v4
	v_mul_f32_e32 v4, v176, v243
	v_add_f32_e32 v18, v18, v181
	ds_read2_b64 v[181:184], v108 offset0:103 offset1:104
	v_fma_f32 v4, v175, v246, -v4
	v_add_f32_e32 v3, v3, v4
	v_mul_f32_e32 v4, v178, v245
	s_waitcnt vmcnt(8)
	v_mul_f32_e32 v185, v179, v248
	v_fma_f32 v4, v177, v244, -v4
	v_fmac_f32_e32 v185, v180, v247
	v_add_f32_e32 v3, v3, v4
	v_mul_f32_e32 v4, v180, v248
	v_add_f32_e32 v18, v18, v185
	ds_read2_b64 v[185:188], v108 offset0:105 offset1:106
	v_fma_f32 v4, v179, v247, -v4
	v_add_f32_e32 v3, v3, v4
	s_waitcnt vmcnt(6) lgkmcnt(1)
	v_mul_f32_e32 v4, v182, v250
	v_mul_f32_e32 v108, v181, v250
	v_fma_f32 v4, v181, v249, -v4
	v_fmac_f32_e32 v108, v182, v249
	v_add_f32_e32 v3, v3, v4
	s_waitcnt vmcnt(5)
	v_mul_f32_e32 v4, v184, v251
	v_add_f32_e32 v18, v18, v108
	v_mul_f32_e32 v108, v183, v251
	s_waitcnt vmcnt(2)
	v_fma_f32 v4, v183, v254, -v4
	v_fmac_f32_e32 v108, v184, v254
	v_add_f32_e32 v3, v3, v4
	s_waitcnt lgkmcnt(0)
	v_mul_f32_e32 v4, v186, v253
	v_add_f32_e32 v18, v18, v108
	v_mul_f32_e32 v108, v185, v253
	v_fma_f32 v4, v185, v252, -v4
	v_fmac_f32_e32 v108, v186, v252
	v_add_f32_e32 v3, v3, v4
	s_waitcnt vmcnt(0)
	v_mul_f32_e32 v4, v188, v17
	v_add_f32_e32 v18, v18, v108
	v_mul_f32_e32 v108, v187, v17
	v_fma_f32 v4, v187, v255, -v4
	v_fmac_f32_e32 v108, v188, v255
	v_add_f32_e32 v3, v3, v4
	v_add_f32_e32 v18, v18, v108
	v_sub_f32_e32 v3, v205, v3
	v_sub_f32_e32 v4, v206, v18
	buffer_store_dword v3, off, s[0:3], 0 offset:96
	buffer_store_dword v4, off, s[0:3], 0 offset:100
	s_and_saveexec_b64 s[4:5], vcc
	s_cbranch_execz .LBB116_309
; %bb.308:
	buffer_load_dword v108, off, s[0:3], 0 offset:88
	buffer_load_dword v109, off, s[0:3], 0 offset:92
	v_mov_b32_e32 v3, 0
	buffer_store_dword v3, off, s[0:3], 0 offset:88
	buffer_store_dword v3, off, s[0:3], 0 offset:92
	s_waitcnt vmcnt(2)
	ds_write_b64 v107, v[108:109]
.LBB116_309:
	s_or_b64 exec, exec, s[4:5]
	s_waitcnt lgkmcnt(0)
	; wave barrier
	buffer_load_dword v117, off, s[0:3], 0 offset:100
	buffer_load_dword v116, off, s[0:3], 0 offset:108
	;; [unrolled: 1-line block ×50, first 2 shown]
	v_mov_b32_e32 v108, 0
	ds_read_b128 v[118:121], v108 offset:528
	ds_read_b128 v[122:125], v108 offset:544
	ds_read_b128 v[126:129], v108 offset:560
	ds_read_b128 v[130:133], v108 offset:576
	ds_read_b128 v[134:137], v108 offset:592
	ds_read_b128 v[138:141], v108 offset:608
	buffer_load_dword v225, off, s[0:3], 0 offset:288
	buffer_load_dword v226, off, s[0:3], 0 offset:292
	;; [unrolled: 1-line block ×6, first 2 shown]
	v_cmp_lt_u32_e32 vcc, 10, v0
	s_waitcnt vmcnt(55) lgkmcnt(5)
	v_mul_f32_e32 v142, v118, v117
	s_waitcnt vmcnt(54)
	v_mul_f32_e32 v143, v120, v116
	s_waitcnt vmcnt(53) lgkmcnt(4)
	v_mul_f32_e32 v144, v122, v115
	s_waitcnt vmcnt(52)
	v_mul_f32_e32 v145, v124, v114
	;; [unrolled: 4-line block ×5, first 2 shown]
	s_waitcnt vmcnt(45) lgkmcnt(0)
	v_mul_f32_e32 v152, v138, v6
	s_waitcnt vmcnt(44)
	v_fmac_f32_e32 v144, v123, v7
	s_waitcnt vmcnt(43)
	v_fmac_f32_e32 v143, v121, v8
	;; [unrolled: 2-line block ×3, first 2 shown]
	v_add_f32_e32 v142, 0, v142
	v_add_f32_e32 v142, v142, v143
	;; [unrolled: 1-line block ×3, first 2 shown]
	s_waitcnt vmcnt(38)
	v_fmac_f32_e32 v145, v125, v13
	v_fmac_f32_e32 v146, v127, v12
	v_add_f32_e32 v142, v142, v145
	v_fmac_f32_e32 v147, v129, v11
	v_add_f32_e32 v142, v142, v146
	;; [unrolled: 2-line block ×3, first 2 shown]
	s_waitcnt vmcnt(34)
	v_fmac_f32_e32 v149, v133, v17
	v_add_f32_e32 v142, v142, v148
	v_fmac_f32_e32 v150, v135, v16
	v_add_f32_e32 v142, v142, v149
	;; [unrolled: 2-line block ×4, first 2 shown]
	v_add_f32_e32 v146, v142, v152
	ds_read_b128 v[142:145], v108 offset:624
	buffer_load_dword v231, off, s[0:3], 0 offset:312
	buffer_load_dword v232, off, s[0:3], 0 offset:316
	s_waitcnt vmcnt(35)
	v_mul_f32_e32 v147, v140, v18
	s_waitcnt vmcnt(29)
	v_fmac_f32_e32 v147, v141, v205
	v_add_f32_e32 v150, v146, v147
	ds_read_b128 v[146:149], v108 offset:640
	buffer_load_dword v233, off, s[0:3], 0 offset:320
	buffer_load_dword v234, off, s[0:3], 0 offset:324
	;; [unrolled: 1-line block ×14, first 2 shown]
	s_waitcnt vmcnt(42) lgkmcnt(1)
	v_mul_f32_e32 v151, v142, v206
	v_fmac_f32_e32 v151, v143, v204
	buffer_load_dword v247, off, s[0:3], 0 offset:376
	buffer_load_dword v248, off, s[0:3], 0 offset:380
	v_add_f32_e32 v150, v150, v151
	v_mul_f32_e32 v151, v144, v201
	v_fmac_f32_e32 v151, v145, v200
	v_add_f32_e32 v150, v150, v151
	s_waitcnt lgkmcnt(0)
	v_mul_f32_e32 v151, v146, v203
	v_fmac_f32_e32 v151, v147, v202
	v_add_f32_e32 v154, v150, v151
	ds_read_b128 v[150:153], v108 offset:656
	buffer_load_dword v249, off, s[0:3], 0 offset:384
	buffer_load_dword v250, off, s[0:3], 0 offset:388
	;; [unrolled: 1-line block ×6, first 2 shown]
	s_waitcnt vmcnt(46)
	v_mul_f32_e32 v155, v148, v208
	v_fmac_f32_e32 v155, v149, v207
	v_add_f32_e32 v158, v154, v155
	ds_read_b128 v[154:157], v108 offset:672
	buffer_load_dword v255, off, s[0:3], 0 offset:412
	buffer_load_dword v19, off, s[0:3], 0 offset:416
	;; [unrolled: 1-line block ×4, first 2 shown]
	s_waitcnt vmcnt(48) lgkmcnt(1)
	v_mul_f32_e32 v159, v150, v210
	v_fmac_f32_e32 v159, v151, v209
	v_add_f32_e32 v22, v158, v159
	s_waitcnt vmcnt(46)
	v_mul_f32_e32 v158, v152, v212
	v_fmac_f32_e32 v158, v153, v211
	v_add_f32_e32 v22, v22, v158
	s_waitcnt vmcnt(44) lgkmcnt(0)
	v_mul_f32_e32 v158, v154, v214
	v_fmac_f32_e32 v158, v155, v213
	v_add_f32_e32 v22, v22, v158
	ds_read_b128 v[158:161], v108 offset:688
	s_waitcnt vmcnt(42)
	v_mul_f32_e32 v162, v156, v216
	v_fmac_f32_e32 v162, v157, v215
	v_add_f32_e32 v22, v22, v162
	ds_read_b128 v[162:165], v108 offset:704
	s_waitcnt vmcnt(40) lgkmcnt(1)
	v_mul_f32_e32 v166, v158, v218
	v_fmac_f32_e32 v166, v159, v217
	v_add_f32_e32 v22, v22, v166
	s_waitcnt vmcnt(38)
	v_mul_f32_e32 v166, v160, v220
	v_fmac_f32_e32 v166, v161, v219
	v_add_f32_e32 v22, v22, v166
	s_waitcnt vmcnt(36) lgkmcnt(0)
	v_mul_f32_e32 v166, v162, v222
	v_fmac_f32_e32 v166, v163, v221
	v_add_f32_e32 v22, v22, v166
	ds_read_b128 v[166:169], v108 offset:720
	s_waitcnt vmcnt(34)
	v_mul_f32_e32 v170, v164, v224
	v_fmac_f32_e32 v170, v165, v223
	v_add_f32_e32 v22, v22, v170
	ds_read_b128 v[170:173], v108 offset:736
	s_waitcnt vmcnt(32) lgkmcnt(1)
	v_mul_f32_e32 v174, v166, v226
	v_fmac_f32_e32 v174, v167, v225
	v_add_f32_e32 v22, v22, v174
	s_waitcnt vmcnt(31)
	v_mul_f32_e32 v174, v168, v227
	s_waitcnt vmcnt(28)
	v_fmac_f32_e32 v174, v169, v230
	v_add_f32_e32 v22, v22, v174
	s_waitcnt lgkmcnt(0)
	v_mul_f32_e32 v174, v170, v229
	v_fmac_f32_e32 v174, v171, v228
	v_add_f32_e32 v22, v22, v174
	ds_read_b128 v[174:177], v108 offset:752
	v_mul_f32_e32 v3, v133, v3
	v_fma_f32 v3, v132, v17, -v3
	v_mul_f32_e32 v4, v135, v4
	v_fma_f32 v4, v134, v16, -v4
	s_waitcnt vmcnt(26)
	v_mul_f32_e32 v178, v172, v232
	v_fmac_f32_e32 v178, v173, v231
	v_add_f32_e32 v22, v22, v178
	ds_read_b128 v[178:181], v108 offset:768
	s_waitcnt vmcnt(24) lgkmcnt(1)
	v_mul_f32_e32 v182, v174, v234
	v_fmac_f32_e32 v182, v175, v233
	v_add_f32_e32 v22, v22, v182
	s_waitcnt vmcnt(23)
	v_mul_f32_e32 v182, v176, v235
	s_waitcnt vmcnt(20)
	v_fmac_f32_e32 v182, v177, v238
	v_add_f32_e32 v22, v22, v182
	s_waitcnt lgkmcnt(0)
	v_mul_f32_e32 v182, v178, v237
	v_fmac_f32_e32 v182, v179, v236
	v_add_f32_e32 v22, v22, v182
	ds_read_b128 v[182:185], v108 offset:784
	s_waitcnt vmcnt(18)
	v_mul_f32_e32 v186, v180, v240
	v_fmac_f32_e32 v186, v181, v239
	v_add_f32_e32 v22, v22, v186
	ds_read_b128 v[186:189], v108 offset:800
	s_waitcnt vmcnt(16) lgkmcnt(1)
	v_mul_f32_e32 v190, v182, v242
	v_fmac_f32_e32 v190, v183, v241
	v_add_f32_e32 v22, v22, v190
	s_waitcnt vmcnt(15)
	v_mul_f32_e32 v190, v184, v243
	s_waitcnt vmcnt(12)
	v_fmac_f32_e32 v190, v185, v246
	v_add_f32_e32 v22, v22, v190
	s_waitcnt lgkmcnt(0)
	v_mul_f32_e32 v190, v186, v245
	v_fmac_f32_e32 v190, v187, v244
	v_add_f32_e32 v22, v22, v190
	ds_read_b128 v[190:193], v108 offset:816
	s_waitcnt vmcnt(10)
	v_mul_f32_e32 v194, v188, v248
	v_fmac_f32_e32 v194, v189, v247
	v_add_f32_e32 v22, v22, v194
	ds_read_b128 v[194:197], v108 offset:832
	s_waitcnt vmcnt(8) lgkmcnt(1)
	v_mul_f32_e32 v198, v190, v250
	v_fmac_f32_e32 v198, v191, v249
	v_add_f32_e32 v22, v22, v198
	s_waitcnt vmcnt(7)
	v_mul_f32_e32 v198, v192, v251
	s_waitcnt vmcnt(4)
	v_fmac_f32_e32 v198, v193, v254
	v_add_f32_e32 v22, v22, v198
	ds_read_b64 v[198:199], v108 offset:848
	s_waitcnt lgkmcnt(1)
	v_mul_f32_e32 v23, v194, v253
	v_fmac_f32_e32 v23, v195, v252
	v_add_f32_e32 v22, v22, v23
	s_waitcnt vmcnt(3)
	v_mul_f32_e32 v23, v196, v255
	s_waitcnt vmcnt(0)
	v_fmac_f32_e32 v23, v197, v21
	v_add_f32_e32 v22, v22, v23
	s_waitcnt lgkmcnt(0)
	v_mul_f32_e32 v23, v198, v20
	v_fmac_f32_e32 v23, v199, v19
	v_add_f32_e32 v22, v22, v23
	v_mul_f32_e32 v23, v119, v117
	v_fma_f32 v9, v118, v9, -v23
	v_mul_f32_e32 v23, v121, v116
	v_add_f32_e32 v9, 0, v9
	v_fma_f32 v8, v120, v8, -v23
	v_add_f32_e32 v8, v9, v8
	v_mul_f32_e32 v9, v123, v115
	v_fma_f32 v7, v122, v7, -v9
	v_add_f32_e32 v7, v8, v7
	v_mul_f32_e32 v8, v125, v114
	;; [unrolled: 3-line block ×5, first 2 shown]
	v_fma_f32 v8, v130, v10, -v8
	v_add_f32_e32 v7, v7, v8
	v_add_f32_e32 v3, v7, v3
	;; [unrolled: 1-line block ×3, first 2 shown]
	v_mul_f32_e32 v4, v137, v5
	v_fma_f32 v4, v136, v15, -v4
	v_add_f32_e32 v3, v3, v4
	v_mul_f32_e32 v4, v139, v6
	v_fma_f32 v4, v138, v14, -v4
	v_add_f32_e32 v3, v3, v4
	;; [unrolled: 3-line block ×32, first 2 shown]
	v_sub_f32_e32 v3, v109, v3
	v_sub_f32_e32 v4, v110, v22
	buffer_store_dword v3, off, s[0:3], 0 offset:88
	buffer_store_dword v4, off, s[0:3], 0 offset:92
	s_and_saveexec_b64 s[4:5], vcc
	s_cbranch_execz .LBB116_311
; %bb.310:
	buffer_load_dword v109, off, s[0:3], 0 offset:80
	buffer_load_dword v110, off, s[0:3], 0 offset:84
	s_waitcnt vmcnt(0)
	ds_write_b64 v107, v[109:110]
	buffer_store_dword v108, off, s[0:3], 0 offset:80
	buffer_store_dword v108, off, s[0:3], 0 offset:84
.LBB116_311:
	s_or_b64 exec, exec, s[4:5]
	s_waitcnt lgkmcnt(0)
	; wave barrier
	buffer_load_dword v3, off, s[0:3], 0 offset:92
	buffer_load_dword v4, off, s[0:3], 0 offset:100
	;; [unrolled: 1-line block ×32, first 2 shown]
	ds_read2_b64 v[109:112], v108 offset0:65 offset1:66
	ds_read2_b64 v[113:116], v108 offset0:67 offset1:68
	;; [unrolled: 1-line block ×6, first 2 shown]
	buffer_load_dword v203, off, s[0:3], 0 offset:208
	buffer_load_dword v204, off, s[0:3], 0 offset:212
	;; [unrolled: 1-line block ×18, first 2 shown]
	v_cmp_lt_u32_e32 vcc, 9, v0
	s_waitcnt vmcnt(49) lgkmcnt(5)
	v_mul_f32_e32 v133, v109, v3
	s_waitcnt vmcnt(48)
	v_mul_f32_e32 v134, v111, v4
	s_waitcnt vmcnt(47) lgkmcnt(4)
	v_mul_f32_e32 v135, v113, v5
	s_waitcnt vmcnt(46)
	v_mul_f32_e32 v136, v115, v6
	;; [unrolled: 4-line block ×6, first 2 shown]
	s_waitcnt vmcnt(37)
	v_fmac_f32_e32 v135, v114, v15
	s_waitcnt vmcnt(36)
	v_fmac_f32_e32 v134, v112, v16
	;; [unrolled: 2-line block ×3, first 2 shown]
	v_add_f32_e32 v133, 0, v133
	v_add_f32_e32 v133, v133, v134
	;; [unrolled: 1-line block ×3, first 2 shown]
	s_waitcnt vmcnt(31)
	v_fmac_f32_e32 v136, v116, v21
	v_fmac_f32_e32 v137, v118, v20
	v_add_f32_e32 v133, v133, v136
	v_fmac_f32_e32 v138, v120, v19
	v_add_f32_e32 v133, v133, v137
	;; [unrolled: 2-line block ×3, first 2 shown]
	s_waitcnt vmcnt(27)
	v_fmac_f32_e32 v140, v124, v193
	v_add_f32_e32 v133, v133, v139
	v_fmac_f32_e32 v141, v126, v24
	v_add_f32_e32 v133, v133, v140
	;; [unrolled: 2-line block ×3, first 2 shown]
	v_add_f32_e32 v137, v133, v142
	ds_read2_b64 v[133:136], v108 offset0:77 offset1:78
	buffer_load_dword v221, off, s[0:3], 0 offset:280
	buffer_load_dword v222, off, s[0:3], 0 offset:284
	;; [unrolled: 1-line block ×6, first 2 shown]
	v_fmac_f32_e32 v143, v130, v22
	s_waitcnt vmcnt(27)
	v_fmac_f32_e32 v144, v132, v199
	v_add_f32_e32 v137, v137, v143
	v_add_f32_e32 v141, v137, v144
	ds_read2_b64 v[137:140], v108 offset0:79 offset1:80
	buffer_load_dword v227, off, s[0:3], 0 offset:304
	buffer_load_dword v228, off, s[0:3], 0 offset:308
	;; [unrolled: 1-line block ×10, first 2 shown]
	s_waitcnt vmcnt(36) lgkmcnt(1)
	v_mul_f32_e32 v142, v133, v200
	buffer_load_dword v237, off, s[0:3], 0 offset:344
	buffer_load_dword v238, off, s[0:3], 0 offset:348
	;; [unrolled: 1-line block ×6, first 2 shown]
	v_fmac_f32_e32 v142, v134, v198
	v_add_f32_e32 v141, v141, v142
	v_mul_f32_e32 v142, v135, v195
	v_fmac_f32_e32 v142, v136, v194
	v_add_f32_e32 v141, v141, v142
	s_waitcnt lgkmcnt(0)
	v_mul_f32_e32 v142, v137, v197
	v_fmac_f32_e32 v142, v138, v196
	v_add_f32_e32 v145, v141, v142
	ds_read2_b64 v[141:144], v108 offset0:81 offset1:82
	buffer_load_dword v243, off, s[0:3], 0 offset:368
	buffer_load_dword v244, off, s[0:3], 0 offset:372
	s_waitcnt vmcnt(40)
	v_mul_f32_e32 v146, v139, v204
	v_fmac_f32_e32 v146, v140, v203
	v_add_f32_e32 v149, v145, v146
	ds_read2_b64 v[145:148], v108 offset0:83 offset1:84
	buffer_load_dword v245, off, s[0:3], 0 offset:376
	buffer_load_dword v246, off, s[0:3], 0 offset:380
	;; [unrolled: 1-line block ×12, first 2 shown]
	v_mul_f32_e32 v3, v110, v3
	v_fma_f32 v3, v109, v17, -v3
	v_mul_f32_e32 v4, v112, v4
	v_add_f32_e32 v3, 0, v3
	v_fma_f32 v4, v111, v16, -v4
	v_add_f32_e32 v3, v3, v4
	v_mul_f32_e32 v4, v114, v5
	v_fma_f32 v4, v113, v15, -v4
	v_add_f32_e32 v3, v3, v4
	v_mul_f32_e32 v4, v116, v6
	;; [unrolled: 3-line block ×6, first 2 shown]
	v_fma_f32 v4, v123, v193, -v4
	s_waitcnt vmcnt(50) lgkmcnt(1)
	v_mul_f32_e32 v150, v141, v206
	v_add_f32_e32 v3, v3, v4
	v_mul_f32_e32 v4, v126, v11
	v_fmac_f32_e32 v150, v142, v205
	v_fma_f32 v4, v125, v24, -v4
	v_add_f32_e32 v149, v149, v150
	s_waitcnt vmcnt(48)
	v_mul_f32_e32 v150, v143, v208
	v_add_f32_e32 v3, v3, v4
	v_mul_f32_e32 v4, v128, v12
	v_fmac_f32_e32 v150, v144, v207
	v_fma_f32 v4, v127, v23, -v4
	v_add_f32_e32 v26, v149, v150
	s_waitcnt vmcnt(46) lgkmcnt(0)
	v_mul_f32_e32 v149, v145, v210
	v_add_f32_e32 v3, v3, v4
	v_mul_f32_e32 v4, v130, v13
	v_fmac_f32_e32 v149, v146, v209
	v_fma_f32 v4, v129, v22, -v4
	v_add_f32_e32 v26, v26, v149
	ds_read2_b64 v[149:152], v108 offset0:85 offset1:86
	v_add_f32_e32 v3, v3, v4
	v_mul_f32_e32 v4, v132, v14
	v_fma_f32 v4, v131, v199, -v4
	s_waitcnt vmcnt(44)
	v_mul_f32_e32 v153, v147, v212
	v_add_f32_e32 v3, v3, v4
	v_mul_f32_e32 v4, v134, v200
	v_fmac_f32_e32 v153, v148, v211
	v_fma_f32 v4, v133, v198, -v4
	v_add_f32_e32 v26, v26, v153
	ds_read2_b64 v[153:156], v108 offset0:87 offset1:88
	v_add_f32_e32 v3, v3, v4
	v_mul_f32_e32 v4, v136, v195
	s_waitcnt vmcnt(42) lgkmcnt(1)
	v_mul_f32_e32 v157, v149, v214
	v_fma_f32 v4, v135, v194, -v4
	v_fmac_f32_e32 v157, v150, v213
	v_add_f32_e32 v3, v3, v4
	v_mul_f32_e32 v4, v138, v197
	v_add_f32_e32 v26, v26, v157
	s_waitcnt vmcnt(40)
	v_mul_f32_e32 v157, v151, v216
	v_fma_f32 v4, v137, v196, -v4
	v_fmac_f32_e32 v157, v152, v215
	v_add_f32_e32 v3, v3, v4
	v_mul_f32_e32 v4, v140, v204
	v_add_f32_e32 v26, v26, v157
	s_waitcnt vmcnt(38) lgkmcnt(0)
	v_mul_f32_e32 v157, v153, v218
	v_fma_f32 v4, v139, v203, -v4
	v_fmac_f32_e32 v157, v154, v217
	v_add_f32_e32 v3, v3, v4
	v_mul_f32_e32 v4, v142, v206
	v_add_f32_e32 v26, v26, v157
	ds_read2_b64 v[157:160], v108 offset0:89 offset1:90
	v_fma_f32 v4, v141, v205, -v4
	v_add_f32_e32 v3, v3, v4
	v_mul_f32_e32 v4, v144, v208
	s_waitcnt vmcnt(36)
	v_mul_f32_e32 v161, v155, v220
	v_fma_f32 v4, v143, v207, -v4
	v_fmac_f32_e32 v161, v156, v219
	v_add_f32_e32 v3, v3, v4
	v_mul_f32_e32 v4, v146, v210
	v_add_f32_e32 v26, v26, v161
	ds_read2_b64 v[161:164], v108 offset0:91 offset1:92
	v_fma_f32 v4, v145, v209, -v4
	s_waitcnt vmcnt(34) lgkmcnt(1)
	v_mul_f32_e32 v165, v157, v222
	v_add_f32_e32 v3, v3, v4
	v_mul_f32_e32 v4, v148, v212
	v_fmac_f32_e32 v165, v158, v221
	v_fma_f32 v4, v147, v211, -v4
	v_add_f32_e32 v26, v26, v165
	s_waitcnt vmcnt(33)
	v_mul_f32_e32 v165, v159, v223
	v_add_f32_e32 v3, v3, v4
	v_mul_f32_e32 v4, v150, v214
	s_waitcnt vmcnt(30)
	v_fmac_f32_e32 v165, v160, v226
	v_fma_f32 v4, v149, v213, -v4
	v_add_f32_e32 v26, v26, v165
	s_waitcnt lgkmcnt(0)
	v_mul_f32_e32 v165, v161, v225
	v_add_f32_e32 v3, v3, v4
	v_mul_f32_e32 v4, v152, v216
	v_fmac_f32_e32 v165, v162, v224
	v_fma_f32 v4, v151, v215, -v4
	v_add_f32_e32 v26, v26, v165
	ds_read2_b64 v[165:168], v108 offset0:93 offset1:94
	v_add_f32_e32 v3, v3, v4
	v_mul_f32_e32 v4, v154, v218
	v_fma_f32 v4, v153, v217, -v4
	s_waitcnt vmcnt(28)
	v_mul_f32_e32 v169, v163, v228
	v_add_f32_e32 v3, v3, v4
	v_mul_f32_e32 v4, v156, v220
	v_fmac_f32_e32 v169, v164, v227
	v_fma_f32 v4, v155, v219, -v4
	v_add_f32_e32 v26, v26, v169
	ds_read2_b64 v[169:172], v108 offset0:95 offset1:96
	v_add_f32_e32 v3, v3, v4
	v_mul_f32_e32 v4, v158, v222
	s_waitcnt vmcnt(26) lgkmcnt(1)
	v_mul_f32_e32 v173, v165, v230
	v_fma_f32 v4, v157, v221, -v4
	v_fmac_f32_e32 v173, v166, v229
	v_add_f32_e32 v3, v3, v4
	v_mul_f32_e32 v4, v160, v223
	v_add_f32_e32 v26, v26, v173
	s_waitcnt vmcnt(25)
	v_mul_f32_e32 v173, v167, v231
	v_fma_f32 v4, v159, v226, -v4
	s_waitcnt vmcnt(22)
	v_fmac_f32_e32 v173, v168, v234
	v_add_f32_e32 v3, v3, v4
	v_mul_f32_e32 v4, v162, v225
	v_add_f32_e32 v26, v26, v173
	s_waitcnt lgkmcnt(0)
	v_mul_f32_e32 v173, v169, v233
	v_fma_f32 v4, v161, v224, -v4
	v_fmac_f32_e32 v173, v170, v232
	v_add_f32_e32 v3, v3, v4
	v_mul_f32_e32 v4, v164, v228
	v_add_f32_e32 v26, v26, v173
	ds_read2_b64 v[173:176], v108 offset0:97 offset1:98
	v_fma_f32 v4, v163, v227, -v4
	v_add_f32_e32 v3, v3, v4
	v_mul_f32_e32 v4, v166, v230
	s_waitcnt vmcnt(20)
	v_mul_f32_e32 v177, v171, v236
	v_fma_f32 v4, v165, v229, -v4
	v_fmac_f32_e32 v177, v172, v235
	v_add_f32_e32 v3, v3, v4
	v_mul_f32_e32 v4, v168, v231
	v_add_f32_e32 v26, v26, v177
	ds_read2_b64 v[177:180], v108 offset0:99 offset1:100
	v_fma_f32 v4, v167, v234, -v4
	s_waitcnt vmcnt(18) lgkmcnt(1)
	v_mul_f32_e32 v181, v173, v238
	v_add_f32_e32 v3, v3, v4
	v_mul_f32_e32 v4, v170, v233
	v_fmac_f32_e32 v181, v174, v237
	v_fma_f32 v4, v169, v232, -v4
	v_add_f32_e32 v26, v26, v181
	s_waitcnt vmcnt(17)
	v_mul_f32_e32 v181, v175, v239
	v_add_f32_e32 v3, v3, v4
	v_mul_f32_e32 v4, v172, v236
	s_waitcnt vmcnt(14)
	v_fmac_f32_e32 v181, v176, v242
	v_fma_f32 v4, v171, v235, -v4
	v_add_f32_e32 v26, v26, v181
	s_waitcnt lgkmcnt(0)
	v_mul_f32_e32 v181, v177, v241
	v_add_f32_e32 v3, v3, v4
	v_mul_f32_e32 v4, v174, v238
	v_fmac_f32_e32 v181, v178, v240
	v_fma_f32 v4, v173, v237, -v4
	v_add_f32_e32 v26, v26, v181
	ds_read2_b64 v[181:184], v108 offset0:101 offset1:102
	v_add_f32_e32 v3, v3, v4
	v_mul_f32_e32 v4, v176, v239
	v_fma_f32 v4, v175, v242, -v4
	v_add_f32_e32 v3, v3, v4
	v_mul_f32_e32 v4, v178, v241
	s_waitcnt vmcnt(12)
	v_mul_f32_e32 v185, v179, v244
	v_fma_f32 v4, v177, v240, -v4
	v_fmac_f32_e32 v185, v180, v243
	v_add_f32_e32 v3, v3, v4
	v_mul_f32_e32 v4, v180, v244
	v_add_f32_e32 v26, v26, v185
	ds_read2_b64 v[185:188], v108 offset0:103 offset1:104
	s_waitcnt vmcnt(10) lgkmcnt(1)
	v_mul_f32_e32 v189, v181, v246
	v_fma_f32 v4, v179, v243, -v4
	v_fmac_f32_e32 v189, v182, v245
	v_add_f32_e32 v3, v3, v4
	v_mul_f32_e32 v4, v182, v246
	v_add_f32_e32 v26, v26, v189
	s_waitcnt vmcnt(9)
	v_mul_f32_e32 v189, v183, v247
	v_fma_f32 v4, v181, v245, -v4
	s_waitcnt vmcnt(6)
	v_fmac_f32_e32 v189, v184, v250
	v_add_f32_e32 v3, v3, v4
	v_mul_f32_e32 v4, v184, v247
	v_add_f32_e32 v26, v26, v189
	ds_read2_b64 v[189:192], v108 offset0:105 offset1:106
	v_fma_f32 v4, v183, v250, -v4
	v_add_f32_e32 v3, v3, v4
	s_waitcnt lgkmcnt(1)
	v_mul_f32_e32 v4, v186, v249
	v_mul_f32_e32 v27, v185, v249
	v_fma_f32 v4, v185, v248, -v4
	v_fmac_f32_e32 v27, v186, v248
	v_add_f32_e32 v3, v3, v4
	s_waitcnt vmcnt(4)
	v_mul_f32_e32 v4, v188, v252
	v_add_f32_e32 v26, v26, v27
	v_mul_f32_e32 v27, v187, v252
	v_fma_f32 v4, v187, v251, -v4
	v_fmac_f32_e32 v27, v188, v251
	v_add_f32_e32 v3, v3, v4
	s_waitcnt vmcnt(3) lgkmcnt(0)
	v_mul_f32_e32 v4, v190, v253
	v_add_f32_e32 v26, v26, v27
	v_mul_f32_e32 v27, v189, v253
	s_waitcnt vmcnt(0)
	v_fma_f32 v4, v189, v25, -v4
	v_fmac_f32_e32 v27, v190, v25
	v_add_f32_e32 v3, v3, v4
	v_mul_f32_e32 v4, v192, v255
	v_add_f32_e32 v26, v26, v27
	v_mul_f32_e32 v27, v191, v255
	v_fma_f32 v4, v191, v254, -v4
	v_fmac_f32_e32 v27, v192, v254
	v_add_f32_e32 v3, v3, v4
	v_add_f32_e32 v26, v26, v27
	v_sub_f32_e32 v3, v201, v3
	v_sub_f32_e32 v4, v202, v26
	buffer_store_dword v3, off, s[0:3], 0 offset:80
	buffer_store_dword v4, off, s[0:3], 0 offset:84
	s_and_saveexec_b64 s[4:5], vcc
	s_cbranch_execz .LBB116_313
; %bb.312:
	buffer_load_dword v108, off, s[0:3], 0 offset:72
	buffer_load_dword v109, off, s[0:3], 0 offset:76
	v_mov_b32_e32 v3, 0
	buffer_store_dword v3, off, s[0:3], 0 offset:72
	buffer_store_dword v3, off, s[0:3], 0 offset:76
	s_waitcnt vmcnt(2)
	ds_write_b64 v107, v[108:109]
.LBB116_313:
	s_or_b64 exec, exec, s[4:5]
	s_waitcnt lgkmcnt(0)
	; wave barrier
	buffer_load_dword v117, off, s[0:3], 0 offset:84
	buffer_load_dword v116, off, s[0:3], 0 offset:92
	;; [unrolled: 1-line block ×48, first 2 shown]
	v_mov_b32_e32 v108, 0
	ds_read_b128 v[123:126], v108 offset:512
	ds_read_b128 v[127:130], v108 offset:528
	;; [unrolled: 1-line block ×6, first 2 shown]
	buffer_load_dword v217, off, s[0:3], 0 offset:264
	buffer_load_dword v218, off, s[0:3], 0 offset:268
	v_cmp_lt_u32_e32 vcc, 8, v0
	s_waitcnt vmcnt(49) lgkmcnt(5)
	v_mul_f32_e32 v147, v123, v117
	s_waitcnt vmcnt(48)
	v_mul_f32_e32 v148, v125, v116
	s_waitcnt vmcnt(47) lgkmcnt(4)
	v_mul_f32_e32 v149, v127, v115
	s_waitcnt vmcnt(46)
	v_mul_f32_e32 v150, v129, v114
	;; [unrolled: 4-line block ×6, first 2 shown]
	s_waitcnt vmcnt(37)
	v_fmac_f32_e32 v149, v128, v3
	s_waitcnt vmcnt(36)
	v_fmac_f32_e32 v148, v126, v4
	;; [unrolled: 2-line block ×3, first 2 shown]
	v_add_f32_e32 v147, 0, v147
	v_add_f32_e32 v147, v147, v148
	;; [unrolled: 1-line block ×3, first 2 shown]
	s_waitcnt vmcnt(31)
	v_fmac_f32_e32 v150, v130, v9
	v_fmac_f32_e32 v151, v132, v8
	v_add_f32_e32 v147, v147, v150
	v_fmac_f32_e32 v152, v134, v7
	v_add_f32_e32 v147, v147, v151
	;; [unrolled: 2-line block ×3, first 2 shown]
	s_waitcnt vmcnt(27)
	v_fmac_f32_e32 v154, v138, v13
	v_add_f32_e32 v147, v147, v153
	v_fmac_f32_e32 v155, v140, v12
	v_add_f32_e32 v147, v147, v154
	v_fmac_f32_e32 v156, v142, v11
	v_add_f32_e32 v147, v147, v155
	v_fmac_f32_e32 v157, v144, v10
	v_add_f32_e32 v147, v147, v156
	v_add_f32_e32 v151, v147, v157
	ds_read_b128 v[147:150], v108 offset:608
	buffer_load_dword v219, off, s[0:3], 0 offset:272
	buffer_load_dword v220, off, s[0:3], 0 offset:276
	;; [unrolled: 1-line block ×6, first 2 shown]
	s_waitcnt vmcnt(28)
	v_fmac_f32_e32 v158, v146, v18
	v_add_f32_e32 v155, v151, v158
	ds_read_b128 v[151:154], v108 offset:624
	buffer_load_dword v225, off, s[0:3], 0 offset:296
	buffer_load_dword v226, off, s[0:3], 0 offset:300
	;; [unrolled: 1-line block ×8, first 2 shown]
	s_waitcnt vmcnt(35) lgkmcnt(1)
	v_mul_f32_e32 v156, v147, v19
	buffer_load_dword v233, off, s[0:3], 0 offset:328
	buffer_load_dword v234, off, s[0:3], 0 offset:332
	v_fmac_f32_e32 v156, v148, v17
	v_add_f32_e32 v155, v155, v156
	s_waitcnt vmcnt(36)
	v_mul_f32_e32 v156, v149, v20
	v_fmac_f32_e32 v156, v150, v16
	v_add_f32_e32 v155, v155, v156
	s_waitcnt lgkmcnt(0)
	v_mul_f32_e32 v156, v151, v15
	v_fmac_f32_e32 v156, v152, v14
	v_add_f32_e32 v159, v155, v156
	ds_read_b128 v[155:158], v108 offset:640
	buffer_load_dword v235, off, s[0:3], 0 offset:336
	buffer_load_dword v236, off, s[0:3], 0 offset:340
	;; [unrolled: 1-line block ×6, first 2 shown]
	s_waitcnt vmcnt(38)
	v_mul_f32_e32 v160, v153, v22
	v_fmac_f32_e32 v160, v154, v21
	v_add_f32_e32 v163, v159, v160
	ds_read_b128 v[159:162], v108 offset:656
	buffer_load_dword v241, off, s[0:3], 0 offset:360
	buffer_load_dword v242, off, s[0:3], 0 offset:364
	;; [unrolled: 1-line block ×16, first 2 shown]
	s_waitcnt vmcnt(52) lgkmcnt(1)
	v_mul_f32_e32 v164, v155, v24
	v_fmac_f32_e32 v164, v156, v23
	v_add_f32_e32 v163, v163, v164
	s_waitcnt vmcnt(50)
	v_mul_f32_e32 v164, v157, v26
	v_fmac_f32_e32 v164, v158, v25
	v_add_f32_e32 v163, v163, v164
	s_waitcnt vmcnt(48) lgkmcnt(0)
	v_mul_f32_e32 v164, v159, v28
	v_fmac_f32_e32 v164, v160, v27
	v_add_f32_e32 v167, v163, v164
	ds_read_b128 v[163:166], v108 offset:672
	s_waitcnt vmcnt(46)
	v_mul_f32_e32 v30, v161, v210
	v_fmac_f32_e32 v30, v162, v209
	v_add_f32_e32 v30, v167, v30
	ds_read_b128 v[167:170], v108 offset:688
	s_waitcnt vmcnt(44) lgkmcnt(1)
	v_mul_f32_e32 v171, v163, v212
	v_fmac_f32_e32 v171, v164, v211
	v_add_f32_e32 v30, v30, v171
	s_waitcnt vmcnt(42)
	v_mul_f32_e32 v171, v165, v214
	v_fmac_f32_e32 v171, v166, v213
	v_add_f32_e32 v30, v30, v171
	s_waitcnt vmcnt(40) lgkmcnt(0)
	v_mul_f32_e32 v171, v167, v216
	v_fmac_f32_e32 v171, v168, v215
	v_add_f32_e32 v30, v30, v171
	ds_read_b128 v[171:174], v108 offset:704
	s_waitcnt vmcnt(38)
	v_mul_f32_e32 v175, v169, v218
	v_fmac_f32_e32 v175, v170, v217
	v_add_f32_e32 v30, v30, v175
	ds_read_b128 v[175:178], v108 offset:720
	s_waitcnt vmcnt(36) lgkmcnt(1)
	v_mul_f32_e32 v179, v171, v220
	v_fmac_f32_e32 v179, v172, v219
	v_add_f32_e32 v30, v30, v179
	s_waitcnt vmcnt(35)
	v_mul_f32_e32 v179, v173, v221
	s_waitcnt vmcnt(32)
	v_fmac_f32_e32 v179, v174, v224
	v_add_f32_e32 v30, v30, v179
	s_waitcnt lgkmcnt(0)
	v_mul_f32_e32 v179, v175, v223
	v_fmac_f32_e32 v179, v176, v222
	v_add_f32_e32 v30, v30, v179
	ds_read_b128 v[179:182], v108 offset:736
	s_waitcnt vmcnt(30)
	v_mul_f32_e32 v183, v177, v226
	v_fmac_f32_e32 v183, v178, v225
	v_add_f32_e32 v30, v30, v183
	ds_read_b128 v[183:186], v108 offset:752
	s_waitcnt vmcnt(28) lgkmcnt(1)
	v_mul_f32_e32 v187, v179, v228
	v_fmac_f32_e32 v187, v180, v227
	v_add_f32_e32 v30, v30, v187
	s_waitcnt vmcnt(27)
	v_mul_f32_e32 v187, v181, v229
	s_waitcnt vmcnt(24)
	v_fmac_f32_e32 v187, v182, v232
	v_add_f32_e32 v30, v30, v187
	s_waitcnt lgkmcnt(0)
	;; [unrolled: 19-line block ×4, first 2 shown]
	v_mul_f32_e32 v203, v199, v247
	v_fmac_f32_e32 v203, v200, v246
	v_add_f32_e32 v30, v30, v203
	ds_read_b128 v[203:206], v108 offset:832
	s_waitcnt vmcnt(6)
	v_mul_f32_e32 v207, v201, v250
	v_fmac_f32_e32 v207, v202, v249
	v_add_f32_e32 v30, v30, v207
	ds_read_b64 v[207:208], v108 offset:848
	s_waitcnt vmcnt(4) lgkmcnt(1)
	v_mul_f32_e32 v31, v203, v252
	v_fmac_f32_e32 v31, v204, v251
	v_add_f32_e32 v30, v30, v31
	s_waitcnt vmcnt(3)
	v_mul_f32_e32 v31, v205, v253
	s_waitcnt vmcnt(0)
	v_fmac_f32_e32 v31, v206, v29
	v_add_f32_e32 v30, v30, v31
	s_waitcnt lgkmcnt(0)
	v_mul_f32_e32 v31, v207, v255
	v_fmac_f32_e32 v31, v208, v254
	v_add_f32_e32 v30, v30, v31
	v_mul_f32_e32 v31, v124, v117
	v_fma_f32 v5, v123, v5, -v31
	v_mul_f32_e32 v31, v126, v116
	v_add_f32_e32 v5, 0, v5
	v_fma_f32 v4, v125, v4, -v31
	v_add_f32_e32 v4, v5, v4
	v_mul_f32_e32 v5, v128, v115
	v_fma_f32 v3, v127, v3, -v5
	v_add_f32_e32 v3, v4, v3
	v_mul_f32_e32 v4, v130, v114
	;; [unrolled: 3-line block ×41, first 2 shown]
	v_fma_f32 v4, v207, v254, -v4
	v_add_f32_e32 v3, v3, v4
	v_sub_f32_e32 v3, v109, v3
	v_sub_f32_e32 v4, v110, v30
	buffer_store_dword v3, off, s[0:3], 0 offset:72
	buffer_store_dword v4, off, s[0:3], 0 offset:76
	s_and_saveexec_b64 s[4:5], vcc
	s_cbranch_execz .LBB116_315
; %bb.314:
	buffer_load_dword v109, off, s[0:3], 0 offset:64
	buffer_load_dword v110, off, s[0:3], 0 offset:68
	s_waitcnt vmcnt(0)
	ds_write_b64 v107, v[109:110]
	buffer_store_dword v108, off, s[0:3], 0 offset:64
	buffer_store_dword v108, off, s[0:3], 0 offset:68
.LBB116_315:
	s_or_b64 exec, exec, s[4:5]
	s_waitcnt lgkmcnt(0)
	; wave barrier
	buffer_load_dword v117, off, s[0:3], 0 offset:76
	buffer_load_dword v116, off, s[0:3], 0 offset:84
	;; [unrolled: 1-line block ×32, first 2 shown]
	ds_read2_b64 v[123:126], v108 offset0:63 offset1:64
	ds_read2_b64 v[127:130], v108 offset0:65 offset1:66
	;; [unrolled: 1-line block ×4, first 2 shown]
	buffer_load_dword v21, off, s[0:3], 0 offset:192
	buffer_load_dword v22, off, s[0:3], 0 offset:196
	ds_read2_b64 v[139:142], v108 offset0:71 offset1:72
	ds_read2_b64 v[143:146], v108 offset0:73 offset1:74
	;; [unrolled: 1-line block ×3, first 2 shown]
	buffer_load_dword v23, off, s[0:3], 0 offset:200
	buffer_load_dword v24, off, s[0:3], 0 offset:204
	;; [unrolled: 1-line block ×16, first 2 shown]
	v_cmp_lt_u32_e32 vcc, 7, v0
	s_waitcnt vmcnt(49) lgkmcnt(6)
	v_mul_f32_e32 v151, v123, v117
	s_waitcnt vmcnt(48)
	v_mul_f32_e32 v152, v125, v116
	s_waitcnt vmcnt(47) lgkmcnt(5)
	v_mul_f32_e32 v153, v127, v115
	s_waitcnt vmcnt(46)
	v_mul_f32_e32 v154, v129, v114
	;; [unrolled: 4-line block ×6, first 2 shown]
	s_waitcnt vmcnt(37)
	v_fmac_f32_e32 v153, v128, v3
	s_waitcnt vmcnt(36)
	v_fmac_f32_e32 v152, v126, v4
	;; [unrolled: 2-line block ×3, first 2 shown]
	v_add_f32_e32 v151, 0, v151
	v_add_f32_e32 v151, v151, v152
	;; [unrolled: 1-line block ×3, first 2 shown]
	s_waitcnt vmcnt(31)
	v_fmac_f32_e32 v154, v130, v9
	v_fmac_f32_e32 v155, v132, v8
	v_add_f32_e32 v151, v151, v154
	v_fmac_f32_e32 v156, v134, v7
	v_add_f32_e32 v151, v151, v155
	v_fmac_f32_e32 v157, v136, v6
	v_add_f32_e32 v151, v151, v156
	s_waitcnt vmcnt(27)
	v_fmac_f32_e32 v158, v138, v13
	v_add_f32_e32 v151, v151, v157
	v_fmac_f32_e32 v159, v140, v12
	v_add_f32_e32 v151, v151, v158
	;; [unrolled: 2-line block ×4, first 2 shown]
	s_waitcnt vmcnt(23)
	v_fmac_f32_e32 v162, v146, v17
	v_add_f32_e32 v151, v151, v161
	v_add_f32_e32 v155, v151, v162
	ds_read2_b64 v[151:154], v108 offset0:77 offset1:78
	buffer_load_dword v217, off, s[0:3], 0 offset:264
	buffer_load_dword v218, off, s[0:3], 0 offset:268
	;; [unrolled: 1-line block ×14, first 2 shown]
	s_waitcnt vmcnt(36) lgkmcnt(1)
	v_mul_f32_e32 v156, v147, v18
	buffer_load_dword v231, off, s[0:3], 0 offset:320
	buffer_load_dword v232, off, s[0:3], 0 offset:324
	v_fmac_f32_e32 v156, v148, v16
	v_add_f32_e32 v155, v155, v156
	s_waitcnt vmcnt(37)
	v_mul_f32_e32 v156, v149, v19
	v_fmac_f32_e32 v156, v150, v15
	v_add_f32_e32 v155, v155, v156
	s_waitcnt vmcnt(36) lgkmcnt(0)
	v_mul_f32_e32 v156, v151, v20
	v_fmac_f32_e32 v156, v152, v14
	v_add_f32_e32 v159, v155, v156
	ds_read2_b64 v[155:158], v108 offset0:79 offset1:80
	buffer_load_dword v233, off, s[0:3], 0 offset:328
	buffer_load_dword v234, off, s[0:3], 0 offset:332
	buffer_load_dword v235, off, s[0:3], 0 offset:340
	buffer_load_dword v236, off, s[0:3], 0 offset:344
	buffer_load_dword v237, off, s[0:3], 0 offset:348
	buffer_load_dword v238, off, s[0:3], 0 offset:336
	s_waitcnt vmcnt(38)
	v_mul_f32_e32 v160, v153, v22
	v_fmac_f32_e32 v160, v154, v21
	v_add_f32_e32 v163, v159, v160
	ds_read2_b64 v[159:162], v108 offset0:81 offset1:82
	buffer_load_dword v239, off, s[0:3], 0 offset:352
	buffer_load_dword v240, off, s[0:3], 0 offset:356
	;; [unrolled: 1-line block ×10, first 2 shown]
	s_waitcnt vmcnt(46) lgkmcnt(1)
	v_mul_f32_e32 v164, v155, v24
	v_fmac_f32_e32 v164, v156, v23
	v_add_f32_e32 v163, v163, v164
	s_waitcnt vmcnt(44)
	v_mul_f32_e32 v164, v157, v26
	v_fmac_f32_e32 v164, v158, v25
	v_add_f32_e32 v163, v163, v164
	s_waitcnt vmcnt(42) lgkmcnt(0)
	v_mul_f32_e32 v164, v159, v28
	buffer_load_dword v249, off, s[0:3], 0 offset:392
	buffer_load_dword v250, off, s[0:3], 0 offset:396
	;; [unrolled: 1-line block ×6, first 2 shown]
	v_fmac_f32_e32 v164, v160, v27
	s_waitcnt vmcnt(46)
	v_mul_f32_e32 v168, v161, v30
	v_add_f32_e32 v167, v163, v164
	v_fmac_f32_e32 v168, v162, v29
	ds_read2_b64 v[163:166], v108 offset0:83 offset1:84
	v_add_f32_e32 v171, v167, v168
	ds_read2_b64 v[167:170], v108 offset0:85 offset1:86
	buffer_load_dword v255, off, s[0:3], 0 offset:416
	buffer_load_dword v33, off, s[0:3], 0 offset:420
	s_waitcnt vmcnt(46) lgkmcnt(1)
	v_mul_f32_e32 v34, v163, v32
	v_fmac_f32_e32 v34, v164, v31
	v_add_f32_e32 v34, v171, v34
	s_waitcnt vmcnt(44)
	v_mul_f32_e32 v171, v165, v212
	v_fmac_f32_e32 v171, v166, v211
	v_add_f32_e32 v34, v34, v171
	s_waitcnt vmcnt(42) lgkmcnt(0)
	v_mul_f32_e32 v171, v167, v214
	v_fmac_f32_e32 v171, v168, v213
	v_add_f32_e32 v34, v34, v171
	ds_read2_b64 v[171:174], v108 offset0:87 offset1:88
	s_waitcnt vmcnt(40)
	v_mul_f32_e32 v175, v169, v216
	v_fmac_f32_e32 v175, v170, v215
	v_add_f32_e32 v34, v34, v175
	ds_read2_b64 v[175:178], v108 offset0:89 offset1:90
	s_waitcnt vmcnt(38) lgkmcnt(1)
	v_mul_f32_e32 v179, v171, v218
	v_fmac_f32_e32 v179, v172, v217
	v_add_f32_e32 v34, v34, v179
	s_waitcnt vmcnt(37)
	v_mul_f32_e32 v179, v173, v219
	s_waitcnt vmcnt(34)
	v_fmac_f32_e32 v179, v174, v222
	v_add_f32_e32 v34, v34, v179
	s_waitcnt lgkmcnt(0)
	v_mul_f32_e32 v179, v175, v221
	v_fmac_f32_e32 v179, v176, v220
	v_add_f32_e32 v34, v34, v179
	ds_read2_b64 v[179:182], v108 offset0:91 offset1:92
	s_waitcnt vmcnt(32)
	v_mul_f32_e32 v183, v177, v224
	v_fmac_f32_e32 v183, v178, v223
	v_add_f32_e32 v34, v34, v183
	ds_read2_b64 v[183:186], v108 offset0:93 offset1:94
	s_waitcnt vmcnt(30) lgkmcnt(1)
	v_mul_f32_e32 v187, v179, v226
	v_fmac_f32_e32 v187, v180, v225
	v_add_f32_e32 v34, v34, v187
	s_waitcnt vmcnt(29)
	v_mul_f32_e32 v187, v181, v227
	s_waitcnt vmcnt(26)
	v_fmac_f32_e32 v187, v182, v230
	v_add_f32_e32 v34, v34, v187
	s_waitcnt lgkmcnt(0)
	;; [unrolled: 19-line block ×5, first 2 shown]
	v_mul_f32_e32 v108, v207, v253
	v_fmac_f32_e32 v108, v208, v252
	v_add_f32_e32 v34, v34, v108
	s_waitcnt vmcnt(0)
	v_mul_f32_e32 v108, v209, v33
	v_fmac_f32_e32 v108, v210, v255
	v_add_f32_e32 v34, v34, v108
	v_mul_f32_e32 v108, v124, v117
	v_fma_f32 v5, v123, v5, -v108
	v_mul_f32_e32 v108, v126, v116
	v_add_f32_e32 v5, 0, v5
	v_fma_f32 v4, v125, v4, -v108
	v_add_f32_e32 v4, v5, v4
	v_mul_f32_e32 v5, v128, v115
	v_fma_f32 v3, v127, v3, -v5
	v_add_f32_e32 v3, v4, v3
	v_mul_f32_e32 v4, v130, v114
	;; [unrolled: 3-line block ×42, first 2 shown]
	v_fma_f32 v4, v209, v255, -v4
	v_add_f32_e32 v3, v3, v4
	v_sub_f32_e32 v3, v109, v3
	v_sub_f32_e32 v4, v110, v34
	buffer_store_dword v3, off, s[0:3], 0 offset:64
	buffer_store_dword v4, off, s[0:3], 0 offset:68
	s_and_saveexec_b64 s[4:5], vcc
	s_cbranch_execz .LBB116_317
; %bb.316:
	buffer_load_dword v108, off, s[0:3], 0 offset:56
	buffer_load_dword v109, off, s[0:3], 0 offset:60
	v_mov_b32_e32 v3, 0
	buffer_store_dword v3, off, s[0:3], 0 offset:56
	buffer_store_dword v3, off, s[0:3], 0 offset:60
	s_waitcnt vmcnt(2)
	ds_write_b64 v107, v[108:109]
.LBB116_317:
	s_or_b64 exec, exec, s[4:5]
	s_waitcnt lgkmcnt(0)
	; wave barrier
	buffer_load_dword v3, off, s[0:3], 0 offset:68
	buffer_load_dword v4, off, s[0:3], 0 offset:76
	;; [unrolled: 1-line block ×48, first 2 shown]
	v_mov_b32_e32 v108, 0
	ds_read_b128 v[111:114], v108 offset:496
	ds_read_b128 v[115:118], v108 offset:512
	ds_read_b128 v[119:122], v108 offset:528
	ds_read_b128 v[123:126], v108 offset:544
	ds_read_b128 v[127:130], v108 offset:560
	ds_read_b128 v[131:134], v108 offset:576
	ds_read_b128 v[135:138], v108 offset:592
	v_cmp_lt_u32_e32 vcc, 6, v0
	s_waitcnt vmcnt(47) lgkmcnt(6)
	v_mul_f32_e32 v139, v111, v3
	s_waitcnt vmcnt(46)
	v_mul_f32_e32 v140, v113, v4
	s_waitcnt vmcnt(45) lgkmcnt(5)
	v_mul_f32_e32 v141, v115, v5
	s_waitcnt vmcnt(44)
	v_mul_f32_e32 v142, v117, v6
	;; [unrolled: 4-line block ×6, first 2 shown]
	s_waitcnt vmcnt(35)
	v_fmac_f32_e32 v141, v116, v15
	s_waitcnt vmcnt(34)
	v_fmac_f32_e32 v140, v114, v16
	;; [unrolled: 2-line block ×3, first 2 shown]
	v_add_f32_e32 v139, 0, v139
	v_add_f32_e32 v139, v139, v140
	;; [unrolled: 1-line block ×3, first 2 shown]
	s_waitcnt vmcnt(29)
	v_fmac_f32_e32 v142, v118, v21
	v_fmac_f32_e32 v143, v120, v20
	v_add_f32_e32 v139, v139, v142
	v_fmac_f32_e32 v144, v122, v19
	v_add_f32_e32 v139, v139, v143
	;; [unrolled: 2-line block ×3, first 2 shown]
	s_waitcnt vmcnt(25)
	v_fmac_f32_e32 v146, v126, v25
	v_add_f32_e32 v139, v139, v145
	v_fmac_f32_e32 v147, v128, v24
	v_add_f32_e32 v139, v139, v146
	v_fmac_f32_e32 v148, v130, v23
	v_add_f32_e32 v139, v139, v147
	v_fmac_f32_e32 v149, v132, v22
	v_add_f32_e32 v139, v139, v148
	s_waitcnt vmcnt(21)
	v_fmac_f32_e32 v150, v134, v29
	v_add_f32_e32 v139, v139, v149
	v_add_f32_e32 v143, v139, v150
	ds_read_b128 v[139:142], v108 offset:608
	buffer_load_dword v215, off, s[0:3], 0 offset:248
	buffer_load_dword v216, off, s[0:3], 0 offset:252
	;; [unrolled: 1-line block ×10, first 2 shown]
	s_waitcnt vmcnt(30) lgkmcnt(1)
	v_mul_f32_e32 v144, v135, v30
	v_fmac_f32_e32 v144, v136, v28
	buffer_load_dword v225, off, s[0:3], 0 offset:288
	buffer_load_dword v226, off, s[0:3], 0 offset:292
	;; [unrolled: 1-line block ×6, first 2 shown]
	v_add_f32_e32 v143, v143, v144
	s_waitcnt vmcnt(35)
	v_mul_f32_e32 v144, v137, v31
	v_fmac_f32_e32 v144, v138, v27
	v_add_f32_e32 v143, v143, v144
	s_waitcnt vmcnt(34) lgkmcnt(0)
	v_mul_f32_e32 v144, v139, v32
	v_fmac_f32_e32 v144, v140, v26
	v_add_f32_e32 v147, v143, v144
	ds_read_b128 v[143:146], v108 offset:624
	buffer_load_dword v231, off, s[0:3], 0 offset:312
	buffer_load_dword v232, off, s[0:3], 0 offset:316
	s_waitcnt vmcnt(32)
	v_mul_f32_e32 v148, v141, v34
	v_fmac_f32_e32 v148, v142, v33
	v_add_f32_e32 v151, v147, v148
	ds_read_b128 v[147:150], v108 offset:640
	buffer_load_dword v233, off, s[0:3], 0 offset:320
	buffer_load_dword v234, off, s[0:3], 0 offset:324
	;; [unrolled: 1-line block ×14, first 2 shown]
	s_waitcnt vmcnt(44) lgkmcnt(1)
	v_mul_f32_e32 v152, v143, v202
	v_fmac_f32_e32 v152, v144, v201
	buffer_load_dword v247, off, s[0:3], 0 offset:376
	buffer_load_dword v248, off, s[0:3], 0 offset:380
	v_add_f32_e32 v151, v151, v152
	s_waitcnt vmcnt(44)
	v_mul_f32_e32 v152, v145, v204
	v_fmac_f32_e32 v152, v146, v203
	v_add_f32_e32 v151, v151, v152
	s_waitcnt vmcnt(42) lgkmcnt(0)
	v_mul_f32_e32 v152, v147, v206
	v_fmac_f32_e32 v152, v148, v205
	v_mul_f32_e32 v3, v112, v3
	v_add_f32_e32 v155, v151, v152
	ds_read_b128 v[151:154], v108 offset:656
	buffer_load_dword v249, off, s[0:3], 0 offset:384
	buffer_load_dword v250, off, s[0:3], 0 offset:388
	;; [unrolled: 1-line block ×6, first 2 shown]
	v_fma_f32 v3, v111, v17, -v3
	v_mul_f32_e32 v4, v114, v4
	v_add_f32_e32 v3, 0, v3
	v_fma_f32 v4, v113, v16, -v4
	v_add_f32_e32 v3, v3, v4
	v_mul_f32_e32 v4, v116, v5
	s_waitcnt vmcnt(46)
	v_mul_f32_e32 v156, v149, v208
	v_fma_f32 v4, v115, v15, -v4
	v_fmac_f32_e32 v156, v150, v207
	v_add_f32_e32 v3, v3, v4
	v_mul_f32_e32 v4, v118, v6
	v_add_f32_e32 v159, v155, v156
	ds_read_b128 v[155:158], v108 offset:672
	buffer_load_dword v255, off, s[0:3], 0 offset:412
	buffer_load_dword v35, off, s[0:3], 0 offset:416
	;; [unrolled: 1-line block ×4, first 2 shown]
	v_fma_f32 v4, v117, v21, -v4
	v_add_f32_e32 v3, v3, v4
	v_mul_f32_e32 v4, v120, v7
	v_fma_f32 v4, v119, v20, -v4
	v_add_f32_e32 v3, v3, v4
	v_mul_f32_e32 v4, v122, v8
	;; [unrolled: 3-line block ×8, first 2 shown]
	v_fma_f32 v4, v133, v29, -v4
	s_waitcnt vmcnt(48) lgkmcnt(1)
	v_mul_f32_e32 v160, v151, v210
	v_add_f32_e32 v3, v3, v4
	v_mul_f32_e32 v4, v136, v30
	v_fmac_f32_e32 v160, v152, v209
	v_fma_f32 v4, v135, v28, -v4
	v_add_f32_e32 v38, v159, v160
	s_waitcnt vmcnt(46)
	v_mul_f32_e32 v159, v153, v212
	v_add_f32_e32 v3, v3, v4
	v_mul_f32_e32 v4, v138, v31
	v_fmac_f32_e32 v159, v154, v211
	v_fma_f32 v4, v137, v27, -v4
	v_add_f32_e32 v38, v38, v159
	s_waitcnt vmcnt(44) lgkmcnt(0)
	v_mul_f32_e32 v159, v155, v214
	v_add_f32_e32 v3, v3, v4
	v_mul_f32_e32 v4, v140, v32
	v_fmac_f32_e32 v159, v156, v213
	v_fma_f32 v4, v139, v26, -v4
	v_add_f32_e32 v38, v38, v159
	ds_read_b128 v[159:162], v108 offset:688
	v_add_f32_e32 v3, v3, v4
	v_mul_f32_e32 v4, v142, v34
	v_fma_f32 v4, v141, v33, -v4
	s_waitcnt vmcnt(42)
	v_mul_f32_e32 v163, v157, v216
	v_add_f32_e32 v3, v3, v4
	v_mul_f32_e32 v4, v144, v202
	v_fmac_f32_e32 v163, v158, v215
	v_fma_f32 v4, v143, v201, -v4
	v_add_f32_e32 v38, v38, v163
	ds_read_b128 v[163:166], v108 offset:704
	v_add_f32_e32 v3, v3, v4
	v_mul_f32_e32 v4, v146, v204
	s_waitcnt vmcnt(40) lgkmcnt(1)
	v_mul_f32_e32 v167, v159, v218
	v_fma_f32 v4, v145, v203, -v4
	v_fmac_f32_e32 v167, v160, v217
	v_add_f32_e32 v3, v3, v4
	v_mul_f32_e32 v4, v148, v206
	v_add_f32_e32 v38, v38, v167
	s_waitcnt vmcnt(39)
	v_mul_f32_e32 v167, v161, v219
	v_fma_f32 v4, v147, v205, -v4
	s_waitcnt vmcnt(36)
	v_fmac_f32_e32 v167, v162, v222
	v_add_f32_e32 v3, v3, v4
	v_mul_f32_e32 v4, v150, v208
	v_add_f32_e32 v38, v38, v167
	s_waitcnt lgkmcnt(0)
	v_mul_f32_e32 v167, v163, v221
	v_fma_f32 v4, v149, v207, -v4
	v_fmac_f32_e32 v167, v164, v220
	v_add_f32_e32 v3, v3, v4
	v_mul_f32_e32 v4, v152, v210
	v_add_f32_e32 v38, v38, v167
	ds_read_b128 v[167:170], v108 offset:720
	v_fma_f32 v4, v151, v209, -v4
	v_add_f32_e32 v3, v3, v4
	v_mul_f32_e32 v4, v154, v212
	s_waitcnt vmcnt(34)
	v_mul_f32_e32 v171, v165, v224
	v_fma_f32 v4, v153, v211, -v4
	v_fmac_f32_e32 v171, v166, v223
	v_add_f32_e32 v3, v3, v4
	v_mul_f32_e32 v4, v156, v214
	v_add_f32_e32 v38, v38, v171
	ds_read_b128 v[171:174], v108 offset:736
	v_fma_f32 v4, v155, v213, -v4
	s_waitcnt vmcnt(32) lgkmcnt(1)
	v_mul_f32_e32 v175, v167, v226
	v_add_f32_e32 v3, v3, v4
	v_mul_f32_e32 v4, v158, v216
	v_fmac_f32_e32 v175, v168, v225
	v_fma_f32 v4, v157, v215, -v4
	v_add_f32_e32 v38, v38, v175
	s_waitcnt vmcnt(31)
	v_mul_f32_e32 v175, v169, v227
	v_add_f32_e32 v3, v3, v4
	v_mul_f32_e32 v4, v160, v218
	s_waitcnt vmcnt(28)
	v_fmac_f32_e32 v175, v170, v230
	v_fma_f32 v4, v159, v217, -v4
	v_add_f32_e32 v38, v38, v175
	s_waitcnt lgkmcnt(0)
	v_mul_f32_e32 v175, v171, v229
	v_add_f32_e32 v3, v3, v4
	v_mul_f32_e32 v4, v162, v219
	v_fmac_f32_e32 v175, v172, v228
	v_fma_f32 v4, v161, v222, -v4
	v_add_f32_e32 v38, v38, v175
	ds_read_b128 v[175:178], v108 offset:752
	v_add_f32_e32 v3, v3, v4
	v_mul_f32_e32 v4, v164, v221
	v_fma_f32 v4, v163, v220, -v4
	s_waitcnt vmcnt(26)
	v_mul_f32_e32 v179, v173, v232
	v_add_f32_e32 v3, v3, v4
	v_mul_f32_e32 v4, v166, v224
	v_fmac_f32_e32 v179, v174, v231
	v_fma_f32 v4, v165, v223, -v4
	v_add_f32_e32 v38, v38, v179
	ds_read_b128 v[179:182], v108 offset:768
	v_add_f32_e32 v3, v3, v4
	v_mul_f32_e32 v4, v168, v226
	s_waitcnt vmcnt(24) lgkmcnt(1)
	v_mul_f32_e32 v183, v175, v234
	v_fma_f32 v4, v167, v225, -v4
	v_fmac_f32_e32 v183, v176, v233
	v_add_f32_e32 v3, v3, v4
	v_mul_f32_e32 v4, v170, v227
	v_add_f32_e32 v38, v38, v183
	s_waitcnt vmcnt(23)
	v_mul_f32_e32 v183, v177, v235
	v_fma_f32 v4, v169, v230, -v4
	s_waitcnt vmcnt(20)
	v_fmac_f32_e32 v183, v178, v238
	v_add_f32_e32 v3, v3, v4
	v_mul_f32_e32 v4, v172, v229
	v_add_f32_e32 v38, v38, v183
	s_waitcnt lgkmcnt(0)
	v_mul_f32_e32 v183, v179, v237
	v_fma_f32 v4, v171, v228, -v4
	v_fmac_f32_e32 v183, v180, v236
	v_add_f32_e32 v3, v3, v4
	v_mul_f32_e32 v4, v174, v232
	v_add_f32_e32 v38, v38, v183
	ds_read_b128 v[183:186], v108 offset:784
	v_fma_f32 v4, v173, v231, -v4
	v_add_f32_e32 v3, v3, v4
	v_mul_f32_e32 v4, v176, v234
	s_waitcnt vmcnt(18)
	v_mul_f32_e32 v187, v181, v240
	v_fma_f32 v4, v175, v233, -v4
	v_fmac_f32_e32 v187, v182, v239
	v_add_f32_e32 v3, v3, v4
	v_mul_f32_e32 v4, v178, v235
	v_add_f32_e32 v38, v38, v187
	ds_read_b128 v[187:190], v108 offset:800
	v_fma_f32 v4, v177, v238, -v4
	s_waitcnt vmcnt(16) lgkmcnt(1)
	v_mul_f32_e32 v191, v183, v242
	v_add_f32_e32 v3, v3, v4
	v_mul_f32_e32 v4, v180, v237
	v_fmac_f32_e32 v191, v184, v241
	v_fma_f32 v4, v179, v236, -v4
	v_add_f32_e32 v38, v38, v191
	s_waitcnt vmcnt(15)
	v_mul_f32_e32 v191, v185, v243
	v_add_f32_e32 v3, v3, v4
	v_mul_f32_e32 v4, v182, v240
	s_waitcnt vmcnt(12)
	v_fmac_f32_e32 v191, v186, v246
	v_fma_f32 v4, v181, v239, -v4
	v_add_f32_e32 v38, v38, v191
	s_waitcnt lgkmcnt(0)
	v_mul_f32_e32 v191, v187, v245
	v_add_f32_e32 v3, v3, v4
	v_mul_f32_e32 v4, v184, v242
	v_fmac_f32_e32 v191, v188, v244
	v_fma_f32 v4, v183, v241, -v4
	v_add_f32_e32 v38, v38, v191
	ds_read_b128 v[191:194], v108 offset:816
	v_add_f32_e32 v3, v3, v4
	v_mul_f32_e32 v4, v186, v243
	v_fma_f32 v4, v185, v246, -v4
	v_add_f32_e32 v3, v3, v4
	v_mul_f32_e32 v4, v188, v245
	s_waitcnt vmcnt(10)
	v_mul_f32_e32 v195, v189, v248
	v_fma_f32 v4, v187, v244, -v4
	v_fmac_f32_e32 v195, v190, v247
	v_add_f32_e32 v3, v3, v4
	v_mul_f32_e32 v4, v190, v248
	v_add_f32_e32 v38, v38, v195
	ds_read_b128 v[195:198], v108 offset:832
	s_waitcnt vmcnt(8) lgkmcnt(1)
	v_mul_f32_e32 v199, v191, v250
	v_fma_f32 v4, v189, v247, -v4
	v_fmac_f32_e32 v199, v192, v249
	v_add_f32_e32 v3, v3, v4
	v_mul_f32_e32 v4, v192, v250
	v_add_f32_e32 v38, v38, v199
	s_waitcnt vmcnt(7)
	v_mul_f32_e32 v199, v193, v251
	v_fma_f32 v4, v191, v249, -v4
	s_waitcnt vmcnt(4)
	v_fmac_f32_e32 v199, v194, v254
	v_add_f32_e32 v3, v3, v4
	v_mul_f32_e32 v4, v194, v251
	v_add_f32_e32 v38, v38, v199
	ds_read_b64 v[199:200], v108 offset:848
	v_fma_f32 v4, v193, v254, -v4
	v_add_f32_e32 v3, v3, v4
	s_waitcnt lgkmcnt(1)
	v_mul_f32_e32 v4, v196, v253
	v_mul_f32_e32 v39, v195, v253
	v_fma_f32 v4, v195, v252, -v4
	v_fmac_f32_e32 v39, v196, v252
	v_add_f32_e32 v3, v3, v4
	s_waitcnt vmcnt(3)
	v_mul_f32_e32 v4, v198, v255
	v_add_f32_e32 v38, v38, v39
	v_mul_f32_e32 v39, v197, v255
	s_waitcnt vmcnt(0)
	v_fma_f32 v4, v197, v37, -v4
	v_fmac_f32_e32 v39, v198, v37
	v_add_f32_e32 v3, v3, v4
	s_waitcnt lgkmcnt(0)
	v_mul_f32_e32 v4, v200, v36
	v_add_f32_e32 v38, v38, v39
	v_mul_f32_e32 v39, v199, v36
	v_fma_f32 v4, v199, v35, -v4
	v_fmac_f32_e32 v39, v200, v35
	v_add_f32_e32 v3, v3, v4
	v_add_f32_e32 v38, v38, v39
	v_sub_f32_e32 v3, v109, v3
	v_sub_f32_e32 v4, v110, v38
	buffer_store_dword v3, off, s[0:3], 0 offset:56
	buffer_store_dword v4, off, s[0:3], 0 offset:60
	s_and_saveexec_b64 s[4:5], vcc
	s_cbranch_execz .LBB116_319
; %bb.318:
	buffer_load_dword v109, off, s[0:3], 0 offset:48
	buffer_load_dword v110, off, s[0:3], 0 offset:52
	s_waitcnt vmcnt(0)
	ds_write_b64 v107, v[109:110]
	buffer_store_dword v108, off, s[0:3], 0 offset:48
	buffer_store_dword v108, off, s[0:3], 0 offset:52
.LBB116_319:
	s_or_b64 exec, exec, s[4:5]
	s_waitcnt lgkmcnt(0)
	; wave barrier
	buffer_load_dword v117, off, s[0:3], 0 offset:60
	buffer_load_dword v116, off, s[0:3], 0 offset:68
	;; [unrolled: 1-line block ×33, first 2 shown]
	ds_read2_b64 v[118:121], v108 offset0:61 offset1:62
	ds_read2_b64 v[122:125], v108 offset0:63 offset1:64
	;; [unrolled: 1-line block ×6, first 2 shown]
	buffer_load_dword v27, off, s[0:3], 0 offset:176
	buffer_load_dword v28, off, s[0:3], 0 offset:188
	;; [unrolled: 1-line block ×7, first 2 shown]
	ds_read2_b64 v[142:145], v108 offset0:73 offset1:74
	ds_read2_b64 v[146:149], v108 offset0:75 offset1:76
	buffer_load_dword v34, off, s[0:3], 0 offset:208
	buffer_load_dword v35, off, s[0:3], 0 offset:212
	;; [unrolled: 1-line block ×18, first 2 shown]
	v_cmp_lt_u32_e32 vcc, 5, v0
	s_waitcnt vmcnt(57) lgkmcnt(7)
	v_mul_f32_e32 v150, v118, v117
	s_waitcnt vmcnt(56)
	v_mul_f32_e32 v151, v120, v116
	s_waitcnt vmcnt(55) lgkmcnt(6)
	v_mul_f32_e32 v152, v122, v115
	s_waitcnt vmcnt(54)
	v_mul_f32_e32 v153, v124, v114
	;; [unrolled: 4-line block ×6, first 2 shown]
	s_waitcnt vmcnt(45)
	v_fmac_f32_e32 v152, v123, v8
	s_waitcnt vmcnt(44)
	v_fmac_f32_e32 v151, v121, v9
	;; [unrolled: 2-line block ×3, first 2 shown]
	v_add_f32_e32 v150, 0, v150
	v_add_f32_e32 v150, v150, v151
	;; [unrolled: 1-line block ×3, first 2 shown]
	s_waitcnt vmcnt(39)
	v_fmac_f32_e32 v153, v125, v14
	v_fmac_f32_e32 v154, v127, v13
	v_add_f32_e32 v150, v150, v153
	v_fmac_f32_e32 v155, v129, v12
	v_add_f32_e32 v150, v150, v154
	;; [unrolled: 2-line block ×3, first 2 shown]
	s_waitcnt vmcnt(35)
	v_fmac_f32_e32 v157, v133, v18
	v_add_f32_e32 v150, v150, v156
	v_fmac_f32_e32 v158, v135, v17
	v_add_f32_e32 v150, v150, v157
	;; [unrolled: 2-line block ×4, first 2 shown]
	s_waitcnt vmcnt(31)
	v_fmac_f32_e32 v161, v141, v22
	v_add_f32_e32 v150, v150, v160
	s_waitcnt vmcnt(30) lgkmcnt(1)
	v_mul_f32_e32 v151, v142, v23
	v_add_f32_e32 v150, v150, v161
	v_fmac_f32_e32 v151, v143, v21
	v_add_f32_e32 v150, v150, v151
	s_waitcnt vmcnt(29)
	v_mul_f32_e32 v151, v144, v24
	v_fmac_f32_e32 v151, v145, v20
	v_add_f32_e32 v150, v150, v151
	s_waitcnt vmcnt(28) lgkmcnt(0)
	v_mul_f32_e32 v151, v146, v25
	v_fmac_f32_e32 v151, v147, v19
	v_add_f32_e32 v154, v150, v151
	ds_read2_b64 v[150:153], v108 offset0:77 offset1:78
	buffer_load_dword v221, off, s[0:3], 0 offset:280
	buffer_load_dword v222, off, s[0:3], 0 offset:284
	;; [unrolled: 1-line block ×6, first 2 shown]
	s_waitcnt vmcnt(33)
	v_mul_f32_e32 v155, v148, v26
	s_waitcnt vmcnt(30)
	v_fmac_f32_e32 v155, v149, v27
	v_add_f32_e32 v158, v154, v155
	ds_read2_b64 v[154:157], v108 offset0:79 offset1:80
	buffer_load_dword v227, off, s[0:3], 0 offset:304
	buffer_load_dword v228, off, s[0:3], 0 offset:308
	;; [unrolled: 1-line block ×10, first 2 shown]
	s_waitcnt vmcnt(39) lgkmcnt(1)
	v_mul_f32_e32 v159, v150, v28
	buffer_load_dword v237, off, s[0:3], 0 offset:344
	buffer_load_dword v238, off, s[0:3], 0 offset:348
	;; [unrolled: 1-line block ×6, first 2 shown]
	s_waitcnt vmcnt(40)
	v_fmac_f32_e32 v159, v151, v33
	v_add_f32_e32 v158, v158, v159
	v_mul_f32_e32 v159, v152, v30
	v_fmac_f32_e32 v159, v153, v29
	v_add_f32_e32 v158, v158, v159
	s_waitcnt lgkmcnt(0)
	v_mul_f32_e32 v159, v154, v32
	v_fmac_f32_e32 v159, v155, v31
	v_add_f32_e32 v162, v158, v159
	ds_read2_b64 v[158:161], v108 offset0:81 offset1:82
	buffer_load_dword v243, off, s[0:3], 0 offset:368
	buffer_load_dword v244, off, s[0:3], 0 offset:372
	s_waitcnt vmcnt(40)
	v_mul_f32_e32 v163, v156, v35
	v_fmac_f32_e32 v163, v157, v34
	v_add_f32_e32 v166, v162, v163
	ds_read2_b64 v[162:165], v108 offset0:83 offset1:84
	buffer_load_dword v245, off, s[0:3], 0 offset:376
	buffer_load_dword v246, off, s[0:3], 0 offset:380
	;; [unrolled: 1-line block ×12, first 2 shown]
	s_waitcnt vmcnt(50) lgkmcnt(1)
	v_mul_f32_e32 v167, v158, v37
	v_fmac_f32_e32 v167, v159, v36
	v_add_f32_e32 v166, v166, v167
	s_waitcnt vmcnt(48)
	v_mul_f32_e32 v167, v160, v39
	v_fmac_f32_e32 v167, v161, v38
	v_add_f32_e32 v42, v166, v167
	s_waitcnt vmcnt(46) lgkmcnt(0)
	v_mul_f32_e32 v166, v162, v210
	v_fmac_f32_e32 v166, v163, v40
	v_add_f32_e32 v42, v42, v166
	ds_read2_b64 v[166:169], v108 offset0:85 offset1:86
	s_waitcnt vmcnt(44)
	v_mul_f32_e32 v170, v164, v212
	v_fmac_f32_e32 v170, v165, v211
	v_add_f32_e32 v42, v42, v170
	ds_read2_b64 v[170:173], v108 offset0:87 offset1:88
	s_waitcnt vmcnt(42) lgkmcnt(1)
	v_mul_f32_e32 v174, v166, v214
	v_fmac_f32_e32 v174, v167, v213
	v_add_f32_e32 v42, v42, v174
	s_waitcnt vmcnt(41)
	v_mul_f32_e32 v174, v168, v215
	s_waitcnt vmcnt(38)
	v_fmac_f32_e32 v174, v169, v218
	v_add_f32_e32 v42, v42, v174
	s_waitcnt lgkmcnt(0)
	v_mul_f32_e32 v174, v170, v217
	v_fmac_f32_e32 v174, v171, v216
	v_add_f32_e32 v42, v42, v174
	ds_read2_b64 v[174:177], v108 offset0:89 offset1:90
	s_waitcnt vmcnt(36)
	v_mul_f32_e32 v178, v172, v220
	v_fmac_f32_e32 v178, v173, v219
	v_add_f32_e32 v42, v42, v178
	ds_read2_b64 v[178:181], v108 offset0:91 offset1:92
	v_mul_f32_e32 v3, v133, v3
	v_fma_f32 v3, v132, v18, -v3
	v_mul_f32_e32 v4, v135, v4
	v_fma_f32 v4, v134, v17, -v4
	s_waitcnt vmcnt(34) lgkmcnt(1)
	v_mul_f32_e32 v182, v174, v222
	v_fmac_f32_e32 v182, v175, v221
	v_add_f32_e32 v42, v42, v182
	s_waitcnt vmcnt(33)
	v_mul_f32_e32 v182, v176, v223
	s_waitcnt vmcnt(30)
	v_fmac_f32_e32 v182, v177, v226
	v_add_f32_e32 v42, v42, v182
	s_waitcnt lgkmcnt(0)
	v_mul_f32_e32 v182, v178, v225
	v_fmac_f32_e32 v182, v179, v224
	v_add_f32_e32 v42, v42, v182
	ds_read2_b64 v[182:185], v108 offset0:93 offset1:94
	s_waitcnt vmcnt(28)
	v_mul_f32_e32 v186, v180, v228
	v_fmac_f32_e32 v186, v181, v227
	v_add_f32_e32 v42, v42, v186
	ds_read2_b64 v[186:189], v108 offset0:95 offset1:96
	s_waitcnt vmcnt(26) lgkmcnt(1)
	v_mul_f32_e32 v190, v182, v230
	v_fmac_f32_e32 v190, v183, v229
	v_add_f32_e32 v42, v42, v190
	s_waitcnt vmcnt(25)
	v_mul_f32_e32 v190, v184, v231
	s_waitcnt vmcnt(22)
	v_fmac_f32_e32 v190, v185, v234
	v_add_f32_e32 v42, v42, v190
	s_waitcnt lgkmcnt(0)
	v_mul_f32_e32 v190, v186, v233
	v_fmac_f32_e32 v190, v187, v232
	v_add_f32_e32 v42, v42, v190
	ds_read2_b64 v[190:193], v108 offset0:97 offset1:98
	s_waitcnt vmcnt(20)
	v_mul_f32_e32 v194, v188, v236
	v_fmac_f32_e32 v194, v189, v235
	v_add_f32_e32 v42, v42, v194
	ds_read2_b64 v[194:197], v108 offset0:99 offset1:100
	;; [unrolled: 19-line block ×3, first 2 shown]
	s_waitcnt vmcnt(10) lgkmcnt(1)
	v_mul_f32_e32 v206, v198, v246
	v_fmac_f32_e32 v206, v199, v245
	v_add_f32_e32 v42, v42, v206
	s_waitcnt vmcnt(9)
	v_mul_f32_e32 v206, v200, v247
	s_waitcnt vmcnt(6)
	v_fmac_f32_e32 v206, v201, v250
	v_add_f32_e32 v42, v42, v206
	ds_read2_b64 v[206:209], v108 offset0:105 offset1:106
	s_waitcnt lgkmcnt(1)
	v_mul_f32_e32 v43, v202, v249
	v_fmac_f32_e32 v43, v203, v248
	v_add_f32_e32 v42, v42, v43
	s_waitcnt vmcnt(4)
	v_mul_f32_e32 v43, v204, v252
	v_fmac_f32_e32 v43, v205, v251
	v_add_f32_e32 v42, v42, v43
	s_waitcnt vmcnt(3) lgkmcnt(0)
	v_mul_f32_e32 v43, v206, v253
	s_waitcnt vmcnt(0)
	v_fmac_f32_e32 v43, v207, v41
	v_add_f32_e32 v42, v42, v43
	v_mul_f32_e32 v43, v208, v255
	v_fmac_f32_e32 v43, v209, v254
	v_add_f32_e32 v42, v42, v43
	v_mul_f32_e32 v43, v119, v117
	v_fma_f32 v10, v118, v10, -v43
	v_mul_f32_e32 v43, v121, v116
	v_add_f32_e32 v10, 0, v10
	v_fma_f32 v9, v120, v9, -v43
	v_add_f32_e32 v9, v10, v9
	v_mul_f32_e32 v10, v123, v115
	v_fma_f32 v8, v122, v8, -v10
	v_add_f32_e32 v8, v9, v8
	v_mul_f32_e32 v9, v125, v114
	;; [unrolled: 3-line block ×5, first 2 shown]
	v_fma_f32 v9, v130, v11, -v9
	v_add_f32_e32 v8, v8, v9
	v_add_f32_e32 v3, v8, v3
	;; [unrolled: 1-line block ×3, first 2 shown]
	v_mul_f32_e32 v4, v137, v5
	v_fma_f32 v4, v136, v16, -v4
	v_add_f32_e32 v3, v3, v4
	v_mul_f32_e32 v4, v139, v6
	v_fma_f32 v4, v138, v15, -v4
	v_add_f32_e32 v3, v3, v4
	;; [unrolled: 3-line block ×37, first 2 shown]
	v_sub_f32_e32 v3, v109, v3
	v_sub_f32_e32 v4, v110, v42
	buffer_store_dword v3, off, s[0:3], 0 offset:48
	buffer_store_dword v4, off, s[0:3], 0 offset:52
	s_and_saveexec_b64 s[4:5], vcc
	s_cbranch_execz .LBB116_321
; %bb.320:
	buffer_load_dword v108, off, s[0:3], 0 offset:40
	buffer_load_dword v109, off, s[0:3], 0 offset:44
	v_mov_b32_e32 v3, 0
	buffer_store_dword v3, off, s[0:3], 0 offset:40
	buffer_store_dword v3, off, s[0:3], 0 offset:44
	s_waitcnt vmcnt(2)
	ds_write_b64 v107, v[108:109]
.LBB116_321:
	s_or_b64 exec, exec, s[4:5]
	s_waitcnt lgkmcnt(0)
	; wave barrier
	buffer_load_dword v115, off, s[0:3], 0 offset:52
	buffer_load_dword v114, off, s[0:3], 0 offset:60
	;; [unrolled: 1-line block ×48, first 2 shown]
	v_mov_b32_e32 v108, 0
	ds_read_b128 v[118:121], v108 offset:480
	ds_read_b128 v[122:125], v108 offset:496
	;; [unrolled: 1-line block ×7, first 2 shown]
	v_cmp_lt_u32_e32 vcc, 4, v0
	s_waitcnt vmcnt(47) lgkmcnt(6)
	v_mul_f32_e32 v42, v118, v115
	s_waitcnt vmcnt(46)
	v_mul_f32_e32 v43, v120, v114
	s_waitcnt vmcnt(45) lgkmcnt(5)
	v_mul_f32_e32 v44, v122, v113
	s_waitcnt vmcnt(44)
	v_mul_f32_e32 v146, v124, v112
	;; [unrolled: 4-line block ×6, first 2 shown]
	s_waitcnt vmcnt(35)
	v_fmac_f32_e32 v44, v123, v8
	s_waitcnt vmcnt(34)
	v_fmac_f32_e32 v43, v121, v9
	;; [unrolled: 2-line block ×3, first 2 shown]
	v_add_f32_e32 v42, 0, v42
	v_add_f32_e32 v42, v42, v43
	;; [unrolled: 1-line block ×3, first 2 shown]
	s_waitcnt vmcnt(29)
	v_fmac_f32_e32 v146, v125, v14
	v_fmac_f32_e32 v147, v127, v13
	v_add_f32_e32 v42, v42, v146
	v_fmac_f32_e32 v148, v129, v12
	v_add_f32_e32 v42, v42, v147
	;; [unrolled: 2-line block ×3, first 2 shown]
	v_add_f32_e32 v42, v42, v149
	ds_read_b128 v[146:149], v108 offset:592
	buffer_load_dword v43, off, s[0:3], 0 offset:232
	buffer_load_dword v44, off, s[0:3], 0 offset:236
	;; [unrolled: 1-line block ×8, first 2 shown]
	s_waitcnt vmcnt(33)
	v_fmac_f32_e32 v150, v133, v18
	v_fmac_f32_e32 v151, v135, v17
	v_add_f32_e32 v42, v42, v150
	v_fmac_f32_e32 v152, v137, v16
	v_add_f32_e32 v42, v42, v151
	;; [unrolled: 2-line block ×3, first 2 shown]
	s_waitcnt vmcnt(29)
	v_fmac_f32_e32 v154, v141, v22
	v_add_f32_e32 v42, v42, v153
	s_waitcnt vmcnt(28) lgkmcnt(1)
	v_mul_f32_e32 v150, v142, v23
	buffer_load_dword v218, off, s[0:3], 0 offset:264
	buffer_load_dword v219, off, s[0:3], 0 offset:268
	v_add_f32_e32 v42, v42, v154
	v_fmac_f32_e32 v150, v143, v21
	v_add_f32_e32 v42, v42, v150
	s_waitcnt vmcnt(29)
	v_mul_f32_e32 v150, v144, v24
	v_fmac_f32_e32 v150, v145, v20
	v_add_f32_e32 v42, v42, v150
	s_waitcnt vmcnt(28) lgkmcnt(0)
	v_mul_f32_e32 v150, v146, v25
	v_fmac_f32_e32 v150, v147, v19
	v_add_f32_e32 v42, v42, v150
	ds_read_b128 v[150:153], v108 offset:608
	buffer_load_dword v220, off, s[0:3], 0 offset:272
	buffer_load_dword v221, off, s[0:3], 0 offset:276
	;; [unrolled: 1-line block ×6, first 2 shown]
	s_waitcnt vmcnt(33)
	v_mul_f32_e32 v154, v148, v26
	s_waitcnt vmcnt(26)
	v_fmac_f32_e32 v154, v149, v33
	v_add_f32_e32 v42, v42, v154
	ds_read_b128 v[154:157], v108 offset:624
	buffer_load_dword v226, off, s[0:3], 0 offset:296
	buffer_load_dword v227, off, s[0:3], 0 offset:300
	;; [unrolled: 1-line block ×8, first 2 shown]
	s_waitcnt lgkmcnt(1)
	v_mul_f32_e32 v158, v150, v28
	buffer_load_dword v234, off, s[0:3], 0 offset:328
	buffer_load_dword v235, off, s[0:3], 0 offset:332
	v_fmac_f32_e32 v158, v151, v27
	v_add_f32_e32 v42, v42, v158
	v_mul_f32_e32 v158, v152, v30
	v_fmac_f32_e32 v158, v153, v29
	v_add_f32_e32 v42, v42, v158
	s_waitcnt lgkmcnt(0)
	v_mul_f32_e32 v158, v154, v32
	v_fmac_f32_e32 v158, v155, v31
	v_add_f32_e32 v42, v42, v158
	ds_read_b128 v[158:161], v108 offset:640
	buffer_load_dword v236, off, s[0:3], 0 offset:336
	buffer_load_dword v237, off, s[0:3], 0 offset:340
	;; [unrolled: 1-line block ×6, first 2 shown]
	s_waitcnt vmcnt(38)
	v_mul_f32_e32 v162, v156, v35
	v_fmac_f32_e32 v162, v157, v34
	v_add_f32_e32 v42, v42, v162
	ds_read_b128 v[162:165], v108 offset:656
	buffer_load_dword v242, off, s[0:3], 0 offset:360
	buffer_load_dword v243, off, s[0:3], 0 offset:364
	;; [unrolled: 1-line block ×16, first 2 shown]
	s_waitcnt vmcnt(52) lgkmcnt(1)
	v_mul_f32_e32 v166, v158, v37
	v_fmac_f32_e32 v166, v159, v36
	v_add_f32_e32 v42, v42, v166
	s_waitcnt vmcnt(50)
	v_mul_f32_e32 v166, v160, v39
	v_fmac_f32_e32 v166, v161, v38
	v_add_f32_e32 v42, v42, v166
	s_waitcnt vmcnt(48) lgkmcnt(0)
	v_mul_f32_e32 v166, v162, v41
	v_fmac_f32_e32 v166, v163, v40
	v_add_f32_e32 v42, v42, v166
	ds_read_b128 v[166:169], v108 offset:672
	v_mul_f32_e32 v3, v133, v3
	v_fma_f32 v3, v132, v18, -v3
	v_mul_f32_e32 v4, v135, v4
	v_fma_f32 v4, v134, v17, -v4
	s_waitcnt vmcnt(46)
	v_mul_f32_e32 v170, v164, v44
	v_fmac_f32_e32 v170, v165, v43
	v_add_f32_e32 v42, v42, v170
	ds_read_b128 v[170:173], v108 offset:688
	s_waitcnt vmcnt(44) lgkmcnt(1)
	v_mul_f32_e32 v174, v166, v213
	v_fmac_f32_e32 v174, v167, v212
	v_add_f32_e32 v42, v42, v174
	s_waitcnt vmcnt(43)
	v_mul_f32_e32 v174, v168, v214
	s_waitcnt vmcnt(40)
	v_fmac_f32_e32 v174, v169, v217
	v_add_f32_e32 v42, v42, v174
	s_waitcnt lgkmcnt(0)
	v_mul_f32_e32 v174, v170, v216
	v_fmac_f32_e32 v174, v171, v215
	v_add_f32_e32 v42, v42, v174
	ds_read_b128 v[174:177], v108 offset:704
	s_waitcnt vmcnt(38)
	v_mul_f32_e32 v178, v172, v219
	v_fmac_f32_e32 v178, v173, v218
	v_add_f32_e32 v42, v42, v178
	ds_read_b128 v[178:181], v108 offset:720
	s_waitcnt vmcnt(36) lgkmcnt(1)
	v_mul_f32_e32 v182, v174, v221
	v_fmac_f32_e32 v182, v175, v220
	v_add_f32_e32 v42, v42, v182
	s_waitcnt vmcnt(35)
	v_mul_f32_e32 v182, v176, v222
	s_waitcnt vmcnt(32)
	v_fmac_f32_e32 v182, v177, v225
	v_add_f32_e32 v42, v42, v182
	s_waitcnt lgkmcnt(0)
	v_mul_f32_e32 v182, v178, v224
	v_fmac_f32_e32 v182, v179, v223
	v_add_f32_e32 v42, v42, v182
	ds_read_b128 v[182:185], v108 offset:736
	;; [unrolled: 19-line block ×5, first 2 shown]
	s_waitcnt vmcnt(6)
	v_mul_f32_e32 v210, v204, v251
	v_fmac_f32_e32 v210, v205, v250
	v_add_f32_e32 v42, v42, v210
	ds_read_b64 v[210:211], v108 offset:848
	s_waitcnt vmcnt(4) lgkmcnt(1)
	v_mul_f32_e32 v47, v206, v253
	v_fmac_f32_e32 v47, v207, v252
	v_add_f32_e32 v42, v42, v47
	s_waitcnt vmcnt(3)
	v_mul_f32_e32 v47, v208, v254
	s_waitcnt vmcnt(0)
	v_fmac_f32_e32 v47, v209, v46
	v_add_f32_e32 v42, v42, v47
	s_waitcnt lgkmcnt(0)
	v_mul_f32_e32 v47, v210, v45
	v_fmac_f32_e32 v47, v211, v255
	v_add_f32_e32 v42, v42, v47
	v_mul_f32_e32 v47, v119, v115
	v_fma_f32 v10, v118, v10, -v47
	v_mul_f32_e32 v47, v121, v114
	v_add_f32_e32 v10, 0, v10
	v_fma_f32 v9, v120, v9, -v47
	v_add_f32_e32 v9, v10, v9
	v_mul_f32_e32 v10, v123, v113
	v_fma_f32 v8, v122, v8, -v10
	v_add_f32_e32 v8, v9, v8
	v_mul_f32_e32 v9, v125, v112
	;; [unrolled: 3-line block ×5, first 2 shown]
	v_fma_f32 v9, v130, v11, -v9
	v_add_f32_e32 v8, v8, v9
	v_add_f32_e32 v3, v8, v3
	;; [unrolled: 1-line block ×3, first 2 shown]
	v_mul_f32_e32 v4, v137, v5
	v_fma_f32 v4, v136, v16, -v4
	v_add_f32_e32 v3, v3, v4
	v_mul_f32_e32 v4, v139, v6
	v_fma_f32 v4, v138, v15, -v4
	v_add_f32_e32 v3, v3, v4
	;; [unrolled: 3-line block ×38, first 2 shown]
	v_sub_f32_e32 v3, v116, v3
	v_sub_f32_e32 v4, v117, v42
	buffer_store_dword v3, off, s[0:3], 0 offset:40
	buffer_store_dword v4, off, s[0:3], 0 offset:44
	s_and_saveexec_b64 s[4:5], vcc
	s_cbranch_execz .LBB116_323
; %bb.322:
	buffer_load_dword v109, off, s[0:3], 0 offset:32
	buffer_load_dword v110, off, s[0:3], 0 offset:36
	s_waitcnt vmcnt(0)
	ds_write_b64 v107, v[109:110]
	buffer_store_dword v108, off, s[0:3], 0 offset:32
	buffer_store_dword v108, off, s[0:3], 0 offset:36
.LBB116_323:
	s_or_b64 exec, exec, s[4:5]
	s_waitcnt lgkmcnt(0)
	; wave barrier
	buffer_load_dword v115, off, s[0:3], 0 offset:44
	buffer_load_dword v114, off, s[0:3], 0 offset:52
	;; [unrolled: 1-line block ×40, first 2 shown]
	ds_read2_b64 v[146:149], v108 offset0:59 offset1:60
	ds_read2_b64 v[150:153], v108 offset0:61 offset1:62
	;; [unrolled: 1-line block ×7, first 2 shown]
	buffer_load_dword v6, off, s[0:3], 0 offset:192
	buffer_load_dword v7, off, s[0:3], 0 offset:196
	;; [unrolled: 1-line block ×8, first 2 shown]
	v_cmp_lt_u32_e32 vcc, 3, v0
	s_waitcnt vmcnt(47) lgkmcnt(6)
	v_mul_f32_e32 v14, v146, v115
	s_waitcnt vmcnt(46)
	v_mul_f32_e32 v15, v148, v114
	s_waitcnt vmcnt(45) lgkmcnt(5)
	v_mul_f32_e32 v16, v150, v113
	s_waitcnt vmcnt(44)
	v_mul_f32_e32 v17, v152, v112
	s_waitcnt vmcnt(43) lgkmcnt(4)
	v_mul_f32_e32 v18, v154, v111
	s_waitcnt vmcnt(42)
	v_mul_f32_e32 v19, v156, v110
	s_waitcnt vmcnt(41) lgkmcnt(3)
	v_mul_f32_e32 v20, v158, v109
	s_waitcnt vmcnt(40)
	v_mul_f32_e32 v21, v160, v118
	s_waitcnt vmcnt(39) lgkmcnt(2)
	v_mul_f32_e32 v22, v162, v119
	s_waitcnt vmcnt(38)
	v_mul_f32_e32 v23, v164, v120
	s_waitcnt vmcnt(37) lgkmcnt(1)
	v_mul_f32_e32 v24, v166, v121
	s_waitcnt vmcnt(36)
	v_mul_f32_e32 v25, v168, v122
	s_waitcnt vmcnt(35)
	v_fmac_f32_e32 v16, v151, v128
	s_waitcnt vmcnt(34)
	v_fmac_f32_e32 v15, v149, v131
	;; [unrolled: 2-line block ×3, first 2 shown]
	v_add_f32_e32 v14, 0, v14
	v_add_f32_e32 v14, v14, v15
	;; [unrolled: 1-line block ×3, first 2 shown]
	buffer_load_dword v15, off, s[0:3], 0 offset:224
	buffer_load_dword v16, off, s[0:3], 0 offset:228
	s_waitcnt vmcnt(31)
	v_fmac_f32_e32 v17, v153, v133
	v_fmac_f32_e32 v18, v155, v130
	v_add_f32_e32 v14, v14, v17
	v_fmac_f32_e32 v19, v157, v127
	v_add_f32_e32 v14, v14, v18
	;; [unrolled: 2-line block ×3, first 2 shown]
	s_waitcnt vmcnt(27)
	v_fmac_f32_e32 v21, v161, v129
	v_add_f32_e32 v14, v14, v20
	v_fmac_f32_e32 v22, v163, v126
	v_add_f32_e32 v14, v14, v21
	;; [unrolled: 2-line block ×4, first 2 shown]
	ds_read2_b64 v[174:177], v108 offset0:73 offset1:74
	s_waitcnt vmcnt(23)
	v_fmac_f32_e32 v25, v169, v141
	v_add_f32_e32 v14, v14, v24
	s_waitcnt vmcnt(22) lgkmcnt(1)
	v_mul_f32_e32 v17, v170, v140
	v_add_f32_e32 v14, v14, v25
	v_fmac_f32_e32 v17, v171, v137
	v_add_f32_e32 v14, v14, v17
	s_waitcnt vmcnt(21)
	v_mul_f32_e32 v17, v172, v138
	v_fmac_f32_e32 v17, v173, v135
	v_add_f32_e32 v14, v14, v17
	s_waitcnt vmcnt(20) lgkmcnt(0)
	v_mul_f32_e32 v17, v174, v136
	v_fmac_f32_e32 v17, v175, v132
	v_add_f32_e32 v14, v14, v17
	buffer_load_dword v17, off, s[0:3], 0 offset:232
	buffer_load_dword v18, off, s[0:3], 0 offset:236
	;; [unrolled: 1-line block ×6, first 2 shown]
	s_waitcnt vmcnt(25)
	v_mul_f32_e32 v23, v176, v139
	s_waitcnt vmcnt(18)
	v_fmac_f32_e32 v23, v177, v5
	ds_read2_b64 v[178:181], v108 offset0:75 offset1:76
	v_add_f32_e32 v14, v14, v23
	buffer_load_dword v23, off, s[0:3], 0 offset:256
	buffer_load_dword v24, off, s[0:3], 0 offset:260
	ds_read2_b64 v[182:185], v108 offset0:77 offset1:78
	buffer_load_dword v26, off, s[0:3], 0 offset:264
	buffer_load_dword v27, off, s[0:3], 0 offset:268
	;; [unrolled: 1-line block ×14, first 2 shown]
	s_waitcnt lgkmcnt(1)
	v_mul_f32_e32 v25, v178, v143
	v_fmac_f32_e32 v25, v179, v142
	v_add_f32_e32 v14, v14, v25
	v_mul_f32_e32 v25, v180, v145
	buffer_load_dword v40, off, s[0:3], 0 offset:320
	buffer_load_dword v41, off, s[0:3], 0 offset:324
	v_fmac_f32_e32 v25, v181, v144
	v_add_f32_e32 v14, v14, v25
	s_waitcnt lgkmcnt(0)
	v_mul_f32_e32 v25, v182, v4
	v_fmac_f32_e32 v25, v183, v3
	v_add_f32_e32 v14, v14, v25
	s_waitcnt vmcnt(32)
	v_mul_f32_e32 v25, v184, v7
	ds_read2_b64 v[186:189], v108 offset0:79 offset1:80
	v_fmac_f32_e32 v25, v185, v6
	v_add_f32_e32 v14, v14, v25
	buffer_load_dword v25, off, s[0:3], 0 offset:328
	buffer_load_dword v42, off, s[0:3], 0 offset:332
	;; [unrolled: 1-line block ×6, first 2 shown]
	ds_read2_b64 v[190:193], v108 offset0:81 offset1:82
	s_waitcnt vmcnt(36) lgkmcnt(1)
	v_mul_f32_e32 v47, v186, v9
	v_fmac_f32_e32 v47, v187, v8
	v_add_f32_e32 v14, v14, v47
	buffer_load_dword v47, off, s[0:3], 0 offset:352
	buffer_load_dword v48, off, s[0:3], 0 offset:356
	buffer_load_dword v242, off, s[0:3], 0 offset:360
	buffer_load_dword v243, off, s[0:3], 0 offset:364
	buffer_load_dword v244, off, s[0:3], 0 offset:372
	buffer_load_dword v245, off, s[0:3], 0 offset:376
	buffer_load_dword v246, off, s[0:3], 0 offset:380
	buffer_load_dword v247, off, s[0:3], 0 offset:368
	buffer_load_dword v248, off, s[0:3], 0 offset:384
	buffer_load_dword v249, off, s[0:3], 0 offset:388
	s_waitcnt vmcnt(44)
	v_mul_f32_e32 v194, v188, v11
	v_fmac_f32_e32 v194, v189, v10
	v_add_f32_e32 v14, v14, v194
	s_waitcnt vmcnt(42) lgkmcnt(0)
	v_mul_f32_e32 v194, v190, v13
	buffer_load_dword v250, off, s[0:3], 0 offset:392
	buffer_load_dword v251, off, s[0:3], 0 offset:396
	;; [unrolled: 1-line block ×6, first 2 shown]
	v_fmac_f32_e32 v194, v191, v12
	v_add_f32_e32 v14, v14, v194
	ds_read2_b64 v[194:197], v108 offset0:83 offset1:84
	v_mul_f32_e32 v114, v149, v114
	v_fma_f32 v114, v148, v131, -v114
	v_mul_f32_e32 v113, v151, v113
	v_fma_f32 v113, v150, v128, -v113
	;; [unrolled: 2-line block ×5, first 2 shown]
	v_mul_f32_e32 v109, v159, v109
	s_waitcnt vmcnt(46)
	v_mul_f32_e32 v198, v192, v16
	v_fmac_f32_e32 v198, v193, v15
	v_add_f32_e32 v14, v14, v198
	ds_read2_b64 v[198:201], v108 offset0:85 offset1:86
	buffer_load_dword v49, off, s[0:3], 0 offset:416
	buffer_load_dword v50, off, s[0:3], 0 offset:420
	v_fma_f32 v109, v158, v125, -v109
	v_mul_f32_e32 v4, v183, v4
	v_fma_f32 v3, v182, v3, -v4
	v_mul_f32_e32 v4, v185, v7
	v_fma_f32 v4, v184, v6, -v4
	s_waitcnt vmcnt(46) lgkmcnt(1)
	v_mul_f32_e32 v202, v194, v18
	v_fmac_f32_e32 v202, v195, v17
	v_add_f32_e32 v14, v14, v202
	s_waitcnt vmcnt(45)
	v_mul_f32_e32 v202, v196, v19
	s_waitcnt vmcnt(42)
	v_fmac_f32_e32 v202, v197, v22
	v_add_f32_e32 v14, v14, v202
	s_waitcnt lgkmcnt(0)
	v_mul_f32_e32 v202, v198, v21
	v_fmac_f32_e32 v202, v199, v20
	v_add_f32_e32 v14, v14, v202
	ds_read2_b64 v[202:205], v108 offset0:87 offset1:88
	s_waitcnt vmcnt(40)
	v_mul_f32_e32 v206, v200, v24
	v_fmac_f32_e32 v206, v201, v23
	v_add_f32_e32 v14, v14, v206
	ds_read2_b64 v[206:209], v108 offset0:89 offset1:90
	s_waitcnt vmcnt(38) lgkmcnt(1)
	v_mul_f32_e32 v210, v202, v27
	v_fmac_f32_e32 v210, v203, v26
	v_add_f32_e32 v14, v14, v210
	s_waitcnt vmcnt(37)
	v_mul_f32_e32 v210, v204, v28
	s_waitcnt vmcnt(34)
	v_fmac_f32_e32 v210, v205, v31
	v_add_f32_e32 v14, v14, v210
	s_waitcnt lgkmcnt(0)
	v_mul_f32_e32 v210, v206, v30
	v_fmac_f32_e32 v210, v207, v29
	v_add_f32_e32 v14, v14, v210
	ds_read2_b64 v[210:213], v108 offset0:91 offset1:92
	s_waitcnt vmcnt(32)
	v_mul_f32_e32 v214, v208, v33
	v_fmac_f32_e32 v214, v209, v32
	v_add_f32_e32 v14, v14, v214
	ds_read2_b64 v[214:217], v108 offset0:93 offset1:94
	;; [unrolled: 19-line block ×5, first 2 shown]
	s_waitcnt vmcnt(6) lgkmcnt(1)
	v_mul_f32_e32 v108, v234, v251
	v_fmac_f32_e32 v108, v235, v250
	v_add_f32_e32 v14, v14, v108
	s_waitcnt vmcnt(5)
	v_mul_f32_e32 v108, v236, v252
	s_waitcnt vmcnt(2)
	v_fmac_f32_e32 v108, v237, v255
	v_add_f32_e32 v14, v14, v108
	s_waitcnt lgkmcnt(0)
	v_mul_f32_e32 v108, v238, v254
	v_fmac_f32_e32 v108, v239, v253
	v_add_f32_e32 v14, v14, v108
	s_waitcnt vmcnt(0)
	v_mul_f32_e32 v108, v240, v50
	v_fmac_f32_e32 v108, v241, v49
	v_add_f32_e32 v14, v14, v108
	v_mul_f32_e32 v108, v147, v115
	v_fma_f32 v108, v146, v134, -v108
	v_add_f32_e32 v108, 0, v108
	v_add_f32_e32 v108, v108, v114
	v_add_f32_e32 v108, v108, v113
	v_add_f32_e32 v108, v108, v112
	v_add_f32_e32 v108, v108, v111
	v_add_f32_e32 v108, v108, v110
	v_add_f32_e32 v108, v108, v109
	v_mul_f32_e32 v109, v161, v118
	v_fma_f32 v109, v160, v129, -v109
	v_add_f32_e32 v108, v108, v109
	v_mul_f32_e32 v109, v163, v119
	v_fma_f32 v109, v162, v126, -v109
	v_add_f32_e32 v108, v108, v109
	;; [unrolled: 3-line block ×11, first 2 shown]
	v_add_f32_e32 v3, v5, v3
	v_add_f32_e32 v3, v3, v4
	v_mul_f32_e32 v4, v187, v9
	v_fma_f32 v4, v186, v8, -v4
	v_add_f32_e32 v3, v3, v4
	v_mul_f32_e32 v4, v189, v11
	v_fma_f32 v4, v188, v10, -v4
	;; [unrolled: 3-line block ×28, first 2 shown]
	v_add_f32_e32 v3, v3, v4
	v_sub_f32_e32 v3, v116, v3
	v_sub_f32_e32 v4, v117, v14
	buffer_store_dword v3, off, s[0:3], 0 offset:32
	buffer_store_dword v4, off, s[0:3], 0 offset:36
	s_and_saveexec_b64 s[4:5], vcc
	s_cbranch_execz .LBB116_325
; %bb.324:
	buffer_load_dword v108, off, s[0:3], 0 offset:24
	buffer_load_dword v109, off, s[0:3], 0 offset:28
	v_mov_b32_e32 v3, 0
	buffer_store_dword v3, off, s[0:3], 0 offset:24
	buffer_store_dword v3, off, s[0:3], 0 offset:28
	s_waitcnt vmcnt(2)
	ds_write_b64 v107, v[108:109]
.LBB116_325:
	s_or_b64 exec, exec, s[4:5]
	s_waitcnt lgkmcnt(0)
	; wave barrier
	buffer_load_dword v115, off, s[0:3], 0 offset:36
	buffer_load_dword v114, off, s[0:3], 0 offset:44
	;; [unrolled: 1-line block ×50, first 2 shown]
	v_mov_b32_e32 v108, 0
	ds_read_b128 v[122:125], v108 offset:464
	ds_read_b128 v[126:129], v108 offset:480
	ds_read_b128 v[130:133], v108 offset:496
	ds_read_b128 v[134:137], v108 offset:512
	ds_read_b128 v[138:141], v108 offset:528
	ds_read_b128 v[142:145], v108 offset:544
	ds_read_b128 v[146:149], v108 offset:560
	ds_read_b128 v[150:153], v108 offset:576
	v_cmp_lt_u32_e32 vcc, 2, v0
	s_waitcnt vmcnt(49) lgkmcnt(7)
	v_mul_f32_e32 v40, v122, v115
	s_waitcnt vmcnt(48)
	v_mul_f32_e32 v41, v124, v114
	s_waitcnt vmcnt(47) lgkmcnt(6)
	v_mul_f32_e32 v42, v126, v113
	s_waitcnt vmcnt(46)
	v_mul_f32_e32 v43, v128, v112
	;; [unrolled: 4-line block ×5, first 2 shown]
	s_waitcnt vmcnt(39) lgkmcnt(2)
	v_mul_f32_e32 v50, v142, v121
	s_waitcnt vmcnt(38)
	v_fmac_f32_e32 v42, v127, v3
	s_waitcnt vmcnt(37)
	v_fmac_f32_e32 v41, v125, v4
	s_waitcnt vmcnt(36)
	v_fmac_f32_e32 v40, v123, v5
	v_add_f32_e32 v40, 0, v40
	v_add_f32_e32 v40, v40, v41
	;; [unrolled: 1-line block ×3, first 2 shown]
	s_waitcnt vmcnt(32)
	v_fmac_f32_e32 v43, v129, v9
	v_fmac_f32_e32 v44, v131, v8
	v_add_f32_e32 v40, v40, v43
	v_fmac_f32_e32 v45, v133, v7
	v_add_f32_e32 v40, v40, v44
	;; [unrolled: 2-line block ×3, first 2 shown]
	s_waitcnt vmcnt(28)
	v_fmac_f32_e32 v47, v137, v13
	v_add_f32_e32 v40, v40, v46
	v_fmac_f32_e32 v48, v139, v12
	v_add_f32_e32 v40, v40, v47
	;; [unrolled: 2-line block ×4, first 2 shown]
	s_waitcnt vmcnt(27)
	v_mul_f32_e32 v41, v144, v14
	v_add_f32_e32 v40, v40, v50
	s_waitcnt vmcnt(23)
	v_fmac_f32_e32 v41, v145, v18
	v_add_f32_e32 v40, v40, v41
	s_waitcnt vmcnt(22) lgkmcnt(1)
	v_mul_f32_e32 v41, v146, v19
	v_fmac_f32_e32 v41, v147, v17
	v_add_f32_e32 v40, v40, v41
	buffer_load_dword v41, off, s[0:3], 0 offset:224
	buffer_load_dword v42, off, s[0:3], 0 offset:228
	ds_read_b128 v[154:157], v108 offset:592
	buffer_load_dword v44, off, s[0:3], 0 offset:236
	buffer_load_dword v45, off, s[0:3], 0 offset:240
	;; [unrolled: 1-line block ×4, first 2 shown]
	s_waitcnt vmcnt(27)
	v_mul_f32_e32 v43, v148, v20
	v_fmac_f32_e32 v43, v149, v16
	v_add_f32_e32 v40, v40, v43
	s_waitcnt vmcnt(26) lgkmcnt(1)
	v_mul_f32_e32 v43, v150, v21
	ds_read_b128 v[158:161], v108 offset:608
	buffer_load_dword v48, off, s[0:3], 0 offset:248
	buffer_load_dword v49, off, s[0:3], 0 offset:252
	v_fmac_f32_e32 v43, v151, v15
	v_add_f32_e32 v40, v40, v43
	s_waitcnt vmcnt(27)
	v_mul_f32_e32 v43, v152, v22
	s_waitcnt vmcnt(21)
	v_fmac_f32_e32 v43, v153, v28
	v_add_f32_e32 v40, v40, v43
	s_waitcnt vmcnt(20) lgkmcnt(1)
	v_mul_f32_e32 v43, v154, v29
	v_fmac_f32_e32 v43, v155, v27
	v_add_f32_e32 v40, v40, v43
	buffer_load_dword v43, off, s[0:3], 0 offset:256
	buffer_load_dword v50, off, s[0:3], 0 offset:260
	;; [unrolled: 1-line block ×14, first 2 shown]
	v_mul_f32_e32 v162, v156, v24
	v_fmac_f32_e32 v162, v157, v23
	v_add_f32_e32 v40, v40, v162
	s_waitcnt lgkmcnt(0)
	v_mul_f32_e32 v162, v158, v26
	v_fmac_f32_e32 v162, v159, v25
	v_add_f32_e32 v40, v40, v162
	ds_read_b128 v[162:165], v108 offset:624
	buffer_load_dword v232, off, s[0:3], 0 offset:312
	buffer_load_dword v233, off, s[0:3], 0 offset:316
	s_waitcnt vmcnt(32)
	v_mul_f32_e32 v166, v160, v31
	v_fmac_f32_e32 v166, v161, v30
	v_add_f32_e32 v40, v40, v166
	ds_read_b128 v[166:169], v108 offset:640
	buffer_load_dword v234, off, s[0:3], 0 offset:320
	buffer_load_dword v235, off, s[0:3], 0 offset:324
	;; [unrolled: 1-line block ×14, first 2 shown]
	s_waitcnt vmcnt(44) lgkmcnt(1)
	v_mul_f32_e32 v170, v162, v33
	v_fmac_f32_e32 v170, v163, v32
	buffer_load_dword v248, off, s[0:3], 0 offset:376
	buffer_load_dword v249, off, s[0:3], 0 offset:380
	v_add_f32_e32 v40, v40, v170
	s_waitcnt vmcnt(44)
	v_mul_f32_e32 v170, v164, v35
	v_fmac_f32_e32 v170, v165, v34
	v_add_f32_e32 v40, v40, v170
	s_waitcnt vmcnt(42) lgkmcnt(0)
	v_mul_f32_e32 v170, v166, v37
	v_fmac_f32_e32 v170, v167, v36
	v_add_f32_e32 v40, v40, v170
	ds_read_b128 v[170:173], v108 offset:656
	buffer_load_dword v250, off, s[0:3], 0 offset:384
	buffer_load_dword v251, off, s[0:3], 0 offset:388
	;; [unrolled: 1-line block ×6, first 2 shown]
	s_waitcnt vmcnt(46)
	v_mul_f32_e32 v174, v168, v39
	v_fmac_f32_e32 v174, v169, v38
	v_add_f32_e32 v40, v40, v174
	ds_read_b128 v[174:177], v108 offset:672
	buffer_load_dword v51, off, s[0:3], 0 offset:412
	buffer_load_dword v52, off, s[0:3], 0 offset:416
	;; [unrolled: 1-line block ×4, first 2 shown]
	s_waitcnt vmcnt(48) lgkmcnt(1)
	v_mul_f32_e32 v178, v170, v42
	v_fmac_f32_e32 v178, v171, v41
	v_add_f32_e32 v40, v40, v178
	s_waitcnt vmcnt(47)
	v_mul_f32_e32 v178, v172, v44
	s_waitcnt vmcnt(44)
	v_fmac_f32_e32 v178, v173, v47
	v_add_f32_e32 v40, v40, v178
	s_waitcnt lgkmcnt(0)
	v_mul_f32_e32 v178, v174, v46
	v_fmac_f32_e32 v178, v175, v45
	v_add_f32_e32 v40, v40, v178
	ds_read_b128 v[178:181], v108 offset:688
	s_waitcnt vmcnt(42)
	v_mul_f32_e32 v182, v176, v49
	v_fmac_f32_e32 v182, v177, v48
	v_add_f32_e32 v40, v40, v182
	ds_read_b128 v[182:185], v108 offset:704
	s_waitcnt vmcnt(40) lgkmcnt(1)
	v_mul_f32_e32 v186, v178, v50
	v_fmac_f32_e32 v186, v179, v43
	v_add_f32_e32 v40, v40, v186
	s_waitcnt vmcnt(39)
	v_mul_f32_e32 v186, v180, v220
	s_waitcnt vmcnt(36)
	v_fmac_f32_e32 v186, v181, v223
	v_add_f32_e32 v40, v40, v186
	s_waitcnt lgkmcnt(0)
	v_mul_f32_e32 v186, v182, v222
	v_fmac_f32_e32 v186, v183, v221
	v_add_f32_e32 v40, v40, v186
	ds_read_b128 v[186:189], v108 offset:720
	s_waitcnt vmcnt(34)
	v_mul_f32_e32 v190, v184, v225
	v_fmac_f32_e32 v190, v185, v224
	v_add_f32_e32 v40, v40, v190
	ds_read_b128 v[190:193], v108 offset:736
	;; [unrolled: 19-line block ×5, first 2 shown]
	s_waitcnt vmcnt(8) lgkmcnt(1)
	v_mul_f32_e32 v218, v210, v251
	v_fmac_f32_e32 v218, v211, v250
	v_add_f32_e32 v40, v40, v218
	s_waitcnt vmcnt(7)
	v_mul_f32_e32 v218, v212, v252
	s_waitcnt vmcnt(4)
	v_fmac_f32_e32 v218, v213, v255
	v_add_f32_e32 v40, v40, v218
	ds_read_b64 v[218:219], v108 offset:848
	s_waitcnt lgkmcnt(1)
	v_mul_f32_e32 v55, v214, v254
	v_fmac_f32_e32 v55, v215, v253
	v_add_f32_e32 v40, v40, v55
	s_waitcnt vmcnt(3)
	v_mul_f32_e32 v55, v216, v51
	s_waitcnt vmcnt(0)
	v_fmac_f32_e32 v55, v217, v54
	v_add_f32_e32 v40, v40, v55
	s_waitcnt lgkmcnt(0)
	v_mul_f32_e32 v55, v218, v53
	v_fmac_f32_e32 v55, v219, v52
	v_add_f32_e32 v40, v40, v55
	v_mul_f32_e32 v55, v123, v115
	v_fma_f32 v5, v122, v5, -v55
	v_mul_f32_e32 v55, v125, v114
	v_add_f32_e32 v5, 0, v5
	v_fma_f32 v4, v124, v4, -v55
	v_add_f32_e32 v4, v5, v4
	v_mul_f32_e32 v5, v127, v113
	v_fma_f32 v3, v126, v3, -v5
	v_add_f32_e32 v3, v4, v3
	v_mul_f32_e32 v4, v129, v112
	;; [unrolled: 3-line block ×47, first 2 shown]
	v_fma_f32 v4, v218, v52, -v4
	v_add_f32_e32 v3, v3, v4
	v_sub_f32_e32 v3, v116, v3
	v_sub_f32_e32 v4, v117, v40
	buffer_store_dword v3, off, s[0:3], 0 offset:24
	buffer_store_dword v4, off, s[0:3], 0 offset:28
	s_and_saveexec_b64 s[4:5], vcc
	s_cbranch_execz .LBB116_327
; %bb.326:
	buffer_load_dword v109, off, s[0:3], 0 offset:16
	buffer_load_dword v110, off, s[0:3], 0 offset:20
	s_waitcnt vmcnt(0)
	ds_write_b64 v107, v[109:110]
	buffer_store_dword v108, off, s[0:3], 0 offset:16
	buffer_store_dword v108, off, s[0:3], 0 offset:20
.LBB116_327:
	s_or_b64 exec, exec, s[4:5]
	s_waitcnt lgkmcnt(0)
	; wave barrier
	buffer_load_dword v115, off, s[0:3], 0 offset:28
	buffer_load_dword v114, off, s[0:3], 0 offset:36
	;; [unrolled: 1-line block ×40, first 2 shown]
	ds_read2_b64 v[123:126], v108 offset0:57 offset1:58
	ds_read2_b64 v[127:130], v108 offset0:59 offset1:60
	;; [unrolled: 1-line block ×7, first 2 shown]
	buffer_load_dword v29, off, s[0:3], 0 offset:176
	buffer_load_dword v30, off, s[0:3], 0 offset:180
	;; [unrolled: 1-line block ×10, first 2 shown]
	ds_read2_b64 v[151:154], v108 offset0:71 offset1:72
	v_cmp_lt_u32_e32 vcc, 1, v0
	s_waitcnt vmcnt(49) lgkmcnt(7)
	v_mul_f32_e32 v39, v123, v115
	s_waitcnt vmcnt(48)
	v_mul_f32_e32 v40, v125, v114
	s_waitcnt vmcnt(47) lgkmcnt(6)
	v_mul_f32_e32 v41, v127, v113
	s_waitcnt vmcnt(46)
	v_mul_f32_e32 v42, v129, v112
	;; [unrolled: 4-line block ×6, first 2 shown]
	s_waitcnt vmcnt(37)
	v_fmac_f32_e32 v41, v128, v3
	s_waitcnt vmcnt(36)
	v_fmac_f32_e32 v40, v126, v4
	;; [unrolled: 2-line block ×3, first 2 shown]
	v_add_f32_e32 v39, 0, v39
	v_add_f32_e32 v39, v39, v40
	;; [unrolled: 1-line block ×3, first 2 shown]
	s_waitcnt vmcnt(31)
	v_fmac_f32_e32 v42, v130, v9
	v_fmac_f32_e32 v43, v132, v8
	v_add_f32_e32 v39, v39, v42
	v_fmac_f32_e32 v44, v134, v7
	v_add_f32_e32 v39, v39, v43
	;; [unrolled: 2-line block ×3, first 2 shown]
	s_waitcnt vmcnt(27)
	v_fmac_f32_e32 v46, v138, v13
	v_add_f32_e32 v39, v39, v45
	v_fmac_f32_e32 v47, v140, v12
	v_add_f32_e32 v39, v39, v46
	;; [unrolled: 2-line block ×4, first 2 shown]
	v_add_f32_e32 v39, v39, v49
	s_waitcnt vmcnt(23)
	v_fmac_f32_e32 v50, v146, v17
	s_waitcnt vmcnt(22) lgkmcnt(1)
	v_mul_f32_e32 v40, v147, v18
	v_add_f32_e32 v39, v39, v50
	v_fmac_f32_e32 v40, v148, v16
	buffer_load_dword v41, off, s[0:3], 0 offset:220
	v_add_f32_e32 v39, v39, v40
	s_waitcnt vmcnt(22)
	v_mul_f32_e32 v40, v149, v19
	v_fmac_f32_e32 v40, v150, v15
	buffer_load_dword v42, off, s[0:3], 0 offset:216
	buffer_load_dword v43, off, s[0:3], 0 offset:224
	;; [unrolled: 1-line block ×3, first 2 shown]
	ds_read2_b64 v[155:158], v108 offset0:73 offset1:74
	v_add_f32_e32 v39, v39, v40
	s_waitcnt vmcnt(24) lgkmcnt(1)
	v_mul_f32_e32 v40, v151, v20
	v_fmac_f32_e32 v40, v152, v14
	v_add_f32_e32 v39, v39, v40
	s_waitcnt vmcnt(23)
	v_mul_f32_e32 v40, v153, v21
	buffer_load_dword v45, off, s[0:3], 0 offset:232
	buffer_load_dword v46, off, s[0:3], 0 offset:236
	s_waitcnt vmcnt(19)
	v_fmac_f32_e32 v40, v154, v27
	v_add_f32_e32 v39, v39, v40
	s_waitcnt vmcnt(18) lgkmcnt(0)
	v_mul_f32_e32 v40, v155, v28
	v_fmac_f32_e32 v40, v156, v26
	ds_read2_b64 v[159:162], v108 offset0:75 offset1:76
	v_add_f32_e32 v39, v39, v40
	buffer_load_dword v40, off, s[0:3], 0 offset:240
	buffer_load_dword v47, off, s[0:3], 0 offset:244
	;; [unrolled: 1-line block ×8, first 2 shown]
	v_mul_f32_e32 v48, v157, v23
	v_fmac_f32_e32 v48, v158, v22
	v_add_f32_e32 v39, v39, v48
	s_waitcnt lgkmcnt(0)
	v_mul_f32_e32 v48, v159, v25
	v_fmac_f32_e32 v48, v160, v24
	v_add_f32_e32 v39, v39, v48
	buffer_load_dword v48, off, s[0:3], 0 offset:272
	buffer_load_dword v55, off, s[0:3], 0 offset:276
	ds_read2_b64 v[163:166], v108 offset0:77 offset1:78
	buffer_load_dword v223, off, s[0:3], 0 offset:280
	buffer_load_dword v224, off, s[0:3], 0 offset:284
	;; [unrolled: 1-line block ×6, first 2 shown]
	ds_read2_b64 v[167:170], v108 offset0:79 offset1:80
	buffer_load_dword v229, off, s[0:3], 0 offset:304
	buffer_load_dword v230, off, s[0:3], 0 offset:308
	s_waitcnt vmcnt(32)
	v_mul_f32_e32 v56, v161, v30
	v_fmac_f32_e32 v56, v162, v29
	v_add_f32_e32 v39, v39, v56
	s_waitcnt vmcnt(30) lgkmcnt(1)
	v_mul_f32_e32 v56, v163, v32
	v_fmac_f32_e32 v56, v164, v31
	v_add_f32_e32 v39, v39, v56
	buffer_load_dword v56, off, s[0:3], 0 offset:312
	buffer_load_dword v231, off, s[0:3], 0 offset:316
	;; [unrolled: 1-line block ×14, first 2 shown]
	s_waitcnt vmcnt(42)
	v_mul_f32_e32 v171, v165, v34
	v_fmac_f32_e32 v171, v166, v33
	v_add_f32_e32 v39, v39, v171
	s_waitcnt vmcnt(40) lgkmcnt(0)
	v_mul_f32_e32 v171, v167, v36
	v_fmac_f32_e32 v171, v168, v35
	v_add_f32_e32 v39, v39, v171
	ds_read2_b64 v[171:174], v108 offset0:81 offset1:82
	buffer_load_dword v244, off, s[0:3], 0 offset:368
	buffer_load_dword v245, off, s[0:3], 0 offset:372
	s_waitcnt vmcnt(40)
	v_mul_f32_e32 v175, v169, v38
	v_fmac_f32_e32 v175, v170, v37
	v_add_f32_e32 v39, v39, v175
	ds_read2_b64 v[175:178], v108 offset0:83 offset1:84
	buffer_load_dword v246, off, s[0:3], 0 offset:376
	buffer_load_dword v247, off, s[0:3], 0 offset:380
	;; [unrolled: 1-line block ×12, first 2 shown]
	s_waitcnt vmcnt(51) lgkmcnt(1)
	v_mul_f32_e32 v179, v171, v41
	s_waitcnt vmcnt(50)
	v_fmac_f32_e32 v179, v172, v42
	v_add_f32_e32 v39, v39, v179
	s_waitcnt vmcnt(48)
	v_mul_f32_e32 v179, v173, v44
	v_fmac_f32_e32 v179, v174, v43
	v_add_f32_e32 v39, v39, v179
	s_waitcnt vmcnt(46) lgkmcnt(0)
	v_mul_f32_e32 v179, v175, v46
	v_fmac_f32_e32 v179, v176, v45
	v_add_f32_e32 v39, v39, v179
	ds_read2_b64 v[179:182], v108 offset0:85 offset1:86
	s_waitcnt vmcnt(44)
	v_mul_f32_e32 v183, v177, v47
	v_fmac_f32_e32 v183, v178, v40
	v_add_f32_e32 v39, v39, v183
	ds_read2_b64 v[183:186], v108 offset0:87 offset1:88
	s_waitcnt vmcnt(42) lgkmcnt(1)
	v_mul_f32_e32 v187, v179, v50
	v_fmac_f32_e32 v187, v180, v49
	v_add_f32_e32 v39, v39, v187
	s_waitcnt vmcnt(41)
	v_mul_f32_e32 v187, v181, v51
	s_waitcnt vmcnt(38)
	v_fmac_f32_e32 v187, v182, v54
	v_add_f32_e32 v39, v39, v187
	s_waitcnt lgkmcnt(0)
	v_mul_f32_e32 v187, v183, v53
	v_fmac_f32_e32 v187, v184, v52
	v_add_f32_e32 v39, v39, v187
	ds_read2_b64 v[187:190], v108 offset0:89 offset1:90
	s_waitcnt vmcnt(36)
	v_mul_f32_e32 v191, v185, v55
	v_fmac_f32_e32 v191, v186, v48
	v_add_f32_e32 v39, v39, v191
	ds_read2_b64 v[191:194], v108 offset0:91 offset1:92
	s_waitcnt vmcnt(34) lgkmcnt(1)
	v_mul_f32_e32 v195, v187, v224
	v_fmac_f32_e32 v195, v188, v223
	v_add_f32_e32 v39, v39, v195
	s_waitcnt vmcnt(33)
	v_mul_f32_e32 v195, v189, v225
	s_waitcnt vmcnt(30)
	v_fmac_f32_e32 v195, v190, v228
	v_add_f32_e32 v39, v39, v195
	s_waitcnt lgkmcnt(0)
	;; [unrolled: 19-line block ×4, first 2 shown]
	v_mul_f32_e32 v211, v207, v242
	v_fmac_f32_e32 v211, v208, v241
	v_add_f32_e32 v39, v39, v211
	ds_read2_b64 v[211:214], v108 offset0:101 offset1:102
	s_waitcnt vmcnt(12)
	v_mul_f32_e32 v215, v209, v245
	v_fmac_f32_e32 v215, v210, v244
	v_add_f32_e32 v39, v39, v215
	ds_read2_b64 v[215:218], v108 offset0:103 offset1:104
	s_waitcnt vmcnt(10) lgkmcnt(1)
	v_mul_f32_e32 v219, v211, v247
	v_fmac_f32_e32 v219, v212, v246
	v_add_f32_e32 v39, v39, v219
	s_waitcnt vmcnt(9)
	v_mul_f32_e32 v219, v213, v248
	s_waitcnt vmcnt(6)
	v_fmac_f32_e32 v219, v214, v251
	v_add_f32_e32 v39, v39, v219
	ds_read2_b64 v[219:222], v108 offset0:105 offset1:106
	s_waitcnt lgkmcnt(1)
	v_mul_f32_e32 v59, v215, v250
	v_fmac_f32_e32 v59, v216, v249
	v_add_f32_e32 v39, v39, v59
	s_waitcnt vmcnt(4)
	v_mul_f32_e32 v59, v217, v253
	v_fmac_f32_e32 v59, v218, v252
	v_add_f32_e32 v39, v39, v59
	s_waitcnt vmcnt(3) lgkmcnt(0)
	v_mul_f32_e32 v59, v219, v254
	s_waitcnt vmcnt(0)
	v_fmac_f32_e32 v59, v220, v58
	v_add_f32_e32 v39, v39, v59
	v_mul_f32_e32 v59, v221, v57
	v_fmac_f32_e32 v59, v222, v255
	v_add_f32_e32 v39, v39, v59
	v_mul_f32_e32 v59, v124, v115
	v_fma_f32 v5, v123, v5, -v59
	v_mul_f32_e32 v59, v126, v114
	v_add_f32_e32 v5, 0, v5
	v_fma_f32 v4, v125, v4, -v59
	v_add_f32_e32 v4, v5, v4
	v_mul_f32_e32 v5, v128, v113
	v_fma_f32 v3, v127, v3, -v5
	v_add_f32_e32 v3, v4, v3
	v_mul_f32_e32 v4, v130, v112
	;; [unrolled: 3-line block ×48, first 2 shown]
	v_fma_f32 v4, v221, v255, -v4
	v_add_f32_e32 v3, v3, v4
	v_sub_f32_e32 v3, v116, v3
	v_sub_f32_e32 v4, v117, v39
	buffer_store_dword v3, off, s[0:3], 0 offset:16
	buffer_store_dword v4, off, s[0:3], 0 offset:20
	s_and_saveexec_b64 s[4:5], vcc
	s_cbranch_execz .LBB116_329
; %bb.328:
	buffer_load_dword v108, off, s[0:3], 0 offset:8
	buffer_load_dword v109, off, s[0:3], 0 offset:12
	v_mov_b32_e32 v3, 0
	buffer_store_dword v3, off, s[0:3], 0 offset:8
	buffer_store_dword v3, off, s[0:3], 0 offset:12
	s_waitcnt vmcnt(2)
	ds_write_b64 v107, v[108:109]
.LBB116_329:
	s_or_b64 exec, exec, s[4:5]
	s_waitcnt lgkmcnt(0)
	; wave barrier
	buffer_load_dword v117, off, s[0:3], 0 offset:20
	buffer_load_dword v116, off, s[0:3], 0 offset:28
	;; [unrolled: 1-line block ×50, first 2 shown]
	v_mov_b32_e32 v108, 0
	ds_read_b128 v[124:127], v108 offset:448
	ds_read_b128 v[128:131], v108 offset:464
	;; [unrolled: 1-line block ×7, first 2 shown]
	v_cmp_ne_u32_e32 vcc, 0, v0
	s_waitcnt vmcnt(49) lgkmcnt(6)
	v_mul_f32_e32 v38, v124, v117
	s_waitcnt vmcnt(48)
	v_mul_f32_e32 v39, v126, v116
	s_waitcnt vmcnt(47) lgkmcnt(5)
	v_mul_f32_e32 v40, v128, v113
	s_waitcnt vmcnt(46)
	v_mul_f32_e32 v41, v130, v112
	;; [unrolled: 4-line block ×6, first 2 shown]
	s_waitcnt vmcnt(37)
	v_fmac_f32_e32 v40, v129, v3
	s_waitcnt vmcnt(36)
	v_fmac_f32_e32 v39, v127, v4
	;; [unrolled: 2-line block ×3, first 2 shown]
	v_add_f32_e32 v38, 0, v38
	v_add_f32_e32 v38, v38, v39
	v_add_f32_e32 v38, v38, v40
	s_waitcnt vmcnt(31)
	v_fmac_f32_e32 v41, v131, v9
	v_fmac_f32_e32 v42, v133, v8
	v_add_f32_e32 v38, v38, v41
	v_fmac_f32_e32 v43, v135, v7
	v_add_f32_e32 v38, v38, v42
	;; [unrolled: 2-line block ×3, first 2 shown]
	s_waitcnt vmcnt(27)
	v_fmac_f32_e32 v45, v139, v12
	v_add_f32_e32 v38, v38, v44
	v_fmac_f32_e32 v46, v141, v11
	v_add_f32_e32 v38, v38, v45
	v_fmac_f32_e32 v47, v143, v10
	v_add_f32_e32 v38, v38, v46
	v_fmac_f32_e32 v48, v145, v123
	v_add_f32_e32 v38, v38, v47
	buffer_load_dword v39, off, s[0:3], 0 offset:208
	buffer_load_dword v40, off, s[0:3], 0 offset:212
	ds_read_b128 v[152:155], v108 offset:560
	v_add_f32_e32 v38, v38, v48
	s_waitcnt vmcnt(25)
	v_fmac_f32_e32 v49, v147, v16
	s_waitcnt vmcnt(24) lgkmcnt(1)
	v_mul_f32_e32 v41, v148, v17
	v_add_f32_e32 v38, v38, v49
	v_fmac_f32_e32 v41, v149, v15
	v_add_f32_e32 v38, v38, v41
	s_waitcnt vmcnt(23)
	v_mul_f32_e32 v41, v150, v18
	v_fmac_f32_e32 v41, v151, v14
	v_add_f32_e32 v38, v38, v41
	s_waitcnt vmcnt(22) lgkmcnt(0)
	v_mul_f32_e32 v41, v152, v19
	v_fmac_f32_e32 v41, v153, v13
	v_add_f32_e32 v38, v38, v41
	buffer_load_dword v41, off, s[0:3], 0 offset:220
	buffer_load_dword v42, off, s[0:3], 0 offset:216
	;; [unrolled: 1-line block ×4, first 2 shown]
	s_waitcnt vmcnt(25)
	v_mul_f32_e32 v45, v154, v20
	s_waitcnt vmcnt(18)
	v_fmac_f32_e32 v45, v155, v27
	ds_read_b128 v[156:159], v108 offset:576
	ds_read_b128 v[160:163], v108 offset:592
	v_add_f32_e32 v38, v38, v45
	buffer_load_dword v45, off, s[0:3], 0 offset:232
	buffer_load_dword v46, off, s[0:3], 0 offset:236
	buffer_load_dword v48, off, s[0:3], 0 offset:240
	buffer_load_dword v49, off, s[0:3], 0 offset:244
	buffer_load_dword v50, off, s[0:3], 0 offset:252
	buffer_load_dword v51, off, s[0:3], 0 offset:256
	buffer_load_dword v52, off, s[0:3], 0 offset:260
	buffer_load_dword v53, off, s[0:3], 0 offset:248
	s_waitcnt lgkmcnt(1)
	v_mul_f32_e32 v47, v156, v22
	v_fmac_f32_e32 v47, v157, v21
	v_add_f32_e32 v38, v38, v47
	v_mul_f32_e32 v47, v158, v24
	buffer_load_dword v54, off, s[0:3], 0 offset:264
	buffer_load_dword v55, off, s[0:3], 0 offset:268
	v_fmac_f32_e32 v47, v159, v23
	v_add_f32_e32 v38, v38, v47
	s_waitcnt lgkmcnt(0)
	v_mul_f32_e32 v47, v160, v26
	v_fmac_f32_e32 v47, v161, v25
	v_add_f32_e32 v38, v38, v47
	s_waitcnt vmcnt(24)
	v_mul_f32_e32 v47, v162, v29
	v_fmac_f32_e32 v47, v163, v28
	ds_read_b128 v[164:167], v108 offset:608
	v_add_f32_e32 v38, v38, v47
	buffer_load_dword v47, off, s[0:3], 0 offset:272
	buffer_load_dword v56, off, s[0:3], 0 offset:276
	;; [unrolled: 1-line block ×6, first 2 shown]
	ds_read_b128 v[168:171], v108 offset:624
	buffer_load_dword v226, off, s[0:3], 0 offset:296
	buffer_load_dword v227, off, s[0:3], 0 offset:300
	;; [unrolled: 1-line block ×8, first 2 shown]
	s_waitcnt vmcnt(36) lgkmcnt(1)
	v_mul_f32_e32 v172, v164, v31
	buffer_load_dword v234, off, s[0:3], 0 offset:328
	buffer_load_dword v235, off, s[0:3], 0 offset:332
	v_fmac_f32_e32 v172, v165, v30
	v_add_f32_e32 v38, v38, v172
	s_waitcnt vmcnt(36)
	v_mul_f32_e32 v172, v166, v33
	v_fmac_f32_e32 v172, v167, v32
	v_add_f32_e32 v38, v38, v172
	s_waitcnt vmcnt(34) lgkmcnt(0)
	v_mul_f32_e32 v172, v168, v35
	v_fmac_f32_e32 v172, v169, v34
	v_add_f32_e32 v38, v38, v172
	ds_read_b128 v[172:175], v108 offset:640
	buffer_load_dword v236, off, s[0:3], 0 offset:336
	buffer_load_dword v237, off, s[0:3], 0 offset:340
	;; [unrolled: 1-line block ×6, first 2 shown]
	s_waitcnt vmcnt(38)
	v_mul_f32_e32 v176, v170, v37
	v_fmac_f32_e32 v176, v171, v36
	v_add_f32_e32 v38, v38, v176
	ds_read_b128 v[176:179], v108 offset:656
	buffer_load_dword v242, off, s[0:3], 0 offset:360
	buffer_load_dword v243, off, s[0:3], 0 offset:364
	;; [unrolled: 1-line block ×16, first 2 shown]
	s_waitcnt vmcnt(52) lgkmcnt(1)
	v_mul_f32_e32 v180, v172, v40
	v_fmac_f32_e32 v180, v173, v39
	v_add_f32_e32 v38, v38, v180
	s_waitcnt vmcnt(51)
	v_mul_f32_e32 v180, v174, v41
	s_waitcnt vmcnt(50)
	v_fmac_f32_e32 v180, v175, v42
	v_add_f32_e32 v38, v38, v180
	s_waitcnt vmcnt(48) lgkmcnt(0)
	v_mul_f32_e32 v180, v176, v44
	v_fmac_f32_e32 v180, v177, v43
	v_add_f32_e32 v38, v38, v180
	ds_read_b128 v[180:183], v108 offset:672
	s_waitcnt vmcnt(46)
	v_mul_f32_e32 v184, v178, v46
	v_fmac_f32_e32 v184, v179, v45
	v_add_f32_e32 v38, v38, v184
	ds_read_b128 v[184:187], v108 offset:688
	s_waitcnt vmcnt(44) lgkmcnt(1)
	v_mul_f32_e32 v188, v180, v49
	v_fmac_f32_e32 v188, v181, v48
	v_add_f32_e32 v38, v38, v188
	s_waitcnt vmcnt(43)
	v_mul_f32_e32 v188, v182, v50
	s_waitcnt vmcnt(40)
	v_fmac_f32_e32 v188, v183, v53
	v_add_f32_e32 v38, v38, v188
	s_waitcnt lgkmcnt(0)
	v_mul_f32_e32 v188, v184, v52
	v_fmac_f32_e32 v188, v185, v51
	v_add_f32_e32 v38, v38, v188
	ds_read_b128 v[188:191], v108 offset:704
	s_waitcnt vmcnt(38)
	v_mul_f32_e32 v192, v186, v55
	v_fmac_f32_e32 v192, v187, v54
	v_add_f32_e32 v38, v38, v192
	ds_read_b128 v[192:195], v108 offset:720
	s_waitcnt vmcnt(36) lgkmcnt(1)
	v_mul_f32_e32 v196, v188, v56
	v_fmac_f32_e32 v196, v189, v47
	v_add_f32_e32 v38, v38, v196
	s_waitcnt vmcnt(35)
	v_mul_f32_e32 v196, v190, v57
	s_waitcnt vmcnt(32)
	v_fmac_f32_e32 v196, v191, v60
	v_add_f32_e32 v38, v38, v196
	s_waitcnt lgkmcnt(0)
	;; [unrolled: 19-line block ×5, first 2 shown]
	v_mul_f32_e32 v220, v216, v248
	v_fmac_f32_e32 v220, v217, v247
	v_add_f32_e32 v38, v38, v220
	ds_read_b128 v[220:223], v108 offset:832
	s_waitcnt vmcnt(6)
	v_mul_f32_e32 v224, v218, v251
	v_fmac_f32_e32 v224, v219, v250
	v_add_f32_e32 v38, v38, v224
	ds_read_b64 v[224:225], v108 offset:848
	s_waitcnt vmcnt(4) lgkmcnt(1)
	v_mul_f32_e32 v63, v220, v253
	v_fmac_f32_e32 v63, v221, v252
	v_add_f32_e32 v38, v38, v63
	s_waitcnt vmcnt(3)
	v_mul_f32_e32 v63, v222, v254
	s_waitcnt vmcnt(0)
	v_fmac_f32_e32 v63, v223, v62
	v_add_f32_e32 v38, v38, v63
	s_waitcnt lgkmcnt(0)
	v_mul_f32_e32 v63, v224, v61
	v_fmac_f32_e32 v63, v225, v255
	v_add_f32_e32 v38, v38, v63
	v_mul_f32_e32 v63, v125, v117
	v_fma_f32 v5, v124, v5, -v63
	v_mul_f32_e32 v63, v127, v116
	v_add_f32_e32 v5, 0, v5
	v_fma_f32 v4, v126, v4, -v63
	v_add_f32_e32 v4, v5, v4
	v_mul_f32_e32 v5, v129, v113
	v_fma_f32 v3, v128, v3, -v5
	v_add_f32_e32 v3, v4, v3
	v_mul_f32_e32 v4, v131, v112
	v_fma_f32 v4, v130, v9, -v4
	v_add_f32_e32 v3, v3, v4
	v_mul_f32_e32 v4, v133, v111
	v_fma_f32 v4, v132, v8, -v4
	v_add_f32_e32 v3, v3, v4
	v_mul_f32_e32 v4, v135, v110
	v_fma_f32 v4, v134, v7, -v4
	v_add_f32_e32 v3, v3, v4
	v_mul_f32_e32 v4, v137, v109
	v_fma_f32 v4, v136, v6, -v4
	v_add_f32_e32 v3, v3, v4
	v_mul_f32_e32 v4, v139, v118
	v_fma_f32 v4, v138, v12, -v4
	v_add_f32_e32 v3, v3, v4
	v_mul_f32_e32 v4, v141, v119
	v_fma_f32 v4, v140, v11, -v4
	v_add_f32_e32 v3, v3, v4
	v_mul_f32_e32 v4, v143, v120
	v_fma_f32 v4, v142, v10, -v4
	v_add_f32_e32 v3, v3, v4
	v_mul_f32_e32 v4, v145, v121
	v_fma_f32 v4, v144, v123, -v4
	v_add_f32_e32 v3, v3, v4
	v_mul_f32_e32 v4, v147, v122
	v_fma_f32 v4, v146, v16, -v4
	v_add_f32_e32 v3, v3, v4
	v_mul_f32_e32 v4, v149, v17
	v_fma_f32 v4, v148, v15, -v4
	v_add_f32_e32 v3, v3, v4
	v_mul_f32_e32 v4, v151, v18
	v_fma_f32 v4, v150, v14, -v4
	v_add_f32_e32 v3, v3, v4
	v_mul_f32_e32 v4, v153, v19
	v_fma_f32 v4, v152, v13, -v4
	v_add_f32_e32 v3, v3, v4
	v_mul_f32_e32 v4, v155, v20
	v_fma_f32 v4, v154, v27, -v4
	v_add_f32_e32 v3, v3, v4
	v_mul_f32_e32 v4, v157, v22
	v_fma_f32 v4, v156, v21, -v4
	v_add_f32_e32 v3, v3, v4
	v_mul_f32_e32 v4, v159, v24
	v_fma_f32 v4, v158, v23, -v4
	v_add_f32_e32 v3, v3, v4
	v_mul_f32_e32 v4, v161, v26
	v_fma_f32 v4, v160, v25, -v4
	v_add_f32_e32 v3, v3, v4
	v_mul_f32_e32 v4, v163, v29
	v_fma_f32 v4, v162, v28, -v4
	v_add_f32_e32 v3, v3, v4
	v_mul_f32_e32 v4, v165, v31
	v_fma_f32 v4, v164, v30, -v4
	v_add_f32_e32 v3, v3, v4
	v_mul_f32_e32 v4, v167, v33
	v_fma_f32 v4, v166, v32, -v4
	v_add_f32_e32 v3, v3, v4
	v_mul_f32_e32 v4, v169, v35
	v_fma_f32 v4, v168, v34, -v4
	v_add_f32_e32 v3, v3, v4
	v_mul_f32_e32 v4, v171, v37
	v_fma_f32 v4, v170, v36, -v4
	v_add_f32_e32 v3, v3, v4
	v_mul_f32_e32 v4, v173, v40
	v_fma_f32 v4, v172, v39, -v4
	v_add_f32_e32 v3, v3, v4
	v_mul_f32_e32 v4, v175, v41
	v_fma_f32 v4, v174, v42, -v4
	v_add_f32_e32 v3, v3, v4
	v_mul_f32_e32 v4, v177, v44
	v_fma_f32 v4, v176, v43, -v4
	v_add_f32_e32 v3, v3, v4
	v_mul_f32_e32 v4, v179, v46
	v_fma_f32 v4, v178, v45, -v4
	v_add_f32_e32 v3, v3, v4
	v_mul_f32_e32 v4, v181, v49
	v_fma_f32 v4, v180, v48, -v4
	v_add_f32_e32 v3, v3, v4
	v_mul_f32_e32 v4, v183, v50
	v_fma_f32 v4, v182, v53, -v4
	v_add_f32_e32 v3, v3, v4
	v_mul_f32_e32 v4, v185, v52
	v_fma_f32 v4, v184, v51, -v4
	v_add_f32_e32 v3, v3, v4
	v_mul_f32_e32 v4, v187, v55
	v_fma_f32 v4, v186, v54, -v4
	v_add_f32_e32 v3, v3, v4
	v_mul_f32_e32 v4, v189, v56
	v_fma_f32 v4, v188, v47, -v4
	v_add_f32_e32 v3, v3, v4
	v_mul_f32_e32 v4, v191, v57
	v_fma_f32 v4, v190, v60, -v4
	v_add_f32_e32 v3, v3, v4
	v_mul_f32_e32 v4, v193, v59
	v_fma_f32 v4, v192, v58, -v4
	v_add_f32_e32 v3, v3, v4
	v_mul_f32_e32 v4, v195, v227
	v_fma_f32 v4, v194, v226, -v4
	v_add_f32_e32 v3, v3, v4
	v_mul_f32_e32 v4, v197, v229
	v_fma_f32 v4, v196, v228, -v4
	v_add_f32_e32 v3, v3, v4
	v_mul_f32_e32 v4, v199, v230
	v_fma_f32 v4, v198, v233, -v4
	v_add_f32_e32 v3, v3, v4
	v_mul_f32_e32 v4, v201, v232
	v_fma_f32 v4, v200, v231, -v4
	v_add_f32_e32 v3, v3, v4
	v_mul_f32_e32 v4, v203, v235
	v_fma_f32 v4, v202, v234, -v4
	v_add_f32_e32 v3, v3, v4
	v_mul_f32_e32 v4, v205, v237
	v_fma_f32 v4, v204, v236, -v4
	v_add_f32_e32 v3, v3, v4
	v_mul_f32_e32 v4, v207, v238
	v_fma_f32 v4, v206, v241, -v4
	v_add_f32_e32 v3, v3, v4
	v_mul_f32_e32 v4, v209, v240
	v_fma_f32 v4, v208, v239, -v4
	v_add_f32_e32 v3, v3, v4
	v_mul_f32_e32 v4, v211, v243
	v_fma_f32 v4, v210, v242, -v4
	v_add_f32_e32 v3, v3, v4
	v_mul_f32_e32 v4, v213, v245
	v_fma_f32 v4, v212, v244, -v4
	v_add_f32_e32 v3, v3, v4
	v_mul_f32_e32 v4, v215, v246
	v_fma_f32 v4, v214, v249, -v4
	v_add_f32_e32 v3, v3, v4
	v_mul_f32_e32 v4, v217, v248
	v_fma_f32 v4, v216, v247, -v4
	v_add_f32_e32 v3, v3, v4
	v_mul_f32_e32 v4, v219, v251
	v_fma_f32 v4, v218, v250, -v4
	v_add_f32_e32 v3, v3, v4
	v_mul_f32_e32 v4, v221, v253
	v_fma_f32 v4, v220, v252, -v4
	v_add_f32_e32 v3, v3, v4
	v_mul_f32_e32 v4, v223, v254
	v_fma_f32 v4, v222, v62, -v4
	v_add_f32_e32 v3, v3, v4
	v_mul_f32_e32 v4, v225, v61
	v_fma_f32 v4, v224, v255, -v4
	v_add_f32_e32 v3, v3, v4
	v_sub_f32_e32 v3, v114, v3
	v_sub_f32_e32 v4, v115, v38
	buffer_store_dword v3, off, s[0:3], 0 offset:8
	buffer_store_dword v4, off, s[0:3], 0 offset:12
	s_and_saveexec_b64 s[4:5], vcc
	s_cbranch_execz .LBB116_331
; %bb.330:
	buffer_load_dword v109, off, s[0:3], 0
	buffer_load_dword v110, off, s[0:3], 0 offset:4
	s_waitcnt vmcnt(0)
	ds_write_b64 v107, v[109:110]
	buffer_store_dword v108, off, s[0:3], 0
	buffer_store_dword v108, off, s[0:3], 0 offset:4
.LBB116_331:
	s_or_b64 exec, exec, s[4:5]
	s_waitcnt lgkmcnt(0)
	; wave barrier
	buffer_load_dword v115, off, s[0:3], 0 offset:12
	buffer_load_dword v112, off, s[0:3], 0 offset:20
	;; [unrolled: 1-line block ×38, first 2 shown]
	buffer_load_dword v113, off, s[0:3], 0
	buffer_load_dword v114, off, s[0:3], 0 offset:4
	ds_read2_b64 v[130:133], v108 offset0:55 offset1:56
	ds_read2_b64 v[134:137], v108 offset0:57 offset1:58
	;; [unrolled: 1-line block ×6, first 2 shown]
	buffer_load_dword v20, off, s[0:3], 0 offset:160
	buffer_load_dword v21, off, s[0:3], 0 offset:164
	;; [unrolled: 1-line block ×12, first 2 shown]
	ds_read2_b64 v[154:157], v108 offset0:67 offset1:68
	ds_read2_b64 v[158:161], v108 offset0:69 offset1:70
	s_and_b64 vcc, exec, s[14:15]
	s_waitcnt vmcnt(51) lgkmcnt(7)
	v_mul_f32_e32 v32, v130, v115
	s_waitcnt vmcnt(50)
	v_mul_f32_e32 v33, v132, v112
	s_waitcnt vmcnt(49) lgkmcnt(6)
	v_mul_f32_e32 v34, v134, v111
	s_waitcnt vmcnt(48)
	v_mul_f32_e32 v35, v136, v110
	;; [unrolled: 4-line block ×5, first 2 shown]
	s_waitcnt vmcnt(41) lgkmcnt(2)
	v_mul_f32_e32 v42, v150, v119
	s_waitcnt vmcnt(40)
	v_fmac_f32_e32 v34, v135, v126
	s_waitcnt vmcnt(39)
	v_fmac_f32_e32 v33, v133, v129
	;; [unrolled: 2-line block ×3, first 2 shown]
	v_add_f32_e32 v32, 0, v32
	v_add_f32_e32 v32, v32, v33
	;; [unrolled: 1-line block ×3, first 2 shown]
	s_waitcnt vmcnt(34)
	v_fmac_f32_e32 v35, v137, v4
	v_fmac_f32_e32 v36, v139, v128
	v_add_f32_e32 v32, v32, v35
	v_fmac_f32_e32 v37, v141, v125
	v_add_f32_e32 v32, v32, v36
	buffer_load_dword v34, off, s[0:3], 0 offset:208
	buffer_load_dword v35, off, s[0:3], 0 offset:212
	v_fmac_f32_e32 v38, v143, v122
	v_add_f32_e32 v32, v32, v37
	s_waitcnt vmcnt(32)
	v_fmac_f32_e32 v39, v145, v127
	v_add_f32_e32 v32, v32, v38
	buffer_load_dword v36, off, s[0:3], 0 offset:216
	buffer_load_dword v37, off, s[0:3], 0 offset:220
	v_add_f32_e32 v32, v32, v39
	ds_read2_b64 v[162:165], v108 offset0:71 offset1:72
	buffer_load_dword v38, off, s[0:3], 0 offset:224
	buffer_load_dword v39, off, s[0:3], 0 offset:228
	v_fmac_f32_e32 v40, v147, v124
	v_fmac_f32_e32 v41, v149, v121
	v_add_f32_e32 v32, v32, v40
	v_fmac_f32_e32 v42, v151, v120
	v_add_f32_e32 v32, v32, v41
	s_waitcnt vmcnt(35)
	v_mul_f32_e32 v33, v152, v123
	v_add_f32_e32 v32, v32, v42
	s_waitcnt vmcnt(31)
	v_fmac_f32_e32 v33, v153, v8
	v_add_f32_e32 v32, v32, v33
	s_waitcnt vmcnt(30) lgkmcnt(2)
	v_mul_f32_e32 v33, v154, v9
	v_fmac_f32_e32 v33, v155, v7
	v_add_f32_e32 v32, v32, v33
	s_waitcnt vmcnt(29)
	v_mul_f32_e32 v33, v156, v10
	v_fmac_f32_e32 v33, v157, v6
	v_add_f32_e32 v32, v32, v33
	s_waitcnt vmcnt(28) lgkmcnt(1)
	v_mul_f32_e32 v33, v158, v11
	v_fmac_f32_e32 v33, v159, v5
	v_add_f32_e32 v32, v32, v33
	s_waitcnt vmcnt(27)
	v_mul_f32_e32 v33, v160, v12
	s_waitcnt vmcnt(21)
	v_fmac_f32_e32 v33, v161, v18
	ds_read2_b64 v[166:169], v108 offset0:73 offset1:74
	v_add_f32_e32 v32, v32, v33
	s_waitcnt vmcnt(20) lgkmcnt(1)
	v_mul_f32_e32 v33, v162, v19
	v_fmac_f32_e32 v33, v163, v17
	v_add_f32_e32 v32, v32, v33
	v_mul_f32_e32 v33, v164, v14
	v_fmac_f32_e32 v33, v165, v13
	v_add_f32_e32 v32, v32, v33
	s_waitcnt lgkmcnt(0)
	v_mul_f32_e32 v33, v166, v16
	v_fmac_f32_e32 v33, v167, v15
	v_add_f32_e32 v32, v32, v33
	buffer_load_dword v33, off, s[0:3], 0 offset:232
	buffer_load_dword v40, off, s[0:3], 0 offset:236
	;; [unrolled: 1-line block ×6, first 2 shown]
	s_waitcnt vmcnt(22)
	v_mul_f32_e32 v45, v168, v21
	v_fmac_f32_e32 v45, v169, v20
	ds_read2_b64 v[170:173], v108 offset0:75 offset1:76
	v_add_f32_e32 v32, v32, v45
	buffer_load_dword v45, off, s[0:3], 0 offset:256
	buffer_load_dword v46, off, s[0:3], 0 offset:260
	ds_read2_b64 v[174:177], v108 offset0:77 offset1:78
	buffer_load_dword v48, off, s[0:3], 0 offset:264
	buffer_load_dword v49, off, s[0:3], 0 offset:268
	;; [unrolled: 1-line block ×14, first 2 shown]
	s_waitcnt vmcnt(36) lgkmcnt(1)
	v_mul_f32_e32 v47, v170, v23
	v_fmac_f32_e32 v47, v171, v22
	v_add_f32_e32 v32, v32, v47
	s_waitcnt vmcnt(34)
	v_mul_f32_e32 v47, v172, v25
	buffer_load_dword v62, off, s[0:3], 0 offset:320
	buffer_load_dword v63, off, s[0:3], 0 offset:324
	v_fmac_f32_e32 v47, v173, v24
	v_add_f32_e32 v32, v32, v47
	s_waitcnt vmcnt(34) lgkmcnt(0)
	v_mul_f32_e32 v47, v174, v27
	v_fmac_f32_e32 v47, v175, v26
	v_add_f32_e32 v32, v32, v47
	s_waitcnt vmcnt(32)
	v_mul_f32_e32 v47, v176, v29
	v_fmac_f32_e32 v47, v177, v28
	ds_read2_b64 v[178:181], v108 offset0:79 offset1:80
	v_add_f32_e32 v32, v32, v47
	buffer_load_dword v47, off, s[0:3], 0 offset:328
	buffer_load_dword v64, off, s[0:3], 0 offset:332
	;; [unrolled: 1-line block ×6, first 2 shown]
	ds_read2_b64 v[182:185], v108 offset0:81 offset1:82
	buffer_load_dword v238, off, s[0:3], 0 offset:352
	buffer_load_dword v239, off, s[0:3], 0 offset:356
	;; [unrolled: 1-line block ×10, first 2 shown]
	s_waitcnt vmcnt(46) lgkmcnt(1)
	v_mul_f32_e32 v186, v178, v31
	v_fmac_f32_e32 v186, v179, v30
	v_add_f32_e32 v32, v32, v186
	buffer_load_dword v248, off, s[0:3], 0 offset:392
	buffer_load_dword v249, off, s[0:3], 0 offset:396
	;; [unrolled: 1-line block ×6, first 2 shown]
	v_mul_f32_e32 v0, v143, v0
	v_fma_f32 v0, v142, v122, -v0
	s_waitcnt vmcnt(50)
	v_mul_f32_e32 v186, v180, v35
	v_fmac_f32_e32 v186, v181, v34
	v_add_f32_e32 v32, v32, v186
	s_waitcnt vmcnt(48) lgkmcnt(0)
	v_mul_f32_e32 v186, v182, v37
	v_fmac_f32_e32 v186, v183, v36
	v_add_f32_e32 v32, v32, v186
	s_waitcnt vmcnt(46)
	v_mul_f32_e32 v190, v184, v39
	v_fmac_f32_e32 v190, v185, v38
	ds_read2_b64 v[186:189], v108 offset0:83 offset1:84
	v_add_f32_e32 v32, v32, v190
	ds_read2_b64 v[190:193], v108 offset0:85 offset1:86
	buffer_load_dword v254, off, s[0:3], 0 offset:416
	buffer_load_dword v255, off, s[0:3], 0 offset:420
	s_waitcnt vmcnt(46) lgkmcnt(1)
	v_mul_f32_e32 v194, v186, v40
	v_fmac_f32_e32 v194, v187, v33
	v_add_f32_e32 v32, v32, v194
	s_waitcnt vmcnt(45)
	v_mul_f32_e32 v194, v188, v41
	s_waitcnt vmcnt(42)
	v_fmac_f32_e32 v194, v189, v44
	v_add_f32_e32 v32, v32, v194
	s_waitcnt lgkmcnt(0)
	v_mul_f32_e32 v194, v190, v43
	v_fmac_f32_e32 v194, v191, v42
	v_add_f32_e32 v32, v32, v194
	ds_read2_b64 v[194:197], v108 offset0:87 offset1:88
	s_waitcnt vmcnt(40)
	v_mul_f32_e32 v198, v192, v46
	v_fmac_f32_e32 v198, v193, v45
	v_add_f32_e32 v32, v32, v198
	ds_read2_b64 v[198:201], v108 offset0:89 offset1:90
	s_waitcnt vmcnt(38) lgkmcnt(1)
	v_mul_f32_e32 v202, v194, v49
	v_fmac_f32_e32 v202, v195, v48
	v_add_f32_e32 v32, v32, v202
	s_waitcnt vmcnt(37)
	v_mul_f32_e32 v202, v196, v50
	s_waitcnt vmcnt(34)
	v_fmac_f32_e32 v202, v197, v53
	v_add_f32_e32 v32, v32, v202
	s_waitcnt lgkmcnt(0)
	v_mul_f32_e32 v202, v198, v52
	v_fmac_f32_e32 v202, v199, v51
	v_add_f32_e32 v32, v32, v202
	ds_read2_b64 v[202:205], v108 offset0:91 offset1:92
	s_waitcnt vmcnt(32)
	v_mul_f32_e32 v206, v200, v55
	v_fmac_f32_e32 v206, v201, v54
	v_add_f32_e32 v32, v32, v206
	ds_read2_b64 v[206:209], v108 offset0:93 offset1:94
	;; [unrolled: 19-line block ×5, first 2 shown]
	s_waitcnt vmcnt(6) lgkmcnt(1)
	v_mul_f32_e32 v108, v226, v249
	v_fmac_f32_e32 v108, v227, v248
	v_add_f32_e32 v32, v32, v108
	s_waitcnt vmcnt(5)
	v_mul_f32_e32 v108, v228, v250
	s_waitcnt vmcnt(2)
	v_fmac_f32_e32 v108, v229, v253
	v_add_f32_e32 v32, v32, v108
	s_waitcnt lgkmcnt(0)
	v_mul_f32_e32 v108, v230, v252
	v_fmac_f32_e32 v108, v231, v251
	v_add_f32_e32 v32, v32, v108
	s_waitcnt vmcnt(0)
	v_mul_f32_e32 v108, v232, v255
	v_fmac_f32_e32 v108, v233, v254
	v_add_f32_e32 v32, v32, v108
	v_mul_f32_e32 v108, v131, v115
	v_fma_f32 v3, v130, v3, -v108
	v_mul_f32_e32 v108, v133, v112
	v_add_f32_e32 v3, 0, v3
	v_fma_f32 v108, v132, v129, -v108
	v_add_f32_e32 v3, v3, v108
	v_mul_f32_e32 v108, v135, v111
	v_fma_f32 v108, v134, v126, -v108
	v_add_f32_e32 v3, v3, v108
	v_mul_f32_e32 v108, v137, v110
	;; [unrolled: 3-line block ×4, first 2 shown]
	v_fma_f32 v4, v140, v125, -v4
	v_add_f32_e32 v3, v3, v4
	v_add_f32_e32 v0, v3, v0
	v_mul_f32_e32 v3, v145, v116
	v_fma_f32 v3, v144, v127, -v3
	v_add_f32_e32 v0, v0, v3
	v_mul_f32_e32 v3, v147, v117
	v_fma_f32 v3, v146, v124, -v3
	;; [unrolled: 3-line block ×45, first 2 shown]
	v_add_f32_e32 v0, v0, v3
	v_sub_f32_e32 v0, v113, v0
	v_sub_f32_e32 v3, v114, v32
	buffer_store_dword v0, off, s[0:3], 0
	buffer_store_dword v3, off, s[0:3], 0 offset:4
	s_cbranch_vccz .LBB116_436
; %bb.332:
	v_mov_b32_e32 v0, 0
	global_load_dword v107, v0, s[12:13] offset:204
	s_waitcnt vmcnt(0)
	v_add_u32_e32 v107, -1, v107
	v_cmp_ne_u32_e32 vcc, 51, v107
	s_cbranch_vccz .LBB116_334
; %bb.333:
	v_lshlrev_b32_e32 v3, 3, v107
	buffer_load_dword v4, v3, s[0:3], 0 offen
	buffer_load_dword v5, v3, s[0:3], 0 offen offset:4
	buffer_load_dword v6, off, s[0:3], 0 offset:408
	buffer_load_dword v7, off, s[0:3], 0 offset:412
	s_waitcnt vmcnt(3)
	buffer_store_dword v4, off, s[0:3], 0 offset:408
	s_waitcnt vmcnt(3)
	buffer_store_dword v5, off, s[0:3], 0 offset:412
	s_waitcnt vmcnt(3)
	buffer_store_dword v6, v3, s[0:3], 0 offen
	s_waitcnt vmcnt(3)
	buffer_store_dword v7, v3, s[0:3], 0 offen offset:4
.LBB116_334:
	global_load_dword v0, v0, s[12:13] offset:200
	s_waitcnt vmcnt(0)
	v_add_u32_e32 v0, -1, v0
	v_cmp_eq_u32_e32 vcc, 50, v0
	s_cbranch_vccnz .LBB116_336
; %bb.335:
	v_lshlrev_b32_e32 v0, 3, v0
	buffer_load_dword v3, v0, s[0:3], 0 offen
	buffer_load_dword v4, v0, s[0:3], 0 offen offset:4
	buffer_load_dword v5, off, s[0:3], 0 offset:404
	buffer_load_dword v6, off, s[0:3], 0 offset:400
	s_waitcnt vmcnt(3)
	buffer_store_dword v3, off, s[0:3], 0 offset:400
	s_waitcnt vmcnt(3)
	buffer_store_dword v4, off, s[0:3], 0 offset:404
	s_waitcnt vmcnt(3)
	buffer_store_dword v5, v0, s[0:3], 0 offen offset:4
	s_waitcnt vmcnt(3)
	buffer_store_dword v6, v0, s[0:3], 0 offen
.LBB116_336:
	v_mov_b32_e32 v0, 0
	global_load_dword v3, v0, s[12:13] offset:196
	s_waitcnt vmcnt(0)
	v_add_u32_e32 v107, -1, v3
	v_cmp_eq_u32_e32 vcc, 49, v107
	s_cbranch_vccnz .LBB116_338
; %bb.337:
	v_lshlrev_b32_e32 v3, 3, v107
	buffer_load_dword v4, v3, s[0:3], 0 offen
	buffer_load_dword v5, v3, s[0:3], 0 offen offset:4
	buffer_load_dword v6, off, s[0:3], 0 offset:392
	buffer_load_dword v7, off, s[0:3], 0 offset:396
	s_waitcnt vmcnt(3)
	buffer_store_dword v4, off, s[0:3], 0 offset:392
	s_waitcnt vmcnt(3)
	buffer_store_dword v5, off, s[0:3], 0 offset:396
	s_waitcnt vmcnt(3)
	buffer_store_dword v6, v3, s[0:3], 0 offen
	s_waitcnt vmcnt(3)
	buffer_store_dword v7, v3, s[0:3], 0 offen offset:4
.LBB116_338:
	global_load_dword v0, v0, s[12:13] offset:192
	s_waitcnt vmcnt(0)
	v_add_u32_e32 v0, -1, v0
	v_cmp_eq_u32_e32 vcc, 48, v0
	s_cbranch_vccnz .LBB116_340
; %bb.339:
	v_lshlrev_b32_e32 v0, 3, v0
	buffer_load_dword v3, v0, s[0:3], 0 offen
	buffer_load_dword v4, v0, s[0:3], 0 offen offset:4
	buffer_load_dword v5, off, s[0:3], 0 offset:388
	buffer_load_dword v6, off, s[0:3], 0 offset:384
	s_waitcnt vmcnt(3)
	buffer_store_dword v3, off, s[0:3], 0 offset:384
	s_waitcnt vmcnt(3)
	buffer_store_dword v4, off, s[0:3], 0 offset:388
	s_waitcnt vmcnt(3)
	buffer_store_dword v5, v0, s[0:3], 0 offen offset:4
	s_waitcnt vmcnt(3)
	buffer_store_dword v6, v0, s[0:3], 0 offen
.LBB116_340:
	v_mov_b32_e32 v0, 0
	global_load_dword v3, v0, s[12:13] offset:188
	s_waitcnt vmcnt(0)
	v_add_u32_e32 v107, -1, v3
	v_cmp_eq_u32_e32 vcc, 47, v107
	s_cbranch_vccnz .LBB116_342
; %bb.341:
	v_lshlrev_b32_e32 v3, 3, v107
	buffer_load_dword v4, v3, s[0:3], 0 offen
	buffer_load_dword v5, v3, s[0:3], 0 offen offset:4
	buffer_load_dword v6, off, s[0:3], 0 offset:376
	buffer_load_dword v7, off, s[0:3], 0 offset:380
	s_waitcnt vmcnt(3)
	buffer_store_dword v4, off, s[0:3], 0 offset:376
	s_waitcnt vmcnt(3)
	buffer_store_dword v5, off, s[0:3], 0 offset:380
	s_waitcnt vmcnt(3)
	buffer_store_dword v6, v3, s[0:3], 0 offen
	s_waitcnt vmcnt(3)
	buffer_store_dword v7, v3, s[0:3], 0 offen offset:4
.LBB116_342:
	;; [unrolled: 41-line block ×25, first 2 shown]
	global_load_dword v0, v0, s[12:13]
	s_waitcnt vmcnt(0)
	v_add_u32_e32 v0, -1, v0
	v_cmp_eq_u32_e32 vcc, 0, v0
	s_cbranch_vccnz .LBB116_436
; %bb.435:
	v_lshlrev_b32_e32 v0, 3, v0
	buffer_load_dword v3, v0, s[0:3], 0 offen
	buffer_load_dword v4, v0, s[0:3], 0 offen offset:4
	buffer_load_dword v5, off, s[0:3], 0 offset:4
	buffer_load_dword v6, off, s[0:3], 0
	s_waitcnt vmcnt(3)
	buffer_store_dword v3, off, s[0:3], 0
	s_waitcnt vmcnt(3)
	buffer_store_dword v4, off, s[0:3], 0 offset:4
	s_waitcnt vmcnt(3)
	buffer_store_dword v5, v0, s[0:3], 0 offen offset:4
	s_waitcnt vmcnt(3)
	buffer_store_dword v6, v0, s[0:3], 0 offen
.LBB116_436:
	buffer_load_dword v107, off, s[0:3], 0
	buffer_load_dword v108, off, s[0:3], 0 offset:4
	s_waitcnt vmcnt(0)
	flat_store_dwordx2 v[1:2], v[107:108]
	buffer_load_dword v0, off, s[0:3], 0 offset:8
	s_nop 0
	buffer_load_dword v1, off, s[0:3], 0 offset:12
	buffer_load_dword v2, off, s[0:3], 0 offset:424 ; 4-byte Folded Reload
	buffer_load_dword v3, off, s[0:3], 0 offset:428 ; 4-byte Folded Reload
	s_waitcnt vmcnt(0)
	flat_store_dwordx2 v[2:3], v[0:1]
	buffer_load_dword v0, off, s[0:3], 0 offset:16
	s_nop 0
	buffer_load_dword v1, off, s[0:3], 0 offset:20
	buffer_load_dword v2, off, s[0:3], 0 offset:432 ; 4-byte Folded Reload
	buffer_load_dword v3, off, s[0:3], 0 offset:436 ; 4-byte Folded Reload
	;; [unrolled: 7-line block ×31, first 2 shown]
	s_waitcnt vmcnt(0)
	flat_store_dwordx2 v[2:3], v[0:1]
	buffer_load_dword v0, off, s[0:3], 0 offset:256
	s_nop 0
	buffer_load_dword v1, off, s[0:3], 0 offset:260
	s_waitcnt vmcnt(0)
	flat_store_dwordx2 v[65:66], v[0:1]
	buffer_load_dword v0, off, s[0:3], 0 offset:264
	s_nop 0
	buffer_load_dword v1, off, s[0:3], 0 offset:268
	;; [unrolled: 5-line block ×21, first 2 shown]
	s_waitcnt vmcnt(0)
	flat_store_dwordx2 v[105:106], v[0:1]
	s_endpgm
	.section	.rodata,"a",@progbits
	.p2align	6, 0x0
	.amdhsa_kernel _ZN9rocsolver6v33100L18getri_kernel_smallILi53E19rocblas_complex_numIfEPKPS3_EEvT1_iilPiilS8_bb
		.amdhsa_group_segment_fixed_size 856
		.amdhsa_private_segment_fixed_size 688
		.amdhsa_kernarg_size 60
		.amdhsa_user_sgpr_count 6
		.amdhsa_user_sgpr_private_segment_buffer 1
		.amdhsa_user_sgpr_dispatch_ptr 0
		.amdhsa_user_sgpr_queue_ptr 0
		.amdhsa_user_sgpr_kernarg_segment_ptr 1
		.amdhsa_user_sgpr_dispatch_id 0
		.amdhsa_user_sgpr_flat_scratch_init 0
		.amdhsa_user_sgpr_private_segment_size 0
		.amdhsa_uses_dynamic_stack 0
		.amdhsa_system_sgpr_private_segment_wavefront_offset 1
		.amdhsa_system_sgpr_workgroup_id_x 1
		.amdhsa_system_sgpr_workgroup_id_y 0
		.amdhsa_system_sgpr_workgroup_id_z 0
		.amdhsa_system_sgpr_workgroup_info 0
		.amdhsa_system_vgpr_workitem_id 0
		.amdhsa_next_free_vgpr 256
		.amdhsa_next_free_sgpr 21
		.amdhsa_reserve_vcc 1
		.amdhsa_reserve_flat_scratch 0
		.amdhsa_float_round_mode_32 0
		.amdhsa_float_round_mode_16_64 0
		.amdhsa_float_denorm_mode_32 3
		.amdhsa_float_denorm_mode_16_64 3
		.amdhsa_dx10_clamp 1
		.amdhsa_ieee_mode 1
		.amdhsa_fp16_overflow 0
		.amdhsa_exception_fp_ieee_invalid_op 0
		.amdhsa_exception_fp_denorm_src 0
		.amdhsa_exception_fp_ieee_div_zero 0
		.amdhsa_exception_fp_ieee_overflow 0
		.amdhsa_exception_fp_ieee_underflow 0
		.amdhsa_exception_fp_ieee_inexact 0
		.amdhsa_exception_int_div_zero 0
	.end_amdhsa_kernel
	.section	.text._ZN9rocsolver6v33100L18getri_kernel_smallILi53E19rocblas_complex_numIfEPKPS3_EEvT1_iilPiilS8_bb,"axG",@progbits,_ZN9rocsolver6v33100L18getri_kernel_smallILi53E19rocblas_complex_numIfEPKPS3_EEvT1_iilPiilS8_bb,comdat
.Lfunc_end116:
	.size	_ZN9rocsolver6v33100L18getri_kernel_smallILi53E19rocblas_complex_numIfEPKPS3_EEvT1_iilPiilS8_bb, .Lfunc_end116-_ZN9rocsolver6v33100L18getri_kernel_smallILi53E19rocblas_complex_numIfEPKPS3_EEvT1_iilPiilS8_bb
                                        ; -- End function
	.set _ZN9rocsolver6v33100L18getri_kernel_smallILi53E19rocblas_complex_numIfEPKPS3_EEvT1_iilPiilS8_bb.num_vgpr, 256
	.set _ZN9rocsolver6v33100L18getri_kernel_smallILi53E19rocblas_complex_numIfEPKPS3_EEvT1_iilPiilS8_bb.num_agpr, 0
	.set _ZN9rocsolver6v33100L18getri_kernel_smallILi53E19rocblas_complex_numIfEPKPS3_EEvT1_iilPiilS8_bb.numbered_sgpr, 21
	.set _ZN9rocsolver6v33100L18getri_kernel_smallILi53E19rocblas_complex_numIfEPKPS3_EEvT1_iilPiilS8_bb.num_named_barrier, 0
	.set _ZN9rocsolver6v33100L18getri_kernel_smallILi53E19rocblas_complex_numIfEPKPS3_EEvT1_iilPiilS8_bb.private_seg_size, 688
	.set _ZN9rocsolver6v33100L18getri_kernel_smallILi53E19rocblas_complex_numIfEPKPS3_EEvT1_iilPiilS8_bb.uses_vcc, 1
	.set _ZN9rocsolver6v33100L18getri_kernel_smallILi53E19rocblas_complex_numIfEPKPS3_EEvT1_iilPiilS8_bb.uses_flat_scratch, 0
	.set _ZN9rocsolver6v33100L18getri_kernel_smallILi53E19rocblas_complex_numIfEPKPS3_EEvT1_iilPiilS8_bb.has_dyn_sized_stack, 0
	.set _ZN9rocsolver6v33100L18getri_kernel_smallILi53E19rocblas_complex_numIfEPKPS3_EEvT1_iilPiilS8_bb.has_recursion, 0
	.set _ZN9rocsolver6v33100L18getri_kernel_smallILi53E19rocblas_complex_numIfEPKPS3_EEvT1_iilPiilS8_bb.has_indirect_call, 0
	.section	.AMDGPU.csdata,"",@progbits
; Kernel info:
; codeLenInByte = 103776
; TotalNumSgprs: 25
; NumVgprs: 256
; ScratchSize: 688
; MemoryBound: 0
; FloatMode: 240
; IeeeMode: 1
; LDSByteSize: 856 bytes/workgroup (compile time only)
; SGPRBlocks: 3
; VGPRBlocks: 63
; NumSGPRsForWavesPerEU: 25
; NumVGPRsForWavesPerEU: 256
; Occupancy: 1
; WaveLimiterHint : 1
; COMPUTE_PGM_RSRC2:SCRATCH_EN: 1
; COMPUTE_PGM_RSRC2:USER_SGPR: 6
; COMPUTE_PGM_RSRC2:TRAP_HANDLER: 0
; COMPUTE_PGM_RSRC2:TGID_X_EN: 1
; COMPUTE_PGM_RSRC2:TGID_Y_EN: 0
; COMPUTE_PGM_RSRC2:TGID_Z_EN: 0
; COMPUTE_PGM_RSRC2:TIDIG_COMP_CNT: 0
	.section	.text._ZN9rocsolver6v33100L18getri_kernel_smallILi54E19rocblas_complex_numIfEPKPS3_EEvT1_iilPiilS8_bb,"axG",@progbits,_ZN9rocsolver6v33100L18getri_kernel_smallILi54E19rocblas_complex_numIfEPKPS3_EEvT1_iilPiilS8_bb,comdat
	.globl	_ZN9rocsolver6v33100L18getri_kernel_smallILi54E19rocblas_complex_numIfEPKPS3_EEvT1_iilPiilS8_bb ; -- Begin function _ZN9rocsolver6v33100L18getri_kernel_smallILi54E19rocblas_complex_numIfEPKPS3_EEvT1_iilPiilS8_bb
	.p2align	8
	.type	_ZN9rocsolver6v33100L18getri_kernel_smallILi54E19rocblas_complex_numIfEPKPS3_EEvT1_iilPiilS8_bb,@function
_ZN9rocsolver6v33100L18getri_kernel_smallILi54E19rocblas_complex_numIfEPKPS3_EEvT1_iilPiilS8_bb: ; @_ZN9rocsolver6v33100L18getri_kernel_smallILi54E19rocblas_complex_numIfEPKPS3_EEvT1_iilPiilS8_bb
; %bb.0:
	s_add_u32 s0, s0, s7
	s_addc_u32 s1, s1, 0
	v_cmp_gt_u32_e32 vcc, 54, v0
	s_and_saveexec_b64 s[8:9], vcc
	s_cbranch_execz .LBB117_230
; %bb.1:
	s_load_dword s18, s[4:5], 0x38
	s_load_dwordx2 s[12:13], s[4:5], 0x0
	s_load_dwordx4 s[8:11], s[4:5], 0x28
	s_waitcnt lgkmcnt(0)
	s_bitcmp1_b32 s18, 8
	s_cselect_b64 s[14:15], -1, 0
	s_ashr_i32 s7, s6, 31
	s_lshl_b64 s[16:17], s[6:7], 3
	s_add_u32 s12, s12, s16
	s_addc_u32 s13, s13, s17
	s_load_dwordx2 s[16:17], s[12:13], 0x0
	s_bfe_u32 s12, s18, 0x10008
	s_cmp_eq_u32 s12, 0
                                        ; implicit-def: $sgpr12_sgpr13
	s_cbranch_scc1 .LBB117_3
; %bb.2:
	s_load_dword s12, s[4:5], 0x20
	s_load_dwordx2 s[18:19], s[4:5], 0x18
	s_mul_i32 s13, s8, s7
	s_mul_hi_u32 s20, s8, s6
	s_add_i32 s20, s20, s13
	s_mul_i32 s9, s9, s6
	s_add_i32 s9, s20, s9
	s_mul_i32 s8, s8, s6
	s_waitcnt lgkmcnt(0)
	s_ashr_i32 s13, s12, 31
	s_lshl_b64 s[8:9], s[8:9], 2
	s_add_u32 s18, s18, s8
	s_addc_u32 s19, s19, s9
	s_lshl_b64 s[8:9], s[12:13], 2
	s_add_u32 s12, s18, s8
	s_addc_u32 s13, s19, s9
.LBB117_3:
	s_load_dwordx2 s[8:9], s[4:5], 0x8
	s_load_dword s18, s[4:5], 0x38
	v_lshlrev_b32_e32 v111, 3, v0
	s_waitcnt lgkmcnt(0)
	s_ashr_i32 s5, s8, 31
	s_mov_b32 s4, s8
	s_lshl_b64 s[4:5], s[4:5], 3
	s_add_u32 s4, s16, s4
	s_addc_u32 s5, s17, s5
	v_mov_b32_e32 v2, s5
	v_add_co_u32_e32 v1, vcc, s4, v111
	v_addc_co_u32_e32 v2, vcc, 0, v2, vcc
	flat_load_dwordx2 v[5:6], v[1:2]
	s_mov_b32 s16, s9
	s_ashr_i32 s17, s9, 31
	s_lshl_b64 s[16:17], s[16:17], 3
	v_mov_b32_e32 v4, s17
	v_add_co_u32_e32 v3, vcc, s16, v1
	v_addc_co_u32_e32 v4, vcc, v2, v4, vcc
	s_add_i32 s8, s9, s9
	v_add_u32_e32 v9, s8, v0
	v_ashrrev_i32_e32 v10, 31, v9
	v_mov_b32_e32 v11, s5
	v_add_u32_e32 v12, s9, v9
	v_ashrrev_i32_e32 v13, 31, v12
	v_mov_b32_e32 v14, s5
	v_mov_b32_e32 v15, s5
	;; [unrolled: 1-line block ×50, first 2 shown]
	s_bitcmp0_b32 s18, 0
	s_waitcnt vmcnt(0) lgkmcnt(0)
	buffer_store_dword v6, off, s[0:3], 0 offset:4
	buffer_store_dword v5, off, s[0:3], 0
	buffer_store_dword v3, off, s[0:3], 0 offset:432 ; 4-byte Folded Spill
	s_nop 0
	buffer_store_dword v4, off, s[0:3], 0 offset:436 ; 4-byte Folded Spill
	v_lshlrev_b64 v[5:6], 3, v[9:10]
	flat_load_dwordx2 v[7:8], v[3:4]
	v_add_co_u32_e32 v3, vcc, s4, v5
	v_addc_co_u32_e32 v4, vcc, v11, v6, vcc
	s_waitcnt vmcnt(0) lgkmcnt(0)
	buffer_store_dword v8, off, s[0:3], 0 offset:12
	buffer_store_dword v7, off, s[0:3], 0 offset:8
	buffer_store_dword v3, off, s[0:3], 0 offset:440 ; 4-byte Folded Spill
	s_nop 0
	buffer_store_dword v4, off, s[0:3], 0 offset:444 ; 4-byte Folded Spill
	v_lshlrev_b64 v[7:8], 3, v[12:13]
	flat_load_dwordx2 v[10:11], v[3:4]
	v_add_co_u32_e32 v3, vcc, s4, v7
	v_addc_co_u32_e32 v4, vcc, v14, v8, vcc
	s_waitcnt vmcnt(0) lgkmcnt(0)
	buffer_store_dword v11, off, s[0:3], 0 offset:20
	buffer_store_dword v10, off, s[0:3], 0 offset:16
	buffer_store_dword v3, off, s[0:3], 0 offset:448 ; 4-byte Folded Spill
	s_nop 0
	buffer_store_dword v4, off, s[0:3], 0 offset:452 ; 4-byte Folded Spill
	v_add_u32_e32 v11, s9, v12
	v_ashrrev_i32_e32 v12, 31, v11
	v_lshlrev_b64 v[9:10], 3, v[11:12]
	flat_load_dwordx2 v[13:14], v[3:4]
	v_add_co_u32_e32 v3, vcc, s4, v9
	v_addc_co_u32_e32 v4, vcc, v15, v10, vcc
	v_add_u32_e32 v15, s9, v11
	v_ashrrev_i32_e32 v16, 31, v15
	v_lshlrev_b64 v[11:12], 3, v[15:16]
	v_add_u32_e32 v18, s9, v15
	v_ashrrev_i32_e32 v19, 31, v18
	s_waitcnt vmcnt(0) lgkmcnt(0)
	buffer_store_dword v14, off, s[0:3], 0 offset:28
	buffer_store_dword v13, off, s[0:3], 0 offset:24
	buffer_store_dword v3, off, s[0:3], 0 offset:456 ; 4-byte Folded Spill
	s_nop 0
	buffer_store_dword v4, off, s[0:3], 0 offset:460 ; 4-byte Folded Spill
	flat_load_dwordx2 v[13:14], v[3:4]
	v_add_co_u32_e32 v3, vcc, s4, v11
	v_addc_co_u32_e32 v4, vcc, v17, v12, vcc
	s_waitcnt vmcnt(0) lgkmcnt(0)
	buffer_store_dword v14, off, s[0:3], 0 offset:36
	buffer_store_dword v13, off, s[0:3], 0 offset:32
	buffer_store_dword v3, off, s[0:3], 0 offset:464 ; 4-byte Folded Spill
	s_nop 0
	buffer_store_dword v4, off, s[0:3], 0 offset:468 ; 4-byte Folded Spill
	v_lshlrev_b64 v[13:14], 3, v[18:19]
	flat_load_dwordx2 v[16:17], v[3:4]
	v_add_co_u32_e32 v3, vcc, s4, v13
	v_addc_co_u32_e32 v4, vcc, v20, v14, vcc
	s_waitcnt vmcnt(0) lgkmcnt(0)
	buffer_store_dword v17, off, s[0:3], 0 offset:44
	buffer_store_dword v16, off, s[0:3], 0 offset:40
	buffer_store_dword v3, off, s[0:3], 0 offset:472 ; 4-byte Folded Spill
	s_nop 0
	buffer_store_dword v4, off, s[0:3], 0 offset:476 ; 4-byte Folded Spill
	v_add_u32_e32 v17, s9, v18
	v_ashrrev_i32_e32 v18, 31, v17
	v_lshlrev_b64 v[15:16], 3, v[17:18]
	flat_load_dwordx2 v[19:20], v[3:4]
	v_add_co_u32_e32 v3, vcc, s4, v15
	v_addc_co_u32_e32 v4, vcc, v21, v16, vcc
	v_add_u32_e32 v21, s9, v17
	v_ashrrev_i32_e32 v22, 31, v21
	v_lshlrev_b64 v[17:18], 3, v[21:22]
	v_add_u32_e32 v24, s9, v21
	v_ashrrev_i32_e32 v25, 31, v24
	s_waitcnt vmcnt(0) lgkmcnt(0)
	buffer_store_dword v20, off, s[0:3], 0 offset:52
	buffer_store_dword v19, off, s[0:3], 0 offset:48
	buffer_store_dword v3, off, s[0:3], 0 offset:480 ; 4-byte Folded Spill
	s_nop 0
	buffer_store_dword v4, off, s[0:3], 0 offset:484 ; 4-byte Folded Spill
	;; [unrolled: 36-line block ×11, first 2 shown]
	flat_load_dwordx2 v[73:74], v[3:4]
	v_add_co_u32_e32 v3, vcc, s4, v71
	v_addc_co_u32_e32 v4, vcc, v77, v72, vcc
	s_waitcnt vmcnt(0) lgkmcnt(0)
	buffer_store_dword v74, off, s[0:3], 0 offset:276
	buffer_store_dword v73, off, s[0:3], 0 offset:272
	buffer_store_dword v3, off, s[0:3], 0 offset:704 ; 4-byte Folded Spill
	s_nop 0
	buffer_store_dword v4, off, s[0:3], 0 offset:708 ; 4-byte Folded Spill
	v_lshlrev_b64 v[73:74], 3, v[78:79]
	v_add_co_u32_e32 v73, vcc, s4, v73
	v_addc_co_u32_e32 v74, vcc, v80, v74, vcc
	flat_load_dwordx2 v[76:77], v[3:4]
	s_waitcnt vmcnt(0) lgkmcnt(0)
	buffer_store_dword v77, off, s[0:3], 0 offset:284
	buffer_store_dword v76, off, s[0:3], 0 offset:280
	flat_load_dwordx2 v[79:80], v[73:74]
	v_add_u32_e32 v77, s9, v78
	v_ashrrev_i32_e32 v78, 31, v77
	v_lshlrev_b64 v[75:76], 3, v[77:78]
	s_waitcnt vmcnt(0) lgkmcnt(0)
	buffer_store_dword v80, off, s[0:3], 0 offset:292
	buffer_store_dword v79, off, s[0:3], 0 offset:288
	v_add_co_u32_e32 v75, vcc, s4, v75
	v_addc_co_u32_e32 v76, vcc, v81, v76, vcc
	flat_load_dwordx2 v[79:80], v[75:76]
	v_add_u32_e32 v81, s9, v77
	v_ashrrev_i32_e32 v82, 31, v81
	v_lshlrev_b64 v[77:78], 3, v[81:82]
	v_add_u32_e32 v84, s9, v81
	v_add_co_u32_e32 v77, vcc, s4, v77
	v_addc_co_u32_e32 v78, vcc, v83, v78, vcc
	v_ashrrev_i32_e32 v85, 31, v84
	s_waitcnt vmcnt(0) lgkmcnt(0)
	buffer_store_dword v80, off, s[0:3], 0 offset:300
	buffer_store_dword v79, off, s[0:3], 0 offset:296
	flat_load_dwordx2 v[82:83], v[77:78]
	v_lshlrev_b64 v[79:80], 3, v[84:85]
	s_waitcnt vmcnt(0) lgkmcnt(0)
	buffer_store_dword v83, off, s[0:3], 0 offset:308
	buffer_store_dword v82, off, s[0:3], 0 offset:304
	v_add_co_u32_e32 v79, vcc, s4, v79
	v_addc_co_u32_e32 v80, vcc, v86, v80, vcc
	flat_load_dwordx2 v[85:86], v[79:80]
	v_add_u32_e32 v83, s9, v84
	v_ashrrev_i32_e32 v84, 31, v83
	v_lshlrev_b64 v[81:82], 3, v[83:84]
	s_waitcnt vmcnt(0) lgkmcnt(0)
	buffer_store_dword v86, off, s[0:3], 0 offset:316
	buffer_store_dword v85, off, s[0:3], 0 offset:312
	v_add_co_u32_e32 v81, vcc, s4, v81
	v_addc_co_u32_e32 v82, vcc, v87, v82, vcc
	flat_load_dwordx2 v[85:86], v[81:82]
	v_add_u32_e32 v87, s9, v83
	v_ashrrev_i32_e32 v88, 31, v87
	v_lshlrev_b64 v[83:84], 3, v[87:88]
	v_add_u32_e32 v90, s9, v87
	v_add_co_u32_e32 v83, vcc, s4, v83
	v_addc_co_u32_e32 v84, vcc, v89, v84, vcc
	v_ashrrev_i32_e32 v91, 31, v90
	s_waitcnt vmcnt(0) lgkmcnt(0)
	buffer_store_dword v86, off, s[0:3], 0 offset:324
	buffer_store_dword v85, off, s[0:3], 0 offset:320
	flat_load_dwordx2 v[88:89], v[83:84]
	v_lshlrev_b64 v[85:86], 3, v[90:91]
	s_waitcnt vmcnt(0) lgkmcnt(0)
	buffer_store_dword v89, off, s[0:3], 0 offset:332
	buffer_store_dword v88, off, s[0:3], 0 offset:328
	v_add_co_u32_e32 v85, vcc, s4, v85
	v_addc_co_u32_e32 v86, vcc, v92, v86, vcc
	flat_load_dwordx2 v[91:92], v[85:86]
	v_add_u32_e32 v89, s9, v90
	v_ashrrev_i32_e32 v90, 31, v89
	v_lshlrev_b64 v[87:88], 3, v[89:90]
	s_waitcnt vmcnt(0) lgkmcnt(0)
	buffer_store_dword v92, off, s[0:3], 0 offset:340
	buffer_store_dword v91, off, s[0:3], 0 offset:336
	v_add_co_u32_e32 v87, vcc, s4, v87
	v_addc_co_u32_e32 v88, vcc, v93, v88, vcc
	flat_load_dwordx2 v[91:92], v[87:88]
	v_add_u32_e32 v93, s9, v89
	v_ashrrev_i32_e32 v94, 31, v93
	v_lshlrev_b64 v[89:90], 3, v[93:94]
	v_add_u32_e32 v96, s9, v93
	v_add_co_u32_e32 v89, vcc, s4, v89
	v_addc_co_u32_e32 v90, vcc, v95, v90, vcc
	v_ashrrev_i32_e32 v97, 31, v96
	s_waitcnt vmcnt(0) lgkmcnt(0)
	buffer_store_dword v92, off, s[0:3], 0 offset:348
	buffer_store_dword v91, off, s[0:3], 0 offset:344
	flat_load_dwordx2 v[94:95], v[89:90]
	v_lshlrev_b64 v[91:92], 3, v[96:97]
	s_waitcnt vmcnt(0) lgkmcnt(0)
	buffer_store_dword v95, off, s[0:3], 0 offset:356
	buffer_store_dword v94, off, s[0:3], 0 offset:352
	v_add_co_u32_e32 v91, vcc, s4, v91
	v_addc_co_u32_e32 v92, vcc, v98, v92, vcc
	flat_load_dwordx2 v[97:98], v[91:92]
	v_add_u32_e32 v95, s9, v96
	v_ashrrev_i32_e32 v96, 31, v95
	v_lshlrev_b64 v[93:94], 3, v[95:96]
	s_waitcnt vmcnt(0) lgkmcnt(0)
	buffer_store_dword v98, off, s[0:3], 0 offset:364
	buffer_store_dword v97, off, s[0:3], 0 offset:360
	v_add_co_u32_e32 v93, vcc, s4, v93
	v_addc_co_u32_e32 v94, vcc, v99, v94, vcc
	flat_load_dwordx2 v[97:98], v[93:94]
	v_add_u32_e32 v99, s9, v95
	v_ashrrev_i32_e32 v100, 31, v99
	v_lshlrev_b64 v[95:96], 3, v[99:100]
	v_add_u32_e32 v102, s9, v99
	v_add_co_u32_e32 v95, vcc, s4, v95
	v_addc_co_u32_e32 v96, vcc, v101, v96, vcc
	v_ashrrev_i32_e32 v103, 31, v102
	s_waitcnt vmcnt(0) lgkmcnt(0)
	buffer_store_dword v98, off, s[0:3], 0 offset:372
	buffer_store_dword v97, off, s[0:3], 0 offset:368
	flat_load_dwordx2 v[100:101], v[95:96]
	v_lshlrev_b64 v[97:98], 3, v[102:103]
	s_waitcnt vmcnt(0) lgkmcnt(0)
	buffer_store_dword v101, off, s[0:3], 0 offset:380
	buffer_store_dword v100, off, s[0:3], 0 offset:376
	v_add_co_u32_e32 v97, vcc, s4, v97
	v_addc_co_u32_e32 v98, vcc, v104, v98, vcc
	flat_load_dwordx2 v[103:104], v[97:98]
	v_add_u32_e32 v101, s9, v102
	v_ashrrev_i32_e32 v102, 31, v101
	v_lshlrev_b64 v[99:100], 3, v[101:102]
	s_waitcnt vmcnt(0) lgkmcnt(0)
	buffer_store_dword v104, off, s[0:3], 0 offset:388
	buffer_store_dword v103, off, s[0:3], 0 offset:384
	v_add_co_u32_e32 v99, vcc, s4, v99
	v_addc_co_u32_e32 v100, vcc, v105, v100, vcc
	flat_load_dwordx2 v[103:104], v[99:100]
	v_add_u32_e32 v105, s9, v101
	v_ashrrev_i32_e32 v106, 31, v105
	v_lshlrev_b64 v[101:102], 3, v[105:106]
	v_add_u32_e32 v108, s9, v105
	v_add_co_u32_e32 v101, vcc, s4, v101
	v_addc_co_u32_e32 v102, vcc, v107, v102, vcc
	v_ashrrev_i32_e32 v109, 31, v108
	s_waitcnt vmcnt(0) lgkmcnt(0)
	buffer_store_dword v104, off, s[0:3], 0 offset:396
	buffer_store_dword v103, off, s[0:3], 0 offset:392
	flat_load_dwordx2 v[106:107], v[101:102]
	v_lshlrev_b64 v[103:104], 3, v[108:109]
	s_waitcnt vmcnt(0) lgkmcnt(0)
	buffer_store_dword v107, off, s[0:3], 0 offset:404
	buffer_store_dword v106, off, s[0:3], 0 offset:400
	v_add_co_u32_e32 v103, vcc, s4, v103
	v_addc_co_u32_e32 v104, vcc, v110, v104, vcc
	flat_load_dwordx2 v[109:110], v[103:104]
	v_add_u32_e32 v107, s9, v108
	v_ashrrev_i32_e32 v108, 31, v107
	v_lshlrev_b64 v[105:106], 3, v[107:108]
	v_add_u32_e32 v107, s9, v107
	v_add_co_u32_e32 v105, vcc, s4, v105
	v_addc_co_u32_e32 v106, vcc, v112, v106, vcc
	v_ashrrev_i32_e32 v108, 31, v107
	v_lshlrev_b64 v[107:108], 3, v[107:108]
	s_mov_b64 s[8:9], -1
	v_add_co_u32_e32 v107, vcc, s4, v107
	v_addc_co_u32_e32 v108, vcc, v112, v108, vcc
	s_waitcnt vmcnt(0) lgkmcnt(0)
	buffer_store_dword v110, off, s[0:3], 0 offset:412
	buffer_store_dword v109, off, s[0:3], 0 offset:408
	flat_load_dwordx2 v[109:110], v[105:106]
	s_waitcnt vmcnt(0) lgkmcnt(0)
	buffer_store_dword v110, off, s[0:3], 0 offset:420
	buffer_store_dword v109, off, s[0:3], 0 offset:416
	flat_load_dwordx2 v[109:110], v[107:108]
	s_waitcnt vmcnt(0) lgkmcnt(0)
	buffer_store_dword v110, off, s[0:3], 0 offset:428
	buffer_store_dword v109, off, s[0:3], 0 offset:424
	s_cbranch_scc1 .LBB117_228
; %bb.4:
	v_cmp_eq_u32_e64 s[4:5], 0, v0
	s_and_saveexec_b64 s[8:9], s[4:5]
; %bb.5:
	v_mov_b32_e32 v109, 0
	ds_write_b32 v109, v109 offset:864
; %bb.6:
	s_or_b64 exec, exec, s[8:9]
	v_mov_b32_e32 v109, 0
	v_lshl_add_u32 v113, v0, 3, v109
	s_waitcnt lgkmcnt(0)
	; wave barrier
	buffer_load_dword v109, v113, s[0:3], 0 offen
	buffer_load_dword v110, v113, s[0:3], 0 offen offset:4
	s_waitcnt vmcnt(1)
	v_cmp_eq_f32_e32 vcc, 0, v109
	s_waitcnt vmcnt(0)
	v_cmp_eq_f32_e64 s[8:9], 0, v110
	s_and_b64 s[8:9], vcc, s[8:9]
	s_and_saveexec_b64 s[16:17], s[8:9]
	s_cbranch_execz .LBB117_10
; %bb.7:
	v_mov_b32_e32 v109, 0
	ds_read_b32 v112, v109 offset:864
	v_add_u32_e32 v110, 1, v0
	s_waitcnt lgkmcnt(0)
	v_readfirstlane_b32 s8, v112
	s_cmp_eq_u32 s8, 0
	s_cselect_b64 s[18:19], -1, 0
	v_cmp_gt_i32_e32 vcc, s8, v110
	s_or_b64 s[18:19], s[18:19], vcc
	s_and_b64 exec, exec, s[18:19]
	s_cbranch_execz .LBB117_10
; %bb.8:
	s_mov_b64 s[18:19], 0
	v_mov_b32_e32 v112, s8
.LBB117_9:                              ; =>This Inner Loop Header: Depth=1
	ds_cmpst_rtn_b32 v112, v109, v112, v110 offset:864
	s_waitcnt lgkmcnt(0)
	v_cmp_ne_u32_e32 vcc, 0, v112
	v_cmp_le_i32_e64 s[8:9], v112, v110
	s_and_b64 s[8:9], vcc, s[8:9]
	s_and_b64 s[8:9], exec, s[8:9]
	s_or_b64 s[18:19], s[8:9], s[18:19]
	s_andn2_b64 exec, exec, s[18:19]
	s_cbranch_execnz .LBB117_9
.LBB117_10:
	s_or_b64 exec, exec, s[16:17]
	v_mov_b32_e32 v110, 0
	; wave barrier
	ds_read_b32 v109, v110 offset:864
	s_and_saveexec_b64 s[8:9], s[4:5]
	s_cbranch_execz .LBB117_12
; %bb.11:
	s_lshl_b64 s[16:17], s[6:7], 2
	s_add_u32 s16, s10, s16
	s_addc_u32 s17, s11, s17
	s_waitcnt lgkmcnt(0)
	global_store_dword v110, v109, s[16:17]
.LBB117_12:
	s_or_b64 exec, exec, s[8:9]
	s_waitcnt lgkmcnt(0)
	v_cmp_ne_u32_e32 vcc, 0, v109
	s_mov_b64 s[8:9], 0
	s_cbranch_vccnz .LBB117_228
; %bb.13:
	buffer_load_dword v110, v113, s[0:3], 0 offen
	buffer_load_dword v112, v113, s[0:3], 0 offen offset:4
                                        ; implicit-def: $vgpr115
                                        ; implicit-def: $vgpr114
                                        ; implicit-def: $vgpr109
	s_waitcnt vmcnt(0)
	v_cmp_ngt_f32_e64 s[8:9], |v110|, |v112|
	s_and_saveexec_b64 s[16:17], s[8:9]
	s_xor_b64 s[8:9], exec, s[16:17]
	s_cbranch_execz .LBB117_15
; %bb.14:
	v_div_scale_f32 v109, s[16:17], v112, v112, v110
	v_div_scale_f32 v114, vcc, v110, v112, v110
	v_rcp_f32_e32 v115, v109
	v_fma_f32 v116, -v109, v115, 1.0
	v_fmac_f32_e32 v115, v116, v115
	v_mul_f32_e32 v116, v114, v115
	v_fma_f32 v117, -v109, v116, v114
	v_fmac_f32_e32 v116, v117, v115
	v_fma_f32 v109, -v109, v116, v114
	v_div_fmas_f32 v109, v109, v115, v116
	v_div_fixup_f32 v109, v109, v112, v110
	v_fmac_f32_e32 v112, v110, v109
	v_div_scale_f32 v110, s[16:17], v112, v112, 1.0
	v_div_scale_f32 v114, vcc, 1.0, v112, 1.0
	v_rcp_f32_e32 v115, v110
	v_fma_f32 v116, -v110, v115, 1.0
	v_fmac_f32_e32 v115, v116, v115
	v_mul_f32_e32 v116, v114, v115
	v_fma_f32 v117, -v110, v116, v114
	v_fmac_f32_e32 v116, v117, v115
	v_fma_f32 v110, -v110, v116, v114
	v_div_fmas_f32 v110, v110, v115, v116
	v_div_fixup_f32 v110, v110, v112, 1.0
	v_mul_f32_e32 v115, v109, v110
	v_xor_b32_e32 v114, 0x80000000, v110
	v_xor_b32_e32 v109, 0x80000000, v115
                                        ; implicit-def: $vgpr110
                                        ; implicit-def: $vgpr112
.LBB117_15:
	s_andn2_saveexec_b64 s[8:9], s[8:9]
	s_cbranch_execz .LBB117_17
; %bb.16:
	v_div_scale_f32 v109, s[16:17], v110, v110, v112
	v_div_scale_f32 v114, vcc, v112, v110, v112
	v_rcp_f32_e32 v115, v109
	v_fma_f32 v116, -v109, v115, 1.0
	v_fmac_f32_e32 v115, v116, v115
	v_mul_f32_e32 v116, v114, v115
	v_fma_f32 v117, -v109, v116, v114
	v_fmac_f32_e32 v116, v117, v115
	v_fma_f32 v109, -v109, v116, v114
	v_div_fmas_f32 v109, v109, v115, v116
	v_div_fixup_f32 v114, v109, v110, v112
	v_fmac_f32_e32 v110, v112, v114
	v_div_scale_f32 v109, s[16:17], v110, v110, 1.0
	v_div_scale_f32 v112, vcc, 1.0, v110, 1.0
	v_rcp_f32_e32 v115, v109
	v_fma_f32 v116, -v109, v115, 1.0
	v_fmac_f32_e32 v115, v116, v115
	v_mul_f32_e32 v116, v112, v115
	v_fma_f32 v117, -v109, v116, v112
	v_fmac_f32_e32 v116, v117, v115
	v_fma_f32 v109, -v109, v116, v112
	v_div_fmas_f32 v109, v109, v115, v116
	v_div_fixup_f32 v115, v109, v110, 1.0
	v_xor_b32_e32 v109, 0x80000000, v115
	v_mul_f32_e64 v114, v114, -v115
.LBB117_17:
	s_or_b64 exec, exec, s[8:9]
	buffer_store_dword v115, v113, s[0:3], 0 offen
	buffer_store_dword v114, v113, s[0:3], 0 offen offset:4
	buffer_load_dword v116, off, s[0:3], 0 offset:12
	s_nop 0
	buffer_load_dword v115, off, s[0:3], 0 offset:8
	v_xor_b32_e32 v110, 0x80000000, v114
	v_add_u32_e32 v112, 0x1b0, v111
	s_waitcnt vmcnt(0)
	ds_write2_b64 v111, v[109:110], v[115:116] offset1:54
	s_waitcnt lgkmcnt(0)
	; wave barrier
	s_and_saveexec_b64 s[8:9], s[4:5]
	s_cbranch_execz .LBB117_19
; %bb.18:
	buffer_load_dword v116, v113, s[0:3], 0 offen offset:4
	buffer_load_dword v117, v113, s[0:3], 0 offen
	ds_read_b64 v[109:110], v112
	v_mov_b32_e32 v114, 0
	ds_read_b64 v[114:115], v114 offset:8
	s_waitcnt vmcnt(1) lgkmcnt(1)
	v_mul_f32_e32 v118, v110, v116
	v_mul_f32_e32 v116, v109, v116
	s_waitcnt vmcnt(0)
	v_fmac_f32_e32 v116, v110, v117
	v_fma_f32 v109, v109, v117, -v118
	v_add_f32_e32 v110, 0, v116
	v_add_f32_e32 v109, 0, v109
	s_waitcnt lgkmcnt(0)
	v_mul_f32_e32 v116, v110, v115
	v_mul_f32_e32 v115, v109, v115
	v_fma_f32 v109, v109, v114, -v116
	v_fmac_f32_e32 v115, v110, v114
	buffer_store_dword v109, off, s[0:3], 0 offset:8
	buffer_store_dword v115, off, s[0:3], 0 offset:12
.LBB117_19:
	s_or_b64 exec, exec, s[8:9]
	; wave barrier
	buffer_load_dword v109, off, s[0:3], 0 offset:16
	buffer_load_dword v110, off, s[0:3], 0 offset:20
	v_cmp_gt_u32_e32 vcc, 2, v0
	s_waitcnt vmcnt(0)
	ds_write_b64 v112, v[109:110]
	s_waitcnt lgkmcnt(0)
	; wave barrier
	s_and_saveexec_b64 s[8:9], vcc
	s_cbranch_execz .LBB117_23
; %bb.20:
	buffer_load_dword v114, v113, s[0:3], 0 offen offset:4
	buffer_load_dword v115, v113, s[0:3], 0 offen
	ds_read_b64 v[109:110], v112
	s_waitcnt vmcnt(1) lgkmcnt(0)
	v_mul_f32_e32 v113, v110, v114
	v_mul_f32_e32 v114, v109, v114
	s_waitcnt vmcnt(0)
	v_fma_f32 v109, v109, v115, -v113
	v_fmac_f32_e32 v114, v110, v115
	v_add_f32_e32 v110, 0, v109
	v_add_f32_e32 v109, 0, v114
	s_and_saveexec_b64 s[16:17], s[4:5]
	s_cbranch_execz .LBB117_22
; %bb.21:
	buffer_load_dword v115, off, s[0:3], 0 offset:12
	buffer_load_dword v116, off, s[0:3], 0 offset:8
	v_mov_b32_e32 v113, 0
	ds_read_b64 v[113:114], v113 offset:440
	s_waitcnt vmcnt(1) lgkmcnt(0)
	v_mul_f32_e32 v117, v113, v115
	v_mul_f32_e32 v115, v114, v115
	s_waitcnt vmcnt(0)
	v_fmac_f32_e32 v117, v114, v116
	v_fma_f32 v113, v113, v116, -v115
	v_add_f32_e32 v109, v109, v117
	v_add_f32_e32 v110, v110, v113
.LBB117_22:
	s_or_b64 exec, exec, s[16:17]
	v_mov_b32_e32 v113, 0
	ds_read_b64 v[113:114], v113 offset:16
	s_waitcnt lgkmcnt(0)
	v_mul_f32_e32 v115, v109, v114
	v_mul_f32_e32 v114, v110, v114
	v_fma_f32 v110, v110, v113, -v115
	v_fmac_f32_e32 v114, v109, v113
	buffer_store_dword v110, off, s[0:3], 0 offset:16
	buffer_store_dword v114, off, s[0:3], 0 offset:20
.LBB117_23:
	s_or_b64 exec, exec, s[8:9]
	; wave barrier
	buffer_load_dword v109, off, s[0:3], 0 offset:24
	buffer_load_dword v110, off, s[0:3], 0 offset:28
	v_cmp_gt_u32_e32 vcc, 3, v0
	s_waitcnt vmcnt(0)
	ds_write_b64 v112, v[109:110]
	v_add_u32_e32 v109, -1, v0
	s_waitcnt lgkmcnt(0)
	; wave barrier
	s_and_saveexec_b64 s[4:5], vcc
	s_cbranch_execz .LBB117_27
; %bb.24:
	v_add_u32_e32 v113, -1, v0
	v_add_u32_e32 v114, 0x1b0, v111
	v_mov_b32_e32 v115, v111
	v_mov_b32_e32 v110, 0
	s_mov_b64 s[8:9], 0
	v_mov_b32_e32 v116, 0
.LBB117_25:                             ; =>This Inner Loop Header: Depth=1
	buffer_load_dword v119, v115, s[0:3], 0 offen offset:4
	buffer_load_dword v120, v115, s[0:3], 0 offen
	ds_read_b64 v[117:118], v114
	v_add_u32_e32 v113, 1, v113
	v_cmp_lt_u32_e32 vcc, 1, v113
	v_add_u32_e32 v114, 8, v114
	v_add_u32_e32 v115, 8, v115
	s_or_b64 s[8:9], vcc, s[8:9]
	s_waitcnt vmcnt(1) lgkmcnt(0)
	v_mul_f32_e32 v121, v118, v119
	v_mul_f32_e32 v119, v117, v119
	s_waitcnt vmcnt(0)
	v_fma_f32 v117, v117, v120, -v121
	v_fmac_f32_e32 v119, v118, v120
	v_add_f32_e32 v116, v116, v117
	v_add_f32_e32 v110, v110, v119
	s_andn2_b64 exec, exec, s[8:9]
	s_cbranch_execnz .LBB117_25
; %bb.26:
	s_or_b64 exec, exec, s[8:9]
	v_mov_b32_e32 v113, 0
	ds_read_b64 v[113:114], v113 offset:24
	s_waitcnt lgkmcnt(0)
	v_mul_f32_e32 v115, v110, v114
	v_mul_f32_e32 v114, v116, v114
	v_fma_f32 v115, v116, v113, -v115
	v_fmac_f32_e32 v114, v110, v113
	buffer_store_dword v115, off, s[0:3], 0 offset:24
	buffer_store_dword v114, off, s[0:3], 0 offset:28
.LBB117_27:
	s_or_b64 exec, exec, s[4:5]
	; wave barrier
	buffer_load_dword v113, off, s[0:3], 0 offset:32
	buffer_load_dword v114, off, s[0:3], 0 offset:36
	v_cmp_gt_u32_e32 vcc, 4, v0
	s_waitcnt vmcnt(0)
	ds_write_b64 v112, v[113:114]
	s_waitcnt lgkmcnt(0)
	; wave barrier
	s_and_saveexec_b64 s[4:5], vcc
	s_cbranch_execz .LBB117_31
; %bb.28:
	v_add_u32_e32 v113, -1, v0
	v_add_u32_e32 v114, 0x1b0, v111
	v_mov_b32_e32 v115, v111
	v_mov_b32_e32 v110, 0
	s_mov_b64 s[8:9], 0
	v_mov_b32_e32 v116, 0
.LBB117_29:                             ; =>This Inner Loop Header: Depth=1
	buffer_load_dword v119, v115, s[0:3], 0 offen offset:4
	buffer_load_dword v120, v115, s[0:3], 0 offen
	ds_read_b64 v[117:118], v114
	v_add_u32_e32 v113, 1, v113
	v_cmp_lt_u32_e32 vcc, 2, v113
	v_add_u32_e32 v114, 8, v114
	v_add_u32_e32 v115, 8, v115
	s_or_b64 s[8:9], vcc, s[8:9]
	s_waitcnt vmcnt(1) lgkmcnt(0)
	v_mul_f32_e32 v121, v118, v119
	v_mul_f32_e32 v119, v117, v119
	s_waitcnt vmcnt(0)
	v_fma_f32 v117, v117, v120, -v121
	v_fmac_f32_e32 v119, v118, v120
	v_add_f32_e32 v116, v116, v117
	v_add_f32_e32 v110, v110, v119
	s_andn2_b64 exec, exec, s[8:9]
	s_cbranch_execnz .LBB117_29
; %bb.30:
	s_or_b64 exec, exec, s[8:9]
	v_mov_b32_e32 v113, 0
	ds_read_b64 v[113:114], v113 offset:32
	s_waitcnt lgkmcnt(0)
	v_mul_f32_e32 v115, v110, v114
	v_mul_f32_e32 v114, v116, v114
	v_fma_f32 v115, v116, v113, -v115
	v_fmac_f32_e32 v114, v110, v113
	buffer_store_dword v115, off, s[0:3], 0 offset:32
	buffer_store_dword v114, off, s[0:3], 0 offset:36
.LBB117_31:
	s_or_b64 exec, exec, s[4:5]
	; wave barrier
	buffer_load_dword v113, off, s[0:3], 0 offset:40
	buffer_load_dword v114, off, s[0:3], 0 offset:44
	v_cmp_gt_u32_e32 vcc, 5, v0
	s_waitcnt vmcnt(0)
	ds_write_b64 v112, v[113:114]
	;; [unrolled: 49-line block ×19, first 2 shown]
	s_waitcnt lgkmcnt(0)
	; wave barrier
	s_and_saveexec_b64 s[4:5], vcc
	s_cbranch_execz .LBB117_103
; %bb.100:
	v_add_u32_e32 v113, -1, v0
	v_add_u32_e32 v114, 0x1b0, v111
	v_mov_b32_e32 v115, v111
	v_mov_b32_e32 v110, 0
	s_mov_b64 s[8:9], 0
	v_mov_b32_e32 v116, 0
.LBB117_101:                            ; =>This Inner Loop Header: Depth=1
	buffer_load_dword v119, v115, s[0:3], 0 offen offset:4
	buffer_load_dword v120, v115, s[0:3], 0 offen
	ds_read_b64 v[117:118], v114
	v_add_u32_e32 v113, 1, v113
	v_cmp_lt_u32_e32 vcc, 20, v113
	v_add_u32_e32 v114, 8, v114
	v_add_u32_e32 v115, 8, v115
	s_or_b64 s[8:9], vcc, s[8:9]
	s_waitcnt vmcnt(1) lgkmcnt(0)
	v_mul_f32_e32 v121, v118, v119
	v_mul_f32_e32 v119, v117, v119
	s_waitcnt vmcnt(0)
	v_fma_f32 v117, v117, v120, -v121
	v_fmac_f32_e32 v119, v118, v120
	v_add_f32_e32 v116, v116, v117
	v_add_f32_e32 v110, v110, v119
	s_andn2_b64 exec, exec, s[8:9]
	s_cbranch_execnz .LBB117_101
; %bb.102:
	s_or_b64 exec, exec, s[8:9]
	v_mov_b32_e32 v113, 0
	ds_read_b64 v[113:114], v113 offset:176
	s_waitcnt lgkmcnt(0)
	v_mul_f32_e32 v115, v110, v114
	v_mul_f32_e32 v114, v116, v114
	v_fma_f32 v115, v116, v113, -v115
	v_fmac_f32_e32 v114, v110, v113
	buffer_store_dword v115, off, s[0:3], 0 offset:176
	buffer_store_dword v114, off, s[0:3], 0 offset:180
.LBB117_103:
	s_or_b64 exec, exec, s[4:5]
	; wave barrier
	buffer_load_dword v113, off, s[0:3], 0 offset:184
	buffer_load_dword v114, off, s[0:3], 0 offset:188
	v_cmp_gt_u32_e32 vcc, 23, v0
	s_waitcnt vmcnt(0)
	ds_write_b64 v112, v[113:114]
	s_waitcnt lgkmcnt(0)
	; wave barrier
	s_and_saveexec_b64 s[4:5], vcc
	s_cbranch_execz .LBB117_107
; %bb.104:
	v_add_u32_e32 v113, -1, v0
	v_add_u32_e32 v114, 0x1b0, v111
	v_mov_b32_e32 v115, v111
	v_mov_b32_e32 v110, 0
	s_mov_b64 s[8:9], 0
	v_mov_b32_e32 v116, 0
.LBB117_105:                            ; =>This Inner Loop Header: Depth=1
	buffer_load_dword v119, v115, s[0:3], 0 offen offset:4
	buffer_load_dword v120, v115, s[0:3], 0 offen
	ds_read_b64 v[117:118], v114
	v_add_u32_e32 v113, 1, v113
	v_cmp_lt_u32_e32 vcc, 21, v113
	v_add_u32_e32 v114, 8, v114
	v_add_u32_e32 v115, 8, v115
	s_or_b64 s[8:9], vcc, s[8:9]
	s_waitcnt vmcnt(1) lgkmcnt(0)
	v_mul_f32_e32 v121, v118, v119
	v_mul_f32_e32 v119, v117, v119
	s_waitcnt vmcnt(0)
	v_fma_f32 v117, v117, v120, -v121
	v_fmac_f32_e32 v119, v118, v120
	v_add_f32_e32 v116, v116, v117
	v_add_f32_e32 v110, v110, v119
	s_andn2_b64 exec, exec, s[8:9]
	s_cbranch_execnz .LBB117_105
; %bb.106:
	s_or_b64 exec, exec, s[8:9]
	v_mov_b32_e32 v113, 0
	ds_read_b64 v[113:114], v113 offset:184
	s_waitcnt lgkmcnt(0)
	v_mul_f32_e32 v115, v110, v114
	v_mul_f32_e32 v114, v116, v114
	v_fma_f32 v115, v116, v113, -v115
	v_fmac_f32_e32 v114, v110, v113
	buffer_store_dword v115, off, s[0:3], 0 offset:184
	buffer_store_dword v114, off, s[0:3], 0 offset:188
.LBB117_107:
	s_or_b64 exec, exec, s[4:5]
	; wave barrier
	buffer_load_dword v113, off, s[0:3], 0 offset:192
	buffer_load_dword v114, off, s[0:3], 0 offset:196
	v_cmp_gt_u32_e32 vcc, 24, v0
	s_waitcnt vmcnt(0)
	ds_write_b64 v112, v[113:114]
	s_waitcnt lgkmcnt(0)
	; wave barrier
	s_and_saveexec_b64 s[4:5], vcc
	s_cbranch_execz .LBB117_111
; %bb.108:
	v_add_u32_e32 v113, -1, v0
	v_add_u32_e32 v114, 0x1b0, v111
	v_mov_b32_e32 v115, v111
	v_mov_b32_e32 v110, 0
	s_mov_b64 s[8:9], 0
	v_mov_b32_e32 v116, 0
.LBB117_109:                            ; =>This Inner Loop Header: Depth=1
	buffer_load_dword v119, v115, s[0:3], 0 offen offset:4
	buffer_load_dword v120, v115, s[0:3], 0 offen
	ds_read_b64 v[117:118], v114
	v_add_u32_e32 v113, 1, v113
	v_cmp_lt_u32_e32 vcc, 22, v113
	v_add_u32_e32 v114, 8, v114
	v_add_u32_e32 v115, 8, v115
	s_or_b64 s[8:9], vcc, s[8:9]
	s_waitcnt vmcnt(1) lgkmcnt(0)
	v_mul_f32_e32 v121, v118, v119
	v_mul_f32_e32 v119, v117, v119
	s_waitcnt vmcnt(0)
	v_fma_f32 v117, v117, v120, -v121
	v_fmac_f32_e32 v119, v118, v120
	v_add_f32_e32 v116, v116, v117
	v_add_f32_e32 v110, v110, v119
	s_andn2_b64 exec, exec, s[8:9]
	s_cbranch_execnz .LBB117_109
; %bb.110:
	s_or_b64 exec, exec, s[8:9]
	v_mov_b32_e32 v113, 0
	ds_read_b64 v[113:114], v113 offset:192
	s_waitcnt lgkmcnt(0)
	v_mul_f32_e32 v115, v110, v114
	v_mul_f32_e32 v114, v116, v114
	v_fma_f32 v115, v116, v113, -v115
	v_fmac_f32_e32 v114, v110, v113
	buffer_store_dword v115, off, s[0:3], 0 offset:192
	buffer_store_dword v114, off, s[0:3], 0 offset:196
.LBB117_111:
	s_or_b64 exec, exec, s[4:5]
	; wave barrier
	buffer_load_dword v113, off, s[0:3], 0 offset:200
	buffer_load_dword v114, off, s[0:3], 0 offset:204
	v_cmp_gt_u32_e32 vcc, 25, v0
	s_waitcnt vmcnt(0)
	ds_write_b64 v112, v[113:114]
	s_waitcnt lgkmcnt(0)
	; wave barrier
	s_and_saveexec_b64 s[4:5], vcc
	s_cbranch_execz .LBB117_115
; %bb.112:
	v_add_u32_e32 v113, -1, v0
	v_add_u32_e32 v114, 0x1b0, v111
	v_mov_b32_e32 v115, v111
	v_mov_b32_e32 v110, 0
	s_mov_b64 s[8:9], 0
	v_mov_b32_e32 v116, 0
.LBB117_113:                            ; =>This Inner Loop Header: Depth=1
	buffer_load_dword v119, v115, s[0:3], 0 offen offset:4
	buffer_load_dword v120, v115, s[0:3], 0 offen
	ds_read_b64 v[117:118], v114
	v_add_u32_e32 v113, 1, v113
	v_cmp_lt_u32_e32 vcc, 23, v113
	v_add_u32_e32 v114, 8, v114
	v_add_u32_e32 v115, 8, v115
	s_or_b64 s[8:9], vcc, s[8:9]
	s_waitcnt vmcnt(1) lgkmcnt(0)
	v_mul_f32_e32 v121, v118, v119
	v_mul_f32_e32 v119, v117, v119
	s_waitcnt vmcnt(0)
	v_fma_f32 v117, v117, v120, -v121
	v_fmac_f32_e32 v119, v118, v120
	v_add_f32_e32 v116, v116, v117
	v_add_f32_e32 v110, v110, v119
	s_andn2_b64 exec, exec, s[8:9]
	s_cbranch_execnz .LBB117_113
; %bb.114:
	s_or_b64 exec, exec, s[8:9]
	v_mov_b32_e32 v113, 0
	ds_read_b64 v[113:114], v113 offset:200
	s_waitcnt lgkmcnt(0)
	v_mul_f32_e32 v115, v110, v114
	v_mul_f32_e32 v114, v116, v114
	v_fma_f32 v115, v116, v113, -v115
	v_fmac_f32_e32 v114, v110, v113
	buffer_store_dword v115, off, s[0:3], 0 offset:200
	buffer_store_dword v114, off, s[0:3], 0 offset:204
.LBB117_115:
	s_or_b64 exec, exec, s[4:5]
	; wave barrier
	buffer_load_dword v113, off, s[0:3], 0 offset:208
	buffer_load_dword v114, off, s[0:3], 0 offset:212
	v_cmp_gt_u32_e32 vcc, 26, v0
	s_waitcnt vmcnt(0)
	ds_write_b64 v112, v[113:114]
	s_waitcnt lgkmcnt(0)
	; wave barrier
	s_and_saveexec_b64 s[4:5], vcc
	s_cbranch_execz .LBB117_119
; %bb.116:
	v_add_u32_e32 v113, -1, v0
	v_add_u32_e32 v114, 0x1b0, v111
	v_mov_b32_e32 v115, v111
	v_mov_b32_e32 v110, 0
	s_mov_b64 s[8:9], 0
	v_mov_b32_e32 v116, 0
.LBB117_117:                            ; =>This Inner Loop Header: Depth=1
	buffer_load_dword v119, v115, s[0:3], 0 offen offset:4
	buffer_load_dword v120, v115, s[0:3], 0 offen
	ds_read_b64 v[117:118], v114
	v_add_u32_e32 v113, 1, v113
	v_cmp_lt_u32_e32 vcc, 24, v113
	v_add_u32_e32 v114, 8, v114
	v_add_u32_e32 v115, 8, v115
	s_or_b64 s[8:9], vcc, s[8:9]
	s_waitcnt vmcnt(1) lgkmcnt(0)
	v_mul_f32_e32 v121, v118, v119
	v_mul_f32_e32 v119, v117, v119
	s_waitcnt vmcnt(0)
	v_fma_f32 v117, v117, v120, -v121
	v_fmac_f32_e32 v119, v118, v120
	v_add_f32_e32 v116, v116, v117
	v_add_f32_e32 v110, v110, v119
	s_andn2_b64 exec, exec, s[8:9]
	s_cbranch_execnz .LBB117_117
; %bb.118:
	s_or_b64 exec, exec, s[8:9]
	v_mov_b32_e32 v113, 0
	ds_read_b64 v[113:114], v113 offset:208
	s_waitcnt lgkmcnt(0)
	v_mul_f32_e32 v115, v110, v114
	v_mul_f32_e32 v114, v116, v114
	v_fma_f32 v115, v116, v113, -v115
	v_fmac_f32_e32 v114, v110, v113
	buffer_store_dword v115, off, s[0:3], 0 offset:208
	buffer_store_dword v114, off, s[0:3], 0 offset:212
.LBB117_119:
	s_or_b64 exec, exec, s[4:5]
	; wave barrier
	buffer_load_dword v113, off, s[0:3], 0 offset:216
	buffer_load_dword v114, off, s[0:3], 0 offset:220
	v_cmp_gt_u32_e32 vcc, 27, v0
	s_waitcnt vmcnt(0)
	ds_write_b64 v112, v[113:114]
	s_waitcnt lgkmcnt(0)
	; wave barrier
	s_and_saveexec_b64 s[4:5], vcc
	s_cbranch_execz .LBB117_123
; %bb.120:
	v_add_u32_e32 v113, -1, v0
	v_add_u32_e32 v114, 0x1b0, v111
	v_mov_b32_e32 v115, v111
	v_mov_b32_e32 v110, 0
	s_mov_b64 s[8:9], 0
	v_mov_b32_e32 v116, 0
.LBB117_121:                            ; =>This Inner Loop Header: Depth=1
	buffer_load_dword v119, v115, s[0:3], 0 offen offset:4
	buffer_load_dword v120, v115, s[0:3], 0 offen
	ds_read_b64 v[117:118], v114
	v_add_u32_e32 v113, 1, v113
	v_cmp_lt_u32_e32 vcc, 25, v113
	v_add_u32_e32 v114, 8, v114
	v_add_u32_e32 v115, 8, v115
	s_or_b64 s[8:9], vcc, s[8:9]
	s_waitcnt vmcnt(1) lgkmcnt(0)
	v_mul_f32_e32 v121, v118, v119
	v_mul_f32_e32 v119, v117, v119
	s_waitcnt vmcnt(0)
	v_fma_f32 v117, v117, v120, -v121
	v_fmac_f32_e32 v119, v118, v120
	v_add_f32_e32 v116, v116, v117
	v_add_f32_e32 v110, v110, v119
	s_andn2_b64 exec, exec, s[8:9]
	s_cbranch_execnz .LBB117_121
; %bb.122:
	s_or_b64 exec, exec, s[8:9]
	v_mov_b32_e32 v113, 0
	ds_read_b64 v[113:114], v113 offset:216
	s_waitcnt lgkmcnt(0)
	v_mul_f32_e32 v115, v110, v114
	v_mul_f32_e32 v114, v116, v114
	v_fma_f32 v115, v116, v113, -v115
	v_fmac_f32_e32 v114, v110, v113
	buffer_store_dword v115, off, s[0:3], 0 offset:216
	buffer_store_dword v114, off, s[0:3], 0 offset:220
.LBB117_123:
	s_or_b64 exec, exec, s[4:5]
	; wave barrier
	buffer_load_dword v113, off, s[0:3], 0 offset:224
	buffer_load_dword v114, off, s[0:3], 0 offset:228
	v_cmp_gt_u32_e32 vcc, 28, v0
	s_waitcnt vmcnt(0)
	ds_write_b64 v112, v[113:114]
	s_waitcnt lgkmcnt(0)
	; wave barrier
	s_and_saveexec_b64 s[4:5], vcc
	s_cbranch_execz .LBB117_127
; %bb.124:
	v_add_u32_e32 v113, -1, v0
	v_add_u32_e32 v114, 0x1b0, v111
	v_mov_b32_e32 v115, v111
	v_mov_b32_e32 v110, 0
	s_mov_b64 s[8:9], 0
	v_mov_b32_e32 v116, 0
.LBB117_125:                            ; =>This Inner Loop Header: Depth=1
	buffer_load_dword v119, v115, s[0:3], 0 offen offset:4
	buffer_load_dword v120, v115, s[0:3], 0 offen
	ds_read_b64 v[117:118], v114
	v_add_u32_e32 v113, 1, v113
	v_cmp_lt_u32_e32 vcc, 26, v113
	v_add_u32_e32 v114, 8, v114
	v_add_u32_e32 v115, 8, v115
	s_or_b64 s[8:9], vcc, s[8:9]
	s_waitcnt vmcnt(1) lgkmcnt(0)
	v_mul_f32_e32 v121, v118, v119
	v_mul_f32_e32 v119, v117, v119
	s_waitcnt vmcnt(0)
	v_fma_f32 v117, v117, v120, -v121
	v_fmac_f32_e32 v119, v118, v120
	v_add_f32_e32 v116, v116, v117
	v_add_f32_e32 v110, v110, v119
	s_andn2_b64 exec, exec, s[8:9]
	s_cbranch_execnz .LBB117_125
; %bb.126:
	s_or_b64 exec, exec, s[8:9]
	v_mov_b32_e32 v113, 0
	ds_read_b64 v[113:114], v113 offset:224
	s_waitcnt lgkmcnt(0)
	v_mul_f32_e32 v115, v110, v114
	v_mul_f32_e32 v114, v116, v114
	v_fma_f32 v115, v116, v113, -v115
	v_fmac_f32_e32 v114, v110, v113
	buffer_store_dword v115, off, s[0:3], 0 offset:224
	buffer_store_dword v114, off, s[0:3], 0 offset:228
.LBB117_127:
	s_or_b64 exec, exec, s[4:5]
	; wave barrier
	buffer_load_dword v113, off, s[0:3], 0 offset:232
	buffer_load_dword v114, off, s[0:3], 0 offset:236
	v_cmp_gt_u32_e32 vcc, 29, v0
	s_waitcnt vmcnt(0)
	ds_write_b64 v112, v[113:114]
	s_waitcnt lgkmcnt(0)
	; wave barrier
	s_and_saveexec_b64 s[4:5], vcc
	s_cbranch_execz .LBB117_131
; %bb.128:
	v_add_u32_e32 v113, -1, v0
	v_add_u32_e32 v114, 0x1b0, v111
	v_mov_b32_e32 v115, v111
	v_mov_b32_e32 v110, 0
	s_mov_b64 s[8:9], 0
	v_mov_b32_e32 v116, 0
.LBB117_129:                            ; =>This Inner Loop Header: Depth=1
	buffer_load_dword v119, v115, s[0:3], 0 offen offset:4
	buffer_load_dword v120, v115, s[0:3], 0 offen
	ds_read_b64 v[117:118], v114
	v_add_u32_e32 v113, 1, v113
	v_cmp_lt_u32_e32 vcc, 27, v113
	v_add_u32_e32 v114, 8, v114
	v_add_u32_e32 v115, 8, v115
	s_or_b64 s[8:9], vcc, s[8:9]
	s_waitcnt vmcnt(1) lgkmcnt(0)
	v_mul_f32_e32 v121, v118, v119
	v_mul_f32_e32 v119, v117, v119
	s_waitcnt vmcnt(0)
	v_fma_f32 v117, v117, v120, -v121
	v_fmac_f32_e32 v119, v118, v120
	v_add_f32_e32 v116, v116, v117
	v_add_f32_e32 v110, v110, v119
	s_andn2_b64 exec, exec, s[8:9]
	s_cbranch_execnz .LBB117_129
; %bb.130:
	s_or_b64 exec, exec, s[8:9]
	v_mov_b32_e32 v113, 0
	ds_read_b64 v[113:114], v113 offset:232
	s_waitcnt lgkmcnt(0)
	v_mul_f32_e32 v115, v110, v114
	v_mul_f32_e32 v114, v116, v114
	v_fma_f32 v115, v116, v113, -v115
	v_fmac_f32_e32 v114, v110, v113
	buffer_store_dword v115, off, s[0:3], 0 offset:232
	buffer_store_dword v114, off, s[0:3], 0 offset:236
.LBB117_131:
	s_or_b64 exec, exec, s[4:5]
	; wave barrier
	buffer_load_dword v113, off, s[0:3], 0 offset:240
	buffer_load_dword v114, off, s[0:3], 0 offset:244
	v_cmp_gt_u32_e32 vcc, 30, v0
	s_waitcnt vmcnt(0)
	ds_write_b64 v112, v[113:114]
	s_waitcnt lgkmcnt(0)
	; wave barrier
	s_and_saveexec_b64 s[4:5], vcc
	s_cbranch_execz .LBB117_135
; %bb.132:
	v_add_u32_e32 v113, -1, v0
	v_add_u32_e32 v114, 0x1b0, v111
	v_mov_b32_e32 v115, v111
	v_mov_b32_e32 v110, 0
	s_mov_b64 s[8:9], 0
	v_mov_b32_e32 v116, 0
.LBB117_133:                            ; =>This Inner Loop Header: Depth=1
	buffer_load_dword v119, v115, s[0:3], 0 offen offset:4
	buffer_load_dword v120, v115, s[0:3], 0 offen
	ds_read_b64 v[117:118], v114
	v_add_u32_e32 v113, 1, v113
	v_cmp_lt_u32_e32 vcc, 28, v113
	v_add_u32_e32 v114, 8, v114
	v_add_u32_e32 v115, 8, v115
	s_or_b64 s[8:9], vcc, s[8:9]
	s_waitcnt vmcnt(1) lgkmcnt(0)
	v_mul_f32_e32 v121, v118, v119
	v_mul_f32_e32 v119, v117, v119
	s_waitcnt vmcnt(0)
	v_fma_f32 v117, v117, v120, -v121
	v_fmac_f32_e32 v119, v118, v120
	v_add_f32_e32 v116, v116, v117
	v_add_f32_e32 v110, v110, v119
	s_andn2_b64 exec, exec, s[8:9]
	s_cbranch_execnz .LBB117_133
; %bb.134:
	s_or_b64 exec, exec, s[8:9]
	v_mov_b32_e32 v113, 0
	ds_read_b64 v[113:114], v113 offset:240
	s_waitcnt lgkmcnt(0)
	v_mul_f32_e32 v115, v110, v114
	v_mul_f32_e32 v114, v116, v114
	v_fma_f32 v115, v116, v113, -v115
	v_fmac_f32_e32 v114, v110, v113
	buffer_store_dword v115, off, s[0:3], 0 offset:240
	buffer_store_dword v114, off, s[0:3], 0 offset:244
.LBB117_135:
	s_or_b64 exec, exec, s[4:5]
	; wave barrier
	buffer_load_dword v113, off, s[0:3], 0 offset:248
	buffer_load_dword v114, off, s[0:3], 0 offset:252
	v_cmp_gt_u32_e32 vcc, 31, v0
	s_waitcnt vmcnt(0)
	ds_write_b64 v112, v[113:114]
	s_waitcnt lgkmcnt(0)
	; wave barrier
	s_and_saveexec_b64 s[4:5], vcc
	s_cbranch_execz .LBB117_139
; %bb.136:
	v_add_u32_e32 v113, -1, v0
	v_add_u32_e32 v114, 0x1b0, v111
	v_mov_b32_e32 v115, v111
	v_mov_b32_e32 v110, 0
	s_mov_b64 s[8:9], 0
	v_mov_b32_e32 v116, 0
.LBB117_137:                            ; =>This Inner Loop Header: Depth=1
	buffer_load_dword v119, v115, s[0:3], 0 offen offset:4
	buffer_load_dword v120, v115, s[0:3], 0 offen
	ds_read_b64 v[117:118], v114
	v_add_u32_e32 v113, 1, v113
	v_cmp_lt_u32_e32 vcc, 29, v113
	v_add_u32_e32 v114, 8, v114
	v_add_u32_e32 v115, 8, v115
	s_or_b64 s[8:9], vcc, s[8:9]
	s_waitcnt vmcnt(1) lgkmcnt(0)
	v_mul_f32_e32 v121, v118, v119
	v_mul_f32_e32 v119, v117, v119
	s_waitcnt vmcnt(0)
	v_fma_f32 v117, v117, v120, -v121
	v_fmac_f32_e32 v119, v118, v120
	v_add_f32_e32 v116, v116, v117
	v_add_f32_e32 v110, v110, v119
	s_andn2_b64 exec, exec, s[8:9]
	s_cbranch_execnz .LBB117_137
; %bb.138:
	s_or_b64 exec, exec, s[8:9]
	v_mov_b32_e32 v113, 0
	ds_read_b64 v[113:114], v113 offset:248
	s_waitcnt lgkmcnt(0)
	v_mul_f32_e32 v115, v110, v114
	v_mul_f32_e32 v114, v116, v114
	v_fma_f32 v115, v116, v113, -v115
	v_fmac_f32_e32 v114, v110, v113
	buffer_store_dword v115, off, s[0:3], 0 offset:248
	buffer_store_dword v114, off, s[0:3], 0 offset:252
.LBB117_139:
	s_or_b64 exec, exec, s[4:5]
	; wave barrier
	buffer_load_dword v113, off, s[0:3], 0 offset:256
	buffer_load_dword v114, off, s[0:3], 0 offset:260
	v_cmp_gt_u32_e32 vcc, 32, v0
	s_waitcnt vmcnt(0)
	ds_write_b64 v112, v[113:114]
	s_waitcnt lgkmcnt(0)
	; wave barrier
	s_and_saveexec_b64 s[4:5], vcc
	s_cbranch_execz .LBB117_143
; %bb.140:
	v_add_u32_e32 v113, -1, v0
	v_add_u32_e32 v114, 0x1b0, v111
	v_mov_b32_e32 v115, v111
	v_mov_b32_e32 v110, 0
	s_mov_b64 s[8:9], 0
	v_mov_b32_e32 v116, 0
.LBB117_141:                            ; =>This Inner Loop Header: Depth=1
	buffer_load_dword v119, v115, s[0:3], 0 offen offset:4
	buffer_load_dword v120, v115, s[0:3], 0 offen
	ds_read_b64 v[117:118], v114
	v_add_u32_e32 v113, 1, v113
	v_cmp_lt_u32_e32 vcc, 30, v113
	v_add_u32_e32 v114, 8, v114
	v_add_u32_e32 v115, 8, v115
	s_or_b64 s[8:9], vcc, s[8:9]
	s_waitcnt vmcnt(1) lgkmcnt(0)
	v_mul_f32_e32 v121, v118, v119
	v_mul_f32_e32 v119, v117, v119
	s_waitcnt vmcnt(0)
	v_fma_f32 v117, v117, v120, -v121
	v_fmac_f32_e32 v119, v118, v120
	v_add_f32_e32 v116, v116, v117
	v_add_f32_e32 v110, v110, v119
	s_andn2_b64 exec, exec, s[8:9]
	s_cbranch_execnz .LBB117_141
; %bb.142:
	s_or_b64 exec, exec, s[8:9]
	v_mov_b32_e32 v113, 0
	ds_read_b64 v[113:114], v113 offset:256
	s_waitcnt lgkmcnt(0)
	v_mul_f32_e32 v115, v110, v114
	v_mul_f32_e32 v114, v116, v114
	v_fma_f32 v115, v116, v113, -v115
	v_fmac_f32_e32 v114, v110, v113
	buffer_store_dword v115, off, s[0:3], 0 offset:256
	buffer_store_dword v114, off, s[0:3], 0 offset:260
.LBB117_143:
	s_or_b64 exec, exec, s[4:5]
	; wave barrier
	buffer_load_dword v113, off, s[0:3], 0 offset:264
	buffer_load_dword v114, off, s[0:3], 0 offset:268
	v_cmp_gt_u32_e32 vcc, 33, v0
	s_waitcnt vmcnt(0)
	ds_write_b64 v112, v[113:114]
	s_waitcnt lgkmcnt(0)
	; wave barrier
	s_and_saveexec_b64 s[4:5], vcc
	s_cbranch_execz .LBB117_147
; %bb.144:
	v_add_u32_e32 v113, -1, v0
	v_add_u32_e32 v114, 0x1b0, v111
	v_mov_b32_e32 v115, v111
	v_mov_b32_e32 v110, 0
	s_mov_b64 s[8:9], 0
	v_mov_b32_e32 v116, 0
.LBB117_145:                            ; =>This Inner Loop Header: Depth=1
	buffer_load_dword v119, v115, s[0:3], 0 offen offset:4
	buffer_load_dword v120, v115, s[0:3], 0 offen
	ds_read_b64 v[117:118], v114
	v_add_u32_e32 v113, 1, v113
	v_cmp_lt_u32_e32 vcc, 31, v113
	v_add_u32_e32 v114, 8, v114
	v_add_u32_e32 v115, 8, v115
	s_or_b64 s[8:9], vcc, s[8:9]
	s_waitcnt vmcnt(1) lgkmcnt(0)
	v_mul_f32_e32 v121, v118, v119
	v_mul_f32_e32 v119, v117, v119
	s_waitcnt vmcnt(0)
	v_fma_f32 v117, v117, v120, -v121
	v_fmac_f32_e32 v119, v118, v120
	v_add_f32_e32 v116, v116, v117
	v_add_f32_e32 v110, v110, v119
	s_andn2_b64 exec, exec, s[8:9]
	s_cbranch_execnz .LBB117_145
; %bb.146:
	s_or_b64 exec, exec, s[8:9]
	v_mov_b32_e32 v113, 0
	ds_read_b64 v[113:114], v113 offset:264
	s_waitcnt lgkmcnt(0)
	v_mul_f32_e32 v115, v110, v114
	v_mul_f32_e32 v114, v116, v114
	v_fma_f32 v115, v116, v113, -v115
	v_fmac_f32_e32 v114, v110, v113
	buffer_store_dword v115, off, s[0:3], 0 offset:264
	buffer_store_dword v114, off, s[0:3], 0 offset:268
.LBB117_147:
	s_or_b64 exec, exec, s[4:5]
	; wave barrier
	buffer_load_dword v113, off, s[0:3], 0 offset:272
	buffer_load_dword v114, off, s[0:3], 0 offset:276
	v_cmp_gt_u32_e32 vcc, 34, v0
	s_waitcnt vmcnt(0)
	ds_write_b64 v112, v[113:114]
	s_waitcnt lgkmcnt(0)
	; wave barrier
	s_and_saveexec_b64 s[4:5], vcc
	s_cbranch_execz .LBB117_151
; %bb.148:
	v_add_u32_e32 v113, -1, v0
	v_add_u32_e32 v114, 0x1b0, v111
	v_mov_b32_e32 v115, v111
	v_mov_b32_e32 v110, 0
	s_mov_b64 s[8:9], 0
	v_mov_b32_e32 v116, 0
.LBB117_149:                            ; =>This Inner Loop Header: Depth=1
	buffer_load_dword v119, v115, s[0:3], 0 offen offset:4
	buffer_load_dword v120, v115, s[0:3], 0 offen
	ds_read_b64 v[117:118], v114
	v_add_u32_e32 v113, 1, v113
	v_cmp_lt_u32_e32 vcc, 32, v113
	v_add_u32_e32 v114, 8, v114
	v_add_u32_e32 v115, 8, v115
	s_or_b64 s[8:9], vcc, s[8:9]
	s_waitcnt vmcnt(1) lgkmcnt(0)
	v_mul_f32_e32 v121, v118, v119
	v_mul_f32_e32 v119, v117, v119
	s_waitcnt vmcnt(0)
	v_fma_f32 v117, v117, v120, -v121
	v_fmac_f32_e32 v119, v118, v120
	v_add_f32_e32 v116, v116, v117
	v_add_f32_e32 v110, v110, v119
	s_andn2_b64 exec, exec, s[8:9]
	s_cbranch_execnz .LBB117_149
; %bb.150:
	s_or_b64 exec, exec, s[8:9]
	v_mov_b32_e32 v113, 0
	ds_read_b64 v[113:114], v113 offset:272
	s_waitcnt lgkmcnt(0)
	v_mul_f32_e32 v115, v110, v114
	v_mul_f32_e32 v114, v116, v114
	v_fma_f32 v115, v116, v113, -v115
	v_fmac_f32_e32 v114, v110, v113
	buffer_store_dword v115, off, s[0:3], 0 offset:272
	buffer_store_dword v114, off, s[0:3], 0 offset:276
.LBB117_151:
	s_or_b64 exec, exec, s[4:5]
	; wave barrier
	buffer_load_dword v113, off, s[0:3], 0 offset:280
	buffer_load_dword v114, off, s[0:3], 0 offset:284
	v_cmp_gt_u32_e32 vcc, 35, v0
	s_waitcnt vmcnt(0)
	ds_write_b64 v112, v[113:114]
	s_waitcnt lgkmcnt(0)
	; wave barrier
	s_and_saveexec_b64 s[4:5], vcc
	s_cbranch_execz .LBB117_155
; %bb.152:
	v_add_u32_e32 v113, -1, v0
	v_add_u32_e32 v114, 0x1b0, v111
	v_mov_b32_e32 v115, v111
	v_mov_b32_e32 v110, 0
	s_mov_b64 s[8:9], 0
	v_mov_b32_e32 v116, 0
.LBB117_153:                            ; =>This Inner Loop Header: Depth=1
	buffer_load_dword v119, v115, s[0:3], 0 offen offset:4
	buffer_load_dword v120, v115, s[0:3], 0 offen
	ds_read_b64 v[117:118], v114
	v_add_u32_e32 v113, 1, v113
	v_cmp_lt_u32_e32 vcc, 33, v113
	v_add_u32_e32 v114, 8, v114
	v_add_u32_e32 v115, 8, v115
	s_or_b64 s[8:9], vcc, s[8:9]
	s_waitcnt vmcnt(1) lgkmcnt(0)
	v_mul_f32_e32 v121, v118, v119
	v_mul_f32_e32 v119, v117, v119
	s_waitcnt vmcnt(0)
	v_fma_f32 v117, v117, v120, -v121
	v_fmac_f32_e32 v119, v118, v120
	v_add_f32_e32 v116, v116, v117
	v_add_f32_e32 v110, v110, v119
	s_andn2_b64 exec, exec, s[8:9]
	s_cbranch_execnz .LBB117_153
; %bb.154:
	s_or_b64 exec, exec, s[8:9]
	v_mov_b32_e32 v113, 0
	ds_read_b64 v[113:114], v113 offset:280
	s_waitcnt lgkmcnt(0)
	v_mul_f32_e32 v115, v110, v114
	v_mul_f32_e32 v114, v116, v114
	v_fma_f32 v115, v116, v113, -v115
	v_fmac_f32_e32 v114, v110, v113
	buffer_store_dword v115, off, s[0:3], 0 offset:280
	buffer_store_dword v114, off, s[0:3], 0 offset:284
.LBB117_155:
	s_or_b64 exec, exec, s[4:5]
	; wave barrier
	buffer_load_dword v113, off, s[0:3], 0 offset:288
	buffer_load_dword v114, off, s[0:3], 0 offset:292
	v_cmp_gt_u32_e32 vcc, 36, v0
	s_waitcnt vmcnt(0)
	ds_write_b64 v112, v[113:114]
	s_waitcnt lgkmcnt(0)
	; wave barrier
	s_and_saveexec_b64 s[4:5], vcc
	s_cbranch_execz .LBB117_159
; %bb.156:
	v_add_u32_e32 v113, -1, v0
	v_add_u32_e32 v114, 0x1b0, v111
	v_mov_b32_e32 v115, v111
	v_mov_b32_e32 v110, 0
	s_mov_b64 s[8:9], 0
	v_mov_b32_e32 v116, 0
.LBB117_157:                            ; =>This Inner Loop Header: Depth=1
	buffer_load_dword v119, v115, s[0:3], 0 offen offset:4
	buffer_load_dword v120, v115, s[0:3], 0 offen
	ds_read_b64 v[117:118], v114
	v_add_u32_e32 v113, 1, v113
	v_cmp_lt_u32_e32 vcc, 34, v113
	v_add_u32_e32 v114, 8, v114
	v_add_u32_e32 v115, 8, v115
	s_or_b64 s[8:9], vcc, s[8:9]
	s_waitcnt vmcnt(1) lgkmcnt(0)
	v_mul_f32_e32 v121, v118, v119
	v_mul_f32_e32 v119, v117, v119
	s_waitcnt vmcnt(0)
	v_fma_f32 v117, v117, v120, -v121
	v_fmac_f32_e32 v119, v118, v120
	v_add_f32_e32 v116, v116, v117
	v_add_f32_e32 v110, v110, v119
	s_andn2_b64 exec, exec, s[8:9]
	s_cbranch_execnz .LBB117_157
; %bb.158:
	s_or_b64 exec, exec, s[8:9]
	v_mov_b32_e32 v113, 0
	ds_read_b64 v[113:114], v113 offset:288
	s_waitcnt lgkmcnt(0)
	v_mul_f32_e32 v115, v110, v114
	v_mul_f32_e32 v114, v116, v114
	v_fma_f32 v115, v116, v113, -v115
	v_fmac_f32_e32 v114, v110, v113
	buffer_store_dword v115, off, s[0:3], 0 offset:288
	buffer_store_dword v114, off, s[0:3], 0 offset:292
.LBB117_159:
	s_or_b64 exec, exec, s[4:5]
	; wave barrier
	buffer_load_dword v113, off, s[0:3], 0 offset:296
	buffer_load_dword v114, off, s[0:3], 0 offset:300
	v_cmp_gt_u32_e32 vcc, 37, v0
	s_waitcnt vmcnt(0)
	ds_write_b64 v112, v[113:114]
	s_waitcnt lgkmcnt(0)
	; wave barrier
	s_and_saveexec_b64 s[4:5], vcc
	s_cbranch_execz .LBB117_163
; %bb.160:
	v_add_u32_e32 v113, -1, v0
	v_add_u32_e32 v114, 0x1b0, v111
	v_mov_b32_e32 v115, v111
	v_mov_b32_e32 v110, 0
	s_mov_b64 s[8:9], 0
	v_mov_b32_e32 v116, 0
.LBB117_161:                            ; =>This Inner Loop Header: Depth=1
	buffer_load_dword v119, v115, s[0:3], 0 offen offset:4
	buffer_load_dword v120, v115, s[0:3], 0 offen
	ds_read_b64 v[117:118], v114
	v_add_u32_e32 v113, 1, v113
	v_cmp_lt_u32_e32 vcc, 35, v113
	v_add_u32_e32 v114, 8, v114
	v_add_u32_e32 v115, 8, v115
	s_or_b64 s[8:9], vcc, s[8:9]
	s_waitcnt vmcnt(1) lgkmcnt(0)
	v_mul_f32_e32 v121, v118, v119
	v_mul_f32_e32 v119, v117, v119
	s_waitcnt vmcnt(0)
	v_fma_f32 v117, v117, v120, -v121
	v_fmac_f32_e32 v119, v118, v120
	v_add_f32_e32 v116, v116, v117
	v_add_f32_e32 v110, v110, v119
	s_andn2_b64 exec, exec, s[8:9]
	s_cbranch_execnz .LBB117_161
; %bb.162:
	s_or_b64 exec, exec, s[8:9]
	v_mov_b32_e32 v113, 0
	ds_read_b64 v[113:114], v113 offset:296
	s_waitcnt lgkmcnt(0)
	v_mul_f32_e32 v115, v110, v114
	v_mul_f32_e32 v114, v116, v114
	v_fma_f32 v115, v116, v113, -v115
	v_fmac_f32_e32 v114, v110, v113
	buffer_store_dword v115, off, s[0:3], 0 offset:296
	buffer_store_dword v114, off, s[0:3], 0 offset:300
.LBB117_163:
	s_or_b64 exec, exec, s[4:5]
	; wave barrier
	buffer_load_dword v113, off, s[0:3], 0 offset:304
	buffer_load_dword v114, off, s[0:3], 0 offset:308
	v_cmp_gt_u32_e32 vcc, 38, v0
	s_waitcnt vmcnt(0)
	ds_write_b64 v112, v[113:114]
	s_waitcnt lgkmcnt(0)
	; wave barrier
	s_and_saveexec_b64 s[4:5], vcc
	s_cbranch_execz .LBB117_167
; %bb.164:
	v_add_u32_e32 v113, -1, v0
	v_add_u32_e32 v114, 0x1b0, v111
	v_mov_b32_e32 v115, v111
	v_mov_b32_e32 v110, 0
	s_mov_b64 s[8:9], 0
	v_mov_b32_e32 v116, 0
.LBB117_165:                            ; =>This Inner Loop Header: Depth=1
	buffer_load_dword v119, v115, s[0:3], 0 offen offset:4
	buffer_load_dword v120, v115, s[0:3], 0 offen
	ds_read_b64 v[117:118], v114
	v_add_u32_e32 v113, 1, v113
	v_cmp_lt_u32_e32 vcc, 36, v113
	v_add_u32_e32 v114, 8, v114
	v_add_u32_e32 v115, 8, v115
	s_or_b64 s[8:9], vcc, s[8:9]
	s_waitcnt vmcnt(1) lgkmcnt(0)
	v_mul_f32_e32 v121, v118, v119
	v_mul_f32_e32 v119, v117, v119
	s_waitcnt vmcnt(0)
	v_fma_f32 v117, v117, v120, -v121
	v_fmac_f32_e32 v119, v118, v120
	v_add_f32_e32 v116, v116, v117
	v_add_f32_e32 v110, v110, v119
	s_andn2_b64 exec, exec, s[8:9]
	s_cbranch_execnz .LBB117_165
; %bb.166:
	s_or_b64 exec, exec, s[8:9]
	v_mov_b32_e32 v113, 0
	ds_read_b64 v[113:114], v113 offset:304
	s_waitcnt lgkmcnt(0)
	v_mul_f32_e32 v115, v110, v114
	v_mul_f32_e32 v114, v116, v114
	v_fma_f32 v115, v116, v113, -v115
	v_fmac_f32_e32 v114, v110, v113
	buffer_store_dword v115, off, s[0:3], 0 offset:304
	buffer_store_dword v114, off, s[0:3], 0 offset:308
.LBB117_167:
	s_or_b64 exec, exec, s[4:5]
	; wave barrier
	buffer_load_dword v113, off, s[0:3], 0 offset:312
	buffer_load_dword v114, off, s[0:3], 0 offset:316
	v_cmp_gt_u32_e32 vcc, 39, v0
	s_waitcnt vmcnt(0)
	ds_write_b64 v112, v[113:114]
	s_waitcnt lgkmcnt(0)
	; wave barrier
	s_and_saveexec_b64 s[4:5], vcc
	s_cbranch_execz .LBB117_171
; %bb.168:
	v_add_u32_e32 v113, -1, v0
	v_add_u32_e32 v114, 0x1b0, v111
	v_mov_b32_e32 v115, v111
	v_mov_b32_e32 v110, 0
	s_mov_b64 s[8:9], 0
	v_mov_b32_e32 v116, 0
.LBB117_169:                            ; =>This Inner Loop Header: Depth=1
	buffer_load_dword v119, v115, s[0:3], 0 offen offset:4
	buffer_load_dword v120, v115, s[0:3], 0 offen
	ds_read_b64 v[117:118], v114
	v_add_u32_e32 v113, 1, v113
	v_cmp_lt_u32_e32 vcc, 37, v113
	v_add_u32_e32 v114, 8, v114
	v_add_u32_e32 v115, 8, v115
	s_or_b64 s[8:9], vcc, s[8:9]
	s_waitcnt vmcnt(1) lgkmcnt(0)
	v_mul_f32_e32 v121, v118, v119
	v_mul_f32_e32 v119, v117, v119
	s_waitcnt vmcnt(0)
	v_fma_f32 v117, v117, v120, -v121
	v_fmac_f32_e32 v119, v118, v120
	v_add_f32_e32 v116, v116, v117
	v_add_f32_e32 v110, v110, v119
	s_andn2_b64 exec, exec, s[8:9]
	s_cbranch_execnz .LBB117_169
; %bb.170:
	s_or_b64 exec, exec, s[8:9]
	v_mov_b32_e32 v113, 0
	ds_read_b64 v[113:114], v113 offset:312
	s_waitcnt lgkmcnt(0)
	v_mul_f32_e32 v115, v110, v114
	v_mul_f32_e32 v114, v116, v114
	v_fma_f32 v115, v116, v113, -v115
	v_fmac_f32_e32 v114, v110, v113
	buffer_store_dword v115, off, s[0:3], 0 offset:312
	buffer_store_dword v114, off, s[0:3], 0 offset:316
.LBB117_171:
	s_or_b64 exec, exec, s[4:5]
	; wave barrier
	buffer_load_dword v113, off, s[0:3], 0 offset:320
	buffer_load_dword v114, off, s[0:3], 0 offset:324
	v_cmp_gt_u32_e32 vcc, 40, v0
	s_waitcnt vmcnt(0)
	ds_write_b64 v112, v[113:114]
	s_waitcnt lgkmcnt(0)
	; wave barrier
	s_and_saveexec_b64 s[4:5], vcc
	s_cbranch_execz .LBB117_175
; %bb.172:
	v_add_u32_e32 v113, -1, v0
	v_add_u32_e32 v114, 0x1b0, v111
	v_mov_b32_e32 v115, v111
	v_mov_b32_e32 v110, 0
	s_mov_b64 s[8:9], 0
	v_mov_b32_e32 v116, 0
.LBB117_173:                            ; =>This Inner Loop Header: Depth=1
	buffer_load_dword v119, v115, s[0:3], 0 offen offset:4
	buffer_load_dword v120, v115, s[0:3], 0 offen
	ds_read_b64 v[117:118], v114
	v_add_u32_e32 v113, 1, v113
	v_cmp_lt_u32_e32 vcc, 38, v113
	v_add_u32_e32 v114, 8, v114
	v_add_u32_e32 v115, 8, v115
	s_or_b64 s[8:9], vcc, s[8:9]
	s_waitcnt vmcnt(1) lgkmcnt(0)
	v_mul_f32_e32 v121, v118, v119
	v_mul_f32_e32 v119, v117, v119
	s_waitcnt vmcnt(0)
	v_fma_f32 v117, v117, v120, -v121
	v_fmac_f32_e32 v119, v118, v120
	v_add_f32_e32 v116, v116, v117
	v_add_f32_e32 v110, v110, v119
	s_andn2_b64 exec, exec, s[8:9]
	s_cbranch_execnz .LBB117_173
; %bb.174:
	s_or_b64 exec, exec, s[8:9]
	v_mov_b32_e32 v113, 0
	ds_read_b64 v[113:114], v113 offset:320
	s_waitcnt lgkmcnt(0)
	v_mul_f32_e32 v115, v110, v114
	v_mul_f32_e32 v114, v116, v114
	v_fma_f32 v115, v116, v113, -v115
	v_fmac_f32_e32 v114, v110, v113
	buffer_store_dword v115, off, s[0:3], 0 offset:320
	buffer_store_dword v114, off, s[0:3], 0 offset:324
.LBB117_175:
	s_or_b64 exec, exec, s[4:5]
	; wave barrier
	buffer_load_dword v113, off, s[0:3], 0 offset:328
	buffer_load_dword v114, off, s[0:3], 0 offset:332
	v_cmp_gt_u32_e32 vcc, 41, v0
	s_waitcnt vmcnt(0)
	ds_write_b64 v112, v[113:114]
	s_waitcnt lgkmcnt(0)
	; wave barrier
	s_and_saveexec_b64 s[4:5], vcc
	s_cbranch_execz .LBB117_179
; %bb.176:
	v_add_u32_e32 v113, -1, v0
	v_add_u32_e32 v114, 0x1b0, v111
	v_mov_b32_e32 v115, v111
	v_mov_b32_e32 v110, 0
	s_mov_b64 s[8:9], 0
	v_mov_b32_e32 v116, 0
.LBB117_177:                            ; =>This Inner Loop Header: Depth=1
	buffer_load_dword v119, v115, s[0:3], 0 offen offset:4
	buffer_load_dword v120, v115, s[0:3], 0 offen
	ds_read_b64 v[117:118], v114
	v_add_u32_e32 v113, 1, v113
	v_cmp_lt_u32_e32 vcc, 39, v113
	v_add_u32_e32 v114, 8, v114
	v_add_u32_e32 v115, 8, v115
	s_or_b64 s[8:9], vcc, s[8:9]
	s_waitcnt vmcnt(1) lgkmcnt(0)
	v_mul_f32_e32 v121, v118, v119
	v_mul_f32_e32 v119, v117, v119
	s_waitcnt vmcnt(0)
	v_fma_f32 v117, v117, v120, -v121
	v_fmac_f32_e32 v119, v118, v120
	v_add_f32_e32 v116, v116, v117
	v_add_f32_e32 v110, v110, v119
	s_andn2_b64 exec, exec, s[8:9]
	s_cbranch_execnz .LBB117_177
; %bb.178:
	s_or_b64 exec, exec, s[8:9]
	v_mov_b32_e32 v113, 0
	ds_read_b64 v[113:114], v113 offset:328
	s_waitcnt lgkmcnt(0)
	v_mul_f32_e32 v115, v110, v114
	v_mul_f32_e32 v114, v116, v114
	v_fma_f32 v115, v116, v113, -v115
	v_fmac_f32_e32 v114, v110, v113
	buffer_store_dword v115, off, s[0:3], 0 offset:328
	buffer_store_dword v114, off, s[0:3], 0 offset:332
.LBB117_179:
	s_or_b64 exec, exec, s[4:5]
	; wave barrier
	buffer_load_dword v113, off, s[0:3], 0 offset:336
	buffer_load_dword v114, off, s[0:3], 0 offset:340
	v_cmp_gt_u32_e32 vcc, 42, v0
	s_waitcnt vmcnt(0)
	ds_write_b64 v112, v[113:114]
	s_waitcnt lgkmcnt(0)
	; wave barrier
	s_and_saveexec_b64 s[4:5], vcc
	s_cbranch_execz .LBB117_183
; %bb.180:
	v_add_u32_e32 v113, -1, v0
	v_add_u32_e32 v114, 0x1b0, v111
	v_mov_b32_e32 v115, v111
	v_mov_b32_e32 v110, 0
	s_mov_b64 s[8:9], 0
	v_mov_b32_e32 v116, 0
.LBB117_181:                            ; =>This Inner Loop Header: Depth=1
	buffer_load_dword v119, v115, s[0:3], 0 offen offset:4
	buffer_load_dword v120, v115, s[0:3], 0 offen
	ds_read_b64 v[117:118], v114
	v_add_u32_e32 v113, 1, v113
	v_cmp_lt_u32_e32 vcc, 40, v113
	v_add_u32_e32 v114, 8, v114
	v_add_u32_e32 v115, 8, v115
	s_or_b64 s[8:9], vcc, s[8:9]
	s_waitcnt vmcnt(1) lgkmcnt(0)
	v_mul_f32_e32 v121, v118, v119
	v_mul_f32_e32 v119, v117, v119
	s_waitcnt vmcnt(0)
	v_fma_f32 v117, v117, v120, -v121
	v_fmac_f32_e32 v119, v118, v120
	v_add_f32_e32 v116, v116, v117
	v_add_f32_e32 v110, v110, v119
	s_andn2_b64 exec, exec, s[8:9]
	s_cbranch_execnz .LBB117_181
; %bb.182:
	s_or_b64 exec, exec, s[8:9]
	v_mov_b32_e32 v113, 0
	ds_read_b64 v[113:114], v113 offset:336
	s_waitcnt lgkmcnt(0)
	v_mul_f32_e32 v115, v110, v114
	v_mul_f32_e32 v114, v116, v114
	v_fma_f32 v115, v116, v113, -v115
	v_fmac_f32_e32 v114, v110, v113
	buffer_store_dword v115, off, s[0:3], 0 offset:336
	buffer_store_dword v114, off, s[0:3], 0 offset:340
.LBB117_183:
	s_or_b64 exec, exec, s[4:5]
	; wave barrier
	buffer_load_dword v113, off, s[0:3], 0 offset:344
	buffer_load_dword v114, off, s[0:3], 0 offset:348
	v_cmp_gt_u32_e32 vcc, 43, v0
	s_waitcnt vmcnt(0)
	ds_write_b64 v112, v[113:114]
	s_waitcnt lgkmcnt(0)
	; wave barrier
	s_and_saveexec_b64 s[4:5], vcc
	s_cbranch_execz .LBB117_187
; %bb.184:
	v_add_u32_e32 v113, -1, v0
	v_add_u32_e32 v114, 0x1b0, v111
	v_mov_b32_e32 v115, v111
	v_mov_b32_e32 v110, 0
	s_mov_b64 s[8:9], 0
	v_mov_b32_e32 v116, 0
.LBB117_185:                            ; =>This Inner Loop Header: Depth=1
	buffer_load_dword v119, v115, s[0:3], 0 offen offset:4
	buffer_load_dword v120, v115, s[0:3], 0 offen
	ds_read_b64 v[117:118], v114
	v_add_u32_e32 v113, 1, v113
	v_cmp_lt_u32_e32 vcc, 41, v113
	v_add_u32_e32 v114, 8, v114
	v_add_u32_e32 v115, 8, v115
	s_or_b64 s[8:9], vcc, s[8:9]
	s_waitcnt vmcnt(1) lgkmcnt(0)
	v_mul_f32_e32 v121, v118, v119
	v_mul_f32_e32 v119, v117, v119
	s_waitcnt vmcnt(0)
	v_fma_f32 v117, v117, v120, -v121
	v_fmac_f32_e32 v119, v118, v120
	v_add_f32_e32 v116, v116, v117
	v_add_f32_e32 v110, v110, v119
	s_andn2_b64 exec, exec, s[8:9]
	s_cbranch_execnz .LBB117_185
; %bb.186:
	s_or_b64 exec, exec, s[8:9]
	v_mov_b32_e32 v113, 0
	ds_read_b64 v[113:114], v113 offset:344
	s_waitcnt lgkmcnt(0)
	v_mul_f32_e32 v115, v110, v114
	v_mul_f32_e32 v114, v116, v114
	v_fma_f32 v115, v116, v113, -v115
	v_fmac_f32_e32 v114, v110, v113
	buffer_store_dword v115, off, s[0:3], 0 offset:344
	buffer_store_dword v114, off, s[0:3], 0 offset:348
.LBB117_187:
	s_or_b64 exec, exec, s[4:5]
	; wave barrier
	buffer_load_dword v113, off, s[0:3], 0 offset:352
	buffer_load_dword v114, off, s[0:3], 0 offset:356
	v_cmp_gt_u32_e32 vcc, 44, v0
	s_waitcnt vmcnt(0)
	ds_write_b64 v112, v[113:114]
	s_waitcnt lgkmcnt(0)
	; wave barrier
	s_and_saveexec_b64 s[4:5], vcc
	s_cbranch_execz .LBB117_191
; %bb.188:
	v_add_u32_e32 v113, -1, v0
	v_add_u32_e32 v114, 0x1b0, v111
	v_mov_b32_e32 v115, v111
	v_mov_b32_e32 v110, 0
	s_mov_b64 s[8:9], 0
	v_mov_b32_e32 v116, 0
.LBB117_189:                            ; =>This Inner Loop Header: Depth=1
	buffer_load_dword v119, v115, s[0:3], 0 offen offset:4
	buffer_load_dword v120, v115, s[0:3], 0 offen
	ds_read_b64 v[117:118], v114
	v_add_u32_e32 v113, 1, v113
	v_cmp_lt_u32_e32 vcc, 42, v113
	v_add_u32_e32 v114, 8, v114
	v_add_u32_e32 v115, 8, v115
	s_or_b64 s[8:9], vcc, s[8:9]
	s_waitcnt vmcnt(1) lgkmcnt(0)
	v_mul_f32_e32 v121, v118, v119
	v_mul_f32_e32 v119, v117, v119
	s_waitcnt vmcnt(0)
	v_fma_f32 v117, v117, v120, -v121
	v_fmac_f32_e32 v119, v118, v120
	v_add_f32_e32 v116, v116, v117
	v_add_f32_e32 v110, v110, v119
	s_andn2_b64 exec, exec, s[8:9]
	s_cbranch_execnz .LBB117_189
; %bb.190:
	s_or_b64 exec, exec, s[8:9]
	v_mov_b32_e32 v113, 0
	ds_read_b64 v[113:114], v113 offset:352
	s_waitcnt lgkmcnt(0)
	v_mul_f32_e32 v115, v110, v114
	v_mul_f32_e32 v114, v116, v114
	v_fma_f32 v115, v116, v113, -v115
	v_fmac_f32_e32 v114, v110, v113
	buffer_store_dword v115, off, s[0:3], 0 offset:352
	buffer_store_dword v114, off, s[0:3], 0 offset:356
.LBB117_191:
	s_or_b64 exec, exec, s[4:5]
	; wave barrier
	buffer_load_dword v113, off, s[0:3], 0 offset:360
	buffer_load_dword v114, off, s[0:3], 0 offset:364
	v_cmp_gt_u32_e32 vcc, 45, v0
	s_waitcnt vmcnt(0)
	ds_write_b64 v112, v[113:114]
	s_waitcnt lgkmcnt(0)
	; wave barrier
	s_and_saveexec_b64 s[4:5], vcc
	s_cbranch_execz .LBB117_195
; %bb.192:
	v_add_u32_e32 v113, -1, v0
	v_add_u32_e32 v114, 0x1b0, v111
	v_mov_b32_e32 v115, v111
	v_mov_b32_e32 v110, 0
	s_mov_b64 s[8:9], 0
	v_mov_b32_e32 v116, 0
.LBB117_193:                            ; =>This Inner Loop Header: Depth=1
	buffer_load_dword v119, v115, s[0:3], 0 offen offset:4
	buffer_load_dword v120, v115, s[0:3], 0 offen
	ds_read_b64 v[117:118], v114
	v_add_u32_e32 v113, 1, v113
	v_cmp_lt_u32_e32 vcc, 43, v113
	v_add_u32_e32 v114, 8, v114
	v_add_u32_e32 v115, 8, v115
	s_or_b64 s[8:9], vcc, s[8:9]
	s_waitcnt vmcnt(1) lgkmcnt(0)
	v_mul_f32_e32 v121, v118, v119
	v_mul_f32_e32 v119, v117, v119
	s_waitcnt vmcnt(0)
	v_fma_f32 v117, v117, v120, -v121
	v_fmac_f32_e32 v119, v118, v120
	v_add_f32_e32 v116, v116, v117
	v_add_f32_e32 v110, v110, v119
	s_andn2_b64 exec, exec, s[8:9]
	s_cbranch_execnz .LBB117_193
; %bb.194:
	s_or_b64 exec, exec, s[8:9]
	v_mov_b32_e32 v113, 0
	ds_read_b64 v[113:114], v113 offset:360
	s_waitcnt lgkmcnt(0)
	v_mul_f32_e32 v115, v110, v114
	v_mul_f32_e32 v114, v116, v114
	v_fma_f32 v115, v116, v113, -v115
	v_fmac_f32_e32 v114, v110, v113
	buffer_store_dword v115, off, s[0:3], 0 offset:360
	buffer_store_dword v114, off, s[0:3], 0 offset:364
.LBB117_195:
	s_or_b64 exec, exec, s[4:5]
	; wave barrier
	buffer_load_dword v113, off, s[0:3], 0 offset:368
	buffer_load_dword v114, off, s[0:3], 0 offset:372
	v_cmp_gt_u32_e32 vcc, 46, v0
	s_waitcnt vmcnt(0)
	ds_write_b64 v112, v[113:114]
	s_waitcnt lgkmcnt(0)
	; wave barrier
	s_and_saveexec_b64 s[4:5], vcc
	s_cbranch_execz .LBB117_199
; %bb.196:
	v_add_u32_e32 v113, -1, v0
	v_add_u32_e32 v114, 0x1b0, v111
	v_mov_b32_e32 v115, v111
	v_mov_b32_e32 v110, 0
	s_mov_b64 s[8:9], 0
	v_mov_b32_e32 v116, 0
.LBB117_197:                            ; =>This Inner Loop Header: Depth=1
	buffer_load_dword v119, v115, s[0:3], 0 offen offset:4
	buffer_load_dword v120, v115, s[0:3], 0 offen
	ds_read_b64 v[117:118], v114
	v_add_u32_e32 v113, 1, v113
	v_cmp_lt_u32_e32 vcc, 44, v113
	v_add_u32_e32 v114, 8, v114
	v_add_u32_e32 v115, 8, v115
	s_or_b64 s[8:9], vcc, s[8:9]
	s_waitcnt vmcnt(1) lgkmcnt(0)
	v_mul_f32_e32 v121, v118, v119
	v_mul_f32_e32 v119, v117, v119
	s_waitcnt vmcnt(0)
	v_fma_f32 v117, v117, v120, -v121
	v_fmac_f32_e32 v119, v118, v120
	v_add_f32_e32 v116, v116, v117
	v_add_f32_e32 v110, v110, v119
	s_andn2_b64 exec, exec, s[8:9]
	s_cbranch_execnz .LBB117_197
; %bb.198:
	s_or_b64 exec, exec, s[8:9]
	v_mov_b32_e32 v113, 0
	ds_read_b64 v[113:114], v113 offset:368
	s_waitcnt lgkmcnt(0)
	v_mul_f32_e32 v115, v110, v114
	v_mul_f32_e32 v114, v116, v114
	v_fma_f32 v115, v116, v113, -v115
	v_fmac_f32_e32 v114, v110, v113
	buffer_store_dword v115, off, s[0:3], 0 offset:368
	buffer_store_dword v114, off, s[0:3], 0 offset:372
.LBB117_199:
	s_or_b64 exec, exec, s[4:5]
	; wave barrier
	buffer_load_dword v113, off, s[0:3], 0 offset:376
	buffer_load_dword v114, off, s[0:3], 0 offset:380
	v_cmp_gt_u32_e32 vcc, 47, v0
	s_waitcnt vmcnt(0)
	ds_write_b64 v112, v[113:114]
	s_waitcnt lgkmcnt(0)
	; wave barrier
	s_and_saveexec_b64 s[4:5], vcc
	s_cbranch_execz .LBB117_203
; %bb.200:
	v_add_u32_e32 v113, -1, v0
	v_add_u32_e32 v114, 0x1b0, v111
	v_mov_b32_e32 v115, v111
	v_mov_b32_e32 v110, 0
	s_mov_b64 s[8:9], 0
	v_mov_b32_e32 v116, 0
.LBB117_201:                            ; =>This Inner Loop Header: Depth=1
	buffer_load_dword v119, v115, s[0:3], 0 offen offset:4
	buffer_load_dword v120, v115, s[0:3], 0 offen
	ds_read_b64 v[117:118], v114
	v_add_u32_e32 v113, 1, v113
	v_cmp_lt_u32_e32 vcc, 45, v113
	v_add_u32_e32 v114, 8, v114
	v_add_u32_e32 v115, 8, v115
	s_or_b64 s[8:9], vcc, s[8:9]
	s_waitcnt vmcnt(1) lgkmcnt(0)
	v_mul_f32_e32 v121, v118, v119
	v_mul_f32_e32 v119, v117, v119
	s_waitcnt vmcnt(0)
	v_fma_f32 v117, v117, v120, -v121
	v_fmac_f32_e32 v119, v118, v120
	v_add_f32_e32 v116, v116, v117
	v_add_f32_e32 v110, v110, v119
	s_andn2_b64 exec, exec, s[8:9]
	s_cbranch_execnz .LBB117_201
; %bb.202:
	s_or_b64 exec, exec, s[8:9]
	v_mov_b32_e32 v113, 0
	ds_read_b64 v[113:114], v113 offset:376
	s_waitcnt lgkmcnt(0)
	v_mul_f32_e32 v115, v110, v114
	v_mul_f32_e32 v114, v116, v114
	v_fma_f32 v115, v116, v113, -v115
	v_fmac_f32_e32 v114, v110, v113
	buffer_store_dword v115, off, s[0:3], 0 offset:376
	buffer_store_dword v114, off, s[0:3], 0 offset:380
.LBB117_203:
	s_or_b64 exec, exec, s[4:5]
	; wave barrier
	buffer_load_dword v113, off, s[0:3], 0 offset:384
	buffer_load_dword v114, off, s[0:3], 0 offset:388
	v_cmp_gt_u32_e32 vcc, 48, v0
	s_waitcnt vmcnt(0)
	ds_write_b64 v112, v[113:114]
	s_waitcnt lgkmcnt(0)
	; wave barrier
	s_and_saveexec_b64 s[4:5], vcc
	s_cbranch_execz .LBB117_207
; %bb.204:
	v_add_u32_e32 v113, -1, v0
	v_add_u32_e32 v114, 0x1b0, v111
	v_mov_b32_e32 v115, v111
	v_mov_b32_e32 v110, 0
	s_mov_b64 s[8:9], 0
	v_mov_b32_e32 v116, 0
.LBB117_205:                            ; =>This Inner Loop Header: Depth=1
	buffer_load_dword v119, v115, s[0:3], 0 offen offset:4
	buffer_load_dword v120, v115, s[0:3], 0 offen
	ds_read_b64 v[117:118], v114
	v_add_u32_e32 v113, 1, v113
	v_cmp_lt_u32_e32 vcc, 46, v113
	v_add_u32_e32 v114, 8, v114
	v_add_u32_e32 v115, 8, v115
	s_or_b64 s[8:9], vcc, s[8:9]
	s_waitcnt vmcnt(1) lgkmcnt(0)
	v_mul_f32_e32 v121, v118, v119
	v_mul_f32_e32 v119, v117, v119
	s_waitcnt vmcnt(0)
	v_fma_f32 v117, v117, v120, -v121
	v_fmac_f32_e32 v119, v118, v120
	v_add_f32_e32 v116, v116, v117
	v_add_f32_e32 v110, v110, v119
	s_andn2_b64 exec, exec, s[8:9]
	s_cbranch_execnz .LBB117_205
; %bb.206:
	s_or_b64 exec, exec, s[8:9]
	v_mov_b32_e32 v113, 0
	ds_read_b64 v[113:114], v113 offset:384
	s_waitcnt lgkmcnt(0)
	v_mul_f32_e32 v115, v110, v114
	v_mul_f32_e32 v114, v116, v114
	v_fma_f32 v115, v116, v113, -v115
	v_fmac_f32_e32 v114, v110, v113
	buffer_store_dword v115, off, s[0:3], 0 offset:384
	buffer_store_dword v114, off, s[0:3], 0 offset:388
.LBB117_207:
	s_or_b64 exec, exec, s[4:5]
	; wave barrier
	buffer_load_dword v113, off, s[0:3], 0 offset:392
	buffer_load_dword v114, off, s[0:3], 0 offset:396
	v_cmp_gt_u32_e32 vcc, 49, v0
	s_waitcnt vmcnt(0)
	ds_write_b64 v112, v[113:114]
	s_waitcnt lgkmcnt(0)
	; wave barrier
	s_and_saveexec_b64 s[4:5], vcc
	s_cbranch_execz .LBB117_211
; %bb.208:
	v_add_u32_e32 v113, -1, v0
	v_add_u32_e32 v114, 0x1b0, v111
	v_mov_b32_e32 v115, v111
	v_mov_b32_e32 v110, 0
	s_mov_b64 s[8:9], 0
	v_mov_b32_e32 v116, 0
.LBB117_209:                            ; =>This Inner Loop Header: Depth=1
	buffer_load_dword v119, v115, s[0:3], 0 offen offset:4
	buffer_load_dword v120, v115, s[0:3], 0 offen
	ds_read_b64 v[117:118], v114
	v_add_u32_e32 v113, 1, v113
	v_cmp_lt_u32_e32 vcc, 47, v113
	v_add_u32_e32 v114, 8, v114
	v_add_u32_e32 v115, 8, v115
	s_or_b64 s[8:9], vcc, s[8:9]
	s_waitcnt vmcnt(1) lgkmcnt(0)
	v_mul_f32_e32 v121, v118, v119
	v_mul_f32_e32 v119, v117, v119
	s_waitcnt vmcnt(0)
	v_fma_f32 v117, v117, v120, -v121
	v_fmac_f32_e32 v119, v118, v120
	v_add_f32_e32 v116, v116, v117
	v_add_f32_e32 v110, v110, v119
	s_andn2_b64 exec, exec, s[8:9]
	s_cbranch_execnz .LBB117_209
; %bb.210:
	s_or_b64 exec, exec, s[8:9]
	v_mov_b32_e32 v113, 0
	ds_read_b64 v[113:114], v113 offset:392
	s_waitcnt lgkmcnt(0)
	v_mul_f32_e32 v115, v110, v114
	v_mul_f32_e32 v114, v116, v114
	v_fma_f32 v115, v116, v113, -v115
	v_fmac_f32_e32 v114, v110, v113
	buffer_store_dword v115, off, s[0:3], 0 offset:392
	buffer_store_dword v114, off, s[0:3], 0 offset:396
.LBB117_211:
	s_or_b64 exec, exec, s[4:5]
	; wave barrier
	buffer_load_dword v113, off, s[0:3], 0 offset:400
	buffer_load_dword v114, off, s[0:3], 0 offset:404
	v_cmp_gt_u32_e32 vcc, 50, v0
	s_waitcnt vmcnt(0)
	ds_write_b64 v112, v[113:114]
	s_waitcnt lgkmcnt(0)
	; wave barrier
	s_and_saveexec_b64 s[4:5], vcc
	s_cbranch_execz .LBB117_215
; %bb.212:
	v_add_u32_e32 v113, -1, v0
	v_add_u32_e32 v114, 0x1b0, v111
	v_mov_b32_e32 v115, v111
	v_mov_b32_e32 v110, 0
	s_mov_b64 s[8:9], 0
	v_mov_b32_e32 v116, 0
.LBB117_213:                            ; =>This Inner Loop Header: Depth=1
	buffer_load_dword v119, v115, s[0:3], 0 offen offset:4
	buffer_load_dword v120, v115, s[0:3], 0 offen
	ds_read_b64 v[117:118], v114
	v_add_u32_e32 v113, 1, v113
	v_cmp_lt_u32_e32 vcc, 48, v113
	v_add_u32_e32 v114, 8, v114
	v_add_u32_e32 v115, 8, v115
	s_or_b64 s[8:9], vcc, s[8:9]
	s_waitcnt vmcnt(1) lgkmcnt(0)
	v_mul_f32_e32 v121, v118, v119
	v_mul_f32_e32 v119, v117, v119
	s_waitcnt vmcnt(0)
	v_fma_f32 v117, v117, v120, -v121
	v_fmac_f32_e32 v119, v118, v120
	v_add_f32_e32 v116, v116, v117
	v_add_f32_e32 v110, v110, v119
	s_andn2_b64 exec, exec, s[8:9]
	s_cbranch_execnz .LBB117_213
; %bb.214:
	s_or_b64 exec, exec, s[8:9]
	v_mov_b32_e32 v113, 0
	ds_read_b64 v[113:114], v113 offset:400
	s_waitcnt lgkmcnt(0)
	v_mul_f32_e32 v115, v110, v114
	v_mul_f32_e32 v114, v116, v114
	v_fma_f32 v115, v116, v113, -v115
	v_fmac_f32_e32 v114, v110, v113
	buffer_store_dword v115, off, s[0:3], 0 offset:400
	buffer_store_dword v114, off, s[0:3], 0 offset:404
.LBB117_215:
	s_or_b64 exec, exec, s[4:5]
	; wave barrier
	buffer_load_dword v113, off, s[0:3], 0 offset:408
	buffer_load_dword v114, off, s[0:3], 0 offset:412
	v_cmp_gt_u32_e32 vcc, 51, v0
	s_waitcnt vmcnt(0)
	ds_write_b64 v112, v[113:114]
	s_waitcnt lgkmcnt(0)
	; wave barrier
	s_and_saveexec_b64 s[4:5], vcc
	s_cbranch_execz .LBB117_219
; %bb.216:
	v_add_u32_e32 v113, -1, v0
	v_add_u32_e32 v114, 0x1b0, v111
	v_mov_b32_e32 v115, v111
	v_mov_b32_e32 v110, 0
	s_mov_b64 s[8:9], 0
	v_mov_b32_e32 v116, 0
.LBB117_217:                            ; =>This Inner Loop Header: Depth=1
	buffer_load_dword v119, v115, s[0:3], 0 offen offset:4
	buffer_load_dword v120, v115, s[0:3], 0 offen
	ds_read_b64 v[117:118], v114
	v_add_u32_e32 v113, 1, v113
	v_cmp_lt_u32_e32 vcc, 49, v113
	v_add_u32_e32 v114, 8, v114
	v_add_u32_e32 v115, 8, v115
	s_or_b64 s[8:9], vcc, s[8:9]
	s_waitcnt vmcnt(1) lgkmcnt(0)
	v_mul_f32_e32 v121, v118, v119
	v_mul_f32_e32 v119, v117, v119
	s_waitcnt vmcnt(0)
	v_fma_f32 v117, v117, v120, -v121
	v_fmac_f32_e32 v119, v118, v120
	v_add_f32_e32 v116, v116, v117
	v_add_f32_e32 v110, v110, v119
	s_andn2_b64 exec, exec, s[8:9]
	s_cbranch_execnz .LBB117_217
; %bb.218:
	s_or_b64 exec, exec, s[8:9]
	v_mov_b32_e32 v113, 0
	ds_read_b64 v[113:114], v113 offset:408
	s_waitcnt lgkmcnt(0)
	v_mul_f32_e32 v115, v110, v114
	v_mul_f32_e32 v114, v116, v114
	v_fma_f32 v115, v116, v113, -v115
	v_fmac_f32_e32 v114, v110, v113
	buffer_store_dword v115, off, s[0:3], 0 offset:408
	buffer_store_dword v114, off, s[0:3], 0 offset:412
.LBB117_219:
	s_or_b64 exec, exec, s[4:5]
	; wave barrier
	buffer_load_dword v113, off, s[0:3], 0 offset:416
	buffer_load_dword v114, off, s[0:3], 0 offset:420
	v_cmp_gt_u32_e32 vcc, 52, v0
	s_waitcnt vmcnt(0)
	ds_write_b64 v112, v[113:114]
	s_waitcnt lgkmcnt(0)
	; wave barrier
	s_and_saveexec_b64 s[4:5], vcc
	s_cbranch_execz .LBB117_223
; %bb.220:
	v_add_u32_e32 v113, -1, v0
	v_add_u32_e32 v114, 0x1b0, v111
	v_mov_b32_e32 v115, v111
	v_mov_b32_e32 v110, 0
	s_mov_b64 s[8:9], 0
	v_mov_b32_e32 v116, 0
.LBB117_221:                            ; =>This Inner Loop Header: Depth=1
	buffer_load_dword v119, v115, s[0:3], 0 offen offset:4
	buffer_load_dword v120, v115, s[0:3], 0 offen
	ds_read_b64 v[117:118], v114
	v_add_u32_e32 v113, 1, v113
	v_cmp_lt_u32_e32 vcc, 50, v113
	v_add_u32_e32 v114, 8, v114
	v_add_u32_e32 v115, 8, v115
	s_or_b64 s[8:9], vcc, s[8:9]
	s_waitcnt vmcnt(1) lgkmcnt(0)
	v_mul_f32_e32 v121, v118, v119
	v_mul_f32_e32 v119, v117, v119
	s_waitcnt vmcnt(0)
	v_fma_f32 v117, v117, v120, -v121
	v_fmac_f32_e32 v119, v118, v120
	v_add_f32_e32 v116, v116, v117
	v_add_f32_e32 v110, v110, v119
	s_andn2_b64 exec, exec, s[8:9]
	s_cbranch_execnz .LBB117_221
; %bb.222:
	s_or_b64 exec, exec, s[8:9]
	v_mov_b32_e32 v113, 0
	ds_read_b64 v[113:114], v113 offset:416
	s_waitcnt lgkmcnt(0)
	v_mul_f32_e32 v115, v110, v114
	v_mul_f32_e32 v114, v116, v114
	v_fma_f32 v115, v116, v113, -v115
	v_fmac_f32_e32 v114, v110, v113
	buffer_store_dword v115, off, s[0:3], 0 offset:416
	buffer_store_dword v114, off, s[0:3], 0 offset:420
.LBB117_223:
	s_or_b64 exec, exec, s[4:5]
	; wave barrier
	buffer_load_dword v113, off, s[0:3], 0 offset:424
	buffer_load_dword v114, off, s[0:3], 0 offset:428
	v_cmp_ne_u32_e32 vcc, 53, v0
	s_waitcnt vmcnt(0)
	ds_write_b64 v112, v[113:114]
	s_waitcnt lgkmcnt(0)
	; wave barrier
	s_and_saveexec_b64 s[4:5], vcc
	s_cbranch_execz .LBB117_227
; %bb.224:
	v_add_u32_e32 v112, 0x1b0, v111
	v_mov_b32_e32 v110, 0
	s_mov_b64 s[8:9], 0
	v_mov_b32_e32 v113, 0
.LBB117_225:                            ; =>This Inner Loop Header: Depth=1
	buffer_load_dword v116, v111, s[0:3], 0 offen offset:4
	buffer_load_dword v117, v111, s[0:3], 0 offen
	ds_read_b64 v[114:115], v112
	v_add_u32_e32 v109, 1, v109
	v_cmp_lt_u32_e32 vcc, 51, v109
	v_add_u32_e32 v112, 8, v112
	v_add_u32_e32 v111, 8, v111
	s_or_b64 s[8:9], vcc, s[8:9]
	s_waitcnt vmcnt(1) lgkmcnt(0)
	v_mul_f32_e32 v118, v115, v116
	v_mul_f32_e32 v116, v114, v116
	s_waitcnt vmcnt(0)
	v_fma_f32 v114, v114, v117, -v118
	v_fmac_f32_e32 v116, v115, v117
	v_add_f32_e32 v113, v113, v114
	v_add_f32_e32 v110, v110, v116
	s_andn2_b64 exec, exec, s[8:9]
	s_cbranch_execnz .LBB117_225
; %bb.226:
	s_or_b64 exec, exec, s[8:9]
	v_mov_b32_e32 v109, 0
	ds_read_b64 v[111:112], v109 offset:424
	s_waitcnt lgkmcnt(0)
	v_mul_f32_e32 v109, v110, v112
	v_mul_f32_e32 v112, v113, v112
	v_fma_f32 v109, v113, v111, -v109
	v_fmac_f32_e32 v112, v110, v111
	buffer_store_dword v109, off, s[0:3], 0 offset:424
	buffer_store_dword v112, off, s[0:3], 0 offset:428
.LBB117_227:
	s_or_b64 exec, exec, s[4:5]
	s_mov_b64 s[8:9], -1
	; wave barrier
.LBB117_228:
	s_and_b64 vcc, exec, s[8:9]
	s_cbranch_vccz .LBB117_230
; %bb.229:
	s_lshl_b64 s[4:5], s[6:7], 2
	s_add_u32 s4, s10, s4
	s_addc_u32 s5, s11, s5
	v_mov_b32_e32 v109, 0
	global_load_dword v109, v109, s[4:5]
	s_waitcnt vmcnt(0)
	v_cmp_ne_u32_e32 vcc, 0, v109
	s_cbranch_vccz .LBB117_231
.LBB117_230:
	s_endpgm
.LBB117_231:
	v_mov_b32_e32 v109, 0x1b0
	v_lshl_add_u32 v109, v0, 3, v109
	v_cmp_eq_u32_e32 vcc, 53, v0
	s_and_saveexec_b64 s[4:5], vcc
	s_cbranch_execz .LBB117_233
; %bb.232:
	buffer_load_dword v110, off, s[0:3], 0 offset:416
	buffer_load_dword v111, off, s[0:3], 0 offset:420
	v_mov_b32_e32 v112, 0
	buffer_store_dword v112, off, s[0:3], 0 offset:416
	buffer_store_dword v112, off, s[0:3], 0 offset:420
	s_waitcnt vmcnt(2)
	ds_write_b64 v109, v[110:111]
.LBB117_233:
	s_or_b64 exec, exec, s[4:5]
	s_waitcnt lgkmcnt(0)
	; wave barrier
	buffer_load_dword v113, off, s[0:3], 0 offset:428
	buffer_load_dword v114, off, s[0:3], 0 offset:424
	;; [unrolled: 1-line block ×4, first 2 shown]
	v_mov_b32_e32 v110, 0
	ds_read_b64 v[111:112], v110 offset:856
	v_cmp_lt_u32_e32 vcc, 51, v0
	s_waitcnt vmcnt(3) lgkmcnt(0)
	v_mul_f32_e32 v117, v111, v113
	v_mul_f32_e32 v113, v112, v113
	s_waitcnt vmcnt(2)
	v_fma_f32 v111, v111, v114, -v113
	v_fmac_f32_e32 v117, v112, v114
	v_add_f32_e32 v111, 0, v111
	v_add_f32_e32 v112, 0, v117
	s_waitcnt vmcnt(1)
	v_sub_f32_e32 v111, v115, v111
	s_waitcnt vmcnt(0)
	v_sub_f32_e32 v112, v116, v112
	buffer_store_dword v111, off, s[0:3], 0 offset:416
	buffer_store_dword v112, off, s[0:3], 0 offset:420
	s_and_saveexec_b64 s[4:5], vcc
	s_cbranch_execz .LBB117_235
; %bb.234:
	buffer_load_dword v111, off, s[0:3], 0 offset:408
	buffer_load_dword v112, off, s[0:3], 0 offset:412
	s_waitcnt vmcnt(0)
	ds_write_b64 v109, v[111:112]
	buffer_store_dword v110, off, s[0:3], 0 offset:408
	buffer_store_dword v110, off, s[0:3], 0 offset:412
.LBB117_235:
	s_or_b64 exec, exec, s[4:5]
	s_waitcnt lgkmcnt(0)
	; wave barrier
	buffer_load_dword v114, off, s[0:3], 0 offset:420
	buffer_load_dword v115, off, s[0:3], 0 offset:428
	;; [unrolled: 1-line block ×6, first 2 shown]
	ds_read_b128 v[110:113], v110 offset:848
	v_cmp_lt_u32_e32 vcc, 50, v0
	s_waitcnt vmcnt(5) lgkmcnt(0)
	v_mul_f32_e32 v120, v110, v114
	v_mul_f32_e32 v114, v111, v114
	s_waitcnt vmcnt(4)
	v_mul_f32_e32 v121, v112, v115
	v_mul_f32_e32 v115, v113, v115
	s_waitcnt vmcnt(3)
	v_fma_f32 v110, v110, v116, -v114
	v_fmac_f32_e32 v120, v111, v116
	s_waitcnt vmcnt(2)
	v_fma_f32 v111, v112, v117, -v115
	v_add_f32_e32 v110, 0, v110
	v_fmac_f32_e32 v121, v113, v117
	v_add_f32_e32 v112, 0, v120
	v_add_f32_e32 v110, v110, v111
	;; [unrolled: 1-line block ×3, first 2 shown]
	s_waitcnt vmcnt(1)
	v_sub_f32_e32 v110, v118, v110
	s_waitcnt vmcnt(0)
	v_sub_f32_e32 v111, v119, v112
	buffer_store_dword v110, off, s[0:3], 0 offset:408
	buffer_store_dword v111, off, s[0:3], 0 offset:412
	s_and_saveexec_b64 s[4:5], vcc
	s_cbranch_execz .LBB117_237
; %bb.236:
	buffer_load_dword v110, off, s[0:3], 0 offset:400
	buffer_load_dword v111, off, s[0:3], 0 offset:404
	v_mov_b32_e32 v112, 0
	buffer_store_dword v112, off, s[0:3], 0 offset:400
	buffer_store_dword v112, off, s[0:3], 0 offset:404
	s_waitcnt vmcnt(2)
	ds_write_b64 v109, v[110:111]
.LBB117_237:
	s_or_b64 exec, exec, s[4:5]
	v_mov_b32_e32 v110, 0
	s_waitcnt lgkmcnt(0)
	; wave barrier
	ds_read2_b64 v[111:114], v110 offset0:105 offset1:106
	buffer_load_dword v117, off, s[0:3], 0 offset:400
	buffer_load_dword v118, off, s[0:3], 0 offset:404
	;; [unrolled: 1-line block ×8, first 2 shown]
	v_cmp_lt_u32_e32 vcc, 49, v0
	s_waitcnt vmcnt(4) lgkmcnt(0)
	v_mul_f32_e32 v115, v111, v120
	v_fmac_f32_e32 v115, v112, v119
	s_waitcnt vmcnt(2)
	v_mul_f32_e32 v116, v113, v122
	v_add_f32_e32 v115, 0, v115
	v_fmac_f32_e32 v116, v114, v121
	v_add_f32_e32 v125, v115, v116
	ds_read_b64 v[115:116], v110 offset:856
	v_mul_f32_e32 v112, v112, v120
	v_fma_f32 v111, v111, v119, -v112
	v_mul_f32_e32 v112, v114, v122
	v_add_f32_e32 v111, 0, v111
	v_fma_f32 v112, v113, v121, -v112
	v_add_f32_e32 v111, v111, v112
	s_waitcnt vmcnt(0) lgkmcnt(0)
	v_mul_f32_e32 v112, v116, v124
	v_mul_f32_e32 v126, v115, v124
	v_fma_f32 v112, v115, v123, -v112
	v_fmac_f32_e32 v126, v116, v123
	v_add_f32_e32 v111, v111, v112
	v_add_f32_e32 v125, v125, v126
	v_sub_f32_e32 v111, v117, v111
	v_sub_f32_e32 v112, v118, v125
	buffer_store_dword v111, off, s[0:3], 0 offset:400
	buffer_store_dword v112, off, s[0:3], 0 offset:404
	s_and_saveexec_b64 s[4:5], vcc
	s_cbranch_execz .LBB117_239
; %bb.238:
	buffer_load_dword v111, off, s[0:3], 0 offset:392
	buffer_load_dword v112, off, s[0:3], 0 offset:396
	s_waitcnt vmcnt(0)
	ds_write_b64 v109, v[111:112]
	buffer_store_dword v110, off, s[0:3], 0 offset:392
	buffer_store_dword v110, off, s[0:3], 0 offset:396
.LBB117_239:
	s_or_b64 exec, exec, s[4:5]
	s_waitcnt lgkmcnt(0)
	; wave barrier
	buffer_load_dword v119, off, s[0:3], 0 offset:404
	buffer_load_dword v120, off, s[0:3], 0 offset:412
	;; [unrolled: 1-line block ×10, first 2 shown]
	ds_read_b128 v[111:114], v110 offset:832
	ds_read_b128 v[115:118], v110 offset:848
	v_cmp_lt_u32_e32 vcc, 48, v0
	s_waitcnt vmcnt(9) lgkmcnt(1)
	v_mul_f32_e32 v110, v111, v119
	v_mul_f32_e32 v119, v112, v119
	s_waitcnt vmcnt(8)
	v_mul_f32_e32 v129, v113, v120
	v_mul_f32_e32 v120, v114, v120
	s_waitcnt vmcnt(5)
	v_fma_f32 v111, v111, v123, -v119
	s_waitcnt lgkmcnt(0)
	v_mul_f32_e32 v130, v115, v121
	v_mul_f32_e32 v121, v116, v121
	v_fmac_f32_e32 v110, v112, v123
	s_waitcnt vmcnt(4)
	v_fma_f32 v112, v113, v124, -v120
	v_add_f32_e32 v111, 0, v111
	v_mul_f32_e32 v131, v117, v122
	v_mul_f32_e32 v122, v118, v122
	v_fmac_f32_e32 v129, v114, v124
	s_waitcnt vmcnt(3)
	v_fma_f32 v113, v115, v125, -v121
	v_add_f32_e32 v110, 0, v110
	v_add_f32_e32 v111, v111, v112
	v_fmac_f32_e32 v130, v116, v125
	s_waitcnt vmcnt(2)
	v_fma_f32 v114, v117, v126, -v122
	v_add_f32_e32 v110, v110, v129
	v_add_f32_e32 v111, v111, v113
	v_fmac_f32_e32 v131, v118, v126
	v_add_f32_e32 v110, v110, v130
	v_add_f32_e32 v111, v111, v114
	;; [unrolled: 1-line block ×3, first 2 shown]
	s_waitcnt vmcnt(1)
	v_sub_f32_e32 v111, v127, v111
	s_waitcnt vmcnt(0)
	v_sub_f32_e32 v110, v128, v110
	buffer_store_dword v111, off, s[0:3], 0 offset:392
	buffer_store_dword v110, off, s[0:3], 0 offset:396
	s_and_saveexec_b64 s[4:5], vcc
	s_cbranch_execz .LBB117_241
; %bb.240:
	buffer_load_dword v110, off, s[0:3], 0 offset:384
	buffer_load_dword v111, off, s[0:3], 0 offset:388
	v_mov_b32_e32 v112, 0
	buffer_store_dword v112, off, s[0:3], 0 offset:384
	buffer_store_dword v112, off, s[0:3], 0 offset:388
	s_waitcnt vmcnt(2)
	ds_write_b64 v109, v[110:111]
.LBB117_241:
	s_or_b64 exec, exec, s[4:5]
	s_waitcnt lgkmcnt(0)
	; wave barrier
	buffer_load_dword v121, off, s[0:3], 0 offset:396
	buffer_load_dword v122, off, s[0:3], 0 offset:404
	;; [unrolled: 1-line block ×12, first 2 shown]
	v_mov_b32_e32 v110, 0
	ds_read2_b64 v[111:114], v110 offset0:103 offset1:104
	ds_read2_b64 v[115:118], v110 offset0:105 offset1:106
	ds_read_b64 v[119:120], v110 offset:856
	v_cmp_lt_u32_e32 vcc, 47, v0
	s_waitcnt vmcnt(11) lgkmcnt(2)
	v_mul_f32_e32 v133, v111, v121
	v_mul_f32_e32 v121, v112, v121
	s_waitcnt vmcnt(10)
	v_mul_f32_e32 v134, v113, v122
	v_mul_f32_e32 v122, v114, v122
	s_waitcnt vmcnt(9) lgkmcnt(1)
	v_mul_f32_e32 v135, v115, v123
	s_waitcnt vmcnt(6)
	v_fma_f32 v111, v111, v126, -v121
	v_mul_f32_e32 v123, v116, v123
	v_fmac_f32_e32 v133, v112, v126
	s_waitcnt vmcnt(5)
	v_fma_f32 v112, v113, v127, -v122
	v_add_f32_e32 v111, 0, v111
	v_mul_f32_e32 v136, v117, v124
	v_mul_f32_e32 v124, v118, v124
	v_fmac_f32_e32 v134, v114, v127
	s_waitcnt vmcnt(4)
	v_fmac_f32_e32 v135, v116, v128
	v_fma_f32 v113, v115, v128, -v123
	v_add_f32_e32 v116, 0, v133
	v_add_f32_e32 v111, v111, v112
	s_waitcnt lgkmcnt(0)
	v_mul_f32_e32 v137, v119, v125
	v_mul_f32_e32 v125, v120, v125
	s_waitcnt vmcnt(3)
	v_fma_f32 v114, v117, v129, -v124
	v_add_f32_e32 v116, v116, v134
	v_add_f32_e32 v111, v111, v113
	v_fmac_f32_e32 v136, v118, v129
	s_waitcnt vmcnt(2)
	v_fma_f32 v115, v119, v130, -v125
	v_add_f32_e32 v112, v116, v135
	v_add_f32_e32 v111, v111, v114
	v_fmac_f32_e32 v137, v120, v130
	v_add_f32_e32 v112, v112, v136
	v_add_f32_e32 v111, v111, v115
	;; [unrolled: 1-line block ×3, first 2 shown]
	s_waitcnt vmcnt(1)
	v_sub_f32_e32 v111, v131, v111
	s_waitcnt vmcnt(0)
	v_sub_f32_e32 v112, v132, v112
	buffer_store_dword v111, off, s[0:3], 0 offset:384
	buffer_store_dword v112, off, s[0:3], 0 offset:388
	s_and_saveexec_b64 s[4:5], vcc
	s_cbranch_execz .LBB117_243
; %bb.242:
	buffer_load_dword v111, off, s[0:3], 0 offset:376
	buffer_load_dword v112, off, s[0:3], 0 offset:380
	s_waitcnt vmcnt(0)
	ds_write_b64 v109, v[111:112]
	buffer_store_dword v110, off, s[0:3], 0 offset:376
	buffer_store_dword v110, off, s[0:3], 0 offset:380
.LBB117_243:
	s_or_b64 exec, exec, s[4:5]
	s_waitcnt lgkmcnt(0)
	; wave barrier
	buffer_load_dword v123, off, s[0:3], 0 offset:388
	buffer_load_dword v124, off, s[0:3], 0 offset:396
	buffer_load_dword v125, off, s[0:3], 0 offset:404
	buffer_load_dword v126, off, s[0:3], 0 offset:412
	buffer_load_dword v127, off, s[0:3], 0 offset:420
	buffer_load_dword v128, off, s[0:3], 0 offset:428
	buffer_load_dword v129, off, s[0:3], 0 offset:384
	buffer_load_dword v130, off, s[0:3], 0 offset:392
	buffer_load_dword v131, off, s[0:3], 0 offset:400
	buffer_load_dword v132, off, s[0:3], 0 offset:408
	buffer_load_dword v133, off, s[0:3], 0 offset:416
	buffer_load_dword v134, off, s[0:3], 0 offset:424
	buffer_load_dword v135, off, s[0:3], 0 offset:376
	buffer_load_dword v136, off, s[0:3], 0 offset:380
	ds_read_b128 v[111:114], v110 offset:816
	ds_read_b128 v[115:118], v110 offset:832
	;; [unrolled: 1-line block ×3, first 2 shown]
	v_cmp_lt_u32_e32 vcc, 46, v0
	s_waitcnt vmcnt(13) lgkmcnt(2)
	v_mul_f32_e32 v110, v111, v123
	v_mul_f32_e32 v123, v112, v123
	s_waitcnt vmcnt(12)
	v_mul_f32_e32 v137, v113, v124
	v_mul_f32_e32 v124, v114, v124
	s_waitcnt vmcnt(11) lgkmcnt(1)
	v_mul_f32_e32 v138, v115, v125
	v_mul_f32_e32 v125, v116, v125
	s_waitcnt vmcnt(7)
	v_fma_f32 v111, v111, v129, -v123
	v_fmac_f32_e32 v110, v112, v129
	s_waitcnt vmcnt(6)
	v_fma_f32 v112, v113, v130, -v124
	v_add_f32_e32 v111, 0, v111
	v_mul_f32_e32 v139, v117, v126
	v_mul_f32_e32 v126, v118, v126
	v_fmac_f32_e32 v137, v114, v130
	s_waitcnt vmcnt(5)
	v_fma_f32 v113, v115, v131, -v125
	v_add_f32_e32 v110, 0, v110
	v_add_f32_e32 v111, v111, v112
	s_waitcnt lgkmcnt(0)
	v_mul_f32_e32 v140, v119, v127
	v_mul_f32_e32 v127, v120, v127
	v_fmac_f32_e32 v138, v116, v131
	s_waitcnt vmcnt(4)
	v_fma_f32 v114, v117, v132, -v126
	v_add_f32_e32 v110, v110, v137
	v_add_f32_e32 v111, v111, v113
	v_mul_f32_e32 v141, v121, v128
	v_mul_f32_e32 v128, v122, v128
	v_fmac_f32_e32 v139, v118, v132
	s_waitcnt vmcnt(3)
	v_fma_f32 v115, v119, v133, -v127
	v_add_f32_e32 v110, v110, v138
	v_add_f32_e32 v111, v111, v114
	v_fmac_f32_e32 v140, v120, v133
	s_waitcnt vmcnt(2)
	v_fma_f32 v116, v121, v134, -v128
	v_add_f32_e32 v110, v110, v139
	v_add_f32_e32 v111, v111, v115
	v_fmac_f32_e32 v141, v122, v134
	v_add_f32_e32 v110, v110, v140
	v_add_f32_e32 v111, v111, v116
	v_add_f32_e32 v110, v110, v141
	s_waitcnt vmcnt(1)
	v_sub_f32_e32 v111, v135, v111
	s_waitcnt vmcnt(0)
	v_sub_f32_e32 v110, v136, v110
	buffer_store_dword v111, off, s[0:3], 0 offset:376
	buffer_store_dword v110, off, s[0:3], 0 offset:380
	s_and_saveexec_b64 s[4:5], vcc
	s_cbranch_execz .LBB117_245
; %bb.244:
	buffer_load_dword v110, off, s[0:3], 0 offset:368
	buffer_load_dword v111, off, s[0:3], 0 offset:372
	v_mov_b32_e32 v112, 0
	buffer_store_dword v112, off, s[0:3], 0 offset:368
	buffer_store_dword v112, off, s[0:3], 0 offset:372
	s_waitcnt vmcnt(2)
	ds_write_b64 v109, v[110:111]
.LBB117_245:
	s_or_b64 exec, exec, s[4:5]
	s_waitcnt lgkmcnt(0)
	; wave barrier
	buffer_load_dword v125, off, s[0:3], 0 offset:380
	buffer_load_dword v126, off, s[0:3], 0 offset:388
	;; [unrolled: 1-line block ×16, first 2 shown]
	v_mov_b32_e32 v110, 0
	ds_read2_b64 v[111:114], v110 offset0:101 offset1:102
	ds_read2_b64 v[115:118], v110 offset0:103 offset1:104
	;; [unrolled: 1-line block ×3, first 2 shown]
	ds_read_b64 v[123:124], v110 offset:856
	v_cmp_lt_u32_e32 vcc, 45, v0
	s_waitcnt vmcnt(15) lgkmcnt(3)
	v_mul_f32_e32 v141, v111, v125
	v_mul_f32_e32 v125, v112, v125
	s_waitcnt vmcnt(14)
	v_mul_f32_e32 v142, v113, v126
	v_mul_f32_e32 v126, v114, v126
	s_waitcnt vmcnt(13) lgkmcnt(2)
	v_mul_f32_e32 v143, v115, v127
	s_waitcnt vmcnt(12)
	v_mul_f32_e32 v144, v117, v128
	v_mul_f32_e32 v127, v116, v127
	s_waitcnt vmcnt(8)
	v_fma_f32 v111, v111, v132, -v125
	v_fmac_f32_e32 v141, v112, v132
	s_waitcnt vmcnt(7)
	v_fma_f32 v112, v113, v133, -v126
	v_add_f32_e32 v111, 0, v111
	v_mul_f32_e32 v128, v118, v128
	v_fmac_f32_e32 v142, v114, v133
	s_waitcnt vmcnt(5)
	v_fmac_f32_e32 v144, v118, v135
	v_fma_f32 v113, v115, v134, -v127
	v_add_f32_e32 v118, 0, v141
	v_add_f32_e32 v111, v111, v112
	s_waitcnt lgkmcnt(1)
	v_mul_f32_e32 v145, v119, v129
	v_mul_f32_e32 v129, v120, v129
	v_fmac_f32_e32 v143, v116, v134
	v_fma_f32 v114, v117, v135, -v128
	v_add_f32_e32 v118, v118, v142
	v_add_f32_e32 v111, v111, v113
	v_mul_f32_e32 v146, v121, v130
	v_mul_f32_e32 v130, v122, v130
	s_waitcnt vmcnt(4)
	v_fma_f32 v115, v119, v136, -v129
	v_add_f32_e32 v112, v118, v143
	v_add_f32_e32 v111, v111, v114
	s_waitcnt lgkmcnt(0)
	v_mul_f32_e32 v147, v123, v131
	v_mul_f32_e32 v131, v124, v131
	v_fmac_f32_e32 v145, v120, v136
	s_waitcnt vmcnt(3)
	v_fma_f32 v116, v121, v137, -v130
	v_add_f32_e32 v112, v112, v144
	v_add_f32_e32 v111, v111, v115
	v_fmac_f32_e32 v146, v122, v137
	s_waitcnt vmcnt(2)
	v_fma_f32 v117, v123, v138, -v131
	v_add_f32_e32 v112, v112, v145
	v_add_f32_e32 v111, v111, v116
	v_fmac_f32_e32 v147, v124, v138
	v_add_f32_e32 v112, v112, v146
	v_add_f32_e32 v111, v111, v117
	;; [unrolled: 1-line block ×3, first 2 shown]
	s_waitcnt vmcnt(1)
	v_sub_f32_e32 v111, v139, v111
	s_waitcnt vmcnt(0)
	v_sub_f32_e32 v112, v140, v112
	buffer_store_dword v111, off, s[0:3], 0 offset:368
	buffer_store_dword v112, off, s[0:3], 0 offset:372
	s_and_saveexec_b64 s[4:5], vcc
	s_cbranch_execz .LBB117_247
; %bb.246:
	buffer_load_dword v111, off, s[0:3], 0 offset:360
	buffer_load_dword v112, off, s[0:3], 0 offset:364
	s_waitcnt vmcnt(0)
	ds_write_b64 v109, v[111:112]
	buffer_store_dword v110, off, s[0:3], 0 offset:360
	buffer_store_dword v110, off, s[0:3], 0 offset:364
.LBB117_247:
	s_or_b64 exec, exec, s[4:5]
	s_waitcnt lgkmcnt(0)
	; wave barrier
	buffer_load_dword v127, off, s[0:3], 0 offset:372
	buffer_load_dword v128, off, s[0:3], 0 offset:380
	;; [unrolled: 1-line block ×18, first 2 shown]
	ds_read_b128 v[111:114], v110 offset:800
	ds_read_b128 v[115:118], v110 offset:816
	;; [unrolled: 1-line block ×4, first 2 shown]
	v_cmp_lt_u32_e32 vcc, 44, v0
	s_waitcnt vmcnt(17) lgkmcnt(3)
	v_mul_f32_e32 v110, v111, v127
	v_mul_f32_e32 v127, v112, v127
	s_waitcnt vmcnt(16)
	v_mul_f32_e32 v145, v113, v128
	v_mul_f32_e32 v128, v114, v128
	s_waitcnt vmcnt(15) lgkmcnt(2)
	v_mul_f32_e32 v146, v115, v129
	v_mul_f32_e32 v129, v116, v129
	s_waitcnt vmcnt(14)
	v_mul_f32_e32 v147, v117, v130
	v_mul_f32_e32 v130, v118, v130
	s_waitcnt vmcnt(9)
	v_fma_f32 v111, v111, v135, -v127
	v_fmac_f32_e32 v110, v112, v135
	s_waitcnt vmcnt(8)
	v_fma_f32 v112, v113, v136, -v128
	v_add_f32_e32 v111, 0, v111
	v_fmac_f32_e32 v145, v114, v136
	s_waitcnt vmcnt(7)
	v_fma_f32 v113, v115, v137, -v129
	v_add_f32_e32 v110, 0, v110
	v_add_f32_e32 v111, v111, v112
	s_waitcnt lgkmcnt(1)
	v_mul_f32_e32 v148, v119, v131
	v_mul_f32_e32 v131, v120, v131
	v_fmac_f32_e32 v146, v116, v137
	s_waitcnt vmcnt(6)
	v_fma_f32 v114, v117, v138, -v130
	v_add_f32_e32 v110, v110, v145
	v_add_f32_e32 v111, v111, v113
	v_mul_f32_e32 v149, v121, v132
	v_mul_f32_e32 v132, v122, v132
	v_fmac_f32_e32 v147, v118, v138
	s_waitcnt vmcnt(5)
	v_fma_f32 v115, v119, v139, -v131
	v_add_f32_e32 v110, v110, v146
	v_add_f32_e32 v111, v111, v114
	s_waitcnt lgkmcnt(0)
	v_mul_f32_e32 v150, v123, v133
	v_mul_f32_e32 v133, v124, v133
	v_fmac_f32_e32 v148, v120, v139
	s_waitcnt vmcnt(4)
	v_fma_f32 v116, v121, v140, -v132
	v_add_f32_e32 v110, v110, v147
	v_add_f32_e32 v111, v111, v115
	v_mul_f32_e32 v151, v125, v134
	v_mul_f32_e32 v134, v126, v134
	v_fmac_f32_e32 v149, v122, v140
	s_waitcnt vmcnt(3)
	v_fma_f32 v117, v123, v141, -v133
	v_add_f32_e32 v110, v110, v148
	v_add_f32_e32 v111, v111, v116
	v_fmac_f32_e32 v150, v124, v141
	s_waitcnt vmcnt(2)
	v_fma_f32 v118, v125, v142, -v134
	v_add_f32_e32 v110, v110, v149
	v_add_f32_e32 v111, v111, v117
	v_fmac_f32_e32 v151, v126, v142
	v_add_f32_e32 v110, v110, v150
	v_add_f32_e32 v111, v111, v118
	;; [unrolled: 1-line block ×3, first 2 shown]
	s_waitcnt vmcnt(1)
	v_sub_f32_e32 v111, v143, v111
	s_waitcnt vmcnt(0)
	v_sub_f32_e32 v110, v144, v110
	buffer_store_dword v111, off, s[0:3], 0 offset:360
	buffer_store_dword v110, off, s[0:3], 0 offset:364
	s_and_saveexec_b64 s[4:5], vcc
	s_cbranch_execz .LBB117_249
; %bb.248:
	buffer_load_dword v110, off, s[0:3], 0 offset:352
	buffer_load_dword v111, off, s[0:3], 0 offset:356
	v_mov_b32_e32 v112, 0
	buffer_store_dword v112, off, s[0:3], 0 offset:352
	buffer_store_dword v112, off, s[0:3], 0 offset:356
	s_waitcnt vmcnt(2)
	ds_write_b64 v109, v[110:111]
.LBB117_249:
	s_or_b64 exec, exec, s[4:5]
	s_waitcnt lgkmcnt(0)
	; wave barrier
	buffer_load_dword v129, off, s[0:3], 0 offset:364
	buffer_load_dword v130, off, s[0:3], 0 offset:372
	;; [unrolled: 1-line block ×20, first 2 shown]
	v_mov_b32_e32 v110, 0
	ds_read2_b64 v[111:114], v110 offset0:99 offset1:100
	ds_read2_b64 v[115:118], v110 offset0:101 offset1:102
	;; [unrolled: 1-line block ×4, first 2 shown]
	ds_read_b64 v[127:128], v110 offset:856
	v_cmp_lt_u32_e32 vcc, 43, v0
	s_waitcnt vmcnt(19) lgkmcnt(4)
	v_mul_f32_e32 v149, v111, v129
	v_mul_f32_e32 v129, v112, v129
	s_waitcnt vmcnt(18)
	v_mul_f32_e32 v150, v113, v130
	v_mul_f32_e32 v130, v114, v130
	s_waitcnt vmcnt(17) lgkmcnt(3)
	v_mul_f32_e32 v151, v115, v131
	s_waitcnt vmcnt(15) lgkmcnt(2)
	v_mul_f32_e32 v153, v119, v133
	v_mul_f32_e32 v131, v116, v131
	v_mul_f32_e32 v152, v117, v132
	v_mul_f32_e32 v132, v118, v132
	s_waitcnt vmcnt(10)
	v_fma_f32 v111, v111, v138, -v129
	v_fmac_f32_e32 v149, v112, v138
	s_waitcnt vmcnt(9)
	v_fma_f32 v112, v113, v139, -v130
	v_add_f32_e32 v111, 0, v111
	v_mul_f32_e32 v133, v120, v133
	v_fmac_f32_e32 v150, v114, v139
	s_waitcnt vmcnt(6)
	v_fmac_f32_e32 v153, v120, v142
	v_fma_f32 v113, v115, v140, -v131
	v_add_f32_e32 v120, 0, v149
	v_add_f32_e32 v111, v111, v112
	v_fmac_f32_e32 v151, v116, v140
	v_fma_f32 v114, v117, v141, -v132
	v_add_f32_e32 v120, v120, v150
	v_add_f32_e32 v111, v111, v113
	v_mul_f32_e32 v154, v121, v134
	v_mul_f32_e32 v134, v122, v134
	v_fmac_f32_e32 v152, v118, v141
	v_fma_f32 v115, v119, v142, -v133
	v_add_f32_e32 v112, v120, v151
	v_add_f32_e32 v111, v111, v114
	s_waitcnt lgkmcnt(1)
	v_mul_f32_e32 v155, v123, v135
	v_mul_f32_e32 v135, v124, v135
	s_waitcnt vmcnt(5)
	v_fma_f32 v116, v121, v143, -v134
	v_add_f32_e32 v112, v112, v152
	v_add_f32_e32 v111, v111, v115
	v_mul_f32_e32 v156, v125, v136
	v_mul_f32_e32 v136, v126, v136
	v_fmac_f32_e32 v154, v122, v143
	s_waitcnt vmcnt(4)
	v_fma_f32 v117, v123, v144, -v135
	v_add_f32_e32 v112, v112, v153
	v_add_f32_e32 v111, v111, v116
	s_waitcnt lgkmcnt(0)
	v_mul_f32_e32 v157, v127, v137
	v_mul_f32_e32 v137, v128, v137
	v_fmac_f32_e32 v155, v124, v144
	s_waitcnt vmcnt(3)
	v_fma_f32 v118, v125, v145, -v136
	v_add_f32_e32 v112, v112, v154
	v_add_f32_e32 v111, v111, v117
	v_fmac_f32_e32 v156, v126, v145
	s_waitcnt vmcnt(2)
	v_fma_f32 v119, v127, v146, -v137
	v_add_f32_e32 v112, v112, v155
	v_add_f32_e32 v111, v111, v118
	v_fmac_f32_e32 v157, v128, v146
	v_add_f32_e32 v112, v112, v156
	v_add_f32_e32 v111, v111, v119
	;; [unrolled: 1-line block ×3, first 2 shown]
	s_waitcnt vmcnt(1)
	v_sub_f32_e32 v111, v147, v111
	s_waitcnt vmcnt(0)
	v_sub_f32_e32 v112, v148, v112
	buffer_store_dword v111, off, s[0:3], 0 offset:352
	buffer_store_dword v112, off, s[0:3], 0 offset:356
	s_and_saveexec_b64 s[4:5], vcc
	s_cbranch_execz .LBB117_251
; %bb.250:
	buffer_load_dword v111, off, s[0:3], 0 offset:344
	buffer_load_dword v112, off, s[0:3], 0 offset:348
	s_waitcnt vmcnt(0)
	ds_write_b64 v109, v[111:112]
	buffer_store_dword v110, off, s[0:3], 0 offset:344
	buffer_store_dword v110, off, s[0:3], 0 offset:348
.LBB117_251:
	s_or_b64 exec, exec, s[4:5]
	s_waitcnt lgkmcnt(0)
	; wave barrier
	buffer_load_dword v131, off, s[0:3], 0 offset:356
	buffer_load_dword v132, off, s[0:3], 0 offset:364
	;; [unrolled: 1-line block ×22, first 2 shown]
	ds_read_b128 v[111:114], v110 offset:784
	ds_read_b128 v[115:118], v110 offset:800
	;; [unrolled: 1-line block ×5, first 2 shown]
	v_cmp_lt_u32_e32 vcc, 42, v0
	s_waitcnt vmcnt(21) lgkmcnt(4)
	v_mul_f32_e32 v110, v111, v131
	v_mul_f32_e32 v131, v112, v131
	s_waitcnt vmcnt(20)
	v_mul_f32_e32 v153, v113, v132
	v_mul_f32_e32 v132, v114, v132
	s_waitcnt vmcnt(19) lgkmcnt(3)
	v_mul_f32_e32 v154, v115, v133
	v_mul_f32_e32 v133, v116, v133
	s_waitcnt vmcnt(18)
	v_mul_f32_e32 v155, v117, v134
	v_mul_f32_e32 v134, v118, v134
	s_waitcnt vmcnt(17) lgkmcnt(2)
	v_mul_f32_e32 v156, v119, v135
	v_mul_f32_e32 v135, v120, v135
	s_waitcnt vmcnt(11)
	v_fma_f32 v111, v111, v141, -v131
	v_fmac_f32_e32 v110, v112, v141
	s_waitcnt vmcnt(10)
	v_fma_f32 v112, v113, v142, -v132
	v_add_f32_e32 v111, 0, v111
	v_fmac_f32_e32 v153, v114, v142
	s_waitcnt vmcnt(9)
	v_fma_f32 v113, v115, v143, -v133
	v_add_f32_e32 v110, 0, v110
	v_add_f32_e32 v111, v111, v112
	v_fmac_f32_e32 v154, v116, v143
	s_waitcnt vmcnt(8)
	v_fma_f32 v114, v117, v144, -v134
	v_add_f32_e32 v110, v110, v153
	v_add_f32_e32 v111, v111, v113
	v_mul_f32_e32 v157, v121, v136
	v_mul_f32_e32 v136, v122, v136
	v_fmac_f32_e32 v155, v118, v144
	s_waitcnt vmcnt(7)
	v_fma_f32 v115, v119, v145, -v135
	v_add_f32_e32 v110, v110, v154
	v_add_f32_e32 v111, v111, v114
	s_waitcnt lgkmcnt(1)
	v_mul_f32_e32 v158, v123, v137
	v_mul_f32_e32 v137, v124, v137
	v_fmac_f32_e32 v156, v120, v145
	s_waitcnt vmcnt(6)
	v_fma_f32 v116, v121, v146, -v136
	v_add_f32_e32 v110, v110, v155
	v_add_f32_e32 v111, v111, v115
	v_mul_f32_e32 v159, v125, v138
	v_mul_f32_e32 v138, v126, v138
	v_fmac_f32_e32 v157, v122, v146
	s_waitcnt vmcnt(5)
	v_fma_f32 v117, v123, v147, -v137
	v_add_f32_e32 v110, v110, v156
	v_add_f32_e32 v111, v111, v116
	s_waitcnt lgkmcnt(0)
	v_mul_f32_e32 v160, v127, v139
	v_mul_f32_e32 v139, v128, v139
	v_fmac_f32_e32 v158, v124, v147
	s_waitcnt vmcnt(4)
	v_fma_f32 v118, v125, v148, -v138
	v_add_f32_e32 v110, v110, v157
	v_add_f32_e32 v111, v111, v117
	v_mul_f32_e32 v161, v129, v140
	v_mul_f32_e32 v140, v130, v140
	v_fmac_f32_e32 v159, v126, v148
	s_waitcnt vmcnt(3)
	v_fma_f32 v119, v127, v149, -v139
	v_add_f32_e32 v110, v110, v158
	v_add_f32_e32 v111, v111, v118
	v_fmac_f32_e32 v160, v128, v149
	s_waitcnt vmcnt(2)
	v_fma_f32 v120, v129, v150, -v140
	v_add_f32_e32 v110, v110, v159
	v_add_f32_e32 v111, v111, v119
	v_fmac_f32_e32 v161, v130, v150
	v_add_f32_e32 v110, v110, v160
	v_add_f32_e32 v111, v111, v120
	;; [unrolled: 1-line block ×3, first 2 shown]
	s_waitcnt vmcnt(1)
	v_sub_f32_e32 v111, v151, v111
	s_waitcnt vmcnt(0)
	v_sub_f32_e32 v110, v152, v110
	buffer_store_dword v111, off, s[0:3], 0 offset:344
	buffer_store_dword v110, off, s[0:3], 0 offset:348
	s_and_saveexec_b64 s[4:5], vcc
	s_cbranch_execz .LBB117_253
; %bb.252:
	buffer_load_dword v110, off, s[0:3], 0 offset:336
	buffer_load_dword v111, off, s[0:3], 0 offset:340
	v_mov_b32_e32 v112, 0
	buffer_store_dword v112, off, s[0:3], 0 offset:336
	buffer_store_dword v112, off, s[0:3], 0 offset:340
	s_waitcnt vmcnt(2)
	ds_write_b64 v109, v[110:111]
.LBB117_253:
	s_or_b64 exec, exec, s[4:5]
	s_waitcnt lgkmcnt(0)
	; wave barrier
	buffer_load_dword v133, off, s[0:3], 0 offset:348
	buffer_load_dword v134, off, s[0:3], 0 offset:356
	;; [unrolled: 1-line block ×24, first 2 shown]
	v_mov_b32_e32 v110, 0
	ds_read2_b64 v[111:114], v110 offset0:97 offset1:98
	ds_read2_b64 v[115:118], v110 offset0:99 offset1:100
	;; [unrolled: 1-line block ×5, first 2 shown]
	ds_read_b64 v[131:132], v110 offset:856
	v_cmp_lt_u32_e32 vcc, 41, v0
	s_waitcnt vmcnt(23) lgkmcnt(5)
	v_mul_f32_e32 v157, v111, v133
	v_mul_f32_e32 v133, v112, v133
	s_waitcnt vmcnt(22)
	v_mul_f32_e32 v158, v113, v134
	v_mul_f32_e32 v134, v114, v134
	s_waitcnt vmcnt(21) lgkmcnt(4)
	v_mul_f32_e32 v159, v115, v135
	v_mul_f32_e32 v135, v116, v135
	s_waitcnt vmcnt(20)
	v_mul_f32_e32 v160, v117, v136
	s_waitcnt vmcnt(19) lgkmcnt(3)
	v_mul_f32_e32 v161, v119, v137
	v_mul_f32_e32 v136, v118, v136
	;; [unrolled: 1-line block ×3, first 2 shown]
	s_waitcnt vmcnt(18)
	v_mul_f32_e32 v162, v121, v138
	s_waitcnt vmcnt(12)
	v_fma_f32 v111, v111, v144, -v133
	v_fmac_f32_e32 v157, v112, v144
	s_waitcnt vmcnt(11)
	v_fma_f32 v112, v113, v145, -v134
	v_add_f32_e32 v111, 0, v111
	s_waitcnt vmcnt(10)
	v_fma_f32 v113, v115, v146, -v135
	v_add_f32_e32 v111, v111, v112
	v_fmac_f32_e32 v158, v114, v145
	s_waitcnt vmcnt(8)
	v_fmac_f32_e32 v161, v120, v148
	v_fma_f32 v114, v117, v147, -v136
	v_add_f32_e32 v120, 0, v157
	v_add_f32_e32 v111, v111, v113
	v_mul_f32_e32 v138, v122, v138
	v_fmac_f32_e32 v159, v116, v146
	v_fma_f32 v115, v119, v148, -v137
	v_add_f32_e32 v120, v120, v158
	v_add_f32_e32 v111, v111, v114
	s_waitcnt lgkmcnt(2)
	v_mul_f32_e32 v163, v123, v139
	v_mul_f32_e32 v139, v124, v139
	v_fmac_f32_e32 v160, v118, v147
	s_waitcnt vmcnt(7)
	v_fma_f32 v116, v121, v149, -v138
	v_add_f32_e32 v112, v120, v159
	v_add_f32_e32 v111, v111, v115
	v_mul_f32_e32 v164, v125, v140
	v_mul_f32_e32 v140, v126, v140
	s_waitcnt vmcnt(6)
	v_fma_f32 v117, v123, v150, -v139
	v_add_f32_e32 v112, v112, v160
	v_add_f32_e32 v111, v111, v116
	s_waitcnt lgkmcnt(1)
	v_mul_f32_e32 v165, v127, v141
	v_mul_f32_e32 v141, v128, v141
	v_fmac_f32_e32 v162, v122, v149
	s_waitcnt vmcnt(5)
	v_fma_f32 v118, v125, v151, -v140
	v_add_f32_e32 v112, v112, v161
	v_add_f32_e32 v111, v111, v117
	v_fmac_f32_e32 v163, v124, v150
	s_waitcnt vmcnt(4)
	v_fma_f32 v119, v127, v152, -v141
	v_add_f32_e32 v112, v112, v162
	v_add_f32_e32 v111, v111, v118
	v_mul_f32_e32 v113, v130, v142
	v_fmac_f32_e32 v164, v126, v151
	v_add_f32_e32 v112, v112, v163
	v_add_f32_e32 v111, v111, v119
	s_waitcnt vmcnt(3)
	v_fma_f32 v113, v129, v153, -v113
	v_mul_f32_e32 v166, v129, v142
	v_fmac_f32_e32 v165, v128, v152
	v_add_f32_e32 v112, v112, v164
	v_add_f32_e32 v111, v111, v113
	s_waitcnt lgkmcnt(0)
	v_mul_f32_e32 v113, v132, v143
	v_mul_f32_e32 v167, v131, v143
	v_fmac_f32_e32 v166, v130, v153
	v_add_f32_e32 v112, v112, v165
	s_waitcnt vmcnt(2)
	v_fma_f32 v113, v131, v154, -v113
	v_fmac_f32_e32 v167, v132, v154
	v_add_f32_e32 v112, v112, v166
	v_add_f32_e32 v111, v111, v113
	;; [unrolled: 1-line block ×3, first 2 shown]
	s_waitcnt vmcnt(1)
	v_sub_f32_e32 v111, v155, v111
	s_waitcnt vmcnt(0)
	v_sub_f32_e32 v112, v156, v112
	buffer_store_dword v111, off, s[0:3], 0 offset:336
	buffer_store_dword v112, off, s[0:3], 0 offset:340
	s_and_saveexec_b64 s[4:5], vcc
	s_cbranch_execz .LBB117_255
; %bb.254:
	buffer_load_dword v111, off, s[0:3], 0 offset:328
	buffer_load_dword v112, off, s[0:3], 0 offset:332
	s_waitcnt vmcnt(0)
	ds_write_b64 v109, v[111:112]
	buffer_store_dword v110, off, s[0:3], 0 offset:328
	buffer_store_dword v110, off, s[0:3], 0 offset:332
.LBB117_255:
	s_or_b64 exec, exec, s[4:5]
	s_waitcnt lgkmcnt(0)
	; wave barrier
	buffer_load_dword v135, off, s[0:3], 0 offset:340
	buffer_load_dword v136, off, s[0:3], 0 offset:348
	;; [unrolled: 1-line block ×26, first 2 shown]
	ds_read_b128 v[111:114], v110 offset:768
	ds_read_b128 v[115:118], v110 offset:784
	;; [unrolled: 1-line block ×6, first 2 shown]
	v_cmp_lt_u32_e32 vcc, 40, v0
	s_waitcnt vmcnt(25) lgkmcnt(5)
	v_mul_f32_e32 v110, v111, v135
	v_mul_f32_e32 v135, v112, v135
	s_waitcnt vmcnt(24)
	v_mul_f32_e32 v161, v113, v136
	v_mul_f32_e32 v136, v114, v136
	s_waitcnt vmcnt(23) lgkmcnt(4)
	v_mul_f32_e32 v162, v115, v137
	v_mul_f32_e32 v137, v116, v137
	s_waitcnt vmcnt(22)
	v_mul_f32_e32 v163, v117, v138
	v_mul_f32_e32 v138, v118, v138
	;; [unrolled: 6-line block ×3, first 2 shown]
	s_waitcnt vmcnt(13)
	v_fma_f32 v111, v111, v147, -v135
	v_fmac_f32_e32 v110, v112, v147
	s_waitcnt vmcnt(12)
	v_fma_f32 v112, v113, v148, -v136
	v_add_f32_e32 v111, 0, v111
	s_waitcnt vmcnt(11)
	v_fma_f32 v113, v115, v149, -v137
	v_add_f32_e32 v111, v111, v112
	v_fmac_f32_e32 v161, v114, v148
	s_waitcnt vmcnt(10)
	v_fma_f32 v114, v117, v150, -v138
	v_add_f32_e32 v111, v111, v113
	s_waitcnt vmcnt(9)
	v_fma_f32 v115, v119, v151, -v139
	v_add_f32_e32 v111, v111, v114
	s_waitcnt lgkmcnt(2)
	v_mul_f32_e32 v166, v123, v141
	v_mul_f32_e32 v141, v124, v141
	v_fmac_f32_e32 v162, v116, v149
	s_waitcnt vmcnt(8)
	v_fma_f32 v116, v121, v152, -v140
	v_add_f32_e32 v110, 0, v110
	v_add_f32_e32 v111, v111, v115
	v_mul_f32_e32 v167, v125, v142
	v_mul_f32_e32 v142, v126, v142
	s_waitcnt vmcnt(7)
	v_fma_f32 v117, v123, v153, -v141
	v_add_f32_e32 v110, v110, v161
	v_add_f32_e32 v111, v111, v116
	v_fmac_f32_e32 v163, v118, v150
	s_waitcnt vmcnt(6)
	v_fma_f32 v118, v125, v154, -v142
	v_add_f32_e32 v110, v110, v162
	v_add_f32_e32 v111, v111, v117
	s_waitcnt lgkmcnt(1)
	v_mul_f32_e32 v112, v128, v143
	v_fmac_f32_e32 v164, v120, v151
	v_add_f32_e32 v110, v110, v163
	v_add_f32_e32 v111, v111, v118
	s_waitcnt vmcnt(5)
	v_fma_f32 v112, v127, v155, -v112
	v_fmac_f32_e32 v165, v122, v152
	v_add_f32_e32 v110, v110, v164
	v_add_f32_e32 v111, v111, v112
	v_mul_f32_e32 v112, v130, v144
	v_fmac_f32_e32 v166, v124, v153
	v_add_f32_e32 v110, v110, v165
	s_waitcnt vmcnt(4)
	v_fma_f32 v112, v129, v156, -v112
	v_mul_f32_e32 v168, v127, v143
	v_fmac_f32_e32 v167, v126, v154
	v_add_f32_e32 v110, v110, v166
	v_add_f32_e32 v111, v111, v112
	s_waitcnt lgkmcnt(0)
	v_mul_f32_e32 v112, v132, v145
	v_mul_f32_e32 v169, v129, v144
	v_fmac_f32_e32 v168, v128, v155
	v_add_f32_e32 v110, v110, v167
	s_waitcnt vmcnt(3)
	v_fma_f32 v112, v131, v157, -v112
	v_mul_f32_e32 v170, v131, v145
	v_fmac_f32_e32 v169, v130, v156
	v_add_f32_e32 v110, v110, v168
	v_add_f32_e32 v111, v111, v112
	v_mul_f32_e32 v112, v134, v146
	v_mul_f32_e32 v171, v133, v146
	v_fmac_f32_e32 v170, v132, v157
	v_add_f32_e32 v110, v110, v169
	s_waitcnt vmcnt(2)
	v_fma_f32 v112, v133, v158, -v112
	v_fmac_f32_e32 v171, v134, v158
	v_add_f32_e32 v110, v110, v170
	v_add_f32_e32 v111, v111, v112
	;; [unrolled: 1-line block ×3, first 2 shown]
	s_waitcnt vmcnt(1)
	v_sub_f32_e32 v111, v159, v111
	s_waitcnt vmcnt(0)
	v_sub_f32_e32 v110, v160, v110
	buffer_store_dword v111, off, s[0:3], 0 offset:328
	buffer_store_dword v110, off, s[0:3], 0 offset:332
	s_and_saveexec_b64 s[4:5], vcc
	s_cbranch_execz .LBB117_257
; %bb.256:
	buffer_load_dword v110, off, s[0:3], 0 offset:320
	buffer_load_dword v111, off, s[0:3], 0 offset:324
	v_mov_b32_e32 v112, 0
	buffer_store_dword v112, off, s[0:3], 0 offset:320
	buffer_store_dword v112, off, s[0:3], 0 offset:324
	s_waitcnt vmcnt(2)
	ds_write_b64 v109, v[110:111]
.LBB117_257:
	s_or_b64 exec, exec, s[4:5]
	s_waitcnt lgkmcnt(0)
	; wave barrier
	buffer_load_dword v137, off, s[0:3], 0 offset:332
	buffer_load_dword v138, off, s[0:3], 0 offset:340
	buffer_load_dword v139, off, s[0:3], 0 offset:348
	buffer_load_dword v140, off, s[0:3], 0 offset:356
	buffer_load_dword v141, off, s[0:3], 0 offset:364
	buffer_load_dword v142, off, s[0:3], 0 offset:372
	buffer_load_dword v143, off, s[0:3], 0 offset:380
	buffer_load_dword v144, off, s[0:3], 0 offset:388
	buffer_load_dword v145, off, s[0:3], 0 offset:396
	buffer_load_dword v146, off, s[0:3], 0 offset:404
	buffer_load_dword v147, off, s[0:3], 0 offset:412
	buffer_load_dword v148, off, s[0:3], 0 offset:420
	buffer_load_dword v149, off, s[0:3], 0 offset:428
	buffer_load_dword v150, off, s[0:3], 0 offset:328
	buffer_load_dword v151, off, s[0:3], 0 offset:336
	buffer_load_dword v152, off, s[0:3], 0 offset:344
	buffer_load_dword v153, off, s[0:3], 0 offset:352
	buffer_load_dword v154, off, s[0:3], 0 offset:360
	buffer_load_dword v155, off, s[0:3], 0 offset:368
	buffer_load_dword v156, off, s[0:3], 0 offset:376
	buffer_load_dword v157, off, s[0:3], 0 offset:384
	buffer_load_dword v158, off, s[0:3], 0 offset:392
	buffer_load_dword v159, off, s[0:3], 0 offset:400
	buffer_load_dword v160, off, s[0:3], 0 offset:408
	buffer_load_dword v161, off, s[0:3], 0 offset:416
	buffer_load_dword v162, off, s[0:3], 0 offset:424
	buffer_load_dword v163, off, s[0:3], 0 offset:320
	buffer_load_dword v164, off, s[0:3], 0 offset:324
	v_mov_b32_e32 v110, 0
	ds_read2_b64 v[111:114], v110 offset0:95 offset1:96
	ds_read2_b64 v[115:118], v110 offset0:97 offset1:98
	;; [unrolled: 1-line block ×6, first 2 shown]
	ds_read_b64 v[135:136], v110 offset:856
	v_cmp_lt_u32_e32 vcc, 39, v0
	s_waitcnt vmcnt(27) lgkmcnt(6)
	v_mul_f32_e32 v165, v111, v137
	v_mul_f32_e32 v137, v112, v137
	s_waitcnt vmcnt(26)
	v_mul_f32_e32 v166, v113, v138
	v_mul_f32_e32 v138, v114, v138
	s_waitcnt vmcnt(25) lgkmcnt(5)
	v_mul_f32_e32 v167, v115, v139
	v_mul_f32_e32 v139, v116, v139
	s_waitcnt vmcnt(24)
	v_mul_f32_e32 v168, v117, v140
	v_mul_f32_e32 v140, v118, v140
	s_waitcnt vmcnt(23) lgkmcnt(4)
	v_mul_f32_e32 v169, v119, v141
	v_mul_f32_e32 v141, v120, v141
	s_waitcnt vmcnt(22)
	v_mul_f32_e32 v170, v121, v142
	v_mul_f32_e32 v142, v122, v142
	s_waitcnt vmcnt(21) lgkmcnt(3)
	v_mul_f32_e32 v171, v123, v143
	s_waitcnt vmcnt(14)
	v_fma_f32 v111, v111, v150, -v137
	v_fmac_f32_e32 v165, v112, v150
	s_waitcnt vmcnt(13)
	v_fma_f32 v112, v113, v151, -v138
	v_add_f32_e32 v111, 0, v111
	s_waitcnt vmcnt(12)
	v_fma_f32 v113, v115, v152, -v139
	v_add_f32_e32 v111, v111, v112
	v_fmac_f32_e32 v166, v114, v151
	s_waitcnt vmcnt(11)
	v_fma_f32 v114, v117, v153, -v140
	v_add_f32_e32 v111, v111, v113
	s_waitcnt vmcnt(10)
	v_fma_f32 v115, v119, v154, -v141
	v_add_f32_e32 v111, v111, v114
	v_fmac_f32_e32 v167, v116, v152
	s_waitcnt vmcnt(9)
	v_fma_f32 v116, v121, v155, -v142
	v_add_f32_e32 v111, v111, v115
	v_mul_f32_e32 v113, v124, v143
	v_add_f32_e32 v111, v111, v116
	s_waitcnt vmcnt(8)
	v_fma_f32 v113, v123, v156, -v113
	v_add_f32_e32 v111, v111, v113
	v_mul_f32_e32 v113, v126, v144
	v_add_f32_e32 v117, 0, v165
	s_waitcnt vmcnt(7)
	v_fma_f32 v113, v125, v157, -v113
	v_add_f32_e32 v117, v117, v166
	v_add_f32_e32 v111, v111, v113
	s_waitcnt lgkmcnt(2)
	v_mul_f32_e32 v113, v128, v145
	v_fmac_f32_e32 v168, v118, v153
	v_add_f32_e32 v112, v117, v167
	s_waitcnt vmcnt(6)
	v_fma_f32 v113, v127, v158, -v113
	v_fmac_f32_e32 v169, v120, v154
	v_add_f32_e32 v112, v112, v168
	v_add_f32_e32 v111, v111, v113
	v_mul_f32_e32 v113, v130, v146
	v_fmac_f32_e32 v170, v122, v155
	v_add_f32_e32 v112, v112, v169
	s_waitcnt vmcnt(5)
	v_fma_f32 v113, v129, v159, -v113
	v_mul_f32_e32 v172, v125, v144
	v_fmac_f32_e32 v171, v124, v156
	v_add_f32_e32 v112, v112, v170
	v_add_f32_e32 v111, v111, v113
	s_waitcnt lgkmcnt(1)
	v_mul_f32_e32 v113, v132, v147
	v_mul_f32_e32 v173, v127, v145
	v_fmac_f32_e32 v172, v126, v157
	v_add_f32_e32 v112, v112, v171
	s_waitcnt vmcnt(4)
	v_fma_f32 v113, v131, v160, -v113
	v_mul_f32_e32 v174, v129, v146
	v_fmac_f32_e32 v173, v128, v158
	v_add_f32_e32 v112, v112, v172
	v_add_f32_e32 v111, v111, v113
	v_mul_f32_e32 v113, v134, v148
	v_mul_f32_e32 v175, v131, v147
	v_fmac_f32_e32 v174, v130, v159
	v_add_f32_e32 v112, v112, v173
	s_waitcnt vmcnt(3)
	v_fma_f32 v113, v133, v161, -v113
	v_mul_f32_e32 v176, v133, v148
	v_fmac_f32_e32 v175, v132, v160
	v_add_f32_e32 v112, v112, v174
	v_add_f32_e32 v111, v111, v113
	s_waitcnt lgkmcnt(0)
	v_mul_f32_e32 v113, v136, v149
	v_mul_f32_e32 v177, v135, v149
	v_fmac_f32_e32 v176, v134, v161
	v_add_f32_e32 v112, v112, v175
	s_waitcnt vmcnt(2)
	v_fma_f32 v113, v135, v162, -v113
	v_fmac_f32_e32 v177, v136, v162
	v_add_f32_e32 v112, v112, v176
	v_add_f32_e32 v111, v111, v113
	;; [unrolled: 1-line block ×3, first 2 shown]
	s_waitcnt vmcnt(1)
	v_sub_f32_e32 v111, v163, v111
	s_waitcnt vmcnt(0)
	v_sub_f32_e32 v112, v164, v112
	buffer_store_dword v111, off, s[0:3], 0 offset:320
	buffer_store_dword v112, off, s[0:3], 0 offset:324
	s_and_saveexec_b64 s[4:5], vcc
	s_cbranch_execz .LBB117_259
; %bb.258:
	buffer_load_dword v111, off, s[0:3], 0 offset:312
	buffer_load_dword v112, off, s[0:3], 0 offset:316
	s_waitcnt vmcnt(0)
	ds_write_b64 v109, v[111:112]
	buffer_store_dword v110, off, s[0:3], 0 offset:312
	buffer_store_dword v110, off, s[0:3], 0 offset:316
.LBB117_259:
	s_or_b64 exec, exec, s[4:5]
	s_waitcnt lgkmcnt(0)
	; wave barrier
	buffer_load_dword v139, off, s[0:3], 0 offset:324
	buffer_load_dword v140, off, s[0:3], 0 offset:332
	buffer_load_dword v141, off, s[0:3], 0 offset:340
	buffer_load_dword v142, off, s[0:3], 0 offset:348
	buffer_load_dword v143, off, s[0:3], 0 offset:356
	buffer_load_dword v144, off, s[0:3], 0 offset:364
	buffer_load_dword v145, off, s[0:3], 0 offset:372
	buffer_load_dword v146, off, s[0:3], 0 offset:380
	buffer_load_dword v147, off, s[0:3], 0 offset:388
	buffer_load_dword v148, off, s[0:3], 0 offset:396
	buffer_load_dword v149, off, s[0:3], 0 offset:404
	buffer_load_dword v150, off, s[0:3], 0 offset:412
	buffer_load_dword v151, off, s[0:3], 0 offset:420
	buffer_load_dword v152, off, s[0:3], 0 offset:428
	buffer_load_dword v153, off, s[0:3], 0 offset:320
	buffer_load_dword v154, off, s[0:3], 0 offset:328
	buffer_load_dword v155, off, s[0:3], 0 offset:336
	buffer_load_dword v156, off, s[0:3], 0 offset:344
	buffer_load_dword v157, off, s[0:3], 0 offset:352
	buffer_load_dword v158, off, s[0:3], 0 offset:360
	buffer_load_dword v159, off, s[0:3], 0 offset:368
	buffer_load_dword v160, off, s[0:3], 0 offset:376
	buffer_load_dword v161, off, s[0:3], 0 offset:384
	buffer_load_dword v162, off, s[0:3], 0 offset:392
	buffer_load_dword v163, off, s[0:3], 0 offset:400
	buffer_load_dword v164, off, s[0:3], 0 offset:408
	buffer_load_dword v165, off, s[0:3], 0 offset:416
	buffer_load_dword v166, off, s[0:3], 0 offset:424
	buffer_load_dword v167, off, s[0:3], 0 offset:312
	buffer_load_dword v168, off, s[0:3], 0 offset:316
	ds_read_b128 v[111:114], v110 offset:752
	ds_read_b128 v[115:118], v110 offset:768
	ds_read_b128 v[119:122], v110 offset:784
	ds_read_b128 v[123:126], v110 offset:800
	ds_read_b128 v[127:130], v110 offset:816
	ds_read_b128 v[131:134], v110 offset:832
	ds_read_b128 v[135:138], v110 offset:848
	v_cmp_lt_u32_e32 vcc, 38, v0
	s_waitcnt vmcnt(29) lgkmcnt(6)
	v_mul_f32_e32 v110, v111, v139
	v_mul_f32_e32 v139, v112, v139
	s_waitcnt vmcnt(28)
	v_mul_f32_e32 v169, v113, v140
	v_mul_f32_e32 v140, v114, v140
	s_waitcnt vmcnt(27) lgkmcnt(5)
	v_mul_f32_e32 v170, v115, v141
	v_mul_f32_e32 v141, v116, v141
	s_waitcnt vmcnt(26)
	v_mul_f32_e32 v171, v117, v142
	v_mul_f32_e32 v142, v118, v142
	s_waitcnt vmcnt(25) lgkmcnt(4)
	v_mul_f32_e32 v172, v119, v143
	v_mul_f32_e32 v143, v120, v143
	s_waitcnt vmcnt(24)
	v_mul_f32_e32 v173, v121, v144
	s_waitcnt vmcnt(23) lgkmcnt(3)
	v_mul_f32_e32 v174, v123, v145
	s_waitcnt vmcnt(22)
	v_mul_f32_e32 v175, v125, v146
	s_waitcnt vmcnt(21) lgkmcnt(2)
	v_mul_f32_e32 v176, v127, v147
	s_waitcnt vmcnt(15)
	v_fma_f32 v111, v111, v153, -v139
	v_fmac_f32_e32 v110, v112, v153
	s_waitcnt vmcnt(14)
	v_fma_f32 v112, v113, v154, -v140
	v_add_f32_e32 v111, 0, v111
	s_waitcnt vmcnt(13)
	v_fma_f32 v113, v115, v155, -v141
	v_add_f32_e32 v111, v111, v112
	v_fmac_f32_e32 v169, v114, v154
	s_waitcnt vmcnt(12)
	v_fma_f32 v114, v117, v156, -v142
	v_add_f32_e32 v111, v111, v113
	s_waitcnt vmcnt(11)
	v_fma_f32 v115, v119, v157, -v143
	v_add_f32_e32 v111, v111, v114
	v_mul_f32_e32 v112, v122, v144
	v_add_f32_e32 v111, v111, v115
	s_waitcnt vmcnt(10)
	v_fma_f32 v112, v121, v158, -v112
	v_add_f32_e32 v111, v111, v112
	v_mul_f32_e32 v112, v124, v145
	s_waitcnt vmcnt(9)
	v_fma_f32 v112, v123, v159, -v112
	v_add_f32_e32 v111, v111, v112
	v_mul_f32_e32 v112, v126, v146
	s_waitcnt vmcnt(8)
	v_fma_f32 v112, v125, v160, -v112
	v_add_f32_e32 v110, 0, v110
	v_add_f32_e32 v111, v111, v112
	v_mul_f32_e32 v112, v128, v147
	v_fmac_f32_e32 v170, v116, v155
	v_add_f32_e32 v110, v110, v169
	s_waitcnt vmcnt(7)
	v_fma_f32 v112, v127, v161, -v112
	v_fmac_f32_e32 v171, v118, v156
	v_add_f32_e32 v110, v110, v170
	v_add_f32_e32 v111, v111, v112
	v_mul_f32_e32 v112, v130, v148
	v_fmac_f32_e32 v172, v120, v157
	v_add_f32_e32 v110, v110, v171
	s_waitcnt vmcnt(6)
	v_fma_f32 v112, v129, v162, -v112
	v_fmac_f32_e32 v173, v122, v158
	v_add_f32_e32 v110, v110, v172
	v_add_f32_e32 v111, v111, v112
	s_waitcnt lgkmcnt(1)
	v_mul_f32_e32 v112, v132, v149
	v_fmac_f32_e32 v174, v124, v159
	v_add_f32_e32 v110, v110, v173
	s_waitcnt vmcnt(5)
	v_fma_f32 v112, v131, v163, -v112
	v_fmac_f32_e32 v175, v126, v160
	v_add_f32_e32 v110, v110, v174
	v_add_f32_e32 v111, v111, v112
	v_mul_f32_e32 v112, v134, v150
	v_mul_f32_e32 v177, v129, v148
	v_fmac_f32_e32 v176, v128, v161
	v_add_f32_e32 v110, v110, v175
	s_waitcnt vmcnt(4)
	v_fma_f32 v112, v133, v164, -v112
	v_mul_f32_e32 v178, v131, v149
	v_fmac_f32_e32 v177, v130, v162
	v_add_f32_e32 v110, v110, v176
	v_add_f32_e32 v111, v111, v112
	s_waitcnt lgkmcnt(0)
	v_mul_f32_e32 v112, v136, v151
	v_mul_f32_e32 v179, v133, v150
	v_fmac_f32_e32 v178, v132, v163
	v_add_f32_e32 v110, v110, v177
	s_waitcnt vmcnt(3)
	v_fma_f32 v112, v135, v165, -v112
	v_mul_f32_e32 v180, v135, v151
	v_fmac_f32_e32 v179, v134, v164
	v_add_f32_e32 v110, v110, v178
	v_add_f32_e32 v111, v111, v112
	v_mul_f32_e32 v112, v138, v152
	v_mul_f32_e32 v181, v137, v152
	v_fmac_f32_e32 v180, v136, v165
	v_add_f32_e32 v110, v110, v179
	s_waitcnt vmcnt(2)
	v_fma_f32 v112, v137, v166, -v112
	v_fmac_f32_e32 v181, v138, v166
	v_add_f32_e32 v110, v110, v180
	v_add_f32_e32 v111, v111, v112
	;; [unrolled: 1-line block ×3, first 2 shown]
	s_waitcnt vmcnt(1)
	v_sub_f32_e32 v111, v167, v111
	s_waitcnt vmcnt(0)
	v_sub_f32_e32 v110, v168, v110
	buffer_store_dword v111, off, s[0:3], 0 offset:312
	buffer_store_dword v110, off, s[0:3], 0 offset:316
	s_and_saveexec_b64 s[4:5], vcc
	s_cbranch_execz .LBB117_261
; %bb.260:
	buffer_load_dword v110, off, s[0:3], 0 offset:304
	buffer_load_dword v111, off, s[0:3], 0 offset:308
	v_mov_b32_e32 v112, 0
	buffer_store_dword v112, off, s[0:3], 0 offset:304
	buffer_store_dword v112, off, s[0:3], 0 offset:308
	s_waitcnt vmcnt(2)
	ds_write_b64 v109, v[110:111]
.LBB117_261:
	s_or_b64 exec, exec, s[4:5]
	s_waitcnt lgkmcnt(0)
	; wave barrier
	buffer_load_dword v141, off, s[0:3], 0 offset:316
	buffer_load_dword v142, off, s[0:3], 0 offset:324
	;; [unrolled: 1-line block ×32, first 2 shown]
	v_mov_b32_e32 v110, 0
	ds_read2_b64 v[111:114], v110 offset0:93 offset1:94
	ds_read2_b64 v[115:118], v110 offset0:95 offset1:96
	;; [unrolled: 1-line block ×7, first 2 shown]
	ds_read_b64 v[139:140], v110 offset:856
	v_cmp_lt_u32_e32 vcc, 37, v0
	s_waitcnt vmcnt(31) lgkmcnt(7)
	v_mul_f32_e32 v173, v111, v141
	v_mul_f32_e32 v141, v112, v141
	s_waitcnt vmcnt(30)
	v_mul_f32_e32 v174, v113, v142
	v_mul_f32_e32 v142, v114, v142
	s_waitcnt vmcnt(29) lgkmcnt(6)
	v_mul_f32_e32 v175, v115, v143
	v_mul_f32_e32 v143, v116, v143
	s_waitcnt vmcnt(28)
	v_mul_f32_e32 v176, v117, v144
	s_waitcnt vmcnt(27) lgkmcnt(5)
	v_mul_f32_e32 v177, v119, v145
	s_waitcnt vmcnt(26)
	v_mul_f32_e32 v178, v121, v146
	s_waitcnt vmcnt(25) lgkmcnt(4)
	;; [unrolled: 4-line block ×4, first 2 shown]
	v_mul_f32_e32 v183, v131, v151
	s_waitcnt vmcnt(20)
	v_mul_f32_e32 v184, v133, v152
	s_waitcnt vmcnt(16)
	v_fma_f32 v111, v111, v156, -v141
	v_fmac_f32_e32 v173, v112, v156
	s_waitcnt vmcnt(15)
	v_fma_f32 v112, v113, v157, -v142
	v_add_f32_e32 v111, 0, v111
	s_waitcnt vmcnt(14)
	v_fma_f32 v113, v115, v158, -v143
	v_add_f32_e32 v111, v111, v112
	v_add_f32_e32 v111, v111, v113
	v_mul_f32_e32 v113, v118, v144
	s_waitcnt vmcnt(13)
	v_fma_f32 v113, v117, v159, -v113
	v_add_f32_e32 v111, v111, v113
	v_mul_f32_e32 v113, v120, v145
	s_waitcnt vmcnt(12)
	v_fma_f32 v113, v119, v160, -v113
	;; [unrolled: 4-line block ×5, first 2 shown]
	v_add_f32_e32 v111, v111, v113
	v_mul_f32_e32 v113, v128, v149
	v_fmac_f32_e32 v174, v114, v157
	v_add_f32_e32 v114, 0, v173
	s_waitcnt vmcnt(8)
	v_fma_f32 v113, v127, v164, -v113
	v_fmac_f32_e32 v175, v116, v158
	v_add_f32_e32 v114, v114, v174
	v_add_f32_e32 v111, v111, v113
	v_mul_f32_e32 v113, v130, v150
	v_fmac_f32_e32 v176, v118, v159
	v_add_f32_e32 v112, v114, v175
	s_waitcnt vmcnt(7)
	v_fma_f32 v113, v129, v165, -v113
	v_fmac_f32_e32 v177, v120, v160
	v_add_f32_e32 v112, v112, v176
	v_add_f32_e32 v111, v111, v113
	v_mul_f32_e32 v113, v132, v151
	v_fmac_f32_e32 v178, v122, v161
	v_add_f32_e32 v112, v112, v177
	s_waitcnt vmcnt(6)
	v_fma_f32 v113, v131, v166, -v113
	v_fmac_f32_e32 v179, v124, v162
	v_add_f32_e32 v112, v112, v178
	v_add_f32_e32 v111, v111, v113
	v_mul_f32_e32 v113, v134, v152
	v_fmac_f32_e32 v180, v126, v163
	v_add_f32_e32 v112, v112, v179
	s_waitcnt vmcnt(5)
	v_fma_f32 v113, v133, v167, -v113
	v_fmac_f32_e32 v181, v128, v164
	v_add_f32_e32 v112, v112, v180
	v_add_f32_e32 v111, v111, v113
	s_waitcnt lgkmcnt(1)
	v_mul_f32_e32 v113, v136, v153
	v_fmac_f32_e32 v182, v130, v165
	v_add_f32_e32 v112, v112, v181
	s_waitcnt vmcnt(4)
	v_fma_f32 v113, v135, v168, -v113
	v_fmac_f32_e32 v183, v132, v166
	v_add_f32_e32 v112, v112, v182
	v_add_f32_e32 v111, v111, v113
	v_mul_f32_e32 v113, v138, v154
	v_mul_f32_e32 v185, v135, v153
	v_fmac_f32_e32 v184, v134, v167
	v_add_f32_e32 v112, v112, v183
	s_waitcnt vmcnt(3)
	v_fma_f32 v113, v137, v169, -v113
	v_mul_f32_e32 v186, v137, v154
	v_fmac_f32_e32 v185, v136, v168
	v_add_f32_e32 v112, v112, v184
	v_add_f32_e32 v111, v111, v113
	s_waitcnt lgkmcnt(0)
	v_mul_f32_e32 v113, v140, v155
	v_mul_f32_e32 v187, v139, v155
	v_fmac_f32_e32 v186, v138, v169
	v_add_f32_e32 v112, v112, v185
	s_waitcnt vmcnt(2)
	v_fma_f32 v113, v139, v170, -v113
	v_fmac_f32_e32 v187, v140, v170
	v_add_f32_e32 v112, v112, v186
	v_add_f32_e32 v111, v111, v113
	;; [unrolled: 1-line block ×3, first 2 shown]
	s_waitcnt vmcnt(1)
	v_sub_f32_e32 v111, v171, v111
	s_waitcnt vmcnt(0)
	v_sub_f32_e32 v112, v172, v112
	buffer_store_dword v111, off, s[0:3], 0 offset:304
	buffer_store_dword v112, off, s[0:3], 0 offset:308
	s_and_saveexec_b64 s[4:5], vcc
	s_cbranch_execz .LBB117_263
; %bb.262:
	buffer_load_dword v111, off, s[0:3], 0 offset:296
	buffer_load_dword v112, off, s[0:3], 0 offset:300
	s_waitcnt vmcnt(0)
	ds_write_b64 v109, v[111:112]
	buffer_store_dword v110, off, s[0:3], 0 offset:296
	buffer_store_dword v110, off, s[0:3], 0 offset:300
.LBB117_263:
	s_or_b64 exec, exec, s[4:5]
	s_waitcnt lgkmcnt(0)
	; wave barrier
	buffer_load_dword v143, off, s[0:3], 0 offset:308
	buffer_load_dword v144, off, s[0:3], 0 offset:316
	;; [unrolled: 1-line block ×34, first 2 shown]
	ds_read_b128 v[111:114], v110 offset:736
	ds_read_b128 v[115:118], v110 offset:752
	;; [unrolled: 1-line block ×8, first 2 shown]
	v_cmp_lt_u32_e32 vcc, 36, v0
	s_waitcnt vmcnt(33) lgkmcnt(7)
	v_mul_f32_e32 v110, v111, v143
	v_mul_f32_e32 v143, v112, v143
	s_waitcnt vmcnt(32)
	v_mul_f32_e32 v177, v113, v144
	v_mul_f32_e32 v144, v114, v144
	s_waitcnt vmcnt(31) lgkmcnt(6)
	v_mul_f32_e32 v178, v115, v145
	s_waitcnt vmcnt(30)
	v_mul_f32_e32 v179, v117, v146
	s_waitcnt vmcnt(29) lgkmcnt(5)
	v_mul_f32_e32 v180, v119, v147
	s_waitcnt vmcnt(28)
	v_mul_f32_e32 v181, v121, v148
	s_waitcnt vmcnt(27) lgkmcnt(4)
	v_mul_f32_e32 v182, v123, v149
	s_waitcnt vmcnt(26)
	v_mul_f32_e32 v183, v125, v150
	s_waitcnt vmcnt(25) lgkmcnt(3)
	v_mul_f32_e32 v184, v127, v151
	s_waitcnt vmcnt(24)
	v_mul_f32_e32 v185, v129, v152
	s_waitcnt vmcnt(23) lgkmcnt(2)
	v_mul_f32_e32 v186, v131, v153
	s_waitcnt vmcnt(22)
	v_mul_f32_e32 v187, v133, v154
	s_waitcnt vmcnt(21) lgkmcnt(1)
	v_mul_f32_e32 v188, v135, v155
	s_waitcnt vmcnt(20)
	v_mul_f32_e32 v189, v137, v156
	s_waitcnt vmcnt(17)
	v_fma_f32 v111, v111, v159, -v143
	v_fmac_f32_e32 v110, v112, v159
	s_waitcnt vmcnt(16)
	v_fma_f32 v112, v113, v160, -v144
	v_add_f32_e32 v111, 0, v111
	v_add_f32_e32 v111, v111, v112
	v_mul_f32_e32 v112, v116, v145
	s_waitcnt vmcnt(15)
	v_fma_f32 v112, v115, v161, -v112
	v_add_f32_e32 v111, v111, v112
	v_mul_f32_e32 v112, v118, v146
	s_waitcnt vmcnt(14)
	v_fma_f32 v112, v117, v162, -v112
	;; [unrolled: 4-line block ×7, first 2 shown]
	v_fmac_f32_e32 v177, v114, v160
	v_add_f32_e32 v110, 0, v110
	v_add_f32_e32 v111, v111, v112
	v_mul_f32_e32 v112, v130, v152
	v_fmac_f32_e32 v178, v116, v161
	v_add_f32_e32 v110, v110, v177
	s_waitcnt vmcnt(8)
	v_fma_f32 v112, v129, v168, -v112
	v_fmac_f32_e32 v179, v118, v162
	v_add_f32_e32 v110, v110, v178
	v_add_f32_e32 v111, v111, v112
	v_mul_f32_e32 v112, v132, v153
	v_fmac_f32_e32 v180, v120, v163
	v_add_f32_e32 v110, v110, v179
	s_waitcnt vmcnt(7)
	v_fma_f32 v112, v131, v169, -v112
	;; [unrolled: 8-line block ×5, first 2 shown]
	v_fmac_f32_e32 v187, v134, v170
	v_add_f32_e32 v110, v110, v186
	v_add_f32_e32 v111, v111, v112
	s_waitcnt lgkmcnt(0)
	v_mul_f32_e32 v112, v140, v157
	v_fmac_f32_e32 v188, v136, v171
	v_add_f32_e32 v110, v110, v187
	s_waitcnt vmcnt(3)
	v_fma_f32 v112, v139, v173, -v112
	v_mul_f32_e32 v190, v139, v157
	v_fmac_f32_e32 v189, v138, v172
	v_add_f32_e32 v110, v110, v188
	v_add_f32_e32 v111, v111, v112
	v_mul_f32_e32 v112, v142, v158
	v_mul_f32_e32 v191, v141, v158
	v_fmac_f32_e32 v190, v140, v173
	v_add_f32_e32 v110, v110, v189
	s_waitcnt vmcnt(2)
	v_fma_f32 v112, v141, v174, -v112
	v_fmac_f32_e32 v191, v142, v174
	v_add_f32_e32 v110, v110, v190
	v_add_f32_e32 v111, v111, v112
	v_add_f32_e32 v110, v110, v191
	s_waitcnt vmcnt(1)
	v_sub_f32_e32 v111, v175, v111
	s_waitcnt vmcnt(0)
	v_sub_f32_e32 v110, v176, v110
	buffer_store_dword v111, off, s[0:3], 0 offset:296
	buffer_store_dword v110, off, s[0:3], 0 offset:300
	s_and_saveexec_b64 s[4:5], vcc
	s_cbranch_execz .LBB117_265
; %bb.264:
	buffer_load_dword v110, off, s[0:3], 0 offset:288
	buffer_load_dword v111, off, s[0:3], 0 offset:292
	v_mov_b32_e32 v112, 0
	buffer_store_dword v112, off, s[0:3], 0 offset:288
	buffer_store_dword v112, off, s[0:3], 0 offset:292
	s_waitcnt vmcnt(2)
	ds_write_b64 v109, v[110:111]
.LBB117_265:
	s_or_b64 exec, exec, s[4:5]
	s_waitcnt lgkmcnt(0)
	; wave barrier
	buffer_load_dword v145, off, s[0:3], 0 offset:300
	buffer_load_dword v146, off, s[0:3], 0 offset:308
	;; [unrolled: 1-line block ×36, first 2 shown]
	v_mov_b32_e32 v110, 0
	ds_read2_b64 v[111:114], v110 offset0:91 offset1:92
	ds_read2_b64 v[115:118], v110 offset0:93 offset1:94
	;; [unrolled: 1-line block ×8, first 2 shown]
	ds_read_b64 v[143:144], v110 offset:856
	v_cmp_lt_u32_e32 vcc, 35, v0
	s_waitcnt vmcnt(35) lgkmcnt(8)
	v_mul_f32_e32 v181, v111, v145
	s_waitcnt vmcnt(34)
	v_mul_f32_e32 v182, v113, v146
	s_waitcnt vmcnt(33) lgkmcnt(7)
	v_mul_f32_e32 v183, v115, v147
	s_waitcnt vmcnt(32)
	v_mul_f32_e32 v184, v117, v148
	;; [unrolled: 4-line block ×8, first 2 shown]
	s_waitcnt vmcnt(19) lgkmcnt(0)
	v_mul_f32_e32 v197, v143, v161
	s_waitcnt vmcnt(18)
	v_fmac_f32_e32 v181, v112, v162
	v_mul_f32_e32 v112, v112, v145
	v_fma_f32 v111, v111, v162, -v112
	v_mul_f32_e32 v112, v114, v146
	v_add_f32_e32 v111, 0, v111
	s_waitcnt vmcnt(17)
	v_fma_f32 v112, v113, v163, -v112
	v_add_f32_e32 v111, v111, v112
	v_mul_f32_e32 v112, v116, v147
	s_waitcnt vmcnt(16)
	v_fma_f32 v112, v115, v164, -v112
	v_add_f32_e32 v111, v111, v112
	v_mul_f32_e32 v112, v118, v148
	;; [unrolled: 4-line block ×8, first 2 shown]
	v_fmac_f32_e32 v182, v114, v163
	v_add_f32_e32 v181, 0, v181
	s_waitcnt vmcnt(9)
	v_fma_f32 v112, v129, v171, -v112
	v_fmac_f32_e32 v183, v116, v164
	v_add_f32_e32 v181, v181, v182
	v_add_f32_e32 v111, v111, v112
	v_mul_f32_e32 v112, v132, v155
	v_fmac_f32_e32 v184, v118, v165
	v_add_f32_e32 v181, v181, v183
	s_waitcnt vmcnt(8)
	v_fma_f32 v112, v131, v172, -v112
	v_fmac_f32_e32 v185, v120, v166
	v_add_f32_e32 v181, v181, v184
	v_add_f32_e32 v111, v111, v112
	v_mul_f32_e32 v112, v134, v156
	;; [unrolled: 8-line block ×7, first 2 shown]
	v_fmac_f32_e32 v196, v142, v177
	v_add_f32_e32 v181, v181, v195
	s_waitcnt vmcnt(2)
	v_fma_f32 v112, v143, v178, -v112
	v_fmac_f32_e32 v197, v144, v178
	v_add_f32_e32 v181, v181, v196
	v_add_f32_e32 v111, v111, v112
	;; [unrolled: 1-line block ×3, first 2 shown]
	s_waitcnt vmcnt(1)
	v_sub_f32_e32 v111, v179, v111
	s_waitcnt vmcnt(0)
	v_sub_f32_e32 v112, v180, v181
	buffer_store_dword v111, off, s[0:3], 0 offset:288
	buffer_store_dword v112, off, s[0:3], 0 offset:292
	s_and_saveexec_b64 s[4:5], vcc
	s_cbranch_execz .LBB117_267
; %bb.266:
	buffer_load_dword v111, off, s[0:3], 0 offset:280
	buffer_load_dword v112, off, s[0:3], 0 offset:284
	s_waitcnt vmcnt(0)
	ds_write_b64 v109, v[111:112]
	buffer_store_dword v110, off, s[0:3], 0 offset:280
	buffer_store_dword v110, off, s[0:3], 0 offset:284
.LBB117_267:
	s_or_b64 exec, exec, s[4:5]
	s_waitcnt lgkmcnt(0)
	; wave barrier
	buffer_load_dword v147, off, s[0:3], 0 offset:292
	buffer_load_dword v148, off, s[0:3], 0 offset:300
	;; [unrolled: 1-line block ×38, first 2 shown]
	ds_read_b128 v[111:114], v110 offset:720
	ds_read_b128 v[115:118], v110 offset:736
	;; [unrolled: 1-line block ×9, first 2 shown]
	v_cmp_lt_u32_e32 vcc, 34, v0
	s_waitcnt vmcnt(37) lgkmcnt(8)
	v_mul_f32_e32 v110, v111, v147
	s_waitcnt vmcnt(36)
	v_mul_f32_e32 v185, v113, v148
	s_waitcnt vmcnt(35) lgkmcnt(7)
	v_mul_f32_e32 v186, v115, v149
	s_waitcnt vmcnt(34)
	v_mul_f32_e32 v187, v117, v150
	;; [unrolled: 4-line block ×8, first 2 shown]
	s_waitcnt vmcnt(21) lgkmcnt(0)
	v_mul_f32_e32 v200, v143, v163
	s_waitcnt vmcnt(20)
	v_fmac_f32_e32 v110, v112, v164
	v_mul_f32_e32 v112, v112, v147
	v_fma_f32 v111, v111, v164, -v112
	v_mul_f32_e32 v112, v114, v148
	v_add_f32_e32 v111, 0, v111
	s_waitcnt vmcnt(19)
	v_fma_f32 v112, v113, v165, -v112
	v_add_f32_e32 v111, v111, v112
	v_mul_f32_e32 v112, v116, v149
	s_waitcnt vmcnt(18)
	v_fma_f32 v112, v115, v166, -v112
	v_add_f32_e32 v111, v111, v112
	v_mul_f32_e32 v112, v118, v150
	;; [unrolled: 4-line block ×8, first 2 shown]
	s_waitcnt vmcnt(11)
	v_fma_f32 v112, v129, v173, -v112
	v_fmac_f32_e32 v185, v114, v165
	v_add_f32_e32 v110, 0, v110
	v_add_f32_e32 v111, v111, v112
	v_mul_f32_e32 v112, v132, v157
	v_fmac_f32_e32 v186, v116, v166
	v_add_f32_e32 v110, v110, v185
	s_waitcnt vmcnt(10)
	v_fma_f32 v112, v131, v174, -v112
	v_fmac_f32_e32 v187, v118, v167
	v_add_f32_e32 v110, v110, v186
	v_add_f32_e32 v111, v111, v112
	v_mul_f32_e32 v112, v134, v158
	v_fmac_f32_e32 v188, v120, v168
	v_add_f32_e32 v110, v110, v187
	;; [unrolled: 8-line block ×7, first 2 shown]
	s_waitcnt vmcnt(4)
	v_fma_f32 v112, v143, v180, -v112
	v_fmac_f32_e32 v199, v142, v179
	v_add_f32_e32 v110, v110, v198
	v_add_f32_e32 v111, v111, v112
	s_waitcnt vmcnt(3)
	v_mul_f32_e32 v112, v146, v181
	v_add_f32_e32 v110, v110, v199
	v_fmac_f32_e32 v200, v144, v180
	v_mul_f32_e32 v185, v145, v181
	s_waitcnt vmcnt(2)
	v_fma_f32 v112, v145, v182, -v112
	v_add_f32_e32 v110, v110, v200
	v_fmac_f32_e32 v185, v146, v182
	v_add_f32_e32 v111, v111, v112
	v_add_f32_e32 v110, v110, v185
	s_waitcnt vmcnt(1)
	v_sub_f32_e32 v111, v183, v111
	s_waitcnt vmcnt(0)
	v_sub_f32_e32 v110, v184, v110
	buffer_store_dword v111, off, s[0:3], 0 offset:280
	buffer_store_dword v110, off, s[0:3], 0 offset:284
	s_and_saveexec_b64 s[4:5], vcc
	s_cbranch_execz .LBB117_269
; %bb.268:
	buffer_load_dword v110, off, s[0:3], 0 offset:272
	buffer_load_dword v111, off, s[0:3], 0 offset:276
	v_mov_b32_e32 v112, 0
	buffer_store_dword v112, off, s[0:3], 0 offset:272
	buffer_store_dword v112, off, s[0:3], 0 offset:276
	s_waitcnt vmcnt(2)
	ds_write_b64 v109, v[110:111]
.LBB117_269:
	s_or_b64 exec, exec, s[4:5]
	s_waitcnt lgkmcnt(0)
	; wave barrier
	buffer_load_dword v149, off, s[0:3], 0 offset:284
	buffer_load_dword v150, off, s[0:3], 0 offset:292
	buffer_load_dword v151, off, s[0:3], 0 offset:300
	buffer_load_dword v152, off, s[0:3], 0 offset:308
	buffer_load_dword v153, off, s[0:3], 0 offset:316
	buffer_load_dword v154, off, s[0:3], 0 offset:324
	buffer_load_dword v155, off, s[0:3], 0 offset:332
	buffer_load_dword v156, off, s[0:3], 0 offset:340
	buffer_load_dword v157, off, s[0:3], 0 offset:348
	buffer_load_dword v158, off, s[0:3], 0 offset:356
	buffer_load_dword v159, off, s[0:3], 0 offset:364
	buffer_load_dword v160, off, s[0:3], 0 offset:372
	buffer_load_dword v161, off, s[0:3], 0 offset:380
	buffer_load_dword v162, off, s[0:3], 0 offset:388
	buffer_load_dword v163, off, s[0:3], 0 offset:396
	buffer_load_dword v164, off, s[0:3], 0 offset:280
	buffer_load_dword v165, off, s[0:3], 0 offset:288
	buffer_load_dword v166, off, s[0:3], 0 offset:296
	buffer_load_dword v167, off, s[0:3], 0 offset:304
	buffer_load_dword v168, off, s[0:3], 0 offset:312
	buffer_load_dword v169, off, s[0:3], 0 offset:320
	buffer_load_dword v170, off, s[0:3], 0 offset:328
	buffer_load_dword v171, off, s[0:3], 0 offset:336
	buffer_load_dword v172, off, s[0:3], 0 offset:344
	buffer_load_dword v173, off, s[0:3], 0 offset:352
	buffer_load_dword v174, off, s[0:3], 0 offset:360
	buffer_load_dword v175, off, s[0:3], 0 offset:368
	buffer_load_dword v176, off, s[0:3], 0 offset:376
	buffer_load_dword v177, off, s[0:3], 0 offset:384
	buffer_load_dword v178, off, s[0:3], 0 offset:392
	buffer_load_dword v179, off, s[0:3], 0 offset:404
	buffer_load_dword v180, off, s[0:3], 0 offset:400
	buffer_load_dword v181, off, s[0:3], 0 offset:412
	buffer_load_dword v182, off, s[0:3], 0 offset:408
	buffer_load_dword v183, off, s[0:3], 0 offset:420
	buffer_load_dword v184, off, s[0:3], 0 offset:416
	buffer_load_dword v185, off, s[0:3], 0 offset:428
	buffer_load_dword v186, off, s[0:3], 0 offset:424
	buffer_load_dword v187, off, s[0:3], 0 offset:272
	buffer_load_dword v188, off, s[0:3], 0 offset:276
	v_mov_b32_e32 v110, 0
	ds_read2_b64 v[111:114], v110 offset0:89 offset1:90
	ds_read2_b64 v[115:118], v110 offset0:91 offset1:92
	ds_read2_b64 v[119:122], v110 offset0:93 offset1:94
	ds_read2_b64 v[123:126], v110 offset0:95 offset1:96
	ds_read2_b64 v[127:130], v110 offset0:97 offset1:98
	ds_read2_b64 v[131:134], v110 offset0:99 offset1:100
	ds_read2_b64 v[135:138], v110 offset0:101 offset1:102
	ds_read2_b64 v[139:142], v110 offset0:103 offset1:104
	ds_read2_b64 v[143:146], v110 offset0:105 offset1:106
	v_cmp_lt_u32_e32 vcc, 33, v0
	s_waitcnt vmcnt(39) lgkmcnt(8)
	v_mul_f32_e32 v147, v111, v149
	s_waitcnt vmcnt(38)
	v_mul_f32_e32 v148, v113, v150
	s_waitcnt vmcnt(37) lgkmcnt(7)
	v_mul_f32_e32 v189, v115, v151
	s_waitcnt vmcnt(36)
	v_mul_f32_e32 v190, v117, v152
	;; [unrolled: 4-line block ×7, first 2 shown]
	s_waitcnt vmcnt(25) lgkmcnt(1)
	v_mul_f32_e32 v201, v139, v163
	s_waitcnt vmcnt(24)
	v_fmac_f32_e32 v147, v112, v164
	v_mul_f32_e32 v112, v112, v149
	v_fma_f32 v111, v111, v164, -v112
	v_mul_f32_e32 v112, v114, v150
	v_add_f32_e32 v111, 0, v111
	s_waitcnt vmcnt(23)
	v_fma_f32 v112, v113, v165, -v112
	v_add_f32_e32 v111, v111, v112
	v_mul_f32_e32 v112, v116, v151
	s_waitcnt vmcnt(22)
	v_fma_f32 v112, v115, v166, -v112
	v_add_f32_e32 v111, v111, v112
	v_mul_f32_e32 v112, v118, v152
	;; [unrolled: 4-line block ×6, first 2 shown]
	s_waitcnt vmcnt(17)
	v_fma_f32 v112, v125, v171, -v112
	v_fmac_f32_e32 v148, v114, v165
	v_add_f32_e32 v147, 0, v147
	v_add_f32_e32 v111, v111, v112
	v_mul_f32_e32 v112, v128, v157
	v_fmac_f32_e32 v189, v116, v166
	v_add_f32_e32 v147, v147, v148
	s_waitcnt vmcnt(16)
	v_fma_f32 v112, v127, v172, -v112
	v_fmac_f32_e32 v190, v118, v167
	v_add_f32_e32 v147, v147, v189
	v_add_f32_e32 v111, v111, v112
	v_mul_f32_e32 v112, v130, v158
	v_fmac_f32_e32 v191, v120, v168
	v_add_f32_e32 v147, v147, v190
	s_waitcnt vmcnt(15)
	v_fma_f32 v112, v129, v173, -v112
	v_fmac_f32_e32 v192, v122, v169
	v_add_f32_e32 v147, v147, v191
	v_add_f32_e32 v111, v111, v112
	v_mul_f32_e32 v112, v132, v159
	v_fmac_f32_e32 v193, v124, v170
	v_add_f32_e32 v147, v147, v192
	s_waitcnt vmcnt(14)
	v_fma_f32 v112, v131, v174, -v112
	v_fmac_f32_e32 v194, v126, v171
	v_add_f32_e32 v147, v147, v193
	v_add_f32_e32 v111, v111, v112
	v_mul_f32_e32 v112, v134, v160
	v_fmac_f32_e32 v195, v128, v172
	v_add_f32_e32 v147, v147, v194
	s_waitcnt vmcnt(13)
	v_fma_f32 v112, v133, v175, -v112
	v_fmac_f32_e32 v196, v130, v173
	v_add_f32_e32 v147, v147, v195
	v_add_f32_e32 v111, v111, v112
	v_mul_f32_e32 v112, v136, v161
	v_fmac_f32_e32 v197, v132, v174
	v_add_f32_e32 v147, v147, v196
	s_waitcnt vmcnt(12)
	v_fma_f32 v112, v135, v176, -v112
	v_fmac_f32_e32 v198, v134, v175
	v_add_f32_e32 v147, v147, v197
	v_add_f32_e32 v111, v111, v112
	v_mul_f32_e32 v112, v138, v162
	v_fmac_f32_e32 v199, v136, v176
	v_add_f32_e32 v147, v147, v198
	s_waitcnt vmcnt(11)
	v_fma_f32 v112, v137, v177, -v112
	v_fmac_f32_e32 v200, v138, v177
	v_add_f32_e32 v147, v147, v199
	v_add_f32_e32 v111, v111, v112
	v_mul_f32_e32 v112, v140, v163
	s_waitcnt vmcnt(10)
	v_fmac_f32_e32 v201, v140, v178
	v_add_f32_e32 v147, v147, v200
	s_waitcnt vmcnt(9)
	v_mul_f32_e32 v148, v141, v179
	v_fma_f32 v112, v139, v178, -v112
	v_add_f32_e32 v147, v147, v201
	s_waitcnt vmcnt(8)
	v_fmac_f32_e32 v148, v142, v180
	v_add_f32_e32 v111, v111, v112
	v_mul_f32_e32 v112, v142, v179
	v_add_f32_e32 v189, v147, v148
	ds_read_b64 v[147:148], v110 offset:856
	v_fma_f32 v112, v141, v180, -v112
	v_add_f32_e32 v111, v111, v112
	s_waitcnt vmcnt(7) lgkmcnt(1)
	v_mul_f32_e32 v112, v144, v181
	v_mul_f32_e32 v190, v143, v181
	s_waitcnt vmcnt(6)
	v_fma_f32 v112, v143, v182, -v112
	v_fmac_f32_e32 v190, v144, v182
	v_add_f32_e32 v111, v111, v112
	s_waitcnt vmcnt(5)
	v_mul_f32_e32 v112, v146, v183
	v_add_f32_e32 v189, v189, v190
	v_mul_f32_e32 v190, v145, v183
	s_waitcnt vmcnt(4)
	v_fma_f32 v112, v145, v184, -v112
	v_fmac_f32_e32 v190, v146, v184
	v_add_f32_e32 v111, v111, v112
	s_waitcnt vmcnt(3) lgkmcnt(0)
	v_mul_f32_e32 v112, v148, v185
	v_add_f32_e32 v189, v189, v190
	v_mul_f32_e32 v190, v147, v185
	s_waitcnt vmcnt(2)
	v_fma_f32 v112, v147, v186, -v112
	v_fmac_f32_e32 v190, v148, v186
	v_add_f32_e32 v111, v111, v112
	v_add_f32_e32 v189, v189, v190
	s_waitcnt vmcnt(1)
	v_sub_f32_e32 v111, v187, v111
	s_waitcnt vmcnt(0)
	v_sub_f32_e32 v112, v188, v189
	buffer_store_dword v111, off, s[0:3], 0 offset:272
	buffer_store_dword v112, off, s[0:3], 0 offset:276
	s_and_saveexec_b64 s[4:5], vcc
	s_cbranch_execz .LBB117_271
; %bb.270:
	buffer_load_dword v111, off, s[0:3], 0 offset:264
	buffer_load_dword v112, off, s[0:3], 0 offset:268
	s_waitcnt vmcnt(0)
	ds_write_b64 v109, v[111:112]
	buffer_store_dword v110, off, s[0:3], 0 offset:264
	buffer_store_dword v110, off, s[0:3], 0 offset:268
.LBB117_271:
	s_or_b64 exec, exec, s[4:5]
	s_waitcnt lgkmcnt(0)
	; wave barrier
	buffer_load_dword v151, off, s[0:3], 0 offset:276
	buffer_load_dword v152, off, s[0:3], 0 offset:284
	;; [unrolled: 1-line block ×42, first 2 shown]
	ds_read_b128 v[111:114], v110 offset:704
	ds_read_b128 v[115:118], v110 offset:720
	;; [unrolled: 1-line block ×8, first 2 shown]
	v_cmp_lt_u32_e32 vcc, 32, v0
	s_waitcnt vmcnt(41) lgkmcnt(7)
	v_mul_f32_e32 v143, v111, v151
	s_waitcnt vmcnt(40)
	v_mul_f32_e32 v144, v113, v152
	s_waitcnt vmcnt(39) lgkmcnt(6)
	v_mul_f32_e32 v145, v115, v153
	s_waitcnt vmcnt(38)
	v_mul_f32_e32 v146, v117, v154
	;; [unrolled: 4-line block ×7, first 2 shown]
	s_waitcnt vmcnt(27) lgkmcnt(0)
	v_mul_f32_e32 v199, v139, v165
	s_waitcnt vmcnt(26)
	v_fmac_f32_e32 v143, v112, v166
	v_mul_f32_e32 v112, v112, v151
	v_fma_f32 v111, v111, v166, -v112
	v_mul_f32_e32 v112, v114, v152
	v_add_f32_e32 v111, 0, v111
	s_waitcnt vmcnt(25)
	v_fma_f32 v112, v113, v167, -v112
	v_add_f32_e32 v111, v111, v112
	v_mul_f32_e32 v112, v116, v153
	s_waitcnt vmcnt(24)
	v_fma_f32 v112, v115, v168, -v112
	v_add_f32_e32 v111, v111, v112
	v_mul_f32_e32 v112, v118, v154
	;; [unrolled: 4-line block ×5, first 2 shown]
	v_fmac_f32_e32 v144, v114, v167
	v_add_f32_e32 v143, 0, v143
	s_waitcnt vmcnt(20)
	v_fma_f32 v112, v123, v172, -v112
	v_fmac_f32_e32 v145, v116, v168
	v_add_f32_e32 v143, v143, v144
	v_add_f32_e32 v111, v111, v112
	v_mul_f32_e32 v112, v126, v158
	v_fmac_f32_e32 v146, v118, v169
	v_add_f32_e32 v143, v143, v145
	s_waitcnt vmcnt(19)
	v_fma_f32 v112, v125, v173, -v112
	v_fmac_f32_e32 v147, v120, v170
	v_add_f32_e32 v143, v143, v146
	v_add_f32_e32 v111, v111, v112
	v_mul_f32_e32 v112, v128, v159
	;; [unrolled: 8-line block ×5, first 2 shown]
	s_waitcnt vmcnt(15)
	v_fmac_f32_e32 v196, v134, v177
	v_add_f32_e32 v143, v143, v195
	v_fma_f32 v112, v133, v177, -v112
	s_waitcnt vmcnt(14)
	v_fmac_f32_e32 v197, v136, v178
	v_add_f32_e32 v143, v143, v196
	v_add_f32_e32 v111, v111, v112
	v_mul_f32_e32 v112, v136, v163
	s_waitcnt vmcnt(13)
	v_fmac_f32_e32 v198, v138, v179
	v_add_f32_e32 v143, v143, v197
	v_fma_f32 v112, v135, v178, -v112
	s_waitcnt vmcnt(12)
	v_fmac_f32_e32 v199, v140, v180
	v_add_f32_e32 v143, v143, v198
	v_add_f32_e32 v111, v111, v112
	v_mul_f32_e32 v112, v138, v164
	v_add_f32_e32 v147, v143, v199
	ds_read_b128 v[143:146], v110 offset:832
	v_fma_f32 v112, v137, v179, -v112
	v_add_f32_e32 v111, v111, v112
	v_mul_f32_e32 v112, v140, v165
	s_waitcnt vmcnt(11)
	v_mul_f32_e32 v148, v141, v181
	v_fma_f32 v112, v139, v180, -v112
	s_waitcnt vmcnt(10)
	v_fmac_f32_e32 v148, v142, v182
	v_add_f32_e32 v111, v111, v112
	v_mul_f32_e32 v112, v142, v181
	v_add_f32_e32 v193, v147, v148
	ds_read_b128 v[147:150], v110 offset:848
	v_fma_f32 v112, v141, v182, -v112
	v_add_f32_e32 v111, v111, v112
	s_waitcnt vmcnt(9) lgkmcnt(1)
	v_mul_f32_e32 v112, v144, v183
	v_mul_f32_e32 v110, v143, v183
	s_waitcnt vmcnt(8)
	v_fma_f32 v112, v143, v184, -v112
	v_fmac_f32_e32 v110, v144, v184
	v_add_f32_e32 v111, v111, v112
	s_waitcnt vmcnt(7)
	v_mul_f32_e32 v112, v146, v185
	v_add_f32_e32 v110, v193, v110
	v_mul_f32_e32 v193, v145, v185
	s_waitcnt vmcnt(6)
	v_fma_f32 v112, v145, v186, -v112
	v_fmac_f32_e32 v193, v146, v186
	v_add_f32_e32 v111, v111, v112
	s_waitcnt vmcnt(5) lgkmcnt(0)
	v_mul_f32_e32 v112, v148, v187
	v_add_f32_e32 v110, v110, v193
	v_mul_f32_e32 v193, v147, v187
	s_waitcnt vmcnt(4)
	v_fma_f32 v112, v147, v188, -v112
	v_fmac_f32_e32 v193, v148, v188
	v_add_f32_e32 v111, v111, v112
	s_waitcnt vmcnt(3)
	v_mul_f32_e32 v112, v150, v189
	v_add_f32_e32 v110, v110, v193
	v_mul_f32_e32 v193, v149, v189
	s_waitcnt vmcnt(2)
	v_fma_f32 v112, v149, v190, -v112
	v_fmac_f32_e32 v193, v150, v190
	v_add_f32_e32 v111, v111, v112
	v_add_f32_e32 v110, v110, v193
	s_waitcnt vmcnt(1)
	v_sub_f32_e32 v111, v191, v111
	s_waitcnt vmcnt(0)
	v_sub_f32_e32 v110, v192, v110
	buffer_store_dword v111, off, s[0:3], 0 offset:264
	buffer_store_dword v110, off, s[0:3], 0 offset:268
	s_and_saveexec_b64 s[4:5], vcc
	s_cbranch_execz .LBB117_273
; %bb.272:
	buffer_load_dword v110, off, s[0:3], 0 offset:256
	buffer_load_dword v111, off, s[0:3], 0 offset:260
	v_mov_b32_e32 v112, 0
	buffer_store_dword v112, off, s[0:3], 0 offset:256
	buffer_store_dword v112, off, s[0:3], 0 offset:260
	s_waitcnt vmcnt(2)
	ds_write_b64 v109, v[110:111]
.LBB117_273:
	s_or_b64 exec, exec, s[4:5]
	s_waitcnt lgkmcnt(0)
	; wave barrier
	buffer_load_dword v153, off, s[0:3], 0 offset:268
	buffer_load_dword v154, off, s[0:3], 0 offset:276
	;; [unrolled: 1-line block ×44, first 2 shown]
	v_mov_b32_e32 v110, 0
	ds_read2_b64 v[111:114], v110 offset0:87 offset1:88
	ds_read2_b64 v[115:118], v110 offset0:89 offset1:90
	;; [unrolled: 1-line block ×8, first 2 shown]
	v_cmp_lt_u32_e32 vcc, 31, v0
	s_waitcnt vmcnt(43) lgkmcnt(7)
	v_mul_f32_e32 v143, v111, v153
	s_waitcnt vmcnt(42)
	v_mul_f32_e32 v144, v113, v154
	s_waitcnt vmcnt(41) lgkmcnt(6)
	v_mul_f32_e32 v145, v115, v155
	s_waitcnt vmcnt(40)
	v_mul_f32_e32 v146, v117, v156
	s_waitcnt vmcnt(39) lgkmcnt(5)
	v_mul_f32_e32 v147, v119, v157
	s_waitcnt vmcnt(38)
	v_mul_f32_e32 v148, v121, v158
	s_waitcnt vmcnt(37) lgkmcnt(4)
	v_mul_f32_e32 v149, v123, v159
	s_waitcnt vmcnt(36)
	v_mul_f32_e32 v150, v125, v160
	s_waitcnt vmcnt(35) lgkmcnt(3)
	v_mul_f32_e32 v151, v127, v161
	s_waitcnt vmcnt(34)
	v_mul_f32_e32 v152, v129, v162
	s_waitcnt vmcnt(33) lgkmcnt(2)
	v_mul_f32_e32 v197, v131, v163
	s_waitcnt vmcnt(32)
	v_mul_f32_e32 v198, v133, v164
	s_waitcnt vmcnt(31) lgkmcnt(1)
	v_mul_f32_e32 v199, v135, v165
	s_waitcnt vmcnt(30)
	v_mul_f32_e32 v200, v137, v166
	s_waitcnt vmcnt(29)
	v_fmac_f32_e32 v143, v112, v167
	v_mul_f32_e32 v112, v112, v153
	v_fma_f32 v111, v111, v167, -v112
	v_mul_f32_e32 v112, v114, v154
	v_add_f32_e32 v111, 0, v111
	s_waitcnt vmcnt(28)
	v_fma_f32 v112, v113, v168, -v112
	v_add_f32_e32 v111, v111, v112
	v_mul_f32_e32 v112, v116, v155
	s_waitcnt vmcnt(27)
	v_fma_f32 v112, v115, v169, -v112
	v_add_f32_e32 v111, v111, v112
	v_mul_f32_e32 v112, v118, v156
	;; [unrolled: 4-line block ×4, first 2 shown]
	s_waitcnt vmcnt(24)
	v_fma_f32 v112, v121, v172, -v112
	v_fmac_f32_e32 v144, v114, v168
	v_add_f32_e32 v143, 0, v143
	v_add_f32_e32 v111, v111, v112
	v_mul_f32_e32 v112, v124, v159
	v_fmac_f32_e32 v145, v116, v169
	v_add_f32_e32 v143, v143, v144
	s_waitcnt vmcnt(23)
	v_fma_f32 v112, v123, v173, -v112
	v_fmac_f32_e32 v146, v118, v170
	v_add_f32_e32 v143, v143, v145
	v_add_f32_e32 v111, v111, v112
	v_mul_f32_e32 v112, v126, v160
	v_fmac_f32_e32 v147, v120, v171
	v_add_f32_e32 v143, v143, v146
	;; [unrolled: 8-line block ×4, first 2 shown]
	s_waitcnt vmcnt(20)
	v_fma_f32 v112, v129, v176, -v112
	v_fmac_f32_e32 v152, v130, v176
	v_add_f32_e32 v143, v143, v151
	v_add_f32_e32 v111, v111, v112
	v_mul_f32_e32 v112, v132, v163
	s_waitcnt vmcnt(19)
	v_fmac_f32_e32 v197, v132, v177
	v_add_f32_e32 v143, v143, v152
	v_fma_f32 v112, v131, v177, -v112
	s_waitcnt vmcnt(18)
	v_fmac_f32_e32 v198, v134, v178
	v_add_f32_e32 v143, v143, v197
	v_add_f32_e32 v111, v111, v112
	v_mul_f32_e32 v112, v134, v164
	s_waitcnt vmcnt(17)
	v_fmac_f32_e32 v199, v136, v179
	v_add_f32_e32 v143, v143, v198
	v_fma_f32 v112, v133, v178, -v112
	v_add_f32_e32 v143, v143, v199
	s_waitcnt vmcnt(16)
	v_fmac_f32_e32 v200, v138, v180
	s_waitcnt vmcnt(15) lgkmcnt(0)
	v_mul_f32_e32 v144, v139, v181
	v_add_f32_e32 v111, v111, v112
	v_mul_f32_e32 v112, v136, v165
	v_add_f32_e32 v143, v143, v200
	s_waitcnt vmcnt(14)
	v_fmac_f32_e32 v144, v140, v182
	v_fma_f32 v112, v135, v179, -v112
	v_add_f32_e32 v147, v143, v144
	ds_read2_b64 v[143:146], v110 offset0:103 offset1:104
	v_add_f32_e32 v111, v111, v112
	v_mul_f32_e32 v112, v138, v166
	v_fma_f32 v112, v137, v180, -v112
	v_add_f32_e32 v111, v111, v112
	v_mul_f32_e32 v112, v140, v181
	s_waitcnt vmcnt(13)
	v_mul_f32_e32 v148, v141, v183
	v_fma_f32 v112, v139, v182, -v112
	s_waitcnt vmcnt(12)
	v_fmac_f32_e32 v148, v142, v184
	v_add_f32_e32 v111, v111, v112
	v_mul_f32_e32 v112, v142, v183
	v_add_f32_e32 v151, v147, v148
	ds_read2_b64 v[147:150], v110 offset0:105 offset1:106
	s_waitcnt vmcnt(11) lgkmcnt(1)
	v_mul_f32_e32 v152, v143, v185
	v_fma_f32 v112, v141, v184, -v112
	s_waitcnt vmcnt(10)
	v_fmac_f32_e32 v152, v144, v186
	v_add_f32_e32 v111, v111, v112
	v_mul_f32_e32 v112, v144, v185
	v_add_f32_e32 v151, v151, v152
	s_waitcnt vmcnt(9)
	v_mul_f32_e32 v152, v145, v187
	v_fma_f32 v112, v143, v186, -v112
	s_waitcnt vmcnt(8)
	v_fmac_f32_e32 v152, v146, v188
	v_add_f32_e32 v111, v111, v112
	v_mul_f32_e32 v112, v146, v187
	v_add_f32_e32 v197, v151, v152
	ds_read_b64 v[151:152], v110 offset:856
	v_fma_f32 v112, v145, v188, -v112
	v_add_f32_e32 v111, v111, v112
	s_waitcnt vmcnt(7) lgkmcnt(1)
	v_mul_f32_e32 v112, v148, v189
	v_mul_f32_e32 v198, v147, v189
	s_waitcnt vmcnt(6)
	v_fma_f32 v112, v147, v190, -v112
	v_fmac_f32_e32 v198, v148, v190
	v_add_f32_e32 v111, v111, v112
	s_waitcnt vmcnt(5)
	v_mul_f32_e32 v112, v150, v191
	v_add_f32_e32 v197, v197, v198
	v_mul_f32_e32 v198, v149, v191
	s_waitcnt vmcnt(4)
	v_fma_f32 v112, v149, v192, -v112
	v_fmac_f32_e32 v198, v150, v192
	v_add_f32_e32 v111, v111, v112
	s_waitcnt vmcnt(3) lgkmcnt(0)
	v_mul_f32_e32 v112, v152, v193
	v_add_f32_e32 v197, v197, v198
	v_mul_f32_e32 v198, v151, v193
	s_waitcnt vmcnt(2)
	v_fma_f32 v112, v151, v194, -v112
	v_fmac_f32_e32 v198, v152, v194
	v_add_f32_e32 v111, v111, v112
	v_add_f32_e32 v197, v197, v198
	s_waitcnt vmcnt(1)
	v_sub_f32_e32 v111, v195, v111
	s_waitcnt vmcnt(0)
	v_sub_f32_e32 v112, v196, v197
	buffer_store_dword v111, off, s[0:3], 0 offset:256
	buffer_store_dword v112, off, s[0:3], 0 offset:260
	s_and_saveexec_b64 s[4:5], vcc
	s_cbranch_execz .LBB117_275
; %bb.274:
	buffer_load_dword v111, off, s[0:3], 0 offset:248
	buffer_load_dword v112, off, s[0:3], 0 offset:252
	s_waitcnt vmcnt(0)
	ds_write_b64 v109, v[111:112]
	buffer_store_dword v110, off, s[0:3], 0 offset:248
	buffer_store_dword v110, off, s[0:3], 0 offset:252
.LBB117_275:
	s_or_b64 exec, exec, s[4:5]
	s_waitcnt lgkmcnt(0)
	; wave barrier
	buffer_load_dword v155, off, s[0:3], 0 offset:260
	buffer_load_dword v156, off, s[0:3], 0 offset:268
	;; [unrolled: 1-line block ×46, first 2 shown]
	ds_read_b128 v[111:114], v110 offset:688
	ds_read_b128 v[115:118], v110 offset:704
	;; [unrolled: 1-line block ×8, first 2 shown]
	v_cmp_lt_u32_e32 vcc, 30, v0
	s_waitcnt vmcnt(45) lgkmcnt(7)
	v_mul_f32_e32 v143, v111, v155
	s_waitcnt vmcnt(44)
	v_mul_f32_e32 v144, v113, v156
	s_waitcnt vmcnt(43) lgkmcnt(6)
	v_mul_f32_e32 v145, v115, v157
	s_waitcnt vmcnt(42)
	v_mul_f32_e32 v146, v117, v158
	;; [unrolled: 4-line block ×6, first 2 shown]
	s_waitcnt vmcnt(33) lgkmcnt(1)
	v_mul_f32_e32 v201, v135, v167
	s_waitcnt vmcnt(32)
	v_fmac_f32_e32 v143, v112, v168
	v_mul_f32_e32 v112, v112, v155
	v_fma_f32 v111, v111, v168, -v112
	v_mul_f32_e32 v112, v114, v156
	v_add_f32_e32 v111, 0, v111
	s_waitcnt vmcnt(31)
	v_fma_f32 v112, v113, v169, -v112
	v_add_f32_e32 v111, v111, v112
	v_mul_f32_e32 v112, v116, v157
	s_waitcnt vmcnt(30)
	v_fma_f32 v112, v115, v170, -v112
	v_add_f32_e32 v111, v111, v112
	v_mul_f32_e32 v112, v118, v158
	;; [unrolled: 4-line block ×4, first 2 shown]
	v_fmac_f32_e32 v144, v114, v169
	v_add_f32_e32 v143, 0, v143
	s_waitcnt vmcnt(27)
	v_fma_f32 v112, v121, v173, -v112
	v_fmac_f32_e32 v145, v116, v170
	v_add_f32_e32 v143, v143, v144
	v_add_f32_e32 v111, v111, v112
	v_mul_f32_e32 v112, v124, v161
	v_fmac_f32_e32 v146, v118, v171
	v_add_f32_e32 v143, v143, v145
	s_waitcnt vmcnt(26)
	v_fma_f32 v112, v123, v174, -v112
	v_fmac_f32_e32 v147, v120, v172
	v_add_f32_e32 v143, v143, v146
	v_add_f32_e32 v111, v111, v112
	v_mul_f32_e32 v112, v126, v162
	;; [unrolled: 8-line block ×4, first 2 shown]
	s_waitcnt vmcnt(23)
	v_fmac_f32_e32 v152, v130, v177
	v_add_f32_e32 v143, v143, v151
	v_fma_f32 v112, v129, v177, -v112
	s_waitcnt vmcnt(22)
	v_fmac_f32_e32 v153, v132, v178
	v_add_f32_e32 v143, v143, v152
	v_add_f32_e32 v111, v111, v112
	v_mul_f32_e32 v112, v132, v165
	s_waitcnt vmcnt(21)
	v_fmac_f32_e32 v154, v134, v179
	v_add_f32_e32 v143, v143, v153
	v_fma_f32 v112, v131, v178, -v112
	s_waitcnt vmcnt(20)
	v_fmac_f32_e32 v201, v136, v180
	v_add_f32_e32 v143, v143, v154
	s_waitcnt vmcnt(19)
	v_mul_f32_e32 v144, v137, v181
	v_add_f32_e32 v111, v111, v112
	v_mul_f32_e32 v112, v134, v166
	v_add_f32_e32 v143, v143, v201
	s_waitcnt vmcnt(18)
	v_fmac_f32_e32 v144, v138, v182
	v_fma_f32 v112, v133, v179, -v112
	v_add_f32_e32 v143, v143, v144
	s_waitcnt vmcnt(17) lgkmcnt(0)
	v_mul_f32_e32 v144, v139, v183
	v_add_f32_e32 v111, v111, v112
	v_mul_f32_e32 v112, v136, v167
	s_waitcnt vmcnt(16)
	v_fmac_f32_e32 v144, v140, v184
	v_fma_f32 v112, v135, v180, -v112
	v_add_f32_e32 v147, v143, v144
	ds_read_b128 v[143:146], v110 offset:816
	v_add_f32_e32 v111, v111, v112
	v_mul_f32_e32 v112, v138, v181
	v_fma_f32 v112, v137, v182, -v112
	v_add_f32_e32 v111, v111, v112
	v_mul_f32_e32 v112, v140, v183
	s_waitcnt vmcnt(15)
	v_mul_f32_e32 v148, v141, v185
	v_fma_f32 v112, v139, v184, -v112
	s_waitcnt vmcnt(14)
	v_fmac_f32_e32 v148, v142, v186
	v_add_f32_e32 v111, v111, v112
	v_mul_f32_e32 v112, v142, v185
	v_add_f32_e32 v151, v147, v148
	ds_read_b128 v[147:150], v110 offset:832
	s_waitcnt vmcnt(13) lgkmcnt(1)
	v_mul_f32_e32 v152, v143, v187
	v_fma_f32 v112, v141, v186, -v112
	s_waitcnt vmcnt(12)
	v_fmac_f32_e32 v152, v144, v188
	v_add_f32_e32 v111, v111, v112
	v_mul_f32_e32 v112, v144, v187
	v_add_f32_e32 v151, v151, v152
	s_waitcnt vmcnt(11)
	v_mul_f32_e32 v152, v145, v189
	v_fma_f32 v112, v143, v188, -v112
	s_waitcnt vmcnt(10)
	v_fmac_f32_e32 v152, v146, v190
	v_add_f32_e32 v111, v111, v112
	v_mul_f32_e32 v112, v146, v189
	v_add_f32_e32 v201, v151, v152
	ds_read_b128 v[151:154], v110 offset:848
	v_fma_f32 v112, v145, v190, -v112
	v_add_f32_e32 v111, v111, v112
	s_waitcnt vmcnt(9) lgkmcnt(1)
	v_mul_f32_e32 v112, v148, v191
	v_mul_f32_e32 v202, v147, v191
	s_waitcnt vmcnt(8)
	v_fma_f32 v112, v147, v192, -v112
	v_fmac_f32_e32 v202, v148, v192
	v_add_f32_e32 v111, v111, v112
	s_waitcnt vmcnt(7)
	v_mul_f32_e32 v112, v150, v193
	v_add_f32_e32 v110, v201, v202
	v_mul_f32_e32 v201, v149, v193
	s_waitcnt vmcnt(6)
	v_fma_f32 v112, v149, v194, -v112
	v_fmac_f32_e32 v201, v150, v194
	v_add_f32_e32 v111, v111, v112
	s_waitcnt vmcnt(5) lgkmcnt(0)
	v_mul_f32_e32 v112, v152, v195
	v_add_f32_e32 v110, v110, v201
	v_mul_f32_e32 v201, v151, v195
	s_waitcnt vmcnt(4)
	v_fma_f32 v112, v151, v196, -v112
	v_fmac_f32_e32 v201, v152, v196
	v_add_f32_e32 v111, v111, v112
	s_waitcnt vmcnt(3)
	v_mul_f32_e32 v112, v154, v197
	v_add_f32_e32 v110, v110, v201
	v_mul_f32_e32 v201, v153, v197
	s_waitcnt vmcnt(2)
	v_fma_f32 v112, v153, v198, -v112
	v_fmac_f32_e32 v201, v154, v198
	v_add_f32_e32 v111, v111, v112
	v_add_f32_e32 v110, v110, v201
	s_waitcnt vmcnt(1)
	v_sub_f32_e32 v111, v199, v111
	s_waitcnt vmcnt(0)
	v_sub_f32_e32 v110, v200, v110
	buffer_store_dword v111, off, s[0:3], 0 offset:248
	buffer_store_dword v110, off, s[0:3], 0 offset:252
	s_and_saveexec_b64 s[4:5], vcc
	s_cbranch_execz .LBB117_277
; %bb.276:
	buffer_load_dword v110, off, s[0:3], 0 offset:240
	buffer_load_dword v111, off, s[0:3], 0 offset:244
	v_mov_b32_e32 v112, 0
	buffer_store_dword v112, off, s[0:3], 0 offset:240
	buffer_store_dword v112, off, s[0:3], 0 offset:244
	s_waitcnt vmcnt(2)
	ds_write_b64 v109, v[110:111]
.LBB117_277:
	s_or_b64 exec, exec, s[4:5]
	s_waitcnt lgkmcnt(0)
	; wave barrier
	buffer_load_dword v157, off, s[0:3], 0 offset:252
	buffer_load_dword v158, off, s[0:3], 0 offset:260
	buffer_load_dword v159, off, s[0:3], 0 offset:268
	buffer_load_dword v160, off, s[0:3], 0 offset:276
	buffer_load_dword v161, off, s[0:3], 0 offset:284
	buffer_load_dword v162, off, s[0:3], 0 offset:292
	buffer_load_dword v163, off, s[0:3], 0 offset:300
	buffer_load_dword v164, off, s[0:3], 0 offset:308
	buffer_load_dword v165, off, s[0:3], 0 offset:316
	buffer_load_dword v166, off, s[0:3], 0 offset:324
	buffer_load_dword v167, off, s[0:3], 0 offset:332
	buffer_load_dword v168, off, s[0:3], 0 offset:340
	buffer_load_dword v169, off, s[0:3], 0 offset:248
	buffer_load_dword v170, off, s[0:3], 0 offset:256
	buffer_load_dword v171, off, s[0:3], 0 offset:264
	buffer_load_dword v172, off, s[0:3], 0 offset:272
	buffer_load_dword v173, off, s[0:3], 0 offset:280
	buffer_load_dword v174, off, s[0:3], 0 offset:288
	buffer_load_dword v175, off, s[0:3], 0 offset:296
	buffer_load_dword v176, off, s[0:3], 0 offset:304
	buffer_load_dword v177, off, s[0:3], 0 offset:312
	buffer_load_dword v178, off, s[0:3], 0 offset:320
	buffer_load_dword v179, off, s[0:3], 0 offset:328
	buffer_load_dword v180, off, s[0:3], 0 offset:336
	buffer_load_dword v181, off, s[0:3], 0 offset:348
	buffer_load_dword v182, off, s[0:3], 0 offset:344
	buffer_load_dword v183, off, s[0:3], 0 offset:356
	buffer_load_dword v184, off, s[0:3], 0 offset:352
	buffer_load_dword v185, off, s[0:3], 0 offset:364
	buffer_load_dword v186, off, s[0:3], 0 offset:360
	buffer_load_dword v187, off, s[0:3], 0 offset:372
	buffer_load_dword v188, off, s[0:3], 0 offset:368
	buffer_load_dword v189, off, s[0:3], 0 offset:380
	buffer_load_dword v190, off, s[0:3], 0 offset:376
	buffer_load_dword v191, off, s[0:3], 0 offset:388
	buffer_load_dword v192, off, s[0:3], 0 offset:384
	buffer_load_dword v193, off, s[0:3], 0 offset:396
	buffer_load_dword v194, off, s[0:3], 0 offset:392
	buffer_load_dword v195, off, s[0:3], 0 offset:404
	buffer_load_dword v196, off, s[0:3], 0 offset:400
	buffer_load_dword v197, off, s[0:3], 0 offset:408
	buffer_load_dword v198, off, s[0:3], 0 offset:412
	buffer_load_dword v199, off, s[0:3], 0 offset:240
	buffer_load_dword v200, off, s[0:3], 0 offset:244
	buffer_load_dword v201, off, s[0:3], 0 offset:420
	buffer_load_dword v202, off, s[0:3], 0 offset:416
	buffer_load_dword v203, off, s[0:3], 0 offset:424
	buffer_load_dword v204, off, s[0:3], 0 offset:428
	v_mov_b32_e32 v110, 0
	ds_read2_b64 v[111:114], v110 offset0:85 offset1:86
	ds_read2_b64 v[115:118], v110 offset0:87 offset1:88
	;; [unrolled: 1-line block ×7, first 2 shown]
	v_cmp_lt_u32_e32 vcc, 29, v0
	s_waitcnt vmcnt(47) lgkmcnt(6)
	v_mul_f32_e32 v139, v111, v157
	s_waitcnt vmcnt(46)
	v_mul_f32_e32 v140, v113, v158
	s_waitcnt vmcnt(45) lgkmcnt(5)
	v_mul_f32_e32 v141, v115, v159
	s_waitcnt vmcnt(44)
	v_mul_f32_e32 v142, v117, v160
	;; [unrolled: 4-line block ×6, first 2 shown]
	s_waitcnt vmcnt(35)
	v_fmac_f32_e32 v139, v112, v169
	v_mul_f32_e32 v112, v112, v157
	v_fma_f32 v111, v111, v169, -v112
	v_mul_f32_e32 v112, v114, v158
	v_add_f32_e32 v111, 0, v111
	s_waitcnt vmcnt(34)
	v_fma_f32 v112, v113, v170, -v112
	v_add_f32_e32 v111, v111, v112
	v_mul_f32_e32 v112, v116, v159
	s_waitcnt vmcnt(33)
	v_fma_f32 v112, v115, v171, -v112
	v_fmac_f32_e32 v140, v114, v170
	v_add_f32_e32 v139, 0, v139
	v_add_f32_e32 v111, v111, v112
	v_mul_f32_e32 v112, v118, v160
	v_fmac_f32_e32 v141, v116, v171
	v_add_f32_e32 v139, v139, v140
	s_waitcnt vmcnt(32)
	v_fma_f32 v112, v117, v172, -v112
	v_fmac_f32_e32 v142, v118, v172
	v_add_f32_e32 v139, v139, v141
	v_add_f32_e32 v111, v111, v112
	v_mul_f32_e32 v112, v120, v161
	s_waitcnt vmcnt(31)
	v_fmac_f32_e32 v143, v120, v173
	v_add_f32_e32 v139, v139, v142
	v_fma_f32 v112, v119, v173, -v112
	s_waitcnt vmcnt(30)
	v_fmac_f32_e32 v144, v122, v174
	v_add_f32_e32 v139, v139, v143
	v_add_f32_e32 v111, v111, v112
	v_mul_f32_e32 v112, v122, v162
	s_waitcnt vmcnt(29)
	v_fmac_f32_e32 v145, v124, v175
	v_add_f32_e32 v139, v139, v144
	v_fma_f32 v112, v121, v174, -v112
	s_waitcnt vmcnt(28)
	;; [unrolled: 9-line block ×4, first 2 shown]
	v_fmac_f32_e32 v150, v134, v180
	v_add_f32_e32 v139, v139, v149
	v_add_f32_e32 v111, v111, v112
	v_mul_f32_e32 v112, v128, v165
	v_add_f32_e32 v143, v139, v150
	ds_read2_b64 v[139:142], v110 offset0:99 offset1:100
	v_fma_f32 v112, v127, v177, -v112
	s_waitcnt vmcnt(23) lgkmcnt(1)
	v_mul_f32_e32 v144, v135, v181
	v_add_f32_e32 v111, v111, v112
	v_mul_f32_e32 v112, v130, v166
	s_waitcnt vmcnt(22)
	v_fmac_f32_e32 v144, v136, v182
	v_fma_f32 v112, v129, v178, -v112
	v_add_f32_e32 v143, v143, v144
	s_waitcnt vmcnt(21)
	v_mul_f32_e32 v144, v137, v183
	v_add_f32_e32 v111, v111, v112
	v_mul_f32_e32 v112, v132, v167
	s_waitcnt vmcnt(20)
	v_fmac_f32_e32 v144, v138, v184
	v_fma_f32 v112, v131, v179, -v112
	v_add_f32_e32 v143, v143, v144
	s_waitcnt vmcnt(19) lgkmcnt(0)
	v_mul_f32_e32 v144, v139, v185
	v_add_f32_e32 v111, v111, v112
	v_mul_f32_e32 v112, v134, v168
	s_waitcnt vmcnt(18)
	v_fmac_f32_e32 v144, v140, v186
	v_fma_f32 v112, v133, v180, -v112
	v_add_f32_e32 v147, v143, v144
	ds_read2_b64 v[143:146], v110 offset0:101 offset1:102
	v_add_f32_e32 v111, v111, v112
	v_mul_f32_e32 v112, v136, v181
	v_fma_f32 v112, v135, v182, -v112
	s_waitcnt vmcnt(17)
	v_mul_f32_e32 v148, v141, v187
	v_add_f32_e32 v111, v111, v112
	v_mul_f32_e32 v112, v138, v183
	s_waitcnt vmcnt(16)
	v_fmac_f32_e32 v148, v142, v188
	v_fma_f32 v112, v137, v184, -v112
	v_add_f32_e32 v151, v147, v148
	ds_read2_b64 v[147:150], v110 offset0:103 offset1:104
	v_add_f32_e32 v111, v111, v112
	v_mul_f32_e32 v112, v140, v185
	s_waitcnt vmcnt(15) lgkmcnt(1)
	v_mul_f32_e32 v152, v143, v189
	v_fma_f32 v112, v139, v186, -v112
	s_waitcnt vmcnt(14)
	v_fmac_f32_e32 v152, v144, v190
	v_add_f32_e32 v111, v111, v112
	v_mul_f32_e32 v112, v142, v187
	v_add_f32_e32 v151, v151, v152
	s_waitcnt vmcnt(13)
	v_mul_f32_e32 v152, v145, v191
	v_fma_f32 v112, v141, v188, -v112
	s_waitcnt vmcnt(12)
	v_fmac_f32_e32 v152, v146, v192
	v_add_f32_e32 v111, v111, v112
	v_mul_f32_e32 v112, v144, v189
	v_add_f32_e32 v151, v151, v152
	s_waitcnt vmcnt(11) lgkmcnt(0)
	v_mul_f32_e32 v152, v147, v193
	v_fma_f32 v112, v143, v190, -v112
	s_waitcnt vmcnt(10)
	v_fmac_f32_e32 v152, v148, v194
	v_add_f32_e32 v111, v111, v112
	v_mul_f32_e32 v112, v146, v191
	v_add_f32_e32 v155, v151, v152
	ds_read2_b64 v[151:154], v110 offset0:105 offset1:106
	v_fma_f32 v112, v145, v192, -v112
	v_add_f32_e32 v111, v111, v112
	v_mul_f32_e32 v112, v148, v193
	s_waitcnt vmcnt(9)
	v_mul_f32_e32 v156, v149, v195
	v_fma_f32 v112, v147, v194, -v112
	s_waitcnt vmcnt(8)
	v_fmac_f32_e32 v156, v150, v196
	v_add_f32_e32 v111, v111, v112
	v_mul_f32_e32 v112, v150, v195
	v_add_f32_e32 v205, v155, v156
	ds_read_b64 v[155:156], v110 offset:856
	v_fma_f32 v112, v149, v196, -v112
	v_add_f32_e32 v111, v111, v112
	s_waitcnt vmcnt(6) lgkmcnt(1)
	v_mul_f32_e32 v112, v152, v198
	v_mul_f32_e32 v206, v151, v198
	v_fma_f32 v112, v151, v197, -v112
	v_fmac_f32_e32 v206, v152, v197
	v_add_f32_e32 v111, v111, v112
	s_waitcnt vmcnt(3)
	v_mul_f32_e32 v112, v154, v201
	v_add_f32_e32 v205, v205, v206
	v_mul_f32_e32 v206, v153, v201
	s_waitcnt vmcnt(2)
	v_fma_f32 v112, v153, v202, -v112
	v_fmac_f32_e32 v206, v154, v202
	v_add_f32_e32 v111, v111, v112
	s_waitcnt vmcnt(0) lgkmcnt(0)
	v_mul_f32_e32 v112, v156, v204
	v_add_f32_e32 v205, v205, v206
	v_mul_f32_e32 v206, v155, v204
	v_fma_f32 v112, v155, v203, -v112
	v_fmac_f32_e32 v206, v156, v203
	v_add_f32_e32 v111, v111, v112
	v_add_f32_e32 v205, v205, v206
	v_sub_f32_e32 v111, v199, v111
	v_sub_f32_e32 v112, v200, v205
	buffer_store_dword v111, off, s[0:3], 0 offset:240
	buffer_store_dword v112, off, s[0:3], 0 offset:244
	s_and_saveexec_b64 s[4:5], vcc
	s_cbranch_execz .LBB117_279
; %bb.278:
	buffer_load_dword v111, off, s[0:3], 0 offset:232
	buffer_load_dword v112, off, s[0:3], 0 offset:236
	s_waitcnt vmcnt(0)
	ds_write_b64 v109, v[111:112]
	buffer_store_dword v110, off, s[0:3], 0 offset:232
	buffer_store_dword v110, off, s[0:3], 0 offset:236
.LBB117_279:
	s_or_b64 exec, exec, s[4:5]
	s_waitcnt lgkmcnt(0)
	; wave barrier
	buffer_load_dword v159, off, s[0:3], 0 offset:244
	buffer_load_dword v160, off, s[0:3], 0 offset:252
	;; [unrolled: 1-line block ×48, first 2 shown]
	ds_read_b128 v[111:114], v110 offset:672
	ds_read_b128 v[115:118], v110 offset:688
	buffer_load_dword v207, off, s[0:3], 0 offset:424
	buffer_load_dword v208, off, s[0:3], 0 offset:428
	ds_read_b128 v[119:122], v110 offset:704
	ds_read_b128 v[123:126], v110 offset:720
	;; [unrolled: 1-line block ×5, first 2 shown]
	v_cmp_lt_u32_e32 vcc, 28, v0
	s_waitcnt vmcnt(49) lgkmcnt(6)
	v_mul_f32_e32 v139, v111, v159
	s_waitcnt vmcnt(48)
	v_mul_f32_e32 v140, v113, v160
	s_waitcnt vmcnt(47) lgkmcnt(5)
	v_mul_f32_e32 v141, v115, v161
	s_waitcnt vmcnt(46)
	v_mul_f32_e32 v142, v117, v162
	;; [unrolled: 4-line block ×6, first 2 shown]
	s_waitcnt vmcnt(37)
	v_fmac_f32_e32 v139, v112, v171
	v_mul_f32_e32 v112, v112, v159
	v_fma_f32 v111, v111, v171, -v112
	v_mul_f32_e32 v112, v114, v160
	v_add_f32_e32 v111, 0, v111
	s_waitcnt vmcnt(36)
	v_fma_f32 v112, v113, v172, -v112
	v_add_f32_e32 v111, v111, v112
	v_mul_f32_e32 v112, v116, v161
	s_waitcnt vmcnt(35)
	v_fma_f32 v112, v115, v173, -v112
	v_fmac_f32_e32 v140, v114, v172
	v_add_f32_e32 v139, 0, v139
	v_add_f32_e32 v111, v111, v112
	v_mul_f32_e32 v112, v118, v162
	v_fmac_f32_e32 v141, v116, v173
	v_add_f32_e32 v139, v139, v140
	s_waitcnt vmcnt(34)
	v_fma_f32 v112, v117, v174, -v112
	v_fmac_f32_e32 v142, v118, v174
	v_add_f32_e32 v139, v139, v141
	v_add_f32_e32 v111, v111, v112
	v_mul_f32_e32 v112, v120, v163
	s_waitcnt vmcnt(33)
	v_fmac_f32_e32 v143, v120, v175
	v_add_f32_e32 v139, v139, v142
	v_fma_f32 v112, v119, v175, -v112
	s_waitcnt vmcnt(32)
	v_fmac_f32_e32 v144, v122, v176
	v_add_f32_e32 v139, v139, v143
	v_add_f32_e32 v111, v111, v112
	v_mul_f32_e32 v112, v122, v164
	s_waitcnt vmcnt(31)
	v_fmac_f32_e32 v145, v124, v177
	v_add_f32_e32 v139, v139, v144
	v_fma_f32 v112, v121, v176, -v112
	s_waitcnt vmcnt(30)
	;; [unrolled: 9-line block ×3, first 2 shown]
	v_fmac_f32_e32 v148, v130, v180
	v_add_f32_e32 v139, v139, v147
	v_add_f32_e32 v111, v111, v112
	v_mul_f32_e32 v112, v126, v166
	s_waitcnt vmcnt(27)
	v_fmac_f32_e32 v149, v132, v181
	v_add_f32_e32 v139, v139, v148
	v_fma_f32 v112, v125, v178, -v112
	v_add_f32_e32 v139, v139, v149
	s_waitcnt vmcnt(26)
	v_fmac_f32_e32 v150, v134, v182
	v_add_f32_e32 v111, v111, v112
	v_mul_f32_e32 v112, v128, v167
	v_add_f32_e32 v143, v139, v150
	ds_read_b128 v[139:142], v110 offset:784
	v_fma_f32 v112, v127, v179, -v112
	s_waitcnt vmcnt(25) lgkmcnt(1)
	v_mul_f32_e32 v144, v135, v183
	v_add_f32_e32 v111, v111, v112
	v_mul_f32_e32 v112, v130, v168
	s_waitcnt vmcnt(24)
	v_fmac_f32_e32 v144, v136, v184
	v_fma_f32 v112, v129, v180, -v112
	v_add_f32_e32 v143, v143, v144
	s_waitcnt vmcnt(23)
	v_mul_f32_e32 v144, v137, v185
	v_add_f32_e32 v111, v111, v112
	v_mul_f32_e32 v112, v132, v169
	s_waitcnt vmcnt(22)
	v_fmac_f32_e32 v144, v138, v186
	v_fma_f32 v112, v131, v181, -v112
	v_add_f32_e32 v143, v143, v144
	s_waitcnt vmcnt(21) lgkmcnt(0)
	v_mul_f32_e32 v144, v139, v187
	v_add_f32_e32 v111, v111, v112
	v_mul_f32_e32 v112, v134, v170
	s_waitcnt vmcnt(20)
	v_fmac_f32_e32 v144, v140, v188
	v_fma_f32 v112, v133, v182, -v112
	v_add_f32_e32 v147, v143, v144
	ds_read_b128 v[143:146], v110 offset:800
	v_add_f32_e32 v111, v111, v112
	v_mul_f32_e32 v112, v136, v183
	v_fma_f32 v112, v135, v184, -v112
	s_waitcnt vmcnt(19)
	v_mul_f32_e32 v148, v141, v189
	v_add_f32_e32 v111, v111, v112
	v_mul_f32_e32 v112, v138, v185
	s_waitcnt vmcnt(18)
	v_fmac_f32_e32 v148, v142, v190
	v_fma_f32 v112, v137, v186, -v112
	v_add_f32_e32 v151, v147, v148
	ds_read_b128 v[147:150], v110 offset:816
	v_add_f32_e32 v111, v111, v112
	v_mul_f32_e32 v112, v140, v187
	s_waitcnt vmcnt(17) lgkmcnt(1)
	v_mul_f32_e32 v152, v143, v191
	v_fma_f32 v112, v139, v188, -v112
	s_waitcnt vmcnt(16)
	v_fmac_f32_e32 v152, v144, v192
	v_add_f32_e32 v111, v111, v112
	v_mul_f32_e32 v112, v142, v189
	v_add_f32_e32 v151, v151, v152
	s_waitcnt vmcnt(15)
	v_mul_f32_e32 v152, v145, v193
	v_fma_f32 v112, v141, v190, -v112
	s_waitcnt vmcnt(14)
	v_fmac_f32_e32 v152, v146, v194
	v_add_f32_e32 v111, v111, v112
	v_mul_f32_e32 v112, v144, v191
	v_add_f32_e32 v151, v151, v152
	s_waitcnt vmcnt(13) lgkmcnt(0)
	v_mul_f32_e32 v152, v147, v195
	v_fma_f32 v112, v143, v192, -v112
	s_waitcnt vmcnt(12)
	v_fmac_f32_e32 v152, v148, v196
	v_add_f32_e32 v111, v111, v112
	v_mul_f32_e32 v112, v146, v193
	v_add_f32_e32 v155, v151, v152
	ds_read_b128 v[151:154], v110 offset:832
	v_fma_f32 v112, v145, v194, -v112
	v_add_f32_e32 v111, v111, v112
	v_mul_f32_e32 v112, v148, v195
	s_waitcnt vmcnt(11)
	v_mul_f32_e32 v156, v149, v197
	v_fma_f32 v112, v147, v196, -v112
	s_waitcnt vmcnt(10)
	v_fmac_f32_e32 v156, v150, v198
	v_add_f32_e32 v111, v111, v112
	v_mul_f32_e32 v112, v150, v197
	v_add_f32_e32 v209, v155, v156
	ds_read_b128 v[155:158], v110 offset:848
	v_fma_f32 v112, v149, v198, -v112
	v_add_f32_e32 v111, v111, v112
	s_waitcnt vmcnt(7) lgkmcnt(1)
	v_mul_f32_e32 v112, v152, v201
	v_mul_f32_e32 v110, v151, v201
	s_waitcnt vmcnt(6)
	v_fma_f32 v112, v151, v202, -v112
	v_fmac_f32_e32 v110, v152, v202
	v_add_f32_e32 v111, v111, v112
	s_waitcnt vmcnt(4)
	v_mul_f32_e32 v112, v154, v204
	v_add_f32_e32 v110, v209, v110
	v_mul_f32_e32 v209, v153, v204
	v_fma_f32 v112, v153, v203, -v112
	v_fmac_f32_e32 v209, v154, v203
	v_add_f32_e32 v111, v111, v112
	s_waitcnt vmcnt(2) lgkmcnt(0)
	v_mul_f32_e32 v112, v156, v206
	v_add_f32_e32 v110, v110, v209
	v_mul_f32_e32 v209, v155, v206
	v_fma_f32 v112, v155, v205, -v112
	v_fmac_f32_e32 v209, v156, v205
	v_add_f32_e32 v111, v111, v112
	s_waitcnt vmcnt(0)
	v_mul_f32_e32 v112, v158, v208
	v_add_f32_e32 v110, v110, v209
	v_mul_f32_e32 v209, v157, v208
	v_fma_f32 v112, v157, v207, -v112
	v_fmac_f32_e32 v209, v158, v207
	v_add_f32_e32 v111, v111, v112
	v_add_f32_e32 v110, v110, v209
	v_sub_f32_e32 v111, v199, v111
	v_sub_f32_e32 v110, v200, v110
	buffer_store_dword v111, off, s[0:3], 0 offset:232
	buffer_store_dword v110, off, s[0:3], 0 offset:236
	s_and_saveexec_b64 s[4:5], vcc
	s_cbranch_execz .LBB117_281
; %bb.280:
	buffer_load_dword v110, off, s[0:3], 0 offset:224
	buffer_load_dword v111, off, s[0:3], 0 offset:228
	v_mov_b32_e32 v112, 0
	buffer_store_dword v112, off, s[0:3], 0 offset:224
	buffer_store_dword v112, off, s[0:3], 0 offset:228
	s_waitcnt vmcnt(2)
	ds_write_b64 v109, v[110:111]
.LBB117_281:
	s_or_b64 exec, exec, s[4:5]
	s_waitcnt lgkmcnt(0)
	; wave barrier
	buffer_load_dword v161, off, s[0:3], 0 offset:236
	buffer_load_dword v162, off, s[0:3], 0 offset:244
	;; [unrolled: 1-line block ×52, first 2 shown]
	v_mov_b32_e32 v110, 0
	ds_read2_b64 v[111:114], v110 offset0:83 offset1:84
	ds_read2_b64 v[115:118], v110 offset0:85 offset1:86
	;; [unrolled: 1-line block ×6, first 2 shown]
	v_cmp_lt_u32_e32 vcc, 27, v0
	s_waitcnt vmcnt(51) lgkmcnt(5)
	v_mul_f32_e32 v135, v111, v161
	s_waitcnt vmcnt(50)
	v_mul_f32_e32 v136, v113, v162
	s_waitcnt vmcnt(49) lgkmcnt(4)
	v_mul_f32_e32 v137, v115, v163
	s_waitcnt vmcnt(48)
	v_mul_f32_e32 v138, v117, v164
	;; [unrolled: 4-line block ×5, first 2 shown]
	s_waitcnt vmcnt(41) lgkmcnt(0)
	v_mul_f32_e32 v145, v131, v171
	s_waitcnt vmcnt(40)
	v_fmac_f32_e32 v135, v112, v172
	v_mul_f32_e32 v112, v112, v161
	s_waitcnt vmcnt(39)
	v_fmac_f32_e32 v136, v114, v173
	v_add_f32_e32 v135, 0, v135
	v_fma_f32 v111, v111, v172, -v112
	v_mul_f32_e32 v112, v114, v162
	s_waitcnt vmcnt(38)
	v_fmac_f32_e32 v137, v116, v174
	v_add_f32_e32 v135, v135, v136
	v_add_f32_e32 v111, 0, v111
	v_fma_f32 v112, v113, v173, -v112
	s_waitcnt vmcnt(37)
	v_fmac_f32_e32 v138, v118, v175
	v_add_f32_e32 v135, v135, v137
	v_add_f32_e32 v111, v111, v112
	v_mul_f32_e32 v112, v116, v163
	s_waitcnt vmcnt(36)
	v_fmac_f32_e32 v139, v120, v176
	v_add_f32_e32 v135, v135, v138
	v_fma_f32 v112, v115, v174, -v112
	s_waitcnt vmcnt(35)
	v_fmac_f32_e32 v140, v122, v177
	v_add_f32_e32 v135, v135, v139
	v_add_f32_e32 v111, v111, v112
	v_mul_f32_e32 v112, v118, v164
	s_waitcnt vmcnt(34)
	v_fmac_f32_e32 v141, v124, v178
	;; [unrolled: 9-line block ×3, first 2 shown]
	v_add_f32_e32 v135, v135, v142
	v_fma_f32 v112, v119, v176, -v112
	s_waitcnt vmcnt(31)
	v_fmac_f32_e32 v144, v130, v181
	v_add_f32_e32 v135, v135, v143
	v_add_f32_e32 v111, v111, v112
	v_mul_f32_e32 v112, v122, v166
	v_add_f32_e32 v135, v135, v144
	s_waitcnt vmcnt(30)
	v_fmac_f32_e32 v145, v132, v182
	v_fma_f32 v112, v121, v177, -v112
	v_add_f32_e32 v139, v135, v145
	ds_read2_b64 v[135:138], v110 offset0:95 offset1:96
	v_add_f32_e32 v111, v111, v112
	v_mul_f32_e32 v112, v124, v167
	v_fma_f32 v112, v123, v178, -v112
	s_waitcnt vmcnt(29)
	v_mul_f32_e32 v140, v133, v183
	v_add_f32_e32 v111, v111, v112
	v_mul_f32_e32 v112, v126, v168
	s_waitcnt vmcnt(28)
	v_fmac_f32_e32 v140, v134, v184
	v_fma_f32 v112, v125, v179, -v112
	v_add_f32_e32 v143, v139, v140
	ds_read2_b64 v[139:142], v110 offset0:97 offset1:98
	v_add_f32_e32 v111, v111, v112
	v_mul_f32_e32 v112, v128, v169
	s_waitcnt vmcnt(27) lgkmcnt(1)
	v_mul_f32_e32 v144, v135, v185
	v_fma_f32 v112, v127, v180, -v112
	s_waitcnt vmcnt(26)
	v_fmac_f32_e32 v144, v136, v186
	v_add_f32_e32 v111, v111, v112
	v_mul_f32_e32 v112, v130, v170
	v_add_f32_e32 v143, v143, v144
	s_waitcnt vmcnt(25)
	v_mul_f32_e32 v144, v137, v187
	v_fma_f32 v112, v129, v181, -v112
	s_waitcnt vmcnt(24)
	v_fmac_f32_e32 v144, v138, v188
	v_add_f32_e32 v111, v111, v112
	v_mul_f32_e32 v112, v132, v171
	v_add_f32_e32 v143, v143, v144
	s_waitcnt vmcnt(23) lgkmcnt(0)
	v_mul_f32_e32 v144, v139, v189
	v_fma_f32 v112, v131, v182, -v112
	s_waitcnt vmcnt(22)
	v_fmac_f32_e32 v144, v140, v190
	v_add_f32_e32 v111, v111, v112
	v_mul_f32_e32 v112, v134, v183
	v_add_f32_e32 v147, v143, v144
	ds_read2_b64 v[143:146], v110 offset0:99 offset1:100
	v_fma_f32 v112, v133, v184, -v112
	v_add_f32_e32 v111, v111, v112
	v_mul_f32_e32 v112, v136, v185
	s_waitcnt vmcnt(21)
	v_mul_f32_e32 v148, v141, v191
	v_fma_f32 v112, v135, v186, -v112
	s_waitcnt vmcnt(20)
	v_fmac_f32_e32 v148, v142, v192
	v_add_f32_e32 v111, v111, v112
	v_mul_f32_e32 v112, v138, v187
	v_add_f32_e32 v151, v147, v148
	ds_read2_b64 v[147:150], v110 offset0:101 offset1:102
	v_fma_f32 v112, v137, v188, -v112
	s_waitcnt vmcnt(19) lgkmcnt(1)
	v_mul_f32_e32 v152, v143, v193
	v_add_f32_e32 v111, v111, v112
	v_mul_f32_e32 v112, v140, v189
	s_waitcnt vmcnt(18)
	v_fmac_f32_e32 v152, v144, v194
	v_fma_f32 v112, v139, v190, -v112
	v_add_f32_e32 v151, v151, v152
	s_waitcnt vmcnt(17)
	v_mul_f32_e32 v152, v145, v195
	v_add_f32_e32 v111, v111, v112
	v_mul_f32_e32 v112, v142, v191
	s_waitcnt vmcnt(16)
	v_fmac_f32_e32 v152, v146, v196
	v_fma_f32 v112, v141, v192, -v112
	v_add_f32_e32 v151, v151, v152
	s_waitcnt vmcnt(14) lgkmcnt(0)
	v_mul_f32_e32 v152, v147, v198
	v_add_f32_e32 v111, v111, v112
	v_mul_f32_e32 v112, v144, v193
	v_fmac_f32_e32 v152, v148, v197
	v_fma_f32 v112, v143, v194, -v112
	v_add_f32_e32 v155, v151, v152
	ds_read2_b64 v[151:154], v110 offset0:103 offset1:104
	v_add_f32_e32 v111, v111, v112
	v_mul_f32_e32 v112, v146, v195
	v_fma_f32 v112, v145, v196, -v112
	v_add_f32_e32 v111, v111, v112
	v_mul_f32_e32 v112, v148, v198
	s_waitcnt vmcnt(11)
	v_mul_f32_e32 v156, v149, v201
	v_fma_f32 v112, v147, v197, -v112
	s_waitcnt vmcnt(10)
	v_fmac_f32_e32 v156, v150, v202
	v_add_f32_e32 v111, v111, v112
	v_mul_f32_e32 v112, v150, v201
	v_add_f32_e32 v159, v155, v156
	ds_read2_b64 v[155:158], v110 offset0:105 offset1:106
	s_waitcnt vmcnt(8) lgkmcnt(1)
	v_mul_f32_e32 v160, v151, v204
	v_fma_f32 v112, v149, v202, -v112
	v_fmac_f32_e32 v160, v152, v203
	v_add_f32_e32 v111, v111, v112
	v_mul_f32_e32 v112, v152, v204
	v_add_f32_e32 v159, v159, v160
	s_waitcnt vmcnt(6)
	v_mul_f32_e32 v160, v153, v206
	v_fma_f32 v112, v151, v203, -v112
	v_fmac_f32_e32 v160, v154, v205
	v_add_f32_e32 v111, v111, v112
	v_mul_f32_e32 v112, v154, v206
	v_add_f32_e32 v213, v159, v160
	ds_read_b64 v[159:160], v110 offset:856
	v_fma_f32 v112, v153, v205, -v112
	v_add_f32_e32 v111, v111, v112
	s_waitcnt vmcnt(4) lgkmcnt(1)
	v_mul_f32_e32 v112, v156, v208
	v_mul_f32_e32 v214, v155, v208
	v_fma_f32 v112, v155, v207, -v112
	v_fmac_f32_e32 v214, v156, v207
	v_add_f32_e32 v111, v111, v112
	s_waitcnt vmcnt(2)
	v_mul_f32_e32 v112, v158, v210
	v_add_f32_e32 v213, v213, v214
	v_mul_f32_e32 v214, v157, v210
	v_fma_f32 v112, v157, v209, -v112
	v_fmac_f32_e32 v214, v158, v209
	v_add_f32_e32 v111, v111, v112
	s_waitcnt vmcnt(0) lgkmcnt(0)
	v_mul_f32_e32 v112, v160, v212
	v_add_f32_e32 v213, v213, v214
	v_mul_f32_e32 v214, v159, v212
	v_fma_f32 v112, v159, v211, -v112
	v_fmac_f32_e32 v214, v160, v211
	v_add_f32_e32 v111, v111, v112
	v_add_f32_e32 v213, v213, v214
	v_sub_f32_e32 v111, v199, v111
	v_sub_f32_e32 v112, v200, v213
	buffer_store_dword v111, off, s[0:3], 0 offset:224
	buffer_store_dword v112, off, s[0:3], 0 offset:228
	s_and_saveexec_b64 s[4:5], vcc
	s_cbranch_execz .LBB117_283
; %bb.282:
	buffer_load_dword v111, off, s[0:3], 0 offset:216
	buffer_load_dword v112, off, s[0:3], 0 offset:220
	s_waitcnt vmcnt(0)
	ds_write_b64 v109, v[111:112]
	buffer_store_dword v110, off, s[0:3], 0 offset:216
	buffer_store_dword v110, off, s[0:3], 0 offset:220
.LBB117_283:
	s_or_b64 exec, exec, s[4:5]
	s_waitcnt lgkmcnt(0)
	; wave barrier
	buffer_load_dword v163, off, s[0:3], 0 offset:228
	buffer_load_dword v164, off, s[0:3], 0 offset:236
	;; [unrolled: 1-line block ×42, first 2 shown]
	ds_read_b128 v[111:114], v110 offset:656
	ds_read_b128 v[115:118], v110 offset:672
	ds_read_b128 v[119:122], v110 offset:688
	ds_read_b128 v[123:126], v110 offset:704
	buffer_load_dword v205, off, s[0:3], 0 offset:388
	buffer_load_dword v206, off, s[0:3], 0 offset:384
	;; [unrolled: 1-line block ×6, first 2 shown]
	ds_read_b128 v[127:130], v110 offset:720
	ds_read_b128 v[131:134], v110 offset:736
	buffer_load_dword v211, off, s[0:3], 0 offset:408
	buffer_load_dword v212, off, s[0:3], 0 offset:412
	;; [unrolled: 1-line block ×6, first 2 shown]
	v_cmp_lt_u32_e32 vcc, 26, v0
	s_waitcnt vmcnt(53) lgkmcnt(5)
	v_mul_f32_e32 v135, v111, v163
	s_waitcnt vmcnt(52)
	v_mul_f32_e32 v136, v113, v164
	s_waitcnt vmcnt(51) lgkmcnt(4)
	v_mul_f32_e32 v137, v115, v165
	s_waitcnt vmcnt(50)
	v_mul_f32_e32 v138, v117, v166
	;; [unrolled: 4-line block ×5, first 2 shown]
	s_waitcnt vmcnt(43)
	v_fmac_f32_e32 v135, v112, v173
	v_mul_f32_e32 v112, v112, v163
	s_waitcnt vmcnt(42)
	v_fmac_f32_e32 v136, v114, v174
	v_add_f32_e32 v135, 0, v135
	v_fma_f32 v111, v111, v173, -v112
	v_mul_f32_e32 v112, v114, v164
	s_waitcnt vmcnt(41)
	v_fmac_f32_e32 v137, v116, v175
	v_add_f32_e32 v135, v135, v136
	v_add_f32_e32 v111, 0, v111
	v_fma_f32 v112, v113, v174, -v112
	s_waitcnt vmcnt(40)
	v_fmac_f32_e32 v138, v118, v176
	v_add_f32_e32 v135, v135, v137
	v_add_f32_e32 v111, v111, v112
	v_mul_f32_e32 v112, v116, v165
	s_waitcnt vmcnt(39)
	v_fmac_f32_e32 v139, v120, v177
	v_add_f32_e32 v135, v135, v138
	v_fma_f32 v112, v115, v175, -v112
	s_waitcnt vmcnt(38)
	v_fmac_f32_e32 v140, v122, v178
	v_add_f32_e32 v135, v135, v139
	v_add_f32_e32 v111, v111, v112
	v_mul_f32_e32 v112, v118, v166
	s_waitcnt vmcnt(37)
	v_fmac_f32_e32 v141, v124, v179
	;; [unrolled: 9-line block ×3, first 2 shown]
	v_add_f32_e32 v135, v135, v142
	v_fma_f32 v112, v119, v177, -v112
	s_waitcnt vmcnt(34)
	v_fmac_f32_e32 v144, v130, v182
	v_add_f32_e32 v135, v135, v143
	s_waitcnt vmcnt(33) lgkmcnt(0)
	v_mul_f32_e32 v136, v131, v183
	v_add_f32_e32 v111, v111, v112
	v_mul_f32_e32 v112, v122, v168
	v_add_f32_e32 v135, v135, v144
	s_waitcnt vmcnt(32)
	v_fmac_f32_e32 v136, v132, v184
	v_fma_f32 v112, v121, v178, -v112
	v_add_f32_e32 v139, v135, v136
	ds_read_b128 v[135:138], v110 offset:752
	v_add_f32_e32 v111, v111, v112
	v_mul_f32_e32 v112, v124, v169
	v_fma_f32 v112, v123, v179, -v112
	s_waitcnt vmcnt(31)
	v_mul_f32_e32 v140, v133, v185
	v_add_f32_e32 v111, v111, v112
	v_mul_f32_e32 v112, v126, v170
	s_waitcnt vmcnt(30)
	v_fmac_f32_e32 v140, v134, v186
	v_fma_f32 v112, v125, v180, -v112
	v_add_f32_e32 v143, v139, v140
	ds_read_b128 v[139:142], v110 offset:768
	v_add_f32_e32 v111, v111, v112
	v_mul_f32_e32 v112, v128, v171
	s_waitcnt vmcnt(29) lgkmcnt(1)
	v_mul_f32_e32 v144, v135, v187
	v_fma_f32 v112, v127, v181, -v112
	s_waitcnt vmcnt(28)
	v_fmac_f32_e32 v144, v136, v188
	v_add_f32_e32 v111, v111, v112
	v_mul_f32_e32 v112, v130, v172
	v_add_f32_e32 v143, v143, v144
	s_waitcnt vmcnt(27)
	v_mul_f32_e32 v144, v137, v189
	v_fma_f32 v112, v129, v182, -v112
	s_waitcnt vmcnt(26)
	v_fmac_f32_e32 v144, v138, v190
	v_add_f32_e32 v111, v111, v112
	v_mul_f32_e32 v112, v132, v183
	v_add_f32_e32 v143, v143, v144
	s_waitcnt vmcnt(25) lgkmcnt(0)
	v_mul_f32_e32 v144, v139, v191
	v_fma_f32 v112, v131, v184, -v112
	s_waitcnt vmcnt(24)
	v_fmac_f32_e32 v144, v140, v192
	v_add_f32_e32 v111, v111, v112
	v_mul_f32_e32 v112, v134, v185
	v_add_f32_e32 v147, v143, v144
	ds_read_b128 v[143:146], v110 offset:784
	v_fma_f32 v112, v133, v186, -v112
	v_add_f32_e32 v111, v111, v112
	v_mul_f32_e32 v112, v136, v187
	s_waitcnt vmcnt(23)
	v_mul_f32_e32 v148, v141, v193
	v_fma_f32 v112, v135, v188, -v112
	s_waitcnt vmcnt(22)
	v_fmac_f32_e32 v148, v142, v194
	v_add_f32_e32 v111, v111, v112
	v_mul_f32_e32 v112, v138, v189
	v_add_f32_e32 v151, v147, v148
	ds_read_b128 v[147:150], v110 offset:800
	v_fma_f32 v112, v137, v190, -v112
	s_waitcnt vmcnt(21) lgkmcnt(1)
	v_mul_f32_e32 v152, v143, v195
	v_add_f32_e32 v111, v111, v112
	v_mul_f32_e32 v112, v140, v191
	s_waitcnt vmcnt(20)
	v_fmac_f32_e32 v152, v144, v196
	v_fma_f32 v112, v139, v192, -v112
	v_add_f32_e32 v151, v151, v152
	s_waitcnt vmcnt(18)
	v_mul_f32_e32 v152, v145, v198
	v_add_f32_e32 v111, v111, v112
	v_mul_f32_e32 v112, v142, v193
	v_fmac_f32_e32 v152, v146, v197
	v_fma_f32 v112, v141, v194, -v112
	v_add_f32_e32 v151, v151, v152
	s_waitcnt vmcnt(15) lgkmcnt(0)
	v_mul_f32_e32 v152, v147, v201
	v_add_f32_e32 v111, v111, v112
	v_mul_f32_e32 v112, v144, v195
	s_waitcnt vmcnt(14)
	v_fmac_f32_e32 v152, v148, v202
	v_fma_f32 v112, v143, v196, -v112
	v_add_f32_e32 v155, v151, v152
	ds_read_b128 v[151:154], v110 offset:816
	v_add_f32_e32 v111, v111, v112
	v_mul_f32_e32 v112, v146, v198
	v_fma_f32 v112, v145, v197, -v112
	v_add_f32_e32 v111, v111, v112
	v_mul_f32_e32 v112, v148, v201
	s_waitcnt vmcnt(12)
	v_mul_f32_e32 v156, v149, v204
	v_fma_f32 v112, v147, v202, -v112
	v_fmac_f32_e32 v156, v150, v203
	v_add_f32_e32 v111, v111, v112
	v_mul_f32_e32 v112, v150, v204
	v_add_f32_e32 v159, v155, v156
	ds_read_b128 v[155:158], v110 offset:832
	s_waitcnt vmcnt(11) lgkmcnt(1)
	v_mul_f32_e32 v160, v151, v205
	v_fma_f32 v112, v149, v203, -v112
	s_waitcnt vmcnt(10)
	v_fmac_f32_e32 v160, v152, v206
	v_add_f32_e32 v111, v111, v112
	v_mul_f32_e32 v112, v152, v205
	v_add_f32_e32 v159, v159, v160
	s_waitcnt vmcnt(8)
	v_mul_f32_e32 v160, v153, v208
	v_fma_f32 v112, v151, v206, -v112
	v_fmac_f32_e32 v160, v154, v207
	v_add_f32_e32 v111, v111, v112
	v_mul_f32_e32 v112, v154, v208
	v_add_f32_e32 v217, v159, v160
	ds_read_b128 v[159:162], v110 offset:848
	v_fma_f32 v112, v153, v207, -v112
	v_add_f32_e32 v111, v111, v112
	s_waitcnt vmcnt(6) lgkmcnt(1)
	v_mul_f32_e32 v112, v156, v210
	v_mul_f32_e32 v218, v155, v210
	v_fma_f32 v112, v155, v209, -v112
	v_fmac_f32_e32 v218, v156, v209
	v_add_f32_e32 v111, v111, v112
	s_waitcnt vmcnt(4)
	v_mul_f32_e32 v112, v158, v212
	v_add_f32_e32 v110, v217, v218
	v_mul_f32_e32 v217, v157, v212
	v_fma_f32 v112, v157, v211, -v112
	v_fmac_f32_e32 v217, v158, v211
	v_add_f32_e32 v111, v111, v112
	s_waitcnt vmcnt(2) lgkmcnt(0)
	v_mul_f32_e32 v112, v160, v214
	v_add_f32_e32 v110, v110, v217
	v_mul_f32_e32 v217, v159, v214
	v_fma_f32 v112, v159, v213, -v112
	v_fmac_f32_e32 v217, v160, v213
	v_add_f32_e32 v111, v111, v112
	s_waitcnt vmcnt(0)
	v_mul_f32_e32 v112, v162, v216
	v_add_f32_e32 v110, v110, v217
	v_mul_f32_e32 v217, v161, v216
	v_fma_f32 v112, v161, v215, -v112
	v_fmac_f32_e32 v217, v162, v215
	v_add_f32_e32 v111, v111, v112
	v_add_f32_e32 v110, v110, v217
	v_sub_f32_e32 v111, v199, v111
	v_sub_f32_e32 v110, v200, v110
	buffer_store_dword v111, off, s[0:3], 0 offset:216
	buffer_store_dword v110, off, s[0:3], 0 offset:220
	s_and_saveexec_b64 s[4:5], vcc
	s_cbranch_execz .LBB117_285
; %bb.284:
	buffer_load_dword v110, off, s[0:3], 0 offset:208
	buffer_load_dword v111, off, s[0:3], 0 offset:212
	v_mov_b32_e32 v112, 0
	buffer_store_dword v112, off, s[0:3], 0 offset:208
	buffer_store_dword v112, off, s[0:3], 0 offset:212
	s_waitcnt vmcnt(2)
	ds_write_b64 v109, v[110:111]
.LBB117_285:
	s_or_b64 exec, exec, s[4:5]
	s_waitcnt lgkmcnt(0)
	; wave barrier
	buffer_load_dword v165, off, s[0:3], 0 offset:220
	buffer_load_dword v166, off, s[0:3], 0 offset:228
	;; [unrolled: 1-line block ×56, first 2 shown]
	v_mov_b32_e32 v110, 0
	ds_read2_b64 v[111:114], v110 offset0:81 offset1:82
	ds_read2_b64 v[115:118], v110 offset0:83 offset1:84
	;; [unrolled: 1-line block ×6, first 2 shown]
	v_cmp_lt_u32_e32 vcc, 25, v0
	s_waitcnt vmcnt(55) lgkmcnt(5)
	v_mul_f32_e32 v135, v111, v165
	s_waitcnt vmcnt(54)
	v_mul_f32_e32 v136, v113, v166
	s_waitcnt vmcnt(53) lgkmcnt(4)
	v_mul_f32_e32 v137, v115, v167
	s_waitcnt vmcnt(52)
	v_mul_f32_e32 v138, v117, v168
	;; [unrolled: 4-line block ×4, first 2 shown]
	s_waitcnt vmcnt(47) lgkmcnt(1)
	v_mul_f32_e32 v143, v127, v173
	s_waitcnt vmcnt(46)
	v_fmac_f32_e32 v135, v112, v174
	s_waitcnt vmcnt(45)
	v_fmac_f32_e32 v136, v114, v175
	v_add_f32_e32 v135, 0, v135
	s_waitcnt vmcnt(44)
	v_fmac_f32_e32 v137, v116, v176
	v_add_f32_e32 v135, v135, v136
	;; [unrolled: 3-line block ×3, first 2 shown]
	v_mul_f32_e32 v112, v112, v165
	s_waitcnt vmcnt(42)
	v_fmac_f32_e32 v139, v120, v178
	v_add_f32_e32 v135, v135, v138
	v_fma_f32 v111, v111, v174, -v112
	v_mul_f32_e32 v112, v114, v166
	s_waitcnt vmcnt(41)
	v_fmac_f32_e32 v140, v122, v179
	v_add_f32_e32 v135, v135, v139
	v_add_f32_e32 v111, 0, v111
	v_fma_f32 v112, v113, v175, -v112
	s_waitcnt vmcnt(40)
	v_fmac_f32_e32 v141, v124, v180
	v_add_f32_e32 v135, v135, v140
	v_add_f32_e32 v111, v111, v112
	v_mul_f32_e32 v112, v116, v167
	s_waitcnt vmcnt(39)
	v_fmac_f32_e32 v142, v126, v181
	v_add_f32_e32 v135, v135, v141
	v_fma_f32 v112, v115, v176, -v112
	v_add_f32_e32 v135, v135, v142
	s_waitcnt vmcnt(38)
	v_fmac_f32_e32 v143, v128, v182
	s_waitcnt vmcnt(37)
	v_mul_f32_e32 v136, v129, v183
	v_add_f32_e32 v111, v111, v112
	v_mul_f32_e32 v112, v118, v168
	v_add_f32_e32 v135, v135, v143
	s_waitcnt vmcnt(36)
	v_fmac_f32_e32 v136, v130, v184
	v_fma_f32 v112, v117, v177, -v112
	v_add_f32_e32 v135, v135, v136
	s_waitcnt vmcnt(35) lgkmcnt(0)
	v_mul_f32_e32 v136, v131, v185
	v_add_f32_e32 v111, v111, v112
	v_mul_f32_e32 v112, v120, v169
	s_waitcnt vmcnt(34)
	v_fmac_f32_e32 v136, v132, v186
	v_fma_f32 v112, v119, v178, -v112
	v_add_f32_e32 v139, v135, v136
	ds_read2_b64 v[135:138], v110 offset0:93 offset1:94
	v_add_f32_e32 v111, v111, v112
	v_mul_f32_e32 v112, v122, v170
	v_fma_f32 v112, v121, v179, -v112
	s_waitcnt vmcnt(33)
	v_mul_f32_e32 v140, v133, v187
	v_add_f32_e32 v111, v111, v112
	v_mul_f32_e32 v112, v124, v171
	s_waitcnt vmcnt(32)
	v_fmac_f32_e32 v140, v134, v188
	v_fma_f32 v112, v123, v180, -v112
	v_add_f32_e32 v143, v139, v140
	ds_read2_b64 v[139:142], v110 offset0:95 offset1:96
	v_add_f32_e32 v111, v111, v112
	v_mul_f32_e32 v112, v126, v172
	s_waitcnt vmcnt(31) lgkmcnt(1)
	v_mul_f32_e32 v144, v135, v189
	v_fma_f32 v112, v125, v181, -v112
	s_waitcnt vmcnt(30)
	v_fmac_f32_e32 v144, v136, v190
	v_add_f32_e32 v111, v111, v112
	v_mul_f32_e32 v112, v128, v173
	v_add_f32_e32 v143, v143, v144
	s_waitcnt vmcnt(29)
	v_mul_f32_e32 v144, v137, v191
	v_fma_f32 v112, v127, v182, -v112
	s_waitcnt vmcnt(28)
	v_fmac_f32_e32 v144, v138, v192
	v_add_f32_e32 v111, v111, v112
	v_mul_f32_e32 v112, v130, v183
	v_add_f32_e32 v143, v143, v144
	s_waitcnt vmcnt(27) lgkmcnt(0)
	v_mul_f32_e32 v144, v139, v193
	v_fma_f32 v112, v129, v184, -v112
	s_waitcnt vmcnt(26)
	v_fmac_f32_e32 v144, v140, v194
	v_add_f32_e32 v111, v111, v112
	v_mul_f32_e32 v112, v132, v185
	v_add_f32_e32 v147, v143, v144
	ds_read2_b64 v[143:146], v110 offset0:97 offset1:98
	v_fma_f32 v112, v131, v186, -v112
	v_add_f32_e32 v111, v111, v112
	v_mul_f32_e32 v112, v134, v187
	s_waitcnt vmcnt(24)
	v_mul_f32_e32 v148, v141, v196
	v_fma_f32 v112, v133, v188, -v112
	v_fmac_f32_e32 v148, v142, v195
	v_add_f32_e32 v111, v111, v112
	v_mul_f32_e32 v112, v136, v189
	v_add_f32_e32 v151, v147, v148
	ds_read2_b64 v[147:150], v110 offset0:99 offset1:100
	v_fma_f32 v112, v135, v190, -v112
	s_waitcnt vmcnt(21) lgkmcnt(1)
	v_mul_f32_e32 v152, v143, v199
	v_add_f32_e32 v111, v111, v112
	v_mul_f32_e32 v112, v138, v191
	s_waitcnt vmcnt(20)
	v_fmac_f32_e32 v152, v144, v200
	v_fma_f32 v112, v137, v192, -v112
	v_add_f32_e32 v151, v151, v152
	s_waitcnt vmcnt(18)
	v_mul_f32_e32 v152, v145, v202
	v_add_f32_e32 v111, v111, v112
	v_mul_f32_e32 v112, v140, v193
	v_fmac_f32_e32 v152, v146, v201
	v_fma_f32 v112, v139, v194, -v112
	v_add_f32_e32 v151, v151, v152
	s_waitcnt vmcnt(16) lgkmcnt(0)
	v_mul_f32_e32 v152, v147, v204
	v_add_f32_e32 v111, v111, v112
	v_mul_f32_e32 v112, v142, v196
	v_fmac_f32_e32 v152, v148, v203
	v_fma_f32 v112, v141, v195, -v112
	v_add_f32_e32 v155, v151, v152
	ds_read2_b64 v[151:154], v110 offset0:101 offset1:102
	v_add_f32_e32 v111, v111, v112
	v_mul_f32_e32 v112, v144, v199
	v_fma_f32 v112, v143, v200, -v112
	s_waitcnt vmcnt(14)
	v_mul_f32_e32 v156, v149, v206
	v_add_f32_e32 v111, v111, v112
	v_mul_f32_e32 v112, v146, v202
	v_fmac_f32_e32 v156, v150, v205
	v_fma_f32 v112, v145, v201, -v112
	v_add_f32_e32 v159, v155, v156
	ds_read2_b64 v[155:158], v110 offset0:103 offset1:104
	v_add_f32_e32 v111, v111, v112
	v_mul_f32_e32 v112, v148, v204
	s_waitcnt vmcnt(12) lgkmcnt(1)
	v_mul_f32_e32 v160, v151, v208
	v_fma_f32 v112, v147, v203, -v112
	v_fmac_f32_e32 v160, v152, v207
	v_add_f32_e32 v111, v111, v112
	v_mul_f32_e32 v112, v150, v206
	v_add_f32_e32 v159, v159, v160
	s_waitcnt vmcnt(10)
	v_mul_f32_e32 v160, v153, v210
	v_fma_f32 v112, v149, v205, -v112
	v_fmac_f32_e32 v160, v154, v209
	v_add_f32_e32 v111, v111, v112
	v_mul_f32_e32 v112, v152, v208
	v_add_f32_e32 v159, v159, v160
	s_waitcnt vmcnt(8) lgkmcnt(0)
	v_mul_f32_e32 v160, v155, v212
	v_fma_f32 v112, v151, v207, -v112
	v_fmac_f32_e32 v160, v156, v211
	v_add_f32_e32 v111, v111, v112
	v_mul_f32_e32 v112, v154, v210
	v_add_f32_e32 v163, v159, v160
	ds_read2_b64 v[159:162], v110 offset0:105 offset1:106
	v_fma_f32 v112, v153, v209, -v112
	v_add_f32_e32 v111, v111, v112
	v_mul_f32_e32 v112, v156, v212
	s_waitcnt vmcnt(6)
	v_mul_f32_e32 v164, v157, v214
	v_fma_f32 v112, v155, v211, -v112
	v_fmac_f32_e32 v164, v158, v213
	v_add_f32_e32 v111, v111, v112
	v_mul_f32_e32 v112, v158, v214
	v_add_f32_e32 v221, v163, v164
	ds_read_b64 v[163:164], v110 offset:856
	v_fma_f32 v112, v157, v213, -v112
	v_add_f32_e32 v111, v111, v112
	s_waitcnt vmcnt(4) lgkmcnt(1)
	v_mul_f32_e32 v112, v160, v216
	v_mul_f32_e32 v222, v159, v216
	v_fma_f32 v112, v159, v215, -v112
	v_fmac_f32_e32 v222, v160, v215
	v_add_f32_e32 v111, v111, v112
	s_waitcnt vmcnt(2)
	v_mul_f32_e32 v112, v162, v218
	v_add_f32_e32 v221, v221, v222
	v_mul_f32_e32 v222, v161, v218
	v_fma_f32 v112, v161, v217, -v112
	v_fmac_f32_e32 v222, v162, v217
	v_add_f32_e32 v111, v111, v112
	s_waitcnt vmcnt(0) lgkmcnt(0)
	v_mul_f32_e32 v112, v164, v220
	v_add_f32_e32 v221, v221, v222
	v_mul_f32_e32 v222, v163, v220
	v_fma_f32 v112, v163, v219, -v112
	v_fmac_f32_e32 v222, v164, v219
	v_add_f32_e32 v111, v111, v112
	v_add_f32_e32 v221, v221, v222
	v_sub_f32_e32 v111, v197, v111
	v_sub_f32_e32 v112, v198, v221
	buffer_store_dword v111, off, s[0:3], 0 offset:208
	buffer_store_dword v112, off, s[0:3], 0 offset:212
	s_and_saveexec_b64 s[4:5], vcc
	s_cbranch_execz .LBB117_287
; %bb.286:
	buffer_load_dword v111, off, s[0:3], 0 offset:200
	buffer_load_dword v112, off, s[0:3], 0 offset:204
	s_waitcnt vmcnt(0)
	ds_write_b64 v109, v[111:112]
	buffer_store_dword v110, off, s[0:3], 0 offset:200
	buffer_store_dword v110, off, s[0:3], 0 offset:204
.LBB117_287:
	s_or_b64 exec, exec, s[4:5]
	s_waitcnt lgkmcnt(0)
	; wave barrier
	buffer_load_dword v167, off, s[0:3], 0 offset:212
	buffer_load_dword v168, off, s[0:3], 0 offset:220
	;; [unrolled: 1-line block ×34, first 2 shown]
	ds_read_b128 v[111:114], v110 offset:640
	ds_read_b128 v[115:118], v110 offset:656
	buffer_load_dword v201, off, s[0:3], 0 offset:340
	buffer_load_dword v202, off, s[0:3], 0 offset:336
	;; [unrolled: 1-line block ×6, first 2 shown]
	ds_read_b128 v[119:122], v110 offset:672
	ds_read_b128 v[123:126], v110 offset:688
	;; [unrolled: 1-line block ×4, first 2 shown]
	buffer_load_dword v207, off, s[0:3], 0 offset:364
	buffer_load_dword v208, off, s[0:3], 0 offset:360
	;; [unrolled: 1-line block ×18, first 2 shown]
	v_cmp_lt_u32_e32 vcc, 24, v0
	s_waitcnt vmcnt(57) lgkmcnt(5)
	v_mul_f32_e32 v135, v111, v167
	s_waitcnt vmcnt(56)
	v_mul_f32_e32 v136, v113, v168
	s_waitcnt vmcnt(55) lgkmcnt(4)
	v_mul_f32_e32 v137, v115, v169
	s_waitcnt vmcnt(54)
	v_mul_f32_e32 v138, v117, v170
	;; [unrolled: 4-line block ×4, first 2 shown]
	s_waitcnt vmcnt(49)
	v_fmac_f32_e32 v135, v112, v175
	s_waitcnt vmcnt(48)
	v_fmac_f32_e32 v136, v114, v176
	v_add_f32_e32 v135, 0, v135
	s_waitcnt vmcnt(47)
	v_fmac_f32_e32 v137, v116, v177
	v_add_f32_e32 v135, v135, v136
	;; [unrolled: 3-line block ×4, first 2 shown]
	v_mul_f32_e32 v112, v112, v167
	s_waitcnt vmcnt(44)
	v_fmac_f32_e32 v140, v122, v180
	v_add_f32_e32 v135, v135, v139
	v_fma_f32 v111, v111, v175, -v112
	v_mul_f32_e32 v112, v114, v168
	s_waitcnt vmcnt(43)
	v_fmac_f32_e32 v141, v124, v181
	v_add_f32_e32 v135, v135, v140
	v_add_f32_e32 v111, 0, v111
	v_fma_f32 v112, v113, v176, -v112
	s_waitcnt vmcnt(42)
	v_fmac_f32_e32 v142, v126, v182
	v_add_f32_e32 v135, v135, v141
	s_waitcnt vmcnt(41) lgkmcnt(1)
	v_mul_f32_e32 v136, v127, v183
	v_add_f32_e32 v111, v111, v112
	v_mul_f32_e32 v112, v116, v169
	v_add_f32_e32 v135, v135, v142
	s_waitcnt vmcnt(40)
	v_fmac_f32_e32 v136, v128, v184
	v_fma_f32 v112, v115, v177, -v112
	v_add_f32_e32 v135, v135, v136
	s_waitcnt vmcnt(39)
	v_mul_f32_e32 v136, v129, v185
	v_add_f32_e32 v111, v111, v112
	v_mul_f32_e32 v112, v118, v170
	s_waitcnt vmcnt(38)
	v_fmac_f32_e32 v136, v130, v186
	v_fma_f32 v112, v117, v178, -v112
	v_add_f32_e32 v135, v135, v136
	s_waitcnt vmcnt(37) lgkmcnt(0)
	v_mul_f32_e32 v136, v131, v187
	v_add_f32_e32 v111, v111, v112
	v_mul_f32_e32 v112, v120, v171
	s_waitcnt vmcnt(36)
	v_fmac_f32_e32 v136, v132, v188
	v_fma_f32 v112, v119, v179, -v112
	v_add_f32_e32 v139, v135, v136
	ds_read_b128 v[135:138], v110 offset:736
	v_add_f32_e32 v111, v111, v112
	v_mul_f32_e32 v112, v122, v172
	v_fma_f32 v112, v121, v180, -v112
	s_waitcnt vmcnt(35)
	v_mul_f32_e32 v140, v133, v189
	v_add_f32_e32 v111, v111, v112
	v_mul_f32_e32 v112, v124, v173
	s_waitcnt vmcnt(34)
	v_fmac_f32_e32 v140, v134, v190
	v_fma_f32 v112, v123, v181, -v112
	v_add_f32_e32 v143, v139, v140
	ds_read_b128 v[139:142], v110 offset:752
	v_add_f32_e32 v111, v111, v112
	v_mul_f32_e32 v112, v126, v174
	s_waitcnt vmcnt(33) lgkmcnt(1)
	v_mul_f32_e32 v144, v135, v191
	v_fma_f32 v112, v125, v182, -v112
	s_waitcnt vmcnt(32)
	v_fmac_f32_e32 v144, v136, v192
	v_add_f32_e32 v111, v111, v112
	v_mul_f32_e32 v112, v128, v183
	v_add_f32_e32 v143, v143, v144
	s_waitcnt vmcnt(31)
	v_mul_f32_e32 v144, v137, v193
	v_fma_f32 v112, v127, v184, -v112
	s_waitcnt vmcnt(30)
	v_fmac_f32_e32 v144, v138, v194
	v_add_f32_e32 v111, v111, v112
	v_mul_f32_e32 v112, v130, v185
	v_add_f32_e32 v143, v143, v144
	s_waitcnt vmcnt(29) lgkmcnt(0)
	v_mul_f32_e32 v144, v139, v195
	v_fma_f32 v112, v129, v186, -v112
	s_waitcnt vmcnt(28)
	v_fmac_f32_e32 v144, v140, v196
	v_add_f32_e32 v111, v111, v112
	v_mul_f32_e32 v112, v132, v187
	v_add_f32_e32 v147, v143, v144
	ds_read_b128 v[143:146], v110 offset:768
	v_fma_f32 v112, v131, v188, -v112
	v_add_f32_e32 v111, v111, v112
	v_mul_f32_e32 v112, v134, v189
	s_waitcnt vmcnt(25)
	v_mul_f32_e32 v148, v141, v199
	v_fma_f32 v112, v133, v190, -v112
	s_waitcnt vmcnt(24)
	v_fmac_f32_e32 v148, v142, v200
	v_add_f32_e32 v111, v111, v112
	v_mul_f32_e32 v112, v136, v191
	v_add_f32_e32 v151, v147, v148
	ds_read_b128 v[147:150], v110 offset:784
	v_fma_f32 v112, v135, v192, -v112
	s_waitcnt vmcnt(23) lgkmcnt(1)
	v_mul_f32_e32 v152, v143, v201
	v_add_f32_e32 v111, v111, v112
	v_mul_f32_e32 v112, v138, v193
	s_waitcnt vmcnt(22)
	v_fmac_f32_e32 v152, v144, v202
	v_fma_f32 v112, v137, v194, -v112
	v_add_f32_e32 v151, v151, v152
	s_waitcnt vmcnt(20)
	v_mul_f32_e32 v152, v145, v204
	v_add_f32_e32 v111, v111, v112
	v_mul_f32_e32 v112, v140, v195
	v_fmac_f32_e32 v152, v146, v203
	v_fma_f32 v112, v139, v196, -v112
	v_add_f32_e32 v151, v151, v152
	s_waitcnt vmcnt(18) lgkmcnt(0)
	v_mul_f32_e32 v152, v147, v206
	v_add_f32_e32 v111, v111, v112
	v_mul_f32_e32 v112, v142, v199
	v_fmac_f32_e32 v152, v148, v205
	v_fma_f32 v112, v141, v200, -v112
	v_add_f32_e32 v155, v151, v152
	ds_read_b128 v[151:154], v110 offset:800
	v_add_f32_e32 v111, v111, v112
	v_mul_f32_e32 v112, v144, v201
	v_fma_f32 v112, v143, v202, -v112
	s_waitcnt vmcnt(17)
	v_mul_f32_e32 v156, v149, v207
	v_add_f32_e32 v111, v111, v112
	v_mul_f32_e32 v112, v146, v204
	s_waitcnt vmcnt(16)
	v_fmac_f32_e32 v156, v150, v208
	v_fma_f32 v112, v145, v203, -v112
	v_add_f32_e32 v159, v155, v156
	ds_read_b128 v[155:158], v110 offset:816
	v_add_f32_e32 v111, v111, v112
	v_mul_f32_e32 v112, v148, v206
	s_waitcnt vmcnt(14) lgkmcnt(1)
	v_mul_f32_e32 v160, v151, v210
	v_fma_f32 v112, v147, v205, -v112
	v_fmac_f32_e32 v160, v152, v209
	v_add_f32_e32 v111, v111, v112
	v_mul_f32_e32 v112, v150, v207
	v_add_f32_e32 v159, v159, v160
	s_waitcnt vmcnt(12)
	v_mul_f32_e32 v160, v153, v212
	v_fma_f32 v112, v149, v208, -v112
	v_fmac_f32_e32 v160, v154, v211
	v_add_f32_e32 v111, v111, v112
	v_mul_f32_e32 v112, v152, v210
	v_add_f32_e32 v159, v159, v160
	s_waitcnt vmcnt(10) lgkmcnt(0)
	v_mul_f32_e32 v160, v155, v214
	v_fma_f32 v112, v151, v209, -v112
	v_fmac_f32_e32 v160, v156, v213
	v_add_f32_e32 v111, v111, v112
	v_mul_f32_e32 v112, v154, v212
	v_add_f32_e32 v163, v159, v160
	ds_read_b128 v[159:162], v110 offset:832
	v_fma_f32 v112, v153, v211, -v112
	v_add_f32_e32 v111, v111, v112
	v_mul_f32_e32 v112, v156, v214
	s_waitcnt vmcnt(8)
	v_mul_f32_e32 v164, v157, v216
	v_fma_f32 v112, v155, v213, -v112
	v_fmac_f32_e32 v164, v158, v215
	v_add_f32_e32 v111, v111, v112
	v_mul_f32_e32 v112, v158, v216
	v_add_f32_e32 v225, v163, v164
	ds_read_b128 v[163:166], v110 offset:848
	v_fma_f32 v112, v157, v215, -v112
	v_add_f32_e32 v111, v111, v112
	s_waitcnt vmcnt(6) lgkmcnt(1)
	v_mul_f32_e32 v112, v160, v218
	v_mul_f32_e32 v110, v159, v218
	v_fma_f32 v112, v159, v217, -v112
	v_fmac_f32_e32 v110, v160, v217
	v_add_f32_e32 v111, v111, v112
	s_waitcnt vmcnt(4)
	v_mul_f32_e32 v112, v162, v220
	v_add_f32_e32 v110, v225, v110
	v_mul_f32_e32 v225, v161, v220
	v_fma_f32 v112, v161, v219, -v112
	v_fmac_f32_e32 v225, v162, v219
	v_add_f32_e32 v111, v111, v112
	s_waitcnt vmcnt(2) lgkmcnt(0)
	v_mul_f32_e32 v112, v164, v222
	v_add_f32_e32 v110, v110, v225
	v_mul_f32_e32 v225, v163, v222
	v_fma_f32 v112, v163, v221, -v112
	v_fmac_f32_e32 v225, v164, v221
	v_add_f32_e32 v111, v111, v112
	s_waitcnt vmcnt(0)
	v_mul_f32_e32 v112, v166, v224
	v_add_f32_e32 v110, v110, v225
	v_mul_f32_e32 v225, v165, v224
	v_fma_f32 v112, v165, v223, -v112
	v_fmac_f32_e32 v225, v166, v223
	v_add_f32_e32 v111, v111, v112
	v_add_f32_e32 v110, v110, v225
	v_sub_f32_e32 v111, v197, v111
	v_sub_f32_e32 v110, v198, v110
	buffer_store_dword v111, off, s[0:3], 0 offset:200
	buffer_store_dword v110, off, s[0:3], 0 offset:204
	s_and_saveexec_b64 s[4:5], vcc
	s_cbranch_execz .LBB117_289
; %bb.288:
	buffer_load_dword v110, off, s[0:3], 0 offset:192
	buffer_load_dword v111, off, s[0:3], 0 offset:196
	v_mov_b32_e32 v112, 0
	buffer_store_dword v112, off, s[0:3], 0 offset:192
	buffer_store_dword v112, off, s[0:3], 0 offset:196
	s_waitcnt vmcnt(2)
	ds_write_b64 v109, v[110:111]
.LBB117_289:
	s_or_b64 exec, exec, s[4:5]
	s_waitcnt lgkmcnt(0)
	; wave barrier
	buffer_load_dword v169, off, s[0:3], 0 offset:204
	buffer_load_dword v170, off, s[0:3], 0 offset:212
	;; [unrolled: 1-line block ×60, first 2 shown]
	v_mov_b32_e32 v110, 0
	ds_read2_b64 v[111:114], v110 offset0:79 offset1:80
	ds_read2_b64 v[115:118], v110 offset0:81 offset1:82
	;; [unrolled: 1-line block ×5, first 2 shown]
	v_cmp_lt_u32_e32 vcc, 23, v0
	s_waitcnt vmcnt(59) lgkmcnt(4)
	v_mul_f32_e32 v131, v111, v169
	s_waitcnt vmcnt(58)
	v_mul_f32_e32 v132, v113, v170
	s_waitcnt vmcnt(57) lgkmcnt(3)
	v_mul_f32_e32 v133, v115, v171
	s_waitcnt vmcnt(56)
	v_mul_f32_e32 v134, v117, v172
	;; [unrolled: 4-line block ×3, first 2 shown]
	s_waitcnt vmcnt(53) lgkmcnt(1)
	v_mul_f32_e32 v137, v123, v175
	s_waitcnt vmcnt(52)
	v_fmac_f32_e32 v131, v112, v176
	s_waitcnt vmcnt(51)
	v_fmac_f32_e32 v132, v114, v177
	v_add_f32_e32 v131, 0, v131
	s_waitcnt vmcnt(50)
	v_fmac_f32_e32 v133, v116, v178
	v_add_f32_e32 v131, v131, v132
	s_waitcnt vmcnt(49)
	v_fmac_f32_e32 v134, v118, v179
	v_add_f32_e32 v131, v131, v133
	s_waitcnt vmcnt(48)
	v_fmac_f32_e32 v135, v120, v180
	v_add_f32_e32 v131, v131, v134
	s_waitcnt vmcnt(47)
	v_fmac_f32_e32 v136, v122, v181
	v_add_f32_e32 v131, v131, v135
	s_waitcnt vmcnt(46)
	v_fmac_f32_e32 v137, v124, v182
	v_add_f32_e32 v131, v131, v136
	s_waitcnt vmcnt(45)
	v_mul_f32_e32 v132, v125, v183
	v_add_f32_e32 v131, v131, v137
	s_waitcnt vmcnt(44)
	v_fmac_f32_e32 v132, v126, v184
	v_mul_f32_e32 v112, v112, v169
	v_add_f32_e32 v135, v131, v132
	ds_read2_b64 v[131:134], v110 offset0:89 offset1:90
	v_fma_f32 v111, v111, v176, -v112
	v_mul_f32_e32 v112, v114, v170
	s_waitcnt vmcnt(43) lgkmcnt(1)
	v_mul_f32_e32 v136, v127, v185
	v_add_f32_e32 v111, 0, v111
	v_fma_f32 v112, v113, v177, -v112
	s_waitcnt vmcnt(42)
	v_fmac_f32_e32 v136, v128, v186
	v_add_f32_e32 v111, v111, v112
	v_mul_f32_e32 v112, v116, v171
	v_add_f32_e32 v135, v135, v136
	s_waitcnt vmcnt(41)
	v_mul_f32_e32 v136, v129, v187
	v_fma_f32 v112, v115, v178, -v112
	s_waitcnt vmcnt(40)
	v_fmac_f32_e32 v136, v130, v188
	v_add_f32_e32 v111, v111, v112
	v_mul_f32_e32 v112, v118, v172
	v_add_f32_e32 v135, v135, v136
	s_waitcnt vmcnt(39) lgkmcnt(0)
	v_mul_f32_e32 v136, v131, v189
	v_fma_f32 v112, v117, v179, -v112
	s_waitcnt vmcnt(38)
	v_fmac_f32_e32 v136, v132, v190
	v_add_f32_e32 v111, v111, v112
	v_mul_f32_e32 v112, v120, v173
	v_add_f32_e32 v139, v135, v136
	ds_read2_b64 v[135:138], v110 offset0:91 offset1:92
	v_fma_f32 v112, v119, v180, -v112
	v_add_f32_e32 v111, v111, v112
	v_mul_f32_e32 v112, v122, v174
	s_waitcnt vmcnt(37)
	v_mul_f32_e32 v140, v133, v191
	v_fma_f32 v112, v121, v181, -v112
	s_waitcnt vmcnt(36)
	v_fmac_f32_e32 v140, v134, v192
	v_add_f32_e32 v111, v111, v112
	v_mul_f32_e32 v112, v124, v175
	v_add_f32_e32 v143, v139, v140
	ds_read2_b64 v[139:142], v110 offset0:93 offset1:94
	v_fma_f32 v112, v123, v182, -v112
	s_waitcnt vmcnt(34) lgkmcnt(1)
	v_mul_f32_e32 v144, v135, v194
	v_add_f32_e32 v111, v111, v112
	v_mul_f32_e32 v112, v126, v183
	v_fmac_f32_e32 v144, v136, v193
	v_fma_f32 v112, v125, v184, -v112
	v_add_f32_e32 v143, v143, v144
	s_waitcnt vmcnt(31)
	v_mul_f32_e32 v144, v137, v197
	v_add_f32_e32 v111, v111, v112
	v_mul_f32_e32 v112, v128, v185
	s_waitcnt vmcnt(30)
	v_fmac_f32_e32 v144, v138, v198
	v_fma_f32 v112, v127, v186, -v112
	v_add_f32_e32 v143, v143, v144
	s_waitcnt vmcnt(28) lgkmcnt(0)
	v_mul_f32_e32 v144, v139, v200
	v_add_f32_e32 v111, v111, v112
	v_mul_f32_e32 v112, v130, v187
	v_fmac_f32_e32 v144, v140, v199
	v_fma_f32 v112, v129, v188, -v112
	v_add_f32_e32 v147, v143, v144
	ds_read2_b64 v[143:146], v110 offset0:95 offset1:96
	v_add_f32_e32 v111, v111, v112
	v_mul_f32_e32 v112, v132, v189
	v_fma_f32 v112, v131, v190, -v112
	s_waitcnt vmcnt(26)
	v_mul_f32_e32 v148, v141, v202
	v_add_f32_e32 v111, v111, v112
	v_mul_f32_e32 v112, v134, v191
	v_fmac_f32_e32 v148, v142, v201
	v_fma_f32 v112, v133, v192, -v112
	v_add_f32_e32 v151, v147, v148
	ds_read2_b64 v[147:150], v110 offset0:97 offset1:98
	v_add_f32_e32 v111, v111, v112
	v_mul_f32_e32 v112, v136, v194
	s_waitcnt vmcnt(24) lgkmcnt(1)
	v_mul_f32_e32 v152, v143, v204
	v_fma_f32 v112, v135, v193, -v112
	v_fmac_f32_e32 v152, v144, v203
	v_add_f32_e32 v111, v111, v112
	v_mul_f32_e32 v112, v138, v197
	v_add_f32_e32 v151, v151, v152
	s_waitcnt vmcnt(22)
	v_mul_f32_e32 v152, v145, v206
	v_fma_f32 v112, v137, v198, -v112
	v_fmac_f32_e32 v152, v146, v205
	v_add_f32_e32 v111, v111, v112
	v_mul_f32_e32 v112, v140, v200
	v_add_f32_e32 v151, v151, v152
	s_waitcnt vmcnt(20) lgkmcnt(0)
	v_mul_f32_e32 v152, v147, v208
	v_fma_f32 v112, v139, v199, -v112
	v_fmac_f32_e32 v152, v148, v207
	v_add_f32_e32 v111, v111, v112
	v_mul_f32_e32 v112, v142, v202
	v_add_f32_e32 v155, v151, v152
	ds_read2_b64 v[151:154], v110 offset0:99 offset1:100
	v_fma_f32 v112, v141, v201, -v112
	v_add_f32_e32 v111, v111, v112
	v_mul_f32_e32 v112, v144, v204
	s_waitcnt vmcnt(18)
	v_mul_f32_e32 v156, v149, v210
	v_fma_f32 v112, v143, v203, -v112
	v_fmac_f32_e32 v156, v150, v209
	v_add_f32_e32 v111, v111, v112
	v_mul_f32_e32 v112, v146, v206
	v_add_f32_e32 v159, v155, v156
	ds_read2_b64 v[155:158], v110 offset0:101 offset1:102
	v_fma_f32 v112, v145, v205, -v112
	s_waitcnt vmcnt(16) lgkmcnt(1)
	v_mul_f32_e32 v160, v151, v212
	v_add_f32_e32 v111, v111, v112
	v_mul_f32_e32 v112, v148, v208
	v_fmac_f32_e32 v160, v152, v211
	v_fma_f32 v112, v147, v207, -v112
	v_add_f32_e32 v159, v159, v160
	s_waitcnt vmcnt(14)
	v_mul_f32_e32 v160, v153, v214
	v_add_f32_e32 v111, v111, v112
	v_mul_f32_e32 v112, v150, v210
	v_fmac_f32_e32 v160, v154, v213
	v_fma_f32 v112, v149, v209, -v112
	v_add_f32_e32 v159, v159, v160
	s_waitcnt vmcnt(12) lgkmcnt(0)
	v_mul_f32_e32 v160, v155, v216
	v_add_f32_e32 v111, v111, v112
	v_mul_f32_e32 v112, v152, v212
	v_fmac_f32_e32 v160, v156, v215
	v_fma_f32 v112, v151, v211, -v112
	v_add_f32_e32 v163, v159, v160
	ds_read2_b64 v[159:162], v110 offset0:103 offset1:104
	v_add_f32_e32 v111, v111, v112
	v_mul_f32_e32 v112, v154, v214
	v_fma_f32 v112, v153, v213, -v112
	v_add_f32_e32 v111, v111, v112
	v_mul_f32_e32 v112, v156, v216
	s_waitcnt vmcnt(10)
	v_mul_f32_e32 v164, v157, v218
	v_fma_f32 v112, v155, v215, -v112
	v_fmac_f32_e32 v164, v158, v217
	v_add_f32_e32 v111, v111, v112
	v_mul_f32_e32 v112, v158, v218
	v_add_f32_e32 v167, v163, v164
	ds_read2_b64 v[163:166], v110 offset0:105 offset1:106
	s_waitcnt vmcnt(8) lgkmcnt(1)
	v_mul_f32_e32 v168, v159, v220
	v_fma_f32 v112, v157, v217, -v112
	v_fmac_f32_e32 v168, v160, v219
	v_add_f32_e32 v111, v111, v112
	v_mul_f32_e32 v112, v160, v220
	v_add_f32_e32 v167, v167, v168
	s_waitcnt vmcnt(6)
	v_mul_f32_e32 v168, v161, v222
	v_fma_f32 v112, v159, v219, -v112
	v_fmac_f32_e32 v168, v162, v221
	v_add_f32_e32 v111, v111, v112
	v_mul_f32_e32 v112, v162, v222
	v_add_f32_e32 v229, v167, v168
	ds_read_b64 v[167:168], v110 offset:856
	v_fma_f32 v112, v161, v221, -v112
	v_add_f32_e32 v111, v111, v112
	s_waitcnt vmcnt(4) lgkmcnt(1)
	v_mul_f32_e32 v112, v164, v224
	v_mul_f32_e32 v230, v163, v224
	v_fma_f32 v112, v163, v223, -v112
	v_fmac_f32_e32 v230, v164, v223
	v_add_f32_e32 v111, v111, v112
	s_waitcnt vmcnt(2)
	v_mul_f32_e32 v112, v166, v226
	v_add_f32_e32 v229, v229, v230
	v_mul_f32_e32 v230, v165, v226
	v_fma_f32 v112, v165, v225, -v112
	v_fmac_f32_e32 v230, v166, v225
	v_add_f32_e32 v111, v111, v112
	s_waitcnt vmcnt(0) lgkmcnt(0)
	v_mul_f32_e32 v112, v168, v228
	v_add_f32_e32 v229, v229, v230
	v_mul_f32_e32 v230, v167, v228
	v_fma_f32 v112, v167, v227, -v112
	v_fmac_f32_e32 v230, v168, v227
	v_add_f32_e32 v111, v111, v112
	v_add_f32_e32 v229, v229, v230
	v_sub_f32_e32 v111, v195, v111
	v_sub_f32_e32 v112, v196, v229
	buffer_store_dword v111, off, s[0:3], 0 offset:192
	buffer_store_dword v112, off, s[0:3], 0 offset:196
	s_and_saveexec_b64 s[4:5], vcc
	s_cbranch_execz .LBB117_291
; %bb.290:
	buffer_load_dword v111, off, s[0:3], 0 offset:184
	buffer_load_dword v112, off, s[0:3], 0 offset:188
	s_waitcnt vmcnt(0)
	ds_write_b64 v109, v[111:112]
	buffer_store_dword v110, off, s[0:3], 0 offset:184
	buffer_store_dword v110, off, s[0:3], 0 offset:188
.LBB117_291:
	s_or_b64 exec, exec, s[4:5]
	s_waitcnt lgkmcnt(0)
	; wave barrier
	buffer_load_dword v171, off, s[0:3], 0 offset:196
	buffer_load_dword v172, off, s[0:3], 0 offset:204
	;; [unrolled: 1-line block ×32, first 2 shown]
	ds_read_b128 v[111:114], v110 offset:624
	ds_read_b128 v[115:118], v110 offset:640
	;; [unrolled: 1-line block ×4, first 2 shown]
	buffer_load_dword v203, off, s[0:3], 0 offset:316
	buffer_load_dword v204, off, s[0:3], 0 offset:312
	;; [unrolled: 1-line block ×30, first 2 shown]
	v_cmp_lt_u32_e32 vcc, 22, v0
	s_waitcnt vmcnt(61) lgkmcnt(3)
	v_mul_f32_e32 v127, v111, v171
	s_waitcnt vmcnt(60)
	v_mul_f32_e32 v128, v113, v172
	s_waitcnt vmcnt(59) lgkmcnt(2)
	v_mul_f32_e32 v129, v115, v173
	s_waitcnt vmcnt(58)
	v_mul_f32_e32 v130, v117, v174
	;; [unrolled: 4-line block ×3, first 2 shown]
	s_waitcnt vmcnt(55) lgkmcnt(0)
	v_mul_f32_e32 v133, v123, v177
	s_waitcnt vmcnt(54)
	v_fmac_f32_e32 v127, v112, v178
	s_waitcnt vmcnt(53)
	v_fmac_f32_e32 v128, v114, v179
	v_add_f32_e32 v127, 0, v127
	s_waitcnt vmcnt(52)
	v_fmac_f32_e32 v129, v116, v180
	v_add_f32_e32 v127, v127, v128
	;; [unrolled: 3-line block ×6, first 2 shown]
	v_add_f32_e32 v131, v127, v133
	ds_read_b128 v[127:130], v110 offset:688
	s_waitcnt vmcnt(47)
	v_mul_f32_e32 v132, v125, v185
	s_waitcnt vmcnt(46)
	v_fmac_f32_e32 v132, v126, v186
	v_mul_f32_e32 v112, v112, v171
	v_add_f32_e32 v135, v131, v132
	ds_read_b128 v[131:134], v110 offset:704
	v_fma_f32 v111, v111, v178, -v112
	v_mul_f32_e32 v112, v114, v172
	s_waitcnt vmcnt(45) lgkmcnt(1)
	v_mul_f32_e32 v136, v127, v187
	v_add_f32_e32 v111, 0, v111
	v_fma_f32 v112, v113, v179, -v112
	s_waitcnt vmcnt(44)
	v_fmac_f32_e32 v136, v128, v188
	v_add_f32_e32 v111, v111, v112
	v_mul_f32_e32 v112, v116, v173
	v_add_f32_e32 v135, v135, v136
	s_waitcnt vmcnt(43)
	v_mul_f32_e32 v136, v129, v189
	v_fma_f32 v112, v115, v180, -v112
	s_waitcnt vmcnt(42)
	v_fmac_f32_e32 v136, v130, v190
	v_add_f32_e32 v111, v111, v112
	v_mul_f32_e32 v112, v118, v174
	v_add_f32_e32 v135, v135, v136
	s_waitcnt vmcnt(41) lgkmcnt(0)
	v_mul_f32_e32 v136, v131, v191
	v_fma_f32 v112, v117, v181, -v112
	s_waitcnt vmcnt(40)
	v_fmac_f32_e32 v136, v132, v192
	v_add_f32_e32 v111, v111, v112
	v_mul_f32_e32 v112, v120, v175
	v_add_f32_e32 v139, v135, v136
	ds_read_b128 v[135:138], v110 offset:720
	v_fma_f32 v112, v119, v182, -v112
	v_add_f32_e32 v111, v111, v112
	v_mul_f32_e32 v112, v122, v176
	s_waitcnt vmcnt(39)
	v_mul_f32_e32 v140, v133, v193
	v_fma_f32 v112, v121, v183, -v112
	s_waitcnt vmcnt(38)
	v_fmac_f32_e32 v140, v134, v194
	v_add_f32_e32 v111, v111, v112
	v_mul_f32_e32 v112, v124, v177
	v_add_f32_e32 v143, v139, v140
	ds_read_b128 v[139:142], v110 offset:736
	v_fma_f32 v112, v123, v184, -v112
	s_waitcnt vmcnt(35) lgkmcnt(1)
	v_mul_f32_e32 v144, v135, v197
	v_add_f32_e32 v111, v111, v112
	v_mul_f32_e32 v112, v126, v185
	s_waitcnt vmcnt(34)
	v_fmac_f32_e32 v144, v136, v198
	v_fma_f32 v112, v125, v186, -v112
	v_add_f32_e32 v143, v143, v144
	s_waitcnt vmcnt(32)
	v_mul_f32_e32 v144, v137, v200
	v_add_f32_e32 v111, v111, v112
	v_mul_f32_e32 v112, v128, v187
	v_fmac_f32_e32 v144, v138, v199
	v_fma_f32 v112, v127, v188, -v112
	v_add_f32_e32 v143, v143, v144
	s_waitcnt vmcnt(30) lgkmcnt(0)
	v_mul_f32_e32 v144, v139, v202
	v_add_f32_e32 v111, v111, v112
	v_mul_f32_e32 v112, v130, v189
	v_fmac_f32_e32 v144, v140, v201
	v_fma_f32 v112, v129, v190, -v112
	v_add_f32_e32 v147, v143, v144
	ds_read_b128 v[143:146], v110 offset:752
	v_add_f32_e32 v111, v111, v112
	v_mul_f32_e32 v112, v132, v191
	v_fma_f32 v112, v131, v192, -v112
	s_waitcnt vmcnt(29)
	v_mul_f32_e32 v148, v141, v203
	v_add_f32_e32 v111, v111, v112
	v_mul_f32_e32 v112, v134, v193
	s_waitcnt vmcnt(28)
	v_fmac_f32_e32 v148, v142, v204
	v_fma_f32 v112, v133, v194, -v112
	v_add_f32_e32 v151, v147, v148
	ds_read_b128 v[147:150], v110 offset:768
	v_add_f32_e32 v111, v111, v112
	v_mul_f32_e32 v112, v136, v197
	s_waitcnt vmcnt(26) lgkmcnt(1)
	v_mul_f32_e32 v152, v143, v206
	v_fma_f32 v112, v135, v198, -v112
	v_fmac_f32_e32 v152, v144, v205
	v_add_f32_e32 v111, v111, v112
	v_mul_f32_e32 v112, v138, v200
	v_add_f32_e32 v151, v151, v152
	s_waitcnt vmcnt(24)
	v_mul_f32_e32 v152, v145, v208
	v_fma_f32 v112, v137, v199, -v112
	v_fmac_f32_e32 v152, v146, v207
	v_add_f32_e32 v111, v111, v112
	v_mul_f32_e32 v112, v140, v202
	v_add_f32_e32 v151, v151, v152
	s_waitcnt vmcnt(22) lgkmcnt(0)
	v_mul_f32_e32 v152, v147, v210
	v_fma_f32 v112, v139, v201, -v112
	v_fmac_f32_e32 v152, v148, v209
	v_add_f32_e32 v111, v111, v112
	v_mul_f32_e32 v112, v142, v203
	v_add_f32_e32 v155, v151, v152
	ds_read_b128 v[151:154], v110 offset:784
	v_fma_f32 v112, v141, v204, -v112
	v_add_f32_e32 v111, v111, v112
	v_mul_f32_e32 v112, v144, v206
	s_waitcnt vmcnt(20)
	v_mul_f32_e32 v156, v149, v212
	v_fma_f32 v112, v143, v205, -v112
	v_fmac_f32_e32 v156, v150, v211
	v_add_f32_e32 v111, v111, v112
	v_mul_f32_e32 v112, v146, v208
	v_add_f32_e32 v159, v155, v156
	ds_read_b128 v[155:158], v110 offset:800
	v_fma_f32 v112, v145, v207, -v112
	s_waitcnt vmcnt(18) lgkmcnt(1)
	v_mul_f32_e32 v160, v151, v214
	v_add_f32_e32 v111, v111, v112
	v_mul_f32_e32 v112, v148, v210
	v_fmac_f32_e32 v160, v152, v213
	v_fma_f32 v112, v147, v209, -v112
	v_add_f32_e32 v159, v159, v160
	s_waitcnt vmcnt(16)
	v_mul_f32_e32 v160, v153, v216
	v_add_f32_e32 v111, v111, v112
	v_mul_f32_e32 v112, v150, v212
	v_fmac_f32_e32 v160, v154, v215
	v_fma_f32 v112, v149, v211, -v112
	v_add_f32_e32 v159, v159, v160
	s_waitcnt vmcnt(14) lgkmcnt(0)
	v_mul_f32_e32 v160, v155, v218
	v_add_f32_e32 v111, v111, v112
	v_mul_f32_e32 v112, v152, v214
	v_fmac_f32_e32 v160, v156, v217
	v_fma_f32 v112, v151, v213, -v112
	v_add_f32_e32 v163, v159, v160
	ds_read_b128 v[159:162], v110 offset:816
	v_add_f32_e32 v111, v111, v112
	v_mul_f32_e32 v112, v154, v216
	v_fma_f32 v112, v153, v215, -v112
	v_add_f32_e32 v111, v111, v112
	v_mul_f32_e32 v112, v156, v218
	s_waitcnt vmcnt(12)
	v_mul_f32_e32 v164, v157, v220
	v_fma_f32 v112, v155, v217, -v112
	v_fmac_f32_e32 v164, v158, v219
	v_add_f32_e32 v111, v111, v112
	v_mul_f32_e32 v112, v158, v220
	v_add_f32_e32 v167, v163, v164
	ds_read_b128 v[163:166], v110 offset:832
	s_waitcnt vmcnt(10) lgkmcnt(1)
	v_mul_f32_e32 v168, v159, v222
	v_fma_f32 v112, v157, v219, -v112
	v_fmac_f32_e32 v168, v160, v221
	v_add_f32_e32 v111, v111, v112
	v_mul_f32_e32 v112, v160, v222
	v_add_f32_e32 v167, v167, v168
	s_waitcnt vmcnt(8)
	v_mul_f32_e32 v168, v161, v224
	v_fma_f32 v112, v159, v221, -v112
	v_fmac_f32_e32 v168, v162, v223
	v_add_f32_e32 v111, v111, v112
	v_mul_f32_e32 v112, v162, v224
	v_add_f32_e32 v233, v167, v168
	ds_read_b128 v[167:170], v110 offset:848
	v_fma_f32 v112, v161, v223, -v112
	v_add_f32_e32 v111, v111, v112
	s_waitcnt vmcnt(6) lgkmcnt(1)
	v_mul_f32_e32 v112, v164, v226
	v_mul_f32_e32 v234, v163, v226
	v_fma_f32 v112, v163, v225, -v112
	v_fmac_f32_e32 v234, v164, v225
	v_add_f32_e32 v111, v111, v112
	s_waitcnt vmcnt(4)
	v_mul_f32_e32 v112, v166, v228
	v_add_f32_e32 v110, v233, v234
	v_mul_f32_e32 v233, v165, v228
	v_fma_f32 v112, v165, v227, -v112
	v_fmac_f32_e32 v233, v166, v227
	v_add_f32_e32 v111, v111, v112
	s_waitcnt vmcnt(2) lgkmcnt(0)
	v_mul_f32_e32 v112, v168, v230
	v_add_f32_e32 v110, v110, v233
	v_mul_f32_e32 v233, v167, v230
	v_fma_f32 v112, v167, v229, -v112
	v_fmac_f32_e32 v233, v168, v229
	v_add_f32_e32 v111, v111, v112
	s_waitcnt vmcnt(0)
	v_mul_f32_e32 v112, v170, v232
	v_add_f32_e32 v110, v110, v233
	v_mul_f32_e32 v233, v169, v232
	v_fma_f32 v112, v169, v231, -v112
	v_fmac_f32_e32 v233, v170, v231
	v_add_f32_e32 v111, v111, v112
	v_add_f32_e32 v110, v110, v233
	v_sub_f32_e32 v111, v195, v111
	v_sub_f32_e32 v110, v196, v110
	buffer_store_dword v111, off, s[0:3], 0 offset:184
	buffer_store_dword v110, off, s[0:3], 0 offset:188
	s_and_saveexec_b64 s[4:5], vcc
	s_cbranch_execz .LBB117_293
; %bb.292:
	buffer_load_dword v110, off, s[0:3], 0 offset:176
	buffer_load_dword v111, off, s[0:3], 0 offset:180
	v_mov_b32_e32 v112, 0
	buffer_store_dword v112, off, s[0:3], 0 offset:176
	buffer_store_dword v112, off, s[0:3], 0 offset:180
	s_waitcnt vmcnt(2)
	ds_write_b64 v109, v[110:111]
.LBB117_293:
	s_or_b64 exec, exec, s[4:5]
	s_waitcnt lgkmcnt(0)
	; wave barrier
	buffer_load_dword v173, off, s[0:3], 0 offset:188
	buffer_load_dword v174, off, s[0:3], 0 offset:196
	;; [unrolled: 1-line block ×56, first 2 shown]
	v_mov_b32_e32 v110, 0
	ds_read2_b64 v[111:114], v110 offset0:77 offset1:78
	buffer_load_dword v229, off, s[0:3], 0 offset:400
	buffer_load_dword v230, off, s[0:3], 0 offset:404
	;; [unrolled: 1-line block ×4, first 2 shown]
	ds_read2_b64 v[115:118], v110 offset0:79 offset1:80
	ds_read2_b64 v[119:122], v110 offset0:81 offset1:82
	ds_read2_b64 v[123:126], v110 offset0:83 offset1:84
	v_cmp_lt_u32_e32 vcc, 21, v0
	s_waitcnt vmcnt(59) lgkmcnt(3)
	v_mul_f32_e32 v127, v111, v173
	s_waitcnt vmcnt(58)
	v_mul_f32_e32 v128, v113, v174
	s_waitcnt vmcnt(57) lgkmcnt(2)
	v_mul_f32_e32 v129, v115, v175
	s_waitcnt vmcnt(56)
	v_mul_f32_e32 v130, v117, v176
	s_waitcnt vmcnt(55) lgkmcnt(1)
	v_mul_f32_e32 v131, v119, v177
	s_waitcnt vmcnt(54)
	v_mul_f32_e32 v132, v121, v178
	s_waitcnt vmcnt(53) lgkmcnt(0)
	v_mul_f32_e32 v133, v123, v179
	s_waitcnt vmcnt(52)
	v_mul_f32_e32 v134, v125, v180
	s_waitcnt vmcnt(51)
	v_fmac_f32_e32 v127, v112, v181
	s_waitcnt vmcnt(50)
	v_fmac_f32_e32 v128, v114, v182
	v_add_f32_e32 v127, 0, v127
	s_waitcnt vmcnt(49)
	v_fmac_f32_e32 v129, v116, v183
	v_add_f32_e32 v127, v127, v128
	;; [unrolled: 3-line block ×6, first 2 shown]
	v_add_f32_e32 v131, v127, v133
	ds_read2_b64 v[127:130], v110 offset0:85 offset1:86
	buffer_load_dword v233, off, s[0:3], 0 offset:420
	buffer_load_dword v234, off, s[0:3], 0 offset:416
	;; [unrolled: 1-line block ×4, first 2 shown]
	s_waitcnt vmcnt(48)
	v_fmac_f32_e32 v134, v126, v188
	v_add_f32_e32 v135, v131, v134
	ds_read2_b64 v[131:134], v110 offset0:87 offset1:88
	s_waitcnt vmcnt(47) lgkmcnt(1)
	v_mul_f32_e32 v136, v127, v189
	v_mul_f32_e32 v112, v112, v173
	s_waitcnt vmcnt(46)
	v_fmac_f32_e32 v136, v128, v190
	v_fma_f32 v111, v111, v181, -v112
	v_mul_f32_e32 v112, v114, v174
	v_add_f32_e32 v135, v135, v136
	s_waitcnt vmcnt(45)
	v_mul_f32_e32 v136, v129, v191
	v_add_f32_e32 v111, 0, v111
	v_fma_f32 v112, v113, v182, -v112
	s_waitcnt vmcnt(44)
	v_fmac_f32_e32 v136, v130, v192
	v_add_f32_e32 v111, v111, v112
	v_mul_f32_e32 v112, v116, v175
	v_add_f32_e32 v135, v135, v136
	s_waitcnt vmcnt(42) lgkmcnt(0)
	v_mul_f32_e32 v136, v131, v194
	v_fma_f32 v112, v115, v183, -v112
	v_fmac_f32_e32 v136, v132, v193
	v_add_f32_e32 v111, v111, v112
	v_mul_f32_e32 v112, v118, v176
	v_add_f32_e32 v139, v135, v136
	ds_read2_b64 v[135:138], v110 offset0:89 offset1:90
	v_fma_f32 v112, v117, v184, -v112
	v_add_f32_e32 v111, v111, v112
	v_mul_f32_e32 v112, v120, v177
	s_waitcnt vmcnt(39)
	v_mul_f32_e32 v140, v133, v197
	v_fma_f32 v112, v119, v185, -v112
	s_waitcnt vmcnt(38)
	v_fmac_f32_e32 v140, v134, v198
	v_add_f32_e32 v111, v111, v112
	v_mul_f32_e32 v112, v122, v178
	v_add_f32_e32 v143, v139, v140
	ds_read2_b64 v[139:142], v110 offset0:91 offset1:92
	v_fma_f32 v112, v121, v186, -v112
	s_waitcnt vmcnt(36) lgkmcnt(1)
	v_mul_f32_e32 v144, v135, v200
	v_add_f32_e32 v111, v111, v112
	v_mul_f32_e32 v112, v124, v179
	v_fmac_f32_e32 v144, v136, v199
	v_fma_f32 v112, v123, v187, -v112
	v_add_f32_e32 v143, v143, v144
	s_waitcnt vmcnt(34)
	v_mul_f32_e32 v144, v137, v202
	v_add_f32_e32 v111, v111, v112
	v_mul_f32_e32 v112, v126, v180
	v_fmac_f32_e32 v144, v138, v201
	v_fma_f32 v112, v125, v188, -v112
	v_add_f32_e32 v143, v143, v144
	s_waitcnt vmcnt(32) lgkmcnt(0)
	v_mul_f32_e32 v144, v139, v204
	v_add_f32_e32 v111, v111, v112
	v_mul_f32_e32 v112, v128, v189
	v_fmac_f32_e32 v144, v140, v203
	v_fma_f32 v112, v127, v190, -v112
	v_add_f32_e32 v147, v143, v144
	ds_read2_b64 v[143:146], v110 offset0:93 offset1:94
	v_add_f32_e32 v111, v111, v112
	v_mul_f32_e32 v112, v130, v191
	v_fma_f32 v112, v129, v192, -v112
	s_waitcnt vmcnt(30)
	v_mul_f32_e32 v148, v141, v206
	v_add_f32_e32 v111, v111, v112
	v_mul_f32_e32 v112, v132, v194
	v_fmac_f32_e32 v148, v142, v205
	v_fma_f32 v112, v131, v193, -v112
	v_add_f32_e32 v151, v147, v148
	ds_read2_b64 v[147:150], v110 offset0:95 offset1:96
	v_add_f32_e32 v111, v111, v112
	v_mul_f32_e32 v112, v134, v197
	s_waitcnt vmcnt(28) lgkmcnt(1)
	v_mul_f32_e32 v152, v143, v208
	v_fma_f32 v112, v133, v198, -v112
	v_fmac_f32_e32 v152, v144, v207
	v_add_f32_e32 v111, v111, v112
	v_mul_f32_e32 v112, v136, v200
	v_add_f32_e32 v151, v151, v152
	s_waitcnt vmcnt(26)
	v_mul_f32_e32 v152, v145, v210
	v_fma_f32 v112, v135, v199, -v112
	v_fmac_f32_e32 v152, v146, v209
	v_add_f32_e32 v111, v111, v112
	v_mul_f32_e32 v112, v138, v202
	v_add_f32_e32 v151, v151, v152
	s_waitcnt vmcnt(24) lgkmcnt(0)
	v_mul_f32_e32 v152, v147, v212
	v_fma_f32 v112, v137, v201, -v112
	v_fmac_f32_e32 v152, v148, v211
	v_add_f32_e32 v111, v111, v112
	v_mul_f32_e32 v112, v140, v204
	v_add_f32_e32 v155, v151, v152
	ds_read2_b64 v[151:154], v110 offset0:97 offset1:98
	v_fma_f32 v112, v139, v203, -v112
	v_add_f32_e32 v111, v111, v112
	v_mul_f32_e32 v112, v142, v206
	s_waitcnt vmcnt(22)
	v_mul_f32_e32 v156, v149, v214
	v_fma_f32 v112, v141, v205, -v112
	v_fmac_f32_e32 v156, v150, v213
	v_add_f32_e32 v111, v111, v112
	v_mul_f32_e32 v112, v144, v208
	v_add_f32_e32 v159, v155, v156
	ds_read2_b64 v[155:158], v110 offset0:99 offset1:100
	v_fma_f32 v112, v143, v207, -v112
	s_waitcnt vmcnt(20) lgkmcnt(1)
	v_mul_f32_e32 v160, v151, v216
	v_add_f32_e32 v111, v111, v112
	v_mul_f32_e32 v112, v146, v210
	v_fmac_f32_e32 v160, v152, v215
	v_fma_f32 v112, v145, v209, -v112
	v_add_f32_e32 v159, v159, v160
	s_waitcnt vmcnt(18)
	v_mul_f32_e32 v160, v153, v218
	v_add_f32_e32 v111, v111, v112
	v_mul_f32_e32 v112, v148, v212
	v_fmac_f32_e32 v160, v154, v217
	v_fma_f32 v112, v147, v211, -v112
	v_add_f32_e32 v159, v159, v160
	s_waitcnt vmcnt(16) lgkmcnt(0)
	v_mul_f32_e32 v160, v155, v220
	v_add_f32_e32 v111, v111, v112
	v_mul_f32_e32 v112, v150, v214
	v_fmac_f32_e32 v160, v156, v219
	v_fma_f32 v112, v149, v213, -v112
	v_add_f32_e32 v163, v159, v160
	ds_read2_b64 v[159:162], v110 offset0:101 offset1:102
	v_add_f32_e32 v111, v111, v112
	v_mul_f32_e32 v112, v152, v216
	v_fma_f32 v112, v151, v215, -v112
	s_waitcnt vmcnt(14)
	v_mul_f32_e32 v164, v157, v222
	v_add_f32_e32 v111, v111, v112
	v_mul_f32_e32 v112, v154, v218
	v_fmac_f32_e32 v164, v158, v221
	v_fma_f32 v112, v153, v217, -v112
	v_add_f32_e32 v167, v163, v164
	ds_read2_b64 v[163:166], v110 offset0:103 offset1:104
	v_add_f32_e32 v111, v111, v112
	v_mul_f32_e32 v112, v156, v220
	s_waitcnt vmcnt(12) lgkmcnt(1)
	v_mul_f32_e32 v168, v159, v224
	v_fma_f32 v112, v155, v219, -v112
	v_fmac_f32_e32 v168, v160, v223
	v_add_f32_e32 v111, v111, v112
	v_mul_f32_e32 v112, v158, v222
	v_add_f32_e32 v167, v167, v168
	s_waitcnt vmcnt(10)
	v_mul_f32_e32 v168, v161, v226
	v_fma_f32 v112, v157, v221, -v112
	v_fmac_f32_e32 v168, v162, v225
	v_add_f32_e32 v111, v111, v112
	v_mul_f32_e32 v112, v160, v224
	v_add_f32_e32 v167, v167, v168
	s_waitcnt vmcnt(8) lgkmcnt(0)
	v_mul_f32_e32 v168, v163, v228
	v_fma_f32 v112, v159, v223, -v112
	v_fmac_f32_e32 v168, v164, v227
	v_add_f32_e32 v111, v111, v112
	v_mul_f32_e32 v112, v162, v226
	v_add_f32_e32 v171, v167, v168
	ds_read2_b64 v[167:170], v110 offset0:105 offset1:106
	v_fma_f32 v112, v161, v225, -v112
	v_add_f32_e32 v111, v111, v112
	v_mul_f32_e32 v112, v164, v228
	s_waitcnt vmcnt(6)
	v_mul_f32_e32 v172, v165, v230
	v_fma_f32 v112, v163, v227, -v112
	v_fmac_f32_e32 v172, v166, v229
	v_add_f32_e32 v111, v111, v112
	v_mul_f32_e32 v112, v166, v230
	v_add_f32_e32 v237, v171, v172
	ds_read_b64 v[171:172], v110 offset:856
	v_fma_f32 v112, v165, v229, -v112
	v_add_f32_e32 v111, v111, v112
	s_waitcnt vmcnt(4) lgkmcnt(1)
	v_mul_f32_e32 v112, v168, v232
	v_mul_f32_e32 v238, v167, v232
	v_fma_f32 v112, v167, v231, -v112
	v_fmac_f32_e32 v238, v168, v231
	v_add_f32_e32 v111, v111, v112
	s_waitcnt vmcnt(3)
	v_mul_f32_e32 v112, v170, v233
	v_add_f32_e32 v237, v237, v238
	v_mul_f32_e32 v238, v169, v233
	s_waitcnt vmcnt(2)
	v_fma_f32 v112, v169, v234, -v112
	v_fmac_f32_e32 v238, v170, v234
	v_add_f32_e32 v111, v111, v112
	s_waitcnt vmcnt(0) lgkmcnt(0)
	v_mul_f32_e32 v112, v172, v236
	v_add_f32_e32 v237, v237, v238
	v_mul_f32_e32 v238, v171, v236
	v_fma_f32 v112, v171, v235, -v112
	v_fmac_f32_e32 v238, v172, v235
	v_add_f32_e32 v111, v111, v112
	v_add_f32_e32 v237, v237, v238
	v_sub_f32_e32 v111, v195, v111
	v_sub_f32_e32 v112, v196, v237
	buffer_store_dword v111, off, s[0:3], 0 offset:176
	buffer_store_dword v112, off, s[0:3], 0 offset:180
	s_and_saveexec_b64 s[4:5], vcc
	s_cbranch_execz .LBB117_295
; %bb.294:
	buffer_load_dword v111, off, s[0:3], 0 offset:168
	buffer_load_dword v112, off, s[0:3], 0 offset:172
	s_waitcnt vmcnt(0)
	ds_write_b64 v109, v[111:112]
	buffer_store_dword v110, off, s[0:3], 0 offset:168
	buffer_store_dword v110, off, s[0:3], 0 offset:172
.LBB117_295:
	s_or_b64 exec, exec, s[4:5]
	s_waitcnt lgkmcnt(0)
	; wave barrier
	buffer_load_dword v175, off, s[0:3], 0 offset:180
	buffer_load_dword v176, off, s[0:3], 0 offset:188
	;; [unrolled: 1-line block ×26, first 2 shown]
	ds_read_b128 v[111:114], v110 offset:608
	ds_read_b128 v[115:118], v110 offset:624
	;; [unrolled: 1-line block ×4, first 2 shown]
	buffer_load_dword v201, off, s[0:3], 0 offset:276
	buffer_load_dword v202, off, s[0:3], 0 offset:272
	;; [unrolled: 1-line block ×34, first 2 shown]
	v_cmp_lt_u32_e32 vcc, 20, v0
	s_waitcnt vmcnt(59) lgkmcnt(3)
	v_mul_f32_e32 v127, v111, v175
	s_waitcnt vmcnt(58)
	v_mul_f32_e32 v128, v113, v176
	s_waitcnt vmcnt(57) lgkmcnt(2)
	v_mul_f32_e32 v129, v115, v177
	s_waitcnt vmcnt(56)
	v_mul_f32_e32 v130, v117, v178
	s_waitcnt vmcnt(55) lgkmcnt(1)
	v_mul_f32_e32 v131, v119, v179
	s_waitcnt vmcnt(54)
	v_mul_f32_e32 v132, v121, v180
	s_waitcnt vmcnt(53) lgkmcnt(0)
	v_mul_f32_e32 v133, v123, v181
	s_waitcnt vmcnt(52)
	v_mul_f32_e32 v134, v125, v182
	s_waitcnt vmcnt(51)
	v_fmac_f32_e32 v127, v112, v183
	s_waitcnt vmcnt(50)
	v_fmac_f32_e32 v128, v114, v184
	v_add_f32_e32 v127, 0, v127
	s_waitcnt vmcnt(49)
	v_fmac_f32_e32 v129, v116, v185
	v_add_f32_e32 v127, v127, v128
	;; [unrolled: 3-line block ×7, first 2 shown]
	v_add_f32_e32 v135, v127, v134
	ds_read_b128 v[127:130], v110 offset:672
	buffer_load_dword v235, off, s[0:3], 0 offset:412
	buffer_load_dword v236, off, s[0:3], 0 offset:408
	;; [unrolled: 1-line block ×4, first 2 shown]
	ds_read_b128 v[131:134], v110 offset:688
	buffer_load_dword v239, off, s[0:3], 0 offset:424
	buffer_load_dword v240, off, s[0:3], 0 offset:428
	v_mul_f32_e32 v112, v112, v175
	s_waitcnt vmcnt(49) lgkmcnt(1)
	v_mul_f32_e32 v136, v127, v191
	s_waitcnt vmcnt(48)
	v_fmac_f32_e32 v136, v128, v192
	v_fma_f32 v111, v111, v183, -v112
	v_mul_f32_e32 v112, v114, v176
	v_add_f32_e32 v135, v135, v136
	s_waitcnt vmcnt(46)
	v_mul_f32_e32 v136, v129, v194
	v_add_f32_e32 v111, 0, v111
	v_fma_f32 v112, v113, v184, -v112
	v_fmac_f32_e32 v136, v130, v193
	v_add_f32_e32 v111, v111, v112
	v_mul_f32_e32 v112, v116, v177
	v_add_f32_e32 v135, v135, v136
	s_waitcnt vmcnt(43) lgkmcnt(0)
	v_mul_f32_e32 v136, v131, v197
	v_fma_f32 v112, v115, v185, -v112
	s_waitcnt vmcnt(42)
	v_fmac_f32_e32 v136, v132, v198
	v_add_f32_e32 v111, v111, v112
	v_mul_f32_e32 v112, v118, v178
	v_add_f32_e32 v139, v135, v136
	ds_read_b128 v[135:138], v110 offset:704
	v_fma_f32 v112, v117, v186, -v112
	v_add_f32_e32 v111, v111, v112
	v_mul_f32_e32 v112, v120, v179
	s_waitcnt vmcnt(40)
	v_mul_f32_e32 v140, v133, v200
	v_fma_f32 v112, v119, v187, -v112
	v_fmac_f32_e32 v140, v134, v199
	v_add_f32_e32 v111, v111, v112
	v_mul_f32_e32 v112, v122, v180
	v_add_f32_e32 v143, v139, v140
	ds_read_b128 v[139:142], v110 offset:720
	v_fma_f32 v112, v121, v188, -v112
	s_waitcnt vmcnt(39) lgkmcnt(1)
	v_mul_f32_e32 v144, v135, v201
	v_add_f32_e32 v111, v111, v112
	v_mul_f32_e32 v112, v124, v181
	s_waitcnt vmcnt(38)
	v_fmac_f32_e32 v144, v136, v202
	v_fma_f32 v112, v123, v189, -v112
	v_add_f32_e32 v143, v143, v144
	s_waitcnt vmcnt(36)
	v_mul_f32_e32 v144, v137, v204
	v_add_f32_e32 v111, v111, v112
	v_mul_f32_e32 v112, v126, v182
	v_fmac_f32_e32 v144, v138, v203
	v_fma_f32 v112, v125, v190, -v112
	v_add_f32_e32 v143, v143, v144
	s_waitcnt vmcnt(34) lgkmcnt(0)
	v_mul_f32_e32 v144, v139, v206
	v_add_f32_e32 v111, v111, v112
	v_mul_f32_e32 v112, v128, v191
	v_fmac_f32_e32 v144, v140, v205
	v_fma_f32 v112, v127, v192, -v112
	v_add_f32_e32 v147, v143, v144
	ds_read_b128 v[143:146], v110 offset:736
	v_add_f32_e32 v111, v111, v112
	v_mul_f32_e32 v112, v130, v194
	v_fma_f32 v112, v129, v193, -v112
	s_waitcnt vmcnt(32)
	v_mul_f32_e32 v148, v141, v208
	v_add_f32_e32 v111, v111, v112
	v_mul_f32_e32 v112, v132, v197
	v_fmac_f32_e32 v148, v142, v207
	v_fma_f32 v112, v131, v198, -v112
	v_add_f32_e32 v151, v147, v148
	ds_read_b128 v[147:150], v110 offset:752
	v_add_f32_e32 v111, v111, v112
	v_mul_f32_e32 v112, v134, v200
	s_waitcnt vmcnt(30) lgkmcnt(1)
	v_mul_f32_e32 v152, v143, v210
	v_fma_f32 v112, v133, v199, -v112
	v_fmac_f32_e32 v152, v144, v209
	v_add_f32_e32 v111, v111, v112
	v_mul_f32_e32 v112, v136, v201
	v_add_f32_e32 v151, v151, v152
	s_waitcnt vmcnt(28)
	v_mul_f32_e32 v152, v145, v212
	v_fma_f32 v112, v135, v202, -v112
	v_fmac_f32_e32 v152, v146, v211
	v_add_f32_e32 v111, v111, v112
	v_mul_f32_e32 v112, v138, v204
	v_add_f32_e32 v151, v151, v152
	s_waitcnt vmcnt(26) lgkmcnt(0)
	v_mul_f32_e32 v152, v147, v214
	v_fma_f32 v112, v137, v203, -v112
	v_fmac_f32_e32 v152, v148, v213
	v_add_f32_e32 v111, v111, v112
	v_mul_f32_e32 v112, v140, v206
	v_add_f32_e32 v155, v151, v152
	ds_read_b128 v[151:154], v110 offset:768
	v_fma_f32 v112, v139, v205, -v112
	v_add_f32_e32 v111, v111, v112
	v_mul_f32_e32 v112, v142, v208
	s_waitcnt vmcnt(24)
	v_mul_f32_e32 v156, v149, v216
	v_fma_f32 v112, v141, v207, -v112
	v_fmac_f32_e32 v156, v150, v215
	v_add_f32_e32 v111, v111, v112
	v_mul_f32_e32 v112, v144, v210
	v_add_f32_e32 v159, v155, v156
	ds_read_b128 v[155:158], v110 offset:784
	v_fma_f32 v112, v143, v209, -v112
	s_waitcnt vmcnt(22) lgkmcnt(1)
	v_mul_f32_e32 v160, v151, v218
	v_add_f32_e32 v111, v111, v112
	v_mul_f32_e32 v112, v146, v212
	v_fmac_f32_e32 v160, v152, v217
	v_fma_f32 v112, v145, v211, -v112
	v_add_f32_e32 v159, v159, v160
	s_waitcnt vmcnt(20)
	v_mul_f32_e32 v160, v153, v220
	v_add_f32_e32 v111, v111, v112
	v_mul_f32_e32 v112, v148, v214
	v_fmac_f32_e32 v160, v154, v219
	v_fma_f32 v112, v147, v213, -v112
	v_add_f32_e32 v159, v159, v160
	s_waitcnt vmcnt(18) lgkmcnt(0)
	v_mul_f32_e32 v160, v155, v222
	v_add_f32_e32 v111, v111, v112
	v_mul_f32_e32 v112, v150, v216
	v_fmac_f32_e32 v160, v156, v221
	v_fma_f32 v112, v149, v215, -v112
	v_add_f32_e32 v163, v159, v160
	ds_read_b128 v[159:162], v110 offset:800
	v_add_f32_e32 v111, v111, v112
	v_mul_f32_e32 v112, v152, v218
	v_fma_f32 v112, v151, v217, -v112
	s_waitcnt vmcnt(16)
	v_mul_f32_e32 v164, v157, v224
	v_add_f32_e32 v111, v111, v112
	v_mul_f32_e32 v112, v154, v220
	v_fmac_f32_e32 v164, v158, v223
	v_fma_f32 v112, v153, v219, -v112
	v_add_f32_e32 v167, v163, v164
	ds_read_b128 v[163:166], v110 offset:816
	v_add_f32_e32 v111, v111, v112
	v_mul_f32_e32 v112, v156, v222
	s_waitcnt vmcnt(14) lgkmcnt(1)
	v_mul_f32_e32 v168, v159, v226
	v_fma_f32 v112, v155, v221, -v112
	v_fmac_f32_e32 v168, v160, v225
	v_add_f32_e32 v111, v111, v112
	v_mul_f32_e32 v112, v158, v224
	v_add_f32_e32 v167, v167, v168
	s_waitcnt vmcnt(12)
	v_mul_f32_e32 v168, v161, v228
	v_fma_f32 v112, v157, v223, -v112
	v_fmac_f32_e32 v168, v162, v227
	v_add_f32_e32 v111, v111, v112
	v_mul_f32_e32 v112, v160, v226
	v_add_f32_e32 v167, v167, v168
	s_waitcnt vmcnt(10) lgkmcnt(0)
	v_mul_f32_e32 v168, v163, v230
	v_fma_f32 v112, v159, v225, -v112
	v_fmac_f32_e32 v168, v164, v229
	v_add_f32_e32 v111, v111, v112
	v_mul_f32_e32 v112, v162, v228
	v_add_f32_e32 v171, v167, v168
	ds_read_b128 v[167:170], v110 offset:832
	v_fma_f32 v112, v161, v227, -v112
	v_add_f32_e32 v111, v111, v112
	v_mul_f32_e32 v112, v164, v230
	s_waitcnt vmcnt(8)
	v_mul_f32_e32 v172, v165, v232
	v_fma_f32 v112, v163, v229, -v112
	v_fmac_f32_e32 v172, v166, v231
	v_add_f32_e32 v111, v111, v112
	v_mul_f32_e32 v112, v166, v232
	v_add_f32_e32 v241, v171, v172
	ds_read_b128 v[171:174], v110 offset:848
	v_fma_f32 v112, v165, v231, -v112
	v_add_f32_e32 v111, v111, v112
	s_waitcnt vmcnt(6) lgkmcnt(1)
	v_mul_f32_e32 v112, v168, v234
	v_mul_f32_e32 v110, v167, v234
	v_fma_f32 v112, v167, v233, -v112
	v_fmac_f32_e32 v110, v168, v233
	v_add_f32_e32 v111, v111, v112
	s_waitcnt vmcnt(5)
	v_mul_f32_e32 v112, v170, v235
	v_add_f32_e32 v110, v241, v110
	v_mul_f32_e32 v241, v169, v235
	s_waitcnt vmcnt(4)
	v_fma_f32 v112, v169, v236, -v112
	v_fmac_f32_e32 v241, v170, v236
	v_add_f32_e32 v111, v111, v112
	s_waitcnt vmcnt(2) lgkmcnt(0)
	v_mul_f32_e32 v112, v172, v238
	v_add_f32_e32 v110, v110, v241
	v_mul_f32_e32 v241, v171, v238
	v_fma_f32 v112, v171, v237, -v112
	v_fmac_f32_e32 v241, v172, v237
	v_add_f32_e32 v111, v111, v112
	s_waitcnt vmcnt(0)
	v_mul_f32_e32 v112, v174, v240
	v_add_f32_e32 v110, v110, v241
	v_mul_f32_e32 v241, v173, v240
	v_fma_f32 v112, v173, v239, -v112
	v_fmac_f32_e32 v241, v174, v239
	v_add_f32_e32 v111, v111, v112
	v_add_f32_e32 v110, v110, v241
	v_sub_f32_e32 v111, v195, v111
	v_sub_f32_e32 v110, v196, v110
	buffer_store_dword v111, off, s[0:3], 0 offset:168
	buffer_store_dword v110, off, s[0:3], 0 offset:172
	s_and_saveexec_b64 s[4:5], vcc
	s_cbranch_execz .LBB117_297
; %bb.296:
	buffer_load_dword v110, off, s[0:3], 0 offset:160
	buffer_load_dword v111, off, s[0:3], 0 offset:164
	v_mov_b32_e32 v112, 0
	buffer_store_dword v112, off, s[0:3], 0 offset:160
	buffer_store_dword v112, off, s[0:3], 0 offset:164
	s_waitcnt vmcnt(2)
	ds_write_b64 v109, v[110:111]
.LBB117_297:
	s_or_b64 exec, exec, s[4:5]
	s_waitcnt lgkmcnt(0)
	; wave barrier
	buffer_load_dword v177, off, s[0:3], 0 offset:172
	buffer_load_dword v178, off, s[0:3], 0 offset:180
	;; [unrolled: 1-line block ×58, first 2 shown]
	v_mov_b32_e32 v110, 0
	ds_read2_b64 v[111:114], v110 offset0:75 offset1:76
	ds_read2_b64 v[115:118], v110 offset0:77 offset1:78
	;; [unrolled: 1-line block ×5, first 2 shown]
	buffer_load_dword v235, off, s[0:3], 0 offset:392
	buffer_load_dword v236, off, s[0:3], 0 offset:396
	v_cmp_lt_u32_e32 vcc, 19, v0
	s_waitcnt vmcnt(59) lgkmcnt(4)
	v_mul_f32_e32 v131, v111, v177
	s_waitcnt vmcnt(58)
	v_mul_f32_e32 v132, v113, v178
	s_waitcnt vmcnt(57) lgkmcnt(3)
	v_mul_f32_e32 v133, v115, v179
	s_waitcnt vmcnt(56)
	v_mul_f32_e32 v134, v117, v180
	;; [unrolled: 4-line block ×4, first 2 shown]
	s_waitcnt vmcnt(51)
	v_fmac_f32_e32 v131, v112, v185
	s_waitcnt vmcnt(50)
	v_fmac_f32_e32 v132, v114, v186
	v_add_f32_e32 v131, 0, v131
	s_waitcnt vmcnt(49)
	v_fmac_f32_e32 v133, v116, v187
	v_add_f32_e32 v131, v131, v132
	;; [unrolled: 3-line block ×7, first 2 shown]
	v_add_f32_e32 v135, v131, v138
	ds_read2_b64 v[131:134], v110 offset0:85 offset1:86
	buffer_load_dword v237, off, s[0:3], 0 offset:404
	buffer_load_dword v238, off, s[0:3], 0 offset:400
	;; [unrolled: 1-line block ×8, first 2 shown]
	s_waitcnt vmcnt(51) lgkmcnt(1)
	v_mul_f32_e32 v136, v127, v193
	s_waitcnt vmcnt(50)
	v_fmac_f32_e32 v136, v128, v194
	v_mul_f32_e32 v112, v112, v177
	v_add_f32_e32 v135, v135, v136
	s_waitcnt vmcnt(49)
	v_mul_f32_e32 v136, v129, v195
	v_fma_f32 v111, v111, v185, -v112
	v_mul_f32_e32 v112, v114, v178
	s_waitcnt vmcnt(46)
	v_fmac_f32_e32 v136, v130, v198
	v_add_f32_e32 v111, 0, v111
	v_fma_f32 v112, v113, v186, -v112
	v_add_f32_e32 v135, v135, v136
	s_waitcnt vmcnt(44) lgkmcnt(0)
	v_mul_f32_e32 v136, v131, v200
	v_add_f32_e32 v111, v111, v112
	v_mul_f32_e32 v112, v116, v179
	v_fmac_f32_e32 v136, v132, v199
	v_fma_f32 v112, v115, v187, -v112
	v_add_f32_e32 v139, v135, v136
	ds_read2_b64 v[135:138], v110 offset0:87 offset1:88
	v_add_f32_e32 v111, v111, v112
	v_mul_f32_e32 v112, v118, v180
	v_fma_f32 v112, v117, v188, -v112
	s_waitcnt vmcnt(42)
	v_mul_f32_e32 v140, v133, v202
	v_add_f32_e32 v111, v111, v112
	v_mul_f32_e32 v112, v120, v181
	v_fmac_f32_e32 v140, v134, v201
	v_fma_f32 v112, v119, v189, -v112
	v_add_f32_e32 v143, v139, v140
	ds_read2_b64 v[139:142], v110 offset0:89 offset1:90
	v_add_f32_e32 v111, v111, v112
	v_mul_f32_e32 v112, v122, v182
	s_waitcnt vmcnt(40) lgkmcnt(1)
	v_mul_f32_e32 v144, v135, v204
	v_fma_f32 v112, v121, v190, -v112
	v_fmac_f32_e32 v144, v136, v203
	v_add_f32_e32 v111, v111, v112
	v_mul_f32_e32 v112, v124, v183
	v_add_f32_e32 v143, v143, v144
	s_waitcnt vmcnt(38)
	v_mul_f32_e32 v144, v137, v206
	v_fma_f32 v112, v123, v191, -v112
	v_fmac_f32_e32 v144, v138, v205
	v_add_f32_e32 v111, v111, v112
	v_mul_f32_e32 v112, v126, v184
	v_add_f32_e32 v143, v143, v144
	s_waitcnt vmcnt(36) lgkmcnt(0)
	v_mul_f32_e32 v144, v139, v208
	v_fma_f32 v112, v125, v192, -v112
	v_fmac_f32_e32 v144, v140, v207
	v_add_f32_e32 v111, v111, v112
	v_mul_f32_e32 v112, v128, v193
	v_add_f32_e32 v147, v143, v144
	ds_read2_b64 v[143:146], v110 offset0:91 offset1:92
	v_fma_f32 v112, v127, v194, -v112
	v_add_f32_e32 v111, v111, v112
	v_mul_f32_e32 v112, v130, v195
	s_waitcnt vmcnt(34)
	v_mul_f32_e32 v148, v141, v210
	v_fma_f32 v112, v129, v198, -v112
	v_fmac_f32_e32 v148, v142, v209
	v_add_f32_e32 v111, v111, v112
	v_mul_f32_e32 v112, v132, v200
	v_add_f32_e32 v151, v147, v148
	ds_read2_b64 v[147:150], v110 offset0:93 offset1:94
	v_fma_f32 v112, v131, v199, -v112
	s_waitcnt vmcnt(32) lgkmcnt(1)
	v_mul_f32_e32 v152, v143, v212
	v_add_f32_e32 v111, v111, v112
	v_mul_f32_e32 v112, v134, v202
	v_fmac_f32_e32 v152, v144, v211
	v_fma_f32 v112, v133, v201, -v112
	v_add_f32_e32 v151, v151, v152
	s_waitcnt vmcnt(30)
	v_mul_f32_e32 v152, v145, v214
	v_add_f32_e32 v111, v111, v112
	v_mul_f32_e32 v112, v136, v204
	v_fmac_f32_e32 v152, v146, v213
	v_fma_f32 v112, v135, v203, -v112
	v_add_f32_e32 v151, v151, v152
	s_waitcnt vmcnt(28) lgkmcnt(0)
	v_mul_f32_e32 v152, v147, v216
	v_add_f32_e32 v111, v111, v112
	v_mul_f32_e32 v112, v138, v206
	v_fmac_f32_e32 v152, v148, v215
	v_fma_f32 v112, v137, v205, -v112
	v_add_f32_e32 v155, v151, v152
	ds_read2_b64 v[151:154], v110 offset0:95 offset1:96
	v_add_f32_e32 v111, v111, v112
	v_mul_f32_e32 v112, v140, v208
	v_fma_f32 v112, v139, v207, -v112
	s_waitcnt vmcnt(26)
	v_mul_f32_e32 v156, v149, v218
	v_add_f32_e32 v111, v111, v112
	v_mul_f32_e32 v112, v142, v210
	v_fmac_f32_e32 v156, v150, v217
	v_fma_f32 v112, v141, v209, -v112
	v_add_f32_e32 v159, v155, v156
	ds_read2_b64 v[155:158], v110 offset0:97 offset1:98
	v_add_f32_e32 v111, v111, v112
	v_mul_f32_e32 v112, v144, v212
	s_waitcnt vmcnt(24) lgkmcnt(1)
	v_mul_f32_e32 v160, v151, v220
	v_fma_f32 v112, v143, v211, -v112
	v_fmac_f32_e32 v160, v152, v219
	v_add_f32_e32 v111, v111, v112
	v_mul_f32_e32 v112, v146, v214
	v_add_f32_e32 v159, v159, v160
	s_waitcnt vmcnt(22)
	v_mul_f32_e32 v160, v153, v222
	v_fma_f32 v112, v145, v213, -v112
	v_fmac_f32_e32 v160, v154, v221
	v_add_f32_e32 v111, v111, v112
	v_mul_f32_e32 v112, v148, v216
	v_add_f32_e32 v159, v159, v160
	s_waitcnt vmcnt(20) lgkmcnt(0)
	v_mul_f32_e32 v160, v155, v224
	v_fma_f32 v112, v147, v215, -v112
	v_fmac_f32_e32 v160, v156, v223
	v_add_f32_e32 v111, v111, v112
	v_mul_f32_e32 v112, v150, v218
	v_add_f32_e32 v163, v159, v160
	ds_read2_b64 v[159:162], v110 offset0:99 offset1:100
	v_fma_f32 v112, v149, v217, -v112
	v_add_f32_e32 v111, v111, v112
	v_mul_f32_e32 v112, v152, v220
	s_waitcnt vmcnt(18)
	v_mul_f32_e32 v164, v157, v226
	v_fma_f32 v112, v151, v219, -v112
	v_fmac_f32_e32 v164, v158, v225
	v_add_f32_e32 v111, v111, v112
	v_mul_f32_e32 v112, v154, v222
	v_add_f32_e32 v167, v163, v164
	ds_read2_b64 v[163:166], v110 offset0:101 offset1:102
	v_fma_f32 v112, v153, v221, -v112
	s_waitcnt vmcnt(16) lgkmcnt(1)
	v_mul_f32_e32 v168, v159, v228
	v_add_f32_e32 v111, v111, v112
	v_mul_f32_e32 v112, v156, v224
	v_fmac_f32_e32 v168, v160, v227
	v_fma_f32 v112, v155, v223, -v112
	v_add_f32_e32 v167, v167, v168
	s_waitcnt vmcnt(14)
	v_mul_f32_e32 v168, v161, v230
	v_add_f32_e32 v111, v111, v112
	v_mul_f32_e32 v112, v158, v226
	v_fmac_f32_e32 v168, v162, v229
	v_fma_f32 v112, v157, v225, -v112
	v_add_f32_e32 v167, v167, v168
	s_waitcnt vmcnt(12) lgkmcnt(0)
	v_mul_f32_e32 v168, v163, v232
	v_add_f32_e32 v111, v111, v112
	v_mul_f32_e32 v112, v160, v228
	v_fmac_f32_e32 v168, v164, v231
	v_fma_f32 v112, v159, v227, -v112
	v_add_f32_e32 v171, v167, v168
	ds_read2_b64 v[167:170], v110 offset0:103 offset1:104
	v_add_f32_e32 v111, v111, v112
	v_mul_f32_e32 v112, v162, v230
	v_fma_f32 v112, v161, v229, -v112
	v_add_f32_e32 v111, v111, v112
	v_mul_f32_e32 v112, v164, v232
	s_waitcnt vmcnt(10)
	v_mul_f32_e32 v172, v165, v234
	v_fma_f32 v112, v163, v231, -v112
	v_fmac_f32_e32 v172, v166, v233
	v_add_f32_e32 v111, v111, v112
	v_mul_f32_e32 v112, v166, v234
	v_add_f32_e32 v175, v171, v172
	ds_read2_b64 v[171:174], v110 offset0:105 offset1:106
	s_waitcnt vmcnt(8) lgkmcnt(1)
	v_mul_f32_e32 v176, v167, v236
	v_fma_f32 v112, v165, v233, -v112
	v_fmac_f32_e32 v176, v168, v235
	v_add_f32_e32 v111, v111, v112
	v_mul_f32_e32 v112, v168, v236
	v_add_f32_e32 v175, v175, v176
	s_waitcnt vmcnt(7)
	v_mul_f32_e32 v176, v169, v237
	v_fma_f32 v112, v167, v235, -v112
	s_waitcnt vmcnt(6)
	v_fmac_f32_e32 v176, v170, v238
	v_add_f32_e32 v111, v111, v112
	v_mul_f32_e32 v112, v170, v237
	v_add_f32_e32 v245, v175, v176
	ds_read_b64 v[175:176], v110 offset:856
	v_fma_f32 v112, v169, v238, -v112
	v_add_f32_e32 v111, v111, v112
	s_waitcnt vmcnt(4) lgkmcnt(1)
	v_mul_f32_e32 v112, v172, v240
	v_mul_f32_e32 v246, v171, v240
	v_fma_f32 v112, v171, v239, -v112
	v_fmac_f32_e32 v246, v172, v239
	v_add_f32_e32 v111, v111, v112
	s_waitcnt vmcnt(3)
	v_mul_f32_e32 v112, v174, v241
	v_add_f32_e32 v245, v245, v246
	v_mul_f32_e32 v246, v173, v241
	s_waitcnt vmcnt(2)
	v_fma_f32 v112, v173, v242, -v112
	v_fmac_f32_e32 v246, v174, v242
	v_add_f32_e32 v111, v111, v112
	s_waitcnt vmcnt(0) lgkmcnt(0)
	v_mul_f32_e32 v112, v176, v244
	v_add_f32_e32 v245, v245, v246
	v_mul_f32_e32 v246, v175, v244
	v_fma_f32 v112, v175, v243, -v112
	v_fmac_f32_e32 v246, v176, v243
	v_add_f32_e32 v111, v111, v112
	v_add_f32_e32 v245, v245, v246
	v_sub_f32_e32 v111, v196, v111
	v_sub_f32_e32 v112, v197, v245
	buffer_store_dword v111, off, s[0:3], 0 offset:160
	buffer_store_dword v112, off, s[0:3], 0 offset:164
	s_and_saveexec_b64 s[4:5], vcc
	s_cbranch_execz .LBB117_299
; %bb.298:
	buffer_load_dword v111, off, s[0:3], 0 offset:152
	buffer_load_dword v112, off, s[0:3], 0 offset:156
	s_waitcnt vmcnt(0)
	ds_write_b64 v109, v[111:112]
	buffer_store_dword v110, off, s[0:3], 0 offset:152
	buffer_store_dword v110, off, s[0:3], 0 offset:156
.LBB117_299:
	s_or_b64 exec, exec, s[4:5]
	s_waitcnt lgkmcnt(0)
	; wave barrier
	buffer_load_dword v179, off, s[0:3], 0 offset:164
	buffer_load_dword v180, off, s[0:3], 0 offset:172
	;; [unrolled: 1-line block ×24, first 2 shown]
	ds_read_b128 v[111:114], v110 offset:592
	ds_read_b128 v[115:118], v110 offset:608
	;; [unrolled: 1-line block ×6, first 2 shown]
	buffer_load_dword v203, off, s[0:3], 0 offset:252
	buffer_load_dword v204, off, s[0:3], 0 offset:248
	;; [unrolled: 1-line block ×46, first 2 shown]
	v_cmp_lt_u32_e32 vcc, 18, v0
	s_waitcnt vmcnt(62) lgkmcnt(5)
	v_mul_f32_e32 v135, v111, v179
	v_mul_f32_e32 v136, v113, v180
	s_waitcnt lgkmcnt(4)
	v_mul_f32_e32 v137, v115, v181
	v_mul_f32_e32 v138, v117, v182
	s_waitcnt lgkmcnt(3)
	v_mul_f32_e32 v139, v119, v183
	v_mul_f32_e32 v140, v121, v184
	s_waitcnt lgkmcnt(2)
	v_mul_f32_e32 v141, v123, v185
	v_mul_f32_e32 v142, v125, v186
	s_waitcnt vmcnt(61)
	v_fmac_f32_e32 v135, v112, v187
	s_waitcnt vmcnt(60)
	v_fmac_f32_e32 v136, v114, v188
	v_add_f32_e32 v135, 0, v135
	s_waitcnt vmcnt(59)
	v_fmac_f32_e32 v137, v116, v189
	v_add_f32_e32 v135, v135, v136
	;; [unrolled: 3-line block ×7, first 2 shown]
	s_waitcnt vmcnt(53) lgkmcnt(1)
	v_mul_f32_e32 v136, v127, v195
	v_add_f32_e32 v135, v135, v142
	s_waitcnt vmcnt(52)
	v_fmac_f32_e32 v136, v128, v196
	v_mul_f32_e32 v112, v112, v179
	v_add_f32_e32 v135, v135, v136
	s_waitcnt vmcnt(51)
	v_mul_f32_e32 v136, v129, v197
	v_fma_f32 v111, v111, v187, -v112
	v_mul_f32_e32 v112, v114, v180
	s_waitcnt vmcnt(50)
	v_fmac_f32_e32 v136, v130, v198
	v_add_f32_e32 v111, 0, v111
	v_fma_f32 v112, v113, v188, -v112
	v_add_f32_e32 v135, v135, v136
	s_waitcnt vmcnt(47) lgkmcnt(0)
	v_mul_f32_e32 v136, v131, v201
	v_add_f32_e32 v111, v111, v112
	v_mul_f32_e32 v112, v116, v181
	s_waitcnt vmcnt(46)
	v_fmac_f32_e32 v136, v132, v202
	v_fma_f32 v112, v115, v189, -v112
	v_add_f32_e32 v139, v135, v136
	ds_read_b128 v[135:138], v110 offset:688
	v_add_f32_e32 v111, v111, v112
	v_mul_f32_e32 v112, v118, v182
	v_fma_f32 v112, v117, v190, -v112
	s_waitcnt vmcnt(45)
	v_mul_f32_e32 v140, v133, v203
	v_add_f32_e32 v111, v111, v112
	v_mul_f32_e32 v112, v120, v183
	s_waitcnt vmcnt(44)
	v_fmac_f32_e32 v140, v134, v204
	v_fma_f32 v112, v119, v191, -v112
	v_add_f32_e32 v143, v139, v140
	ds_read_b128 v[139:142], v110 offset:704
	v_add_f32_e32 v111, v111, v112
	v_mul_f32_e32 v112, v122, v184
	s_waitcnt vmcnt(42) lgkmcnt(1)
	v_mul_f32_e32 v144, v135, v206
	v_fma_f32 v112, v121, v192, -v112
	v_fmac_f32_e32 v144, v136, v205
	v_add_f32_e32 v111, v111, v112
	v_mul_f32_e32 v112, v124, v185
	v_add_f32_e32 v143, v143, v144
	s_waitcnt vmcnt(40)
	v_mul_f32_e32 v144, v137, v208
	v_fma_f32 v112, v123, v193, -v112
	v_fmac_f32_e32 v144, v138, v207
	v_add_f32_e32 v111, v111, v112
	v_mul_f32_e32 v112, v126, v186
	v_add_f32_e32 v143, v143, v144
	s_waitcnt vmcnt(38) lgkmcnt(0)
	v_mul_f32_e32 v144, v139, v210
	v_fma_f32 v112, v125, v194, -v112
	v_fmac_f32_e32 v144, v140, v209
	v_add_f32_e32 v111, v111, v112
	v_mul_f32_e32 v112, v128, v195
	v_add_f32_e32 v147, v143, v144
	ds_read_b128 v[143:146], v110 offset:720
	v_fma_f32 v112, v127, v196, -v112
	v_add_f32_e32 v111, v111, v112
	v_mul_f32_e32 v112, v130, v197
	s_waitcnt vmcnt(36)
	v_mul_f32_e32 v148, v141, v212
	v_fma_f32 v112, v129, v198, -v112
	v_fmac_f32_e32 v148, v142, v211
	v_add_f32_e32 v111, v111, v112
	v_mul_f32_e32 v112, v132, v201
	v_add_f32_e32 v151, v147, v148
	ds_read_b128 v[147:150], v110 offset:736
	v_fma_f32 v112, v131, v202, -v112
	s_waitcnt vmcnt(34) lgkmcnt(1)
	v_mul_f32_e32 v152, v143, v214
	v_add_f32_e32 v111, v111, v112
	v_mul_f32_e32 v112, v134, v203
	v_fmac_f32_e32 v152, v144, v213
	v_fma_f32 v112, v133, v204, -v112
	v_add_f32_e32 v151, v151, v152
	s_waitcnt vmcnt(32)
	v_mul_f32_e32 v152, v145, v216
	v_add_f32_e32 v111, v111, v112
	v_mul_f32_e32 v112, v136, v206
	v_fmac_f32_e32 v152, v146, v215
	v_fma_f32 v112, v135, v205, -v112
	v_add_f32_e32 v151, v151, v152
	s_waitcnt vmcnt(30) lgkmcnt(0)
	v_mul_f32_e32 v152, v147, v218
	v_add_f32_e32 v111, v111, v112
	v_mul_f32_e32 v112, v138, v208
	v_fmac_f32_e32 v152, v148, v217
	v_fma_f32 v112, v137, v207, -v112
	v_add_f32_e32 v155, v151, v152
	ds_read_b128 v[151:154], v110 offset:752
	v_add_f32_e32 v111, v111, v112
	v_mul_f32_e32 v112, v140, v210
	v_fma_f32 v112, v139, v209, -v112
	s_waitcnt vmcnt(28)
	v_mul_f32_e32 v156, v149, v220
	v_add_f32_e32 v111, v111, v112
	v_mul_f32_e32 v112, v142, v212
	v_fmac_f32_e32 v156, v150, v219
	v_fma_f32 v112, v141, v211, -v112
	v_add_f32_e32 v159, v155, v156
	ds_read_b128 v[155:158], v110 offset:768
	v_add_f32_e32 v111, v111, v112
	v_mul_f32_e32 v112, v144, v214
	s_waitcnt vmcnt(26) lgkmcnt(1)
	v_mul_f32_e32 v160, v151, v222
	v_fma_f32 v112, v143, v213, -v112
	v_fmac_f32_e32 v160, v152, v221
	v_add_f32_e32 v111, v111, v112
	v_mul_f32_e32 v112, v146, v216
	v_add_f32_e32 v159, v159, v160
	s_waitcnt vmcnt(24)
	v_mul_f32_e32 v160, v153, v224
	v_fma_f32 v112, v145, v215, -v112
	v_fmac_f32_e32 v160, v154, v223
	v_add_f32_e32 v111, v111, v112
	v_mul_f32_e32 v112, v148, v218
	v_add_f32_e32 v159, v159, v160
	s_waitcnt vmcnt(22) lgkmcnt(0)
	v_mul_f32_e32 v160, v155, v226
	v_fma_f32 v112, v147, v217, -v112
	v_fmac_f32_e32 v160, v156, v225
	v_add_f32_e32 v111, v111, v112
	v_mul_f32_e32 v112, v150, v220
	v_add_f32_e32 v163, v159, v160
	ds_read_b128 v[159:162], v110 offset:784
	v_fma_f32 v112, v149, v219, -v112
	v_add_f32_e32 v111, v111, v112
	v_mul_f32_e32 v112, v152, v222
	s_waitcnt vmcnt(20)
	v_mul_f32_e32 v164, v157, v228
	v_fma_f32 v112, v151, v221, -v112
	v_fmac_f32_e32 v164, v158, v227
	v_add_f32_e32 v111, v111, v112
	v_mul_f32_e32 v112, v154, v224
	v_add_f32_e32 v167, v163, v164
	ds_read_b128 v[163:166], v110 offset:800
	v_fma_f32 v112, v153, v223, -v112
	s_waitcnt vmcnt(18) lgkmcnt(1)
	v_mul_f32_e32 v168, v159, v230
	v_add_f32_e32 v111, v111, v112
	v_mul_f32_e32 v112, v156, v226
	v_fmac_f32_e32 v168, v160, v229
	v_fma_f32 v112, v155, v225, -v112
	v_add_f32_e32 v167, v167, v168
	s_waitcnt vmcnt(16)
	v_mul_f32_e32 v168, v161, v232
	v_add_f32_e32 v111, v111, v112
	v_mul_f32_e32 v112, v158, v228
	v_fmac_f32_e32 v168, v162, v231
	v_fma_f32 v112, v157, v227, -v112
	v_add_f32_e32 v167, v167, v168
	s_waitcnt vmcnt(14) lgkmcnt(0)
	v_mul_f32_e32 v168, v163, v234
	v_add_f32_e32 v111, v111, v112
	v_mul_f32_e32 v112, v160, v230
	v_fmac_f32_e32 v168, v164, v233
	v_fma_f32 v112, v159, v229, -v112
	v_add_f32_e32 v171, v167, v168
	ds_read_b128 v[167:170], v110 offset:816
	v_add_f32_e32 v111, v111, v112
	v_mul_f32_e32 v112, v162, v232
	v_fma_f32 v112, v161, v231, -v112
	v_add_f32_e32 v111, v111, v112
	v_mul_f32_e32 v112, v164, v234
	s_waitcnt vmcnt(12)
	v_mul_f32_e32 v172, v165, v236
	v_fma_f32 v112, v163, v233, -v112
	v_fmac_f32_e32 v172, v166, v235
	v_add_f32_e32 v111, v111, v112
	v_mul_f32_e32 v112, v166, v236
	v_add_f32_e32 v175, v171, v172
	ds_read_b128 v[171:174], v110 offset:832
	s_waitcnt vmcnt(10) lgkmcnt(1)
	v_mul_f32_e32 v176, v167, v238
	v_fma_f32 v112, v165, v235, -v112
	v_fmac_f32_e32 v176, v168, v237
	v_add_f32_e32 v111, v111, v112
	v_mul_f32_e32 v112, v168, v238
	v_add_f32_e32 v175, v175, v176
	s_waitcnt vmcnt(9)
	v_mul_f32_e32 v176, v169, v239
	v_fma_f32 v112, v167, v237, -v112
	s_waitcnt vmcnt(8)
	v_fmac_f32_e32 v176, v170, v240
	v_add_f32_e32 v111, v111, v112
	v_mul_f32_e32 v112, v170, v239
	v_add_f32_e32 v249, v175, v176
	ds_read_b128 v[175:178], v110 offset:848
	v_fma_f32 v112, v169, v240, -v112
	v_add_f32_e32 v111, v111, v112
	s_waitcnt vmcnt(6) lgkmcnt(1)
	v_mul_f32_e32 v112, v172, v242
	v_mul_f32_e32 v250, v171, v242
	v_fma_f32 v112, v171, v241, -v112
	v_fmac_f32_e32 v250, v172, v241
	v_add_f32_e32 v111, v111, v112
	s_waitcnt vmcnt(4)
	v_mul_f32_e32 v112, v174, v244
	v_add_f32_e32 v110, v249, v250
	v_mul_f32_e32 v249, v173, v244
	v_fma_f32 v112, v173, v243, -v112
	v_fmac_f32_e32 v249, v174, v243
	v_add_f32_e32 v111, v111, v112
	s_waitcnt vmcnt(3) lgkmcnt(0)
	v_mul_f32_e32 v112, v176, v245
	v_add_f32_e32 v110, v110, v249
	v_mul_f32_e32 v249, v175, v245
	s_waitcnt vmcnt(2)
	v_fma_f32 v112, v175, v246, -v112
	v_fmac_f32_e32 v249, v176, v246
	v_add_f32_e32 v111, v111, v112
	s_waitcnt vmcnt(0)
	v_mul_f32_e32 v112, v178, v248
	v_add_f32_e32 v110, v110, v249
	v_mul_f32_e32 v249, v177, v248
	v_fma_f32 v112, v177, v247, -v112
	v_fmac_f32_e32 v249, v178, v247
	v_add_f32_e32 v111, v111, v112
	v_add_f32_e32 v110, v110, v249
	v_sub_f32_e32 v111, v199, v111
	v_sub_f32_e32 v110, v200, v110
	buffer_store_dword v111, off, s[0:3], 0 offset:152
	buffer_store_dword v110, off, s[0:3], 0 offset:156
	s_and_saveexec_b64 s[4:5], vcc
	s_cbranch_execz .LBB117_301
; %bb.300:
	buffer_load_dword v110, off, s[0:3], 0 offset:144
	buffer_load_dword v111, off, s[0:3], 0 offset:148
	v_mov_b32_e32 v112, 0
	buffer_store_dword v112, off, s[0:3], 0 offset:144
	buffer_store_dword v112, off, s[0:3], 0 offset:148
	s_waitcnt vmcnt(2)
	ds_write_b64 v109, v[110:111]
.LBB117_301:
	s_or_b64 exec, exec, s[4:5]
	s_waitcnt lgkmcnt(0)
	; wave barrier
	buffer_load_dword v181, off, s[0:3], 0 offset:156
	buffer_load_dword v182, off, s[0:3], 0 offset:164
	;; [unrolled: 1-line block ×56, first 2 shown]
	v_mov_b32_e32 v110, 0
	ds_read2_b64 v[111:114], v110 offset0:73 offset1:74
	ds_read2_b64 v[115:118], v110 offset0:75 offset1:76
	;; [unrolled: 1-line block ×6, first 2 shown]
	buffer_load_dword v237, off, s[0:3], 0 offset:368
	buffer_load_dword v238, off, s[0:3], 0 offset:372
	;; [unrolled: 1-line block ×12, first 2 shown]
	v_cmp_lt_u32_e32 vcc, 17, v0
	s_waitcnt vmcnt(62) lgkmcnt(5)
	v_mul_f32_e32 v135, v111, v181
	v_mul_f32_e32 v136, v113, v182
	s_waitcnt lgkmcnt(4)
	v_mul_f32_e32 v137, v115, v183
	v_mul_f32_e32 v138, v117, v184
	s_waitcnt lgkmcnt(3)
	v_mul_f32_e32 v139, v119, v185
	v_mul_f32_e32 v140, v121, v186
	s_waitcnt vmcnt(61) lgkmcnt(2)
	v_mul_f32_e32 v141, v123, v187
	s_waitcnt vmcnt(60)
	v_mul_f32_e32 v142, v125, v188
	s_waitcnt vmcnt(59) lgkmcnt(1)
	v_mul_f32_e32 v143, v127, v189
	s_waitcnt vmcnt(58)
	v_fmac_f32_e32 v135, v112, v190
	s_waitcnt vmcnt(57)
	v_fmac_f32_e32 v136, v114, v191
	v_add_f32_e32 v135, 0, v135
	s_waitcnt vmcnt(56)
	v_fmac_f32_e32 v137, v116, v192
	v_add_f32_e32 v135, v135, v136
	;; [unrolled: 3-line block ×7, first 2 shown]
	v_add_f32_e32 v135, v135, v142
	s_waitcnt vmcnt(50)
	v_fmac_f32_e32 v143, v128, v198
	s_waitcnt vmcnt(49)
	v_mul_f32_e32 v136, v129, v199
	v_add_f32_e32 v135, v135, v143
	s_waitcnt vmcnt(48)
	v_fmac_f32_e32 v136, v130, v200
	v_add_f32_e32 v135, v135, v136
	s_waitcnt vmcnt(47) lgkmcnt(0)
	v_mul_f32_e32 v136, v131, v201
	s_waitcnt vmcnt(44)
	v_fmac_f32_e32 v136, v132, v204
	v_add_f32_e32 v139, v135, v136
	ds_read2_b64 v[135:138], v110 offset0:85 offset1:86
	buffer_load_dword v249, off, s[0:3], 0 offset:420
	buffer_load_dword v250, off, s[0:3], 0 offset:416
	;; [unrolled: 1-line block ×4, first 2 shown]
	v_mul_f32_e32 v112, v112, v181
	v_fma_f32 v111, v111, v190, -v112
	v_mul_f32_e32 v112, v114, v182
	v_add_f32_e32 v111, 0, v111
	v_fma_f32 v112, v113, v191, -v112
	v_add_f32_e32 v111, v111, v112
	v_mul_f32_e32 v112, v116, v183
	v_fma_f32 v112, v115, v192, -v112
	s_waitcnt vmcnt(46)
	v_mul_f32_e32 v140, v133, v206
	v_add_f32_e32 v111, v111, v112
	v_mul_f32_e32 v112, v118, v184
	v_fmac_f32_e32 v140, v134, v205
	v_fma_f32 v112, v117, v193, -v112
	v_add_f32_e32 v143, v139, v140
	ds_read2_b64 v[139:142], v110 offset0:87 offset1:88
	v_add_f32_e32 v111, v111, v112
	v_mul_f32_e32 v112, v120, v185
	s_waitcnt vmcnt(44) lgkmcnt(1)
	v_mul_f32_e32 v144, v135, v208
	v_fma_f32 v112, v119, v194, -v112
	v_fmac_f32_e32 v144, v136, v207
	v_add_f32_e32 v111, v111, v112
	v_mul_f32_e32 v112, v122, v186
	v_add_f32_e32 v143, v143, v144
	s_waitcnt vmcnt(42)
	v_mul_f32_e32 v144, v137, v210
	v_fma_f32 v112, v121, v195, -v112
	v_fmac_f32_e32 v144, v138, v209
	v_add_f32_e32 v111, v111, v112
	v_mul_f32_e32 v112, v124, v187
	v_add_f32_e32 v143, v143, v144
	s_waitcnt vmcnt(40) lgkmcnt(0)
	v_mul_f32_e32 v144, v139, v212
	v_fma_f32 v112, v123, v196, -v112
	v_fmac_f32_e32 v144, v140, v211
	v_add_f32_e32 v111, v111, v112
	v_mul_f32_e32 v112, v126, v188
	v_add_f32_e32 v147, v143, v144
	ds_read2_b64 v[143:146], v110 offset0:89 offset1:90
	v_fma_f32 v112, v125, v197, -v112
	v_add_f32_e32 v111, v111, v112
	v_mul_f32_e32 v112, v128, v189
	s_waitcnt vmcnt(38)
	v_mul_f32_e32 v148, v141, v214
	v_fma_f32 v112, v127, v198, -v112
	v_fmac_f32_e32 v148, v142, v213
	v_add_f32_e32 v111, v111, v112
	v_mul_f32_e32 v112, v130, v199
	v_add_f32_e32 v151, v147, v148
	ds_read2_b64 v[147:150], v110 offset0:91 offset1:92
	v_fma_f32 v112, v129, v200, -v112
	s_waitcnt vmcnt(36) lgkmcnt(1)
	v_mul_f32_e32 v152, v143, v216
	v_add_f32_e32 v111, v111, v112
	v_mul_f32_e32 v112, v132, v201
	v_fmac_f32_e32 v152, v144, v215
	v_fma_f32 v112, v131, v204, -v112
	v_add_f32_e32 v151, v151, v152
	s_waitcnt vmcnt(34)
	v_mul_f32_e32 v152, v145, v218
	v_add_f32_e32 v111, v111, v112
	v_mul_f32_e32 v112, v134, v206
	v_fmac_f32_e32 v152, v146, v217
	v_fma_f32 v112, v133, v205, -v112
	v_add_f32_e32 v151, v151, v152
	s_waitcnt vmcnt(32) lgkmcnt(0)
	v_mul_f32_e32 v152, v147, v220
	v_add_f32_e32 v111, v111, v112
	v_mul_f32_e32 v112, v136, v208
	v_fmac_f32_e32 v152, v148, v219
	v_fma_f32 v112, v135, v207, -v112
	v_add_f32_e32 v155, v151, v152
	ds_read2_b64 v[151:154], v110 offset0:93 offset1:94
	v_add_f32_e32 v111, v111, v112
	v_mul_f32_e32 v112, v138, v210
	v_fma_f32 v112, v137, v209, -v112
	s_waitcnt vmcnt(30)
	v_mul_f32_e32 v156, v149, v222
	v_add_f32_e32 v111, v111, v112
	v_mul_f32_e32 v112, v140, v212
	v_fmac_f32_e32 v156, v150, v221
	v_fma_f32 v112, v139, v211, -v112
	v_add_f32_e32 v159, v155, v156
	ds_read2_b64 v[155:158], v110 offset0:95 offset1:96
	v_add_f32_e32 v111, v111, v112
	v_mul_f32_e32 v112, v142, v214
	s_waitcnt vmcnt(28) lgkmcnt(1)
	v_mul_f32_e32 v160, v151, v224
	v_fma_f32 v112, v141, v213, -v112
	v_fmac_f32_e32 v160, v152, v223
	v_add_f32_e32 v111, v111, v112
	v_mul_f32_e32 v112, v144, v216
	v_add_f32_e32 v159, v159, v160
	s_waitcnt vmcnt(26)
	v_mul_f32_e32 v160, v153, v226
	v_fma_f32 v112, v143, v215, -v112
	v_fmac_f32_e32 v160, v154, v225
	v_add_f32_e32 v111, v111, v112
	v_mul_f32_e32 v112, v146, v218
	v_add_f32_e32 v159, v159, v160
	s_waitcnt vmcnt(24) lgkmcnt(0)
	v_mul_f32_e32 v160, v155, v228
	v_fma_f32 v112, v145, v217, -v112
	v_fmac_f32_e32 v160, v156, v227
	v_add_f32_e32 v111, v111, v112
	v_mul_f32_e32 v112, v148, v220
	v_add_f32_e32 v163, v159, v160
	ds_read2_b64 v[159:162], v110 offset0:97 offset1:98
	v_fma_f32 v112, v147, v219, -v112
	v_add_f32_e32 v111, v111, v112
	v_mul_f32_e32 v112, v150, v222
	s_waitcnt vmcnt(22)
	v_mul_f32_e32 v164, v157, v230
	v_fma_f32 v112, v149, v221, -v112
	v_fmac_f32_e32 v164, v158, v229
	v_add_f32_e32 v111, v111, v112
	v_mul_f32_e32 v112, v152, v224
	v_add_f32_e32 v167, v163, v164
	ds_read2_b64 v[163:166], v110 offset0:99 offset1:100
	v_fma_f32 v112, v151, v223, -v112
	s_waitcnt vmcnt(20) lgkmcnt(1)
	v_mul_f32_e32 v168, v159, v232
	v_add_f32_e32 v111, v111, v112
	v_mul_f32_e32 v112, v154, v226
	v_fmac_f32_e32 v168, v160, v231
	v_fma_f32 v112, v153, v225, -v112
	v_add_f32_e32 v167, v167, v168
	s_waitcnt vmcnt(18)
	v_mul_f32_e32 v168, v161, v234
	v_add_f32_e32 v111, v111, v112
	v_mul_f32_e32 v112, v156, v228
	v_fmac_f32_e32 v168, v162, v233
	v_fma_f32 v112, v155, v227, -v112
	v_add_f32_e32 v167, v167, v168
	s_waitcnt vmcnt(16) lgkmcnt(0)
	v_mul_f32_e32 v168, v163, v236
	v_add_f32_e32 v111, v111, v112
	v_mul_f32_e32 v112, v158, v230
	v_fmac_f32_e32 v168, v164, v235
	v_fma_f32 v112, v157, v229, -v112
	v_add_f32_e32 v171, v167, v168
	ds_read2_b64 v[167:170], v110 offset0:101 offset1:102
	v_add_f32_e32 v111, v111, v112
	v_mul_f32_e32 v112, v160, v232
	v_fma_f32 v112, v159, v231, -v112
	s_waitcnt vmcnt(14)
	v_mul_f32_e32 v172, v165, v238
	v_add_f32_e32 v111, v111, v112
	v_mul_f32_e32 v112, v162, v234
	v_fmac_f32_e32 v172, v166, v237
	v_fma_f32 v112, v161, v233, -v112
	v_add_f32_e32 v175, v171, v172
	ds_read2_b64 v[171:174], v110 offset0:103 offset1:104
	v_add_f32_e32 v111, v111, v112
	v_mul_f32_e32 v112, v164, v236
	s_waitcnt vmcnt(12) lgkmcnt(1)
	v_mul_f32_e32 v176, v167, v240
	v_fma_f32 v112, v163, v235, -v112
	v_fmac_f32_e32 v176, v168, v239
	v_add_f32_e32 v111, v111, v112
	v_mul_f32_e32 v112, v166, v238
	v_add_f32_e32 v175, v175, v176
	s_waitcnt vmcnt(11)
	v_mul_f32_e32 v176, v169, v241
	v_fma_f32 v112, v165, v237, -v112
	s_waitcnt vmcnt(10)
	v_fmac_f32_e32 v176, v170, v242
	v_add_f32_e32 v111, v111, v112
	v_mul_f32_e32 v112, v168, v240
	v_add_f32_e32 v175, v175, v176
	s_waitcnt vmcnt(8) lgkmcnt(0)
	v_mul_f32_e32 v176, v171, v244
	v_fma_f32 v112, v167, v239, -v112
	v_fmac_f32_e32 v176, v172, v243
	v_add_f32_e32 v111, v111, v112
	v_mul_f32_e32 v112, v170, v241
	v_add_f32_e32 v179, v175, v176
	ds_read2_b64 v[175:178], v110 offset0:105 offset1:106
	v_fma_f32 v112, v169, v242, -v112
	v_add_f32_e32 v111, v111, v112
	v_mul_f32_e32 v112, v172, v244
	s_waitcnt vmcnt(6)
	v_mul_f32_e32 v180, v173, v246
	v_fma_f32 v112, v171, v243, -v112
	v_fmac_f32_e32 v180, v174, v245
	v_add_f32_e32 v111, v111, v112
	v_mul_f32_e32 v112, v174, v246
	v_add_f32_e32 v253, v179, v180
	ds_read_b64 v[179:180], v110 offset:856
	v_fma_f32 v112, v173, v245, -v112
	v_add_f32_e32 v111, v111, v112
	s_waitcnt vmcnt(4) lgkmcnt(1)
	v_mul_f32_e32 v112, v176, v248
	v_mul_f32_e32 v254, v175, v248
	v_fma_f32 v112, v175, v247, -v112
	v_fmac_f32_e32 v254, v176, v247
	v_add_f32_e32 v111, v111, v112
	s_waitcnt vmcnt(3)
	v_mul_f32_e32 v112, v178, v249
	v_add_f32_e32 v253, v253, v254
	v_mul_f32_e32 v254, v177, v249
	s_waitcnt vmcnt(2)
	v_fma_f32 v112, v177, v250, -v112
	v_fmac_f32_e32 v254, v178, v250
	v_add_f32_e32 v111, v111, v112
	s_waitcnt vmcnt(0) lgkmcnt(0)
	v_mul_f32_e32 v112, v180, v252
	v_add_f32_e32 v253, v253, v254
	v_mul_f32_e32 v254, v179, v252
	v_fma_f32 v112, v179, v251, -v112
	v_fmac_f32_e32 v254, v180, v251
	v_add_f32_e32 v111, v111, v112
	v_add_f32_e32 v253, v253, v254
	v_sub_f32_e32 v111, v202, v111
	v_sub_f32_e32 v112, v203, v253
	buffer_store_dword v111, off, s[0:3], 0 offset:144
	buffer_store_dword v112, off, s[0:3], 0 offset:148
	s_and_saveexec_b64 s[4:5], vcc
	s_cbranch_execz .LBB117_303
; %bb.302:
	buffer_load_dword v111, off, s[0:3], 0 offset:136
	buffer_load_dword v112, off, s[0:3], 0 offset:140
	s_waitcnt vmcnt(0)
	ds_write_b64 v109, v[111:112]
	buffer_store_dword v110, off, s[0:3], 0 offset:136
	buffer_store_dword v110, off, s[0:3], 0 offset:140
.LBB117_303:
	s_or_b64 exec, exec, s[4:5]
	s_waitcnt lgkmcnt(0)
	; wave barrier
	buffer_load_dword v183, off, s[0:3], 0 offset:148
	buffer_load_dword v184, off, s[0:3], 0 offset:156
	;; [unrolled: 1-line block ×26, first 2 shown]
	ds_read_b128 v[111:114], v110 offset:576
	ds_read_b128 v[115:118], v110 offset:592
	;; [unrolled: 1-line block ×6, first 2 shown]
	buffer_load_dword v209, off, s[0:3], 0 offset:240
	buffer_load_dword v210, off, s[0:3], 0 offset:244
	;; [unrolled: 1-line block ×46, first 2 shown]
	v_cmp_lt_u32_e32 vcc, 16, v0
	s_waitcnt vmcnt(62) lgkmcnt(5)
	v_mul_f32_e32 v135, v111, v183
	v_mul_f32_e32 v136, v113, v184
	s_waitcnt lgkmcnt(4)
	v_mul_f32_e32 v137, v115, v185
	v_mul_f32_e32 v138, v117, v186
	s_waitcnt lgkmcnt(3)
	;; [unrolled: 3-line block ×4, first 2 shown]
	v_mul_f32_e32 v143, v127, v191
	v_fmac_f32_e32 v137, v116, v192
	s_waitcnt vmcnt(61)
	v_fmac_f32_e32 v136, v114, v193
	s_waitcnt vmcnt(60)
	v_fmac_f32_e32 v135, v112, v194
	v_add_f32_e32 v135, 0, v135
	v_add_f32_e32 v135, v135, v136
	;; [unrolled: 1-line block ×3, first 2 shown]
	s_waitcnt vmcnt(56)
	v_fmac_f32_e32 v138, v118, v198
	v_fmac_f32_e32 v139, v120, v197
	v_add_f32_e32 v135, v135, v138
	v_fmac_f32_e32 v140, v122, v196
	v_add_f32_e32 v135, v135, v139
	;; [unrolled: 2-line block ×3, first 2 shown]
	s_waitcnt vmcnt(52)
	v_fmac_f32_e32 v142, v126, v202
	v_add_f32_e32 v135, v135, v141
	v_fmac_f32_e32 v143, v128, v201
	v_add_f32_e32 v135, v135, v142
	s_waitcnt vmcnt(51)
	v_mul_f32_e32 v136, v129, v203
	v_add_f32_e32 v135, v135, v143
	v_fmac_f32_e32 v136, v130, v200
	v_add_f32_e32 v135, v135, v136
	s_waitcnt vmcnt(50) lgkmcnt(0)
	v_mul_f32_e32 v136, v131, v204
	v_fmac_f32_e32 v136, v132, v199
	s_waitcnt vmcnt(46)
	v_mul_f32_e32 v140, v133, v208
	v_add_f32_e32 v139, v135, v136
	v_fmac_f32_e32 v140, v134, v207
	ds_read_b128 v[135:138], v110 offset:672
	v_add_f32_e32 v143, v139, v140
	ds_read_b128 v[139:142], v110 offset:688
	buffer_load_dword v255, off, s[0:3], 0 offset:424
	buffer_load_dword v3, off, s[0:3], 0 offset:428
	s_waitcnt vmcnt(46) lgkmcnt(1)
	v_mul_f32_e32 v4, v135, v210
	v_fmac_f32_e32 v4, v136, v209
	v_add_f32_e32 v4, v143, v4
	s_waitcnt vmcnt(44)
	v_mul_f32_e32 v143, v137, v212
	v_fmac_f32_e32 v143, v138, v211
	v_add_f32_e32 v4, v4, v143
	s_waitcnt vmcnt(42) lgkmcnt(0)
	v_mul_f32_e32 v143, v139, v214
	v_fmac_f32_e32 v143, v140, v213
	v_add_f32_e32 v4, v4, v143
	ds_read_b128 v[143:146], v110 offset:704
	s_waitcnt vmcnt(40)
	v_mul_f32_e32 v147, v141, v216
	v_fmac_f32_e32 v147, v142, v215
	v_add_f32_e32 v4, v4, v147
	ds_read_b128 v[147:150], v110 offset:720
	s_waitcnt vmcnt(38) lgkmcnt(1)
	v_mul_f32_e32 v151, v143, v218
	v_fmac_f32_e32 v151, v144, v217
	v_add_f32_e32 v4, v4, v151
	s_waitcnt vmcnt(36)
	v_mul_f32_e32 v151, v145, v220
	v_fmac_f32_e32 v151, v146, v219
	v_add_f32_e32 v4, v4, v151
	s_waitcnt vmcnt(34) lgkmcnt(0)
	v_mul_f32_e32 v151, v147, v222
	v_fmac_f32_e32 v151, v148, v221
	v_add_f32_e32 v4, v4, v151
	ds_read_b128 v[151:154], v110 offset:736
	s_waitcnt vmcnt(32)
	v_mul_f32_e32 v155, v149, v224
	v_fmac_f32_e32 v155, v150, v223
	v_add_f32_e32 v4, v4, v155
	ds_read_b128 v[155:158], v110 offset:752
	s_waitcnt vmcnt(30) lgkmcnt(1)
	v_mul_f32_e32 v159, v151, v226
	v_fmac_f32_e32 v159, v152, v225
	v_add_f32_e32 v4, v4, v159
	s_waitcnt vmcnt(28)
	v_mul_f32_e32 v159, v153, v228
	v_fmac_f32_e32 v159, v154, v227
	v_add_f32_e32 v4, v4, v159
	s_waitcnt vmcnt(26) lgkmcnt(0)
	v_mul_f32_e32 v159, v155, v230
	v_fmac_f32_e32 v159, v156, v229
	v_add_f32_e32 v4, v4, v159
	ds_read_b128 v[159:162], v110 offset:768
	s_waitcnt vmcnt(24)
	v_mul_f32_e32 v163, v157, v232
	v_fmac_f32_e32 v163, v158, v231
	v_add_f32_e32 v4, v4, v163
	ds_read_b128 v[163:166], v110 offset:784
	s_waitcnt vmcnt(22) lgkmcnt(1)
	v_mul_f32_e32 v167, v159, v234
	v_fmac_f32_e32 v167, v160, v233
	v_add_f32_e32 v4, v4, v167
	s_waitcnt vmcnt(20)
	v_mul_f32_e32 v167, v161, v236
	v_fmac_f32_e32 v167, v162, v235
	v_add_f32_e32 v4, v4, v167
	s_waitcnt vmcnt(18) lgkmcnt(0)
	v_mul_f32_e32 v167, v163, v238
	v_fmac_f32_e32 v167, v164, v237
	v_add_f32_e32 v4, v4, v167
	ds_read_b128 v[167:170], v110 offset:800
	s_waitcnt vmcnt(16)
	v_mul_f32_e32 v171, v165, v240
	v_fmac_f32_e32 v171, v166, v239
	v_add_f32_e32 v4, v4, v171
	ds_read_b128 v[171:174], v110 offset:816
	s_waitcnt vmcnt(14) lgkmcnt(1)
	v_mul_f32_e32 v175, v167, v242
	v_fmac_f32_e32 v175, v168, v241
	v_add_f32_e32 v4, v4, v175
	s_waitcnt vmcnt(13)
	v_mul_f32_e32 v175, v169, v243
	s_waitcnt vmcnt(10)
	v_fmac_f32_e32 v175, v170, v246
	v_add_f32_e32 v4, v4, v175
	s_waitcnt lgkmcnt(0)
	v_mul_f32_e32 v175, v171, v245
	v_fmac_f32_e32 v175, v172, v244
	v_add_f32_e32 v4, v4, v175
	ds_read_b128 v[175:178], v110 offset:832
	s_waitcnt vmcnt(8)
	v_mul_f32_e32 v179, v173, v248
	v_fmac_f32_e32 v179, v174, v247
	v_add_f32_e32 v4, v4, v179
	ds_read_b128 v[179:182], v110 offset:848
	s_waitcnt vmcnt(6) lgkmcnt(1)
	v_mul_f32_e32 v110, v175, v250
	v_fmac_f32_e32 v110, v176, v249
	v_add_f32_e32 v4, v4, v110
	s_waitcnt vmcnt(5)
	v_mul_f32_e32 v110, v177, v251
	s_waitcnt vmcnt(2)
	v_fmac_f32_e32 v110, v178, v254
	v_add_f32_e32 v4, v4, v110
	s_waitcnt lgkmcnt(0)
	v_mul_f32_e32 v110, v179, v253
	v_fmac_f32_e32 v110, v180, v252
	v_add_f32_e32 v4, v4, v110
	s_waitcnt vmcnt(0)
	v_mul_f32_e32 v110, v181, v3
	v_fmac_f32_e32 v110, v182, v255
	v_add_f32_e32 v4, v4, v110
	v_mul_f32_e32 v110, v112, v183
	v_fma_f32 v110, v111, v194, -v110
	v_mul_f32_e32 v111, v114, v184
	v_add_f32_e32 v110, 0, v110
	v_fma_f32 v111, v113, v193, -v111
	v_add_f32_e32 v110, v110, v111
	v_mul_f32_e32 v111, v116, v185
	v_fma_f32 v111, v115, v192, -v111
	v_add_f32_e32 v110, v110, v111
	v_mul_f32_e32 v111, v118, v186
	;; [unrolled: 3-line block ×33, first 2 shown]
	v_fma_f32 v111, v179, v252, -v111
	v_mul_f32_e32 v3, v182, v3
	v_add_f32_e32 v110, v110, v111
	v_fma_f32 v3, v181, v255, -v3
	v_add_f32_e32 v3, v110, v3
	v_sub_f32_e32 v3, v205, v3
	v_sub_f32_e32 v4, v206, v4
	buffer_store_dword v3, off, s[0:3], 0 offset:136
	buffer_store_dword v4, off, s[0:3], 0 offset:140
	s_and_saveexec_b64 s[4:5], vcc
	s_cbranch_execz .LBB117_305
; %bb.304:
	buffer_load_dword v110, off, s[0:3], 0 offset:128
	buffer_load_dword v111, off, s[0:3], 0 offset:132
	v_mov_b32_e32 v3, 0
	buffer_store_dword v3, off, s[0:3], 0 offset:128
	buffer_store_dword v3, off, s[0:3], 0 offset:132
	s_waitcnt vmcnt(2)
	ds_write_b64 v109, v[110:111]
.LBB117_305:
	s_or_b64 exec, exec, s[4:5]
	s_waitcnt lgkmcnt(0)
	; wave barrier
	buffer_load_dword v3, off, s[0:3], 0 offset:140
	buffer_load_dword v4, off, s[0:3], 0 offset:148
	;; [unrolled: 1-line block ×50, first 2 shown]
	v_mov_b32_e32 v110, 0
	ds_read2_b64 v[111:114], v110 offset0:71 offset1:72
	ds_read2_b64 v[115:118], v110 offset0:73 offset1:74
	;; [unrolled: 1-line block ×6, first 2 shown]
	buffer_load_dword v233, off, s[0:3], 0 offset:328
	buffer_load_dword v234, off, s[0:3], 0 offset:332
	;; [unrolled: 1-line block ×16, first 2 shown]
	v_cmp_lt_u32_e32 vcc, 15, v0
	s_waitcnt vmcnt(62) lgkmcnt(5)
	v_mul_f32_e32 v135, v111, v3
	v_mul_f32_e32 v136, v113, v4
	s_waitcnt lgkmcnt(4)
	v_mul_f32_e32 v137, v115, v185
	v_mul_f32_e32 v138, v117, v186
	s_waitcnt vmcnt(61) lgkmcnt(3)
	v_mul_f32_e32 v139, v119, v187
	s_waitcnt vmcnt(60)
	v_mul_f32_e32 v140, v121, v188
	s_waitcnt vmcnt(59) lgkmcnt(2)
	v_mul_f32_e32 v141, v123, v189
	s_waitcnt vmcnt(58)
	;; [unrolled: 4-line block ×3, first 2 shown]
	v_fmac_f32_e32 v137, v116, v192
	s_waitcnt vmcnt(55)
	v_fmac_f32_e32 v136, v114, v193
	s_waitcnt vmcnt(54)
	v_fmac_f32_e32 v135, v112, v194
	v_add_f32_e32 v135, 0, v135
	v_add_f32_e32 v135, v135, v136
	v_add_f32_e32 v135, v135, v137
	s_waitcnt vmcnt(50)
	v_fmac_f32_e32 v138, v118, v198
	v_fmac_f32_e32 v139, v120, v197
	v_add_f32_e32 v135, v135, v138
	v_fmac_f32_e32 v140, v122, v196
	v_add_f32_e32 v135, v135, v139
	;; [unrolled: 2-line block ×3, first 2 shown]
	s_waitcnt vmcnt(46)
	v_fmac_f32_e32 v142, v126, v202
	v_add_f32_e32 v135, v135, v141
	v_fmac_f32_e32 v143, v128, v201
	v_add_f32_e32 v135, v135, v142
	s_waitcnt vmcnt(45)
	v_mul_f32_e32 v136, v129, v203
	v_add_f32_e32 v135, v135, v143
	v_fmac_f32_e32 v136, v130, v200
	v_add_f32_e32 v135, v135, v136
	s_waitcnt vmcnt(44) lgkmcnt(0)
	v_mul_f32_e32 v136, v131, v204
	v_fmac_f32_e32 v136, v132, v199
	v_add_f32_e32 v139, v135, v136
	ds_read2_b64 v[135:138], v110 offset0:83 offset1:84
	buffer_load_dword v249, off, s[0:3], 0 offset:392
	buffer_load_dword v250, off, s[0:3], 0 offset:396
	;; [unrolled: 1-line block ×6, first 2 shown]
	s_waitcnt vmcnt(49)
	v_mul_f32_e32 v140, v133, v205
	s_waitcnt vmcnt(42)
	v_fmac_f32_e32 v140, v134, v212
	v_add_f32_e32 v143, v139, v140
	ds_read2_b64 v[139:142], v110 offset0:85 offset1:86
	buffer_load_dword v255, off, s[0:3], 0 offset:420
	buffer_load_dword v5, off, s[0:3], 0 offset:424
	;; [unrolled: 1-line block ×4, first 2 shown]
	v_mul_f32_e32 v3, v112, v3
	v_fma_f32 v3, v111, v194, -v3
	v_mul_f32_e32 v4, v114, v4
	v_add_f32_e32 v3, 0, v3
	v_fma_f32 v4, v113, v193, -v4
	v_add_f32_e32 v3, v3, v4
	v_mul_f32_e32 v4, v116, v185
	v_fma_f32 v4, v115, v192, -v4
	v_add_f32_e32 v3, v3, v4
	v_mul_f32_e32 v4, v118, v186
	v_fma_f32 v4, v117, v198, -v4
	s_waitcnt lgkmcnt(1)
	v_mul_f32_e32 v144, v135, v207
	v_add_f32_e32 v3, v3, v4
	v_mul_f32_e32 v4, v120, v187
	v_fmac_f32_e32 v144, v136, v206
	v_fma_f32 v4, v119, v197, -v4
	v_add_f32_e32 v8, v143, v144
	v_mul_f32_e32 v143, v137, v209
	v_add_f32_e32 v3, v3, v4
	v_mul_f32_e32 v4, v122, v188
	v_fmac_f32_e32 v143, v138, v208
	v_fma_f32 v4, v121, v196, -v4
	v_add_f32_e32 v8, v8, v143
	s_waitcnt lgkmcnt(0)
	v_mul_f32_e32 v143, v139, v211
	v_add_f32_e32 v3, v3, v4
	v_mul_f32_e32 v4, v124, v189
	v_fmac_f32_e32 v143, v140, v210
	v_fma_f32 v4, v123, v195, -v4
	v_add_f32_e32 v8, v8, v143
	ds_read2_b64 v[143:146], v110 offset0:87 offset1:88
	v_add_f32_e32 v3, v3, v4
	v_mul_f32_e32 v4, v126, v190
	v_fma_f32 v4, v125, v202, -v4
	s_waitcnt vmcnt(42)
	v_mul_f32_e32 v147, v141, v216
	v_add_f32_e32 v3, v3, v4
	v_mul_f32_e32 v4, v128, v191
	v_fmac_f32_e32 v147, v142, v215
	v_fma_f32 v4, v127, v201, -v4
	v_add_f32_e32 v8, v8, v147
	ds_read2_b64 v[147:150], v110 offset0:89 offset1:90
	v_add_f32_e32 v3, v3, v4
	v_mul_f32_e32 v4, v130, v203
	s_waitcnt vmcnt(40) lgkmcnt(1)
	v_mul_f32_e32 v151, v143, v218
	v_fma_f32 v4, v129, v200, -v4
	v_fmac_f32_e32 v151, v144, v217
	v_add_f32_e32 v3, v3, v4
	v_mul_f32_e32 v4, v132, v204
	v_add_f32_e32 v8, v8, v151
	s_waitcnt vmcnt(38)
	v_mul_f32_e32 v151, v145, v220
	v_fma_f32 v4, v131, v199, -v4
	v_fmac_f32_e32 v151, v146, v219
	v_add_f32_e32 v3, v3, v4
	v_mul_f32_e32 v4, v134, v205
	v_add_f32_e32 v8, v8, v151
	s_waitcnt vmcnt(36) lgkmcnt(0)
	v_mul_f32_e32 v151, v147, v222
	v_fma_f32 v4, v133, v212, -v4
	v_fmac_f32_e32 v151, v148, v221
	v_add_f32_e32 v3, v3, v4
	v_mul_f32_e32 v4, v136, v207
	v_add_f32_e32 v8, v8, v151
	ds_read2_b64 v[151:154], v110 offset0:91 offset1:92
	v_fma_f32 v4, v135, v206, -v4
	v_add_f32_e32 v3, v3, v4
	v_mul_f32_e32 v4, v138, v209
	s_waitcnt vmcnt(34)
	v_mul_f32_e32 v155, v149, v224
	v_fma_f32 v4, v137, v208, -v4
	v_fmac_f32_e32 v155, v150, v223
	v_add_f32_e32 v3, v3, v4
	v_mul_f32_e32 v4, v140, v211
	v_add_f32_e32 v8, v8, v155
	ds_read2_b64 v[155:158], v110 offset0:93 offset1:94
	v_fma_f32 v4, v139, v210, -v4
	s_waitcnt vmcnt(32) lgkmcnt(1)
	v_mul_f32_e32 v159, v151, v226
	v_add_f32_e32 v3, v3, v4
	v_mul_f32_e32 v4, v142, v216
	v_fmac_f32_e32 v159, v152, v225
	v_fma_f32 v4, v141, v215, -v4
	v_add_f32_e32 v8, v8, v159
	s_waitcnt vmcnt(30)
	v_mul_f32_e32 v159, v153, v228
	v_add_f32_e32 v3, v3, v4
	v_mul_f32_e32 v4, v144, v218
	v_fmac_f32_e32 v159, v154, v227
	v_fma_f32 v4, v143, v217, -v4
	v_add_f32_e32 v8, v8, v159
	s_waitcnt vmcnt(28) lgkmcnt(0)
	v_mul_f32_e32 v159, v155, v230
	v_add_f32_e32 v3, v3, v4
	v_mul_f32_e32 v4, v146, v220
	v_fmac_f32_e32 v159, v156, v229
	v_fma_f32 v4, v145, v219, -v4
	v_add_f32_e32 v8, v8, v159
	ds_read2_b64 v[159:162], v110 offset0:95 offset1:96
	v_add_f32_e32 v3, v3, v4
	v_mul_f32_e32 v4, v148, v222
	v_fma_f32 v4, v147, v221, -v4
	s_waitcnt vmcnt(26)
	v_mul_f32_e32 v163, v157, v232
	v_add_f32_e32 v3, v3, v4
	v_mul_f32_e32 v4, v150, v224
	v_fmac_f32_e32 v163, v158, v231
	v_fma_f32 v4, v149, v223, -v4
	v_add_f32_e32 v8, v8, v163
	ds_read2_b64 v[163:166], v110 offset0:97 offset1:98
	v_add_f32_e32 v3, v3, v4
	v_mul_f32_e32 v4, v152, v226
	s_waitcnt vmcnt(24) lgkmcnt(1)
	v_mul_f32_e32 v167, v159, v234
	v_fma_f32 v4, v151, v225, -v4
	v_fmac_f32_e32 v167, v160, v233
	v_add_f32_e32 v3, v3, v4
	v_mul_f32_e32 v4, v154, v228
	v_add_f32_e32 v8, v8, v167
	s_waitcnt vmcnt(23)
	v_mul_f32_e32 v167, v161, v235
	v_fma_f32 v4, v153, v227, -v4
	s_waitcnt vmcnt(20)
	v_fmac_f32_e32 v167, v162, v238
	v_add_f32_e32 v3, v3, v4
	v_mul_f32_e32 v4, v156, v230
	v_add_f32_e32 v8, v8, v167
	s_waitcnt lgkmcnt(0)
	v_mul_f32_e32 v167, v163, v237
	v_fma_f32 v4, v155, v229, -v4
	v_fmac_f32_e32 v167, v164, v236
	v_add_f32_e32 v3, v3, v4
	v_mul_f32_e32 v4, v158, v232
	v_add_f32_e32 v8, v8, v167
	ds_read2_b64 v[167:170], v110 offset0:99 offset1:100
	v_fma_f32 v4, v157, v231, -v4
	v_add_f32_e32 v3, v3, v4
	v_mul_f32_e32 v4, v160, v234
	s_waitcnt vmcnt(18)
	v_mul_f32_e32 v171, v165, v240
	v_fma_f32 v4, v159, v233, -v4
	v_fmac_f32_e32 v171, v166, v239
	v_add_f32_e32 v3, v3, v4
	v_mul_f32_e32 v4, v162, v235
	v_add_f32_e32 v8, v8, v171
	ds_read2_b64 v[171:174], v110 offset0:101 offset1:102
	v_fma_f32 v4, v161, v238, -v4
	s_waitcnt vmcnt(16) lgkmcnt(1)
	v_mul_f32_e32 v175, v167, v242
	v_add_f32_e32 v3, v3, v4
	v_mul_f32_e32 v4, v164, v237
	v_fmac_f32_e32 v175, v168, v241
	v_fma_f32 v4, v163, v236, -v4
	v_add_f32_e32 v8, v8, v175
	s_waitcnt vmcnt(15)
	v_mul_f32_e32 v175, v169, v243
	v_add_f32_e32 v3, v3, v4
	v_mul_f32_e32 v4, v166, v240
	s_waitcnt vmcnt(12)
	v_fmac_f32_e32 v175, v170, v246
	v_fma_f32 v4, v165, v239, -v4
	v_add_f32_e32 v8, v8, v175
	s_waitcnt lgkmcnt(0)
	v_mul_f32_e32 v175, v171, v245
	v_add_f32_e32 v3, v3, v4
	v_mul_f32_e32 v4, v168, v242
	v_fmac_f32_e32 v175, v172, v244
	v_fma_f32 v4, v167, v241, -v4
	v_add_f32_e32 v8, v8, v175
	ds_read2_b64 v[175:178], v110 offset0:103 offset1:104
	v_add_f32_e32 v3, v3, v4
	v_mul_f32_e32 v4, v170, v243
	v_fma_f32 v4, v169, v246, -v4
	v_add_f32_e32 v3, v3, v4
	v_mul_f32_e32 v4, v172, v245
	s_waitcnt vmcnt(10)
	v_mul_f32_e32 v179, v173, v248
	v_fma_f32 v4, v171, v244, -v4
	v_fmac_f32_e32 v179, v174, v247
	v_add_f32_e32 v3, v3, v4
	v_mul_f32_e32 v4, v174, v248
	v_add_f32_e32 v8, v8, v179
	ds_read2_b64 v[179:182], v110 offset0:105 offset1:106
	s_waitcnt vmcnt(8) lgkmcnt(1)
	v_mul_f32_e32 v183, v175, v250
	v_fma_f32 v4, v173, v247, -v4
	v_fmac_f32_e32 v183, v176, v249
	v_add_f32_e32 v3, v3, v4
	v_mul_f32_e32 v4, v176, v250
	v_add_f32_e32 v8, v8, v183
	s_waitcnt vmcnt(7)
	v_mul_f32_e32 v183, v177, v251
	v_fma_f32 v4, v175, v249, -v4
	s_waitcnt vmcnt(4)
	v_fmac_f32_e32 v183, v178, v254
	v_add_f32_e32 v3, v3, v4
	v_mul_f32_e32 v4, v178, v251
	v_add_f32_e32 v8, v8, v183
	ds_read_b64 v[183:184], v110 offset:856
	v_fma_f32 v4, v177, v254, -v4
	v_add_f32_e32 v3, v3, v4
	s_waitcnt lgkmcnt(1)
	v_mul_f32_e32 v4, v180, v253
	v_mul_f32_e32 v9, v179, v253
	v_fma_f32 v4, v179, v252, -v4
	v_fmac_f32_e32 v9, v180, v252
	v_add_f32_e32 v3, v3, v4
	s_waitcnt vmcnt(3)
	v_mul_f32_e32 v4, v182, v255
	v_add_f32_e32 v8, v8, v9
	v_mul_f32_e32 v9, v181, v255
	s_waitcnt vmcnt(0)
	v_fma_f32 v4, v181, v7, -v4
	v_fmac_f32_e32 v9, v182, v7
	v_add_f32_e32 v3, v3, v4
	s_waitcnt lgkmcnt(0)
	v_mul_f32_e32 v4, v184, v6
	v_add_f32_e32 v8, v8, v9
	v_mul_f32_e32 v9, v183, v6
	v_fma_f32 v4, v183, v5, -v4
	v_fmac_f32_e32 v9, v184, v5
	v_add_f32_e32 v3, v3, v4
	v_add_f32_e32 v8, v8, v9
	v_sub_f32_e32 v3, v213, v3
	v_sub_f32_e32 v4, v214, v8
	buffer_store_dword v3, off, s[0:3], 0 offset:128
	buffer_store_dword v4, off, s[0:3], 0 offset:132
	s_and_saveexec_b64 s[4:5], vcc
	s_cbranch_execz .LBB117_307
; %bb.306:
	buffer_load_dword v111, off, s[0:3], 0 offset:120
	buffer_load_dword v112, off, s[0:3], 0 offset:124
	s_waitcnt vmcnt(0)
	ds_write_b64 v109, v[111:112]
	buffer_store_dword v110, off, s[0:3], 0 offset:120
	buffer_store_dword v110, off, s[0:3], 0 offset:124
.LBB117_307:
	s_or_b64 exec, exec, s[4:5]
	s_waitcnt lgkmcnt(0)
	; wave barrier
	buffer_load_dword v3, off, s[0:3], 0 offset:132
	buffer_load_dword v4, off, s[0:3], 0 offset:140
	;; [unrolled: 1-line block ×32, first 2 shown]
	ds_read_b128 v[111:114], v110 offset:560
	ds_read_b128 v[115:118], v110 offset:576
	;; [unrolled: 1-line block ×6, first 2 shown]
	buffer_load_dword v211, off, s[0:3], 0 offset:248
	buffer_load_dword v212, off, s[0:3], 0 offset:252
	;; [unrolled: 1-line block ×32, first 2 shown]
	v_cmp_lt_u32_e32 vcc, 14, v0
	s_waitcnt vmcnt(62) lgkmcnt(5)
	v_mul_f32_e32 v135, v111, v3
	v_mul_f32_e32 v136, v113, v4
	s_waitcnt vmcnt(61) lgkmcnt(4)
	v_mul_f32_e32 v137, v115, v5
	s_waitcnt vmcnt(60)
	v_mul_f32_e32 v138, v117, v6
	s_waitcnt vmcnt(59) lgkmcnt(3)
	v_mul_f32_e32 v139, v119, v7
	s_waitcnt vmcnt(58)
	;; [unrolled: 4-line block ×4, first 2 shown]
	v_mul_f32_e32 v144, v129, v188
	s_waitcnt vmcnt(53)
	v_fmac_f32_e32 v137, v116, v189
	s_waitcnt vmcnt(52)
	v_fmac_f32_e32 v136, v114, v190
	;; [unrolled: 2-line block ×3, first 2 shown]
	v_add_f32_e32 v135, 0, v135
	v_add_f32_e32 v135, v135, v136
	;; [unrolled: 1-line block ×3, first 2 shown]
	s_waitcnt vmcnt(47)
	v_fmac_f32_e32 v138, v118, v195
	v_fmac_f32_e32 v139, v120, v194
	v_add_f32_e32 v135, v135, v138
	v_fmac_f32_e32 v140, v122, v193
	v_add_f32_e32 v135, v135, v139
	v_fmac_f32_e32 v141, v124, v192
	v_add_f32_e32 v135, v135, v140
	s_waitcnt vmcnt(43)
	v_fmac_f32_e32 v142, v126, v199
	v_add_f32_e32 v135, v135, v141
	v_fmac_f32_e32 v143, v128, v198
	v_add_f32_e32 v135, v135, v142
	;; [unrolled: 2-line block ×3, first 2 shown]
	s_waitcnt vmcnt(42) lgkmcnt(0)
	v_mul_f32_e32 v136, v131, v200
	v_add_f32_e32 v135, v135, v144
	v_fmac_f32_e32 v136, v132, v196
	v_add_f32_e32 v139, v135, v136
	ds_read_b128 v[135:138], v110 offset:656
	buffer_load_dword v243, off, s[0:3], 0 offset:376
	buffer_load_dword v244, off, s[0:3], 0 offset:380
	s_waitcnt vmcnt(43)
	v_mul_f32_e32 v140, v133, v201
	s_waitcnt vmcnt(37)
	v_fmac_f32_e32 v140, v134, v207
	v_add_f32_e32 v143, v139, v140
	ds_read_b128 v[139:142], v110 offset:672
	buffer_load_dword v245, off, s[0:3], 0 offset:384
	buffer_load_dword v246, off, s[0:3], 0 offset:388
	;; [unrolled: 1-line block ×12, first 2 shown]
	v_mul_f32_e32 v3, v112, v3
	v_fma_f32 v3, v111, v191, -v3
	v_mul_f32_e32 v4, v114, v4
	v_add_f32_e32 v3, 0, v3
	v_fma_f32 v4, v113, v190, -v4
	v_add_f32_e32 v3, v3, v4
	v_mul_f32_e32 v4, v116, v5
	v_fma_f32 v4, v115, v189, -v4
	v_add_f32_e32 v3, v3, v4
	v_mul_f32_e32 v4, v118, v6
	v_fma_f32 v4, v117, v195, -v4
	s_waitcnt vmcnt(48) lgkmcnt(1)
	v_mul_f32_e32 v144, v135, v208
	v_add_f32_e32 v3, v3, v4
	v_mul_f32_e32 v4, v120, v7
	v_fmac_f32_e32 v144, v136, v206
	v_fma_f32 v4, v119, v194, -v4
	v_add_f32_e32 v143, v143, v144
	v_mul_f32_e32 v144, v137, v203
	v_add_f32_e32 v3, v3, v4
	v_mul_f32_e32 v4, v122, v8
	v_fmac_f32_e32 v144, v138, v202
	v_fma_f32 v4, v121, v193, -v4
	v_add_f32_e32 v12, v143, v144
	s_waitcnt lgkmcnt(0)
	v_mul_f32_e32 v143, v139, v205
	v_add_f32_e32 v3, v3, v4
	v_mul_f32_e32 v4, v124, v9
	v_fmac_f32_e32 v143, v140, v204
	v_fma_f32 v4, v123, v192, -v4
	v_add_f32_e32 v12, v12, v143
	ds_read_b128 v[143:146], v110 offset:688
	v_add_f32_e32 v3, v3, v4
	v_mul_f32_e32 v4, v126, v10
	v_fma_f32 v4, v125, v199, -v4
	s_waitcnt vmcnt(44)
	v_mul_f32_e32 v147, v141, v212
	v_add_f32_e32 v3, v3, v4
	v_mul_f32_e32 v4, v128, v187
	v_fmac_f32_e32 v147, v142, v211
	v_fma_f32 v4, v127, v198, -v4
	v_add_f32_e32 v12, v12, v147
	ds_read_b128 v[147:150], v110 offset:704
	v_add_f32_e32 v3, v3, v4
	v_mul_f32_e32 v4, v130, v188
	s_waitcnt vmcnt(42) lgkmcnt(1)
	v_mul_f32_e32 v151, v143, v214
	v_fma_f32 v4, v129, v197, -v4
	v_fmac_f32_e32 v151, v144, v213
	v_add_f32_e32 v3, v3, v4
	v_mul_f32_e32 v4, v132, v200
	v_add_f32_e32 v12, v12, v151
	s_waitcnt vmcnt(40)
	v_mul_f32_e32 v151, v145, v216
	v_fma_f32 v4, v131, v196, -v4
	v_fmac_f32_e32 v151, v146, v215
	v_add_f32_e32 v3, v3, v4
	v_mul_f32_e32 v4, v134, v201
	v_add_f32_e32 v12, v12, v151
	s_waitcnt vmcnt(38) lgkmcnt(0)
	v_mul_f32_e32 v151, v147, v218
	v_fma_f32 v4, v133, v207, -v4
	v_fmac_f32_e32 v151, v148, v217
	v_add_f32_e32 v3, v3, v4
	v_mul_f32_e32 v4, v136, v208
	v_add_f32_e32 v12, v12, v151
	ds_read_b128 v[151:154], v110 offset:720
	v_fma_f32 v4, v135, v206, -v4
	v_add_f32_e32 v3, v3, v4
	v_mul_f32_e32 v4, v138, v203
	s_waitcnt vmcnt(36)
	v_mul_f32_e32 v155, v149, v220
	v_fma_f32 v4, v137, v202, -v4
	v_fmac_f32_e32 v155, v150, v219
	v_add_f32_e32 v3, v3, v4
	v_mul_f32_e32 v4, v140, v205
	v_add_f32_e32 v12, v12, v155
	ds_read_b128 v[155:158], v110 offset:736
	v_fma_f32 v4, v139, v204, -v4
	s_waitcnt vmcnt(34) lgkmcnt(1)
	v_mul_f32_e32 v159, v151, v222
	v_add_f32_e32 v3, v3, v4
	v_mul_f32_e32 v4, v142, v212
	v_fmac_f32_e32 v159, v152, v221
	v_fma_f32 v4, v141, v211, -v4
	v_add_f32_e32 v12, v12, v159
	s_waitcnt vmcnt(32)
	v_mul_f32_e32 v159, v153, v224
	v_add_f32_e32 v3, v3, v4
	v_mul_f32_e32 v4, v144, v214
	v_fmac_f32_e32 v159, v154, v223
	v_fma_f32 v4, v143, v213, -v4
	v_add_f32_e32 v12, v12, v159
	s_waitcnt vmcnt(30) lgkmcnt(0)
	v_mul_f32_e32 v159, v155, v226
	v_add_f32_e32 v3, v3, v4
	v_mul_f32_e32 v4, v146, v216
	v_fmac_f32_e32 v159, v156, v225
	v_fma_f32 v4, v145, v215, -v4
	v_add_f32_e32 v12, v12, v159
	ds_read_b128 v[159:162], v110 offset:752
	v_add_f32_e32 v3, v3, v4
	v_mul_f32_e32 v4, v148, v218
	v_fma_f32 v4, v147, v217, -v4
	s_waitcnt vmcnt(28)
	v_mul_f32_e32 v163, v157, v228
	v_add_f32_e32 v3, v3, v4
	v_mul_f32_e32 v4, v150, v220
	v_fmac_f32_e32 v163, v158, v227
	v_fma_f32 v4, v149, v219, -v4
	v_add_f32_e32 v12, v12, v163
	ds_read_b128 v[163:166], v110 offset:768
	v_add_f32_e32 v3, v3, v4
	v_mul_f32_e32 v4, v152, v222
	s_waitcnt vmcnt(26) lgkmcnt(1)
	v_mul_f32_e32 v167, v159, v230
	v_fma_f32 v4, v151, v221, -v4
	v_fmac_f32_e32 v167, v160, v229
	v_add_f32_e32 v3, v3, v4
	v_mul_f32_e32 v4, v154, v224
	v_add_f32_e32 v12, v12, v167
	s_waitcnt vmcnt(25)
	v_mul_f32_e32 v167, v161, v231
	v_fma_f32 v4, v153, v223, -v4
	s_waitcnt vmcnt(22)
	v_fmac_f32_e32 v167, v162, v234
	v_add_f32_e32 v3, v3, v4
	v_mul_f32_e32 v4, v156, v226
	v_add_f32_e32 v12, v12, v167
	s_waitcnt lgkmcnt(0)
	v_mul_f32_e32 v167, v163, v233
	v_fma_f32 v4, v155, v225, -v4
	v_fmac_f32_e32 v167, v164, v232
	v_add_f32_e32 v3, v3, v4
	v_mul_f32_e32 v4, v158, v228
	v_add_f32_e32 v12, v12, v167
	ds_read_b128 v[167:170], v110 offset:784
	v_fma_f32 v4, v157, v227, -v4
	v_add_f32_e32 v3, v3, v4
	v_mul_f32_e32 v4, v160, v230
	s_waitcnt vmcnt(20)
	v_mul_f32_e32 v171, v165, v236
	v_fma_f32 v4, v159, v229, -v4
	v_fmac_f32_e32 v171, v166, v235
	v_add_f32_e32 v3, v3, v4
	v_mul_f32_e32 v4, v162, v231
	v_add_f32_e32 v12, v12, v171
	ds_read_b128 v[171:174], v110 offset:800
	v_fma_f32 v4, v161, v234, -v4
	s_waitcnt vmcnt(18) lgkmcnt(1)
	v_mul_f32_e32 v175, v167, v238
	v_add_f32_e32 v3, v3, v4
	v_mul_f32_e32 v4, v164, v233
	v_fmac_f32_e32 v175, v168, v237
	v_fma_f32 v4, v163, v232, -v4
	v_add_f32_e32 v12, v12, v175
	s_waitcnt vmcnt(17)
	v_mul_f32_e32 v175, v169, v239
	v_add_f32_e32 v3, v3, v4
	v_mul_f32_e32 v4, v166, v236
	s_waitcnt vmcnt(14)
	v_fmac_f32_e32 v175, v170, v242
	v_fma_f32 v4, v165, v235, -v4
	v_add_f32_e32 v12, v12, v175
	s_waitcnt lgkmcnt(0)
	v_mul_f32_e32 v175, v171, v241
	v_add_f32_e32 v3, v3, v4
	v_mul_f32_e32 v4, v168, v238
	v_fmac_f32_e32 v175, v172, v240
	v_fma_f32 v4, v167, v237, -v4
	v_add_f32_e32 v12, v12, v175
	ds_read_b128 v[175:178], v110 offset:816
	v_add_f32_e32 v3, v3, v4
	v_mul_f32_e32 v4, v170, v239
	v_fma_f32 v4, v169, v242, -v4
	v_add_f32_e32 v3, v3, v4
	v_mul_f32_e32 v4, v172, v241
	s_waitcnt vmcnt(12)
	v_mul_f32_e32 v179, v173, v244
	v_fma_f32 v4, v171, v240, -v4
	v_fmac_f32_e32 v179, v174, v243
	v_add_f32_e32 v3, v3, v4
	v_mul_f32_e32 v4, v174, v244
	v_add_f32_e32 v12, v12, v179
	ds_read_b128 v[179:182], v110 offset:832
	s_waitcnt vmcnt(10) lgkmcnt(1)
	v_mul_f32_e32 v183, v175, v246
	v_fma_f32 v4, v173, v243, -v4
	v_fmac_f32_e32 v183, v176, v245
	v_add_f32_e32 v3, v3, v4
	v_mul_f32_e32 v4, v176, v246
	v_add_f32_e32 v12, v12, v183
	s_waitcnt vmcnt(9)
	v_mul_f32_e32 v183, v177, v247
	v_fma_f32 v4, v175, v245, -v4
	s_waitcnt vmcnt(6)
	v_fmac_f32_e32 v183, v178, v250
	v_add_f32_e32 v3, v3, v4
	v_mul_f32_e32 v4, v178, v247
	v_add_f32_e32 v12, v12, v183
	ds_read_b128 v[183:186], v110 offset:848
	v_fma_f32 v4, v177, v250, -v4
	v_add_f32_e32 v3, v3, v4
	s_waitcnt lgkmcnt(1)
	v_mul_f32_e32 v4, v180, v249
	v_mul_f32_e32 v13, v179, v249
	v_fma_f32 v4, v179, v248, -v4
	v_fmac_f32_e32 v13, v180, v248
	v_add_f32_e32 v3, v3, v4
	s_waitcnt vmcnt(4)
	v_mul_f32_e32 v4, v182, v252
	v_add_f32_e32 v12, v12, v13
	v_mul_f32_e32 v13, v181, v252
	v_fma_f32 v4, v181, v251, -v4
	v_fmac_f32_e32 v13, v182, v251
	v_add_f32_e32 v3, v3, v4
	s_waitcnt vmcnt(3) lgkmcnt(0)
	v_mul_f32_e32 v4, v184, v253
	v_add_f32_e32 v12, v12, v13
	v_mul_f32_e32 v13, v183, v253
	s_waitcnt vmcnt(0)
	v_fma_f32 v4, v183, v11, -v4
	v_fmac_f32_e32 v13, v184, v11
	v_add_f32_e32 v3, v3, v4
	v_mul_f32_e32 v4, v186, v255
	v_add_f32_e32 v12, v12, v13
	v_mul_f32_e32 v13, v185, v255
	v_fma_f32 v4, v185, v254, -v4
	v_fmac_f32_e32 v13, v186, v254
	v_add_f32_e32 v3, v3, v4
	v_add_f32_e32 v12, v12, v13
	v_sub_f32_e32 v3, v209, v3
	v_sub_f32_e32 v4, v210, v12
	buffer_store_dword v3, off, s[0:3], 0 offset:120
	buffer_store_dword v4, off, s[0:3], 0 offset:124
	s_and_saveexec_b64 s[4:5], vcc
	s_cbranch_execz .LBB117_309
; %bb.308:
	buffer_load_dword v110, off, s[0:3], 0 offset:112
	buffer_load_dword v111, off, s[0:3], 0 offset:116
	v_mov_b32_e32 v3, 0
	buffer_store_dword v3, off, s[0:3], 0 offset:112
	buffer_store_dword v3, off, s[0:3], 0 offset:116
	s_waitcnt vmcnt(2)
	ds_write_b64 v109, v[110:111]
.LBB117_309:
	s_or_b64 exec, exec, s[4:5]
	s_waitcnt lgkmcnt(0)
	; wave barrier
	buffer_load_dword v3, off, s[0:3], 0 offset:124
	buffer_load_dword v4, off, s[0:3], 0 offset:132
	;; [unrolled: 1-line block ×50, first 2 shown]
	v_mov_b32_e32 v110, 0
	ds_read2_b64 v[111:114], v110 offset0:69 offset1:70
	ds_read2_b64 v[115:118], v110 offset0:71 offset1:72
	;; [unrolled: 1-line block ×6, first 2 shown]
	buffer_load_dword v227, off, s[0:3], 0 offset:312
	buffer_load_dword v228, off, s[0:3], 0 offset:316
	;; [unrolled: 1-line block ×8, first 2 shown]
	v_cmp_lt_u32_e32 vcc, 13, v0
	s_waitcnt vmcnt(57) lgkmcnt(5)
	v_mul_f32_e32 v135, v111, v3
	s_waitcnt vmcnt(56)
	v_mul_f32_e32 v136, v113, v4
	s_waitcnt vmcnt(55) lgkmcnt(4)
	v_mul_f32_e32 v137, v115, v5
	s_waitcnt vmcnt(54)
	v_mul_f32_e32 v138, v117, v6
	s_waitcnt vmcnt(53) lgkmcnt(3)
	v_mul_f32_e32 v139, v119, v7
	s_waitcnt vmcnt(52)
	v_mul_f32_e32 v140, v121, v8
	s_waitcnt vmcnt(51) lgkmcnt(2)
	v_mul_f32_e32 v141, v123, v9
	s_waitcnt vmcnt(50)
	v_mul_f32_e32 v142, v125, v10
	s_waitcnt vmcnt(49) lgkmcnt(1)
	v_mul_f32_e32 v143, v127, v11
	s_waitcnt vmcnt(48)
	v_mul_f32_e32 v144, v129, v12
	s_waitcnt vmcnt(47) lgkmcnt(0)
	v_mul_f32_e32 v145, v131, v13
	s_waitcnt vmcnt(46)
	v_fmac_f32_e32 v137, v116, v14
	s_waitcnt vmcnt(45)
	v_fmac_f32_e32 v136, v114, v189
	;; [unrolled: 2-line block ×3, first 2 shown]
	v_add_f32_e32 v135, 0, v135
	v_add_f32_e32 v135, v135, v136
	;; [unrolled: 1-line block ×3, first 2 shown]
	s_waitcnt vmcnt(40)
	v_fmac_f32_e32 v138, v118, v194
	v_fmac_f32_e32 v139, v120, v193
	v_add_f32_e32 v135, v135, v138
	v_fmac_f32_e32 v140, v122, v192
	v_add_f32_e32 v135, v135, v139
	;; [unrolled: 2-line block ×3, first 2 shown]
	s_waitcnt vmcnt(36)
	v_fmac_f32_e32 v142, v126, v198
	v_add_f32_e32 v135, v135, v141
	v_fmac_f32_e32 v143, v128, v197
	v_add_f32_e32 v135, v135, v142
	;; [unrolled: 2-line block ×3, first 2 shown]
	v_add_f32_e32 v135, v135, v144
	v_fmac_f32_e32 v145, v132, v195
	v_add_f32_e32 v139, v135, v145
	ds_read2_b64 v[135:138], v110 offset0:81 offset1:82
	buffer_load_dword v235, off, s[0:3], 0 offset:344
	buffer_load_dword v236, off, s[0:3], 0 offset:348
	;; [unrolled: 1-line block ×6, first 2 shown]
	s_waitcnt vmcnt(41)
	v_mul_f32_e32 v140, v133, v199
	s_waitcnt vmcnt(34)
	v_fmac_f32_e32 v140, v134, v206
	v_add_f32_e32 v143, v139, v140
	ds_read2_b64 v[139:142], v110 offset0:83 offset1:84
	buffer_load_dword v241, off, s[0:3], 0 offset:368
	buffer_load_dword v242, off, s[0:3], 0 offset:372
	;; [unrolled: 1-line block ×16, first 2 shown]
	v_mul_f32_e32 v3, v112, v3
	v_fma_f32 v3, v111, v190, -v3
	v_mul_f32_e32 v4, v114, v4
	v_add_f32_e32 v3, 0, v3
	v_fma_f32 v4, v113, v189, -v4
	v_add_f32_e32 v3, v3, v4
	v_mul_f32_e32 v4, v116, v5
	v_fma_f32 v4, v115, v14, -v4
	s_waitcnt lgkmcnt(1)
	v_mul_f32_e32 v144, v135, v201
	v_add_f32_e32 v3, v3, v4
	v_mul_f32_e32 v4, v118, v6
	v_fmac_f32_e32 v144, v136, v200
	v_fma_f32 v4, v117, v194, -v4
	v_add_f32_e32 v143, v143, v144
	v_mul_f32_e32 v144, v137, v203
	v_add_f32_e32 v3, v3, v4
	v_mul_f32_e32 v4, v120, v7
	v_fmac_f32_e32 v144, v138, v202
	v_fma_f32 v4, v119, v193, -v4
	v_add_f32_e32 v143, v143, v144
	s_waitcnt lgkmcnt(0)
	v_mul_f32_e32 v144, v139, v205
	v_add_f32_e32 v3, v3, v4
	v_mul_f32_e32 v4, v122, v8
	v_fmac_f32_e32 v144, v140, v204
	v_fma_f32 v4, v121, v192, -v4
	v_add_f32_e32 v147, v143, v144
	ds_read2_b64 v[143:146], v110 offset0:85 offset1:86
	v_add_f32_e32 v3, v3, v4
	v_mul_f32_e32 v4, v124, v9
	v_fma_f32 v4, v123, v191, -v4
	s_waitcnt vmcnt(46)
	v_mul_f32_e32 v16, v141, v210
	v_add_f32_e32 v3, v3, v4
	v_mul_f32_e32 v4, v126, v10
	v_fmac_f32_e32 v16, v142, v209
	v_fma_f32 v4, v125, v198, -v4
	v_add_f32_e32 v16, v147, v16
	ds_read2_b64 v[147:150], v110 offset0:87 offset1:88
	v_add_f32_e32 v3, v3, v4
	v_mul_f32_e32 v4, v128, v11
	s_waitcnt vmcnt(44) lgkmcnt(1)
	v_mul_f32_e32 v151, v143, v212
	v_fma_f32 v4, v127, v197, -v4
	v_fmac_f32_e32 v151, v144, v211
	v_add_f32_e32 v3, v3, v4
	v_mul_f32_e32 v4, v130, v12
	v_add_f32_e32 v16, v16, v151
	s_waitcnt vmcnt(42)
	v_mul_f32_e32 v151, v145, v214
	v_fma_f32 v4, v129, v196, -v4
	v_fmac_f32_e32 v151, v146, v213
	v_add_f32_e32 v3, v3, v4
	v_mul_f32_e32 v4, v132, v13
	v_add_f32_e32 v16, v16, v151
	s_waitcnt vmcnt(40) lgkmcnt(0)
	v_mul_f32_e32 v151, v147, v216
	v_fma_f32 v4, v131, v195, -v4
	v_fmac_f32_e32 v151, v148, v215
	v_add_f32_e32 v3, v3, v4
	v_mul_f32_e32 v4, v134, v199
	v_add_f32_e32 v16, v16, v151
	ds_read2_b64 v[151:154], v110 offset0:89 offset1:90
	v_fma_f32 v4, v133, v206, -v4
	v_add_f32_e32 v3, v3, v4
	v_mul_f32_e32 v4, v136, v201
	s_waitcnt vmcnt(38)
	v_mul_f32_e32 v155, v149, v218
	v_fma_f32 v4, v135, v200, -v4
	v_fmac_f32_e32 v155, v150, v217
	v_add_f32_e32 v3, v3, v4
	v_mul_f32_e32 v4, v138, v203
	v_add_f32_e32 v16, v16, v155
	ds_read2_b64 v[155:158], v110 offset0:91 offset1:92
	v_fma_f32 v4, v137, v202, -v4
	s_waitcnt vmcnt(36) lgkmcnt(1)
	v_mul_f32_e32 v159, v151, v220
	v_add_f32_e32 v3, v3, v4
	v_mul_f32_e32 v4, v140, v205
	v_fmac_f32_e32 v159, v152, v219
	v_fma_f32 v4, v139, v204, -v4
	v_add_f32_e32 v16, v16, v159
	s_waitcnt vmcnt(34)
	v_mul_f32_e32 v159, v153, v222
	v_add_f32_e32 v3, v3, v4
	v_mul_f32_e32 v4, v142, v210
	v_fmac_f32_e32 v159, v154, v221
	v_fma_f32 v4, v141, v209, -v4
	v_add_f32_e32 v16, v16, v159
	s_waitcnt vmcnt(32) lgkmcnt(0)
	v_mul_f32_e32 v159, v155, v224
	v_add_f32_e32 v3, v3, v4
	v_mul_f32_e32 v4, v144, v212
	v_fmac_f32_e32 v159, v156, v223
	v_fma_f32 v4, v143, v211, -v4
	v_add_f32_e32 v16, v16, v159
	ds_read2_b64 v[159:162], v110 offset0:93 offset1:94
	v_add_f32_e32 v3, v3, v4
	v_mul_f32_e32 v4, v146, v214
	v_fma_f32 v4, v145, v213, -v4
	s_waitcnt vmcnt(30)
	v_mul_f32_e32 v163, v157, v226
	v_add_f32_e32 v3, v3, v4
	v_mul_f32_e32 v4, v148, v216
	v_fmac_f32_e32 v163, v158, v225
	v_fma_f32 v4, v147, v215, -v4
	v_add_f32_e32 v16, v16, v163
	ds_read2_b64 v[163:166], v110 offset0:95 offset1:96
	v_add_f32_e32 v3, v3, v4
	v_mul_f32_e32 v4, v150, v218
	s_waitcnt vmcnt(28) lgkmcnt(1)
	v_mul_f32_e32 v167, v159, v228
	v_fma_f32 v4, v149, v217, -v4
	v_fmac_f32_e32 v167, v160, v227
	v_add_f32_e32 v3, v3, v4
	v_mul_f32_e32 v4, v152, v220
	v_add_f32_e32 v16, v16, v167
	s_waitcnt vmcnt(27)
	v_mul_f32_e32 v167, v161, v229
	v_fma_f32 v4, v151, v219, -v4
	s_waitcnt vmcnt(24)
	v_fmac_f32_e32 v167, v162, v232
	v_add_f32_e32 v3, v3, v4
	v_mul_f32_e32 v4, v154, v222
	v_add_f32_e32 v16, v16, v167
	s_waitcnt lgkmcnt(0)
	v_mul_f32_e32 v167, v163, v231
	v_fma_f32 v4, v153, v221, -v4
	v_fmac_f32_e32 v167, v164, v230
	v_add_f32_e32 v3, v3, v4
	v_mul_f32_e32 v4, v156, v224
	v_add_f32_e32 v16, v16, v167
	ds_read2_b64 v[167:170], v110 offset0:97 offset1:98
	v_fma_f32 v4, v155, v223, -v4
	v_add_f32_e32 v3, v3, v4
	v_mul_f32_e32 v4, v158, v226
	s_waitcnt vmcnt(22)
	v_mul_f32_e32 v171, v165, v234
	v_fma_f32 v4, v157, v225, -v4
	v_fmac_f32_e32 v171, v166, v233
	v_add_f32_e32 v3, v3, v4
	v_mul_f32_e32 v4, v160, v228
	v_add_f32_e32 v16, v16, v171
	ds_read2_b64 v[171:174], v110 offset0:99 offset1:100
	v_fma_f32 v4, v159, v227, -v4
	s_waitcnt vmcnt(20) lgkmcnt(1)
	v_mul_f32_e32 v175, v167, v236
	v_add_f32_e32 v3, v3, v4
	v_mul_f32_e32 v4, v162, v229
	v_fmac_f32_e32 v175, v168, v235
	v_fma_f32 v4, v161, v232, -v4
	v_add_f32_e32 v16, v16, v175
	s_waitcnt vmcnt(19)
	v_mul_f32_e32 v175, v169, v237
	v_add_f32_e32 v3, v3, v4
	v_mul_f32_e32 v4, v164, v231
	s_waitcnt vmcnt(16)
	v_fmac_f32_e32 v175, v170, v240
	v_fma_f32 v4, v163, v230, -v4
	v_add_f32_e32 v16, v16, v175
	s_waitcnt lgkmcnt(0)
	v_mul_f32_e32 v175, v171, v239
	v_add_f32_e32 v3, v3, v4
	v_mul_f32_e32 v4, v166, v234
	v_fmac_f32_e32 v175, v172, v238
	v_fma_f32 v4, v165, v233, -v4
	v_add_f32_e32 v16, v16, v175
	ds_read2_b64 v[175:178], v110 offset0:101 offset1:102
	v_add_f32_e32 v3, v3, v4
	v_mul_f32_e32 v4, v168, v236
	v_fma_f32 v4, v167, v235, -v4
	s_waitcnt vmcnt(14)
	v_mul_f32_e32 v179, v173, v242
	v_add_f32_e32 v3, v3, v4
	v_mul_f32_e32 v4, v170, v237
	v_fmac_f32_e32 v179, v174, v241
	v_fma_f32 v4, v169, v240, -v4
	v_add_f32_e32 v16, v16, v179
	ds_read2_b64 v[179:182], v110 offset0:103 offset1:104
	v_add_f32_e32 v3, v3, v4
	v_mul_f32_e32 v4, v172, v239
	s_waitcnt vmcnt(12) lgkmcnt(1)
	v_mul_f32_e32 v183, v175, v244
	v_fma_f32 v4, v171, v238, -v4
	v_fmac_f32_e32 v183, v176, v243
	v_add_f32_e32 v3, v3, v4
	v_mul_f32_e32 v4, v174, v242
	v_add_f32_e32 v16, v16, v183
	s_waitcnt vmcnt(11)
	v_mul_f32_e32 v183, v177, v245
	v_fma_f32 v4, v173, v241, -v4
	s_waitcnt vmcnt(8)
	v_fmac_f32_e32 v183, v178, v248
	v_add_f32_e32 v3, v3, v4
	v_mul_f32_e32 v4, v176, v244
	v_add_f32_e32 v16, v16, v183
	s_waitcnt lgkmcnt(0)
	v_mul_f32_e32 v183, v179, v247
	v_fma_f32 v4, v175, v243, -v4
	v_fmac_f32_e32 v183, v180, v246
	v_add_f32_e32 v3, v3, v4
	v_mul_f32_e32 v4, v178, v245
	v_add_f32_e32 v16, v16, v183
	ds_read2_b64 v[183:186], v110 offset0:105 offset1:106
	v_fma_f32 v4, v177, v248, -v4
	v_add_f32_e32 v3, v3, v4
	v_mul_f32_e32 v4, v180, v247
	s_waitcnt vmcnt(6)
	v_mul_f32_e32 v187, v181, v250
	v_fma_f32 v4, v179, v246, -v4
	v_fmac_f32_e32 v187, v182, v249
	v_add_f32_e32 v3, v3, v4
	v_mul_f32_e32 v4, v182, v250
	v_add_f32_e32 v16, v16, v187
	ds_read_b64 v[187:188], v110 offset:856
	v_fma_f32 v4, v181, v249, -v4
	v_add_f32_e32 v3, v3, v4
	s_waitcnt vmcnt(4) lgkmcnt(1)
	v_mul_f32_e32 v4, v184, v252
	v_mul_f32_e32 v17, v183, v252
	v_fma_f32 v4, v183, v251, -v4
	v_fmac_f32_e32 v17, v184, v251
	v_add_f32_e32 v3, v3, v4
	s_waitcnt vmcnt(3)
	v_mul_f32_e32 v4, v186, v253
	v_add_f32_e32 v16, v16, v17
	v_mul_f32_e32 v17, v185, v253
	s_waitcnt vmcnt(0)
	v_fma_f32 v4, v185, v15, -v4
	v_fmac_f32_e32 v17, v186, v15
	v_add_f32_e32 v3, v3, v4
	s_waitcnt lgkmcnt(0)
	v_mul_f32_e32 v4, v188, v255
	v_add_f32_e32 v16, v16, v17
	v_mul_f32_e32 v17, v187, v255
	v_fma_f32 v4, v187, v254, -v4
	v_fmac_f32_e32 v17, v188, v254
	v_add_f32_e32 v3, v3, v4
	v_add_f32_e32 v16, v16, v17
	v_sub_f32_e32 v3, v207, v3
	v_sub_f32_e32 v4, v208, v16
	buffer_store_dword v3, off, s[0:3], 0 offset:112
	buffer_store_dword v4, off, s[0:3], 0 offset:116
	s_and_saveexec_b64 s[4:5], vcc
	s_cbranch_execz .LBB117_311
; %bb.310:
	buffer_load_dword v111, off, s[0:3], 0 offset:104
	buffer_load_dword v112, off, s[0:3], 0 offset:108
	s_waitcnt vmcnt(0)
	ds_write_b64 v109, v[111:112]
	buffer_store_dword v110, off, s[0:3], 0 offset:104
	buffer_store_dword v110, off, s[0:3], 0 offset:108
.LBB117_311:
	s_or_b64 exec, exec, s[4:5]
	s_waitcnt lgkmcnt(0)
	; wave barrier
	buffer_load_dword v3, off, s[0:3], 0 offset:116
	buffer_load_dword v4, off, s[0:3], 0 offset:124
	;; [unrolled: 1-line block ×32, first 2 shown]
	ds_read_b128 v[111:114], v110 offset:544
	ds_read_b128 v[115:118], v110 offset:560
	;; [unrolled: 1-line block ×6, first 2 shown]
	buffer_load_dword v207, off, s[0:3], 0 offset:232
	buffer_load_dword v208, off, s[0:3], 0 offset:236
	;; [unrolled: 1-line block ×26, first 2 shown]
	v_cmp_lt_u32_e32 vcc, 12, v0
	s_waitcnt vmcnt(57) lgkmcnt(5)
	v_mul_f32_e32 v135, v111, v3
	s_waitcnt vmcnt(56)
	v_mul_f32_e32 v136, v113, v4
	s_waitcnt vmcnt(55) lgkmcnt(4)
	v_mul_f32_e32 v137, v115, v5
	s_waitcnt vmcnt(54)
	v_mul_f32_e32 v138, v117, v6
	;; [unrolled: 4-line block ×5, first 2 shown]
	s_waitcnt vmcnt(47) lgkmcnt(0)
	v_mul_f32_e32 v145, v131, v13
	s_waitcnt vmcnt(46)
	v_fmac_f32_e32 v137, v116, v14
	s_waitcnt vmcnt(45)
	v_fmac_f32_e32 v136, v114, v15
	;; [unrolled: 2-line block ×3, first 2 shown]
	v_add_f32_e32 v135, 0, v135
	v_add_f32_e32 v135, v135, v136
	;; [unrolled: 1-line block ×3, first 2 shown]
	s_waitcnt vmcnt(40)
	v_fmac_f32_e32 v138, v118, v192
	v_fmac_f32_e32 v139, v120, v191
	v_add_f32_e32 v135, v135, v138
	v_fmac_f32_e32 v140, v122, v18
	v_add_f32_e32 v135, v135, v139
	;; [unrolled: 2-line block ×3, first 2 shown]
	s_waitcnt vmcnt(36)
	v_fmac_f32_e32 v142, v126, v196
	v_add_f32_e32 v135, v135, v141
	v_fmac_f32_e32 v143, v128, v195
	v_add_f32_e32 v135, v135, v142
	;; [unrolled: 2-line block ×4, first 2 shown]
	v_add_f32_e32 v139, v135, v145
	ds_read_b128 v[135:138], v110 offset:640
	buffer_load_dword v233, off, s[0:3], 0 offset:336
	buffer_load_dword v234, off, s[0:3], 0 offset:340
	buffer_load_dword v235, off, s[0:3], 0 offset:348
	buffer_load_dword v236, off, s[0:3], 0 offset:352
	buffer_load_dword v237, off, s[0:3], 0 offset:356
	buffer_load_dword v238, off, s[0:3], 0 offset:344
	s_waitcnt vmcnt(41)
	v_mul_f32_e32 v140, v133, v197
	s_waitcnt vmcnt(35)
	v_fmac_f32_e32 v140, v134, v203
	v_add_f32_e32 v143, v139, v140
	ds_read_b128 v[139:142], v110 offset:656
	buffer_load_dword v239, off, s[0:3], 0 offset:360
	buffer_load_dword v240, off, s[0:3], 0 offset:364
	;; [unrolled: 1-line block ×10, first 2 shown]
	s_waitcnt vmcnt(44) lgkmcnt(1)
	v_mul_f32_e32 v144, v135, v204
	v_fmac_f32_e32 v144, v136, v202
	v_add_f32_e32 v143, v143, v144
	v_mul_f32_e32 v144, v137, v199
	v_fmac_f32_e32 v144, v138, v198
	v_add_f32_e32 v143, v143, v144
	s_waitcnt lgkmcnt(0)
	v_mul_f32_e32 v144, v139, v201
	buffer_load_dword v249, off, s[0:3], 0 offset:400
	buffer_load_dword v250, off, s[0:3], 0 offset:404
	;; [unrolled: 1-line block ×6, first 2 shown]
	v_fmac_f32_e32 v144, v140, v200
	s_waitcnt vmcnt(46)
	v_mul_f32_e32 v148, v141, v208
	v_add_f32_e32 v147, v143, v144
	v_fmac_f32_e32 v148, v142, v207
	ds_read_b128 v[143:146], v110 offset:672
	v_add_f32_e32 v151, v147, v148
	ds_read_b128 v[147:150], v110 offset:688
	buffer_load_dword v255, off, s[0:3], 0 offset:424
	buffer_load_dword v19, off, s[0:3], 0 offset:428
	v_mul_f32_e32 v3, v112, v3
	v_fma_f32 v3, v111, v16, -v3
	v_mul_f32_e32 v4, v114, v4
	v_add_f32_e32 v3, 0, v3
	v_fma_f32 v4, v113, v15, -v4
	v_add_f32_e32 v3, v3, v4
	v_mul_f32_e32 v4, v116, v5
	v_fma_f32 v4, v115, v14, -v4
	v_add_f32_e32 v3, v3, v4
	v_mul_f32_e32 v4, v118, v6
	;; [unrolled: 3-line block ×7, first 2 shown]
	s_waitcnt vmcnt(46) lgkmcnt(1)
	v_mul_f32_e32 v20, v143, v210
	v_fma_f32 v4, v127, v195, -v4
	v_fmac_f32_e32 v20, v144, v209
	v_add_f32_e32 v3, v3, v4
	v_mul_f32_e32 v4, v130, v12
	v_add_f32_e32 v20, v151, v20
	s_waitcnt vmcnt(44)
	v_mul_f32_e32 v151, v145, v212
	v_fma_f32 v4, v129, v194, -v4
	v_fmac_f32_e32 v151, v146, v211
	v_add_f32_e32 v3, v3, v4
	v_mul_f32_e32 v4, v132, v13
	v_add_f32_e32 v20, v20, v151
	s_waitcnt vmcnt(42) lgkmcnt(0)
	v_mul_f32_e32 v151, v147, v214
	v_fma_f32 v4, v131, v193, -v4
	v_fmac_f32_e32 v151, v148, v213
	v_add_f32_e32 v3, v3, v4
	v_mul_f32_e32 v4, v134, v197
	v_add_f32_e32 v20, v20, v151
	ds_read_b128 v[151:154], v110 offset:704
	v_fma_f32 v4, v133, v203, -v4
	v_add_f32_e32 v3, v3, v4
	v_mul_f32_e32 v4, v136, v204
	s_waitcnt vmcnt(40)
	v_mul_f32_e32 v155, v149, v216
	v_fma_f32 v4, v135, v202, -v4
	v_fmac_f32_e32 v155, v150, v215
	v_add_f32_e32 v3, v3, v4
	v_mul_f32_e32 v4, v138, v199
	v_add_f32_e32 v20, v20, v155
	ds_read_b128 v[155:158], v110 offset:720
	v_fma_f32 v4, v137, v198, -v4
	s_waitcnt vmcnt(38) lgkmcnt(1)
	v_mul_f32_e32 v159, v151, v218
	v_add_f32_e32 v3, v3, v4
	v_mul_f32_e32 v4, v140, v201
	v_fmac_f32_e32 v159, v152, v217
	v_fma_f32 v4, v139, v200, -v4
	v_add_f32_e32 v20, v20, v159
	s_waitcnt vmcnt(36)
	v_mul_f32_e32 v159, v153, v220
	v_add_f32_e32 v3, v3, v4
	v_mul_f32_e32 v4, v142, v208
	v_fmac_f32_e32 v159, v154, v219
	v_fma_f32 v4, v141, v207, -v4
	v_add_f32_e32 v20, v20, v159
	s_waitcnt vmcnt(34) lgkmcnt(0)
	v_mul_f32_e32 v159, v155, v222
	v_add_f32_e32 v3, v3, v4
	v_mul_f32_e32 v4, v144, v210
	v_fmac_f32_e32 v159, v156, v221
	v_fma_f32 v4, v143, v209, -v4
	v_add_f32_e32 v20, v20, v159
	ds_read_b128 v[159:162], v110 offset:736
	v_add_f32_e32 v3, v3, v4
	v_mul_f32_e32 v4, v146, v212
	v_fma_f32 v4, v145, v211, -v4
	s_waitcnt vmcnt(32)
	v_mul_f32_e32 v163, v157, v224
	v_add_f32_e32 v3, v3, v4
	v_mul_f32_e32 v4, v148, v214
	v_fmac_f32_e32 v163, v158, v223
	v_fma_f32 v4, v147, v213, -v4
	v_add_f32_e32 v20, v20, v163
	ds_read_b128 v[163:166], v110 offset:752
	v_add_f32_e32 v3, v3, v4
	v_mul_f32_e32 v4, v150, v216
	s_waitcnt vmcnt(30) lgkmcnt(1)
	v_mul_f32_e32 v167, v159, v226
	v_fma_f32 v4, v149, v215, -v4
	v_fmac_f32_e32 v167, v160, v225
	v_add_f32_e32 v3, v3, v4
	v_mul_f32_e32 v4, v152, v218
	v_add_f32_e32 v20, v20, v167
	s_waitcnt vmcnt(29)
	v_mul_f32_e32 v167, v161, v227
	v_fma_f32 v4, v151, v217, -v4
	s_waitcnt vmcnt(26)
	v_fmac_f32_e32 v167, v162, v230
	v_add_f32_e32 v3, v3, v4
	v_mul_f32_e32 v4, v154, v220
	v_add_f32_e32 v20, v20, v167
	s_waitcnt lgkmcnt(0)
	v_mul_f32_e32 v167, v163, v229
	v_fma_f32 v4, v153, v219, -v4
	v_fmac_f32_e32 v167, v164, v228
	v_add_f32_e32 v3, v3, v4
	v_mul_f32_e32 v4, v156, v222
	v_add_f32_e32 v20, v20, v167
	ds_read_b128 v[167:170], v110 offset:768
	v_fma_f32 v4, v155, v221, -v4
	v_add_f32_e32 v3, v3, v4
	v_mul_f32_e32 v4, v158, v224
	s_waitcnt vmcnt(24)
	v_mul_f32_e32 v171, v165, v232
	v_fma_f32 v4, v157, v223, -v4
	v_fmac_f32_e32 v171, v166, v231
	v_add_f32_e32 v3, v3, v4
	v_mul_f32_e32 v4, v160, v226
	v_add_f32_e32 v20, v20, v171
	ds_read_b128 v[171:174], v110 offset:784
	v_fma_f32 v4, v159, v225, -v4
	s_waitcnt vmcnt(22) lgkmcnt(1)
	v_mul_f32_e32 v175, v167, v234
	v_add_f32_e32 v3, v3, v4
	v_mul_f32_e32 v4, v162, v227
	v_fmac_f32_e32 v175, v168, v233
	v_fma_f32 v4, v161, v230, -v4
	v_add_f32_e32 v20, v20, v175
	s_waitcnt vmcnt(21)
	v_mul_f32_e32 v175, v169, v235
	v_add_f32_e32 v3, v3, v4
	v_mul_f32_e32 v4, v164, v229
	s_waitcnt vmcnt(18)
	v_fmac_f32_e32 v175, v170, v238
	v_fma_f32 v4, v163, v228, -v4
	v_add_f32_e32 v20, v20, v175
	s_waitcnt lgkmcnt(0)
	v_mul_f32_e32 v175, v171, v237
	v_add_f32_e32 v3, v3, v4
	v_mul_f32_e32 v4, v166, v232
	v_fmac_f32_e32 v175, v172, v236
	v_fma_f32 v4, v165, v231, -v4
	v_add_f32_e32 v20, v20, v175
	ds_read_b128 v[175:178], v110 offset:800
	v_add_f32_e32 v3, v3, v4
	v_mul_f32_e32 v4, v168, v234
	v_fma_f32 v4, v167, v233, -v4
	s_waitcnt vmcnt(16)
	v_mul_f32_e32 v179, v173, v240
	v_add_f32_e32 v3, v3, v4
	v_mul_f32_e32 v4, v170, v235
	v_fmac_f32_e32 v179, v174, v239
	v_fma_f32 v4, v169, v238, -v4
	v_add_f32_e32 v20, v20, v179
	ds_read_b128 v[179:182], v110 offset:816
	v_add_f32_e32 v3, v3, v4
	v_mul_f32_e32 v4, v172, v237
	s_waitcnt vmcnt(14) lgkmcnt(1)
	v_mul_f32_e32 v183, v175, v242
	v_fma_f32 v4, v171, v236, -v4
	v_fmac_f32_e32 v183, v176, v241
	v_add_f32_e32 v3, v3, v4
	v_mul_f32_e32 v4, v174, v240
	v_add_f32_e32 v20, v20, v183
	s_waitcnt vmcnt(13)
	v_mul_f32_e32 v183, v177, v243
	v_fma_f32 v4, v173, v239, -v4
	s_waitcnt vmcnt(10)
	v_fmac_f32_e32 v183, v178, v246
	v_add_f32_e32 v3, v3, v4
	v_mul_f32_e32 v4, v176, v242
	v_add_f32_e32 v20, v20, v183
	s_waitcnt lgkmcnt(0)
	v_mul_f32_e32 v183, v179, v245
	v_fma_f32 v4, v175, v241, -v4
	v_fmac_f32_e32 v183, v180, v244
	v_add_f32_e32 v3, v3, v4
	v_mul_f32_e32 v4, v178, v243
	v_add_f32_e32 v20, v20, v183
	ds_read_b128 v[183:186], v110 offset:832
	v_fma_f32 v4, v177, v246, -v4
	v_add_f32_e32 v3, v3, v4
	v_mul_f32_e32 v4, v180, v245
	s_waitcnt vmcnt(8)
	v_mul_f32_e32 v187, v181, v248
	v_fma_f32 v4, v179, v244, -v4
	v_fmac_f32_e32 v187, v182, v247
	v_add_f32_e32 v3, v3, v4
	v_mul_f32_e32 v4, v182, v248
	v_add_f32_e32 v20, v20, v187
	ds_read_b128 v[187:190], v110 offset:848
	v_fma_f32 v4, v181, v247, -v4
	v_add_f32_e32 v3, v3, v4
	s_waitcnt vmcnt(6) lgkmcnt(1)
	v_mul_f32_e32 v4, v184, v250
	v_mul_f32_e32 v110, v183, v250
	v_fma_f32 v4, v183, v249, -v4
	v_fmac_f32_e32 v110, v184, v249
	v_add_f32_e32 v3, v3, v4
	s_waitcnt vmcnt(5)
	v_mul_f32_e32 v4, v186, v251
	v_add_f32_e32 v20, v20, v110
	v_mul_f32_e32 v110, v185, v251
	s_waitcnt vmcnt(2)
	v_fma_f32 v4, v185, v254, -v4
	v_fmac_f32_e32 v110, v186, v254
	v_add_f32_e32 v3, v3, v4
	s_waitcnt lgkmcnt(0)
	v_mul_f32_e32 v4, v188, v253
	v_add_f32_e32 v20, v20, v110
	v_mul_f32_e32 v110, v187, v253
	v_fma_f32 v4, v187, v252, -v4
	v_fmac_f32_e32 v110, v188, v252
	v_add_f32_e32 v3, v3, v4
	s_waitcnt vmcnt(0)
	v_mul_f32_e32 v4, v190, v19
	v_add_f32_e32 v20, v20, v110
	v_mul_f32_e32 v110, v189, v19
	v_fma_f32 v4, v189, v255, -v4
	v_fmac_f32_e32 v110, v190, v255
	v_add_f32_e32 v3, v3, v4
	v_add_f32_e32 v20, v20, v110
	v_sub_f32_e32 v3, v205, v3
	v_sub_f32_e32 v4, v206, v20
	buffer_store_dword v3, off, s[0:3], 0 offset:104
	buffer_store_dword v4, off, s[0:3], 0 offset:108
	s_and_saveexec_b64 s[4:5], vcc
	s_cbranch_execz .LBB117_313
; %bb.312:
	buffer_load_dword v110, off, s[0:3], 0 offset:96
	buffer_load_dword v111, off, s[0:3], 0 offset:100
	v_mov_b32_e32 v3, 0
	buffer_store_dword v3, off, s[0:3], 0 offset:96
	buffer_store_dword v3, off, s[0:3], 0 offset:100
	s_waitcnt vmcnt(2)
	ds_write_b64 v109, v[110:111]
.LBB117_313:
	s_or_b64 exec, exec, s[4:5]
	s_waitcnt lgkmcnt(0)
	; wave barrier
	buffer_load_dword v119, off, s[0:3], 0 offset:108
	buffer_load_dword v118, off, s[0:3], 0 offset:116
	;; [unrolled: 1-line block ×50, first 2 shown]
	v_mov_b32_e32 v110, 0
	ds_read2_b64 v[120:123], v110 offset0:67 offset1:68
	ds_read2_b64 v[124:127], v110 offset0:69 offset1:70
	;; [unrolled: 1-line block ×6, first 2 shown]
	buffer_load_dword v225, off, s[0:3], 0 offset:296
	buffer_load_dword v226, off, s[0:3], 0 offset:300
	;; [unrolled: 1-line block ×6, first 2 shown]
	v_cmp_lt_u32_e32 vcc, 11, v0
	s_waitcnt vmcnt(55) lgkmcnt(5)
	v_mul_f32_e32 v144, v120, v119
	s_waitcnt vmcnt(54)
	v_mul_f32_e32 v145, v122, v118
	s_waitcnt vmcnt(53) lgkmcnt(4)
	v_mul_f32_e32 v146, v124, v117
	s_waitcnt vmcnt(52)
	v_mul_f32_e32 v147, v126, v116
	;; [unrolled: 4-line block ×5, first 2 shown]
	s_waitcnt vmcnt(45) lgkmcnt(0)
	v_mul_f32_e32 v154, v140, v6
	s_waitcnt vmcnt(44)
	v_fmac_f32_e32 v146, v125, v7
	s_waitcnt vmcnt(43)
	v_fmac_f32_e32 v145, v123, v8
	;; [unrolled: 2-line block ×3, first 2 shown]
	v_add_f32_e32 v144, 0, v144
	v_add_f32_e32 v144, v144, v145
	;; [unrolled: 1-line block ×3, first 2 shown]
	s_waitcnt vmcnt(38)
	v_fmac_f32_e32 v147, v127, v13
	v_fmac_f32_e32 v148, v129, v12
	v_add_f32_e32 v144, v144, v147
	v_fmac_f32_e32 v149, v131, v11
	v_add_f32_e32 v144, v144, v148
	;; [unrolled: 2-line block ×3, first 2 shown]
	s_waitcnt vmcnt(34)
	v_fmac_f32_e32 v151, v135, v17
	v_add_f32_e32 v144, v144, v150
	v_fmac_f32_e32 v152, v137, v16
	v_add_f32_e32 v144, v144, v151
	;; [unrolled: 2-line block ×4, first 2 shown]
	v_add_f32_e32 v148, v144, v154
	ds_read2_b64 v[144:147], v110 offset0:79 offset1:80
	buffer_load_dword v231, off, s[0:3], 0 offset:320
	buffer_load_dword v232, off, s[0:3], 0 offset:324
	s_waitcnt vmcnt(35)
	v_mul_f32_e32 v149, v142, v18
	s_waitcnt vmcnt(29)
	v_fmac_f32_e32 v149, v143, v205
	v_add_f32_e32 v152, v148, v149
	ds_read2_b64 v[148:151], v110 offset0:81 offset1:82
	buffer_load_dword v233, off, s[0:3], 0 offset:328
	buffer_load_dword v234, off, s[0:3], 0 offset:332
	;; [unrolled: 1-line block ×14, first 2 shown]
	s_waitcnt vmcnt(42) lgkmcnt(1)
	v_mul_f32_e32 v153, v144, v206
	v_fmac_f32_e32 v153, v145, v204
	buffer_load_dword v247, off, s[0:3], 0 offset:384
	buffer_load_dword v248, off, s[0:3], 0 offset:388
	v_add_f32_e32 v152, v152, v153
	v_mul_f32_e32 v153, v146, v20
	v_fmac_f32_e32 v153, v147, v19
	v_add_f32_e32 v152, v152, v153
	s_waitcnt lgkmcnt(0)
	v_mul_f32_e32 v153, v148, v203
	v_fmac_f32_e32 v153, v149, v202
	v_add_f32_e32 v156, v152, v153
	ds_read2_b64 v[152:155], v110 offset0:83 offset1:84
	buffer_load_dword v249, off, s[0:3], 0 offset:392
	buffer_load_dword v250, off, s[0:3], 0 offset:396
	;; [unrolled: 1-line block ×6, first 2 shown]
	s_waitcnt vmcnt(46)
	v_mul_f32_e32 v157, v150, v208
	v_fmac_f32_e32 v157, v151, v207
	v_add_f32_e32 v160, v156, v157
	ds_read2_b64 v[156:159], v110 offset0:85 offset1:86
	buffer_load_dword v255, off, s[0:3], 0 offset:420
	buffer_load_dword v21, off, s[0:3], 0 offset:424
	;; [unrolled: 1-line block ×4, first 2 shown]
	s_waitcnt vmcnt(48) lgkmcnt(1)
	v_mul_f32_e32 v161, v152, v210
	v_fmac_f32_e32 v161, v153, v209
	v_add_f32_e32 v24, v160, v161
	s_waitcnt vmcnt(46)
	v_mul_f32_e32 v160, v154, v212
	v_fmac_f32_e32 v160, v155, v211
	v_add_f32_e32 v24, v24, v160
	s_waitcnt vmcnt(44) lgkmcnt(0)
	v_mul_f32_e32 v160, v156, v214
	v_fmac_f32_e32 v160, v157, v213
	v_add_f32_e32 v24, v24, v160
	ds_read2_b64 v[160:163], v110 offset0:87 offset1:88
	s_waitcnt vmcnt(42)
	v_mul_f32_e32 v164, v158, v216
	v_fmac_f32_e32 v164, v159, v215
	v_add_f32_e32 v24, v24, v164
	ds_read2_b64 v[164:167], v110 offset0:89 offset1:90
	s_waitcnt vmcnt(40) lgkmcnt(1)
	v_mul_f32_e32 v168, v160, v218
	v_fmac_f32_e32 v168, v161, v217
	v_add_f32_e32 v24, v24, v168
	s_waitcnt vmcnt(38)
	v_mul_f32_e32 v168, v162, v220
	v_fmac_f32_e32 v168, v163, v219
	v_add_f32_e32 v24, v24, v168
	s_waitcnt vmcnt(36) lgkmcnt(0)
	v_mul_f32_e32 v168, v164, v222
	v_fmac_f32_e32 v168, v165, v221
	v_add_f32_e32 v24, v24, v168
	ds_read2_b64 v[168:171], v110 offset0:91 offset1:92
	s_waitcnt vmcnt(34)
	v_mul_f32_e32 v172, v166, v224
	v_fmac_f32_e32 v172, v167, v223
	v_add_f32_e32 v24, v24, v172
	ds_read2_b64 v[172:175], v110 offset0:93 offset1:94
	s_waitcnt vmcnt(32) lgkmcnt(1)
	v_mul_f32_e32 v176, v168, v226
	v_fmac_f32_e32 v176, v169, v225
	v_add_f32_e32 v24, v24, v176
	s_waitcnt vmcnt(31)
	v_mul_f32_e32 v176, v170, v227
	s_waitcnt vmcnt(28)
	v_fmac_f32_e32 v176, v171, v230
	v_add_f32_e32 v24, v24, v176
	s_waitcnt lgkmcnt(0)
	v_mul_f32_e32 v176, v172, v229
	v_fmac_f32_e32 v176, v173, v228
	v_add_f32_e32 v24, v24, v176
	ds_read2_b64 v[176:179], v110 offset0:95 offset1:96
	v_mul_f32_e32 v3, v135, v3
	v_fma_f32 v3, v134, v17, -v3
	v_mul_f32_e32 v4, v137, v4
	v_fma_f32 v4, v136, v16, -v4
	s_waitcnt vmcnt(26)
	v_mul_f32_e32 v180, v174, v232
	v_fmac_f32_e32 v180, v175, v231
	v_add_f32_e32 v24, v24, v180
	ds_read2_b64 v[180:183], v110 offset0:97 offset1:98
	s_waitcnt vmcnt(24) lgkmcnt(1)
	v_mul_f32_e32 v184, v176, v234
	v_fmac_f32_e32 v184, v177, v233
	v_add_f32_e32 v24, v24, v184
	s_waitcnt vmcnt(23)
	v_mul_f32_e32 v184, v178, v235
	s_waitcnt vmcnt(20)
	v_fmac_f32_e32 v184, v179, v238
	v_add_f32_e32 v24, v24, v184
	s_waitcnt lgkmcnt(0)
	v_mul_f32_e32 v184, v180, v237
	v_fmac_f32_e32 v184, v181, v236
	v_add_f32_e32 v24, v24, v184
	ds_read2_b64 v[184:187], v110 offset0:99 offset1:100
	s_waitcnt vmcnt(18)
	v_mul_f32_e32 v188, v182, v240
	v_fmac_f32_e32 v188, v183, v239
	v_add_f32_e32 v24, v24, v188
	ds_read2_b64 v[188:191], v110 offset0:101 offset1:102
	s_waitcnt vmcnt(16) lgkmcnt(1)
	v_mul_f32_e32 v192, v184, v242
	v_fmac_f32_e32 v192, v185, v241
	v_add_f32_e32 v24, v24, v192
	s_waitcnt vmcnt(15)
	v_mul_f32_e32 v192, v186, v243
	s_waitcnt vmcnt(12)
	v_fmac_f32_e32 v192, v187, v246
	v_add_f32_e32 v24, v24, v192
	s_waitcnt lgkmcnt(0)
	v_mul_f32_e32 v192, v188, v245
	v_fmac_f32_e32 v192, v189, v244
	v_add_f32_e32 v24, v24, v192
	ds_read2_b64 v[192:195], v110 offset0:103 offset1:104
	s_waitcnt vmcnt(10)
	v_mul_f32_e32 v196, v190, v248
	v_fmac_f32_e32 v196, v191, v247
	v_add_f32_e32 v24, v24, v196
	ds_read2_b64 v[196:199], v110 offset0:105 offset1:106
	s_waitcnt vmcnt(8) lgkmcnt(1)
	v_mul_f32_e32 v200, v192, v250
	v_fmac_f32_e32 v200, v193, v249
	v_add_f32_e32 v24, v24, v200
	s_waitcnt vmcnt(7)
	v_mul_f32_e32 v200, v194, v251
	s_waitcnt vmcnt(4)
	v_fmac_f32_e32 v200, v195, v254
	v_add_f32_e32 v24, v24, v200
	ds_read_b64 v[200:201], v110 offset:856
	s_waitcnt lgkmcnt(1)
	v_mul_f32_e32 v25, v196, v253
	v_fmac_f32_e32 v25, v197, v252
	v_add_f32_e32 v24, v24, v25
	s_waitcnt vmcnt(3)
	v_mul_f32_e32 v25, v198, v255
	s_waitcnt vmcnt(0)
	v_fmac_f32_e32 v25, v199, v23
	v_add_f32_e32 v24, v24, v25
	s_waitcnt lgkmcnt(0)
	v_mul_f32_e32 v25, v200, v22
	v_fmac_f32_e32 v25, v201, v21
	v_add_f32_e32 v24, v24, v25
	v_mul_f32_e32 v25, v121, v119
	v_fma_f32 v9, v120, v9, -v25
	v_mul_f32_e32 v25, v123, v118
	v_add_f32_e32 v9, 0, v9
	v_fma_f32 v8, v122, v8, -v25
	v_add_f32_e32 v8, v9, v8
	v_mul_f32_e32 v9, v125, v117
	v_fma_f32 v7, v124, v7, -v9
	v_add_f32_e32 v7, v8, v7
	v_mul_f32_e32 v8, v127, v116
	;; [unrolled: 3-line block ×5, first 2 shown]
	v_fma_f32 v8, v132, v10, -v8
	v_add_f32_e32 v7, v7, v8
	v_add_f32_e32 v3, v7, v3
	;; [unrolled: 1-line block ×3, first 2 shown]
	v_mul_f32_e32 v4, v139, v5
	v_fma_f32 v4, v138, v15, -v4
	v_add_f32_e32 v3, v3, v4
	v_mul_f32_e32 v4, v141, v6
	v_fma_f32 v4, v140, v14, -v4
	v_add_f32_e32 v3, v3, v4
	;; [unrolled: 3-line block ×32, first 2 shown]
	v_sub_f32_e32 v3, v113, v3
	v_sub_f32_e32 v4, v114, v24
	buffer_store_dword v3, off, s[0:3], 0 offset:96
	buffer_store_dword v4, off, s[0:3], 0 offset:100
	s_and_saveexec_b64 s[4:5], vcc
	s_cbranch_execz .LBB117_315
; %bb.314:
	buffer_load_dword v111, off, s[0:3], 0 offset:88
	buffer_load_dword v112, off, s[0:3], 0 offset:92
	s_waitcnt vmcnt(0)
	ds_write_b64 v109, v[111:112]
	buffer_store_dword v110, off, s[0:3], 0 offset:88
	buffer_store_dword v110, off, s[0:3], 0 offset:92
.LBB117_315:
	s_or_b64 exec, exec, s[4:5]
	s_waitcnt lgkmcnt(0)
	; wave barrier
	buffer_load_dword v3, off, s[0:3], 0 offset:100
	buffer_load_dword v4, off, s[0:3], 0 offset:108
	;; [unrolled: 1-line block ×32, first 2 shown]
	ds_read_b128 v[111:114], v110 offset:528
	ds_read_b128 v[115:118], v110 offset:544
	;; [unrolled: 1-line block ×6, first 2 shown]
	buffer_load_dword v203, off, s[0:3], 0 offset:216
	buffer_load_dword v204, off, s[0:3], 0 offset:220
	;; [unrolled: 1-line block ×18, first 2 shown]
	v_cmp_lt_u32_e32 vcc, 10, v0
	s_waitcnt vmcnt(49) lgkmcnt(5)
	v_mul_f32_e32 v135, v111, v3
	s_waitcnt vmcnt(48)
	v_mul_f32_e32 v136, v113, v4
	s_waitcnt vmcnt(47) lgkmcnt(4)
	v_mul_f32_e32 v137, v115, v5
	s_waitcnt vmcnt(46)
	v_mul_f32_e32 v138, v117, v6
	;; [unrolled: 4-line block ×6, first 2 shown]
	s_waitcnt vmcnt(37)
	v_fmac_f32_e32 v137, v116, v15
	s_waitcnt vmcnt(36)
	v_fmac_f32_e32 v136, v114, v16
	;; [unrolled: 2-line block ×3, first 2 shown]
	v_add_f32_e32 v135, 0, v135
	v_add_f32_e32 v135, v135, v136
	v_add_f32_e32 v135, v135, v137
	s_waitcnt vmcnt(31)
	v_fmac_f32_e32 v138, v118, v21
	v_fmac_f32_e32 v139, v120, v20
	v_add_f32_e32 v135, v135, v138
	v_fmac_f32_e32 v140, v122, v19
	v_add_f32_e32 v135, v135, v139
	;; [unrolled: 2-line block ×3, first 2 shown]
	s_waitcnt vmcnt(27)
	v_fmac_f32_e32 v142, v126, v25
	v_add_f32_e32 v135, v135, v141
	v_fmac_f32_e32 v143, v128, v24
	v_add_f32_e32 v135, v135, v142
	;; [unrolled: 2-line block ×3, first 2 shown]
	v_add_f32_e32 v139, v135, v144
	ds_read_b128 v[135:138], v110 offset:624
	buffer_load_dword v221, off, s[0:3], 0 offset:288
	buffer_load_dword v222, off, s[0:3], 0 offset:292
	;; [unrolled: 1-line block ×6, first 2 shown]
	v_fmac_f32_e32 v145, v132, v22
	s_waitcnt vmcnt(27)
	v_fmac_f32_e32 v146, v134, v199
	v_add_f32_e32 v139, v139, v145
	v_add_f32_e32 v143, v139, v146
	ds_read_b128 v[139:142], v110 offset:640
	buffer_load_dword v227, off, s[0:3], 0 offset:312
	buffer_load_dword v228, off, s[0:3], 0 offset:316
	;; [unrolled: 1-line block ×10, first 2 shown]
	s_waitcnt vmcnt(36) lgkmcnt(1)
	v_mul_f32_e32 v144, v135, v200
	buffer_load_dword v237, off, s[0:3], 0 offset:352
	buffer_load_dword v238, off, s[0:3], 0 offset:356
	;; [unrolled: 1-line block ×6, first 2 shown]
	v_fmac_f32_e32 v144, v136, v198
	v_add_f32_e32 v143, v143, v144
	v_mul_f32_e32 v144, v137, v195
	v_fmac_f32_e32 v144, v138, v26
	v_add_f32_e32 v143, v143, v144
	s_waitcnt lgkmcnt(0)
	v_mul_f32_e32 v144, v139, v197
	v_fmac_f32_e32 v144, v140, v196
	v_add_f32_e32 v147, v143, v144
	ds_read_b128 v[143:146], v110 offset:656
	buffer_load_dword v243, off, s[0:3], 0 offset:376
	buffer_load_dword v244, off, s[0:3], 0 offset:380
	s_waitcnt vmcnt(40)
	v_mul_f32_e32 v148, v141, v204
	v_fmac_f32_e32 v148, v142, v203
	v_add_f32_e32 v151, v147, v148
	ds_read_b128 v[147:150], v110 offset:672
	buffer_load_dword v245, off, s[0:3], 0 offset:384
	buffer_load_dword v246, off, s[0:3], 0 offset:388
	;; [unrolled: 1-line block ×12, first 2 shown]
	v_mul_f32_e32 v3, v112, v3
	v_fma_f32 v3, v111, v17, -v3
	v_mul_f32_e32 v4, v114, v4
	v_add_f32_e32 v3, 0, v3
	v_fma_f32 v4, v113, v16, -v4
	v_add_f32_e32 v3, v3, v4
	v_mul_f32_e32 v4, v116, v5
	v_fma_f32 v4, v115, v15, -v4
	v_add_f32_e32 v3, v3, v4
	v_mul_f32_e32 v4, v118, v6
	;; [unrolled: 3-line block ×6, first 2 shown]
	v_fma_f32 v4, v125, v25, -v4
	s_waitcnt vmcnt(50) lgkmcnt(1)
	v_mul_f32_e32 v152, v143, v206
	v_add_f32_e32 v3, v3, v4
	v_mul_f32_e32 v4, v128, v11
	v_fmac_f32_e32 v152, v144, v205
	v_fma_f32 v4, v127, v24, -v4
	v_add_f32_e32 v151, v151, v152
	s_waitcnt vmcnt(48)
	v_mul_f32_e32 v152, v145, v208
	v_add_f32_e32 v3, v3, v4
	v_mul_f32_e32 v4, v130, v12
	v_fmac_f32_e32 v152, v146, v207
	v_fma_f32 v4, v129, v23, -v4
	v_add_f32_e32 v28, v151, v152
	s_waitcnt vmcnt(46) lgkmcnt(0)
	v_mul_f32_e32 v151, v147, v210
	v_add_f32_e32 v3, v3, v4
	v_mul_f32_e32 v4, v132, v13
	v_fmac_f32_e32 v151, v148, v209
	v_fma_f32 v4, v131, v22, -v4
	v_add_f32_e32 v28, v28, v151
	ds_read_b128 v[151:154], v110 offset:688
	v_add_f32_e32 v3, v3, v4
	v_mul_f32_e32 v4, v134, v14
	v_fma_f32 v4, v133, v199, -v4
	s_waitcnt vmcnt(44)
	v_mul_f32_e32 v155, v149, v212
	v_add_f32_e32 v3, v3, v4
	v_mul_f32_e32 v4, v136, v200
	v_fmac_f32_e32 v155, v150, v211
	v_fma_f32 v4, v135, v198, -v4
	v_add_f32_e32 v28, v28, v155
	ds_read_b128 v[155:158], v110 offset:704
	v_add_f32_e32 v3, v3, v4
	v_mul_f32_e32 v4, v138, v195
	s_waitcnt vmcnt(42) lgkmcnt(1)
	v_mul_f32_e32 v159, v151, v214
	v_fma_f32 v4, v137, v26, -v4
	v_fmac_f32_e32 v159, v152, v213
	v_add_f32_e32 v3, v3, v4
	v_mul_f32_e32 v4, v140, v197
	v_add_f32_e32 v28, v28, v159
	s_waitcnt vmcnt(40)
	v_mul_f32_e32 v159, v153, v216
	v_fma_f32 v4, v139, v196, -v4
	v_fmac_f32_e32 v159, v154, v215
	v_add_f32_e32 v3, v3, v4
	v_mul_f32_e32 v4, v142, v204
	v_add_f32_e32 v28, v28, v159
	s_waitcnt vmcnt(38) lgkmcnt(0)
	v_mul_f32_e32 v159, v155, v218
	v_fma_f32 v4, v141, v203, -v4
	v_fmac_f32_e32 v159, v156, v217
	v_add_f32_e32 v3, v3, v4
	v_mul_f32_e32 v4, v144, v206
	v_add_f32_e32 v28, v28, v159
	ds_read_b128 v[159:162], v110 offset:720
	v_fma_f32 v4, v143, v205, -v4
	v_add_f32_e32 v3, v3, v4
	v_mul_f32_e32 v4, v146, v208
	s_waitcnt vmcnt(36)
	v_mul_f32_e32 v163, v157, v220
	v_fma_f32 v4, v145, v207, -v4
	v_fmac_f32_e32 v163, v158, v219
	v_add_f32_e32 v3, v3, v4
	v_mul_f32_e32 v4, v148, v210
	v_add_f32_e32 v28, v28, v163
	ds_read_b128 v[163:166], v110 offset:736
	v_fma_f32 v4, v147, v209, -v4
	s_waitcnt vmcnt(34) lgkmcnt(1)
	v_mul_f32_e32 v167, v159, v222
	v_add_f32_e32 v3, v3, v4
	v_mul_f32_e32 v4, v150, v212
	v_fmac_f32_e32 v167, v160, v221
	v_fma_f32 v4, v149, v211, -v4
	v_add_f32_e32 v28, v28, v167
	s_waitcnt vmcnt(33)
	v_mul_f32_e32 v167, v161, v223
	v_add_f32_e32 v3, v3, v4
	v_mul_f32_e32 v4, v152, v214
	s_waitcnt vmcnt(30)
	v_fmac_f32_e32 v167, v162, v226
	v_fma_f32 v4, v151, v213, -v4
	v_add_f32_e32 v28, v28, v167
	s_waitcnt lgkmcnt(0)
	v_mul_f32_e32 v167, v163, v225
	v_add_f32_e32 v3, v3, v4
	v_mul_f32_e32 v4, v154, v216
	v_fmac_f32_e32 v167, v164, v224
	v_fma_f32 v4, v153, v215, -v4
	v_add_f32_e32 v28, v28, v167
	ds_read_b128 v[167:170], v110 offset:752
	v_add_f32_e32 v3, v3, v4
	v_mul_f32_e32 v4, v156, v218
	v_fma_f32 v4, v155, v217, -v4
	s_waitcnt vmcnt(28)
	v_mul_f32_e32 v171, v165, v228
	v_add_f32_e32 v3, v3, v4
	v_mul_f32_e32 v4, v158, v220
	v_fmac_f32_e32 v171, v166, v227
	v_fma_f32 v4, v157, v219, -v4
	v_add_f32_e32 v28, v28, v171
	ds_read_b128 v[171:174], v110 offset:768
	v_add_f32_e32 v3, v3, v4
	v_mul_f32_e32 v4, v160, v222
	s_waitcnt vmcnt(26) lgkmcnt(1)
	v_mul_f32_e32 v175, v167, v230
	v_fma_f32 v4, v159, v221, -v4
	v_fmac_f32_e32 v175, v168, v229
	v_add_f32_e32 v3, v3, v4
	v_mul_f32_e32 v4, v162, v223
	v_add_f32_e32 v28, v28, v175
	s_waitcnt vmcnt(25)
	v_mul_f32_e32 v175, v169, v231
	v_fma_f32 v4, v161, v226, -v4
	s_waitcnt vmcnt(22)
	v_fmac_f32_e32 v175, v170, v234
	v_add_f32_e32 v3, v3, v4
	v_mul_f32_e32 v4, v164, v225
	v_add_f32_e32 v28, v28, v175
	s_waitcnt lgkmcnt(0)
	v_mul_f32_e32 v175, v171, v233
	v_fma_f32 v4, v163, v224, -v4
	v_fmac_f32_e32 v175, v172, v232
	v_add_f32_e32 v3, v3, v4
	v_mul_f32_e32 v4, v166, v228
	v_add_f32_e32 v28, v28, v175
	ds_read_b128 v[175:178], v110 offset:784
	v_fma_f32 v4, v165, v227, -v4
	v_add_f32_e32 v3, v3, v4
	v_mul_f32_e32 v4, v168, v230
	s_waitcnt vmcnt(20)
	v_mul_f32_e32 v179, v173, v236
	v_fma_f32 v4, v167, v229, -v4
	v_fmac_f32_e32 v179, v174, v235
	v_add_f32_e32 v3, v3, v4
	v_mul_f32_e32 v4, v170, v231
	v_add_f32_e32 v28, v28, v179
	ds_read_b128 v[179:182], v110 offset:800
	v_fma_f32 v4, v169, v234, -v4
	s_waitcnt vmcnt(18) lgkmcnt(1)
	v_mul_f32_e32 v183, v175, v238
	v_add_f32_e32 v3, v3, v4
	v_mul_f32_e32 v4, v172, v233
	v_fmac_f32_e32 v183, v176, v237
	v_fma_f32 v4, v171, v232, -v4
	v_add_f32_e32 v28, v28, v183
	s_waitcnt vmcnt(17)
	v_mul_f32_e32 v183, v177, v239
	v_add_f32_e32 v3, v3, v4
	v_mul_f32_e32 v4, v174, v236
	s_waitcnt vmcnt(14)
	v_fmac_f32_e32 v183, v178, v242
	v_fma_f32 v4, v173, v235, -v4
	v_add_f32_e32 v28, v28, v183
	s_waitcnt lgkmcnt(0)
	v_mul_f32_e32 v183, v179, v241
	v_add_f32_e32 v3, v3, v4
	v_mul_f32_e32 v4, v176, v238
	v_fmac_f32_e32 v183, v180, v240
	v_fma_f32 v4, v175, v237, -v4
	v_add_f32_e32 v28, v28, v183
	ds_read_b128 v[183:186], v110 offset:816
	v_add_f32_e32 v3, v3, v4
	v_mul_f32_e32 v4, v178, v239
	v_fma_f32 v4, v177, v242, -v4
	v_add_f32_e32 v3, v3, v4
	v_mul_f32_e32 v4, v180, v241
	s_waitcnt vmcnt(12)
	v_mul_f32_e32 v187, v181, v244
	v_fma_f32 v4, v179, v240, -v4
	v_fmac_f32_e32 v187, v182, v243
	v_add_f32_e32 v3, v3, v4
	v_mul_f32_e32 v4, v182, v244
	v_add_f32_e32 v28, v28, v187
	ds_read_b128 v[187:190], v110 offset:832
	s_waitcnt vmcnt(10) lgkmcnt(1)
	v_mul_f32_e32 v191, v183, v246
	v_fma_f32 v4, v181, v243, -v4
	v_fmac_f32_e32 v191, v184, v245
	v_add_f32_e32 v3, v3, v4
	v_mul_f32_e32 v4, v184, v246
	v_add_f32_e32 v28, v28, v191
	s_waitcnt vmcnt(9)
	v_mul_f32_e32 v191, v185, v247
	v_fma_f32 v4, v183, v245, -v4
	s_waitcnt vmcnt(6)
	v_fmac_f32_e32 v191, v186, v250
	v_add_f32_e32 v3, v3, v4
	v_mul_f32_e32 v4, v186, v247
	v_add_f32_e32 v28, v28, v191
	ds_read_b128 v[191:194], v110 offset:848
	v_fma_f32 v4, v185, v250, -v4
	v_add_f32_e32 v3, v3, v4
	s_waitcnt lgkmcnt(1)
	v_mul_f32_e32 v4, v188, v249
	v_mul_f32_e32 v29, v187, v249
	v_fma_f32 v4, v187, v248, -v4
	v_fmac_f32_e32 v29, v188, v248
	v_add_f32_e32 v3, v3, v4
	s_waitcnt vmcnt(4)
	v_mul_f32_e32 v4, v190, v252
	v_add_f32_e32 v28, v28, v29
	v_mul_f32_e32 v29, v189, v252
	v_fma_f32 v4, v189, v251, -v4
	v_fmac_f32_e32 v29, v190, v251
	v_add_f32_e32 v3, v3, v4
	s_waitcnt vmcnt(3) lgkmcnt(0)
	v_mul_f32_e32 v4, v192, v253
	v_add_f32_e32 v28, v28, v29
	v_mul_f32_e32 v29, v191, v253
	s_waitcnt vmcnt(0)
	v_fma_f32 v4, v191, v27, -v4
	v_fmac_f32_e32 v29, v192, v27
	v_add_f32_e32 v3, v3, v4
	v_mul_f32_e32 v4, v194, v255
	v_add_f32_e32 v28, v28, v29
	v_mul_f32_e32 v29, v193, v255
	v_fma_f32 v4, v193, v254, -v4
	v_fmac_f32_e32 v29, v194, v254
	v_add_f32_e32 v3, v3, v4
	v_add_f32_e32 v28, v28, v29
	v_sub_f32_e32 v3, v201, v3
	v_sub_f32_e32 v4, v202, v28
	buffer_store_dword v3, off, s[0:3], 0 offset:88
	buffer_store_dword v4, off, s[0:3], 0 offset:92
	s_and_saveexec_b64 s[4:5], vcc
	s_cbranch_execz .LBB117_317
; %bb.316:
	buffer_load_dword v110, off, s[0:3], 0 offset:80
	buffer_load_dword v111, off, s[0:3], 0 offset:84
	v_mov_b32_e32 v3, 0
	buffer_store_dword v3, off, s[0:3], 0 offset:80
	buffer_store_dword v3, off, s[0:3], 0 offset:84
	s_waitcnt vmcnt(2)
	ds_write_b64 v109, v[110:111]
.LBB117_317:
	s_or_b64 exec, exec, s[4:5]
	s_waitcnt lgkmcnt(0)
	; wave barrier
	buffer_load_dword v119, off, s[0:3], 0 offset:92
	buffer_load_dword v118, off, s[0:3], 0 offset:100
	;; [unrolled: 1-line block ×48, first 2 shown]
	v_mov_b32_e32 v110, 0
	ds_read2_b64 v[125:128], v110 offset0:65 offset1:66
	ds_read2_b64 v[129:132], v110 offset0:67 offset1:68
	;; [unrolled: 1-line block ×6, first 2 shown]
	buffer_load_dword v217, off, s[0:3], 0 offset:272
	buffer_load_dword v218, off, s[0:3], 0 offset:276
	v_cmp_lt_u32_e32 vcc, 9, v0
	s_waitcnt vmcnt(49) lgkmcnt(5)
	v_mul_f32_e32 v149, v125, v119
	s_waitcnt vmcnt(48)
	v_mul_f32_e32 v150, v127, v118
	s_waitcnt vmcnt(47) lgkmcnt(4)
	v_mul_f32_e32 v151, v129, v117
	s_waitcnt vmcnt(46)
	v_mul_f32_e32 v152, v131, v116
	s_waitcnt vmcnt(45) lgkmcnt(3)
	v_mul_f32_e32 v153, v133, v115
	s_waitcnt vmcnt(44)
	v_mul_f32_e32 v154, v135, v114
	s_waitcnt vmcnt(43) lgkmcnt(2)
	v_mul_f32_e32 v155, v137, v113
	s_waitcnt vmcnt(42)
	v_mul_f32_e32 v156, v139, v120
	s_waitcnt vmcnt(41) lgkmcnt(1)
	v_mul_f32_e32 v157, v141, v121
	s_waitcnt vmcnt(40)
	v_mul_f32_e32 v158, v143, v122
	s_waitcnt vmcnt(39) lgkmcnt(0)
	v_mul_f32_e32 v159, v145, v123
	s_waitcnt vmcnt(38)
	v_mul_f32_e32 v160, v147, v124
	s_waitcnt vmcnt(37)
	v_fmac_f32_e32 v151, v130, v3
	s_waitcnt vmcnt(36)
	v_fmac_f32_e32 v150, v128, v4
	;; [unrolled: 2-line block ×3, first 2 shown]
	v_add_f32_e32 v149, 0, v149
	v_add_f32_e32 v149, v149, v150
	;; [unrolled: 1-line block ×3, first 2 shown]
	s_waitcnt vmcnt(31)
	v_fmac_f32_e32 v152, v132, v9
	v_fmac_f32_e32 v153, v134, v8
	v_add_f32_e32 v149, v149, v152
	v_fmac_f32_e32 v154, v136, v7
	v_add_f32_e32 v149, v149, v153
	;; [unrolled: 2-line block ×3, first 2 shown]
	s_waitcnt vmcnt(27)
	v_fmac_f32_e32 v156, v140, v13
	v_add_f32_e32 v149, v149, v155
	v_fmac_f32_e32 v157, v142, v12
	v_add_f32_e32 v149, v149, v156
	;; [unrolled: 2-line block ×4, first 2 shown]
	v_add_f32_e32 v153, v149, v159
	ds_read2_b64 v[149:152], v110 offset0:77 offset1:78
	buffer_load_dword v219, off, s[0:3], 0 offset:280
	buffer_load_dword v220, off, s[0:3], 0 offset:284
	;; [unrolled: 1-line block ×6, first 2 shown]
	s_waitcnt vmcnt(28)
	v_fmac_f32_e32 v160, v148, v18
	v_add_f32_e32 v157, v153, v160
	ds_read2_b64 v[153:156], v110 offset0:79 offset1:80
	buffer_load_dword v225, off, s[0:3], 0 offset:304
	buffer_load_dword v226, off, s[0:3], 0 offset:308
	;; [unrolled: 1-line block ×8, first 2 shown]
	s_waitcnt vmcnt(35) lgkmcnt(1)
	v_mul_f32_e32 v158, v149, v19
	buffer_load_dword v233, off, s[0:3], 0 offset:336
	buffer_load_dword v234, off, s[0:3], 0 offset:340
	v_fmac_f32_e32 v158, v150, v17
	v_add_f32_e32 v157, v157, v158
	s_waitcnt vmcnt(36)
	v_mul_f32_e32 v158, v151, v20
	v_fmac_f32_e32 v158, v152, v16
	v_add_f32_e32 v157, v157, v158
	s_waitcnt lgkmcnt(0)
	v_mul_f32_e32 v158, v153, v15
	v_fmac_f32_e32 v158, v154, v14
	v_add_f32_e32 v161, v157, v158
	ds_read2_b64 v[157:160], v110 offset0:81 offset1:82
	buffer_load_dword v235, off, s[0:3], 0 offset:344
	buffer_load_dword v236, off, s[0:3], 0 offset:348
	;; [unrolled: 1-line block ×6, first 2 shown]
	s_waitcnt vmcnt(38)
	v_mul_f32_e32 v162, v155, v22
	v_fmac_f32_e32 v162, v156, v21
	v_add_f32_e32 v165, v161, v162
	ds_read2_b64 v[161:164], v110 offset0:83 offset1:84
	buffer_load_dword v241, off, s[0:3], 0 offset:368
	buffer_load_dword v242, off, s[0:3], 0 offset:372
	;; [unrolled: 1-line block ×16, first 2 shown]
	s_waitcnt vmcnt(52) lgkmcnt(1)
	v_mul_f32_e32 v166, v157, v24
	v_fmac_f32_e32 v166, v158, v23
	v_add_f32_e32 v165, v165, v166
	s_waitcnt vmcnt(50)
	v_mul_f32_e32 v166, v159, v26
	v_fmac_f32_e32 v166, v160, v25
	v_add_f32_e32 v165, v165, v166
	s_waitcnt vmcnt(48) lgkmcnt(0)
	v_mul_f32_e32 v166, v161, v28
	v_fmac_f32_e32 v166, v162, v27
	v_add_f32_e32 v169, v165, v166
	ds_read2_b64 v[165:168], v110 offset0:85 offset1:86
	s_waitcnt vmcnt(46)
	v_mul_f32_e32 v32, v163, v30
	v_fmac_f32_e32 v32, v164, v29
	v_add_f32_e32 v32, v169, v32
	ds_read2_b64 v[169:172], v110 offset0:87 offset1:88
	s_waitcnt vmcnt(44) lgkmcnt(1)
	v_mul_f32_e32 v173, v165, v212
	v_fmac_f32_e32 v173, v166, v211
	v_add_f32_e32 v32, v32, v173
	s_waitcnt vmcnt(42)
	v_mul_f32_e32 v173, v167, v214
	v_fmac_f32_e32 v173, v168, v213
	v_add_f32_e32 v32, v32, v173
	s_waitcnt vmcnt(40) lgkmcnt(0)
	v_mul_f32_e32 v173, v169, v216
	v_fmac_f32_e32 v173, v170, v215
	v_add_f32_e32 v32, v32, v173
	ds_read2_b64 v[173:176], v110 offset0:89 offset1:90
	s_waitcnt vmcnt(38)
	v_mul_f32_e32 v177, v171, v218
	v_fmac_f32_e32 v177, v172, v217
	v_add_f32_e32 v32, v32, v177
	ds_read2_b64 v[177:180], v110 offset0:91 offset1:92
	s_waitcnt vmcnt(36) lgkmcnt(1)
	v_mul_f32_e32 v181, v173, v220
	v_fmac_f32_e32 v181, v174, v219
	v_add_f32_e32 v32, v32, v181
	s_waitcnt vmcnt(35)
	v_mul_f32_e32 v181, v175, v221
	s_waitcnt vmcnt(32)
	v_fmac_f32_e32 v181, v176, v224
	v_add_f32_e32 v32, v32, v181
	s_waitcnt lgkmcnt(0)
	v_mul_f32_e32 v181, v177, v223
	v_fmac_f32_e32 v181, v178, v222
	v_add_f32_e32 v32, v32, v181
	ds_read2_b64 v[181:184], v110 offset0:93 offset1:94
	s_waitcnt vmcnt(30)
	v_mul_f32_e32 v185, v179, v226
	v_fmac_f32_e32 v185, v180, v225
	v_add_f32_e32 v32, v32, v185
	ds_read2_b64 v[185:188], v110 offset0:95 offset1:96
	s_waitcnt vmcnt(28) lgkmcnt(1)
	v_mul_f32_e32 v189, v181, v228
	v_fmac_f32_e32 v189, v182, v227
	v_add_f32_e32 v32, v32, v189
	s_waitcnt vmcnt(27)
	v_mul_f32_e32 v189, v183, v229
	s_waitcnt vmcnt(24)
	v_fmac_f32_e32 v189, v184, v232
	v_add_f32_e32 v32, v32, v189
	s_waitcnt lgkmcnt(0)
	;; [unrolled: 19-line block ×4, first 2 shown]
	v_mul_f32_e32 v205, v201, v247
	v_fmac_f32_e32 v205, v202, v246
	v_add_f32_e32 v32, v32, v205
	ds_read2_b64 v[205:208], v110 offset0:105 offset1:106
	s_waitcnt vmcnt(6)
	v_mul_f32_e32 v209, v203, v250
	v_fmac_f32_e32 v209, v204, v249
	v_add_f32_e32 v32, v32, v209
	ds_read_b64 v[209:210], v110 offset:856
	s_waitcnt vmcnt(4) lgkmcnt(1)
	v_mul_f32_e32 v33, v205, v252
	v_fmac_f32_e32 v33, v206, v251
	v_add_f32_e32 v32, v32, v33
	s_waitcnt vmcnt(3)
	v_mul_f32_e32 v33, v207, v253
	s_waitcnt vmcnt(0)
	v_fmac_f32_e32 v33, v208, v31
	v_add_f32_e32 v32, v32, v33
	s_waitcnt lgkmcnt(0)
	v_mul_f32_e32 v33, v209, v255
	v_fmac_f32_e32 v33, v210, v254
	v_add_f32_e32 v32, v32, v33
	v_mul_f32_e32 v33, v126, v119
	v_fma_f32 v5, v125, v5, -v33
	v_mul_f32_e32 v33, v128, v118
	v_add_f32_e32 v5, 0, v5
	v_fma_f32 v4, v127, v4, -v33
	v_add_f32_e32 v4, v5, v4
	v_mul_f32_e32 v5, v130, v117
	v_fma_f32 v3, v129, v3, -v5
	v_add_f32_e32 v3, v4, v3
	v_mul_f32_e32 v4, v132, v116
	;; [unrolled: 3-line block ×41, first 2 shown]
	v_fma_f32 v4, v209, v254, -v4
	v_add_f32_e32 v3, v3, v4
	v_sub_f32_e32 v3, v111, v3
	v_sub_f32_e32 v4, v112, v32
	buffer_store_dword v3, off, s[0:3], 0 offset:80
	buffer_store_dword v4, off, s[0:3], 0 offset:84
	s_and_saveexec_b64 s[4:5], vcc
	s_cbranch_execz .LBB117_319
; %bb.318:
	buffer_load_dword v111, off, s[0:3], 0 offset:72
	buffer_load_dword v112, off, s[0:3], 0 offset:76
	s_waitcnt vmcnt(0)
	ds_write_b64 v109, v[111:112]
	buffer_store_dword v110, off, s[0:3], 0 offset:72
	buffer_store_dword v110, off, s[0:3], 0 offset:76
.LBB117_319:
	s_or_b64 exec, exec, s[4:5]
	s_waitcnt lgkmcnt(0)
	; wave barrier
	buffer_load_dword v119, off, s[0:3], 0 offset:84
	buffer_load_dword v118, off, s[0:3], 0 offset:92
	;; [unrolled: 1-line block ×32, first 2 shown]
	ds_read_b128 v[125:128], v110 offset:512
	ds_read_b128 v[129:132], v110 offset:528
	;; [unrolled: 1-line block ×4, first 2 shown]
	buffer_load_dword v21, off, s[0:3], 0 offset:200
	buffer_load_dword v22, off, s[0:3], 0 offset:204
	ds_read_b128 v[141:144], v110 offset:576
	ds_read_b128 v[145:148], v110 offset:592
	;; [unrolled: 1-line block ×3, first 2 shown]
	buffer_load_dword v23, off, s[0:3], 0 offset:208
	buffer_load_dword v24, off, s[0:3], 0 offset:212
	;; [unrolled: 1-line block ×16, first 2 shown]
	v_cmp_lt_u32_e32 vcc, 8, v0
	s_waitcnt vmcnt(49) lgkmcnt(6)
	v_mul_f32_e32 v153, v125, v119
	s_waitcnt vmcnt(48)
	v_mul_f32_e32 v154, v127, v118
	s_waitcnt vmcnt(47) lgkmcnt(5)
	v_mul_f32_e32 v155, v129, v117
	s_waitcnt vmcnt(46)
	v_mul_f32_e32 v156, v131, v116
	;; [unrolled: 4-line block ×6, first 2 shown]
	s_waitcnt vmcnt(37)
	v_fmac_f32_e32 v155, v130, v3
	s_waitcnt vmcnt(36)
	v_fmac_f32_e32 v154, v128, v4
	;; [unrolled: 2-line block ×3, first 2 shown]
	v_add_f32_e32 v153, 0, v153
	v_add_f32_e32 v153, v153, v154
	;; [unrolled: 1-line block ×3, first 2 shown]
	s_waitcnt vmcnt(31)
	v_fmac_f32_e32 v156, v132, v9
	v_fmac_f32_e32 v157, v134, v8
	v_add_f32_e32 v153, v153, v156
	v_fmac_f32_e32 v158, v136, v7
	v_add_f32_e32 v153, v153, v157
	v_fmac_f32_e32 v159, v138, v6
	v_add_f32_e32 v153, v153, v158
	s_waitcnt vmcnt(27)
	v_fmac_f32_e32 v160, v140, v13
	v_add_f32_e32 v153, v153, v159
	v_fmac_f32_e32 v161, v142, v12
	v_add_f32_e32 v153, v153, v160
	;; [unrolled: 2-line block ×4, first 2 shown]
	s_waitcnt vmcnt(23)
	v_fmac_f32_e32 v164, v148, v17
	v_add_f32_e32 v153, v153, v163
	v_add_f32_e32 v157, v153, v164
	ds_read_b128 v[153:156], v110 offset:624
	buffer_load_dword v217, off, s[0:3], 0 offset:272
	buffer_load_dword v218, off, s[0:3], 0 offset:276
	;; [unrolled: 1-line block ×14, first 2 shown]
	s_waitcnt vmcnt(36) lgkmcnt(1)
	v_mul_f32_e32 v158, v149, v18
	buffer_load_dword v231, off, s[0:3], 0 offset:328
	buffer_load_dword v232, off, s[0:3], 0 offset:332
	v_fmac_f32_e32 v158, v150, v16
	v_add_f32_e32 v157, v157, v158
	s_waitcnt vmcnt(37)
	v_mul_f32_e32 v158, v151, v19
	v_fmac_f32_e32 v158, v152, v15
	v_add_f32_e32 v157, v157, v158
	s_waitcnt vmcnt(36) lgkmcnt(0)
	v_mul_f32_e32 v158, v153, v20
	v_fmac_f32_e32 v158, v154, v14
	v_add_f32_e32 v161, v157, v158
	ds_read_b128 v[157:160], v110 offset:640
	buffer_load_dword v233, off, s[0:3], 0 offset:336
	buffer_load_dword v234, off, s[0:3], 0 offset:340
	;; [unrolled: 1-line block ×6, first 2 shown]
	s_waitcnt vmcnt(38)
	v_mul_f32_e32 v162, v155, v22
	v_fmac_f32_e32 v162, v156, v21
	v_add_f32_e32 v165, v161, v162
	ds_read_b128 v[161:164], v110 offset:656
	buffer_load_dword v239, off, s[0:3], 0 offset:360
	buffer_load_dword v240, off, s[0:3], 0 offset:364
	;; [unrolled: 1-line block ×10, first 2 shown]
	s_waitcnt vmcnt(46) lgkmcnt(1)
	v_mul_f32_e32 v166, v157, v24
	v_fmac_f32_e32 v166, v158, v23
	v_add_f32_e32 v165, v165, v166
	s_waitcnt vmcnt(44)
	v_mul_f32_e32 v166, v159, v26
	v_fmac_f32_e32 v166, v160, v25
	v_add_f32_e32 v165, v165, v166
	s_waitcnt vmcnt(42) lgkmcnt(0)
	v_mul_f32_e32 v166, v161, v28
	buffer_load_dword v249, off, s[0:3], 0 offset:400
	buffer_load_dword v250, off, s[0:3], 0 offset:404
	buffer_load_dword v251, off, s[0:3], 0 offset:412
	buffer_load_dword v252, off, s[0:3], 0 offset:416
	buffer_load_dword v253, off, s[0:3], 0 offset:420
	buffer_load_dword v254, off, s[0:3], 0 offset:408
	v_fmac_f32_e32 v166, v162, v27
	s_waitcnt vmcnt(46)
	v_mul_f32_e32 v170, v163, v30
	v_add_f32_e32 v169, v165, v166
	v_fmac_f32_e32 v170, v164, v29
	ds_read_b128 v[165:168], v110 offset:672
	v_add_f32_e32 v173, v169, v170
	ds_read_b128 v[169:172], v110 offset:688
	buffer_load_dword v255, off, s[0:3], 0 offset:424
	buffer_load_dword v35, off, s[0:3], 0 offset:428
	s_waitcnt vmcnt(46) lgkmcnt(1)
	v_mul_f32_e32 v36, v165, v32
	v_fmac_f32_e32 v36, v166, v31
	v_add_f32_e32 v36, v173, v36
	s_waitcnt vmcnt(44)
	v_mul_f32_e32 v173, v167, v34
	v_fmac_f32_e32 v173, v168, v33
	v_add_f32_e32 v36, v36, v173
	s_waitcnt vmcnt(42) lgkmcnt(0)
	v_mul_f32_e32 v173, v169, v214
	v_fmac_f32_e32 v173, v170, v213
	v_add_f32_e32 v36, v36, v173
	ds_read_b128 v[173:176], v110 offset:704
	s_waitcnt vmcnt(40)
	v_mul_f32_e32 v177, v171, v216
	v_fmac_f32_e32 v177, v172, v215
	v_add_f32_e32 v36, v36, v177
	ds_read_b128 v[177:180], v110 offset:720
	s_waitcnt vmcnt(38) lgkmcnt(1)
	v_mul_f32_e32 v181, v173, v218
	v_fmac_f32_e32 v181, v174, v217
	v_add_f32_e32 v36, v36, v181
	s_waitcnt vmcnt(37)
	v_mul_f32_e32 v181, v175, v219
	s_waitcnt vmcnt(34)
	v_fmac_f32_e32 v181, v176, v222
	v_add_f32_e32 v36, v36, v181
	s_waitcnt lgkmcnt(0)
	v_mul_f32_e32 v181, v177, v221
	v_fmac_f32_e32 v181, v178, v220
	v_add_f32_e32 v36, v36, v181
	ds_read_b128 v[181:184], v110 offset:736
	s_waitcnt vmcnt(32)
	v_mul_f32_e32 v185, v179, v224
	v_fmac_f32_e32 v185, v180, v223
	v_add_f32_e32 v36, v36, v185
	ds_read_b128 v[185:188], v110 offset:752
	s_waitcnt vmcnt(30) lgkmcnt(1)
	v_mul_f32_e32 v189, v181, v226
	v_fmac_f32_e32 v189, v182, v225
	v_add_f32_e32 v36, v36, v189
	s_waitcnt vmcnt(29)
	v_mul_f32_e32 v189, v183, v227
	s_waitcnt vmcnt(26)
	v_fmac_f32_e32 v189, v184, v230
	v_add_f32_e32 v36, v36, v189
	s_waitcnt lgkmcnt(0)
	;; [unrolled: 19-line block ×5, first 2 shown]
	v_mul_f32_e32 v110, v209, v253
	v_fmac_f32_e32 v110, v210, v252
	v_add_f32_e32 v36, v36, v110
	s_waitcnt vmcnt(0)
	v_mul_f32_e32 v110, v211, v35
	v_fmac_f32_e32 v110, v212, v255
	v_add_f32_e32 v36, v36, v110
	v_mul_f32_e32 v110, v126, v119
	v_fma_f32 v5, v125, v5, -v110
	v_mul_f32_e32 v110, v128, v118
	v_add_f32_e32 v5, 0, v5
	v_fma_f32 v4, v127, v4, -v110
	v_add_f32_e32 v4, v5, v4
	v_mul_f32_e32 v5, v130, v117
	v_fma_f32 v3, v129, v3, -v5
	v_add_f32_e32 v3, v4, v3
	v_mul_f32_e32 v4, v132, v116
	;; [unrolled: 3-line block ×42, first 2 shown]
	v_fma_f32 v4, v211, v255, -v4
	v_add_f32_e32 v3, v3, v4
	v_sub_f32_e32 v3, v111, v3
	v_sub_f32_e32 v4, v112, v36
	buffer_store_dword v3, off, s[0:3], 0 offset:72
	buffer_store_dword v4, off, s[0:3], 0 offset:76
	s_and_saveexec_b64 s[4:5], vcc
	s_cbranch_execz .LBB117_321
; %bb.320:
	buffer_load_dword v110, off, s[0:3], 0 offset:64
	buffer_load_dword v111, off, s[0:3], 0 offset:68
	v_mov_b32_e32 v3, 0
	buffer_store_dword v3, off, s[0:3], 0 offset:64
	buffer_store_dword v3, off, s[0:3], 0 offset:68
	s_waitcnt vmcnt(2)
	ds_write_b64 v109, v[110:111]
.LBB117_321:
	s_or_b64 exec, exec, s[4:5]
	s_waitcnt lgkmcnt(0)
	; wave barrier
	buffer_load_dword v3, off, s[0:3], 0 offset:76
	buffer_load_dword v4, off, s[0:3], 0 offset:84
	;; [unrolled: 1-line block ×48, first 2 shown]
	v_mov_b32_e32 v110, 0
	ds_read2_b64 v[113:116], v110 offset0:63 offset1:64
	ds_read2_b64 v[117:120], v110 offset0:65 offset1:66
	;; [unrolled: 1-line block ×7, first 2 shown]
	v_cmp_lt_u32_e32 vcc, 7, v0
	s_waitcnt vmcnt(47) lgkmcnt(6)
	v_mul_f32_e32 v141, v113, v3
	s_waitcnt vmcnt(46)
	v_mul_f32_e32 v142, v115, v4
	s_waitcnt vmcnt(45) lgkmcnt(5)
	v_mul_f32_e32 v143, v117, v5
	s_waitcnt vmcnt(44)
	v_mul_f32_e32 v144, v119, v6
	;; [unrolled: 4-line block ×6, first 2 shown]
	s_waitcnt vmcnt(35)
	v_fmac_f32_e32 v143, v118, v15
	s_waitcnt vmcnt(34)
	v_fmac_f32_e32 v142, v116, v16
	;; [unrolled: 2-line block ×3, first 2 shown]
	v_add_f32_e32 v141, 0, v141
	v_add_f32_e32 v141, v141, v142
	;; [unrolled: 1-line block ×3, first 2 shown]
	s_waitcnt vmcnt(29)
	v_fmac_f32_e32 v144, v120, v21
	v_fmac_f32_e32 v145, v122, v20
	v_add_f32_e32 v141, v141, v144
	v_fmac_f32_e32 v146, v124, v19
	v_add_f32_e32 v141, v141, v145
	;; [unrolled: 2-line block ×3, first 2 shown]
	s_waitcnt vmcnt(25)
	v_fmac_f32_e32 v148, v128, v25
	v_add_f32_e32 v141, v141, v147
	v_fmac_f32_e32 v149, v130, v24
	v_add_f32_e32 v141, v141, v148
	;; [unrolled: 2-line block ×4, first 2 shown]
	s_waitcnt vmcnt(21)
	v_fmac_f32_e32 v152, v136, v29
	v_add_f32_e32 v141, v141, v151
	v_add_f32_e32 v145, v141, v152
	ds_read2_b64 v[141:144], v110 offset0:77 offset1:78
	buffer_load_dword v215, off, s[0:3], 0 offset:256
	buffer_load_dword v216, off, s[0:3], 0 offset:260
	;; [unrolled: 1-line block ×10, first 2 shown]
	s_waitcnt vmcnt(30) lgkmcnt(1)
	v_mul_f32_e32 v146, v137, v30
	v_fmac_f32_e32 v146, v138, v28
	buffer_load_dword v225, off, s[0:3], 0 offset:296
	buffer_load_dword v226, off, s[0:3], 0 offset:300
	;; [unrolled: 1-line block ×6, first 2 shown]
	v_add_f32_e32 v145, v145, v146
	s_waitcnt vmcnt(35)
	v_mul_f32_e32 v146, v139, v31
	v_fmac_f32_e32 v146, v140, v27
	v_add_f32_e32 v145, v145, v146
	s_waitcnt vmcnt(34) lgkmcnt(0)
	v_mul_f32_e32 v146, v141, v32
	v_fmac_f32_e32 v146, v142, v26
	v_add_f32_e32 v149, v145, v146
	ds_read2_b64 v[145:148], v110 offset0:79 offset1:80
	buffer_load_dword v231, off, s[0:3], 0 offset:320
	buffer_load_dword v232, off, s[0:3], 0 offset:324
	s_waitcnt vmcnt(32)
	v_mul_f32_e32 v150, v143, v34
	v_fmac_f32_e32 v150, v144, v33
	v_add_f32_e32 v153, v149, v150
	ds_read2_b64 v[149:152], v110 offset0:81 offset1:82
	buffer_load_dword v233, off, s[0:3], 0 offset:328
	buffer_load_dword v234, off, s[0:3], 0 offset:332
	;; [unrolled: 1-line block ×14, first 2 shown]
	s_waitcnt vmcnt(44) lgkmcnt(1)
	v_mul_f32_e32 v154, v145, v36
	v_fmac_f32_e32 v154, v146, v35
	buffer_load_dword v247, off, s[0:3], 0 offset:384
	buffer_load_dword v248, off, s[0:3], 0 offset:388
	v_add_f32_e32 v153, v153, v154
	s_waitcnt vmcnt(44)
	v_mul_f32_e32 v154, v147, v204
	v_fmac_f32_e32 v154, v148, v203
	v_add_f32_e32 v153, v153, v154
	s_waitcnt vmcnt(42) lgkmcnt(0)
	v_mul_f32_e32 v154, v149, v206
	v_fmac_f32_e32 v154, v150, v205
	v_mul_f32_e32 v3, v114, v3
	v_add_f32_e32 v157, v153, v154
	ds_read2_b64 v[153:156], v110 offset0:83 offset1:84
	buffer_load_dword v249, off, s[0:3], 0 offset:392
	buffer_load_dword v250, off, s[0:3], 0 offset:396
	;; [unrolled: 1-line block ×6, first 2 shown]
	v_fma_f32 v3, v113, v17, -v3
	v_mul_f32_e32 v4, v116, v4
	v_add_f32_e32 v3, 0, v3
	v_fma_f32 v4, v115, v16, -v4
	v_add_f32_e32 v3, v3, v4
	v_mul_f32_e32 v4, v118, v5
	s_waitcnt vmcnt(46)
	v_mul_f32_e32 v158, v151, v208
	v_fma_f32 v4, v117, v15, -v4
	v_fmac_f32_e32 v158, v152, v207
	v_add_f32_e32 v3, v3, v4
	v_mul_f32_e32 v4, v120, v6
	v_add_f32_e32 v161, v157, v158
	ds_read2_b64 v[157:160], v110 offset0:85 offset1:86
	buffer_load_dword v255, off, s[0:3], 0 offset:420
	buffer_load_dword v37, off, s[0:3], 0 offset:424
	;; [unrolled: 1-line block ×4, first 2 shown]
	v_fma_f32 v4, v119, v21, -v4
	v_add_f32_e32 v3, v3, v4
	v_mul_f32_e32 v4, v122, v7
	v_fma_f32 v4, v121, v20, -v4
	v_add_f32_e32 v3, v3, v4
	v_mul_f32_e32 v4, v124, v8
	;; [unrolled: 3-line block ×8, first 2 shown]
	v_fma_f32 v4, v135, v29, -v4
	s_waitcnt vmcnt(48) lgkmcnt(1)
	v_mul_f32_e32 v162, v153, v210
	v_add_f32_e32 v3, v3, v4
	v_mul_f32_e32 v4, v138, v30
	v_fmac_f32_e32 v162, v154, v209
	v_fma_f32 v4, v137, v28, -v4
	v_add_f32_e32 v40, v161, v162
	s_waitcnt vmcnt(46)
	v_mul_f32_e32 v161, v155, v212
	v_add_f32_e32 v3, v3, v4
	v_mul_f32_e32 v4, v140, v31
	v_fmac_f32_e32 v161, v156, v211
	v_fma_f32 v4, v139, v27, -v4
	v_add_f32_e32 v40, v40, v161
	s_waitcnt vmcnt(44) lgkmcnt(0)
	v_mul_f32_e32 v161, v157, v214
	v_add_f32_e32 v3, v3, v4
	v_mul_f32_e32 v4, v142, v32
	v_fmac_f32_e32 v161, v158, v213
	v_fma_f32 v4, v141, v26, -v4
	v_add_f32_e32 v40, v40, v161
	ds_read2_b64 v[161:164], v110 offset0:87 offset1:88
	v_add_f32_e32 v3, v3, v4
	v_mul_f32_e32 v4, v144, v34
	v_fma_f32 v4, v143, v33, -v4
	s_waitcnt vmcnt(42)
	v_mul_f32_e32 v165, v159, v216
	v_add_f32_e32 v3, v3, v4
	v_mul_f32_e32 v4, v146, v36
	v_fmac_f32_e32 v165, v160, v215
	v_fma_f32 v4, v145, v35, -v4
	v_add_f32_e32 v40, v40, v165
	ds_read2_b64 v[165:168], v110 offset0:89 offset1:90
	v_add_f32_e32 v3, v3, v4
	v_mul_f32_e32 v4, v148, v204
	s_waitcnt vmcnt(40) lgkmcnt(1)
	v_mul_f32_e32 v169, v161, v218
	v_fma_f32 v4, v147, v203, -v4
	v_fmac_f32_e32 v169, v162, v217
	v_add_f32_e32 v3, v3, v4
	v_mul_f32_e32 v4, v150, v206
	v_add_f32_e32 v40, v40, v169
	s_waitcnt vmcnt(39)
	v_mul_f32_e32 v169, v163, v219
	v_fma_f32 v4, v149, v205, -v4
	s_waitcnt vmcnt(36)
	v_fmac_f32_e32 v169, v164, v222
	v_add_f32_e32 v3, v3, v4
	v_mul_f32_e32 v4, v152, v208
	v_add_f32_e32 v40, v40, v169
	s_waitcnt lgkmcnt(0)
	v_mul_f32_e32 v169, v165, v221
	v_fma_f32 v4, v151, v207, -v4
	v_fmac_f32_e32 v169, v166, v220
	v_add_f32_e32 v3, v3, v4
	v_mul_f32_e32 v4, v154, v210
	v_add_f32_e32 v40, v40, v169
	ds_read2_b64 v[169:172], v110 offset0:91 offset1:92
	v_fma_f32 v4, v153, v209, -v4
	v_add_f32_e32 v3, v3, v4
	v_mul_f32_e32 v4, v156, v212
	s_waitcnt vmcnt(34)
	v_mul_f32_e32 v173, v167, v224
	v_fma_f32 v4, v155, v211, -v4
	v_fmac_f32_e32 v173, v168, v223
	v_add_f32_e32 v3, v3, v4
	v_mul_f32_e32 v4, v158, v214
	v_add_f32_e32 v40, v40, v173
	ds_read2_b64 v[173:176], v110 offset0:93 offset1:94
	v_fma_f32 v4, v157, v213, -v4
	s_waitcnt vmcnt(32) lgkmcnt(1)
	v_mul_f32_e32 v177, v169, v226
	v_add_f32_e32 v3, v3, v4
	v_mul_f32_e32 v4, v160, v216
	v_fmac_f32_e32 v177, v170, v225
	v_fma_f32 v4, v159, v215, -v4
	v_add_f32_e32 v40, v40, v177
	s_waitcnt vmcnt(31)
	v_mul_f32_e32 v177, v171, v227
	v_add_f32_e32 v3, v3, v4
	v_mul_f32_e32 v4, v162, v218
	s_waitcnt vmcnt(28)
	v_fmac_f32_e32 v177, v172, v230
	v_fma_f32 v4, v161, v217, -v4
	v_add_f32_e32 v40, v40, v177
	s_waitcnt lgkmcnt(0)
	v_mul_f32_e32 v177, v173, v229
	v_add_f32_e32 v3, v3, v4
	v_mul_f32_e32 v4, v164, v219
	v_fmac_f32_e32 v177, v174, v228
	v_fma_f32 v4, v163, v222, -v4
	v_add_f32_e32 v40, v40, v177
	ds_read2_b64 v[177:180], v110 offset0:95 offset1:96
	v_add_f32_e32 v3, v3, v4
	v_mul_f32_e32 v4, v166, v221
	v_fma_f32 v4, v165, v220, -v4
	s_waitcnt vmcnt(26)
	v_mul_f32_e32 v181, v175, v232
	v_add_f32_e32 v3, v3, v4
	v_mul_f32_e32 v4, v168, v224
	v_fmac_f32_e32 v181, v176, v231
	v_fma_f32 v4, v167, v223, -v4
	v_add_f32_e32 v40, v40, v181
	ds_read2_b64 v[181:184], v110 offset0:97 offset1:98
	v_add_f32_e32 v3, v3, v4
	v_mul_f32_e32 v4, v170, v226
	s_waitcnt vmcnt(24) lgkmcnt(1)
	v_mul_f32_e32 v185, v177, v234
	v_fma_f32 v4, v169, v225, -v4
	v_fmac_f32_e32 v185, v178, v233
	v_add_f32_e32 v3, v3, v4
	v_mul_f32_e32 v4, v172, v227
	v_add_f32_e32 v40, v40, v185
	s_waitcnt vmcnt(23)
	v_mul_f32_e32 v185, v179, v235
	v_fma_f32 v4, v171, v230, -v4
	s_waitcnt vmcnt(20)
	v_fmac_f32_e32 v185, v180, v238
	v_add_f32_e32 v3, v3, v4
	v_mul_f32_e32 v4, v174, v229
	v_add_f32_e32 v40, v40, v185
	s_waitcnt lgkmcnt(0)
	v_mul_f32_e32 v185, v181, v237
	v_fma_f32 v4, v173, v228, -v4
	v_fmac_f32_e32 v185, v182, v236
	v_add_f32_e32 v3, v3, v4
	v_mul_f32_e32 v4, v176, v232
	v_add_f32_e32 v40, v40, v185
	ds_read2_b64 v[185:188], v110 offset0:99 offset1:100
	v_fma_f32 v4, v175, v231, -v4
	v_add_f32_e32 v3, v3, v4
	v_mul_f32_e32 v4, v178, v234
	s_waitcnt vmcnt(18)
	v_mul_f32_e32 v189, v183, v240
	v_fma_f32 v4, v177, v233, -v4
	v_fmac_f32_e32 v189, v184, v239
	v_add_f32_e32 v3, v3, v4
	v_mul_f32_e32 v4, v180, v235
	v_add_f32_e32 v40, v40, v189
	ds_read2_b64 v[189:192], v110 offset0:101 offset1:102
	v_fma_f32 v4, v179, v238, -v4
	s_waitcnt vmcnt(16) lgkmcnt(1)
	v_mul_f32_e32 v193, v185, v242
	v_add_f32_e32 v3, v3, v4
	v_mul_f32_e32 v4, v182, v237
	v_fmac_f32_e32 v193, v186, v241
	v_fma_f32 v4, v181, v236, -v4
	v_add_f32_e32 v40, v40, v193
	s_waitcnt vmcnt(15)
	v_mul_f32_e32 v193, v187, v243
	v_add_f32_e32 v3, v3, v4
	v_mul_f32_e32 v4, v184, v240
	s_waitcnt vmcnt(12)
	v_fmac_f32_e32 v193, v188, v246
	v_fma_f32 v4, v183, v239, -v4
	v_add_f32_e32 v40, v40, v193
	s_waitcnt lgkmcnt(0)
	v_mul_f32_e32 v193, v189, v245
	v_add_f32_e32 v3, v3, v4
	v_mul_f32_e32 v4, v186, v242
	v_fmac_f32_e32 v193, v190, v244
	v_fma_f32 v4, v185, v241, -v4
	v_add_f32_e32 v40, v40, v193
	ds_read2_b64 v[193:196], v110 offset0:103 offset1:104
	v_add_f32_e32 v3, v3, v4
	v_mul_f32_e32 v4, v188, v243
	v_fma_f32 v4, v187, v246, -v4
	v_add_f32_e32 v3, v3, v4
	v_mul_f32_e32 v4, v190, v245
	s_waitcnt vmcnt(10)
	v_mul_f32_e32 v197, v191, v248
	v_fma_f32 v4, v189, v244, -v4
	v_fmac_f32_e32 v197, v192, v247
	v_add_f32_e32 v3, v3, v4
	v_mul_f32_e32 v4, v192, v248
	v_add_f32_e32 v40, v40, v197
	ds_read2_b64 v[197:200], v110 offset0:105 offset1:106
	s_waitcnt vmcnt(8) lgkmcnt(1)
	v_mul_f32_e32 v201, v193, v250
	v_fma_f32 v4, v191, v247, -v4
	v_fmac_f32_e32 v201, v194, v249
	v_add_f32_e32 v3, v3, v4
	v_mul_f32_e32 v4, v194, v250
	v_add_f32_e32 v40, v40, v201
	s_waitcnt vmcnt(7)
	v_mul_f32_e32 v201, v195, v251
	v_fma_f32 v4, v193, v249, -v4
	s_waitcnt vmcnt(4)
	v_fmac_f32_e32 v201, v196, v254
	v_add_f32_e32 v3, v3, v4
	v_mul_f32_e32 v4, v196, v251
	v_add_f32_e32 v40, v40, v201
	ds_read_b64 v[201:202], v110 offset:856
	v_fma_f32 v4, v195, v254, -v4
	v_add_f32_e32 v3, v3, v4
	s_waitcnt lgkmcnt(1)
	v_mul_f32_e32 v4, v198, v253
	v_mul_f32_e32 v41, v197, v253
	v_fma_f32 v4, v197, v252, -v4
	v_fmac_f32_e32 v41, v198, v252
	v_add_f32_e32 v3, v3, v4
	s_waitcnt vmcnt(3)
	v_mul_f32_e32 v4, v200, v255
	v_add_f32_e32 v40, v40, v41
	v_mul_f32_e32 v41, v199, v255
	s_waitcnt vmcnt(0)
	v_fma_f32 v4, v199, v39, -v4
	v_fmac_f32_e32 v41, v200, v39
	v_add_f32_e32 v3, v3, v4
	s_waitcnt lgkmcnt(0)
	v_mul_f32_e32 v4, v202, v38
	v_add_f32_e32 v40, v40, v41
	v_mul_f32_e32 v41, v201, v38
	v_fma_f32 v4, v201, v37, -v4
	v_fmac_f32_e32 v41, v202, v37
	v_add_f32_e32 v3, v3, v4
	v_add_f32_e32 v40, v40, v41
	v_sub_f32_e32 v3, v111, v3
	v_sub_f32_e32 v4, v112, v40
	buffer_store_dword v3, off, s[0:3], 0 offset:64
	buffer_store_dword v4, off, s[0:3], 0 offset:68
	s_and_saveexec_b64 s[4:5], vcc
	s_cbranch_execz .LBB117_323
; %bb.322:
	buffer_load_dword v111, off, s[0:3], 0 offset:56
	buffer_load_dword v112, off, s[0:3], 0 offset:60
	s_waitcnt vmcnt(0)
	ds_write_b64 v109, v[111:112]
	buffer_store_dword v110, off, s[0:3], 0 offset:56
	buffer_store_dword v110, off, s[0:3], 0 offset:60
.LBB117_323:
	s_or_b64 exec, exec, s[4:5]
	s_waitcnt lgkmcnt(0)
	; wave barrier
	buffer_load_dword v119, off, s[0:3], 0 offset:68
	buffer_load_dword v118, off, s[0:3], 0 offset:76
	;; [unrolled: 1-line block ×33, first 2 shown]
	ds_read_b128 v[120:123], v110 offset:496
	ds_read_b128 v[124:127], v110 offset:512
	;; [unrolled: 1-line block ×6, first 2 shown]
	buffer_load_dword v27, off, s[0:3], 0 offset:184
	buffer_load_dword v28, off, s[0:3], 0 offset:196
	;; [unrolled: 1-line block ×7, first 2 shown]
	ds_read_b128 v[144:147], v110 offset:592
	ds_read_b128 v[148:151], v110 offset:608
	buffer_load_dword v34, off, s[0:3], 0 offset:216
	buffer_load_dword v35, off, s[0:3], 0 offset:220
	;; [unrolled: 1-line block ×18, first 2 shown]
	v_cmp_lt_u32_e32 vcc, 6, v0
	s_waitcnt vmcnt(57) lgkmcnt(7)
	v_mul_f32_e32 v42, v120, v119
	s_waitcnt vmcnt(56)
	v_mul_f32_e32 v152, v122, v118
	s_waitcnt vmcnt(55) lgkmcnt(6)
	v_mul_f32_e32 v153, v124, v117
	s_waitcnt vmcnt(54)
	v_mul_f32_e32 v154, v126, v116
	;; [unrolled: 4-line block ×6, first 2 shown]
	s_waitcnt vmcnt(45)
	v_fmac_f32_e32 v153, v125, v8
	s_waitcnt vmcnt(44)
	v_fmac_f32_e32 v152, v123, v9
	;; [unrolled: 2-line block ×3, first 2 shown]
	v_add_f32_e32 v42, 0, v42
	v_add_f32_e32 v42, v42, v152
	;; [unrolled: 1-line block ×3, first 2 shown]
	s_waitcnt vmcnt(39)
	v_fmac_f32_e32 v154, v127, v14
	v_fmac_f32_e32 v155, v129, v13
	v_add_f32_e32 v42, v42, v154
	v_fmac_f32_e32 v156, v131, v12
	v_add_f32_e32 v42, v42, v155
	;; [unrolled: 2-line block ×3, first 2 shown]
	s_waitcnt vmcnt(35)
	v_fmac_f32_e32 v158, v135, v18
	v_add_f32_e32 v42, v42, v157
	v_fmac_f32_e32 v159, v137, v17
	v_add_f32_e32 v42, v42, v158
	;; [unrolled: 2-line block ×4, first 2 shown]
	s_waitcnt vmcnt(31)
	v_fmac_f32_e32 v162, v143, v22
	v_add_f32_e32 v42, v42, v161
	s_waitcnt vmcnt(30) lgkmcnt(1)
	v_mul_f32_e32 v152, v144, v23
	v_add_f32_e32 v42, v42, v162
	v_fmac_f32_e32 v152, v145, v21
	v_add_f32_e32 v42, v42, v152
	s_waitcnt vmcnt(29)
	v_mul_f32_e32 v152, v146, v24
	v_fmac_f32_e32 v152, v147, v20
	v_add_f32_e32 v42, v42, v152
	s_waitcnt vmcnt(28) lgkmcnt(0)
	v_mul_f32_e32 v152, v148, v25
	v_fmac_f32_e32 v152, v149, v19
	v_add_f32_e32 v42, v42, v152
	ds_read_b128 v[152:155], v110 offset:624
	buffer_load_dword v222, off, s[0:3], 0 offset:288
	buffer_load_dword v223, off, s[0:3], 0 offset:292
	buffer_load_dword v224, off, s[0:3], 0 offset:300
	buffer_load_dword v225, off, s[0:3], 0 offset:304
	buffer_load_dword v226, off, s[0:3], 0 offset:308
	buffer_load_dword v227, off, s[0:3], 0 offset:296
	s_waitcnt vmcnt(33)
	v_mul_f32_e32 v156, v150, v26
	s_waitcnt vmcnt(30)
	v_fmac_f32_e32 v156, v151, v27
	v_add_f32_e32 v42, v42, v156
	ds_read_b128 v[156:159], v110 offset:640
	buffer_load_dword v228, off, s[0:3], 0 offset:312
	buffer_load_dword v229, off, s[0:3], 0 offset:316
	;; [unrolled: 1-line block ×10, first 2 shown]
	s_waitcnt vmcnt(39) lgkmcnt(1)
	v_mul_f32_e32 v160, v152, v28
	buffer_load_dword v238, off, s[0:3], 0 offset:352
	buffer_load_dword v239, off, s[0:3], 0 offset:356
	;; [unrolled: 1-line block ×6, first 2 shown]
	s_waitcnt vmcnt(40)
	v_fmac_f32_e32 v160, v153, v33
	v_add_f32_e32 v42, v42, v160
	v_mul_f32_e32 v160, v154, v30
	v_fmac_f32_e32 v160, v155, v29
	v_add_f32_e32 v42, v42, v160
	s_waitcnt lgkmcnt(0)
	v_mul_f32_e32 v160, v156, v32
	v_fmac_f32_e32 v160, v157, v31
	v_add_f32_e32 v42, v42, v160
	ds_read_b128 v[160:163], v110 offset:656
	buffer_load_dword v244, off, s[0:3], 0 offset:376
	buffer_load_dword v245, off, s[0:3], 0 offset:380
	s_waitcnt vmcnt(40)
	v_mul_f32_e32 v164, v158, v35
	v_fmac_f32_e32 v164, v159, v34
	v_add_f32_e32 v42, v42, v164
	ds_read_b128 v[164:167], v110 offset:672
	buffer_load_dword v246, off, s[0:3], 0 offset:384
	buffer_load_dword v247, off, s[0:3], 0 offset:388
	;; [unrolled: 1-line block ×12, first 2 shown]
	s_waitcnt vmcnt(50) lgkmcnt(1)
	v_mul_f32_e32 v168, v160, v37
	v_fmac_f32_e32 v168, v161, v36
	v_add_f32_e32 v42, v42, v168
	s_waitcnt vmcnt(48)
	v_mul_f32_e32 v168, v162, v39
	v_fmac_f32_e32 v168, v163, v38
	v_add_f32_e32 v42, v42, v168
	s_waitcnt vmcnt(46) lgkmcnt(0)
	v_mul_f32_e32 v168, v164, v41
	v_fmac_f32_e32 v168, v165, v40
	v_add_f32_e32 v42, v42, v168
	ds_read_b128 v[168:171], v110 offset:688
	s_waitcnt vmcnt(44)
	v_mul_f32_e32 v172, v166, v213
	v_fmac_f32_e32 v172, v167, v212
	v_add_f32_e32 v42, v42, v172
	ds_read_b128 v[172:175], v110 offset:704
	s_waitcnt vmcnt(42) lgkmcnt(1)
	v_mul_f32_e32 v176, v168, v215
	v_fmac_f32_e32 v176, v169, v214
	v_add_f32_e32 v42, v42, v176
	s_waitcnt vmcnt(41)
	v_mul_f32_e32 v176, v170, v216
	s_waitcnt vmcnt(38)
	v_fmac_f32_e32 v176, v171, v219
	v_add_f32_e32 v42, v42, v176
	s_waitcnt lgkmcnt(0)
	v_mul_f32_e32 v176, v172, v218
	v_fmac_f32_e32 v176, v173, v217
	v_add_f32_e32 v42, v42, v176
	ds_read_b128 v[176:179], v110 offset:720
	s_waitcnt vmcnt(36)
	v_mul_f32_e32 v180, v174, v221
	v_fmac_f32_e32 v180, v175, v220
	v_add_f32_e32 v42, v42, v180
	ds_read_b128 v[180:183], v110 offset:736
	v_mul_f32_e32 v3, v135, v3
	v_fma_f32 v3, v134, v18, -v3
	v_mul_f32_e32 v4, v137, v4
	v_fma_f32 v4, v136, v17, -v4
	s_waitcnt vmcnt(34) lgkmcnt(1)
	v_mul_f32_e32 v184, v176, v223
	v_fmac_f32_e32 v184, v177, v222
	v_add_f32_e32 v42, v42, v184
	s_waitcnt vmcnt(33)
	v_mul_f32_e32 v184, v178, v224
	s_waitcnt vmcnt(30)
	v_fmac_f32_e32 v184, v179, v227
	v_add_f32_e32 v42, v42, v184
	s_waitcnt lgkmcnt(0)
	v_mul_f32_e32 v184, v180, v226
	v_fmac_f32_e32 v184, v181, v225
	v_add_f32_e32 v42, v42, v184
	ds_read_b128 v[184:187], v110 offset:752
	s_waitcnt vmcnt(28)
	v_mul_f32_e32 v188, v182, v229
	v_fmac_f32_e32 v188, v183, v228
	v_add_f32_e32 v42, v42, v188
	ds_read_b128 v[188:191], v110 offset:768
	s_waitcnt vmcnt(26) lgkmcnt(1)
	v_mul_f32_e32 v192, v184, v231
	v_fmac_f32_e32 v192, v185, v230
	v_add_f32_e32 v42, v42, v192
	s_waitcnt vmcnt(25)
	v_mul_f32_e32 v192, v186, v232
	s_waitcnt vmcnt(22)
	v_fmac_f32_e32 v192, v187, v235
	v_add_f32_e32 v42, v42, v192
	s_waitcnt lgkmcnt(0)
	v_mul_f32_e32 v192, v188, v234
	v_fmac_f32_e32 v192, v189, v233
	v_add_f32_e32 v42, v42, v192
	ds_read_b128 v[192:195], v110 offset:784
	s_waitcnt vmcnt(20)
	v_mul_f32_e32 v196, v190, v237
	v_fmac_f32_e32 v196, v191, v236
	v_add_f32_e32 v42, v42, v196
	ds_read_b128 v[196:199], v110 offset:800
	s_waitcnt vmcnt(18) lgkmcnt(1)
	v_mul_f32_e32 v200, v192, v239
	v_fmac_f32_e32 v200, v193, v238
	v_add_f32_e32 v42, v42, v200
	s_waitcnt vmcnt(17)
	v_mul_f32_e32 v200, v194, v240
	s_waitcnt vmcnt(14)
	v_fmac_f32_e32 v200, v195, v243
	v_add_f32_e32 v42, v42, v200
	s_waitcnt lgkmcnt(0)
	v_mul_f32_e32 v200, v196, v242
	v_fmac_f32_e32 v200, v197, v241
	v_add_f32_e32 v42, v42, v200
	ds_read_b128 v[200:203], v110 offset:816
	s_waitcnt vmcnt(12)
	v_mul_f32_e32 v204, v198, v245
	v_fmac_f32_e32 v204, v199, v244
	v_add_f32_e32 v42, v42, v204
	ds_read_b128 v[204:207], v110 offset:832
	s_waitcnt vmcnt(10) lgkmcnt(1)
	v_mul_f32_e32 v208, v200, v247
	v_fmac_f32_e32 v208, v201, v246
	v_add_f32_e32 v42, v42, v208
	s_waitcnt vmcnt(9)
	v_mul_f32_e32 v208, v202, v248
	s_waitcnt vmcnt(6)
	v_fmac_f32_e32 v208, v203, v251
	v_add_f32_e32 v42, v42, v208
	ds_read_b128 v[208:211], v110 offset:848
	s_waitcnt lgkmcnt(1)
	v_mul_f32_e32 v45, v204, v250
	v_fmac_f32_e32 v45, v205, v249
	v_add_f32_e32 v42, v42, v45
	s_waitcnt vmcnt(4)
	v_mul_f32_e32 v45, v206, v253
	v_fmac_f32_e32 v45, v207, v252
	v_add_f32_e32 v42, v42, v45
	s_waitcnt vmcnt(3) lgkmcnt(0)
	v_mul_f32_e32 v45, v208, v254
	s_waitcnt vmcnt(0)
	v_fmac_f32_e32 v45, v209, v44
	v_add_f32_e32 v42, v42, v45
	v_mul_f32_e32 v45, v210, v43
	v_fmac_f32_e32 v45, v211, v255
	v_add_f32_e32 v42, v42, v45
	v_mul_f32_e32 v45, v121, v119
	v_fma_f32 v10, v120, v10, -v45
	v_mul_f32_e32 v45, v123, v118
	v_add_f32_e32 v10, 0, v10
	v_fma_f32 v9, v122, v9, -v45
	v_add_f32_e32 v9, v10, v9
	v_mul_f32_e32 v10, v125, v117
	v_fma_f32 v8, v124, v8, -v10
	v_add_f32_e32 v8, v9, v8
	v_mul_f32_e32 v9, v127, v116
	;; [unrolled: 3-line block ×5, first 2 shown]
	v_fma_f32 v9, v132, v11, -v9
	v_add_f32_e32 v8, v8, v9
	v_add_f32_e32 v3, v8, v3
	;; [unrolled: 1-line block ×3, first 2 shown]
	v_mul_f32_e32 v4, v139, v5
	v_fma_f32 v4, v138, v16, -v4
	v_add_f32_e32 v3, v3, v4
	v_mul_f32_e32 v4, v141, v6
	v_fma_f32 v4, v140, v15, -v4
	v_add_f32_e32 v3, v3, v4
	;; [unrolled: 3-line block ×37, first 2 shown]
	v_sub_f32_e32 v3, v111, v3
	v_sub_f32_e32 v4, v112, v42
	buffer_store_dword v3, off, s[0:3], 0 offset:56
	buffer_store_dword v4, off, s[0:3], 0 offset:60
	s_and_saveexec_b64 s[4:5], vcc
	s_cbranch_execz .LBB117_325
; %bb.324:
	buffer_load_dword v110, off, s[0:3], 0 offset:48
	buffer_load_dword v111, off, s[0:3], 0 offset:52
	v_mov_b32_e32 v3, 0
	buffer_store_dword v3, off, s[0:3], 0 offset:48
	buffer_store_dword v3, off, s[0:3], 0 offset:52
	s_waitcnt vmcnt(2)
	ds_write_b64 v109, v[110:111]
.LBB117_325:
	s_or_b64 exec, exec, s[4:5]
	s_waitcnt lgkmcnt(0)
	; wave barrier
	buffer_load_dword v117, off, s[0:3], 0 offset:60
	buffer_load_dword v116, off, s[0:3], 0 offset:68
	;; [unrolled: 1-line block ×48, first 2 shown]
	v_mov_b32_e32 v110, 0
	ds_read2_b64 v[120:123], v110 offset0:61 offset1:62
	ds_read2_b64 v[124:127], v110 offset0:63 offset1:64
	ds_read2_b64 v[128:131], v110 offset0:65 offset1:66
	ds_read2_b64 v[132:135], v110 offset0:67 offset1:68
	ds_read2_b64 v[136:139], v110 offset0:69 offset1:70
	ds_read2_b64 v[140:143], v110 offset0:71 offset1:72
	ds_read2_b64 v[144:147], v110 offset0:73 offset1:74
	v_cmp_lt_u32_e32 vcc, 5, v0
	s_waitcnt vmcnt(47) lgkmcnt(6)
	v_mul_f32_e32 v42, v120, v117
	s_waitcnt vmcnt(46)
	v_mul_f32_e32 v43, v122, v116
	s_waitcnt vmcnt(45) lgkmcnt(5)
	v_mul_f32_e32 v44, v124, v115
	s_waitcnt vmcnt(44)
	v_mul_f32_e32 v45, v126, v114
	;; [unrolled: 4-line block ×6, first 2 shown]
	s_waitcnt vmcnt(35)
	v_fmac_f32_e32 v44, v125, v8
	s_waitcnt vmcnt(34)
	v_fmac_f32_e32 v43, v123, v9
	;; [unrolled: 2-line block ×3, first 2 shown]
	v_add_f32_e32 v42, 0, v42
	v_add_f32_e32 v42, v42, v43
	;; [unrolled: 1-line block ×3, first 2 shown]
	s_waitcnt vmcnt(29)
	v_fmac_f32_e32 v45, v127, v14
	v_fmac_f32_e32 v46, v129, v13
	v_add_f32_e32 v42, v42, v45
	v_fmac_f32_e32 v148, v131, v12
	v_add_f32_e32 v42, v42, v46
	;; [unrolled: 2-line block ×3, first 2 shown]
	s_waitcnt vmcnt(25)
	v_fmac_f32_e32 v150, v135, v18
	v_add_f32_e32 v42, v42, v149
	v_fmac_f32_e32 v151, v137, v17
	v_add_f32_e32 v42, v42, v150
	v_add_f32_e32 v42, v42, v151
	ds_read2_b64 v[148:151], v110 offset0:75 offset1:76
	buffer_load_dword v43, off, s[0:3], 0 offset:240
	buffer_load_dword v44, off, s[0:3], 0 offset:244
	;; [unrolled: 1-line block ×8, first 2 shown]
	v_fmac_f32_e32 v152, v139, v16
	v_fmac_f32_e32 v153, v141, v15
	v_add_f32_e32 v42, v42, v152
	s_waitcnt vmcnt(29)
	v_fmac_f32_e32 v154, v143, v22
	v_add_f32_e32 v42, v42, v153
	s_waitcnt vmcnt(28) lgkmcnt(1)
	v_mul_f32_e32 v45, v144, v23
	v_add_f32_e32 v42, v42, v154
	v_fmac_f32_e32 v45, v145, v21
	v_add_f32_e32 v42, v42, v45
	s_waitcnt vmcnt(27)
	v_mul_f32_e32 v45, v146, v24
	buffer_load_dword v219, off, s[0:3], 0 offset:272
	buffer_load_dword v220, off, s[0:3], 0 offset:276
	v_fmac_f32_e32 v45, v147, v20
	v_add_f32_e32 v42, v42, v45
	s_waitcnt vmcnt(28) lgkmcnt(0)
	v_mul_f32_e32 v45, v148, v25
	v_fmac_f32_e32 v45, v149, v19
	v_add_f32_e32 v42, v42, v45
	s_waitcnt vmcnt(27)
	v_mul_f32_e32 v45, v150, v26
	s_waitcnt vmcnt(20)
	v_fmac_f32_e32 v45, v151, v33
	ds_read2_b64 v[152:155], v110 offset0:77 offset1:78
	v_add_f32_e32 v42, v42, v45
	buffer_load_dword v45, off, s[0:3], 0 offset:280
	buffer_load_dword v221, off, s[0:3], 0 offset:284
	;; [unrolled: 1-line block ×6, first 2 shown]
	ds_read2_b64 v[156:159], v110 offset0:79 offset1:80
	buffer_load_dword v226, off, s[0:3], 0 offset:304
	buffer_load_dword v227, off, s[0:3], 0 offset:308
	;; [unrolled: 1-line block ×8, first 2 shown]
	s_waitcnt lgkmcnt(1)
	v_mul_f32_e32 v160, v152, v28
	buffer_load_dword v234, off, s[0:3], 0 offset:336
	buffer_load_dword v235, off, s[0:3], 0 offset:340
	v_fmac_f32_e32 v160, v153, v27
	v_add_f32_e32 v42, v42, v160
	v_mul_f32_e32 v160, v154, v30
	v_fmac_f32_e32 v160, v155, v29
	v_add_f32_e32 v42, v42, v160
	s_waitcnt lgkmcnt(0)
	v_mul_f32_e32 v160, v156, v32
	v_fmac_f32_e32 v160, v157, v31
	v_add_f32_e32 v42, v42, v160
	ds_read2_b64 v[160:163], v110 offset0:81 offset1:82
	buffer_load_dword v236, off, s[0:3], 0 offset:344
	buffer_load_dword v237, off, s[0:3], 0 offset:348
	;; [unrolled: 1-line block ×6, first 2 shown]
	s_waitcnt vmcnt(38)
	v_mul_f32_e32 v164, v158, v35
	v_fmac_f32_e32 v164, v159, v34
	v_add_f32_e32 v42, v42, v164
	ds_read2_b64 v[164:167], v110 offset0:83 offset1:84
	buffer_load_dword v242, off, s[0:3], 0 offset:368
	buffer_load_dword v243, off, s[0:3], 0 offset:372
	;; [unrolled: 1-line block ×16, first 2 shown]
	s_waitcnt vmcnt(52) lgkmcnt(1)
	v_mul_f32_e32 v168, v160, v37
	v_fmac_f32_e32 v168, v161, v36
	v_add_f32_e32 v42, v42, v168
	s_waitcnt vmcnt(50)
	v_mul_f32_e32 v168, v162, v39
	v_fmac_f32_e32 v168, v163, v38
	v_add_f32_e32 v42, v42, v168
	s_waitcnt vmcnt(48) lgkmcnt(0)
	v_mul_f32_e32 v168, v164, v41
	v_fmac_f32_e32 v168, v165, v40
	v_add_f32_e32 v42, v42, v168
	ds_read2_b64 v[168:171], v110 offset0:85 offset1:86
	v_mul_f32_e32 v3, v135, v3
	v_fma_f32 v3, v134, v18, -v3
	v_mul_f32_e32 v4, v137, v4
	v_fma_f32 v4, v136, v17, -v4
	s_waitcnt vmcnt(46)
	v_mul_f32_e32 v172, v166, v44
	v_fmac_f32_e32 v172, v167, v43
	v_add_f32_e32 v42, v42, v172
	ds_read2_b64 v[172:175], v110 offset0:87 offset1:88
	s_waitcnt vmcnt(44) lgkmcnt(1)
	v_mul_f32_e32 v176, v168, v214
	v_fmac_f32_e32 v176, v169, v46
	v_add_f32_e32 v42, v42, v176
	s_waitcnt vmcnt(43)
	v_mul_f32_e32 v176, v170, v215
	s_waitcnt vmcnt(40)
	v_fmac_f32_e32 v176, v171, v218
	v_add_f32_e32 v42, v42, v176
	s_waitcnt lgkmcnt(0)
	v_mul_f32_e32 v176, v172, v217
	v_fmac_f32_e32 v176, v173, v216
	v_add_f32_e32 v42, v42, v176
	ds_read2_b64 v[176:179], v110 offset0:89 offset1:90
	s_waitcnt vmcnt(38)
	v_mul_f32_e32 v180, v174, v220
	v_fmac_f32_e32 v180, v175, v219
	v_add_f32_e32 v42, v42, v180
	ds_read2_b64 v[180:183], v110 offset0:91 offset1:92
	s_waitcnt vmcnt(36) lgkmcnt(1)
	v_mul_f32_e32 v184, v176, v221
	v_fmac_f32_e32 v184, v177, v45
	v_add_f32_e32 v42, v42, v184
	s_waitcnt vmcnt(35)
	v_mul_f32_e32 v184, v178, v222
	s_waitcnt vmcnt(32)
	v_fmac_f32_e32 v184, v179, v225
	v_add_f32_e32 v42, v42, v184
	s_waitcnt lgkmcnt(0)
	v_mul_f32_e32 v184, v180, v224
	v_fmac_f32_e32 v184, v181, v223
	v_add_f32_e32 v42, v42, v184
	ds_read2_b64 v[184:187], v110 offset0:93 offset1:94
	;; [unrolled: 19-line block ×5, first 2 shown]
	s_waitcnt vmcnt(6)
	v_mul_f32_e32 v212, v206, v251
	v_fmac_f32_e32 v212, v207, v250
	v_add_f32_e32 v42, v42, v212
	ds_read_b64 v[212:213], v110 offset:856
	s_waitcnt vmcnt(4) lgkmcnt(1)
	v_mul_f32_e32 v49, v208, v253
	v_fmac_f32_e32 v49, v209, v252
	v_add_f32_e32 v42, v42, v49
	s_waitcnt vmcnt(3)
	v_mul_f32_e32 v49, v210, v254
	s_waitcnt vmcnt(0)
	v_fmac_f32_e32 v49, v211, v48
	v_add_f32_e32 v42, v42, v49
	s_waitcnt lgkmcnt(0)
	v_mul_f32_e32 v49, v212, v47
	v_fmac_f32_e32 v49, v213, v255
	v_add_f32_e32 v42, v42, v49
	v_mul_f32_e32 v49, v121, v117
	v_fma_f32 v10, v120, v10, -v49
	v_mul_f32_e32 v49, v123, v116
	v_add_f32_e32 v10, 0, v10
	v_fma_f32 v9, v122, v9, -v49
	v_add_f32_e32 v9, v10, v9
	v_mul_f32_e32 v10, v125, v115
	v_fma_f32 v8, v124, v8, -v10
	v_add_f32_e32 v8, v9, v8
	v_mul_f32_e32 v9, v127, v114
	;; [unrolled: 3-line block ×5, first 2 shown]
	v_fma_f32 v9, v132, v11, -v9
	v_add_f32_e32 v8, v8, v9
	v_add_f32_e32 v3, v8, v3
	;; [unrolled: 1-line block ×3, first 2 shown]
	v_mul_f32_e32 v4, v139, v5
	v_fma_f32 v4, v138, v16, -v4
	v_add_f32_e32 v3, v3, v4
	v_mul_f32_e32 v4, v141, v6
	v_fma_f32 v4, v140, v15, -v4
	v_add_f32_e32 v3, v3, v4
	;; [unrolled: 3-line block ×38, first 2 shown]
	v_sub_f32_e32 v3, v118, v3
	v_sub_f32_e32 v4, v119, v42
	buffer_store_dword v3, off, s[0:3], 0 offset:48
	buffer_store_dword v4, off, s[0:3], 0 offset:52
	s_and_saveexec_b64 s[4:5], vcc
	s_cbranch_execz .LBB117_327
; %bb.326:
	buffer_load_dword v111, off, s[0:3], 0 offset:40
	buffer_load_dword v112, off, s[0:3], 0 offset:44
	s_waitcnt vmcnt(0)
	ds_write_b64 v109, v[111:112]
	buffer_store_dword v110, off, s[0:3], 0 offset:40
	buffer_store_dword v110, off, s[0:3], 0 offset:44
.LBB117_327:
	s_or_b64 exec, exec, s[4:5]
	s_waitcnt lgkmcnt(0)
	; wave barrier
	buffer_load_dword v117, off, s[0:3], 0 offset:52
	buffer_load_dword v116, off, s[0:3], 0 offset:60
	;; [unrolled: 1-line block ×40, first 2 shown]
	ds_read_b128 v[148:151], v110 offset:480
	ds_read_b128 v[152:155], v110 offset:496
	;; [unrolled: 1-line block ×7, first 2 shown]
	buffer_load_dword v6, off, s[0:3], 0 offset:200
	buffer_load_dword v7, off, s[0:3], 0 offset:204
	;; [unrolled: 1-line block ×8, first 2 shown]
	v_cmp_lt_u32_e32 vcc, 4, v0
	s_waitcnt vmcnt(47) lgkmcnt(6)
	v_mul_f32_e32 v14, v148, v117
	s_waitcnt vmcnt(46)
	v_mul_f32_e32 v15, v150, v116
	s_waitcnt vmcnt(45) lgkmcnt(5)
	v_mul_f32_e32 v16, v152, v115
	s_waitcnt vmcnt(44)
	v_mul_f32_e32 v17, v154, v114
	;; [unrolled: 4-line block ×6, first 2 shown]
	s_waitcnt vmcnt(35)
	v_fmac_f32_e32 v16, v153, v130
	s_waitcnt vmcnt(34)
	v_fmac_f32_e32 v15, v151, v133
	;; [unrolled: 2-line block ×3, first 2 shown]
	v_add_f32_e32 v14, 0, v14
	v_add_f32_e32 v14, v14, v15
	;; [unrolled: 1-line block ×3, first 2 shown]
	buffer_load_dword v15, off, s[0:3], 0 offset:232
	buffer_load_dword v16, off, s[0:3], 0 offset:236
	s_waitcnt vmcnt(31)
	v_fmac_f32_e32 v17, v155, v135
	v_fmac_f32_e32 v18, v157, v132
	v_add_f32_e32 v14, v14, v17
	v_fmac_f32_e32 v19, v159, v129
	v_add_f32_e32 v14, v14, v18
	;; [unrolled: 2-line block ×3, first 2 shown]
	s_waitcnt vmcnt(27)
	v_fmac_f32_e32 v21, v163, v131
	v_add_f32_e32 v14, v14, v20
	v_fmac_f32_e32 v22, v165, v128
	v_add_f32_e32 v14, v14, v21
	;; [unrolled: 2-line block ×4, first 2 shown]
	ds_read_b128 v[176:179], v110 offset:592
	s_waitcnt vmcnt(23)
	v_fmac_f32_e32 v25, v171, v143
	v_add_f32_e32 v14, v14, v24
	s_waitcnt vmcnt(22) lgkmcnt(1)
	v_mul_f32_e32 v17, v172, v142
	v_add_f32_e32 v14, v14, v25
	v_fmac_f32_e32 v17, v173, v139
	v_add_f32_e32 v14, v14, v17
	s_waitcnt vmcnt(21)
	v_mul_f32_e32 v17, v174, v140
	v_fmac_f32_e32 v17, v175, v137
	v_add_f32_e32 v14, v14, v17
	s_waitcnt vmcnt(20) lgkmcnt(0)
	v_mul_f32_e32 v17, v176, v138
	v_fmac_f32_e32 v17, v177, v134
	v_add_f32_e32 v14, v14, v17
	buffer_load_dword v17, off, s[0:3], 0 offset:240
	buffer_load_dword v18, off, s[0:3], 0 offset:244
	;; [unrolled: 1-line block ×6, first 2 shown]
	s_waitcnt vmcnt(25)
	v_mul_f32_e32 v23, v178, v141
	s_waitcnt vmcnt(18)
	v_fmac_f32_e32 v23, v179, v5
	ds_read_b128 v[180:183], v110 offset:608
	v_add_f32_e32 v14, v14, v23
	buffer_load_dword v23, off, s[0:3], 0 offset:264
	buffer_load_dword v24, off, s[0:3], 0 offset:268
	ds_read_b128 v[184:187], v110 offset:624
	buffer_load_dword v26, off, s[0:3], 0 offset:272
	buffer_load_dword v27, off, s[0:3], 0 offset:276
	;; [unrolled: 1-line block ×14, first 2 shown]
	s_waitcnt lgkmcnt(1)
	v_mul_f32_e32 v25, v180, v145
	v_fmac_f32_e32 v25, v181, v144
	v_add_f32_e32 v14, v14, v25
	v_mul_f32_e32 v25, v182, v147
	buffer_load_dword v40, off, s[0:3], 0 offset:328
	buffer_load_dword v41, off, s[0:3], 0 offset:332
	v_fmac_f32_e32 v25, v183, v146
	v_add_f32_e32 v14, v14, v25
	s_waitcnt lgkmcnt(0)
	v_mul_f32_e32 v25, v184, v4
	v_fmac_f32_e32 v25, v185, v3
	v_add_f32_e32 v14, v14, v25
	s_waitcnt vmcnt(32)
	v_mul_f32_e32 v25, v186, v7
	ds_read_b128 v[188:191], v110 offset:640
	v_fmac_f32_e32 v25, v187, v6
	v_add_f32_e32 v14, v14, v25
	buffer_load_dword v25, off, s[0:3], 0 offset:336
	buffer_load_dword v42, off, s[0:3], 0 offset:340
	;; [unrolled: 1-line block ×6, first 2 shown]
	ds_read_b128 v[192:195], v110 offset:656
	s_waitcnt vmcnt(36) lgkmcnt(1)
	v_mul_f32_e32 v47, v188, v9
	v_fmac_f32_e32 v47, v189, v8
	v_add_f32_e32 v14, v14, v47
	buffer_load_dword v47, off, s[0:3], 0 offset:360
	buffer_load_dword v48, off, s[0:3], 0 offset:364
	;; [unrolled: 1-line block ×8, first 2 shown]
	s_waitcnt vmcnt(42)
	v_mul_f32_e32 v49, v190, v11
	v_fmac_f32_e32 v49, v191, v10
	v_add_f32_e32 v14, v14, v49
	s_waitcnt vmcnt(40) lgkmcnt(0)
	v_mul_f32_e32 v49, v192, v13
	v_fmac_f32_e32 v49, v193, v12
	v_add_f32_e32 v14, v14, v49
	buffer_load_dword v49, off, s[0:3], 0 offset:392
	buffer_load_dword v249, off, s[0:3], 0 offset:396
	;; [unrolled: 1-line block ×8, first 2 shown]
	ds_read_b128 v[196:199], v110 offset:672
	v_mul_f32_e32 v116, v151, v116
	v_fma_f32 v116, v150, v133, -v116
	v_mul_f32_e32 v115, v153, v115
	v_fma_f32 v115, v152, v130, -v115
	;; [unrolled: 2-line block ×5, first 2 shown]
	v_mul_f32_e32 v111, v161, v111
	s_waitcnt vmcnt(46)
	v_mul_f32_e32 v200, v194, v16
	v_fmac_f32_e32 v200, v195, v15
	v_add_f32_e32 v14, v14, v200
	ds_read_b128 v[200:203], v110 offset:688
	buffer_load_dword v51, off, s[0:3], 0 offset:424
	buffer_load_dword v52, off, s[0:3], 0 offset:428
	v_fma_f32 v111, v160, v127, -v111
	v_mul_f32_e32 v4, v185, v4
	v_fma_f32 v3, v184, v3, -v4
	v_mul_f32_e32 v4, v187, v7
	v_fma_f32 v4, v186, v6, -v4
	s_waitcnt vmcnt(46) lgkmcnt(1)
	v_mul_f32_e32 v204, v196, v18
	v_fmac_f32_e32 v204, v197, v17
	v_add_f32_e32 v14, v14, v204
	s_waitcnt vmcnt(45)
	v_mul_f32_e32 v204, v198, v19
	s_waitcnt vmcnt(42)
	v_fmac_f32_e32 v204, v199, v22
	v_add_f32_e32 v14, v14, v204
	s_waitcnt lgkmcnt(0)
	v_mul_f32_e32 v204, v200, v21
	v_fmac_f32_e32 v204, v201, v20
	v_add_f32_e32 v14, v14, v204
	ds_read_b128 v[204:207], v110 offset:704
	s_waitcnt vmcnt(40)
	v_mul_f32_e32 v208, v202, v24
	v_fmac_f32_e32 v208, v203, v23
	v_add_f32_e32 v14, v14, v208
	ds_read_b128 v[208:211], v110 offset:720
	s_waitcnt vmcnt(38) lgkmcnt(1)
	v_mul_f32_e32 v212, v204, v27
	v_fmac_f32_e32 v212, v205, v26
	v_add_f32_e32 v14, v14, v212
	s_waitcnt vmcnt(37)
	v_mul_f32_e32 v212, v206, v28
	s_waitcnt vmcnt(34)
	v_fmac_f32_e32 v212, v207, v31
	v_add_f32_e32 v14, v14, v212
	s_waitcnt lgkmcnt(0)
	v_mul_f32_e32 v212, v208, v30
	v_fmac_f32_e32 v212, v209, v29
	v_add_f32_e32 v14, v14, v212
	ds_read_b128 v[212:215], v110 offset:736
	s_waitcnt vmcnt(32)
	v_mul_f32_e32 v216, v210, v33
	v_fmac_f32_e32 v216, v211, v32
	v_add_f32_e32 v14, v14, v216
	ds_read_b128 v[216:219], v110 offset:752
	;; [unrolled: 19-line block ×5, first 2 shown]
	s_waitcnt vmcnt(6) lgkmcnt(1)
	v_mul_f32_e32 v110, v236, v251
	v_fmac_f32_e32 v110, v237, v250
	v_add_f32_e32 v14, v14, v110
	s_waitcnt vmcnt(5)
	v_mul_f32_e32 v110, v238, v252
	s_waitcnt vmcnt(2)
	v_fmac_f32_e32 v110, v239, v255
	v_add_f32_e32 v14, v14, v110
	s_waitcnt lgkmcnt(0)
	v_mul_f32_e32 v110, v240, v254
	v_fmac_f32_e32 v110, v241, v253
	v_add_f32_e32 v14, v14, v110
	s_waitcnt vmcnt(0)
	v_mul_f32_e32 v110, v242, v52
	v_fmac_f32_e32 v110, v243, v51
	v_add_f32_e32 v14, v14, v110
	v_mul_f32_e32 v110, v149, v117
	v_fma_f32 v110, v148, v136, -v110
	v_add_f32_e32 v110, 0, v110
	v_add_f32_e32 v110, v110, v116
	v_add_f32_e32 v110, v110, v115
	v_add_f32_e32 v110, v110, v114
	v_add_f32_e32 v110, v110, v113
	v_add_f32_e32 v110, v110, v112
	v_add_f32_e32 v110, v110, v111
	v_mul_f32_e32 v111, v163, v120
	v_fma_f32 v111, v162, v131, -v111
	v_add_f32_e32 v110, v110, v111
	v_mul_f32_e32 v111, v165, v121
	v_fma_f32 v111, v164, v128, -v111
	v_add_f32_e32 v110, v110, v111
	;; [unrolled: 3-line block ×11, first 2 shown]
	v_add_f32_e32 v3, v5, v3
	v_add_f32_e32 v3, v3, v4
	v_mul_f32_e32 v4, v189, v9
	v_fma_f32 v4, v188, v8, -v4
	v_add_f32_e32 v3, v3, v4
	v_mul_f32_e32 v4, v191, v11
	v_fma_f32 v4, v190, v10, -v4
	;; [unrolled: 3-line block ×28, first 2 shown]
	v_add_f32_e32 v3, v3, v4
	v_sub_f32_e32 v3, v118, v3
	v_sub_f32_e32 v4, v119, v14
	buffer_store_dword v3, off, s[0:3], 0 offset:40
	buffer_store_dword v4, off, s[0:3], 0 offset:44
	s_and_saveexec_b64 s[4:5], vcc
	s_cbranch_execz .LBB117_329
; %bb.328:
	buffer_load_dword v110, off, s[0:3], 0 offset:32
	buffer_load_dword v111, off, s[0:3], 0 offset:36
	v_mov_b32_e32 v3, 0
	buffer_store_dword v3, off, s[0:3], 0 offset:32
	buffer_store_dword v3, off, s[0:3], 0 offset:36
	s_waitcnt vmcnt(2)
	ds_write_b64 v109, v[110:111]
.LBB117_329:
	s_or_b64 exec, exec, s[4:5]
	s_waitcnt lgkmcnt(0)
	; wave barrier
	buffer_load_dword v117, off, s[0:3], 0 offset:44
	buffer_load_dword v116, off, s[0:3], 0 offset:52
	buffer_load_dword v115, off, s[0:3], 0 offset:60
	buffer_load_dword v114, off, s[0:3], 0 offset:68
	buffer_load_dword v113, off, s[0:3], 0 offset:76
	buffer_load_dword v112, off, s[0:3], 0 offset:84
	buffer_load_dword v111, off, s[0:3], 0 offset:92
	buffer_load_dword v120, off, s[0:3], 0 offset:100
	buffer_load_dword v121, off, s[0:3], 0 offset:108
	buffer_load_dword v122, off, s[0:3], 0 offset:116
	buffer_load_dword v123, off, s[0:3], 0 offset:124
	buffer_load_dword v3, off, s[0:3], 0 offset:56
	buffer_load_dword v4, off, s[0:3], 0 offset:48
	buffer_load_dword v5, off, s[0:3], 0 offset:40
	buffer_load_dword v6, off, s[0:3], 0 offset:88
	buffer_load_dword v7, off, s[0:3], 0 offset:80
	buffer_load_dword v8, off, s[0:3], 0 offset:72
	buffer_load_dword v9, off, s[0:3], 0 offset:64
	buffer_load_dword v10, off, s[0:3], 0 offset:120
	buffer_load_dword v11, off, s[0:3], 0 offset:112
	buffer_load_dword v12, off, s[0:3], 0 offset:104
	buffer_load_dword v13, off, s[0:3], 0 offset:96
	buffer_load_dword v14, off, s[0:3], 0 offset:132
	buffer_load_dword v15, off, s[0:3], 0 offset:152
	buffer_load_dword v16, off, s[0:3], 0 offset:144
	buffer_load_dword v17, off, s[0:3], 0 offset:136
	buffer_load_dword v18, off, s[0:3], 0 offset:128
	buffer_load_dword v19, off, s[0:3], 0 offset:140
	buffer_load_dword v20, off, s[0:3], 0 offset:148
	buffer_load_dword v21, off, s[0:3], 0 offset:156
	buffer_load_dword v22, off, s[0:3], 0 offset:164
	buffer_load_dword v23, off, s[0:3], 0 offset:176
	buffer_load_dword v24, off, s[0:3], 0 offset:180
	buffer_load_dword v25, off, s[0:3], 0 offset:184
	buffer_load_dword v26, off, s[0:3], 0 offset:188
	buffer_load_dword v27, off, s[0:3], 0 offset:168
	buffer_load_dword v28, off, s[0:3], 0 offset:160
	buffer_load_dword v29, off, s[0:3], 0 offset:172
	buffer_load_dword v118, off, s[0:3], 0 offset:32
	buffer_load_dword v119, off, s[0:3], 0 offset:36
	buffer_load_dword v30, off, s[0:3], 0 offset:192
	buffer_load_dword v31, off, s[0:3], 0 offset:196
	buffer_load_dword v32, off, s[0:3], 0 offset:200
	buffer_load_dword v33, off, s[0:3], 0 offset:204
	buffer_load_dword v34, off, s[0:3], 0 offset:208
	buffer_load_dword v35, off, s[0:3], 0 offset:212
	buffer_load_dword v36, off, s[0:3], 0 offset:216
	buffer_load_dword v37, off, s[0:3], 0 offset:220
	buffer_load_dword v38, off, s[0:3], 0 offset:224
	buffer_load_dword v39, off, s[0:3], 0 offset:228
	v_mov_b32_e32 v110, 0
	ds_read2_b64 v[124:127], v110 offset0:59 offset1:60
	ds_read2_b64 v[128:131], v110 offset0:61 offset1:62
	;; [unrolled: 1-line block ×8, first 2 shown]
	v_cmp_lt_u32_e32 vcc, 3, v0
	s_waitcnt vmcnt(49) lgkmcnt(7)
	v_mul_f32_e32 v40, v124, v117
	s_waitcnt vmcnt(48)
	v_mul_f32_e32 v41, v126, v116
	s_waitcnt vmcnt(47) lgkmcnt(6)
	v_mul_f32_e32 v42, v128, v115
	s_waitcnt vmcnt(46)
	v_mul_f32_e32 v43, v130, v114
	;; [unrolled: 4-line block ×5, first 2 shown]
	s_waitcnt vmcnt(39) lgkmcnt(2)
	v_mul_f32_e32 v50, v144, v123
	s_waitcnt vmcnt(38)
	v_fmac_f32_e32 v42, v129, v3
	s_waitcnt vmcnt(37)
	v_fmac_f32_e32 v41, v127, v4
	;; [unrolled: 2-line block ×3, first 2 shown]
	v_add_f32_e32 v40, 0, v40
	v_add_f32_e32 v40, v40, v41
	v_add_f32_e32 v40, v40, v42
	s_waitcnt vmcnt(32)
	v_fmac_f32_e32 v43, v131, v9
	v_fmac_f32_e32 v44, v133, v8
	v_add_f32_e32 v40, v40, v43
	v_fmac_f32_e32 v45, v135, v7
	v_add_f32_e32 v40, v40, v44
	;; [unrolled: 2-line block ×3, first 2 shown]
	s_waitcnt vmcnt(28)
	v_fmac_f32_e32 v47, v139, v13
	v_add_f32_e32 v40, v40, v46
	v_fmac_f32_e32 v48, v141, v12
	v_add_f32_e32 v40, v40, v47
	;; [unrolled: 2-line block ×4, first 2 shown]
	s_waitcnt vmcnt(27)
	v_mul_f32_e32 v41, v146, v14
	v_add_f32_e32 v40, v40, v50
	s_waitcnt vmcnt(23)
	v_fmac_f32_e32 v41, v147, v18
	v_add_f32_e32 v40, v40, v41
	s_waitcnt vmcnt(22) lgkmcnt(1)
	v_mul_f32_e32 v41, v148, v19
	v_fmac_f32_e32 v41, v149, v17
	v_add_f32_e32 v40, v40, v41
	buffer_load_dword v41, off, s[0:3], 0 offset:232
	buffer_load_dword v42, off, s[0:3], 0 offset:236
	ds_read2_b64 v[156:159], v110 offset0:75 offset1:76
	buffer_load_dword v44, off, s[0:3], 0 offset:244
	buffer_load_dword v45, off, s[0:3], 0 offset:248
	;; [unrolled: 1-line block ×4, first 2 shown]
	s_waitcnt vmcnt(27)
	v_mul_f32_e32 v43, v150, v20
	v_fmac_f32_e32 v43, v151, v16
	v_add_f32_e32 v40, v40, v43
	s_waitcnt vmcnt(26) lgkmcnt(1)
	v_mul_f32_e32 v43, v152, v21
	ds_read2_b64 v[160:163], v110 offset0:77 offset1:78
	buffer_load_dword v48, off, s[0:3], 0 offset:256
	buffer_load_dword v49, off, s[0:3], 0 offset:260
	v_fmac_f32_e32 v43, v153, v15
	v_add_f32_e32 v40, v40, v43
	s_waitcnt vmcnt(27)
	v_mul_f32_e32 v43, v154, v22
	s_waitcnt vmcnt(21)
	v_fmac_f32_e32 v43, v155, v28
	v_add_f32_e32 v40, v40, v43
	s_waitcnt vmcnt(20) lgkmcnt(1)
	v_mul_f32_e32 v43, v156, v29
	v_fmac_f32_e32 v43, v157, v27
	v_add_f32_e32 v40, v40, v43
	buffer_load_dword v43, off, s[0:3], 0 offset:264
	buffer_load_dword v50, off, s[0:3], 0 offset:268
	;; [unrolled: 1-line block ×14, first 2 shown]
	v_mul_f32_e32 v164, v158, v24
	v_fmac_f32_e32 v164, v159, v23
	v_add_f32_e32 v40, v40, v164
	s_waitcnt lgkmcnt(0)
	v_mul_f32_e32 v164, v160, v26
	v_fmac_f32_e32 v164, v161, v25
	v_add_f32_e32 v40, v40, v164
	ds_read2_b64 v[164:167], v110 offset0:79 offset1:80
	buffer_load_dword v232, off, s[0:3], 0 offset:320
	buffer_load_dword v233, off, s[0:3], 0 offset:324
	s_waitcnt vmcnt(32)
	v_mul_f32_e32 v168, v162, v31
	v_fmac_f32_e32 v168, v163, v30
	v_add_f32_e32 v40, v40, v168
	ds_read2_b64 v[168:171], v110 offset0:81 offset1:82
	buffer_load_dword v234, off, s[0:3], 0 offset:328
	buffer_load_dword v235, off, s[0:3], 0 offset:332
	;; [unrolled: 1-line block ×14, first 2 shown]
	s_waitcnt vmcnt(44) lgkmcnt(1)
	v_mul_f32_e32 v172, v164, v33
	v_fmac_f32_e32 v172, v165, v32
	buffer_load_dword v248, off, s[0:3], 0 offset:384
	buffer_load_dword v249, off, s[0:3], 0 offset:388
	v_add_f32_e32 v40, v40, v172
	s_waitcnt vmcnt(44)
	v_mul_f32_e32 v172, v166, v35
	v_fmac_f32_e32 v172, v167, v34
	v_add_f32_e32 v40, v40, v172
	s_waitcnt vmcnt(42) lgkmcnt(0)
	v_mul_f32_e32 v172, v168, v37
	v_fmac_f32_e32 v172, v169, v36
	v_add_f32_e32 v40, v40, v172
	ds_read2_b64 v[172:175], v110 offset0:83 offset1:84
	buffer_load_dword v250, off, s[0:3], 0 offset:392
	buffer_load_dword v251, off, s[0:3], 0 offset:396
	;; [unrolled: 1-line block ×6, first 2 shown]
	s_waitcnt vmcnt(46)
	v_mul_f32_e32 v176, v170, v39
	v_fmac_f32_e32 v176, v171, v38
	v_add_f32_e32 v40, v40, v176
	ds_read2_b64 v[176:179], v110 offset0:85 offset1:86
	buffer_load_dword v53, off, s[0:3], 0 offset:420
	buffer_load_dword v54, off, s[0:3], 0 offset:424
	;; [unrolled: 1-line block ×4, first 2 shown]
	s_waitcnt vmcnt(48) lgkmcnt(1)
	v_mul_f32_e32 v180, v172, v42
	v_fmac_f32_e32 v180, v173, v41
	v_add_f32_e32 v40, v40, v180
	s_waitcnt vmcnt(47)
	v_mul_f32_e32 v180, v174, v44
	s_waitcnt vmcnt(44)
	v_fmac_f32_e32 v180, v175, v47
	v_add_f32_e32 v40, v40, v180
	s_waitcnt lgkmcnt(0)
	v_mul_f32_e32 v180, v176, v46
	v_fmac_f32_e32 v180, v177, v45
	v_add_f32_e32 v40, v40, v180
	ds_read2_b64 v[180:183], v110 offset0:87 offset1:88
	s_waitcnt vmcnt(42)
	v_mul_f32_e32 v184, v178, v49
	v_fmac_f32_e32 v184, v179, v48
	v_add_f32_e32 v40, v40, v184
	ds_read2_b64 v[184:187], v110 offset0:89 offset1:90
	s_waitcnt vmcnt(40) lgkmcnt(1)
	v_mul_f32_e32 v188, v180, v50
	v_fmac_f32_e32 v188, v181, v43
	v_add_f32_e32 v40, v40, v188
	s_waitcnt vmcnt(39)
	v_mul_f32_e32 v188, v182, v51
	s_waitcnt vmcnt(36)
	v_fmac_f32_e32 v188, v183, v223
	v_add_f32_e32 v40, v40, v188
	s_waitcnt lgkmcnt(0)
	v_mul_f32_e32 v188, v184, v222
	v_fmac_f32_e32 v188, v185, v52
	v_add_f32_e32 v40, v40, v188
	ds_read2_b64 v[188:191], v110 offset0:91 offset1:92
	s_waitcnt vmcnt(34)
	v_mul_f32_e32 v192, v186, v225
	v_fmac_f32_e32 v192, v187, v224
	v_add_f32_e32 v40, v40, v192
	ds_read2_b64 v[192:195], v110 offset0:93 offset1:94
	;; [unrolled: 19-line block ×5, first 2 shown]
	s_waitcnt vmcnt(8) lgkmcnt(1)
	v_mul_f32_e32 v220, v212, v251
	v_fmac_f32_e32 v220, v213, v250
	v_add_f32_e32 v40, v40, v220
	s_waitcnt vmcnt(7)
	v_mul_f32_e32 v220, v214, v252
	s_waitcnt vmcnt(4)
	v_fmac_f32_e32 v220, v215, v255
	v_add_f32_e32 v40, v40, v220
	ds_read_b64 v[220:221], v110 offset:856
	s_waitcnt lgkmcnt(1)
	v_mul_f32_e32 v57, v216, v254
	v_fmac_f32_e32 v57, v217, v253
	v_add_f32_e32 v40, v40, v57
	s_waitcnt vmcnt(3)
	v_mul_f32_e32 v57, v218, v53
	s_waitcnt vmcnt(0)
	v_fmac_f32_e32 v57, v219, v56
	v_add_f32_e32 v40, v40, v57
	s_waitcnt lgkmcnt(0)
	v_mul_f32_e32 v57, v220, v55
	v_fmac_f32_e32 v57, v221, v54
	v_add_f32_e32 v40, v40, v57
	v_mul_f32_e32 v57, v125, v117
	v_fma_f32 v5, v124, v5, -v57
	v_mul_f32_e32 v57, v127, v116
	v_add_f32_e32 v5, 0, v5
	v_fma_f32 v4, v126, v4, -v57
	v_add_f32_e32 v4, v5, v4
	v_mul_f32_e32 v5, v129, v115
	v_fma_f32 v3, v128, v3, -v5
	v_add_f32_e32 v3, v4, v3
	v_mul_f32_e32 v4, v131, v114
	;; [unrolled: 3-line block ×47, first 2 shown]
	v_fma_f32 v4, v220, v54, -v4
	v_add_f32_e32 v3, v3, v4
	v_sub_f32_e32 v3, v118, v3
	v_sub_f32_e32 v4, v119, v40
	buffer_store_dword v3, off, s[0:3], 0 offset:32
	buffer_store_dword v4, off, s[0:3], 0 offset:36
	s_and_saveexec_b64 s[4:5], vcc
	s_cbranch_execz .LBB117_331
; %bb.330:
	buffer_load_dword v111, off, s[0:3], 0 offset:24
	buffer_load_dword v112, off, s[0:3], 0 offset:28
	s_waitcnt vmcnt(0)
	ds_write_b64 v109, v[111:112]
	buffer_store_dword v110, off, s[0:3], 0 offset:24
	buffer_store_dword v110, off, s[0:3], 0 offset:28
.LBB117_331:
	s_or_b64 exec, exec, s[4:5]
	s_waitcnt lgkmcnt(0)
	; wave barrier
	buffer_load_dword v117, off, s[0:3], 0 offset:36
	buffer_load_dword v116, off, s[0:3], 0 offset:44
	buffer_load_dword v115, off, s[0:3], 0 offset:52
	buffer_load_dword v114, off, s[0:3], 0 offset:60
	buffer_load_dword v113, off, s[0:3], 0 offset:68
	buffer_load_dword v112, off, s[0:3], 0 offset:76
	buffer_load_dword v111, off, s[0:3], 0 offset:84
	buffer_load_dword v120, off, s[0:3], 0 offset:92
	buffer_load_dword v121, off, s[0:3], 0 offset:100
	buffer_load_dword v122, off, s[0:3], 0 offset:108
	buffer_load_dword v123, off, s[0:3], 0 offset:116
	buffer_load_dword v124, off, s[0:3], 0 offset:124
	buffer_load_dword v3, off, s[0:3], 0 offset:48
	buffer_load_dword v4, off, s[0:3], 0 offset:40
	buffer_load_dword v5, off, s[0:3], 0 offset:32
	buffer_load_dword v6, off, s[0:3], 0 offset:80
	buffer_load_dword v7, off, s[0:3], 0 offset:72
	buffer_load_dword v8, off, s[0:3], 0 offset:64
	buffer_load_dword v9, off, s[0:3], 0 offset:56
	buffer_load_dword v10, off, s[0:3], 0 offset:112
	buffer_load_dword v11, off, s[0:3], 0 offset:104
	buffer_load_dword v12, off, s[0:3], 0 offset:96
	buffer_load_dword v13, off, s[0:3], 0 offset:88
	buffer_load_dword v14, off, s[0:3], 0 offset:144
	buffer_load_dword v15, off, s[0:3], 0 offset:136
	buffer_load_dword v16, off, s[0:3], 0 offset:128
	buffer_load_dword v17, off, s[0:3], 0 offset:120
	buffer_load_dword v18, off, s[0:3], 0 offset:132
	buffer_load_dword v19, off, s[0:3], 0 offset:140
	buffer_load_dword v20, off, s[0:3], 0 offset:148
	buffer_load_dword v21, off, s[0:3], 0 offset:156
	buffer_load_dword v22, off, s[0:3], 0 offset:168
	buffer_load_dword v23, off, s[0:3], 0 offset:172
	buffer_load_dword v24, off, s[0:3], 0 offset:176
	buffer_load_dword v25, off, s[0:3], 0 offset:180
	buffer_load_dword v26, off, s[0:3], 0 offset:160
	buffer_load_dword v27, off, s[0:3], 0 offset:152
	buffer_load_dword v28, off, s[0:3], 0 offset:164
	buffer_load_dword v118, off, s[0:3], 0 offset:24
	buffer_load_dword v119, off, s[0:3], 0 offset:28
	ds_read_b128 v[125:128], v110 offset:464
	ds_read_b128 v[129:132], v110 offset:480
	;; [unrolled: 1-line block ×7, first 2 shown]
	buffer_load_dword v29, off, s[0:3], 0 offset:184
	buffer_load_dword v30, off, s[0:3], 0 offset:188
	;; [unrolled: 1-line block ×10, first 2 shown]
	ds_read_b128 v[153:156], v110 offset:576
	v_cmp_lt_u32_e32 vcc, 2, v0
	s_waitcnt vmcnt(49) lgkmcnt(7)
	v_mul_f32_e32 v39, v125, v117
	s_waitcnt vmcnt(48)
	v_mul_f32_e32 v40, v127, v116
	s_waitcnt vmcnt(47) lgkmcnt(6)
	v_mul_f32_e32 v41, v129, v115
	s_waitcnt vmcnt(46)
	v_mul_f32_e32 v42, v131, v114
	;; [unrolled: 4-line block ×6, first 2 shown]
	s_waitcnt vmcnt(37)
	v_fmac_f32_e32 v41, v130, v3
	s_waitcnt vmcnt(36)
	v_fmac_f32_e32 v40, v128, v4
	;; [unrolled: 2-line block ×3, first 2 shown]
	v_add_f32_e32 v39, 0, v39
	v_add_f32_e32 v39, v39, v40
	v_add_f32_e32 v39, v39, v41
	s_waitcnt vmcnt(31)
	v_fmac_f32_e32 v42, v132, v9
	v_fmac_f32_e32 v43, v134, v8
	v_add_f32_e32 v39, v39, v42
	v_fmac_f32_e32 v44, v136, v7
	v_add_f32_e32 v39, v39, v43
	;; [unrolled: 2-line block ×3, first 2 shown]
	s_waitcnt vmcnt(27)
	v_fmac_f32_e32 v46, v140, v13
	v_add_f32_e32 v39, v39, v45
	v_fmac_f32_e32 v47, v142, v12
	v_add_f32_e32 v39, v39, v46
	;; [unrolled: 2-line block ×4, first 2 shown]
	v_add_f32_e32 v39, v39, v49
	s_waitcnt vmcnt(23)
	v_fmac_f32_e32 v50, v148, v17
	s_waitcnt vmcnt(22) lgkmcnt(1)
	v_mul_f32_e32 v40, v149, v18
	v_add_f32_e32 v39, v39, v50
	v_fmac_f32_e32 v40, v150, v16
	buffer_load_dword v41, off, s[0:3], 0 offset:228
	v_add_f32_e32 v39, v39, v40
	s_waitcnt vmcnt(22)
	v_mul_f32_e32 v40, v151, v19
	v_fmac_f32_e32 v40, v152, v15
	buffer_load_dword v42, off, s[0:3], 0 offset:224
	buffer_load_dword v43, off, s[0:3], 0 offset:232
	;; [unrolled: 1-line block ×3, first 2 shown]
	ds_read_b128 v[157:160], v110 offset:592
	v_add_f32_e32 v39, v39, v40
	s_waitcnt vmcnt(24) lgkmcnt(1)
	v_mul_f32_e32 v40, v153, v20
	v_fmac_f32_e32 v40, v154, v14
	v_add_f32_e32 v39, v39, v40
	s_waitcnt vmcnt(23)
	v_mul_f32_e32 v40, v155, v21
	buffer_load_dword v45, off, s[0:3], 0 offset:240
	buffer_load_dword v46, off, s[0:3], 0 offset:244
	s_waitcnt vmcnt(19)
	v_fmac_f32_e32 v40, v156, v27
	v_add_f32_e32 v39, v39, v40
	s_waitcnt vmcnt(18) lgkmcnt(0)
	v_mul_f32_e32 v40, v157, v28
	v_fmac_f32_e32 v40, v158, v26
	ds_read_b128 v[161:164], v110 offset:608
	v_add_f32_e32 v39, v39, v40
	buffer_load_dword v40, off, s[0:3], 0 offset:248
	buffer_load_dword v47, off, s[0:3], 0 offset:252
	;; [unrolled: 1-line block ×8, first 2 shown]
	v_mul_f32_e32 v48, v159, v23
	v_fmac_f32_e32 v48, v160, v22
	v_add_f32_e32 v39, v39, v48
	s_waitcnt lgkmcnt(0)
	v_mul_f32_e32 v48, v161, v25
	v_fmac_f32_e32 v48, v162, v24
	v_add_f32_e32 v39, v39, v48
	buffer_load_dword v48, off, s[0:3], 0 offset:280
	buffer_load_dword v55, off, s[0:3], 0 offset:284
	ds_read_b128 v[165:168], v110 offset:624
	buffer_load_dword v57, off, s[0:3], 0 offset:288
	buffer_load_dword v58, off, s[0:3], 0 offset:292
	;; [unrolled: 1-line block ×6, first 2 shown]
	ds_read_b128 v[169:172], v110 offset:640
	buffer_load_dword v229, off, s[0:3], 0 offset:312
	buffer_load_dword v230, off, s[0:3], 0 offset:316
	s_waitcnt vmcnt(32)
	v_mul_f32_e32 v56, v163, v30
	v_fmac_f32_e32 v56, v164, v29
	v_add_f32_e32 v39, v39, v56
	s_waitcnt vmcnt(30) lgkmcnt(1)
	v_mul_f32_e32 v56, v165, v32
	v_fmac_f32_e32 v56, v166, v31
	v_add_f32_e32 v39, v39, v56
	buffer_load_dword v56, off, s[0:3], 0 offset:320
	buffer_load_dword v231, off, s[0:3], 0 offset:324
	buffer_load_dword v232, off, s[0:3], 0 offset:332
	buffer_load_dword v233, off, s[0:3], 0 offset:336
	buffer_load_dword v234, off, s[0:3], 0 offset:340
	buffer_load_dword v235, off, s[0:3], 0 offset:328
	buffer_load_dword v236, off, s[0:3], 0 offset:344
	buffer_load_dword v237, off, s[0:3], 0 offset:348
	buffer_load_dword v238, off, s[0:3], 0 offset:352
	buffer_load_dword v239, off, s[0:3], 0 offset:356
	buffer_load_dword v240, off, s[0:3], 0 offset:364
	buffer_load_dword v241, off, s[0:3], 0 offset:368
	buffer_load_dword v242, off, s[0:3], 0 offset:372
	buffer_load_dword v243, off, s[0:3], 0 offset:360
	s_waitcnt vmcnt(42)
	v_mul_f32_e32 v173, v167, v34
	v_fmac_f32_e32 v173, v168, v33
	v_add_f32_e32 v39, v39, v173
	s_waitcnt vmcnt(40) lgkmcnt(0)
	v_mul_f32_e32 v173, v169, v36
	v_fmac_f32_e32 v173, v170, v35
	v_add_f32_e32 v39, v39, v173
	ds_read_b128 v[173:176], v110 offset:656
	buffer_load_dword v244, off, s[0:3], 0 offset:376
	buffer_load_dword v245, off, s[0:3], 0 offset:380
	s_waitcnt vmcnt(40)
	v_mul_f32_e32 v177, v171, v38
	v_fmac_f32_e32 v177, v172, v37
	v_add_f32_e32 v39, v39, v177
	ds_read_b128 v[177:180], v110 offset:672
	buffer_load_dword v246, off, s[0:3], 0 offset:384
	buffer_load_dword v247, off, s[0:3], 0 offset:388
	;; [unrolled: 1-line block ×12, first 2 shown]
	s_waitcnt vmcnt(51) lgkmcnt(1)
	v_mul_f32_e32 v181, v173, v41
	s_waitcnt vmcnt(50)
	v_fmac_f32_e32 v181, v174, v42
	v_add_f32_e32 v39, v39, v181
	s_waitcnt vmcnt(48)
	v_mul_f32_e32 v181, v175, v44
	v_fmac_f32_e32 v181, v176, v43
	v_add_f32_e32 v39, v39, v181
	s_waitcnt vmcnt(46) lgkmcnt(0)
	v_mul_f32_e32 v181, v177, v46
	v_fmac_f32_e32 v181, v178, v45
	v_add_f32_e32 v39, v39, v181
	ds_read_b128 v[181:184], v110 offset:688
	s_waitcnt vmcnt(44)
	v_mul_f32_e32 v185, v179, v47
	v_fmac_f32_e32 v185, v180, v40
	v_add_f32_e32 v39, v39, v185
	ds_read_b128 v[185:188], v110 offset:704
	s_waitcnt vmcnt(42) lgkmcnt(1)
	v_mul_f32_e32 v189, v181, v50
	v_fmac_f32_e32 v189, v182, v49
	v_add_f32_e32 v39, v39, v189
	s_waitcnt vmcnt(41)
	v_mul_f32_e32 v189, v183, v51
	s_waitcnt vmcnt(38)
	v_fmac_f32_e32 v189, v184, v54
	v_add_f32_e32 v39, v39, v189
	s_waitcnt lgkmcnt(0)
	v_mul_f32_e32 v189, v185, v53
	v_fmac_f32_e32 v189, v186, v52
	v_add_f32_e32 v39, v39, v189
	ds_read_b128 v[189:192], v110 offset:720
	s_waitcnt vmcnt(36)
	v_mul_f32_e32 v193, v187, v55
	v_fmac_f32_e32 v193, v188, v48
	v_add_f32_e32 v39, v39, v193
	ds_read_b128 v[193:196], v110 offset:736
	s_waitcnt vmcnt(34) lgkmcnt(1)
	v_mul_f32_e32 v197, v189, v58
	v_fmac_f32_e32 v197, v190, v57
	v_add_f32_e32 v39, v39, v197
	s_waitcnt vmcnt(33)
	v_mul_f32_e32 v197, v191, v225
	s_waitcnt vmcnt(30)
	v_fmac_f32_e32 v197, v192, v228
	v_add_f32_e32 v39, v39, v197
	s_waitcnt lgkmcnt(0)
	;; [unrolled: 19-line block ×4, first 2 shown]
	v_mul_f32_e32 v213, v209, v242
	v_fmac_f32_e32 v213, v210, v241
	v_add_f32_e32 v39, v39, v213
	ds_read_b128 v[213:216], v110 offset:816
	s_waitcnt vmcnt(12)
	v_mul_f32_e32 v217, v211, v245
	v_fmac_f32_e32 v217, v212, v244
	v_add_f32_e32 v39, v39, v217
	ds_read_b128 v[217:220], v110 offset:832
	s_waitcnt vmcnt(10) lgkmcnt(1)
	v_mul_f32_e32 v221, v213, v247
	v_fmac_f32_e32 v221, v214, v246
	v_add_f32_e32 v39, v39, v221
	s_waitcnt vmcnt(9)
	v_mul_f32_e32 v221, v215, v248
	s_waitcnt vmcnt(6)
	v_fmac_f32_e32 v221, v216, v251
	v_add_f32_e32 v39, v39, v221
	ds_read_b128 v[221:224], v110 offset:848
	s_waitcnt lgkmcnt(1)
	v_mul_f32_e32 v61, v217, v250
	v_fmac_f32_e32 v61, v218, v249
	v_add_f32_e32 v39, v39, v61
	s_waitcnt vmcnt(4)
	v_mul_f32_e32 v61, v219, v253
	v_fmac_f32_e32 v61, v220, v252
	v_add_f32_e32 v39, v39, v61
	s_waitcnt vmcnt(3) lgkmcnt(0)
	v_mul_f32_e32 v61, v221, v254
	s_waitcnt vmcnt(0)
	v_fmac_f32_e32 v61, v222, v60
	v_add_f32_e32 v39, v39, v61
	v_mul_f32_e32 v61, v223, v59
	v_fmac_f32_e32 v61, v224, v255
	v_add_f32_e32 v39, v39, v61
	v_mul_f32_e32 v61, v126, v117
	v_fma_f32 v5, v125, v5, -v61
	v_mul_f32_e32 v61, v128, v116
	v_add_f32_e32 v5, 0, v5
	v_fma_f32 v4, v127, v4, -v61
	v_add_f32_e32 v4, v5, v4
	v_mul_f32_e32 v5, v130, v115
	v_fma_f32 v3, v129, v3, -v5
	v_add_f32_e32 v3, v4, v3
	v_mul_f32_e32 v4, v132, v114
	;; [unrolled: 3-line block ×48, first 2 shown]
	v_fma_f32 v4, v223, v255, -v4
	v_add_f32_e32 v3, v3, v4
	v_sub_f32_e32 v3, v118, v3
	v_sub_f32_e32 v4, v119, v39
	buffer_store_dword v3, off, s[0:3], 0 offset:24
	buffer_store_dword v4, off, s[0:3], 0 offset:28
	s_and_saveexec_b64 s[4:5], vcc
	s_cbranch_execz .LBB117_333
; %bb.332:
	buffer_load_dword v110, off, s[0:3], 0 offset:16
	buffer_load_dword v111, off, s[0:3], 0 offset:20
	v_mov_b32_e32 v3, 0
	buffer_store_dword v3, off, s[0:3], 0 offset:16
	buffer_store_dword v3, off, s[0:3], 0 offset:20
	s_waitcnt vmcnt(2)
	ds_write_b64 v109, v[110:111]
.LBB117_333:
	s_or_b64 exec, exec, s[4:5]
	s_waitcnt lgkmcnt(0)
	; wave barrier
	buffer_load_dword v119, off, s[0:3], 0 offset:28
	buffer_load_dword v118, off, s[0:3], 0 offset:36
	;; [unrolled: 1-line block ×50, first 2 shown]
	v_mov_b32_e32 v110, 0
	ds_read2_b64 v[126:129], v110 offset0:57 offset1:58
	ds_read2_b64 v[130:133], v110 offset0:59 offset1:60
	;; [unrolled: 1-line block ×7, first 2 shown]
	v_cmp_lt_u32_e32 vcc, 1, v0
	s_waitcnt vmcnt(49) lgkmcnt(6)
	v_mul_f32_e32 v38, v126, v119
	s_waitcnt vmcnt(48)
	v_mul_f32_e32 v39, v128, v118
	s_waitcnt vmcnt(47) lgkmcnt(5)
	v_mul_f32_e32 v40, v130, v115
	s_waitcnt vmcnt(46)
	v_mul_f32_e32 v41, v132, v114
	;; [unrolled: 4-line block ×6, first 2 shown]
	s_waitcnt vmcnt(37)
	v_fmac_f32_e32 v40, v131, v3
	s_waitcnt vmcnt(36)
	v_fmac_f32_e32 v39, v129, v4
	;; [unrolled: 2-line block ×3, first 2 shown]
	v_add_f32_e32 v38, 0, v38
	v_add_f32_e32 v38, v38, v39
	;; [unrolled: 1-line block ×3, first 2 shown]
	s_waitcnt vmcnt(31)
	v_fmac_f32_e32 v41, v133, v9
	v_fmac_f32_e32 v42, v135, v8
	v_add_f32_e32 v38, v38, v41
	v_fmac_f32_e32 v43, v137, v7
	v_add_f32_e32 v38, v38, v42
	;; [unrolled: 2-line block ×3, first 2 shown]
	s_waitcnt vmcnt(27)
	v_fmac_f32_e32 v45, v141, v12
	v_add_f32_e32 v38, v38, v44
	v_fmac_f32_e32 v46, v143, v11
	v_add_f32_e32 v38, v38, v45
	;; [unrolled: 2-line block ×4, first 2 shown]
	buffer_load_dword v39, off, s[0:3], 0 offset:216
	buffer_load_dword v40, off, s[0:3], 0 offset:220
	ds_read2_b64 v[154:157], v110 offset0:71 offset1:72
	v_add_f32_e32 v38, v38, v48
	s_waitcnt vmcnt(25)
	v_fmac_f32_e32 v49, v149, v16
	s_waitcnt vmcnt(24) lgkmcnt(1)
	v_mul_f32_e32 v41, v150, v17
	v_add_f32_e32 v38, v38, v49
	v_fmac_f32_e32 v41, v151, v15
	v_add_f32_e32 v38, v38, v41
	s_waitcnt vmcnt(23)
	v_mul_f32_e32 v41, v152, v18
	v_fmac_f32_e32 v41, v153, v14
	v_add_f32_e32 v38, v38, v41
	s_waitcnt vmcnt(22) lgkmcnt(0)
	v_mul_f32_e32 v41, v154, v19
	v_fmac_f32_e32 v41, v155, v13
	v_add_f32_e32 v38, v38, v41
	buffer_load_dword v41, off, s[0:3], 0 offset:228
	buffer_load_dword v42, off, s[0:3], 0 offset:224
	;; [unrolled: 1-line block ×4, first 2 shown]
	s_waitcnt vmcnt(25)
	v_mul_f32_e32 v45, v156, v20
	s_waitcnt vmcnt(18)
	v_fmac_f32_e32 v45, v157, v27
	ds_read2_b64 v[158:161], v110 offset0:73 offset1:74
	ds_read2_b64 v[162:165], v110 offset0:75 offset1:76
	v_add_f32_e32 v38, v38, v45
	buffer_load_dword v45, off, s[0:3], 0 offset:240
	buffer_load_dword v46, off, s[0:3], 0 offset:244
	;; [unrolled: 1-line block ×8, first 2 shown]
	s_waitcnt lgkmcnt(1)
	v_mul_f32_e32 v47, v158, v22
	v_fmac_f32_e32 v47, v159, v21
	v_add_f32_e32 v38, v38, v47
	v_mul_f32_e32 v47, v160, v24
	buffer_load_dword v54, off, s[0:3], 0 offset:272
	buffer_load_dword v55, off, s[0:3], 0 offset:276
	v_fmac_f32_e32 v47, v161, v23
	v_add_f32_e32 v38, v38, v47
	s_waitcnt lgkmcnt(0)
	v_mul_f32_e32 v47, v162, v26
	v_fmac_f32_e32 v47, v163, v25
	v_add_f32_e32 v38, v38, v47
	s_waitcnt vmcnt(24)
	v_mul_f32_e32 v47, v164, v29
	ds_read2_b64 v[166:169], v110 offset0:77 offset1:78
	v_fmac_f32_e32 v47, v165, v28
	v_add_f32_e32 v38, v38, v47
	buffer_load_dword v47, off, s[0:3], 0 offset:280
	buffer_load_dword v56, off, s[0:3], 0 offset:284
	;; [unrolled: 1-line block ×6, first 2 shown]
	ds_read2_b64 v[170:173], v110 offset0:79 offset1:80
	s_waitcnt vmcnt(28) lgkmcnt(1)
	v_mul_f32_e32 v61, v166, v31
	v_fmac_f32_e32 v61, v167, v30
	v_add_f32_e32 v38, v38, v61
	buffer_load_dword v61, off, s[0:3], 0 offset:304
	buffer_load_dword v62, off, s[0:3], 0 offset:308
	;; [unrolled: 1-line block ×10, first 2 shown]
	s_waitcnt vmcnt(36)
	v_mul_f32_e32 v174, v168, v33
	v_fmac_f32_e32 v174, v169, v32
	v_add_f32_e32 v38, v38, v174
	s_waitcnt vmcnt(34) lgkmcnt(0)
	v_mul_f32_e32 v174, v170, v35
	v_fmac_f32_e32 v174, v171, v34
	v_add_f32_e32 v38, v38, v174
	ds_read2_b64 v[174:177], v110 offset0:81 offset1:82
	buffer_load_dword v236, off, s[0:3], 0 offset:344
	buffer_load_dword v237, off, s[0:3], 0 offset:348
	buffer_load_dword v238, off, s[0:3], 0 offset:356
	buffer_load_dword v239, off, s[0:3], 0 offset:360
	buffer_load_dword v240, off, s[0:3], 0 offset:364
	buffer_load_dword v241, off, s[0:3], 0 offset:352
	s_waitcnt vmcnt(38)
	v_mul_f32_e32 v178, v172, v37
	v_fmac_f32_e32 v178, v173, v36
	v_add_f32_e32 v38, v38, v178
	ds_read2_b64 v[178:181], v110 offset0:83 offset1:84
	buffer_load_dword v242, off, s[0:3], 0 offset:368
	buffer_load_dword v243, off, s[0:3], 0 offset:372
	;; [unrolled: 1-line block ×16, first 2 shown]
	s_waitcnt vmcnt(52) lgkmcnt(1)
	v_mul_f32_e32 v182, v174, v40
	v_fmac_f32_e32 v182, v175, v39
	v_add_f32_e32 v38, v38, v182
	s_waitcnt vmcnt(51)
	v_mul_f32_e32 v182, v176, v41
	s_waitcnt vmcnt(50)
	v_fmac_f32_e32 v182, v177, v42
	v_add_f32_e32 v38, v38, v182
	s_waitcnt vmcnt(48) lgkmcnt(0)
	v_mul_f32_e32 v182, v178, v44
	v_fmac_f32_e32 v182, v179, v43
	v_add_f32_e32 v38, v38, v182
	ds_read2_b64 v[182:185], v110 offset0:85 offset1:86
	s_waitcnt vmcnt(46)
	v_mul_f32_e32 v186, v180, v46
	v_fmac_f32_e32 v186, v181, v45
	v_add_f32_e32 v38, v38, v186
	ds_read2_b64 v[186:189], v110 offset0:87 offset1:88
	s_waitcnt vmcnt(44) lgkmcnt(1)
	v_mul_f32_e32 v190, v182, v49
	v_fmac_f32_e32 v190, v183, v48
	v_add_f32_e32 v38, v38, v190
	s_waitcnt vmcnt(43)
	v_mul_f32_e32 v190, v184, v50
	s_waitcnt vmcnt(40)
	v_fmac_f32_e32 v190, v185, v53
	v_add_f32_e32 v38, v38, v190
	s_waitcnt lgkmcnt(0)
	v_mul_f32_e32 v190, v186, v52
	v_fmac_f32_e32 v190, v187, v51
	v_add_f32_e32 v38, v38, v190
	ds_read2_b64 v[190:193], v110 offset0:89 offset1:90
	s_waitcnt vmcnt(38)
	v_mul_f32_e32 v194, v188, v55
	v_fmac_f32_e32 v194, v189, v54
	v_add_f32_e32 v38, v38, v194
	ds_read2_b64 v[194:197], v110 offset0:91 offset1:92
	s_waitcnt vmcnt(36) lgkmcnt(1)
	v_mul_f32_e32 v198, v190, v56
	v_fmac_f32_e32 v198, v191, v47
	v_add_f32_e32 v38, v38, v198
	s_waitcnt vmcnt(35)
	v_mul_f32_e32 v198, v192, v57
	s_waitcnt vmcnt(32)
	v_fmac_f32_e32 v198, v193, v60
	v_add_f32_e32 v38, v38, v198
	s_waitcnt lgkmcnt(0)
	;; [unrolled: 19-line block ×5, first 2 shown]
	v_mul_f32_e32 v222, v218, v248
	v_fmac_f32_e32 v222, v219, v247
	v_add_f32_e32 v38, v38, v222
	ds_read2_b64 v[222:225], v110 offset0:105 offset1:106
	s_waitcnt vmcnt(6)
	v_mul_f32_e32 v226, v220, v251
	v_fmac_f32_e32 v226, v221, v250
	v_add_f32_e32 v38, v38, v226
	ds_read_b64 v[226:227], v110 offset:856
	s_waitcnt vmcnt(4) lgkmcnt(1)
	v_mul_f32_e32 v65, v222, v253
	v_fmac_f32_e32 v65, v223, v252
	v_add_f32_e32 v38, v38, v65
	s_waitcnt vmcnt(3)
	v_mul_f32_e32 v65, v224, v254
	s_waitcnt vmcnt(0)
	v_fmac_f32_e32 v65, v225, v64
	v_add_f32_e32 v38, v38, v65
	s_waitcnt lgkmcnt(0)
	v_mul_f32_e32 v65, v226, v63
	v_fmac_f32_e32 v65, v227, v255
	v_add_f32_e32 v38, v38, v65
	v_mul_f32_e32 v65, v127, v119
	v_fma_f32 v5, v126, v5, -v65
	v_mul_f32_e32 v65, v129, v118
	v_add_f32_e32 v5, 0, v5
	v_fma_f32 v4, v128, v4, -v65
	v_add_f32_e32 v4, v5, v4
	v_mul_f32_e32 v5, v131, v115
	v_fma_f32 v3, v130, v3, -v5
	v_add_f32_e32 v3, v4, v3
	v_mul_f32_e32 v4, v133, v114
	;; [unrolled: 3-line block ×49, first 2 shown]
	v_fma_f32 v4, v226, v255, -v4
	v_add_f32_e32 v3, v3, v4
	v_sub_f32_e32 v3, v116, v3
	v_sub_f32_e32 v4, v117, v38
	buffer_store_dword v3, off, s[0:3], 0 offset:16
	buffer_store_dword v4, off, s[0:3], 0 offset:20
	s_and_saveexec_b64 s[4:5], vcc
	s_cbranch_execz .LBB117_335
; %bb.334:
	buffer_load_dword v111, off, s[0:3], 0 offset:8
	buffer_load_dword v112, off, s[0:3], 0 offset:12
	s_waitcnt vmcnt(0)
	ds_write_b64 v109, v[111:112]
	buffer_store_dword v110, off, s[0:3], 0 offset:8
	buffer_store_dword v110, off, s[0:3], 0 offset:12
.LBB117_335:
	s_or_b64 exec, exec, s[4:5]
	s_waitcnt lgkmcnt(0)
	; wave barrier
	buffer_load_dword v119, off, s[0:3], 0 offset:20
	buffer_load_dword v116, off, s[0:3], 0 offset:28
	;; [unrolled: 1-line block ×40, first 2 shown]
	ds_read_b128 v[134:137], v110 offset:448
	ds_read_b128 v[138:141], v110 offset:464
	;; [unrolled: 1-line block ×6, first 2 shown]
	buffer_load_dword v20, off, s[0:3], 0 offset:168
	buffer_load_dword v21, off, s[0:3], 0 offset:172
	buffer_load_dword v22, off, s[0:3], 0 offset:176
	buffer_load_dword v23, off, s[0:3], 0 offset:180
	buffer_load_dword v24, off, s[0:3], 0 offset:184
	buffer_load_dword v25, off, s[0:3], 0 offset:188
	buffer_load_dword v26, off, s[0:3], 0 offset:192
	buffer_load_dword v27, off, s[0:3], 0 offset:196
	buffer_load_dword v28, off, s[0:3], 0 offset:200
	buffer_load_dword v29, off, s[0:3], 0 offset:204
	buffer_load_dword v30, off, s[0:3], 0 offset:208
	buffer_load_dword v31, off, s[0:3], 0 offset:212
	ds_read_b128 v[158:161], v110 offset:544
	ds_read_b128 v[162:165], v110 offset:560
	v_cmp_ne_u32_e32 vcc, 0, v0
	s_waitcnt vmcnt(51) lgkmcnt(7)
	v_mul_f32_e32 v32, v134, v119
	s_waitcnt vmcnt(50)
	v_mul_f32_e32 v33, v136, v116
	s_waitcnt vmcnt(49) lgkmcnt(6)
	v_mul_f32_e32 v34, v138, v115
	s_waitcnt vmcnt(48)
	v_mul_f32_e32 v35, v140, v114
	;; [unrolled: 4-line block ×5, first 2 shown]
	s_waitcnt vmcnt(41) lgkmcnt(2)
	v_mul_f32_e32 v42, v154, v123
	s_waitcnt vmcnt(40)
	v_fmac_f32_e32 v34, v139, v130
	s_waitcnt vmcnt(39)
	v_fmac_f32_e32 v33, v137, v133
	;; [unrolled: 2-line block ×3, first 2 shown]
	v_add_f32_e32 v32, 0, v32
	v_add_f32_e32 v32, v32, v33
	;; [unrolled: 1-line block ×3, first 2 shown]
	s_waitcnt vmcnt(34)
	v_fmac_f32_e32 v35, v141, v4
	v_fmac_f32_e32 v36, v143, v132
	v_add_f32_e32 v32, v32, v35
	v_fmac_f32_e32 v37, v145, v129
	v_add_f32_e32 v32, v32, v36
	buffer_load_dword v34, off, s[0:3], 0 offset:216
	buffer_load_dword v35, off, s[0:3], 0 offset:220
	v_fmac_f32_e32 v38, v147, v126
	v_add_f32_e32 v32, v32, v37
	s_waitcnt vmcnt(32)
	v_fmac_f32_e32 v39, v149, v131
	v_add_f32_e32 v32, v32, v38
	buffer_load_dword v36, off, s[0:3], 0 offset:224
	buffer_load_dword v37, off, s[0:3], 0 offset:228
	v_add_f32_e32 v32, v32, v39
	ds_read_b128 v[166:169], v110 offset:576
	buffer_load_dword v38, off, s[0:3], 0 offset:232
	buffer_load_dword v39, off, s[0:3], 0 offset:236
	v_fmac_f32_e32 v40, v151, v128
	v_fmac_f32_e32 v41, v153, v125
	v_add_f32_e32 v32, v32, v40
	v_fmac_f32_e32 v42, v155, v124
	v_add_f32_e32 v32, v32, v41
	s_waitcnt vmcnt(35)
	v_mul_f32_e32 v33, v156, v127
	v_add_f32_e32 v32, v32, v42
	s_waitcnt vmcnt(31)
	v_fmac_f32_e32 v33, v157, v8
	v_add_f32_e32 v32, v32, v33
	s_waitcnt vmcnt(30) lgkmcnt(2)
	v_mul_f32_e32 v33, v158, v9
	v_fmac_f32_e32 v33, v159, v7
	v_add_f32_e32 v32, v32, v33
	s_waitcnt vmcnt(29)
	v_mul_f32_e32 v33, v160, v10
	v_fmac_f32_e32 v33, v161, v6
	v_add_f32_e32 v32, v32, v33
	s_waitcnt vmcnt(28) lgkmcnt(1)
	v_mul_f32_e32 v33, v162, v11
	v_fmac_f32_e32 v33, v163, v5
	v_add_f32_e32 v32, v32, v33
	s_waitcnt vmcnt(27)
	v_mul_f32_e32 v33, v164, v12
	s_waitcnt vmcnt(21)
	v_fmac_f32_e32 v33, v165, v18
	ds_read_b128 v[170:173], v110 offset:592
	v_add_f32_e32 v32, v32, v33
	s_waitcnt vmcnt(20) lgkmcnt(1)
	v_mul_f32_e32 v33, v166, v19
	v_fmac_f32_e32 v33, v167, v17
	v_add_f32_e32 v32, v32, v33
	v_mul_f32_e32 v33, v168, v14
	v_fmac_f32_e32 v33, v169, v13
	v_add_f32_e32 v32, v32, v33
	s_waitcnt lgkmcnt(0)
	v_mul_f32_e32 v33, v170, v16
	v_fmac_f32_e32 v33, v171, v15
	v_add_f32_e32 v32, v32, v33
	buffer_load_dword v33, off, s[0:3], 0 offset:240
	buffer_load_dword v40, off, s[0:3], 0 offset:244
	;; [unrolled: 1-line block ×6, first 2 shown]
	s_waitcnt vmcnt(22)
	v_mul_f32_e32 v45, v172, v21
	v_fmac_f32_e32 v45, v173, v20
	ds_read_b128 v[174:177], v110 offset:608
	v_add_f32_e32 v32, v32, v45
	buffer_load_dword v45, off, s[0:3], 0 offset:264
	buffer_load_dword v46, off, s[0:3], 0 offset:268
	ds_read_b128 v[178:181], v110 offset:624
	buffer_load_dword v48, off, s[0:3], 0 offset:272
	buffer_load_dword v49, off, s[0:3], 0 offset:276
	;; [unrolled: 1-line block ×14, first 2 shown]
	s_waitcnt vmcnt(36) lgkmcnt(1)
	v_mul_f32_e32 v47, v174, v23
	v_fmac_f32_e32 v47, v175, v22
	v_add_f32_e32 v32, v32, v47
	s_waitcnt vmcnt(34)
	v_mul_f32_e32 v47, v176, v25
	buffer_load_dword v62, off, s[0:3], 0 offset:328
	buffer_load_dword v63, off, s[0:3], 0 offset:332
	v_fmac_f32_e32 v47, v177, v24
	v_add_f32_e32 v32, v32, v47
	s_waitcnt vmcnt(34) lgkmcnt(0)
	v_mul_f32_e32 v47, v178, v27
	v_fmac_f32_e32 v47, v179, v26
	v_add_f32_e32 v32, v32, v47
	s_waitcnt vmcnt(32)
	v_mul_f32_e32 v47, v180, v29
	v_fmac_f32_e32 v47, v181, v28
	ds_read_b128 v[182:185], v110 offset:640
	v_add_f32_e32 v32, v32, v47
	buffer_load_dword v47, off, s[0:3], 0 offset:336
	buffer_load_dword v64, off, s[0:3], 0 offset:340
	;; [unrolled: 1-line block ×6, first 2 shown]
	ds_read_b128 v[186:189], v110 offset:656
	buffer_load_dword v240, off, s[0:3], 0 offset:360
	buffer_load_dword v241, off, s[0:3], 0 offset:364
	;; [unrolled: 1-line block ×10, first 2 shown]
	s_waitcnt vmcnt(46) lgkmcnt(1)
	v_mul_f32_e32 v190, v182, v31
	v_fmac_f32_e32 v190, v183, v30
	v_add_f32_e32 v32, v32, v190
	buffer_load_dword v250, off, s[0:3], 0 offset:400
	buffer_load_dword v251, off, s[0:3], 0 offset:404
	;; [unrolled: 1-line block ×6, first 2 shown]
	s_waitcnt vmcnt(50)
	v_mul_f32_e32 v190, v184, v35
	v_fmac_f32_e32 v190, v185, v34
	v_add_f32_e32 v32, v32, v190
	s_waitcnt vmcnt(48) lgkmcnt(0)
	v_mul_f32_e32 v190, v186, v37
	v_fmac_f32_e32 v190, v187, v36
	v_add_f32_e32 v32, v32, v190
	s_waitcnt vmcnt(46)
	v_mul_f32_e32 v194, v188, v39
	v_fmac_f32_e32 v194, v189, v38
	ds_read_b128 v[190:193], v110 offset:672
	v_add_f32_e32 v32, v32, v194
	ds_read_b128 v[194:197], v110 offset:688
	buffer_load_dword v67, off, s[0:3], 0 offset:424
	buffer_load_dword v68, off, s[0:3], 0 offset:428
	s_waitcnt vmcnt(46) lgkmcnt(1)
	v_mul_f32_e32 v198, v190, v40
	v_fmac_f32_e32 v198, v191, v33
	v_add_f32_e32 v32, v32, v198
	s_waitcnt vmcnt(45)
	v_mul_f32_e32 v198, v192, v41
	s_waitcnt vmcnt(42)
	v_fmac_f32_e32 v198, v193, v44
	v_add_f32_e32 v32, v32, v198
	s_waitcnt lgkmcnt(0)
	v_mul_f32_e32 v198, v194, v43
	v_fmac_f32_e32 v198, v195, v42
	v_add_f32_e32 v32, v32, v198
	ds_read_b128 v[198:201], v110 offset:704
	s_waitcnt vmcnt(40)
	v_mul_f32_e32 v202, v196, v46
	v_fmac_f32_e32 v202, v197, v45
	v_add_f32_e32 v32, v32, v202
	ds_read_b128 v[202:205], v110 offset:720
	s_waitcnt vmcnt(38) lgkmcnt(1)
	v_mul_f32_e32 v206, v198, v49
	v_fmac_f32_e32 v206, v199, v48
	v_add_f32_e32 v32, v32, v206
	s_waitcnt vmcnt(37)
	v_mul_f32_e32 v206, v200, v50
	s_waitcnt vmcnt(34)
	v_fmac_f32_e32 v206, v201, v53
	v_add_f32_e32 v32, v32, v206
	s_waitcnt lgkmcnt(0)
	v_mul_f32_e32 v206, v202, v52
	v_fmac_f32_e32 v206, v203, v51
	v_add_f32_e32 v32, v32, v206
	ds_read_b128 v[206:209], v110 offset:736
	s_waitcnt vmcnt(32)
	v_mul_f32_e32 v210, v204, v55
	v_fmac_f32_e32 v210, v205, v54
	v_add_f32_e32 v32, v32, v210
	ds_read_b128 v[210:213], v110 offset:752
	;; [unrolled: 19-line block ×5, first 2 shown]
	s_waitcnt vmcnt(6) lgkmcnt(1)
	v_mul_f32_e32 v110, v230, v251
	v_fmac_f32_e32 v110, v231, v250
	v_add_f32_e32 v32, v32, v110
	s_waitcnt vmcnt(5)
	v_mul_f32_e32 v110, v232, v252
	s_waitcnt vmcnt(2)
	v_fmac_f32_e32 v110, v233, v255
	v_add_f32_e32 v32, v32, v110
	s_waitcnt lgkmcnt(0)
	v_mul_f32_e32 v110, v234, v254
	v_fmac_f32_e32 v110, v235, v253
	v_add_f32_e32 v32, v32, v110
	s_waitcnt vmcnt(0)
	v_mul_f32_e32 v110, v236, v68
	v_fmac_f32_e32 v110, v237, v67
	v_add_f32_e32 v32, v32, v110
	v_mul_f32_e32 v110, v135, v119
	v_fma_f32 v3, v134, v3, -v110
	v_mul_f32_e32 v110, v137, v116
	v_add_f32_e32 v3, 0, v3
	v_fma_f32 v110, v136, v133, -v110
	v_add_f32_e32 v3, v3, v110
	v_mul_f32_e32 v110, v139, v115
	v_fma_f32 v110, v138, v130, -v110
	v_add_f32_e32 v3, v3, v110
	v_mul_f32_e32 v110, v141, v114
	;; [unrolled: 3-line block ×50, first 2 shown]
	v_fma_f32 v4, v236, v67, -v4
	v_add_f32_e32 v3, v3, v4
	v_sub_f32_e32 v3, v117, v3
	v_sub_f32_e32 v4, v118, v32
	buffer_store_dword v3, off, s[0:3], 0 offset:8
	buffer_store_dword v4, off, s[0:3], 0 offset:12
	s_and_saveexec_b64 s[4:5], vcc
	s_cbranch_execz .LBB117_337
; %bb.336:
	buffer_load_dword v110, off, s[0:3], 0
	buffer_load_dword v111, off, s[0:3], 0 offset:4
	v_mov_b32_e32 v0, 0
	buffer_store_dword v0, off, s[0:3], 0
	buffer_store_dword v0, off, s[0:3], 0 offset:4
	s_waitcnt vmcnt(2)
	ds_write_b64 v109, v[110:111]
.LBB117_337:
	s_or_b64 exec, exec, s[4:5]
	s_waitcnt lgkmcnt(0)
	; wave barrier
	buffer_load_dword v117, off, s[0:3], 0 offset:12
	buffer_load_dword v116, off, s[0:3], 0 offset:20
	;; [unrolled: 1-line block ×38, first 2 shown]
	buffer_load_dword v109, off, s[0:3], 0
	buffer_load_dword v110, off, s[0:3], 0 offset:4
	buffer_load_dword v7, off, s[0:3], 0 offset:160
	;; [unrolled: 1-line block ×12, first 2 shown]
	v_mov_b32_e32 v0, 0
	ds_read2_b64 v[145:148], v0 offset0:55 offset1:56
	ds_read2_b64 v[149:152], v0 offset0:57 offset1:58
	;; [unrolled: 1-line block ×8, first 2 shown]
	s_and_b64 vcc, exec, s[14:15]
	s_waitcnt vmcnt(50) lgkmcnt(7)
	v_mul_f32_e32 v18, v145, v117
	s_waitcnt vmcnt(49)
	v_mul_f32_e32 v19, v147, v116
	s_waitcnt vmcnt(48) lgkmcnt(6)
	v_mul_f32_e32 v20, v149, v115
	s_waitcnt vmcnt(47)
	v_mul_f32_e32 v21, v151, v114
	;; [unrolled: 4-line block ×5, first 2 shown]
	s_waitcnt vmcnt(40) lgkmcnt(2)
	v_mul_f32_e32 v28, v165, v121
	s_waitcnt vmcnt(39)
	v_fmac_f32_e32 v20, v150, v128
	s_waitcnt vmcnt(38)
	v_fmac_f32_e32 v19, v148, v131
	;; [unrolled: 2-line block ×3, first 2 shown]
	v_add_f32_e32 v18, 0, v18
	v_add_f32_e32 v18, v18, v19
	;; [unrolled: 1-line block ×3, first 2 shown]
	s_waitcnt vmcnt(33)
	v_fmac_f32_e32 v21, v152, v132
	v_fmac_f32_e32 v22, v154, v130
	v_add_f32_e32 v18, v18, v21
	v_fmac_f32_e32 v23, v156, v127
	v_add_f32_e32 v18, v18, v22
	;; [unrolled: 2-line block ×3, first 2 shown]
	s_waitcnt vmcnt(29)
	v_fmac_f32_e32 v25, v160, v129
	v_add_f32_e32 v18, v18, v24
	v_fmac_f32_e32 v26, v162, v126
	v_add_f32_e32 v18, v18, v25
	;; [unrolled: 2-line block ×4, first 2 shown]
	s_waitcnt vmcnt(28)
	v_mul_f32_e32 v19, v167, v125
	v_add_f32_e32 v18, v18, v28
	s_waitcnt vmcnt(24)
	v_fmac_f32_e32 v19, v168, v140
	s_waitcnt vmcnt(23) lgkmcnt(1)
	v_mul_f32_e32 v22, v169, v139
	v_add_f32_e32 v18, v18, v19
	buffer_load_dword v19, off, s[0:3], 0 offset:200
	buffer_load_dword v20, off, s[0:3], 0 offset:208
	;; [unrolled: 1-line block ×3, first 2 shown]
	v_fmac_f32_e32 v22, v170, v137
	s_waitcnt vmcnt(25)
	v_mul_f32_e32 v24, v171, v138
	v_add_f32_e32 v18, v18, v22
	v_fmac_f32_e32 v24, v172, v135
	buffer_load_dword v22, off, s[0:3], 0 offset:216
	buffer_load_dword v23, off, s[0:3], 0 offset:220
	v_add_f32_e32 v18, v18, v24
	s_waitcnt vmcnt(26) lgkmcnt(0)
	v_mul_f32_e32 v24, v173, v136
	v_fmac_f32_e32 v24, v174, v134
	v_add_f32_e32 v18, v18, v24
	ds_read2_b64 v[177:180], v0 offset0:71 offset1:72
	buffer_load_dword v24, off, s[0:3], 0 offset:224
	buffer_load_dword v25, off, s[0:3], 0 offset:228
	s_waitcnt vmcnt(27)
	v_mul_f32_e32 v26, v175, v141
	s_waitcnt vmcnt(20)
	v_fmac_f32_e32 v26, v176, v6
	v_add_f32_e32 v18, v18, v26
	s_waitcnt lgkmcnt(0)
	v_mul_f32_e32 v26, v177, v143
	v_fmac_f32_e32 v26, v178, v142
	ds_read2_b64 v[181:184], v0 offset0:73 offset1:74
	v_add_f32_e32 v18, v18, v26
	buffer_load_dword v26, off, s[0:3], 0 offset:232
	buffer_load_dword v27, off, s[0:3], 0 offset:236
	ds_read2_b64 v[185:188], v0 offset0:75 offset1:76
	buffer_load_dword v29, off, s[0:3], 0 offset:244
	buffer_load_dword v30, off, s[0:3], 0 offset:248
	;; [unrolled: 1-line block ×4, first 2 shown]
	v_mul_f32_e32 v28, v179, v3
	v_fmac_f32_e32 v28, v180, v144
	v_add_f32_e32 v18, v18, v28
	s_waitcnt lgkmcnt(1)
	v_mul_f32_e32 v28, v181, v5
	ds_read2_b64 v[189:192], v0 offset0:77 offset1:78
	buffer_load_dword v33, off, s[0:3], 0 offset:256
	buffer_load_dword v34, off, s[0:3], 0 offset:260
	v_fmac_f32_e32 v28, v182, v4
	v_add_f32_e32 v18, v18, v28
	s_waitcnt vmcnt(24)
	v_mul_f32_e32 v28, v183, v8
	v_fmac_f32_e32 v28, v184, v7
	v_add_f32_e32 v18, v18, v28
	s_waitcnt vmcnt(22) lgkmcnt(1)
	v_mul_f32_e32 v28, v185, v10
	v_fmac_f32_e32 v28, v186, v9
	v_add_f32_e32 v18, v18, v28
	buffer_load_dword v28, off, s[0:3], 0 offset:264
	buffer_load_dword v35, off, s[0:3], 0 offset:268
	;; [unrolled: 1-line block ×8, first 2 shown]
	s_waitcnt vmcnt(28)
	v_mul_f32_e32 v40, v187, v12
	v_fmac_f32_e32 v40, v188, v11
	v_add_f32_e32 v18, v18, v40
	s_waitcnt vmcnt(26) lgkmcnt(0)
	v_mul_f32_e32 v40, v189, v14
	v_fmac_f32_e32 v40, v190, v13
	v_add_f32_e32 v18, v18, v40
	buffer_load_dword v40, off, s[0:3], 0 offset:296
	buffer_load_dword v43, off, s[0:3], 0 offset:300
	;; [unrolled: 1-line block ×6, first 2 shown]
	s_waitcnt vmcnt(30)
	v_mul_f32_e32 v48, v191, v16
	v_fmac_f32_e32 v48, v192, v15
	ds_read2_b64 v[193:196], v0 offset0:79 offset1:80
	v_add_f32_e32 v18, v18, v48
	buffer_load_dword v48, off, s[0:3], 0 offset:320
	buffer_load_dword v49, off, s[0:3], 0 offset:324
	ds_read2_b64 v[197:200], v0 offset0:81 offset1:82
	buffer_load_dword v51, off, s[0:3], 0 offset:328
	buffer_load_dword v52, off, s[0:3], 0 offset:332
	;; [unrolled: 1-line block ×14, first 2 shown]
	s_waitcnt vmcnt(45) lgkmcnt(1)
	v_mul_f32_e32 v50, v193, v17
	buffer_load_dword v65, off, s[0:3], 0 offset:384
	buffer_load_dword v66, off, s[0:3], 0 offset:388
	ds_read2_b64 v[201:204], v0 offset0:83 offset1:84
	v_mul_f32_e32 v72, v148, v116
	v_fma_f32 v72, v147, v131, -v72
	v_mul_f32_e32 v3, v180, v3
	v_fma_f32 v3, v179, v144, -v3
	;; [unrolled: 2-line block ×3, first 2 shown]
	s_waitcnt vmcnt(46)
	v_fmac_f32_e32 v50, v194, v19
	v_add_f32_e32 v18, v18, v50
	s_waitcnt vmcnt(44)
	v_mul_f32_e32 v50, v195, v21
	v_fmac_f32_e32 v50, v196, v20
	v_add_f32_e32 v18, v18, v50
	s_waitcnt vmcnt(42) lgkmcnt(1)
	v_mul_f32_e32 v50, v197, v23
	v_fmac_f32_e32 v50, v198, v22
	v_add_f32_e32 v18, v18, v50
	s_waitcnt vmcnt(40)
	v_mul_f32_e32 v50, v199, v25
	v_fmac_f32_e32 v50, v200, v24
	v_add_f32_e32 v18, v18, v50
	buffer_load_dword v50, off, s[0:3], 0 offset:392
	buffer_load_dword v67, off, s[0:3], 0 offset:396
	;; [unrolled: 1-line block ×6, first 2 shown]
	ds_read2_b64 v[205:208], v0 offset0:85 offset1:86
	buffer_load_dword v254, off, s[0:3], 0 offset:420
	buffer_load_dword v255, off, s[0:3], 0 offset:424
	;; [unrolled: 1-line block ×4, first 2 shown]
	s_waitcnt vmcnt(48) lgkmcnt(1)
	v_mul_f32_e32 v209, v201, v27
	v_fmac_f32_e32 v209, v202, v26
	v_add_f32_e32 v18, v18, v209
	s_waitcnt vmcnt(47)
	v_mul_f32_e32 v209, v203, v29
	s_waitcnt vmcnt(44)
	v_fmac_f32_e32 v209, v204, v32
	v_add_f32_e32 v18, v18, v209
	s_waitcnt lgkmcnt(0)
	v_mul_f32_e32 v209, v205, v31
	v_fmac_f32_e32 v209, v206, v30
	v_add_f32_e32 v18, v18, v209
	ds_read2_b64 v[209:212], v0 offset0:87 offset1:88
	s_waitcnt vmcnt(42)
	v_mul_f32_e32 v213, v207, v34
	v_fmac_f32_e32 v213, v208, v33
	v_add_f32_e32 v18, v18, v213
	ds_read2_b64 v[213:216], v0 offset0:89 offset1:90
	s_waitcnt vmcnt(40) lgkmcnt(1)
	v_mul_f32_e32 v217, v209, v35
	v_fmac_f32_e32 v217, v210, v28
	v_add_f32_e32 v18, v18, v217
	s_waitcnt vmcnt(39)
	v_mul_f32_e32 v217, v211, v36
	s_waitcnt vmcnt(36)
	v_fmac_f32_e32 v217, v212, v39
	v_add_f32_e32 v18, v18, v217
	s_waitcnt lgkmcnt(0)
	v_mul_f32_e32 v217, v213, v38
	v_fmac_f32_e32 v217, v214, v37
	v_add_f32_e32 v18, v18, v217
	ds_read2_b64 v[217:220], v0 offset0:91 offset1:92
	s_waitcnt vmcnt(34)
	v_mul_f32_e32 v221, v215, v42
	v_fmac_f32_e32 v221, v216, v41
	v_add_f32_e32 v18, v18, v221
	ds_read2_b64 v[221:224], v0 offset0:93 offset1:94
	;; [unrolled: 19-line block ×5, first 2 shown]
	s_waitcnt vmcnt(8) lgkmcnt(1)
	v_mul_f32_e32 v249, v241, v67
	v_fmac_f32_e32 v249, v242, v50
	v_add_f32_e32 v18, v18, v249
	s_waitcnt vmcnt(7)
	v_mul_f32_e32 v249, v243, v68
	s_waitcnt vmcnt(4)
	v_fmac_f32_e32 v249, v244, v253
	v_add_f32_e32 v18, v18, v249
	ds_read_b64 v[249:250], v0 offset:856
	s_waitcnt lgkmcnt(1)
	v_mul_f32_e32 v71, v245, v252
	v_fmac_f32_e32 v71, v246, v251
	v_add_f32_e32 v18, v18, v71
	s_waitcnt vmcnt(3)
	v_mul_f32_e32 v71, v247, v254
	s_waitcnt vmcnt(0)
	v_fmac_f32_e32 v71, v248, v70
	v_add_f32_e32 v18, v18, v71
	s_waitcnt lgkmcnt(0)
	v_mul_f32_e32 v71, v249, v69
	v_fmac_f32_e32 v71, v250, v255
	v_add_f32_e32 v18, v18, v71
	v_mul_f32_e32 v71, v146, v117
	v_fma_f32 v71, v145, v133, -v71
	v_add_f32_e32 v71, 0, v71
	v_add_f32_e32 v71, v71, v72
	v_mul_f32_e32 v72, v150, v115
	v_fma_f32 v72, v149, v128, -v72
	v_add_f32_e32 v71, v71, v72
	v_mul_f32_e32 v72, v152, v114
	v_fma_f32 v72, v151, v132, -v72
	;; [unrolled: 3-line block ×15, first 2 shown]
	v_add_f32_e32 v6, v6, v71
	v_add_f32_e32 v3, v6, v3
	;; [unrolled: 1-line block ×3, first 2 shown]
	v_mul_f32_e32 v4, v184, v8
	v_fma_f32 v4, v183, v7, -v4
	v_add_f32_e32 v3, v3, v4
	v_mul_f32_e32 v4, v186, v10
	v_fma_f32 v4, v185, v9, -v4
	v_add_f32_e32 v3, v3, v4
	;; [unrolled: 3-line block ×34, first 2 shown]
	v_sub_f32_e32 v3, v109, v3
	v_sub_f32_e32 v4, v110, v18
	buffer_store_dword v3, off, s[0:3], 0
	buffer_store_dword v4, off, s[0:3], 0 offset:4
	s_cbranch_vccz .LBB117_444
; %bb.338:
	global_load_dword v0, v0, s[12:13] offset:208
	s_waitcnt vmcnt(0)
	v_add_u32_e32 v0, -1, v0
	v_cmp_ne_u32_e32 vcc, 52, v0
	s_cbranch_vccz .LBB117_340
; %bb.339:
	v_lshlrev_b32_e32 v0, 3, v0
	buffer_load_dword v3, v0, s[0:3], 0 offen
	buffer_load_dword v4, v0, s[0:3], 0 offen offset:4
	buffer_load_dword v5, off, s[0:3], 0 offset:420
	buffer_load_dword v6, off, s[0:3], 0 offset:416
	s_waitcnt vmcnt(3)
	buffer_store_dword v3, off, s[0:3], 0 offset:416
	s_waitcnt vmcnt(3)
	buffer_store_dword v4, off, s[0:3], 0 offset:420
	s_waitcnt vmcnt(3)
	buffer_store_dword v5, v0, s[0:3], 0 offen offset:4
	s_waitcnt vmcnt(3)
	buffer_store_dword v6, v0, s[0:3], 0 offen
.LBB117_340:
	v_mov_b32_e32 v0, 0
	global_load_dword v3, v0, s[12:13] offset:204
	s_waitcnt vmcnt(0)
	v_add_u32_e32 v109, -1, v3
	v_cmp_eq_u32_e32 vcc, 51, v109
	s_cbranch_vccnz .LBB117_342
; %bb.341:
	v_lshlrev_b32_e32 v3, 3, v109
	buffer_load_dword v4, v3, s[0:3], 0 offen
	buffer_load_dword v5, v3, s[0:3], 0 offen offset:4
	buffer_load_dword v6, off, s[0:3], 0 offset:408
	buffer_load_dword v7, off, s[0:3], 0 offset:412
	s_waitcnt vmcnt(3)
	buffer_store_dword v4, off, s[0:3], 0 offset:408
	s_waitcnt vmcnt(3)
	buffer_store_dword v5, off, s[0:3], 0 offset:412
	s_waitcnt vmcnt(3)
	buffer_store_dword v6, v3, s[0:3], 0 offen
	s_waitcnt vmcnt(3)
	buffer_store_dword v7, v3, s[0:3], 0 offen offset:4
.LBB117_342:
	global_load_dword v0, v0, s[12:13] offset:200
	s_waitcnt vmcnt(0)
	v_add_u32_e32 v0, -1, v0
	v_cmp_eq_u32_e32 vcc, 50, v0
	s_cbranch_vccnz .LBB117_344
; %bb.343:
	v_lshlrev_b32_e32 v0, 3, v0
	buffer_load_dword v3, v0, s[0:3], 0 offen
	buffer_load_dword v4, v0, s[0:3], 0 offen offset:4
	buffer_load_dword v5, off, s[0:3], 0 offset:404
	buffer_load_dword v6, off, s[0:3], 0 offset:400
	s_waitcnt vmcnt(3)
	buffer_store_dword v3, off, s[0:3], 0 offset:400
	s_waitcnt vmcnt(3)
	buffer_store_dword v4, off, s[0:3], 0 offset:404
	s_waitcnt vmcnt(3)
	buffer_store_dword v5, v0, s[0:3], 0 offen offset:4
	s_waitcnt vmcnt(3)
	buffer_store_dword v6, v0, s[0:3], 0 offen
.LBB117_344:
	v_mov_b32_e32 v0, 0
	global_load_dword v3, v0, s[12:13] offset:196
	s_waitcnt vmcnt(0)
	v_add_u32_e32 v109, -1, v3
	v_cmp_eq_u32_e32 vcc, 49, v109
	s_cbranch_vccnz .LBB117_346
; %bb.345:
	v_lshlrev_b32_e32 v3, 3, v109
	buffer_load_dword v4, v3, s[0:3], 0 offen
	buffer_load_dword v5, v3, s[0:3], 0 offen offset:4
	buffer_load_dword v6, off, s[0:3], 0 offset:392
	buffer_load_dword v7, off, s[0:3], 0 offset:396
	s_waitcnt vmcnt(3)
	buffer_store_dword v4, off, s[0:3], 0 offset:392
	s_waitcnt vmcnt(3)
	buffer_store_dword v5, off, s[0:3], 0 offset:396
	s_waitcnt vmcnt(3)
	buffer_store_dword v6, v3, s[0:3], 0 offen
	s_waitcnt vmcnt(3)
	buffer_store_dword v7, v3, s[0:3], 0 offen offset:4
.LBB117_346:
	global_load_dword v0, v0, s[12:13] offset:192
	s_waitcnt vmcnt(0)
	v_add_u32_e32 v0, -1, v0
	v_cmp_eq_u32_e32 vcc, 48, v0
	s_cbranch_vccnz .LBB117_348
; %bb.347:
	v_lshlrev_b32_e32 v0, 3, v0
	buffer_load_dword v3, v0, s[0:3], 0 offen
	buffer_load_dword v4, v0, s[0:3], 0 offen offset:4
	buffer_load_dword v5, off, s[0:3], 0 offset:388
	buffer_load_dword v6, off, s[0:3], 0 offset:384
	s_waitcnt vmcnt(3)
	buffer_store_dword v3, off, s[0:3], 0 offset:384
	s_waitcnt vmcnt(3)
	buffer_store_dword v4, off, s[0:3], 0 offset:388
	s_waitcnt vmcnt(3)
	buffer_store_dword v5, v0, s[0:3], 0 offen offset:4
	s_waitcnt vmcnt(3)
	buffer_store_dword v6, v0, s[0:3], 0 offen
.LBB117_348:
	;; [unrolled: 41-line block ×25, first 2 shown]
	v_mov_b32_e32 v0, 0
	global_load_dword v3, v0, s[12:13] offset:4
	s_waitcnt vmcnt(0)
	v_add_u32_e32 v109, -1, v3
	v_cmp_eq_u32_e32 vcc, 1, v109
	s_cbranch_vccnz .LBB117_442
; %bb.441:
	v_lshlrev_b32_e32 v3, 3, v109
	buffer_load_dword v4, v3, s[0:3], 0 offen
	buffer_load_dword v5, v3, s[0:3], 0 offen offset:4
	buffer_load_dword v6, off, s[0:3], 0 offset:8
	buffer_load_dword v7, off, s[0:3], 0 offset:12
	s_waitcnt vmcnt(3)
	buffer_store_dword v4, off, s[0:3], 0 offset:8
	s_waitcnt vmcnt(3)
	buffer_store_dword v5, off, s[0:3], 0 offset:12
	s_waitcnt vmcnt(3)
	buffer_store_dword v6, v3, s[0:3], 0 offen
	s_waitcnt vmcnt(3)
	buffer_store_dword v7, v3, s[0:3], 0 offen offset:4
.LBB117_442:
	global_load_dword v0, v0, s[12:13]
	s_waitcnt vmcnt(0)
	v_add_u32_e32 v0, -1, v0
	v_cmp_eq_u32_e32 vcc, 0, v0
	s_cbranch_vccnz .LBB117_444
; %bb.443:
	v_lshlrev_b32_e32 v0, 3, v0
	buffer_load_dword v3, v0, s[0:3], 0 offen
	buffer_load_dword v4, v0, s[0:3], 0 offen offset:4
	buffer_load_dword v5, off, s[0:3], 0 offset:4
	buffer_load_dword v6, off, s[0:3], 0
	s_waitcnt vmcnt(3)
	buffer_store_dword v3, off, s[0:3], 0
	s_waitcnt vmcnt(3)
	buffer_store_dword v4, off, s[0:3], 0 offset:4
	s_waitcnt vmcnt(3)
	buffer_store_dword v5, v0, s[0:3], 0 offen offset:4
	s_waitcnt vmcnt(3)
	buffer_store_dword v6, v0, s[0:3], 0 offen
.LBB117_444:
	buffer_load_dword v109, off, s[0:3], 0
	buffer_load_dword v110, off, s[0:3], 0 offset:4
	s_waitcnt vmcnt(0)
	flat_store_dwordx2 v[1:2], v[109:110]
	buffer_load_dword v0, off, s[0:3], 0 offset:8
	s_nop 0
	buffer_load_dword v1, off, s[0:3], 0 offset:12
	buffer_load_dword v2, off, s[0:3], 0 offset:432 ; 4-byte Folded Reload
	buffer_load_dword v3, off, s[0:3], 0 offset:436 ; 4-byte Folded Reload
	s_waitcnt vmcnt(0)
	flat_store_dwordx2 v[2:3], v[0:1]
	buffer_load_dword v0, off, s[0:3], 0 offset:16
	s_nop 0
	buffer_load_dword v1, off, s[0:3], 0 offset:20
	buffer_load_dword v2, off, s[0:3], 0 offset:440 ; 4-byte Folded Reload
	buffer_load_dword v3, off, s[0:3], 0 offset:444 ; 4-byte Folded Reload
	;; [unrolled: 7-line block ×35, first 2 shown]
	s_waitcnt vmcnt(0)
	flat_store_dwordx2 v[2:3], v[0:1]
	buffer_load_dword v0, off, s[0:3], 0 offset:288
	s_nop 0
	buffer_load_dword v1, off, s[0:3], 0 offset:292
	s_waitcnt vmcnt(0)
	flat_store_dwordx2 v[73:74], v[0:1]
	buffer_load_dword v0, off, s[0:3], 0 offset:296
	s_nop 0
	buffer_load_dword v1, off, s[0:3], 0 offset:300
	;; [unrolled: 5-line block ×18, first 2 shown]
	s_waitcnt vmcnt(0)
	flat_store_dwordx2 v[107:108], v[0:1]
	s_endpgm
	.section	.rodata,"a",@progbits
	.p2align	6, 0x0
	.amdhsa_kernel _ZN9rocsolver6v33100L18getri_kernel_smallILi54E19rocblas_complex_numIfEPKPS3_EEvT1_iilPiilS8_bb
		.amdhsa_group_segment_fixed_size 868
		.amdhsa_private_segment_fixed_size 720
		.amdhsa_kernarg_size 60
		.amdhsa_user_sgpr_count 6
		.amdhsa_user_sgpr_private_segment_buffer 1
		.amdhsa_user_sgpr_dispatch_ptr 0
		.amdhsa_user_sgpr_queue_ptr 0
		.amdhsa_user_sgpr_kernarg_segment_ptr 1
		.amdhsa_user_sgpr_dispatch_id 0
		.amdhsa_user_sgpr_flat_scratch_init 0
		.amdhsa_user_sgpr_private_segment_size 0
		.amdhsa_uses_dynamic_stack 0
		.amdhsa_system_sgpr_private_segment_wavefront_offset 1
		.amdhsa_system_sgpr_workgroup_id_x 1
		.amdhsa_system_sgpr_workgroup_id_y 0
		.amdhsa_system_sgpr_workgroup_id_z 0
		.amdhsa_system_sgpr_workgroup_info 0
		.amdhsa_system_vgpr_workitem_id 0
		.amdhsa_next_free_vgpr 256
		.amdhsa_next_free_sgpr 21
		.amdhsa_reserve_vcc 1
		.amdhsa_reserve_flat_scratch 0
		.amdhsa_float_round_mode_32 0
		.amdhsa_float_round_mode_16_64 0
		.amdhsa_float_denorm_mode_32 3
		.amdhsa_float_denorm_mode_16_64 3
		.amdhsa_dx10_clamp 1
		.amdhsa_ieee_mode 1
		.amdhsa_fp16_overflow 0
		.amdhsa_exception_fp_ieee_invalid_op 0
		.amdhsa_exception_fp_denorm_src 0
		.amdhsa_exception_fp_ieee_div_zero 0
		.amdhsa_exception_fp_ieee_overflow 0
		.amdhsa_exception_fp_ieee_underflow 0
		.amdhsa_exception_fp_ieee_inexact 0
		.amdhsa_exception_int_div_zero 0
	.end_amdhsa_kernel
	.section	.text._ZN9rocsolver6v33100L18getri_kernel_smallILi54E19rocblas_complex_numIfEPKPS3_EEvT1_iilPiilS8_bb,"axG",@progbits,_ZN9rocsolver6v33100L18getri_kernel_smallILi54E19rocblas_complex_numIfEPKPS3_EEvT1_iilPiilS8_bb,comdat
.Lfunc_end117:
	.size	_ZN9rocsolver6v33100L18getri_kernel_smallILi54E19rocblas_complex_numIfEPKPS3_EEvT1_iilPiilS8_bb, .Lfunc_end117-_ZN9rocsolver6v33100L18getri_kernel_smallILi54E19rocblas_complex_numIfEPKPS3_EEvT1_iilPiilS8_bb
                                        ; -- End function
	.set _ZN9rocsolver6v33100L18getri_kernel_smallILi54E19rocblas_complex_numIfEPKPS3_EEvT1_iilPiilS8_bb.num_vgpr, 256
	.set _ZN9rocsolver6v33100L18getri_kernel_smallILi54E19rocblas_complex_numIfEPKPS3_EEvT1_iilPiilS8_bb.num_agpr, 0
	.set _ZN9rocsolver6v33100L18getri_kernel_smallILi54E19rocblas_complex_numIfEPKPS3_EEvT1_iilPiilS8_bb.numbered_sgpr, 21
	.set _ZN9rocsolver6v33100L18getri_kernel_smallILi54E19rocblas_complex_numIfEPKPS3_EEvT1_iilPiilS8_bb.num_named_barrier, 0
	.set _ZN9rocsolver6v33100L18getri_kernel_smallILi54E19rocblas_complex_numIfEPKPS3_EEvT1_iilPiilS8_bb.private_seg_size, 720
	.set _ZN9rocsolver6v33100L18getri_kernel_smallILi54E19rocblas_complex_numIfEPKPS3_EEvT1_iilPiilS8_bb.uses_vcc, 1
	.set _ZN9rocsolver6v33100L18getri_kernel_smallILi54E19rocblas_complex_numIfEPKPS3_EEvT1_iilPiilS8_bb.uses_flat_scratch, 0
	.set _ZN9rocsolver6v33100L18getri_kernel_smallILi54E19rocblas_complex_numIfEPKPS3_EEvT1_iilPiilS8_bb.has_dyn_sized_stack, 0
	.set _ZN9rocsolver6v33100L18getri_kernel_smallILi54E19rocblas_complex_numIfEPKPS3_EEvT1_iilPiilS8_bb.has_recursion, 0
	.set _ZN9rocsolver6v33100L18getri_kernel_smallILi54E19rocblas_complex_numIfEPKPS3_EEvT1_iilPiilS8_bb.has_indirect_call, 0
	.section	.AMDGPU.csdata,"",@progbits
; Kernel info:
; codeLenInByte = 107240
; TotalNumSgprs: 25
; NumVgprs: 256
; ScratchSize: 720
; MemoryBound: 0
; FloatMode: 240
; IeeeMode: 1
; LDSByteSize: 868 bytes/workgroup (compile time only)
; SGPRBlocks: 3
; VGPRBlocks: 63
; NumSGPRsForWavesPerEU: 25
; NumVGPRsForWavesPerEU: 256
; Occupancy: 1
; WaveLimiterHint : 1
; COMPUTE_PGM_RSRC2:SCRATCH_EN: 1
; COMPUTE_PGM_RSRC2:USER_SGPR: 6
; COMPUTE_PGM_RSRC2:TRAP_HANDLER: 0
; COMPUTE_PGM_RSRC2:TGID_X_EN: 1
; COMPUTE_PGM_RSRC2:TGID_Y_EN: 0
; COMPUTE_PGM_RSRC2:TGID_Z_EN: 0
; COMPUTE_PGM_RSRC2:TIDIG_COMP_CNT: 0
	.section	.text._ZN9rocsolver6v33100L18getri_kernel_smallILi55E19rocblas_complex_numIfEPKPS3_EEvT1_iilPiilS8_bb,"axG",@progbits,_ZN9rocsolver6v33100L18getri_kernel_smallILi55E19rocblas_complex_numIfEPKPS3_EEvT1_iilPiilS8_bb,comdat
	.globl	_ZN9rocsolver6v33100L18getri_kernel_smallILi55E19rocblas_complex_numIfEPKPS3_EEvT1_iilPiilS8_bb ; -- Begin function _ZN9rocsolver6v33100L18getri_kernel_smallILi55E19rocblas_complex_numIfEPKPS3_EEvT1_iilPiilS8_bb
	.p2align	8
	.type	_ZN9rocsolver6v33100L18getri_kernel_smallILi55E19rocblas_complex_numIfEPKPS3_EEvT1_iilPiilS8_bb,@function
_ZN9rocsolver6v33100L18getri_kernel_smallILi55E19rocblas_complex_numIfEPKPS3_EEvT1_iilPiilS8_bb: ; @_ZN9rocsolver6v33100L18getri_kernel_smallILi55E19rocblas_complex_numIfEPKPS3_EEvT1_iilPiilS8_bb
; %bb.0:
	s_add_u32 s0, s0, s7
	s_addc_u32 s1, s1, 0
	v_cmp_gt_u32_e32 vcc, 55, v0
	s_and_saveexec_b64 s[8:9], vcc
	s_cbranch_execz .LBB118_234
; %bb.1:
	s_load_dword s18, s[4:5], 0x38
	s_load_dwordx2 s[12:13], s[4:5], 0x0
	s_load_dwordx4 s[8:11], s[4:5], 0x28
	s_waitcnt lgkmcnt(0)
	s_bitcmp1_b32 s18, 8
	s_cselect_b64 s[14:15], -1, 0
	s_ashr_i32 s7, s6, 31
	s_lshl_b64 s[16:17], s[6:7], 3
	s_add_u32 s12, s12, s16
	s_addc_u32 s13, s13, s17
	s_load_dwordx2 s[16:17], s[12:13], 0x0
	s_bfe_u32 s12, s18, 0x10008
	s_cmp_eq_u32 s12, 0
                                        ; implicit-def: $sgpr12_sgpr13
	s_cbranch_scc1 .LBB118_3
; %bb.2:
	s_load_dword s12, s[4:5], 0x20
	s_load_dwordx2 s[18:19], s[4:5], 0x18
	s_mul_i32 s13, s8, s7
	s_mul_hi_u32 s20, s8, s6
	s_add_i32 s20, s20, s13
	s_mul_i32 s9, s9, s6
	s_add_i32 s9, s20, s9
	s_mul_i32 s8, s8, s6
	s_waitcnt lgkmcnt(0)
	s_ashr_i32 s13, s12, 31
	s_lshl_b64 s[8:9], s[8:9], 2
	s_add_u32 s18, s18, s8
	s_addc_u32 s19, s19, s9
	s_lshl_b64 s[8:9], s[12:13], 2
	s_add_u32 s12, s18, s8
	s_addc_u32 s13, s19, s9
.LBB118_3:
	s_load_dwordx2 s[8:9], s[4:5], 0x8
	s_load_dword s18, s[4:5], 0x38
	v_lshlrev_b32_e32 v113, 3, v0
	s_waitcnt lgkmcnt(0)
	s_ashr_i32 s5, s8, 31
	s_mov_b32 s4, s8
	s_lshl_b64 s[4:5], s[4:5], 3
	s_add_u32 s4, s16, s4
	s_addc_u32 s5, s17, s5
	v_mov_b32_e32 v2, s5
	v_add_co_u32_e32 v1, vcc, s4, v113
	v_addc_co_u32_e32 v2, vcc, 0, v2, vcc
	flat_load_dwordx2 v[5:6], v[1:2]
	s_mov_b32 s16, s9
	s_ashr_i32 s17, s9, 31
	s_lshl_b64 s[16:17], s[16:17], 3
	v_mov_b32_e32 v4, s17
	v_add_co_u32_e32 v3, vcc, s16, v1
	v_addc_co_u32_e32 v4, vcc, v2, v4, vcc
	s_add_i32 s8, s9, s9
	v_add_u32_e32 v9, s8, v0
	v_ashrrev_i32_e32 v10, 31, v9
	v_mov_b32_e32 v11, s5
	v_add_u32_e32 v12, s9, v9
	v_ashrrev_i32_e32 v13, 31, v12
	v_mov_b32_e32 v14, s5
	v_mov_b32_e32 v15, s5
	;; [unrolled: 1-line block ×51, first 2 shown]
	s_bitcmp0_b32 s18, 0
	s_waitcnt vmcnt(0) lgkmcnt(0)
	buffer_store_dword v6, off, s[0:3], 0 offset:4
	buffer_store_dword v5, off, s[0:3], 0
	buffer_store_dword v3, off, s[0:3], 0 offset:440 ; 4-byte Folded Spill
	s_nop 0
	buffer_store_dword v4, off, s[0:3], 0 offset:444 ; 4-byte Folded Spill
	v_lshlrev_b64 v[5:6], 3, v[9:10]
	flat_load_dwordx2 v[7:8], v[3:4]
	v_add_co_u32_e32 v3, vcc, s4, v5
	v_addc_co_u32_e32 v4, vcc, v11, v6, vcc
	s_waitcnt vmcnt(0) lgkmcnt(0)
	buffer_store_dword v8, off, s[0:3], 0 offset:12
	buffer_store_dword v7, off, s[0:3], 0 offset:8
	buffer_store_dword v3, off, s[0:3], 0 offset:448 ; 4-byte Folded Spill
	s_nop 0
	buffer_store_dword v4, off, s[0:3], 0 offset:452 ; 4-byte Folded Spill
	v_lshlrev_b64 v[7:8], 3, v[12:13]
	flat_load_dwordx2 v[10:11], v[3:4]
	v_add_co_u32_e32 v3, vcc, s4, v7
	v_addc_co_u32_e32 v4, vcc, v14, v8, vcc
	s_waitcnt vmcnt(0) lgkmcnt(0)
	buffer_store_dword v11, off, s[0:3], 0 offset:20
	buffer_store_dword v10, off, s[0:3], 0 offset:16
	buffer_store_dword v3, off, s[0:3], 0 offset:456 ; 4-byte Folded Spill
	s_nop 0
	buffer_store_dword v4, off, s[0:3], 0 offset:460 ; 4-byte Folded Spill
	v_add_u32_e32 v11, s9, v12
	v_ashrrev_i32_e32 v12, 31, v11
	v_lshlrev_b64 v[9:10], 3, v[11:12]
	flat_load_dwordx2 v[13:14], v[3:4]
	v_add_co_u32_e32 v3, vcc, s4, v9
	v_addc_co_u32_e32 v4, vcc, v15, v10, vcc
	v_add_u32_e32 v15, s9, v11
	v_ashrrev_i32_e32 v16, 31, v15
	v_lshlrev_b64 v[11:12], 3, v[15:16]
	v_add_u32_e32 v18, s9, v15
	v_ashrrev_i32_e32 v19, 31, v18
	s_waitcnt vmcnt(0) lgkmcnt(0)
	buffer_store_dword v14, off, s[0:3], 0 offset:28
	buffer_store_dword v13, off, s[0:3], 0 offset:24
	buffer_store_dword v3, off, s[0:3], 0 offset:464 ; 4-byte Folded Spill
	s_nop 0
	buffer_store_dword v4, off, s[0:3], 0 offset:468 ; 4-byte Folded Spill
	flat_load_dwordx2 v[13:14], v[3:4]
	v_add_co_u32_e32 v3, vcc, s4, v11
	v_addc_co_u32_e32 v4, vcc, v17, v12, vcc
	s_waitcnt vmcnt(0) lgkmcnt(0)
	buffer_store_dword v14, off, s[0:3], 0 offset:36
	buffer_store_dword v13, off, s[0:3], 0 offset:32
	buffer_store_dword v3, off, s[0:3], 0 offset:472 ; 4-byte Folded Spill
	s_nop 0
	buffer_store_dword v4, off, s[0:3], 0 offset:476 ; 4-byte Folded Spill
	v_lshlrev_b64 v[13:14], 3, v[18:19]
	flat_load_dwordx2 v[16:17], v[3:4]
	v_add_co_u32_e32 v3, vcc, s4, v13
	v_addc_co_u32_e32 v4, vcc, v20, v14, vcc
	s_waitcnt vmcnt(0) lgkmcnt(0)
	buffer_store_dword v17, off, s[0:3], 0 offset:44
	buffer_store_dword v16, off, s[0:3], 0 offset:40
	buffer_store_dword v3, off, s[0:3], 0 offset:480 ; 4-byte Folded Spill
	s_nop 0
	buffer_store_dword v4, off, s[0:3], 0 offset:484 ; 4-byte Folded Spill
	v_add_u32_e32 v17, s9, v18
	v_ashrrev_i32_e32 v18, 31, v17
	v_lshlrev_b64 v[15:16], 3, v[17:18]
	flat_load_dwordx2 v[19:20], v[3:4]
	v_add_co_u32_e32 v3, vcc, s4, v15
	v_addc_co_u32_e32 v4, vcc, v21, v16, vcc
	v_add_u32_e32 v21, s9, v17
	v_ashrrev_i32_e32 v22, 31, v21
	v_lshlrev_b64 v[17:18], 3, v[21:22]
	v_add_u32_e32 v24, s9, v21
	v_ashrrev_i32_e32 v25, 31, v24
	s_waitcnt vmcnt(0) lgkmcnt(0)
	buffer_store_dword v20, off, s[0:3], 0 offset:52
	buffer_store_dword v19, off, s[0:3], 0 offset:48
	buffer_store_dword v3, off, s[0:3], 0 offset:488 ; 4-byte Folded Spill
	s_nop 0
	buffer_store_dword v4, off, s[0:3], 0 offset:492 ; 4-byte Folded Spill
	;; [unrolled: 36-line block ×12, first 2 shown]
	flat_load_dwordx2 v[79:80], v[3:4]
	v_add_co_u32_e32 v3, vcc, s4, v77
	v_addc_co_u32_e32 v4, vcc, v83, v78, vcc
	s_waitcnt vmcnt(0) lgkmcnt(0)
	buffer_store_dword v80, off, s[0:3], 0 offset:300
	buffer_store_dword v79, off, s[0:3], 0 offset:296
	buffer_store_dword v3, off, s[0:3], 0 offset:736 ; 4-byte Folded Spill
	s_nop 0
	buffer_store_dword v4, off, s[0:3], 0 offset:740 ; 4-byte Folded Spill
	v_lshlrev_b64 v[79:80], 3, v[84:85]
	v_add_co_u32_e32 v79, vcc, s4, v79
	v_addc_co_u32_e32 v80, vcc, v86, v80, vcc
	flat_load_dwordx2 v[82:83], v[3:4]
	s_waitcnt vmcnt(0) lgkmcnt(0)
	buffer_store_dword v83, off, s[0:3], 0 offset:308
	buffer_store_dword v82, off, s[0:3], 0 offset:304
	flat_load_dwordx2 v[85:86], v[79:80]
	v_add_u32_e32 v83, s9, v84
	v_ashrrev_i32_e32 v84, 31, v83
	v_lshlrev_b64 v[81:82], 3, v[83:84]
	s_waitcnt vmcnt(0) lgkmcnt(0)
	buffer_store_dword v86, off, s[0:3], 0 offset:316
	buffer_store_dword v85, off, s[0:3], 0 offset:312
	v_add_co_u32_e32 v81, vcc, s4, v81
	v_addc_co_u32_e32 v82, vcc, v87, v82, vcc
	flat_load_dwordx2 v[85:86], v[81:82]
	v_add_u32_e32 v87, s9, v83
	v_ashrrev_i32_e32 v88, 31, v87
	v_lshlrev_b64 v[83:84], 3, v[87:88]
	v_add_u32_e32 v90, s9, v87
	v_add_co_u32_e32 v83, vcc, s4, v83
	v_addc_co_u32_e32 v84, vcc, v89, v84, vcc
	v_ashrrev_i32_e32 v91, 31, v90
	s_waitcnt vmcnt(0) lgkmcnt(0)
	buffer_store_dword v86, off, s[0:3], 0 offset:324
	buffer_store_dword v85, off, s[0:3], 0 offset:320
	flat_load_dwordx2 v[88:89], v[83:84]
	v_lshlrev_b64 v[85:86], 3, v[90:91]
	s_waitcnt vmcnt(0) lgkmcnt(0)
	buffer_store_dword v89, off, s[0:3], 0 offset:332
	buffer_store_dword v88, off, s[0:3], 0 offset:328
	v_add_co_u32_e32 v85, vcc, s4, v85
	v_addc_co_u32_e32 v86, vcc, v92, v86, vcc
	flat_load_dwordx2 v[91:92], v[85:86]
	v_add_u32_e32 v89, s9, v90
	v_ashrrev_i32_e32 v90, 31, v89
	v_lshlrev_b64 v[87:88], 3, v[89:90]
	s_waitcnt vmcnt(0) lgkmcnt(0)
	buffer_store_dword v92, off, s[0:3], 0 offset:340
	buffer_store_dword v91, off, s[0:3], 0 offset:336
	v_add_co_u32_e32 v87, vcc, s4, v87
	v_addc_co_u32_e32 v88, vcc, v93, v88, vcc
	flat_load_dwordx2 v[91:92], v[87:88]
	v_add_u32_e32 v93, s9, v89
	v_ashrrev_i32_e32 v94, 31, v93
	v_lshlrev_b64 v[89:90], 3, v[93:94]
	v_add_u32_e32 v96, s9, v93
	v_add_co_u32_e32 v89, vcc, s4, v89
	v_addc_co_u32_e32 v90, vcc, v95, v90, vcc
	v_ashrrev_i32_e32 v97, 31, v96
	s_waitcnt vmcnt(0) lgkmcnt(0)
	buffer_store_dword v92, off, s[0:3], 0 offset:348
	buffer_store_dword v91, off, s[0:3], 0 offset:344
	flat_load_dwordx2 v[94:95], v[89:90]
	v_lshlrev_b64 v[91:92], 3, v[96:97]
	s_waitcnt vmcnt(0) lgkmcnt(0)
	buffer_store_dword v95, off, s[0:3], 0 offset:356
	buffer_store_dword v94, off, s[0:3], 0 offset:352
	v_add_co_u32_e32 v91, vcc, s4, v91
	v_addc_co_u32_e32 v92, vcc, v98, v92, vcc
	;; [unrolled: 27-line block ×4, first 2 shown]
	flat_load_dwordx2 v[109:110], v[103:104]
	v_add_u32_e32 v107, s9, v108
	v_ashrrev_i32_e32 v108, 31, v107
	v_lshlrev_b64 v[105:106], 3, v[107:108]
	s_waitcnt vmcnt(0) lgkmcnt(0)
	buffer_store_dword v110, off, s[0:3], 0 offset:412
	buffer_store_dword v109, off, s[0:3], 0 offset:408
	v_add_co_u32_e32 v105, vcc, s4, v105
	v_addc_co_u32_e32 v106, vcc, v111, v106, vcc
	flat_load_dwordx2 v[109:110], v[105:106]
	v_add_u32_e32 v111, s9, v107
	v_ashrrev_i32_e32 v112, 31, v111
	v_lshlrev_b64 v[107:108], 3, v[111:112]
	v_mov_b32_e32 v112, s5
	v_add_co_u32_e32 v107, vcc, s4, v107
	v_addc_co_u32_e32 v108, vcc, v114, v108, vcc
	s_waitcnt vmcnt(0) lgkmcnt(0)
	buffer_store_dword v110, off, s[0:3], 0 offset:420
	buffer_store_dword v109, off, s[0:3], 0 offset:416
	flat_load_dwordx2 v[114:115], v[107:108]
	v_add_u32_e32 v109, s9, v111
	v_ashrrev_i32_e32 v110, 31, v109
	v_lshlrev_b64 v[109:110], 3, v[109:110]
	s_mov_b64 s[8:9], -1
	v_add_co_u32_e32 v109, vcc, s4, v109
	v_addc_co_u32_e32 v110, vcc, v112, v110, vcc
	s_waitcnt vmcnt(0) lgkmcnt(0)
	buffer_store_dword v115, off, s[0:3], 0 offset:428
	buffer_store_dword v114, off, s[0:3], 0 offset:424
	flat_load_dwordx2 v[111:112], v[109:110]
	s_waitcnt vmcnt(0) lgkmcnt(0)
	buffer_store_dword v112, off, s[0:3], 0 offset:436
	buffer_store_dword v111, off, s[0:3], 0 offset:432
	s_cbranch_scc1 .LBB118_232
; %bb.4:
	v_cmp_eq_u32_e64 s[4:5], 0, v0
	s_and_saveexec_b64 s[8:9], s[4:5]
; %bb.5:
	v_mov_b32_e32 v111, 0
	ds_write_b32 v111, v111 offset:440
; %bb.6:
	s_or_b64 exec, exec, s[8:9]
	v_mov_b32_e32 v111, 0
	v_lshl_add_u32 v115, v0, 3, v111
	s_waitcnt lgkmcnt(0)
	; wave barrier
	buffer_load_dword v111, v115, s[0:3], 0 offen
	buffer_load_dword v112, v115, s[0:3], 0 offen offset:4
	s_waitcnt vmcnt(1)
	v_cmp_eq_f32_e32 vcc, 0, v111
	s_waitcnt vmcnt(0)
	v_cmp_eq_f32_e64 s[8:9], 0, v112
	s_and_b64 s[8:9], vcc, s[8:9]
	s_and_saveexec_b64 s[16:17], s[8:9]
	s_cbranch_execz .LBB118_10
; %bb.7:
	v_mov_b32_e32 v111, 0
	ds_read_b32 v114, v111 offset:440
	v_add_u32_e32 v112, 1, v0
	s_waitcnt lgkmcnt(0)
	v_readfirstlane_b32 s8, v114
	s_cmp_eq_u32 s8, 0
	s_cselect_b64 s[18:19], -1, 0
	v_cmp_gt_i32_e32 vcc, s8, v112
	s_or_b64 s[18:19], s[18:19], vcc
	s_and_b64 exec, exec, s[18:19]
	s_cbranch_execz .LBB118_10
; %bb.8:
	s_mov_b64 s[18:19], 0
	v_mov_b32_e32 v114, s8
.LBB118_9:                              ; =>This Inner Loop Header: Depth=1
	ds_cmpst_rtn_b32 v114, v111, v114, v112 offset:440
	s_waitcnt lgkmcnt(0)
	v_cmp_ne_u32_e32 vcc, 0, v114
	v_cmp_le_i32_e64 s[8:9], v114, v112
	s_and_b64 s[8:9], vcc, s[8:9]
	s_and_b64 s[8:9], exec, s[8:9]
	s_or_b64 s[18:19], s[8:9], s[18:19]
	s_andn2_b64 exec, exec, s[18:19]
	s_cbranch_execnz .LBB118_9
.LBB118_10:
	s_or_b64 exec, exec, s[16:17]
	v_mov_b32_e32 v112, 0
	; wave barrier
	ds_read_b32 v111, v112 offset:440
	s_and_saveexec_b64 s[8:9], s[4:5]
	s_cbranch_execz .LBB118_12
; %bb.11:
	s_lshl_b64 s[16:17], s[6:7], 2
	s_add_u32 s16, s10, s16
	s_addc_u32 s17, s11, s17
	s_waitcnt lgkmcnt(0)
	global_store_dword v112, v111, s[16:17]
.LBB118_12:
	s_or_b64 exec, exec, s[8:9]
	s_waitcnt lgkmcnt(0)
	v_cmp_ne_u32_e32 vcc, 0, v111
	s_mov_b64 s[8:9], 0
	s_cbranch_vccnz .LBB118_232
; %bb.13:
	buffer_load_dword v112, v115, s[0:3], 0 offen
	buffer_load_dword v114, v115, s[0:3], 0 offen offset:4
                                        ; implicit-def: $vgpr117
                                        ; implicit-def: $vgpr116
                                        ; implicit-def: $vgpr111
	s_waitcnt vmcnt(0)
	v_cmp_ngt_f32_e64 s[8:9], |v112|, |v114|
	s_and_saveexec_b64 s[16:17], s[8:9]
	s_xor_b64 s[8:9], exec, s[16:17]
	s_cbranch_execz .LBB118_15
; %bb.14:
	v_div_scale_f32 v111, s[16:17], v114, v114, v112
	v_div_scale_f32 v116, vcc, v112, v114, v112
	v_rcp_f32_e32 v117, v111
	v_fma_f32 v118, -v111, v117, 1.0
	v_fmac_f32_e32 v117, v118, v117
	v_mul_f32_e32 v118, v116, v117
	v_fma_f32 v119, -v111, v118, v116
	v_fmac_f32_e32 v118, v119, v117
	v_fma_f32 v111, -v111, v118, v116
	v_div_fmas_f32 v111, v111, v117, v118
	v_div_fixup_f32 v111, v111, v114, v112
	v_fmac_f32_e32 v114, v112, v111
	v_div_scale_f32 v112, s[16:17], v114, v114, 1.0
	v_div_scale_f32 v116, vcc, 1.0, v114, 1.0
	v_rcp_f32_e32 v117, v112
	v_fma_f32 v118, -v112, v117, 1.0
	v_fmac_f32_e32 v117, v118, v117
	v_mul_f32_e32 v118, v116, v117
	v_fma_f32 v119, -v112, v118, v116
	v_fmac_f32_e32 v118, v119, v117
	v_fma_f32 v112, -v112, v118, v116
	v_div_fmas_f32 v112, v112, v117, v118
	v_div_fixup_f32 v112, v112, v114, 1.0
	v_mul_f32_e32 v117, v111, v112
	v_xor_b32_e32 v116, 0x80000000, v112
	v_xor_b32_e32 v111, 0x80000000, v117
                                        ; implicit-def: $vgpr112
                                        ; implicit-def: $vgpr114
.LBB118_15:
	s_andn2_saveexec_b64 s[8:9], s[8:9]
	s_cbranch_execz .LBB118_17
; %bb.16:
	v_div_scale_f32 v111, s[16:17], v112, v112, v114
	v_div_scale_f32 v116, vcc, v114, v112, v114
	v_rcp_f32_e32 v117, v111
	v_fma_f32 v118, -v111, v117, 1.0
	v_fmac_f32_e32 v117, v118, v117
	v_mul_f32_e32 v118, v116, v117
	v_fma_f32 v119, -v111, v118, v116
	v_fmac_f32_e32 v118, v119, v117
	v_fma_f32 v111, -v111, v118, v116
	v_div_fmas_f32 v111, v111, v117, v118
	v_div_fixup_f32 v116, v111, v112, v114
	v_fmac_f32_e32 v112, v114, v116
	v_div_scale_f32 v111, s[16:17], v112, v112, 1.0
	v_div_scale_f32 v114, vcc, 1.0, v112, 1.0
	v_rcp_f32_e32 v117, v111
	v_fma_f32 v118, -v111, v117, 1.0
	v_fmac_f32_e32 v117, v118, v117
	v_mul_f32_e32 v118, v114, v117
	v_fma_f32 v119, -v111, v118, v114
	v_fmac_f32_e32 v118, v119, v117
	v_fma_f32 v111, -v111, v118, v114
	v_div_fmas_f32 v111, v111, v117, v118
	v_div_fixup_f32 v117, v111, v112, 1.0
	v_xor_b32_e32 v111, 0x80000000, v117
	v_mul_f32_e64 v116, v116, -v117
.LBB118_17:
	s_or_b64 exec, exec, s[8:9]
	buffer_store_dword v117, v115, s[0:3], 0 offen
	buffer_store_dword v116, v115, s[0:3], 0 offen offset:4
	buffer_load_dword v118, off, s[0:3], 0 offset:12
	s_nop 0
	buffer_load_dword v117, off, s[0:3], 0 offset:8
	v_xor_b32_e32 v112, 0x80000000, v116
	v_add_u32_e32 v114, 0x1c0, v113
	s_waitcnt vmcnt(0)
	ds_write2_b64 v113, v[111:112], v[117:118] offset1:56
	s_waitcnt lgkmcnt(0)
	; wave barrier
	s_and_saveexec_b64 s[8:9], s[4:5]
	s_cbranch_execz .LBB118_19
; %bb.18:
	buffer_load_dword v118, v115, s[0:3], 0 offen offset:4
	buffer_load_dword v119, v115, s[0:3], 0 offen
	ds_read_b64 v[111:112], v114
	v_mov_b32_e32 v116, 0
	ds_read_b64 v[116:117], v116 offset:8
	s_waitcnt vmcnt(1) lgkmcnt(1)
	v_mul_f32_e32 v120, v112, v118
	v_mul_f32_e32 v118, v111, v118
	s_waitcnt vmcnt(0)
	v_fmac_f32_e32 v118, v112, v119
	v_fma_f32 v111, v111, v119, -v120
	v_add_f32_e32 v112, 0, v118
	v_add_f32_e32 v111, 0, v111
	s_waitcnt lgkmcnt(0)
	v_mul_f32_e32 v118, v112, v117
	v_mul_f32_e32 v117, v111, v117
	v_fma_f32 v111, v111, v116, -v118
	v_fmac_f32_e32 v117, v112, v116
	buffer_store_dword v111, off, s[0:3], 0 offset:8
	buffer_store_dword v117, off, s[0:3], 0 offset:12
.LBB118_19:
	s_or_b64 exec, exec, s[8:9]
	; wave barrier
	buffer_load_dword v111, off, s[0:3], 0 offset:16
	buffer_load_dword v112, off, s[0:3], 0 offset:20
	v_cmp_gt_u32_e32 vcc, 2, v0
	s_waitcnt vmcnt(0)
	ds_write_b64 v114, v[111:112]
	s_waitcnt lgkmcnt(0)
	; wave barrier
	s_and_saveexec_b64 s[8:9], vcc
	s_cbranch_execz .LBB118_23
; %bb.20:
	buffer_load_dword v116, v115, s[0:3], 0 offen offset:4
	buffer_load_dword v117, v115, s[0:3], 0 offen
	ds_read_b64 v[111:112], v114
	s_waitcnt vmcnt(1) lgkmcnt(0)
	v_mul_f32_e32 v115, v112, v116
	v_mul_f32_e32 v116, v111, v116
	s_waitcnt vmcnt(0)
	v_fma_f32 v111, v111, v117, -v115
	v_fmac_f32_e32 v116, v112, v117
	v_add_f32_e32 v112, 0, v111
	v_add_f32_e32 v111, 0, v116
	s_and_saveexec_b64 s[16:17], s[4:5]
	s_cbranch_execz .LBB118_22
; %bb.21:
	buffer_load_dword v117, off, s[0:3], 0 offset:12
	buffer_load_dword v118, off, s[0:3], 0 offset:8
	v_mov_b32_e32 v115, 0
	ds_read_b64 v[115:116], v115 offset:456
	s_waitcnt vmcnt(1) lgkmcnt(0)
	v_mul_f32_e32 v119, v115, v117
	v_mul_f32_e32 v117, v116, v117
	s_waitcnt vmcnt(0)
	v_fmac_f32_e32 v119, v116, v118
	v_fma_f32 v115, v115, v118, -v117
	v_add_f32_e32 v111, v111, v119
	v_add_f32_e32 v112, v112, v115
.LBB118_22:
	s_or_b64 exec, exec, s[16:17]
	v_mov_b32_e32 v115, 0
	ds_read_b64 v[115:116], v115 offset:16
	s_waitcnt lgkmcnt(0)
	v_mul_f32_e32 v117, v111, v116
	v_mul_f32_e32 v116, v112, v116
	v_fma_f32 v112, v112, v115, -v117
	v_fmac_f32_e32 v116, v111, v115
	buffer_store_dword v112, off, s[0:3], 0 offset:16
	buffer_store_dword v116, off, s[0:3], 0 offset:20
.LBB118_23:
	s_or_b64 exec, exec, s[8:9]
	; wave barrier
	buffer_load_dword v111, off, s[0:3], 0 offset:24
	buffer_load_dword v112, off, s[0:3], 0 offset:28
	v_cmp_gt_u32_e32 vcc, 3, v0
	s_waitcnt vmcnt(0)
	ds_write_b64 v114, v[111:112]
	v_add_u32_e32 v111, -1, v0
	s_waitcnt lgkmcnt(0)
	; wave barrier
	s_and_saveexec_b64 s[4:5], vcc
	s_cbranch_execz .LBB118_27
; %bb.24:
	v_add_u32_e32 v115, -1, v0
	v_add_u32_e32 v116, 0x1c0, v113
	v_mov_b32_e32 v117, v113
	v_mov_b32_e32 v112, 0
	s_mov_b64 s[8:9], 0
	v_mov_b32_e32 v118, 0
.LBB118_25:                             ; =>This Inner Loop Header: Depth=1
	buffer_load_dword v121, v117, s[0:3], 0 offen offset:4
	buffer_load_dword v122, v117, s[0:3], 0 offen
	ds_read_b64 v[119:120], v116
	v_add_u32_e32 v115, 1, v115
	v_cmp_lt_u32_e32 vcc, 1, v115
	v_add_u32_e32 v116, 8, v116
	v_add_u32_e32 v117, 8, v117
	s_or_b64 s[8:9], vcc, s[8:9]
	s_waitcnt vmcnt(1) lgkmcnt(0)
	v_mul_f32_e32 v123, v120, v121
	v_mul_f32_e32 v121, v119, v121
	s_waitcnt vmcnt(0)
	v_fma_f32 v119, v119, v122, -v123
	v_fmac_f32_e32 v121, v120, v122
	v_add_f32_e32 v118, v118, v119
	v_add_f32_e32 v112, v112, v121
	s_andn2_b64 exec, exec, s[8:9]
	s_cbranch_execnz .LBB118_25
; %bb.26:
	s_or_b64 exec, exec, s[8:9]
	v_mov_b32_e32 v115, 0
	ds_read_b64 v[115:116], v115 offset:24
	s_waitcnt lgkmcnt(0)
	v_mul_f32_e32 v117, v112, v116
	v_mul_f32_e32 v116, v118, v116
	v_fma_f32 v117, v118, v115, -v117
	v_fmac_f32_e32 v116, v112, v115
	buffer_store_dword v117, off, s[0:3], 0 offset:24
	buffer_store_dword v116, off, s[0:3], 0 offset:28
.LBB118_27:
	s_or_b64 exec, exec, s[4:5]
	; wave barrier
	buffer_load_dword v115, off, s[0:3], 0 offset:32
	buffer_load_dword v116, off, s[0:3], 0 offset:36
	v_cmp_gt_u32_e32 vcc, 4, v0
	s_waitcnt vmcnt(0)
	ds_write_b64 v114, v[115:116]
	s_waitcnt lgkmcnt(0)
	; wave barrier
	s_and_saveexec_b64 s[4:5], vcc
	s_cbranch_execz .LBB118_31
; %bb.28:
	v_add_u32_e32 v115, -1, v0
	v_add_u32_e32 v116, 0x1c0, v113
	v_mov_b32_e32 v117, v113
	v_mov_b32_e32 v112, 0
	s_mov_b64 s[8:9], 0
	v_mov_b32_e32 v118, 0
.LBB118_29:                             ; =>This Inner Loop Header: Depth=1
	buffer_load_dword v121, v117, s[0:3], 0 offen offset:4
	buffer_load_dword v122, v117, s[0:3], 0 offen
	ds_read_b64 v[119:120], v116
	v_add_u32_e32 v115, 1, v115
	v_cmp_lt_u32_e32 vcc, 2, v115
	v_add_u32_e32 v116, 8, v116
	v_add_u32_e32 v117, 8, v117
	s_or_b64 s[8:9], vcc, s[8:9]
	s_waitcnt vmcnt(1) lgkmcnt(0)
	v_mul_f32_e32 v123, v120, v121
	v_mul_f32_e32 v121, v119, v121
	s_waitcnt vmcnt(0)
	v_fma_f32 v119, v119, v122, -v123
	v_fmac_f32_e32 v121, v120, v122
	v_add_f32_e32 v118, v118, v119
	v_add_f32_e32 v112, v112, v121
	s_andn2_b64 exec, exec, s[8:9]
	s_cbranch_execnz .LBB118_29
; %bb.30:
	s_or_b64 exec, exec, s[8:9]
	v_mov_b32_e32 v115, 0
	ds_read_b64 v[115:116], v115 offset:32
	s_waitcnt lgkmcnt(0)
	v_mul_f32_e32 v117, v112, v116
	v_mul_f32_e32 v116, v118, v116
	v_fma_f32 v117, v118, v115, -v117
	v_fmac_f32_e32 v116, v112, v115
	buffer_store_dword v117, off, s[0:3], 0 offset:32
	buffer_store_dword v116, off, s[0:3], 0 offset:36
.LBB118_31:
	s_or_b64 exec, exec, s[4:5]
	; wave barrier
	buffer_load_dword v115, off, s[0:3], 0 offset:40
	buffer_load_dword v116, off, s[0:3], 0 offset:44
	v_cmp_gt_u32_e32 vcc, 5, v0
	s_waitcnt vmcnt(0)
	ds_write_b64 v114, v[115:116]
	;; [unrolled: 49-line block ×19, first 2 shown]
	s_waitcnt lgkmcnt(0)
	; wave barrier
	s_and_saveexec_b64 s[4:5], vcc
	s_cbranch_execz .LBB118_103
; %bb.100:
	v_add_u32_e32 v115, -1, v0
	v_add_u32_e32 v116, 0x1c0, v113
	v_mov_b32_e32 v117, v113
	v_mov_b32_e32 v112, 0
	s_mov_b64 s[8:9], 0
	v_mov_b32_e32 v118, 0
.LBB118_101:                            ; =>This Inner Loop Header: Depth=1
	buffer_load_dword v121, v117, s[0:3], 0 offen offset:4
	buffer_load_dword v122, v117, s[0:3], 0 offen
	ds_read_b64 v[119:120], v116
	v_add_u32_e32 v115, 1, v115
	v_cmp_lt_u32_e32 vcc, 20, v115
	v_add_u32_e32 v116, 8, v116
	v_add_u32_e32 v117, 8, v117
	s_or_b64 s[8:9], vcc, s[8:9]
	s_waitcnt vmcnt(1) lgkmcnt(0)
	v_mul_f32_e32 v123, v120, v121
	v_mul_f32_e32 v121, v119, v121
	s_waitcnt vmcnt(0)
	v_fma_f32 v119, v119, v122, -v123
	v_fmac_f32_e32 v121, v120, v122
	v_add_f32_e32 v118, v118, v119
	v_add_f32_e32 v112, v112, v121
	s_andn2_b64 exec, exec, s[8:9]
	s_cbranch_execnz .LBB118_101
; %bb.102:
	s_or_b64 exec, exec, s[8:9]
	v_mov_b32_e32 v115, 0
	ds_read_b64 v[115:116], v115 offset:176
	s_waitcnt lgkmcnt(0)
	v_mul_f32_e32 v117, v112, v116
	v_mul_f32_e32 v116, v118, v116
	v_fma_f32 v117, v118, v115, -v117
	v_fmac_f32_e32 v116, v112, v115
	buffer_store_dword v117, off, s[0:3], 0 offset:176
	buffer_store_dword v116, off, s[0:3], 0 offset:180
.LBB118_103:
	s_or_b64 exec, exec, s[4:5]
	; wave barrier
	buffer_load_dword v115, off, s[0:3], 0 offset:184
	buffer_load_dword v116, off, s[0:3], 0 offset:188
	v_cmp_gt_u32_e32 vcc, 23, v0
	s_waitcnt vmcnt(0)
	ds_write_b64 v114, v[115:116]
	s_waitcnt lgkmcnt(0)
	; wave barrier
	s_and_saveexec_b64 s[4:5], vcc
	s_cbranch_execz .LBB118_107
; %bb.104:
	v_add_u32_e32 v115, -1, v0
	v_add_u32_e32 v116, 0x1c0, v113
	v_mov_b32_e32 v117, v113
	v_mov_b32_e32 v112, 0
	s_mov_b64 s[8:9], 0
	v_mov_b32_e32 v118, 0
.LBB118_105:                            ; =>This Inner Loop Header: Depth=1
	buffer_load_dword v121, v117, s[0:3], 0 offen offset:4
	buffer_load_dword v122, v117, s[0:3], 0 offen
	ds_read_b64 v[119:120], v116
	v_add_u32_e32 v115, 1, v115
	v_cmp_lt_u32_e32 vcc, 21, v115
	v_add_u32_e32 v116, 8, v116
	v_add_u32_e32 v117, 8, v117
	s_or_b64 s[8:9], vcc, s[8:9]
	s_waitcnt vmcnt(1) lgkmcnt(0)
	v_mul_f32_e32 v123, v120, v121
	v_mul_f32_e32 v121, v119, v121
	s_waitcnt vmcnt(0)
	v_fma_f32 v119, v119, v122, -v123
	v_fmac_f32_e32 v121, v120, v122
	v_add_f32_e32 v118, v118, v119
	v_add_f32_e32 v112, v112, v121
	s_andn2_b64 exec, exec, s[8:9]
	s_cbranch_execnz .LBB118_105
; %bb.106:
	s_or_b64 exec, exec, s[8:9]
	v_mov_b32_e32 v115, 0
	ds_read_b64 v[115:116], v115 offset:184
	s_waitcnt lgkmcnt(0)
	v_mul_f32_e32 v117, v112, v116
	v_mul_f32_e32 v116, v118, v116
	v_fma_f32 v117, v118, v115, -v117
	v_fmac_f32_e32 v116, v112, v115
	buffer_store_dword v117, off, s[0:3], 0 offset:184
	buffer_store_dword v116, off, s[0:3], 0 offset:188
.LBB118_107:
	s_or_b64 exec, exec, s[4:5]
	; wave barrier
	buffer_load_dword v115, off, s[0:3], 0 offset:192
	buffer_load_dword v116, off, s[0:3], 0 offset:196
	v_cmp_gt_u32_e32 vcc, 24, v0
	s_waitcnt vmcnt(0)
	ds_write_b64 v114, v[115:116]
	s_waitcnt lgkmcnt(0)
	; wave barrier
	s_and_saveexec_b64 s[4:5], vcc
	s_cbranch_execz .LBB118_111
; %bb.108:
	v_add_u32_e32 v115, -1, v0
	v_add_u32_e32 v116, 0x1c0, v113
	v_mov_b32_e32 v117, v113
	v_mov_b32_e32 v112, 0
	s_mov_b64 s[8:9], 0
	v_mov_b32_e32 v118, 0
.LBB118_109:                            ; =>This Inner Loop Header: Depth=1
	buffer_load_dword v121, v117, s[0:3], 0 offen offset:4
	buffer_load_dword v122, v117, s[0:3], 0 offen
	ds_read_b64 v[119:120], v116
	v_add_u32_e32 v115, 1, v115
	v_cmp_lt_u32_e32 vcc, 22, v115
	v_add_u32_e32 v116, 8, v116
	v_add_u32_e32 v117, 8, v117
	s_or_b64 s[8:9], vcc, s[8:9]
	s_waitcnt vmcnt(1) lgkmcnt(0)
	v_mul_f32_e32 v123, v120, v121
	v_mul_f32_e32 v121, v119, v121
	s_waitcnt vmcnt(0)
	v_fma_f32 v119, v119, v122, -v123
	v_fmac_f32_e32 v121, v120, v122
	v_add_f32_e32 v118, v118, v119
	v_add_f32_e32 v112, v112, v121
	s_andn2_b64 exec, exec, s[8:9]
	s_cbranch_execnz .LBB118_109
; %bb.110:
	s_or_b64 exec, exec, s[8:9]
	v_mov_b32_e32 v115, 0
	ds_read_b64 v[115:116], v115 offset:192
	s_waitcnt lgkmcnt(0)
	v_mul_f32_e32 v117, v112, v116
	v_mul_f32_e32 v116, v118, v116
	v_fma_f32 v117, v118, v115, -v117
	v_fmac_f32_e32 v116, v112, v115
	buffer_store_dword v117, off, s[0:3], 0 offset:192
	buffer_store_dword v116, off, s[0:3], 0 offset:196
.LBB118_111:
	s_or_b64 exec, exec, s[4:5]
	; wave barrier
	buffer_load_dword v115, off, s[0:3], 0 offset:200
	buffer_load_dword v116, off, s[0:3], 0 offset:204
	v_cmp_gt_u32_e32 vcc, 25, v0
	s_waitcnt vmcnt(0)
	ds_write_b64 v114, v[115:116]
	s_waitcnt lgkmcnt(0)
	; wave barrier
	s_and_saveexec_b64 s[4:5], vcc
	s_cbranch_execz .LBB118_115
; %bb.112:
	v_add_u32_e32 v115, -1, v0
	v_add_u32_e32 v116, 0x1c0, v113
	v_mov_b32_e32 v117, v113
	v_mov_b32_e32 v112, 0
	s_mov_b64 s[8:9], 0
	v_mov_b32_e32 v118, 0
.LBB118_113:                            ; =>This Inner Loop Header: Depth=1
	buffer_load_dword v121, v117, s[0:3], 0 offen offset:4
	buffer_load_dword v122, v117, s[0:3], 0 offen
	ds_read_b64 v[119:120], v116
	v_add_u32_e32 v115, 1, v115
	v_cmp_lt_u32_e32 vcc, 23, v115
	v_add_u32_e32 v116, 8, v116
	v_add_u32_e32 v117, 8, v117
	s_or_b64 s[8:9], vcc, s[8:9]
	s_waitcnt vmcnt(1) lgkmcnt(0)
	v_mul_f32_e32 v123, v120, v121
	v_mul_f32_e32 v121, v119, v121
	s_waitcnt vmcnt(0)
	v_fma_f32 v119, v119, v122, -v123
	v_fmac_f32_e32 v121, v120, v122
	v_add_f32_e32 v118, v118, v119
	v_add_f32_e32 v112, v112, v121
	s_andn2_b64 exec, exec, s[8:9]
	s_cbranch_execnz .LBB118_113
; %bb.114:
	s_or_b64 exec, exec, s[8:9]
	v_mov_b32_e32 v115, 0
	ds_read_b64 v[115:116], v115 offset:200
	s_waitcnt lgkmcnt(0)
	v_mul_f32_e32 v117, v112, v116
	v_mul_f32_e32 v116, v118, v116
	v_fma_f32 v117, v118, v115, -v117
	v_fmac_f32_e32 v116, v112, v115
	buffer_store_dword v117, off, s[0:3], 0 offset:200
	buffer_store_dword v116, off, s[0:3], 0 offset:204
.LBB118_115:
	s_or_b64 exec, exec, s[4:5]
	; wave barrier
	buffer_load_dword v115, off, s[0:3], 0 offset:208
	buffer_load_dword v116, off, s[0:3], 0 offset:212
	v_cmp_gt_u32_e32 vcc, 26, v0
	s_waitcnt vmcnt(0)
	ds_write_b64 v114, v[115:116]
	s_waitcnt lgkmcnt(0)
	; wave barrier
	s_and_saveexec_b64 s[4:5], vcc
	s_cbranch_execz .LBB118_119
; %bb.116:
	v_add_u32_e32 v115, -1, v0
	v_add_u32_e32 v116, 0x1c0, v113
	v_mov_b32_e32 v117, v113
	v_mov_b32_e32 v112, 0
	s_mov_b64 s[8:9], 0
	v_mov_b32_e32 v118, 0
.LBB118_117:                            ; =>This Inner Loop Header: Depth=1
	buffer_load_dword v121, v117, s[0:3], 0 offen offset:4
	buffer_load_dword v122, v117, s[0:3], 0 offen
	ds_read_b64 v[119:120], v116
	v_add_u32_e32 v115, 1, v115
	v_cmp_lt_u32_e32 vcc, 24, v115
	v_add_u32_e32 v116, 8, v116
	v_add_u32_e32 v117, 8, v117
	s_or_b64 s[8:9], vcc, s[8:9]
	s_waitcnt vmcnt(1) lgkmcnt(0)
	v_mul_f32_e32 v123, v120, v121
	v_mul_f32_e32 v121, v119, v121
	s_waitcnt vmcnt(0)
	v_fma_f32 v119, v119, v122, -v123
	v_fmac_f32_e32 v121, v120, v122
	v_add_f32_e32 v118, v118, v119
	v_add_f32_e32 v112, v112, v121
	s_andn2_b64 exec, exec, s[8:9]
	s_cbranch_execnz .LBB118_117
; %bb.118:
	s_or_b64 exec, exec, s[8:9]
	v_mov_b32_e32 v115, 0
	ds_read_b64 v[115:116], v115 offset:208
	s_waitcnt lgkmcnt(0)
	v_mul_f32_e32 v117, v112, v116
	v_mul_f32_e32 v116, v118, v116
	v_fma_f32 v117, v118, v115, -v117
	v_fmac_f32_e32 v116, v112, v115
	buffer_store_dword v117, off, s[0:3], 0 offset:208
	buffer_store_dword v116, off, s[0:3], 0 offset:212
.LBB118_119:
	s_or_b64 exec, exec, s[4:5]
	; wave barrier
	buffer_load_dword v115, off, s[0:3], 0 offset:216
	buffer_load_dword v116, off, s[0:3], 0 offset:220
	v_cmp_gt_u32_e32 vcc, 27, v0
	s_waitcnt vmcnt(0)
	ds_write_b64 v114, v[115:116]
	s_waitcnt lgkmcnt(0)
	; wave barrier
	s_and_saveexec_b64 s[4:5], vcc
	s_cbranch_execz .LBB118_123
; %bb.120:
	v_add_u32_e32 v115, -1, v0
	v_add_u32_e32 v116, 0x1c0, v113
	v_mov_b32_e32 v117, v113
	v_mov_b32_e32 v112, 0
	s_mov_b64 s[8:9], 0
	v_mov_b32_e32 v118, 0
.LBB118_121:                            ; =>This Inner Loop Header: Depth=1
	buffer_load_dword v121, v117, s[0:3], 0 offen offset:4
	buffer_load_dword v122, v117, s[0:3], 0 offen
	ds_read_b64 v[119:120], v116
	v_add_u32_e32 v115, 1, v115
	v_cmp_lt_u32_e32 vcc, 25, v115
	v_add_u32_e32 v116, 8, v116
	v_add_u32_e32 v117, 8, v117
	s_or_b64 s[8:9], vcc, s[8:9]
	s_waitcnt vmcnt(1) lgkmcnt(0)
	v_mul_f32_e32 v123, v120, v121
	v_mul_f32_e32 v121, v119, v121
	s_waitcnt vmcnt(0)
	v_fma_f32 v119, v119, v122, -v123
	v_fmac_f32_e32 v121, v120, v122
	v_add_f32_e32 v118, v118, v119
	v_add_f32_e32 v112, v112, v121
	s_andn2_b64 exec, exec, s[8:9]
	s_cbranch_execnz .LBB118_121
; %bb.122:
	s_or_b64 exec, exec, s[8:9]
	v_mov_b32_e32 v115, 0
	ds_read_b64 v[115:116], v115 offset:216
	s_waitcnt lgkmcnt(0)
	v_mul_f32_e32 v117, v112, v116
	v_mul_f32_e32 v116, v118, v116
	v_fma_f32 v117, v118, v115, -v117
	v_fmac_f32_e32 v116, v112, v115
	buffer_store_dword v117, off, s[0:3], 0 offset:216
	buffer_store_dword v116, off, s[0:3], 0 offset:220
.LBB118_123:
	s_or_b64 exec, exec, s[4:5]
	; wave barrier
	buffer_load_dword v115, off, s[0:3], 0 offset:224
	buffer_load_dword v116, off, s[0:3], 0 offset:228
	v_cmp_gt_u32_e32 vcc, 28, v0
	s_waitcnt vmcnt(0)
	ds_write_b64 v114, v[115:116]
	s_waitcnt lgkmcnt(0)
	; wave barrier
	s_and_saveexec_b64 s[4:5], vcc
	s_cbranch_execz .LBB118_127
; %bb.124:
	v_add_u32_e32 v115, -1, v0
	v_add_u32_e32 v116, 0x1c0, v113
	v_mov_b32_e32 v117, v113
	v_mov_b32_e32 v112, 0
	s_mov_b64 s[8:9], 0
	v_mov_b32_e32 v118, 0
.LBB118_125:                            ; =>This Inner Loop Header: Depth=1
	buffer_load_dword v121, v117, s[0:3], 0 offen offset:4
	buffer_load_dword v122, v117, s[0:3], 0 offen
	ds_read_b64 v[119:120], v116
	v_add_u32_e32 v115, 1, v115
	v_cmp_lt_u32_e32 vcc, 26, v115
	v_add_u32_e32 v116, 8, v116
	v_add_u32_e32 v117, 8, v117
	s_or_b64 s[8:9], vcc, s[8:9]
	s_waitcnt vmcnt(1) lgkmcnt(0)
	v_mul_f32_e32 v123, v120, v121
	v_mul_f32_e32 v121, v119, v121
	s_waitcnt vmcnt(0)
	v_fma_f32 v119, v119, v122, -v123
	v_fmac_f32_e32 v121, v120, v122
	v_add_f32_e32 v118, v118, v119
	v_add_f32_e32 v112, v112, v121
	s_andn2_b64 exec, exec, s[8:9]
	s_cbranch_execnz .LBB118_125
; %bb.126:
	s_or_b64 exec, exec, s[8:9]
	v_mov_b32_e32 v115, 0
	ds_read_b64 v[115:116], v115 offset:224
	s_waitcnt lgkmcnt(0)
	v_mul_f32_e32 v117, v112, v116
	v_mul_f32_e32 v116, v118, v116
	v_fma_f32 v117, v118, v115, -v117
	v_fmac_f32_e32 v116, v112, v115
	buffer_store_dword v117, off, s[0:3], 0 offset:224
	buffer_store_dword v116, off, s[0:3], 0 offset:228
.LBB118_127:
	s_or_b64 exec, exec, s[4:5]
	; wave barrier
	buffer_load_dword v115, off, s[0:3], 0 offset:232
	buffer_load_dword v116, off, s[0:3], 0 offset:236
	v_cmp_gt_u32_e32 vcc, 29, v0
	s_waitcnt vmcnt(0)
	ds_write_b64 v114, v[115:116]
	s_waitcnt lgkmcnt(0)
	; wave barrier
	s_and_saveexec_b64 s[4:5], vcc
	s_cbranch_execz .LBB118_131
; %bb.128:
	v_add_u32_e32 v115, -1, v0
	v_add_u32_e32 v116, 0x1c0, v113
	v_mov_b32_e32 v117, v113
	v_mov_b32_e32 v112, 0
	s_mov_b64 s[8:9], 0
	v_mov_b32_e32 v118, 0
.LBB118_129:                            ; =>This Inner Loop Header: Depth=1
	buffer_load_dword v121, v117, s[0:3], 0 offen offset:4
	buffer_load_dword v122, v117, s[0:3], 0 offen
	ds_read_b64 v[119:120], v116
	v_add_u32_e32 v115, 1, v115
	v_cmp_lt_u32_e32 vcc, 27, v115
	v_add_u32_e32 v116, 8, v116
	v_add_u32_e32 v117, 8, v117
	s_or_b64 s[8:9], vcc, s[8:9]
	s_waitcnt vmcnt(1) lgkmcnt(0)
	v_mul_f32_e32 v123, v120, v121
	v_mul_f32_e32 v121, v119, v121
	s_waitcnt vmcnt(0)
	v_fma_f32 v119, v119, v122, -v123
	v_fmac_f32_e32 v121, v120, v122
	v_add_f32_e32 v118, v118, v119
	v_add_f32_e32 v112, v112, v121
	s_andn2_b64 exec, exec, s[8:9]
	s_cbranch_execnz .LBB118_129
; %bb.130:
	s_or_b64 exec, exec, s[8:9]
	v_mov_b32_e32 v115, 0
	ds_read_b64 v[115:116], v115 offset:232
	s_waitcnt lgkmcnt(0)
	v_mul_f32_e32 v117, v112, v116
	v_mul_f32_e32 v116, v118, v116
	v_fma_f32 v117, v118, v115, -v117
	v_fmac_f32_e32 v116, v112, v115
	buffer_store_dword v117, off, s[0:3], 0 offset:232
	buffer_store_dword v116, off, s[0:3], 0 offset:236
.LBB118_131:
	s_or_b64 exec, exec, s[4:5]
	; wave barrier
	buffer_load_dword v115, off, s[0:3], 0 offset:240
	buffer_load_dword v116, off, s[0:3], 0 offset:244
	v_cmp_gt_u32_e32 vcc, 30, v0
	s_waitcnt vmcnt(0)
	ds_write_b64 v114, v[115:116]
	s_waitcnt lgkmcnt(0)
	; wave barrier
	s_and_saveexec_b64 s[4:5], vcc
	s_cbranch_execz .LBB118_135
; %bb.132:
	v_add_u32_e32 v115, -1, v0
	v_add_u32_e32 v116, 0x1c0, v113
	v_mov_b32_e32 v117, v113
	v_mov_b32_e32 v112, 0
	s_mov_b64 s[8:9], 0
	v_mov_b32_e32 v118, 0
.LBB118_133:                            ; =>This Inner Loop Header: Depth=1
	buffer_load_dword v121, v117, s[0:3], 0 offen offset:4
	buffer_load_dword v122, v117, s[0:3], 0 offen
	ds_read_b64 v[119:120], v116
	v_add_u32_e32 v115, 1, v115
	v_cmp_lt_u32_e32 vcc, 28, v115
	v_add_u32_e32 v116, 8, v116
	v_add_u32_e32 v117, 8, v117
	s_or_b64 s[8:9], vcc, s[8:9]
	s_waitcnt vmcnt(1) lgkmcnt(0)
	v_mul_f32_e32 v123, v120, v121
	v_mul_f32_e32 v121, v119, v121
	s_waitcnt vmcnt(0)
	v_fma_f32 v119, v119, v122, -v123
	v_fmac_f32_e32 v121, v120, v122
	v_add_f32_e32 v118, v118, v119
	v_add_f32_e32 v112, v112, v121
	s_andn2_b64 exec, exec, s[8:9]
	s_cbranch_execnz .LBB118_133
; %bb.134:
	s_or_b64 exec, exec, s[8:9]
	v_mov_b32_e32 v115, 0
	ds_read_b64 v[115:116], v115 offset:240
	s_waitcnt lgkmcnt(0)
	v_mul_f32_e32 v117, v112, v116
	v_mul_f32_e32 v116, v118, v116
	v_fma_f32 v117, v118, v115, -v117
	v_fmac_f32_e32 v116, v112, v115
	buffer_store_dword v117, off, s[0:3], 0 offset:240
	buffer_store_dword v116, off, s[0:3], 0 offset:244
.LBB118_135:
	s_or_b64 exec, exec, s[4:5]
	; wave barrier
	buffer_load_dword v115, off, s[0:3], 0 offset:248
	buffer_load_dword v116, off, s[0:3], 0 offset:252
	v_cmp_gt_u32_e32 vcc, 31, v0
	s_waitcnt vmcnt(0)
	ds_write_b64 v114, v[115:116]
	s_waitcnt lgkmcnt(0)
	; wave barrier
	s_and_saveexec_b64 s[4:5], vcc
	s_cbranch_execz .LBB118_139
; %bb.136:
	v_add_u32_e32 v115, -1, v0
	v_add_u32_e32 v116, 0x1c0, v113
	v_mov_b32_e32 v117, v113
	v_mov_b32_e32 v112, 0
	s_mov_b64 s[8:9], 0
	v_mov_b32_e32 v118, 0
.LBB118_137:                            ; =>This Inner Loop Header: Depth=1
	buffer_load_dword v121, v117, s[0:3], 0 offen offset:4
	buffer_load_dword v122, v117, s[0:3], 0 offen
	ds_read_b64 v[119:120], v116
	v_add_u32_e32 v115, 1, v115
	v_cmp_lt_u32_e32 vcc, 29, v115
	v_add_u32_e32 v116, 8, v116
	v_add_u32_e32 v117, 8, v117
	s_or_b64 s[8:9], vcc, s[8:9]
	s_waitcnt vmcnt(1) lgkmcnt(0)
	v_mul_f32_e32 v123, v120, v121
	v_mul_f32_e32 v121, v119, v121
	s_waitcnt vmcnt(0)
	v_fma_f32 v119, v119, v122, -v123
	v_fmac_f32_e32 v121, v120, v122
	v_add_f32_e32 v118, v118, v119
	v_add_f32_e32 v112, v112, v121
	s_andn2_b64 exec, exec, s[8:9]
	s_cbranch_execnz .LBB118_137
; %bb.138:
	s_or_b64 exec, exec, s[8:9]
	v_mov_b32_e32 v115, 0
	ds_read_b64 v[115:116], v115 offset:248
	s_waitcnt lgkmcnt(0)
	v_mul_f32_e32 v117, v112, v116
	v_mul_f32_e32 v116, v118, v116
	v_fma_f32 v117, v118, v115, -v117
	v_fmac_f32_e32 v116, v112, v115
	buffer_store_dword v117, off, s[0:3], 0 offset:248
	buffer_store_dword v116, off, s[0:3], 0 offset:252
.LBB118_139:
	s_or_b64 exec, exec, s[4:5]
	; wave barrier
	buffer_load_dword v115, off, s[0:3], 0 offset:256
	buffer_load_dword v116, off, s[0:3], 0 offset:260
	v_cmp_gt_u32_e32 vcc, 32, v0
	s_waitcnt vmcnt(0)
	ds_write_b64 v114, v[115:116]
	s_waitcnt lgkmcnt(0)
	; wave barrier
	s_and_saveexec_b64 s[4:5], vcc
	s_cbranch_execz .LBB118_143
; %bb.140:
	v_add_u32_e32 v115, -1, v0
	v_add_u32_e32 v116, 0x1c0, v113
	v_mov_b32_e32 v117, v113
	v_mov_b32_e32 v112, 0
	s_mov_b64 s[8:9], 0
	v_mov_b32_e32 v118, 0
.LBB118_141:                            ; =>This Inner Loop Header: Depth=1
	buffer_load_dword v121, v117, s[0:3], 0 offen offset:4
	buffer_load_dword v122, v117, s[0:3], 0 offen
	ds_read_b64 v[119:120], v116
	v_add_u32_e32 v115, 1, v115
	v_cmp_lt_u32_e32 vcc, 30, v115
	v_add_u32_e32 v116, 8, v116
	v_add_u32_e32 v117, 8, v117
	s_or_b64 s[8:9], vcc, s[8:9]
	s_waitcnt vmcnt(1) lgkmcnt(0)
	v_mul_f32_e32 v123, v120, v121
	v_mul_f32_e32 v121, v119, v121
	s_waitcnt vmcnt(0)
	v_fma_f32 v119, v119, v122, -v123
	v_fmac_f32_e32 v121, v120, v122
	v_add_f32_e32 v118, v118, v119
	v_add_f32_e32 v112, v112, v121
	s_andn2_b64 exec, exec, s[8:9]
	s_cbranch_execnz .LBB118_141
; %bb.142:
	s_or_b64 exec, exec, s[8:9]
	v_mov_b32_e32 v115, 0
	ds_read_b64 v[115:116], v115 offset:256
	s_waitcnt lgkmcnt(0)
	v_mul_f32_e32 v117, v112, v116
	v_mul_f32_e32 v116, v118, v116
	v_fma_f32 v117, v118, v115, -v117
	v_fmac_f32_e32 v116, v112, v115
	buffer_store_dword v117, off, s[0:3], 0 offset:256
	buffer_store_dword v116, off, s[0:3], 0 offset:260
.LBB118_143:
	s_or_b64 exec, exec, s[4:5]
	; wave barrier
	buffer_load_dword v115, off, s[0:3], 0 offset:264
	buffer_load_dword v116, off, s[0:3], 0 offset:268
	v_cmp_gt_u32_e32 vcc, 33, v0
	s_waitcnt vmcnt(0)
	ds_write_b64 v114, v[115:116]
	s_waitcnt lgkmcnt(0)
	; wave barrier
	s_and_saveexec_b64 s[4:5], vcc
	s_cbranch_execz .LBB118_147
; %bb.144:
	v_add_u32_e32 v115, -1, v0
	v_add_u32_e32 v116, 0x1c0, v113
	v_mov_b32_e32 v117, v113
	v_mov_b32_e32 v112, 0
	s_mov_b64 s[8:9], 0
	v_mov_b32_e32 v118, 0
.LBB118_145:                            ; =>This Inner Loop Header: Depth=1
	buffer_load_dword v121, v117, s[0:3], 0 offen offset:4
	buffer_load_dword v122, v117, s[0:3], 0 offen
	ds_read_b64 v[119:120], v116
	v_add_u32_e32 v115, 1, v115
	v_cmp_lt_u32_e32 vcc, 31, v115
	v_add_u32_e32 v116, 8, v116
	v_add_u32_e32 v117, 8, v117
	s_or_b64 s[8:9], vcc, s[8:9]
	s_waitcnt vmcnt(1) lgkmcnt(0)
	v_mul_f32_e32 v123, v120, v121
	v_mul_f32_e32 v121, v119, v121
	s_waitcnt vmcnt(0)
	v_fma_f32 v119, v119, v122, -v123
	v_fmac_f32_e32 v121, v120, v122
	v_add_f32_e32 v118, v118, v119
	v_add_f32_e32 v112, v112, v121
	s_andn2_b64 exec, exec, s[8:9]
	s_cbranch_execnz .LBB118_145
; %bb.146:
	s_or_b64 exec, exec, s[8:9]
	v_mov_b32_e32 v115, 0
	ds_read_b64 v[115:116], v115 offset:264
	s_waitcnt lgkmcnt(0)
	v_mul_f32_e32 v117, v112, v116
	v_mul_f32_e32 v116, v118, v116
	v_fma_f32 v117, v118, v115, -v117
	v_fmac_f32_e32 v116, v112, v115
	buffer_store_dword v117, off, s[0:3], 0 offset:264
	buffer_store_dword v116, off, s[0:3], 0 offset:268
.LBB118_147:
	s_or_b64 exec, exec, s[4:5]
	; wave barrier
	buffer_load_dword v115, off, s[0:3], 0 offset:272
	buffer_load_dword v116, off, s[0:3], 0 offset:276
	v_cmp_gt_u32_e32 vcc, 34, v0
	s_waitcnt vmcnt(0)
	ds_write_b64 v114, v[115:116]
	s_waitcnt lgkmcnt(0)
	; wave barrier
	s_and_saveexec_b64 s[4:5], vcc
	s_cbranch_execz .LBB118_151
; %bb.148:
	v_add_u32_e32 v115, -1, v0
	v_add_u32_e32 v116, 0x1c0, v113
	v_mov_b32_e32 v117, v113
	v_mov_b32_e32 v112, 0
	s_mov_b64 s[8:9], 0
	v_mov_b32_e32 v118, 0
.LBB118_149:                            ; =>This Inner Loop Header: Depth=1
	buffer_load_dword v121, v117, s[0:3], 0 offen offset:4
	buffer_load_dword v122, v117, s[0:3], 0 offen
	ds_read_b64 v[119:120], v116
	v_add_u32_e32 v115, 1, v115
	v_cmp_lt_u32_e32 vcc, 32, v115
	v_add_u32_e32 v116, 8, v116
	v_add_u32_e32 v117, 8, v117
	s_or_b64 s[8:9], vcc, s[8:9]
	s_waitcnt vmcnt(1) lgkmcnt(0)
	v_mul_f32_e32 v123, v120, v121
	v_mul_f32_e32 v121, v119, v121
	s_waitcnt vmcnt(0)
	v_fma_f32 v119, v119, v122, -v123
	v_fmac_f32_e32 v121, v120, v122
	v_add_f32_e32 v118, v118, v119
	v_add_f32_e32 v112, v112, v121
	s_andn2_b64 exec, exec, s[8:9]
	s_cbranch_execnz .LBB118_149
; %bb.150:
	s_or_b64 exec, exec, s[8:9]
	v_mov_b32_e32 v115, 0
	ds_read_b64 v[115:116], v115 offset:272
	s_waitcnt lgkmcnt(0)
	v_mul_f32_e32 v117, v112, v116
	v_mul_f32_e32 v116, v118, v116
	v_fma_f32 v117, v118, v115, -v117
	v_fmac_f32_e32 v116, v112, v115
	buffer_store_dword v117, off, s[0:3], 0 offset:272
	buffer_store_dword v116, off, s[0:3], 0 offset:276
.LBB118_151:
	s_or_b64 exec, exec, s[4:5]
	; wave barrier
	buffer_load_dword v115, off, s[0:3], 0 offset:280
	buffer_load_dword v116, off, s[0:3], 0 offset:284
	v_cmp_gt_u32_e32 vcc, 35, v0
	s_waitcnt vmcnt(0)
	ds_write_b64 v114, v[115:116]
	s_waitcnt lgkmcnt(0)
	; wave barrier
	s_and_saveexec_b64 s[4:5], vcc
	s_cbranch_execz .LBB118_155
; %bb.152:
	v_add_u32_e32 v115, -1, v0
	v_add_u32_e32 v116, 0x1c0, v113
	v_mov_b32_e32 v117, v113
	v_mov_b32_e32 v112, 0
	s_mov_b64 s[8:9], 0
	v_mov_b32_e32 v118, 0
.LBB118_153:                            ; =>This Inner Loop Header: Depth=1
	buffer_load_dword v121, v117, s[0:3], 0 offen offset:4
	buffer_load_dword v122, v117, s[0:3], 0 offen
	ds_read_b64 v[119:120], v116
	v_add_u32_e32 v115, 1, v115
	v_cmp_lt_u32_e32 vcc, 33, v115
	v_add_u32_e32 v116, 8, v116
	v_add_u32_e32 v117, 8, v117
	s_or_b64 s[8:9], vcc, s[8:9]
	s_waitcnt vmcnt(1) lgkmcnt(0)
	v_mul_f32_e32 v123, v120, v121
	v_mul_f32_e32 v121, v119, v121
	s_waitcnt vmcnt(0)
	v_fma_f32 v119, v119, v122, -v123
	v_fmac_f32_e32 v121, v120, v122
	v_add_f32_e32 v118, v118, v119
	v_add_f32_e32 v112, v112, v121
	s_andn2_b64 exec, exec, s[8:9]
	s_cbranch_execnz .LBB118_153
; %bb.154:
	s_or_b64 exec, exec, s[8:9]
	v_mov_b32_e32 v115, 0
	ds_read_b64 v[115:116], v115 offset:280
	s_waitcnt lgkmcnt(0)
	v_mul_f32_e32 v117, v112, v116
	v_mul_f32_e32 v116, v118, v116
	v_fma_f32 v117, v118, v115, -v117
	v_fmac_f32_e32 v116, v112, v115
	buffer_store_dword v117, off, s[0:3], 0 offset:280
	buffer_store_dword v116, off, s[0:3], 0 offset:284
.LBB118_155:
	s_or_b64 exec, exec, s[4:5]
	; wave barrier
	buffer_load_dword v115, off, s[0:3], 0 offset:288
	buffer_load_dword v116, off, s[0:3], 0 offset:292
	v_cmp_gt_u32_e32 vcc, 36, v0
	s_waitcnt vmcnt(0)
	ds_write_b64 v114, v[115:116]
	s_waitcnt lgkmcnt(0)
	; wave barrier
	s_and_saveexec_b64 s[4:5], vcc
	s_cbranch_execz .LBB118_159
; %bb.156:
	v_add_u32_e32 v115, -1, v0
	v_add_u32_e32 v116, 0x1c0, v113
	v_mov_b32_e32 v117, v113
	v_mov_b32_e32 v112, 0
	s_mov_b64 s[8:9], 0
	v_mov_b32_e32 v118, 0
.LBB118_157:                            ; =>This Inner Loop Header: Depth=1
	buffer_load_dword v121, v117, s[0:3], 0 offen offset:4
	buffer_load_dword v122, v117, s[0:3], 0 offen
	ds_read_b64 v[119:120], v116
	v_add_u32_e32 v115, 1, v115
	v_cmp_lt_u32_e32 vcc, 34, v115
	v_add_u32_e32 v116, 8, v116
	v_add_u32_e32 v117, 8, v117
	s_or_b64 s[8:9], vcc, s[8:9]
	s_waitcnt vmcnt(1) lgkmcnt(0)
	v_mul_f32_e32 v123, v120, v121
	v_mul_f32_e32 v121, v119, v121
	s_waitcnt vmcnt(0)
	v_fma_f32 v119, v119, v122, -v123
	v_fmac_f32_e32 v121, v120, v122
	v_add_f32_e32 v118, v118, v119
	v_add_f32_e32 v112, v112, v121
	s_andn2_b64 exec, exec, s[8:9]
	s_cbranch_execnz .LBB118_157
; %bb.158:
	s_or_b64 exec, exec, s[8:9]
	v_mov_b32_e32 v115, 0
	ds_read_b64 v[115:116], v115 offset:288
	s_waitcnt lgkmcnt(0)
	v_mul_f32_e32 v117, v112, v116
	v_mul_f32_e32 v116, v118, v116
	v_fma_f32 v117, v118, v115, -v117
	v_fmac_f32_e32 v116, v112, v115
	buffer_store_dword v117, off, s[0:3], 0 offset:288
	buffer_store_dword v116, off, s[0:3], 0 offset:292
.LBB118_159:
	s_or_b64 exec, exec, s[4:5]
	; wave barrier
	buffer_load_dword v115, off, s[0:3], 0 offset:296
	buffer_load_dword v116, off, s[0:3], 0 offset:300
	v_cmp_gt_u32_e32 vcc, 37, v0
	s_waitcnt vmcnt(0)
	ds_write_b64 v114, v[115:116]
	s_waitcnt lgkmcnt(0)
	; wave barrier
	s_and_saveexec_b64 s[4:5], vcc
	s_cbranch_execz .LBB118_163
; %bb.160:
	v_add_u32_e32 v115, -1, v0
	v_add_u32_e32 v116, 0x1c0, v113
	v_mov_b32_e32 v117, v113
	v_mov_b32_e32 v112, 0
	s_mov_b64 s[8:9], 0
	v_mov_b32_e32 v118, 0
.LBB118_161:                            ; =>This Inner Loop Header: Depth=1
	buffer_load_dword v121, v117, s[0:3], 0 offen offset:4
	buffer_load_dword v122, v117, s[0:3], 0 offen
	ds_read_b64 v[119:120], v116
	v_add_u32_e32 v115, 1, v115
	v_cmp_lt_u32_e32 vcc, 35, v115
	v_add_u32_e32 v116, 8, v116
	v_add_u32_e32 v117, 8, v117
	s_or_b64 s[8:9], vcc, s[8:9]
	s_waitcnt vmcnt(1) lgkmcnt(0)
	v_mul_f32_e32 v123, v120, v121
	v_mul_f32_e32 v121, v119, v121
	s_waitcnt vmcnt(0)
	v_fma_f32 v119, v119, v122, -v123
	v_fmac_f32_e32 v121, v120, v122
	v_add_f32_e32 v118, v118, v119
	v_add_f32_e32 v112, v112, v121
	s_andn2_b64 exec, exec, s[8:9]
	s_cbranch_execnz .LBB118_161
; %bb.162:
	s_or_b64 exec, exec, s[8:9]
	v_mov_b32_e32 v115, 0
	ds_read_b64 v[115:116], v115 offset:296
	s_waitcnt lgkmcnt(0)
	v_mul_f32_e32 v117, v112, v116
	v_mul_f32_e32 v116, v118, v116
	v_fma_f32 v117, v118, v115, -v117
	v_fmac_f32_e32 v116, v112, v115
	buffer_store_dword v117, off, s[0:3], 0 offset:296
	buffer_store_dword v116, off, s[0:3], 0 offset:300
.LBB118_163:
	s_or_b64 exec, exec, s[4:5]
	; wave barrier
	buffer_load_dword v115, off, s[0:3], 0 offset:304
	buffer_load_dword v116, off, s[0:3], 0 offset:308
	v_cmp_gt_u32_e32 vcc, 38, v0
	s_waitcnt vmcnt(0)
	ds_write_b64 v114, v[115:116]
	s_waitcnt lgkmcnt(0)
	; wave barrier
	s_and_saveexec_b64 s[4:5], vcc
	s_cbranch_execz .LBB118_167
; %bb.164:
	v_add_u32_e32 v115, -1, v0
	v_add_u32_e32 v116, 0x1c0, v113
	v_mov_b32_e32 v117, v113
	v_mov_b32_e32 v112, 0
	s_mov_b64 s[8:9], 0
	v_mov_b32_e32 v118, 0
.LBB118_165:                            ; =>This Inner Loop Header: Depth=1
	buffer_load_dword v121, v117, s[0:3], 0 offen offset:4
	buffer_load_dword v122, v117, s[0:3], 0 offen
	ds_read_b64 v[119:120], v116
	v_add_u32_e32 v115, 1, v115
	v_cmp_lt_u32_e32 vcc, 36, v115
	v_add_u32_e32 v116, 8, v116
	v_add_u32_e32 v117, 8, v117
	s_or_b64 s[8:9], vcc, s[8:9]
	s_waitcnt vmcnt(1) lgkmcnt(0)
	v_mul_f32_e32 v123, v120, v121
	v_mul_f32_e32 v121, v119, v121
	s_waitcnt vmcnt(0)
	v_fma_f32 v119, v119, v122, -v123
	v_fmac_f32_e32 v121, v120, v122
	v_add_f32_e32 v118, v118, v119
	v_add_f32_e32 v112, v112, v121
	s_andn2_b64 exec, exec, s[8:9]
	s_cbranch_execnz .LBB118_165
; %bb.166:
	s_or_b64 exec, exec, s[8:9]
	v_mov_b32_e32 v115, 0
	ds_read_b64 v[115:116], v115 offset:304
	s_waitcnt lgkmcnt(0)
	v_mul_f32_e32 v117, v112, v116
	v_mul_f32_e32 v116, v118, v116
	v_fma_f32 v117, v118, v115, -v117
	v_fmac_f32_e32 v116, v112, v115
	buffer_store_dword v117, off, s[0:3], 0 offset:304
	buffer_store_dword v116, off, s[0:3], 0 offset:308
.LBB118_167:
	s_or_b64 exec, exec, s[4:5]
	; wave barrier
	buffer_load_dword v115, off, s[0:3], 0 offset:312
	buffer_load_dword v116, off, s[0:3], 0 offset:316
	v_cmp_gt_u32_e32 vcc, 39, v0
	s_waitcnt vmcnt(0)
	ds_write_b64 v114, v[115:116]
	s_waitcnt lgkmcnt(0)
	; wave barrier
	s_and_saveexec_b64 s[4:5], vcc
	s_cbranch_execz .LBB118_171
; %bb.168:
	v_add_u32_e32 v115, -1, v0
	v_add_u32_e32 v116, 0x1c0, v113
	v_mov_b32_e32 v117, v113
	v_mov_b32_e32 v112, 0
	s_mov_b64 s[8:9], 0
	v_mov_b32_e32 v118, 0
.LBB118_169:                            ; =>This Inner Loop Header: Depth=1
	buffer_load_dword v121, v117, s[0:3], 0 offen offset:4
	buffer_load_dword v122, v117, s[0:3], 0 offen
	ds_read_b64 v[119:120], v116
	v_add_u32_e32 v115, 1, v115
	v_cmp_lt_u32_e32 vcc, 37, v115
	v_add_u32_e32 v116, 8, v116
	v_add_u32_e32 v117, 8, v117
	s_or_b64 s[8:9], vcc, s[8:9]
	s_waitcnt vmcnt(1) lgkmcnt(0)
	v_mul_f32_e32 v123, v120, v121
	v_mul_f32_e32 v121, v119, v121
	s_waitcnt vmcnt(0)
	v_fma_f32 v119, v119, v122, -v123
	v_fmac_f32_e32 v121, v120, v122
	v_add_f32_e32 v118, v118, v119
	v_add_f32_e32 v112, v112, v121
	s_andn2_b64 exec, exec, s[8:9]
	s_cbranch_execnz .LBB118_169
; %bb.170:
	s_or_b64 exec, exec, s[8:9]
	v_mov_b32_e32 v115, 0
	ds_read_b64 v[115:116], v115 offset:312
	s_waitcnt lgkmcnt(0)
	v_mul_f32_e32 v117, v112, v116
	v_mul_f32_e32 v116, v118, v116
	v_fma_f32 v117, v118, v115, -v117
	v_fmac_f32_e32 v116, v112, v115
	buffer_store_dword v117, off, s[0:3], 0 offset:312
	buffer_store_dword v116, off, s[0:3], 0 offset:316
.LBB118_171:
	s_or_b64 exec, exec, s[4:5]
	; wave barrier
	buffer_load_dword v115, off, s[0:3], 0 offset:320
	buffer_load_dword v116, off, s[0:3], 0 offset:324
	v_cmp_gt_u32_e32 vcc, 40, v0
	s_waitcnt vmcnt(0)
	ds_write_b64 v114, v[115:116]
	s_waitcnt lgkmcnt(0)
	; wave barrier
	s_and_saveexec_b64 s[4:5], vcc
	s_cbranch_execz .LBB118_175
; %bb.172:
	v_add_u32_e32 v115, -1, v0
	v_add_u32_e32 v116, 0x1c0, v113
	v_mov_b32_e32 v117, v113
	v_mov_b32_e32 v112, 0
	s_mov_b64 s[8:9], 0
	v_mov_b32_e32 v118, 0
.LBB118_173:                            ; =>This Inner Loop Header: Depth=1
	buffer_load_dword v121, v117, s[0:3], 0 offen offset:4
	buffer_load_dword v122, v117, s[0:3], 0 offen
	ds_read_b64 v[119:120], v116
	v_add_u32_e32 v115, 1, v115
	v_cmp_lt_u32_e32 vcc, 38, v115
	v_add_u32_e32 v116, 8, v116
	v_add_u32_e32 v117, 8, v117
	s_or_b64 s[8:9], vcc, s[8:9]
	s_waitcnt vmcnt(1) lgkmcnt(0)
	v_mul_f32_e32 v123, v120, v121
	v_mul_f32_e32 v121, v119, v121
	s_waitcnt vmcnt(0)
	v_fma_f32 v119, v119, v122, -v123
	v_fmac_f32_e32 v121, v120, v122
	v_add_f32_e32 v118, v118, v119
	v_add_f32_e32 v112, v112, v121
	s_andn2_b64 exec, exec, s[8:9]
	s_cbranch_execnz .LBB118_173
; %bb.174:
	s_or_b64 exec, exec, s[8:9]
	v_mov_b32_e32 v115, 0
	ds_read_b64 v[115:116], v115 offset:320
	s_waitcnt lgkmcnt(0)
	v_mul_f32_e32 v117, v112, v116
	v_mul_f32_e32 v116, v118, v116
	v_fma_f32 v117, v118, v115, -v117
	v_fmac_f32_e32 v116, v112, v115
	buffer_store_dword v117, off, s[0:3], 0 offset:320
	buffer_store_dword v116, off, s[0:3], 0 offset:324
.LBB118_175:
	s_or_b64 exec, exec, s[4:5]
	; wave barrier
	buffer_load_dword v115, off, s[0:3], 0 offset:328
	buffer_load_dword v116, off, s[0:3], 0 offset:332
	v_cmp_gt_u32_e32 vcc, 41, v0
	s_waitcnt vmcnt(0)
	ds_write_b64 v114, v[115:116]
	s_waitcnt lgkmcnt(0)
	; wave barrier
	s_and_saveexec_b64 s[4:5], vcc
	s_cbranch_execz .LBB118_179
; %bb.176:
	v_add_u32_e32 v115, -1, v0
	v_add_u32_e32 v116, 0x1c0, v113
	v_mov_b32_e32 v117, v113
	v_mov_b32_e32 v112, 0
	s_mov_b64 s[8:9], 0
	v_mov_b32_e32 v118, 0
.LBB118_177:                            ; =>This Inner Loop Header: Depth=1
	buffer_load_dword v121, v117, s[0:3], 0 offen offset:4
	buffer_load_dword v122, v117, s[0:3], 0 offen
	ds_read_b64 v[119:120], v116
	v_add_u32_e32 v115, 1, v115
	v_cmp_lt_u32_e32 vcc, 39, v115
	v_add_u32_e32 v116, 8, v116
	v_add_u32_e32 v117, 8, v117
	s_or_b64 s[8:9], vcc, s[8:9]
	s_waitcnt vmcnt(1) lgkmcnt(0)
	v_mul_f32_e32 v123, v120, v121
	v_mul_f32_e32 v121, v119, v121
	s_waitcnt vmcnt(0)
	v_fma_f32 v119, v119, v122, -v123
	v_fmac_f32_e32 v121, v120, v122
	v_add_f32_e32 v118, v118, v119
	v_add_f32_e32 v112, v112, v121
	s_andn2_b64 exec, exec, s[8:9]
	s_cbranch_execnz .LBB118_177
; %bb.178:
	s_or_b64 exec, exec, s[8:9]
	v_mov_b32_e32 v115, 0
	ds_read_b64 v[115:116], v115 offset:328
	s_waitcnt lgkmcnt(0)
	v_mul_f32_e32 v117, v112, v116
	v_mul_f32_e32 v116, v118, v116
	v_fma_f32 v117, v118, v115, -v117
	v_fmac_f32_e32 v116, v112, v115
	buffer_store_dword v117, off, s[0:3], 0 offset:328
	buffer_store_dword v116, off, s[0:3], 0 offset:332
.LBB118_179:
	s_or_b64 exec, exec, s[4:5]
	; wave barrier
	buffer_load_dword v115, off, s[0:3], 0 offset:336
	buffer_load_dword v116, off, s[0:3], 0 offset:340
	v_cmp_gt_u32_e32 vcc, 42, v0
	s_waitcnt vmcnt(0)
	ds_write_b64 v114, v[115:116]
	s_waitcnt lgkmcnt(0)
	; wave barrier
	s_and_saveexec_b64 s[4:5], vcc
	s_cbranch_execz .LBB118_183
; %bb.180:
	v_add_u32_e32 v115, -1, v0
	v_add_u32_e32 v116, 0x1c0, v113
	v_mov_b32_e32 v117, v113
	v_mov_b32_e32 v112, 0
	s_mov_b64 s[8:9], 0
	v_mov_b32_e32 v118, 0
.LBB118_181:                            ; =>This Inner Loop Header: Depth=1
	buffer_load_dword v121, v117, s[0:3], 0 offen offset:4
	buffer_load_dword v122, v117, s[0:3], 0 offen
	ds_read_b64 v[119:120], v116
	v_add_u32_e32 v115, 1, v115
	v_cmp_lt_u32_e32 vcc, 40, v115
	v_add_u32_e32 v116, 8, v116
	v_add_u32_e32 v117, 8, v117
	s_or_b64 s[8:9], vcc, s[8:9]
	s_waitcnt vmcnt(1) lgkmcnt(0)
	v_mul_f32_e32 v123, v120, v121
	v_mul_f32_e32 v121, v119, v121
	s_waitcnt vmcnt(0)
	v_fma_f32 v119, v119, v122, -v123
	v_fmac_f32_e32 v121, v120, v122
	v_add_f32_e32 v118, v118, v119
	v_add_f32_e32 v112, v112, v121
	s_andn2_b64 exec, exec, s[8:9]
	s_cbranch_execnz .LBB118_181
; %bb.182:
	s_or_b64 exec, exec, s[8:9]
	v_mov_b32_e32 v115, 0
	ds_read_b64 v[115:116], v115 offset:336
	s_waitcnt lgkmcnt(0)
	v_mul_f32_e32 v117, v112, v116
	v_mul_f32_e32 v116, v118, v116
	v_fma_f32 v117, v118, v115, -v117
	v_fmac_f32_e32 v116, v112, v115
	buffer_store_dword v117, off, s[0:3], 0 offset:336
	buffer_store_dword v116, off, s[0:3], 0 offset:340
.LBB118_183:
	s_or_b64 exec, exec, s[4:5]
	; wave barrier
	buffer_load_dword v115, off, s[0:3], 0 offset:344
	buffer_load_dword v116, off, s[0:3], 0 offset:348
	v_cmp_gt_u32_e32 vcc, 43, v0
	s_waitcnt vmcnt(0)
	ds_write_b64 v114, v[115:116]
	s_waitcnt lgkmcnt(0)
	; wave barrier
	s_and_saveexec_b64 s[4:5], vcc
	s_cbranch_execz .LBB118_187
; %bb.184:
	v_add_u32_e32 v115, -1, v0
	v_add_u32_e32 v116, 0x1c0, v113
	v_mov_b32_e32 v117, v113
	v_mov_b32_e32 v112, 0
	s_mov_b64 s[8:9], 0
	v_mov_b32_e32 v118, 0
.LBB118_185:                            ; =>This Inner Loop Header: Depth=1
	buffer_load_dword v121, v117, s[0:3], 0 offen offset:4
	buffer_load_dword v122, v117, s[0:3], 0 offen
	ds_read_b64 v[119:120], v116
	v_add_u32_e32 v115, 1, v115
	v_cmp_lt_u32_e32 vcc, 41, v115
	v_add_u32_e32 v116, 8, v116
	v_add_u32_e32 v117, 8, v117
	s_or_b64 s[8:9], vcc, s[8:9]
	s_waitcnt vmcnt(1) lgkmcnt(0)
	v_mul_f32_e32 v123, v120, v121
	v_mul_f32_e32 v121, v119, v121
	s_waitcnt vmcnt(0)
	v_fma_f32 v119, v119, v122, -v123
	v_fmac_f32_e32 v121, v120, v122
	v_add_f32_e32 v118, v118, v119
	v_add_f32_e32 v112, v112, v121
	s_andn2_b64 exec, exec, s[8:9]
	s_cbranch_execnz .LBB118_185
; %bb.186:
	s_or_b64 exec, exec, s[8:9]
	v_mov_b32_e32 v115, 0
	ds_read_b64 v[115:116], v115 offset:344
	s_waitcnt lgkmcnt(0)
	v_mul_f32_e32 v117, v112, v116
	v_mul_f32_e32 v116, v118, v116
	v_fma_f32 v117, v118, v115, -v117
	v_fmac_f32_e32 v116, v112, v115
	buffer_store_dword v117, off, s[0:3], 0 offset:344
	buffer_store_dword v116, off, s[0:3], 0 offset:348
.LBB118_187:
	s_or_b64 exec, exec, s[4:5]
	; wave barrier
	buffer_load_dword v115, off, s[0:3], 0 offset:352
	buffer_load_dword v116, off, s[0:3], 0 offset:356
	v_cmp_gt_u32_e32 vcc, 44, v0
	s_waitcnt vmcnt(0)
	ds_write_b64 v114, v[115:116]
	s_waitcnt lgkmcnt(0)
	; wave barrier
	s_and_saveexec_b64 s[4:5], vcc
	s_cbranch_execz .LBB118_191
; %bb.188:
	v_add_u32_e32 v115, -1, v0
	v_add_u32_e32 v116, 0x1c0, v113
	v_mov_b32_e32 v117, v113
	v_mov_b32_e32 v112, 0
	s_mov_b64 s[8:9], 0
	v_mov_b32_e32 v118, 0
.LBB118_189:                            ; =>This Inner Loop Header: Depth=1
	buffer_load_dword v121, v117, s[0:3], 0 offen offset:4
	buffer_load_dword v122, v117, s[0:3], 0 offen
	ds_read_b64 v[119:120], v116
	v_add_u32_e32 v115, 1, v115
	v_cmp_lt_u32_e32 vcc, 42, v115
	v_add_u32_e32 v116, 8, v116
	v_add_u32_e32 v117, 8, v117
	s_or_b64 s[8:9], vcc, s[8:9]
	s_waitcnt vmcnt(1) lgkmcnt(0)
	v_mul_f32_e32 v123, v120, v121
	v_mul_f32_e32 v121, v119, v121
	s_waitcnt vmcnt(0)
	v_fma_f32 v119, v119, v122, -v123
	v_fmac_f32_e32 v121, v120, v122
	v_add_f32_e32 v118, v118, v119
	v_add_f32_e32 v112, v112, v121
	s_andn2_b64 exec, exec, s[8:9]
	s_cbranch_execnz .LBB118_189
; %bb.190:
	s_or_b64 exec, exec, s[8:9]
	v_mov_b32_e32 v115, 0
	ds_read_b64 v[115:116], v115 offset:352
	s_waitcnt lgkmcnt(0)
	v_mul_f32_e32 v117, v112, v116
	v_mul_f32_e32 v116, v118, v116
	v_fma_f32 v117, v118, v115, -v117
	v_fmac_f32_e32 v116, v112, v115
	buffer_store_dword v117, off, s[0:3], 0 offset:352
	buffer_store_dword v116, off, s[0:3], 0 offset:356
.LBB118_191:
	s_or_b64 exec, exec, s[4:5]
	; wave barrier
	buffer_load_dword v115, off, s[0:3], 0 offset:360
	buffer_load_dword v116, off, s[0:3], 0 offset:364
	v_cmp_gt_u32_e32 vcc, 45, v0
	s_waitcnt vmcnt(0)
	ds_write_b64 v114, v[115:116]
	s_waitcnt lgkmcnt(0)
	; wave barrier
	s_and_saveexec_b64 s[4:5], vcc
	s_cbranch_execz .LBB118_195
; %bb.192:
	v_add_u32_e32 v115, -1, v0
	v_add_u32_e32 v116, 0x1c0, v113
	v_mov_b32_e32 v117, v113
	v_mov_b32_e32 v112, 0
	s_mov_b64 s[8:9], 0
	v_mov_b32_e32 v118, 0
.LBB118_193:                            ; =>This Inner Loop Header: Depth=1
	buffer_load_dword v121, v117, s[0:3], 0 offen offset:4
	buffer_load_dword v122, v117, s[0:3], 0 offen
	ds_read_b64 v[119:120], v116
	v_add_u32_e32 v115, 1, v115
	v_cmp_lt_u32_e32 vcc, 43, v115
	v_add_u32_e32 v116, 8, v116
	v_add_u32_e32 v117, 8, v117
	s_or_b64 s[8:9], vcc, s[8:9]
	s_waitcnt vmcnt(1) lgkmcnt(0)
	v_mul_f32_e32 v123, v120, v121
	v_mul_f32_e32 v121, v119, v121
	s_waitcnt vmcnt(0)
	v_fma_f32 v119, v119, v122, -v123
	v_fmac_f32_e32 v121, v120, v122
	v_add_f32_e32 v118, v118, v119
	v_add_f32_e32 v112, v112, v121
	s_andn2_b64 exec, exec, s[8:9]
	s_cbranch_execnz .LBB118_193
; %bb.194:
	s_or_b64 exec, exec, s[8:9]
	v_mov_b32_e32 v115, 0
	ds_read_b64 v[115:116], v115 offset:360
	s_waitcnt lgkmcnt(0)
	v_mul_f32_e32 v117, v112, v116
	v_mul_f32_e32 v116, v118, v116
	v_fma_f32 v117, v118, v115, -v117
	v_fmac_f32_e32 v116, v112, v115
	buffer_store_dword v117, off, s[0:3], 0 offset:360
	buffer_store_dword v116, off, s[0:3], 0 offset:364
.LBB118_195:
	s_or_b64 exec, exec, s[4:5]
	; wave barrier
	buffer_load_dword v115, off, s[0:3], 0 offset:368
	buffer_load_dword v116, off, s[0:3], 0 offset:372
	v_cmp_gt_u32_e32 vcc, 46, v0
	s_waitcnt vmcnt(0)
	ds_write_b64 v114, v[115:116]
	s_waitcnt lgkmcnt(0)
	; wave barrier
	s_and_saveexec_b64 s[4:5], vcc
	s_cbranch_execz .LBB118_199
; %bb.196:
	v_add_u32_e32 v115, -1, v0
	v_add_u32_e32 v116, 0x1c0, v113
	v_mov_b32_e32 v117, v113
	v_mov_b32_e32 v112, 0
	s_mov_b64 s[8:9], 0
	v_mov_b32_e32 v118, 0
.LBB118_197:                            ; =>This Inner Loop Header: Depth=1
	buffer_load_dword v121, v117, s[0:3], 0 offen offset:4
	buffer_load_dword v122, v117, s[0:3], 0 offen
	ds_read_b64 v[119:120], v116
	v_add_u32_e32 v115, 1, v115
	v_cmp_lt_u32_e32 vcc, 44, v115
	v_add_u32_e32 v116, 8, v116
	v_add_u32_e32 v117, 8, v117
	s_or_b64 s[8:9], vcc, s[8:9]
	s_waitcnt vmcnt(1) lgkmcnt(0)
	v_mul_f32_e32 v123, v120, v121
	v_mul_f32_e32 v121, v119, v121
	s_waitcnt vmcnt(0)
	v_fma_f32 v119, v119, v122, -v123
	v_fmac_f32_e32 v121, v120, v122
	v_add_f32_e32 v118, v118, v119
	v_add_f32_e32 v112, v112, v121
	s_andn2_b64 exec, exec, s[8:9]
	s_cbranch_execnz .LBB118_197
; %bb.198:
	s_or_b64 exec, exec, s[8:9]
	v_mov_b32_e32 v115, 0
	ds_read_b64 v[115:116], v115 offset:368
	s_waitcnt lgkmcnt(0)
	v_mul_f32_e32 v117, v112, v116
	v_mul_f32_e32 v116, v118, v116
	v_fma_f32 v117, v118, v115, -v117
	v_fmac_f32_e32 v116, v112, v115
	buffer_store_dword v117, off, s[0:3], 0 offset:368
	buffer_store_dword v116, off, s[0:3], 0 offset:372
.LBB118_199:
	s_or_b64 exec, exec, s[4:5]
	; wave barrier
	buffer_load_dword v115, off, s[0:3], 0 offset:376
	buffer_load_dword v116, off, s[0:3], 0 offset:380
	v_cmp_gt_u32_e32 vcc, 47, v0
	s_waitcnt vmcnt(0)
	ds_write_b64 v114, v[115:116]
	s_waitcnt lgkmcnt(0)
	; wave barrier
	s_and_saveexec_b64 s[4:5], vcc
	s_cbranch_execz .LBB118_203
; %bb.200:
	v_add_u32_e32 v115, -1, v0
	v_add_u32_e32 v116, 0x1c0, v113
	v_mov_b32_e32 v117, v113
	v_mov_b32_e32 v112, 0
	s_mov_b64 s[8:9], 0
	v_mov_b32_e32 v118, 0
.LBB118_201:                            ; =>This Inner Loop Header: Depth=1
	buffer_load_dword v121, v117, s[0:3], 0 offen offset:4
	buffer_load_dword v122, v117, s[0:3], 0 offen
	ds_read_b64 v[119:120], v116
	v_add_u32_e32 v115, 1, v115
	v_cmp_lt_u32_e32 vcc, 45, v115
	v_add_u32_e32 v116, 8, v116
	v_add_u32_e32 v117, 8, v117
	s_or_b64 s[8:9], vcc, s[8:9]
	s_waitcnt vmcnt(1) lgkmcnt(0)
	v_mul_f32_e32 v123, v120, v121
	v_mul_f32_e32 v121, v119, v121
	s_waitcnt vmcnt(0)
	v_fma_f32 v119, v119, v122, -v123
	v_fmac_f32_e32 v121, v120, v122
	v_add_f32_e32 v118, v118, v119
	v_add_f32_e32 v112, v112, v121
	s_andn2_b64 exec, exec, s[8:9]
	s_cbranch_execnz .LBB118_201
; %bb.202:
	s_or_b64 exec, exec, s[8:9]
	v_mov_b32_e32 v115, 0
	ds_read_b64 v[115:116], v115 offset:376
	s_waitcnt lgkmcnt(0)
	v_mul_f32_e32 v117, v112, v116
	v_mul_f32_e32 v116, v118, v116
	v_fma_f32 v117, v118, v115, -v117
	v_fmac_f32_e32 v116, v112, v115
	buffer_store_dword v117, off, s[0:3], 0 offset:376
	buffer_store_dword v116, off, s[0:3], 0 offset:380
.LBB118_203:
	s_or_b64 exec, exec, s[4:5]
	; wave barrier
	buffer_load_dword v115, off, s[0:3], 0 offset:384
	buffer_load_dword v116, off, s[0:3], 0 offset:388
	v_cmp_gt_u32_e32 vcc, 48, v0
	s_waitcnt vmcnt(0)
	ds_write_b64 v114, v[115:116]
	s_waitcnt lgkmcnt(0)
	; wave barrier
	s_and_saveexec_b64 s[4:5], vcc
	s_cbranch_execz .LBB118_207
; %bb.204:
	v_add_u32_e32 v115, -1, v0
	v_add_u32_e32 v116, 0x1c0, v113
	v_mov_b32_e32 v117, v113
	v_mov_b32_e32 v112, 0
	s_mov_b64 s[8:9], 0
	v_mov_b32_e32 v118, 0
.LBB118_205:                            ; =>This Inner Loop Header: Depth=1
	buffer_load_dword v121, v117, s[0:3], 0 offen offset:4
	buffer_load_dword v122, v117, s[0:3], 0 offen
	ds_read_b64 v[119:120], v116
	v_add_u32_e32 v115, 1, v115
	v_cmp_lt_u32_e32 vcc, 46, v115
	v_add_u32_e32 v116, 8, v116
	v_add_u32_e32 v117, 8, v117
	s_or_b64 s[8:9], vcc, s[8:9]
	s_waitcnt vmcnt(1) lgkmcnt(0)
	v_mul_f32_e32 v123, v120, v121
	v_mul_f32_e32 v121, v119, v121
	s_waitcnt vmcnt(0)
	v_fma_f32 v119, v119, v122, -v123
	v_fmac_f32_e32 v121, v120, v122
	v_add_f32_e32 v118, v118, v119
	v_add_f32_e32 v112, v112, v121
	s_andn2_b64 exec, exec, s[8:9]
	s_cbranch_execnz .LBB118_205
; %bb.206:
	s_or_b64 exec, exec, s[8:9]
	v_mov_b32_e32 v115, 0
	ds_read_b64 v[115:116], v115 offset:384
	s_waitcnt lgkmcnt(0)
	v_mul_f32_e32 v117, v112, v116
	v_mul_f32_e32 v116, v118, v116
	v_fma_f32 v117, v118, v115, -v117
	v_fmac_f32_e32 v116, v112, v115
	buffer_store_dword v117, off, s[0:3], 0 offset:384
	buffer_store_dword v116, off, s[0:3], 0 offset:388
.LBB118_207:
	s_or_b64 exec, exec, s[4:5]
	; wave barrier
	buffer_load_dword v115, off, s[0:3], 0 offset:392
	buffer_load_dword v116, off, s[0:3], 0 offset:396
	v_cmp_gt_u32_e32 vcc, 49, v0
	s_waitcnt vmcnt(0)
	ds_write_b64 v114, v[115:116]
	s_waitcnt lgkmcnt(0)
	; wave barrier
	s_and_saveexec_b64 s[4:5], vcc
	s_cbranch_execz .LBB118_211
; %bb.208:
	v_add_u32_e32 v115, -1, v0
	v_add_u32_e32 v116, 0x1c0, v113
	v_mov_b32_e32 v117, v113
	v_mov_b32_e32 v112, 0
	s_mov_b64 s[8:9], 0
	v_mov_b32_e32 v118, 0
.LBB118_209:                            ; =>This Inner Loop Header: Depth=1
	buffer_load_dword v121, v117, s[0:3], 0 offen offset:4
	buffer_load_dword v122, v117, s[0:3], 0 offen
	ds_read_b64 v[119:120], v116
	v_add_u32_e32 v115, 1, v115
	v_cmp_lt_u32_e32 vcc, 47, v115
	v_add_u32_e32 v116, 8, v116
	v_add_u32_e32 v117, 8, v117
	s_or_b64 s[8:9], vcc, s[8:9]
	s_waitcnt vmcnt(1) lgkmcnt(0)
	v_mul_f32_e32 v123, v120, v121
	v_mul_f32_e32 v121, v119, v121
	s_waitcnt vmcnt(0)
	v_fma_f32 v119, v119, v122, -v123
	v_fmac_f32_e32 v121, v120, v122
	v_add_f32_e32 v118, v118, v119
	v_add_f32_e32 v112, v112, v121
	s_andn2_b64 exec, exec, s[8:9]
	s_cbranch_execnz .LBB118_209
; %bb.210:
	s_or_b64 exec, exec, s[8:9]
	v_mov_b32_e32 v115, 0
	ds_read_b64 v[115:116], v115 offset:392
	s_waitcnt lgkmcnt(0)
	v_mul_f32_e32 v117, v112, v116
	v_mul_f32_e32 v116, v118, v116
	v_fma_f32 v117, v118, v115, -v117
	v_fmac_f32_e32 v116, v112, v115
	buffer_store_dword v117, off, s[0:3], 0 offset:392
	buffer_store_dword v116, off, s[0:3], 0 offset:396
.LBB118_211:
	s_or_b64 exec, exec, s[4:5]
	; wave barrier
	buffer_load_dword v115, off, s[0:3], 0 offset:400
	buffer_load_dword v116, off, s[0:3], 0 offset:404
	v_cmp_gt_u32_e32 vcc, 50, v0
	s_waitcnt vmcnt(0)
	ds_write_b64 v114, v[115:116]
	s_waitcnt lgkmcnt(0)
	; wave barrier
	s_and_saveexec_b64 s[4:5], vcc
	s_cbranch_execz .LBB118_215
; %bb.212:
	v_add_u32_e32 v115, -1, v0
	v_add_u32_e32 v116, 0x1c0, v113
	v_mov_b32_e32 v117, v113
	v_mov_b32_e32 v112, 0
	s_mov_b64 s[8:9], 0
	v_mov_b32_e32 v118, 0
.LBB118_213:                            ; =>This Inner Loop Header: Depth=1
	buffer_load_dword v121, v117, s[0:3], 0 offen offset:4
	buffer_load_dword v122, v117, s[0:3], 0 offen
	ds_read_b64 v[119:120], v116
	v_add_u32_e32 v115, 1, v115
	v_cmp_lt_u32_e32 vcc, 48, v115
	v_add_u32_e32 v116, 8, v116
	v_add_u32_e32 v117, 8, v117
	s_or_b64 s[8:9], vcc, s[8:9]
	s_waitcnt vmcnt(1) lgkmcnt(0)
	v_mul_f32_e32 v123, v120, v121
	v_mul_f32_e32 v121, v119, v121
	s_waitcnt vmcnt(0)
	v_fma_f32 v119, v119, v122, -v123
	v_fmac_f32_e32 v121, v120, v122
	v_add_f32_e32 v118, v118, v119
	v_add_f32_e32 v112, v112, v121
	s_andn2_b64 exec, exec, s[8:9]
	s_cbranch_execnz .LBB118_213
; %bb.214:
	s_or_b64 exec, exec, s[8:9]
	v_mov_b32_e32 v115, 0
	ds_read_b64 v[115:116], v115 offset:400
	s_waitcnt lgkmcnt(0)
	v_mul_f32_e32 v117, v112, v116
	v_mul_f32_e32 v116, v118, v116
	v_fma_f32 v117, v118, v115, -v117
	v_fmac_f32_e32 v116, v112, v115
	buffer_store_dword v117, off, s[0:3], 0 offset:400
	buffer_store_dword v116, off, s[0:3], 0 offset:404
.LBB118_215:
	s_or_b64 exec, exec, s[4:5]
	; wave barrier
	buffer_load_dword v115, off, s[0:3], 0 offset:408
	buffer_load_dword v116, off, s[0:3], 0 offset:412
	v_cmp_gt_u32_e32 vcc, 51, v0
	s_waitcnt vmcnt(0)
	ds_write_b64 v114, v[115:116]
	s_waitcnt lgkmcnt(0)
	; wave barrier
	s_and_saveexec_b64 s[4:5], vcc
	s_cbranch_execz .LBB118_219
; %bb.216:
	v_add_u32_e32 v115, -1, v0
	v_add_u32_e32 v116, 0x1c0, v113
	v_mov_b32_e32 v117, v113
	v_mov_b32_e32 v112, 0
	s_mov_b64 s[8:9], 0
	v_mov_b32_e32 v118, 0
.LBB118_217:                            ; =>This Inner Loop Header: Depth=1
	buffer_load_dword v121, v117, s[0:3], 0 offen offset:4
	buffer_load_dword v122, v117, s[0:3], 0 offen
	ds_read_b64 v[119:120], v116
	v_add_u32_e32 v115, 1, v115
	v_cmp_lt_u32_e32 vcc, 49, v115
	v_add_u32_e32 v116, 8, v116
	v_add_u32_e32 v117, 8, v117
	s_or_b64 s[8:9], vcc, s[8:9]
	s_waitcnt vmcnt(1) lgkmcnt(0)
	v_mul_f32_e32 v123, v120, v121
	v_mul_f32_e32 v121, v119, v121
	s_waitcnt vmcnt(0)
	v_fma_f32 v119, v119, v122, -v123
	v_fmac_f32_e32 v121, v120, v122
	v_add_f32_e32 v118, v118, v119
	v_add_f32_e32 v112, v112, v121
	s_andn2_b64 exec, exec, s[8:9]
	s_cbranch_execnz .LBB118_217
; %bb.218:
	s_or_b64 exec, exec, s[8:9]
	v_mov_b32_e32 v115, 0
	ds_read_b64 v[115:116], v115 offset:408
	s_waitcnt lgkmcnt(0)
	v_mul_f32_e32 v117, v112, v116
	v_mul_f32_e32 v116, v118, v116
	v_fma_f32 v117, v118, v115, -v117
	v_fmac_f32_e32 v116, v112, v115
	buffer_store_dword v117, off, s[0:3], 0 offset:408
	buffer_store_dword v116, off, s[0:3], 0 offset:412
.LBB118_219:
	s_or_b64 exec, exec, s[4:5]
	; wave barrier
	buffer_load_dword v115, off, s[0:3], 0 offset:416
	buffer_load_dword v116, off, s[0:3], 0 offset:420
	v_cmp_gt_u32_e32 vcc, 52, v0
	s_waitcnt vmcnt(0)
	ds_write_b64 v114, v[115:116]
	s_waitcnt lgkmcnt(0)
	; wave barrier
	s_and_saveexec_b64 s[4:5], vcc
	s_cbranch_execz .LBB118_223
; %bb.220:
	v_add_u32_e32 v115, -1, v0
	v_add_u32_e32 v116, 0x1c0, v113
	v_mov_b32_e32 v117, v113
	v_mov_b32_e32 v112, 0
	s_mov_b64 s[8:9], 0
	v_mov_b32_e32 v118, 0
.LBB118_221:                            ; =>This Inner Loop Header: Depth=1
	buffer_load_dword v121, v117, s[0:3], 0 offen offset:4
	buffer_load_dword v122, v117, s[0:3], 0 offen
	ds_read_b64 v[119:120], v116
	v_add_u32_e32 v115, 1, v115
	v_cmp_lt_u32_e32 vcc, 50, v115
	v_add_u32_e32 v116, 8, v116
	v_add_u32_e32 v117, 8, v117
	s_or_b64 s[8:9], vcc, s[8:9]
	s_waitcnt vmcnt(1) lgkmcnt(0)
	v_mul_f32_e32 v123, v120, v121
	v_mul_f32_e32 v121, v119, v121
	s_waitcnt vmcnt(0)
	v_fma_f32 v119, v119, v122, -v123
	v_fmac_f32_e32 v121, v120, v122
	v_add_f32_e32 v118, v118, v119
	v_add_f32_e32 v112, v112, v121
	s_andn2_b64 exec, exec, s[8:9]
	s_cbranch_execnz .LBB118_221
; %bb.222:
	s_or_b64 exec, exec, s[8:9]
	v_mov_b32_e32 v115, 0
	ds_read_b64 v[115:116], v115 offset:416
	s_waitcnt lgkmcnt(0)
	v_mul_f32_e32 v117, v112, v116
	v_mul_f32_e32 v116, v118, v116
	v_fma_f32 v117, v118, v115, -v117
	v_fmac_f32_e32 v116, v112, v115
	buffer_store_dword v117, off, s[0:3], 0 offset:416
	buffer_store_dword v116, off, s[0:3], 0 offset:420
.LBB118_223:
	s_or_b64 exec, exec, s[4:5]
	; wave barrier
	buffer_load_dword v115, off, s[0:3], 0 offset:424
	buffer_load_dword v116, off, s[0:3], 0 offset:428
	v_cmp_gt_u32_e32 vcc, 53, v0
	s_waitcnt vmcnt(0)
	ds_write_b64 v114, v[115:116]
	s_waitcnt lgkmcnt(0)
	; wave barrier
	s_and_saveexec_b64 s[4:5], vcc
	s_cbranch_execz .LBB118_227
; %bb.224:
	v_add_u32_e32 v115, -1, v0
	v_add_u32_e32 v116, 0x1c0, v113
	v_mov_b32_e32 v117, v113
	v_mov_b32_e32 v112, 0
	s_mov_b64 s[8:9], 0
	v_mov_b32_e32 v118, 0
.LBB118_225:                            ; =>This Inner Loop Header: Depth=1
	buffer_load_dword v121, v117, s[0:3], 0 offen offset:4
	buffer_load_dword v122, v117, s[0:3], 0 offen
	ds_read_b64 v[119:120], v116
	v_add_u32_e32 v115, 1, v115
	v_cmp_lt_u32_e32 vcc, 51, v115
	v_add_u32_e32 v116, 8, v116
	v_add_u32_e32 v117, 8, v117
	s_or_b64 s[8:9], vcc, s[8:9]
	s_waitcnt vmcnt(1) lgkmcnt(0)
	v_mul_f32_e32 v123, v120, v121
	v_mul_f32_e32 v121, v119, v121
	s_waitcnt vmcnt(0)
	v_fma_f32 v119, v119, v122, -v123
	v_fmac_f32_e32 v121, v120, v122
	v_add_f32_e32 v118, v118, v119
	v_add_f32_e32 v112, v112, v121
	s_andn2_b64 exec, exec, s[8:9]
	s_cbranch_execnz .LBB118_225
; %bb.226:
	s_or_b64 exec, exec, s[8:9]
	v_mov_b32_e32 v115, 0
	ds_read_b64 v[115:116], v115 offset:424
	s_waitcnt lgkmcnt(0)
	v_mul_f32_e32 v117, v112, v116
	v_mul_f32_e32 v116, v118, v116
	v_fma_f32 v117, v118, v115, -v117
	v_fmac_f32_e32 v116, v112, v115
	buffer_store_dword v117, off, s[0:3], 0 offset:424
	buffer_store_dword v116, off, s[0:3], 0 offset:428
.LBB118_227:
	s_or_b64 exec, exec, s[4:5]
	; wave barrier
	buffer_load_dword v115, off, s[0:3], 0 offset:432
	buffer_load_dword v116, off, s[0:3], 0 offset:436
	v_cmp_ne_u32_e32 vcc, 54, v0
	s_waitcnt vmcnt(0)
	ds_write_b64 v114, v[115:116]
	s_waitcnt lgkmcnt(0)
	; wave barrier
	s_and_saveexec_b64 s[4:5], vcc
	s_cbranch_execz .LBB118_231
; %bb.228:
	v_add_u32_e32 v114, 0x1c0, v113
	v_mov_b32_e32 v112, 0
	s_mov_b64 s[8:9], 0
	v_mov_b32_e32 v115, 0
.LBB118_229:                            ; =>This Inner Loop Header: Depth=1
	buffer_load_dword v118, v113, s[0:3], 0 offen offset:4
	buffer_load_dword v119, v113, s[0:3], 0 offen
	ds_read_b64 v[116:117], v114
	v_add_u32_e32 v111, 1, v111
	v_cmp_lt_u32_e32 vcc, 52, v111
	v_add_u32_e32 v114, 8, v114
	v_add_u32_e32 v113, 8, v113
	s_or_b64 s[8:9], vcc, s[8:9]
	s_waitcnt vmcnt(1) lgkmcnt(0)
	v_mul_f32_e32 v120, v117, v118
	v_mul_f32_e32 v118, v116, v118
	s_waitcnt vmcnt(0)
	v_fma_f32 v116, v116, v119, -v120
	v_fmac_f32_e32 v118, v117, v119
	v_add_f32_e32 v115, v115, v116
	v_add_f32_e32 v112, v112, v118
	s_andn2_b64 exec, exec, s[8:9]
	s_cbranch_execnz .LBB118_229
; %bb.230:
	s_or_b64 exec, exec, s[8:9]
	v_mov_b32_e32 v111, 0
	ds_read_b64 v[113:114], v111 offset:432
	s_waitcnt lgkmcnt(0)
	v_mul_f32_e32 v111, v112, v114
	v_mul_f32_e32 v114, v115, v114
	v_fma_f32 v111, v115, v113, -v111
	v_fmac_f32_e32 v114, v112, v113
	buffer_store_dword v111, off, s[0:3], 0 offset:432
	buffer_store_dword v114, off, s[0:3], 0 offset:436
.LBB118_231:
	s_or_b64 exec, exec, s[4:5]
	s_mov_b64 s[8:9], -1
	; wave barrier
.LBB118_232:
	s_and_b64 vcc, exec, s[8:9]
	s_cbranch_vccz .LBB118_234
; %bb.233:
	s_lshl_b64 s[4:5], s[6:7], 2
	s_add_u32 s4, s10, s4
	s_addc_u32 s5, s11, s5
	v_mov_b32_e32 v111, 0
	global_load_dword v111, v111, s[4:5]
	s_waitcnt vmcnt(0)
	v_cmp_ne_u32_e32 vcc, 0, v111
	s_cbranch_vccz .LBB118_235
.LBB118_234:
	s_endpgm
.LBB118_235:
	v_mov_b32_e32 v111, 0x1c0
	v_lshl_add_u32 v111, v0, 3, v111
	v_cmp_eq_u32_e32 vcc, 54, v0
	s_and_saveexec_b64 s[4:5], vcc
	s_cbranch_execz .LBB118_237
; %bb.236:
	buffer_load_dword v112, off, s[0:3], 0 offset:424
	buffer_load_dword v113, off, s[0:3], 0 offset:428
	v_mov_b32_e32 v114, 0
	buffer_store_dword v114, off, s[0:3], 0 offset:424
	buffer_store_dword v114, off, s[0:3], 0 offset:428
	s_waitcnt vmcnt(2)
	ds_write_b64 v111, v[112:113]
.LBB118_237:
	s_or_b64 exec, exec, s[4:5]
	s_waitcnt lgkmcnt(0)
	; wave barrier
	buffer_load_dword v115, off, s[0:3], 0 offset:436
	buffer_load_dword v116, off, s[0:3], 0 offset:432
	;; [unrolled: 1-line block ×4, first 2 shown]
	v_mov_b32_e32 v112, 0
	ds_read_b64 v[113:114], v112 offset:880
	v_cmp_lt_u32_e32 vcc, 52, v0
	s_waitcnt vmcnt(3) lgkmcnt(0)
	v_mul_f32_e32 v119, v113, v115
	v_mul_f32_e32 v115, v114, v115
	s_waitcnt vmcnt(2)
	v_fma_f32 v113, v113, v116, -v115
	v_fmac_f32_e32 v119, v114, v116
	v_add_f32_e32 v113, 0, v113
	v_add_f32_e32 v114, 0, v119
	s_waitcnt vmcnt(1)
	v_sub_f32_e32 v113, v117, v113
	s_waitcnt vmcnt(0)
	v_sub_f32_e32 v114, v118, v114
	buffer_store_dword v113, off, s[0:3], 0 offset:424
	buffer_store_dword v114, off, s[0:3], 0 offset:428
	s_and_saveexec_b64 s[4:5], vcc
	s_cbranch_execz .LBB118_239
; %bb.238:
	buffer_load_dword v113, off, s[0:3], 0 offset:416
	buffer_load_dword v114, off, s[0:3], 0 offset:420
	s_waitcnt vmcnt(0)
	ds_write_b64 v111, v[113:114]
	buffer_store_dword v112, off, s[0:3], 0 offset:416
	buffer_store_dword v112, off, s[0:3], 0 offset:420
.LBB118_239:
	s_or_b64 exec, exec, s[4:5]
	s_waitcnt lgkmcnt(0)
	; wave barrier
	buffer_load_dword v116, off, s[0:3], 0 offset:428
	buffer_load_dword v117, off, s[0:3], 0 offset:436
	;; [unrolled: 1-line block ×6, first 2 shown]
	ds_read2_b64 v[112:115], v112 offset0:109 offset1:110
	v_cmp_lt_u32_e32 vcc, 51, v0
	s_waitcnt vmcnt(5) lgkmcnt(0)
	v_mul_f32_e32 v122, v112, v116
	v_mul_f32_e32 v116, v113, v116
	s_waitcnt vmcnt(4)
	v_mul_f32_e32 v123, v114, v117
	v_mul_f32_e32 v117, v115, v117
	s_waitcnt vmcnt(3)
	v_fma_f32 v112, v112, v118, -v116
	v_fmac_f32_e32 v122, v113, v118
	s_waitcnt vmcnt(2)
	v_fma_f32 v113, v114, v119, -v117
	v_add_f32_e32 v112, 0, v112
	v_fmac_f32_e32 v123, v115, v119
	v_add_f32_e32 v114, 0, v122
	v_add_f32_e32 v112, v112, v113
	;; [unrolled: 1-line block ×3, first 2 shown]
	s_waitcnt vmcnt(1)
	v_sub_f32_e32 v112, v120, v112
	s_waitcnt vmcnt(0)
	v_sub_f32_e32 v113, v121, v114
	buffer_store_dword v112, off, s[0:3], 0 offset:416
	buffer_store_dword v113, off, s[0:3], 0 offset:420
	s_and_saveexec_b64 s[4:5], vcc
	s_cbranch_execz .LBB118_241
; %bb.240:
	buffer_load_dword v112, off, s[0:3], 0 offset:408
	buffer_load_dword v113, off, s[0:3], 0 offset:412
	v_mov_b32_e32 v114, 0
	buffer_store_dword v114, off, s[0:3], 0 offset:408
	buffer_store_dword v114, off, s[0:3], 0 offset:412
	s_waitcnt vmcnt(2)
	ds_write_b64 v111, v[112:113]
.LBB118_241:
	s_or_b64 exec, exec, s[4:5]
	s_waitcnt lgkmcnt(0)
	; wave barrier
	buffer_load_dword v119, off, s[0:3], 0 offset:420
	buffer_load_dword v120, off, s[0:3], 0 offset:428
	;; [unrolled: 1-line block ×8, first 2 shown]
	v_mov_b32_e32 v112, 0
	ds_read_b128 v[113:116], v112 offset:864
	ds_read_b64 v[117:118], v112 offset:880
	v_cmp_lt_u32_e32 vcc, 50, v0
	s_waitcnt vmcnt(7) lgkmcnt(1)
	v_mul_f32_e32 v127, v113, v119
	v_mul_f32_e32 v119, v114, v119
	s_waitcnt vmcnt(6)
	v_mul_f32_e32 v128, v115, v120
	v_mul_f32_e32 v120, v116, v120
	s_waitcnt vmcnt(4)
	v_fma_f32 v113, v113, v122, -v119
	s_waitcnt lgkmcnt(0)
	v_mul_f32_e32 v129, v117, v121
	v_mul_f32_e32 v121, v118, v121
	v_fmac_f32_e32 v127, v114, v122
	s_waitcnt vmcnt(3)
	v_fma_f32 v114, v115, v123, -v120
	v_add_f32_e32 v113, 0, v113
	v_fmac_f32_e32 v128, v116, v123
	s_waitcnt vmcnt(2)
	v_fma_f32 v115, v117, v124, -v121
	v_add_f32_e32 v116, 0, v127
	v_add_f32_e32 v113, v113, v114
	v_fmac_f32_e32 v129, v118, v124
	v_add_f32_e32 v116, v116, v128
	v_add_f32_e32 v113, v113, v115
	;; [unrolled: 1-line block ×3, first 2 shown]
	s_waitcnt vmcnt(1)
	v_sub_f32_e32 v113, v125, v113
	s_waitcnt vmcnt(0)
	v_sub_f32_e32 v114, v126, v114
	buffer_store_dword v113, off, s[0:3], 0 offset:408
	buffer_store_dword v114, off, s[0:3], 0 offset:412
	s_and_saveexec_b64 s[4:5], vcc
	s_cbranch_execz .LBB118_243
; %bb.242:
	buffer_load_dword v113, off, s[0:3], 0 offset:400
	buffer_load_dword v114, off, s[0:3], 0 offset:404
	s_waitcnt vmcnt(0)
	ds_write_b64 v111, v[113:114]
	buffer_store_dword v112, off, s[0:3], 0 offset:400
	buffer_store_dword v112, off, s[0:3], 0 offset:404
.LBB118_243:
	s_or_b64 exec, exec, s[4:5]
	s_waitcnt lgkmcnt(0)
	; wave barrier
	buffer_load_dword v121, off, s[0:3], 0 offset:412
	buffer_load_dword v122, off, s[0:3], 0 offset:420
	;; [unrolled: 1-line block ×10, first 2 shown]
	ds_read2_b64 v[113:116], v112 offset0:107 offset1:108
	ds_read2_b64 v[117:120], v112 offset0:109 offset1:110
	v_cmp_lt_u32_e32 vcc, 49, v0
	s_waitcnt vmcnt(9) lgkmcnt(1)
	v_mul_f32_e32 v112, v113, v121
	v_mul_f32_e32 v121, v114, v121
	s_waitcnt vmcnt(8)
	v_mul_f32_e32 v131, v115, v122
	v_mul_f32_e32 v122, v116, v122
	s_waitcnt vmcnt(5)
	v_fma_f32 v113, v113, v125, -v121
	s_waitcnt lgkmcnt(0)
	v_mul_f32_e32 v132, v117, v123
	v_mul_f32_e32 v123, v118, v123
	v_fmac_f32_e32 v112, v114, v125
	s_waitcnt vmcnt(4)
	v_fma_f32 v114, v115, v126, -v122
	v_add_f32_e32 v113, 0, v113
	v_mul_f32_e32 v133, v119, v124
	v_mul_f32_e32 v124, v120, v124
	v_fmac_f32_e32 v131, v116, v126
	s_waitcnt vmcnt(3)
	v_fma_f32 v115, v117, v127, -v123
	v_add_f32_e32 v112, 0, v112
	v_add_f32_e32 v113, v113, v114
	v_fmac_f32_e32 v132, v118, v127
	s_waitcnt vmcnt(2)
	v_fma_f32 v116, v119, v128, -v124
	v_add_f32_e32 v112, v112, v131
	v_add_f32_e32 v113, v113, v115
	v_fmac_f32_e32 v133, v120, v128
	v_add_f32_e32 v112, v112, v132
	v_add_f32_e32 v113, v113, v116
	v_add_f32_e32 v112, v112, v133
	s_waitcnt vmcnt(1)
	v_sub_f32_e32 v113, v129, v113
	s_waitcnt vmcnt(0)
	v_sub_f32_e32 v112, v130, v112
	buffer_store_dword v113, off, s[0:3], 0 offset:400
	buffer_store_dword v112, off, s[0:3], 0 offset:404
	s_and_saveexec_b64 s[4:5], vcc
	s_cbranch_execz .LBB118_245
; %bb.244:
	buffer_load_dword v112, off, s[0:3], 0 offset:392
	buffer_load_dword v113, off, s[0:3], 0 offset:396
	v_mov_b32_e32 v114, 0
	buffer_store_dword v114, off, s[0:3], 0 offset:392
	buffer_store_dword v114, off, s[0:3], 0 offset:396
	s_waitcnt vmcnt(2)
	ds_write_b64 v111, v[112:113]
.LBB118_245:
	s_or_b64 exec, exec, s[4:5]
	s_waitcnt lgkmcnt(0)
	; wave barrier
	buffer_load_dword v123, off, s[0:3], 0 offset:404
	buffer_load_dword v124, off, s[0:3], 0 offset:412
	;; [unrolled: 1-line block ×12, first 2 shown]
	v_mov_b32_e32 v112, 0
	ds_read_b128 v[113:116], v112 offset:848
	ds_read_b128 v[117:120], v112 offset:864
	ds_read_b64 v[121:122], v112 offset:880
	v_cmp_lt_u32_e32 vcc, 48, v0
	s_waitcnt vmcnt(11) lgkmcnt(2)
	v_mul_f32_e32 v135, v113, v123
	v_mul_f32_e32 v123, v114, v123
	s_waitcnt vmcnt(10)
	v_mul_f32_e32 v136, v115, v124
	v_mul_f32_e32 v124, v116, v124
	s_waitcnt vmcnt(9) lgkmcnt(1)
	v_mul_f32_e32 v137, v117, v125
	s_waitcnt vmcnt(6)
	v_fma_f32 v113, v113, v128, -v123
	v_mul_f32_e32 v125, v118, v125
	v_fmac_f32_e32 v135, v114, v128
	s_waitcnt vmcnt(5)
	v_fma_f32 v114, v115, v129, -v124
	v_add_f32_e32 v113, 0, v113
	v_mul_f32_e32 v138, v119, v126
	v_mul_f32_e32 v126, v120, v126
	v_fmac_f32_e32 v136, v116, v129
	s_waitcnt vmcnt(4)
	v_fmac_f32_e32 v137, v118, v130
	v_fma_f32 v115, v117, v130, -v125
	v_add_f32_e32 v118, 0, v135
	v_add_f32_e32 v113, v113, v114
	s_waitcnt lgkmcnt(0)
	v_mul_f32_e32 v139, v121, v127
	v_mul_f32_e32 v127, v122, v127
	s_waitcnt vmcnt(3)
	v_fma_f32 v116, v119, v131, -v126
	v_add_f32_e32 v118, v118, v136
	v_add_f32_e32 v113, v113, v115
	v_fmac_f32_e32 v138, v120, v131
	s_waitcnt vmcnt(2)
	v_fma_f32 v117, v121, v132, -v127
	v_add_f32_e32 v114, v118, v137
	v_add_f32_e32 v113, v113, v116
	v_fmac_f32_e32 v139, v122, v132
	v_add_f32_e32 v114, v114, v138
	v_add_f32_e32 v113, v113, v117
	;; [unrolled: 1-line block ×3, first 2 shown]
	s_waitcnt vmcnt(1)
	v_sub_f32_e32 v113, v133, v113
	s_waitcnt vmcnt(0)
	v_sub_f32_e32 v114, v134, v114
	buffer_store_dword v113, off, s[0:3], 0 offset:392
	buffer_store_dword v114, off, s[0:3], 0 offset:396
	s_and_saveexec_b64 s[4:5], vcc
	s_cbranch_execz .LBB118_247
; %bb.246:
	buffer_load_dword v113, off, s[0:3], 0 offset:384
	buffer_load_dword v114, off, s[0:3], 0 offset:388
	s_waitcnt vmcnt(0)
	ds_write_b64 v111, v[113:114]
	buffer_store_dword v112, off, s[0:3], 0 offset:384
	buffer_store_dword v112, off, s[0:3], 0 offset:388
.LBB118_247:
	s_or_b64 exec, exec, s[4:5]
	s_waitcnt lgkmcnt(0)
	; wave barrier
	buffer_load_dword v125, off, s[0:3], 0 offset:396
	buffer_load_dword v126, off, s[0:3], 0 offset:404
	;; [unrolled: 1-line block ×14, first 2 shown]
	ds_read2_b64 v[113:116], v112 offset0:105 offset1:106
	ds_read2_b64 v[117:120], v112 offset0:107 offset1:108
	;; [unrolled: 1-line block ×3, first 2 shown]
	v_cmp_lt_u32_e32 vcc, 47, v0
	s_waitcnt vmcnt(13) lgkmcnt(2)
	v_mul_f32_e32 v112, v113, v125
	v_mul_f32_e32 v125, v114, v125
	s_waitcnt vmcnt(12)
	v_mul_f32_e32 v139, v115, v126
	v_mul_f32_e32 v126, v116, v126
	s_waitcnt vmcnt(11) lgkmcnt(1)
	v_mul_f32_e32 v140, v117, v127
	v_mul_f32_e32 v127, v118, v127
	s_waitcnt vmcnt(7)
	v_fma_f32 v113, v113, v131, -v125
	v_fmac_f32_e32 v112, v114, v131
	s_waitcnt vmcnt(6)
	v_fma_f32 v114, v115, v132, -v126
	v_add_f32_e32 v113, 0, v113
	v_mul_f32_e32 v141, v119, v128
	v_mul_f32_e32 v128, v120, v128
	v_fmac_f32_e32 v139, v116, v132
	s_waitcnt vmcnt(5)
	v_fma_f32 v115, v117, v133, -v127
	v_add_f32_e32 v112, 0, v112
	v_add_f32_e32 v113, v113, v114
	s_waitcnt lgkmcnt(0)
	v_mul_f32_e32 v142, v121, v129
	v_mul_f32_e32 v129, v122, v129
	v_fmac_f32_e32 v140, v118, v133
	s_waitcnt vmcnt(4)
	v_fma_f32 v116, v119, v134, -v128
	v_add_f32_e32 v112, v112, v139
	v_add_f32_e32 v113, v113, v115
	v_mul_f32_e32 v143, v123, v130
	v_mul_f32_e32 v130, v124, v130
	v_fmac_f32_e32 v141, v120, v134
	s_waitcnt vmcnt(3)
	v_fma_f32 v117, v121, v135, -v129
	v_add_f32_e32 v112, v112, v140
	v_add_f32_e32 v113, v113, v116
	v_fmac_f32_e32 v142, v122, v135
	s_waitcnt vmcnt(2)
	v_fma_f32 v118, v123, v136, -v130
	v_add_f32_e32 v112, v112, v141
	v_add_f32_e32 v113, v113, v117
	v_fmac_f32_e32 v143, v124, v136
	v_add_f32_e32 v112, v112, v142
	v_add_f32_e32 v113, v113, v118
	;; [unrolled: 1-line block ×3, first 2 shown]
	s_waitcnt vmcnt(1)
	v_sub_f32_e32 v113, v137, v113
	s_waitcnt vmcnt(0)
	v_sub_f32_e32 v112, v138, v112
	buffer_store_dword v113, off, s[0:3], 0 offset:384
	buffer_store_dword v112, off, s[0:3], 0 offset:388
	s_and_saveexec_b64 s[4:5], vcc
	s_cbranch_execz .LBB118_249
; %bb.248:
	buffer_load_dword v112, off, s[0:3], 0 offset:376
	buffer_load_dword v113, off, s[0:3], 0 offset:380
	v_mov_b32_e32 v114, 0
	buffer_store_dword v114, off, s[0:3], 0 offset:376
	buffer_store_dword v114, off, s[0:3], 0 offset:380
	s_waitcnt vmcnt(2)
	ds_write_b64 v111, v[112:113]
.LBB118_249:
	s_or_b64 exec, exec, s[4:5]
	s_waitcnt lgkmcnt(0)
	; wave barrier
	buffer_load_dword v127, off, s[0:3], 0 offset:388
	buffer_load_dword v128, off, s[0:3], 0 offset:396
	;; [unrolled: 1-line block ×16, first 2 shown]
	v_mov_b32_e32 v112, 0
	ds_read_b128 v[113:116], v112 offset:832
	ds_read_b128 v[117:120], v112 offset:848
	;; [unrolled: 1-line block ×3, first 2 shown]
	ds_read_b64 v[125:126], v112 offset:880
	v_cmp_lt_u32_e32 vcc, 46, v0
	s_waitcnt vmcnt(15) lgkmcnt(3)
	v_mul_f32_e32 v143, v113, v127
	v_mul_f32_e32 v127, v114, v127
	s_waitcnt vmcnt(14)
	v_mul_f32_e32 v144, v115, v128
	v_mul_f32_e32 v128, v116, v128
	s_waitcnt vmcnt(13) lgkmcnt(2)
	v_mul_f32_e32 v145, v117, v129
	s_waitcnt vmcnt(12)
	v_mul_f32_e32 v146, v119, v130
	v_mul_f32_e32 v129, v118, v129
	s_waitcnt vmcnt(8)
	v_fma_f32 v113, v113, v134, -v127
	v_fmac_f32_e32 v143, v114, v134
	s_waitcnt vmcnt(7)
	v_fma_f32 v114, v115, v135, -v128
	v_add_f32_e32 v113, 0, v113
	v_mul_f32_e32 v130, v120, v130
	v_fmac_f32_e32 v144, v116, v135
	s_waitcnt vmcnt(5)
	v_fmac_f32_e32 v146, v120, v137
	v_fma_f32 v115, v117, v136, -v129
	v_add_f32_e32 v120, 0, v143
	v_add_f32_e32 v113, v113, v114
	s_waitcnt lgkmcnt(1)
	v_mul_f32_e32 v147, v121, v131
	v_mul_f32_e32 v131, v122, v131
	v_fmac_f32_e32 v145, v118, v136
	v_fma_f32 v116, v119, v137, -v130
	v_add_f32_e32 v120, v120, v144
	v_add_f32_e32 v113, v113, v115
	v_mul_f32_e32 v148, v123, v132
	v_mul_f32_e32 v132, v124, v132
	s_waitcnt vmcnt(4)
	v_fma_f32 v117, v121, v138, -v131
	v_add_f32_e32 v114, v120, v145
	v_add_f32_e32 v113, v113, v116
	s_waitcnt lgkmcnt(0)
	v_mul_f32_e32 v149, v125, v133
	v_mul_f32_e32 v133, v126, v133
	v_fmac_f32_e32 v147, v122, v138
	s_waitcnt vmcnt(3)
	v_fma_f32 v118, v123, v139, -v132
	v_add_f32_e32 v114, v114, v146
	v_add_f32_e32 v113, v113, v117
	v_fmac_f32_e32 v148, v124, v139
	s_waitcnt vmcnt(2)
	v_fma_f32 v119, v125, v140, -v133
	v_add_f32_e32 v114, v114, v147
	v_add_f32_e32 v113, v113, v118
	v_fmac_f32_e32 v149, v126, v140
	v_add_f32_e32 v114, v114, v148
	v_add_f32_e32 v113, v113, v119
	;; [unrolled: 1-line block ×3, first 2 shown]
	s_waitcnt vmcnt(1)
	v_sub_f32_e32 v113, v141, v113
	s_waitcnt vmcnt(0)
	v_sub_f32_e32 v114, v142, v114
	buffer_store_dword v113, off, s[0:3], 0 offset:376
	buffer_store_dword v114, off, s[0:3], 0 offset:380
	s_and_saveexec_b64 s[4:5], vcc
	s_cbranch_execz .LBB118_251
; %bb.250:
	buffer_load_dword v113, off, s[0:3], 0 offset:368
	buffer_load_dword v114, off, s[0:3], 0 offset:372
	s_waitcnt vmcnt(0)
	ds_write_b64 v111, v[113:114]
	buffer_store_dword v112, off, s[0:3], 0 offset:368
	buffer_store_dword v112, off, s[0:3], 0 offset:372
.LBB118_251:
	s_or_b64 exec, exec, s[4:5]
	s_waitcnt lgkmcnt(0)
	; wave barrier
	buffer_load_dword v129, off, s[0:3], 0 offset:380
	buffer_load_dword v130, off, s[0:3], 0 offset:388
	;; [unrolled: 1-line block ×18, first 2 shown]
	ds_read2_b64 v[113:116], v112 offset0:103 offset1:104
	ds_read2_b64 v[117:120], v112 offset0:105 offset1:106
	;; [unrolled: 1-line block ×4, first 2 shown]
	v_cmp_lt_u32_e32 vcc, 45, v0
	s_waitcnt vmcnt(17) lgkmcnt(3)
	v_mul_f32_e32 v112, v113, v129
	v_mul_f32_e32 v129, v114, v129
	s_waitcnt vmcnt(16)
	v_mul_f32_e32 v147, v115, v130
	v_mul_f32_e32 v130, v116, v130
	s_waitcnt vmcnt(15) lgkmcnt(2)
	v_mul_f32_e32 v148, v117, v131
	v_mul_f32_e32 v131, v118, v131
	s_waitcnt vmcnt(14)
	v_mul_f32_e32 v149, v119, v132
	v_mul_f32_e32 v132, v120, v132
	s_waitcnt vmcnt(9)
	v_fma_f32 v113, v113, v137, -v129
	v_fmac_f32_e32 v112, v114, v137
	s_waitcnt vmcnt(8)
	v_fma_f32 v114, v115, v138, -v130
	v_add_f32_e32 v113, 0, v113
	v_fmac_f32_e32 v147, v116, v138
	s_waitcnt vmcnt(7)
	v_fma_f32 v115, v117, v139, -v131
	v_add_f32_e32 v112, 0, v112
	v_add_f32_e32 v113, v113, v114
	s_waitcnt lgkmcnt(1)
	v_mul_f32_e32 v150, v121, v133
	v_mul_f32_e32 v133, v122, v133
	v_fmac_f32_e32 v148, v118, v139
	s_waitcnt vmcnt(6)
	v_fma_f32 v116, v119, v140, -v132
	v_add_f32_e32 v112, v112, v147
	v_add_f32_e32 v113, v113, v115
	v_mul_f32_e32 v151, v123, v134
	v_mul_f32_e32 v134, v124, v134
	v_fmac_f32_e32 v149, v120, v140
	s_waitcnt vmcnt(5)
	v_fma_f32 v117, v121, v141, -v133
	v_add_f32_e32 v112, v112, v148
	v_add_f32_e32 v113, v113, v116
	s_waitcnt lgkmcnt(0)
	v_mul_f32_e32 v152, v125, v135
	v_mul_f32_e32 v135, v126, v135
	v_fmac_f32_e32 v150, v122, v141
	s_waitcnt vmcnt(4)
	v_fma_f32 v118, v123, v142, -v134
	v_add_f32_e32 v112, v112, v149
	v_add_f32_e32 v113, v113, v117
	v_mul_f32_e32 v153, v127, v136
	v_mul_f32_e32 v136, v128, v136
	v_fmac_f32_e32 v151, v124, v142
	s_waitcnt vmcnt(3)
	v_fma_f32 v119, v125, v143, -v135
	v_add_f32_e32 v112, v112, v150
	v_add_f32_e32 v113, v113, v118
	v_fmac_f32_e32 v152, v126, v143
	s_waitcnt vmcnt(2)
	v_fma_f32 v120, v127, v144, -v136
	v_add_f32_e32 v112, v112, v151
	v_add_f32_e32 v113, v113, v119
	v_fmac_f32_e32 v153, v128, v144
	v_add_f32_e32 v112, v112, v152
	v_add_f32_e32 v113, v113, v120
	;; [unrolled: 1-line block ×3, first 2 shown]
	s_waitcnt vmcnt(1)
	v_sub_f32_e32 v113, v145, v113
	s_waitcnt vmcnt(0)
	v_sub_f32_e32 v112, v146, v112
	buffer_store_dword v113, off, s[0:3], 0 offset:368
	buffer_store_dword v112, off, s[0:3], 0 offset:372
	s_and_saveexec_b64 s[4:5], vcc
	s_cbranch_execz .LBB118_253
; %bb.252:
	buffer_load_dword v112, off, s[0:3], 0 offset:360
	buffer_load_dword v113, off, s[0:3], 0 offset:364
	v_mov_b32_e32 v114, 0
	buffer_store_dword v114, off, s[0:3], 0 offset:360
	buffer_store_dword v114, off, s[0:3], 0 offset:364
	s_waitcnt vmcnt(2)
	ds_write_b64 v111, v[112:113]
.LBB118_253:
	s_or_b64 exec, exec, s[4:5]
	s_waitcnt lgkmcnt(0)
	; wave barrier
	buffer_load_dword v131, off, s[0:3], 0 offset:372
	buffer_load_dword v132, off, s[0:3], 0 offset:380
	;; [unrolled: 1-line block ×20, first 2 shown]
	v_mov_b32_e32 v112, 0
	ds_read_b128 v[113:116], v112 offset:816
	ds_read_b128 v[117:120], v112 offset:832
	;; [unrolled: 1-line block ×4, first 2 shown]
	ds_read_b64 v[129:130], v112 offset:880
	v_cmp_lt_u32_e32 vcc, 44, v0
	s_waitcnt vmcnt(19) lgkmcnt(4)
	v_mul_f32_e32 v151, v113, v131
	v_mul_f32_e32 v131, v114, v131
	s_waitcnt vmcnt(18)
	v_mul_f32_e32 v152, v115, v132
	v_mul_f32_e32 v132, v116, v132
	s_waitcnt vmcnt(17) lgkmcnt(3)
	v_mul_f32_e32 v153, v117, v133
	s_waitcnt vmcnt(15) lgkmcnt(2)
	v_mul_f32_e32 v155, v121, v135
	v_mul_f32_e32 v133, v118, v133
	;; [unrolled: 1-line block ×4, first 2 shown]
	s_waitcnt vmcnt(10)
	v_fma_f32 v113, v113, v140, -v131
	v_fmac_f32_e32 v151, v114, v140
	s_waitcnt vmcnt(9)
	v_fma_f32 v114, v115, v141, -v132
	v_add_f32_e32 v113, 0, v113
	v_mul_f32_e32 v135, v122, v135
	v_fmac_f32_e32 v152, v116, v141
	s_waitcnt vmcnt(6)
	v_fmac_f32_e32 v155, v122, v144
	v_fma_f32 v115, v117, v142, -v133
	v_add_f32_e32 v122, 0, v151
	v_add_f32_e32 v113, v113, v114
	v_fmac_f32_e32 v153, v118, v142
	v_fma_f32 v116, v119, v143, -v134
	v_add_f32_e32 v122, v122, v152
	v_add_f32_e32 v113, v113, v115
	v_mul_f32_e32 v156, v123, v136
	v_mul_f32_e32 v136, v124, v136
	v_fmac_f32_e32 v154, v120, v143
	v_fma_f32 v117, v121, v144, -v135
	v_add_f32_e32 v114, v122, v153
	v_add_f32_e32 v113, v113, v116
	s_waitcnt lgkmcnt(1)
	v_mul_f32_e32 v157, v125, v137
	v_mul_f32_e32 v137, v126, v137
	s_waitcnt vmcnt(5)
	v_fma_f32 v118, v123, v145, -v136
	v_add_f32_e32 v114, v114, v154
	v_add_f32_e32 v113, v113, v117
	v_mul_f32_e32 v158, v127, v138
	v_mul_f32_e32 v138, v128, v138
	v_fmac_f32_e32 v156, v124, v145
	s_waitcnt vmcnt(4)
	v_fma_f32 v119, v125, v146, -v137
	v_add_f32_e32 v114, v114, v155
	v_add_f32_e32 v113, v113, v118
	s_waitcnt lgkmcnt(0)
	v_mul_f32_e32 v159, v129, v139
	v_mul_f32_e32 v139, v130, v139
	v_fmac_f32_e32 v157, v126, v146
	s_waitcnt vmcnt(3)
	v_fma_f32 v120, v127, v147, -v138
	v_add_f32_e32 v114, v114, v156
	v_add_f32_e32 v113, v113, v119
	v_fmac_f32_e32 v158, v128, v147
	s_waitcnt vmcnt(2)
	v_fma_f32 v121, v129, v148, -v139
	v_add_f32_e32 v114, v114, v157
	v_add_f32_e32 v113, v113, v120
	v_fmac_f32_e32 v159, v130, v148
	v_add_f32_e32 v114, v114, v158
	v_add_f32_e32 v113, v113, v121
	;; [unrolled: 1-line block ×3, first 2 shown]
	s_waitcnt vmcnt(1)
	v_sub_f32_e32 v113, v149, v113
	s_waitcnt vmcnt(0)
	v_sub_f32_e32 v114, v150, v114
	buffer_store_dword v113, off, s[0:3], 0 offset:360
	buffer_store_dword v114, off, s[0:3], 0 offset:364
	s_and_saveexec_b64 s[4:5], vcc
	s_cbranch_execz .LBB118_255
; %bb.254:
	buffer_load_dword v113, off, s[0:3], 0 offset:352
	buffer_load_dword v114, off, s[0:3], 0 offset:356
	s_waitcnt vmcnt(0)
	ds_write_b64 v111, v[113:114]
	buffer_store_dword v112, off, s[0:3], 0 offset:352
	buffer_store_dword v112, off, s[0:3], 0 offset:356
.LBB118_255:
	s_or_b64 exec, exec, s[4:5]
	s_waitcnt lgkmcnt(0)
	; wave barrier
	buffer_load_dword v133, off, s[0:3], 0 offset:364
	buffer_load_dword v134, off, s[0:3], 0 offset:372
	;; [unrolled: 1-line block ×22, first 2 shown]
	ds_read2_b64 v[113:116], v112 offset0:101 offset1:102
	ds_read2_b64 v[117:120], v112 offset0:103 offset1:104
	;; [unrolled: 1-line block ×5, first 2 shown]
	v_cmp_lt_u32_e32 vcc, 43, v0
	s_waitcnt vmcnt(21) lgkmcnt(4)
	v_mul_f32_e32 v112, v113, v133
	v_mul_f32_e32 v133, v114, v133
	s_waitcnt vmcnt(20)
	v_mul_f32_e32 v155, v115, v134
	v_mul_f32_e32 v134, v116, v134
	s_waitcnt vmcnt(19) lgkmcnt(3)
	v_mul_f32_e32 v156, v117, v135
	v_mul_f32_e32 v135, v118, v135
	s_waitcnt vmcnt(18)
	v_mul_f32_e32 v157, v119, v136
	v_mul_f32_e32 v136, v120, v136
	s_waitcnt vmcnt(17) lgkmcnt(2)
	v_mul_f32_e32 v158, v121, v137
	v_mul_f32_e32 v137, v122, v137
	s_waitcnt vmcnt(11)
	v_fma_f32 v113, v113, v143, -v133
	v_fmac_f32_e32 v112, v114, v143
	s_waitcnt vmcnt(10)
	v_fma_f32 v114, v115, v144, -v134
	v_add_f32_e32 v113, 0, v113
	v_fmac_f32_e32 v155, v116, v144
	s_waitcnt vmcnt(9)
	v_fma_f32 v115, v117, v145, -v135
	v_add_f32_e32 v112, 0, v112
	v_add_f32_e32 v113, v113, v114
	v_fmac_f32_e32 v156, v118, v145
	s_waitcnt vmcnt(8)
	v_fma_f32 v116, v119, v146, -v136
	v_add_f32_e32 v112, v112, v155
	v_add_f32_e32 v113, v113, v115
	v_mul_f32_e32 v159, v123, v138
	v_mul_f32_e32 v138, v124, v138
	v_fmac_f32_e32 v157, v120, v146
	s_waitcnt vmcnt(7)
	v_fma_f32 v117, v121, v147, -v137
	v_add_f32_e32 v112, v112, v156
	v_add_f32_e32 v113, v113, v116
	s_waitcnt lgkmcnt(1)
	v_mul_f32_e32 v160, v125, v139
	v_mul_f32_e32 v139, v126, v139
	v_fmac_f32_e32 v158, v122, v147
	s_waitcnt vmcnt(6)
	v_fma_f32 v118, v123, v148, -v138
	v_add_f32_e32 v112, v112, v157
	v_add_f32_e32 v113, v113, v117
	v_mul_f32_e32 v161, v127, v140
	v_mul_f32_e32 v140, v128, v140
	v_fmac_f32_e32 v159, v124, v148
	s_waitcnt vmcnt(5)
	v_fma_f32 v119, v125, v149, -v139
	v_add_f32_e32 v112, v112, v158
	v_add_f32_e32 v113, v113, v118
	s_waitcnt lgkmcnt(0)
	v_mul_f32_e32 v162, v129, v141
	v_mul_f32_e32 v141, v130, v141
	v_fmac_f32_e32 v160, v126, v149
	s_waitcnt vmcnt(4)
	v_fma_f32 v120, v127, v150, -v140
	v_add_f32_e32 v112, v112, v159
	v_add_f32_e32 v113, v113, v119
	v_mul_f32_e32 v163, v131, v142
	v_mul_f32_e32 v142, v132, v142
	v_fmac_f32_e32 v161, v128, v150
	s_waitcnt vmcnt(3)
	v_fma_f32 v121, v129, v151, -v141
	v_add_f32_e32 v112, v112, v160
	v_add_f32_e32 v113, v113, v120
	v_fmac_f32_e32 v162, v130, v151
	s_waitcnt vmcnt(2)
	v_fma_f32 v122, v131, v152, -v142
	v_add_f32_e32 v112, v112, v161
	v_add_f32_e32 v113, v113, v121
	v_fmac_f32_e32 v163, v132, v152
	v_add_f32_e32 v112, v112, v162
	v_add_f32_e32 v113, v113, v122
	;; [unrolled: 1-line block ×3, first 2 shown]
	s_waitcnt vmcnt(1)
	v_sub_f32_e32 v113, v153, v113
	s_waitcnt vmcnt(0)
	v_sub_f32_e32 v112, v154, v112
	buffer_store_dword v113, off, s[0:3], 0 offset:352
	buffer_store_dword v112, off, s[0:3], 0 offset:356
	s_and_saveexec_b64 s[4:5], vcc
	s_cbranch_execz .LBB118_257
; %bb.256:
	buffer_load_dword v112, off, s[0:3], 0 offset:344
	buffer_load_dword v113, off, s[0:3], 0 offset:348
	v_mov_b32_e32 v114, 0
	buffer_store_dword v114, off, s[0:3], 0 offset:344
	buffer_store_dword v114, off, s[0:3], 0 offset:348
	s_waitcnt vmcnt(2)
	ds_write_b64 v111, v[112:113]
.LBB118_257:
	s_or_b64 exec, exec, s[4:5]
	s_waitcnt lgkmcnt(0)
	; wave barrier
	buffer_load_dword v135, off, s[0:3], 0 offset:356
	buffer_load_dword v136, off, s[0:3], 0 offset:364
	;; [unrolled: 1-line block ×24, first 2 shown]
	v_mov_b32_e32 v112, 0
	ds_read_b128 v[113:116], v112 offset:800
	ds_read_b128 v[117:120], v112 offset:816
	;; [unrolled: 1-line block ×5, first 2 shown]
	ds_read_b64 v[133:134], v112 offset:880
	v_cmp_lt_u32_e32 vcc, 42, v0
	s_waitcnt vmcnt(23) lgkmcnt(5)
	v_mul_f32_e32 v159, v113, v135
	v_mul_f32_e32 v135, v114, v135
	s_waitcnt vmcnt(22)
	v_mul_f32_e32 v160, v115, v136
	v_mul_f32_e32 v136, v116, v136
	s_waitcnt vmcnt(21) lgkmcnt(4)
	v_mul_f32_e32 v161, v117, v137
	v_mul_f32_e32 v137, v118, v137
	s_waitcnt vmcnt(20)
	v_mul_f32_e32 v162, v119, v138
	s_waitcnt vmcnt(19) lgkmcnt(3)
	v_mul_f32_e32 v163, v121, v139
	v_mul_f32_e32 v138, v120, v138
	;; [unrolled: 1-line block ×3, first 2 shown]
	s_waitcnt vmcnt(18)
	v_mul_f32_e32 v164, v123, v140
	s_waitcnt vmcnt(12)
	v_fma_f32 v113, v113, v146, -v135
	v_fmac_f32_e32 v159, v114, v146
	s_waitcnt vmcnt(11)
	v_fma_f32 v114, v115, v147, -v136
	v_add_f32_e32 v113, 0, v113
	s_waitcnt vmcnt(10)
	v_fma_f32 v115, v117, v148, -v137
	v_add_f32_e32 v113, v113, v114
	v_fmac_f32_e32 v160, v116, v147
	s_waitcnt vmcnt(8)
	v_fmac_f32_e32 v163, v122, v150
	v_fma_f32 v116, v119, v149, -v138
	v_add_f32_e32 v122, 0, v159
	v_add_f32_e32 v113, v113, v115
	v_mul_f32_e32 v140, v124, v140
	v_fmac_f32_e32 v161, v118, v148
	v_fma_f32 v117, v121, v150, -v139
	v_add_f32_e32 v122, v122, v160
	v_add_f32_e32 v113, v113, v116
	s_waitcnt lgkmcnt(2)
	v_mul_f32_e32 v165, v125, v141
	v_mul_f32_e32 v141, v126, v141
	v_fmac_f32_e32 v162, v120, v149
	s_waitcnt vmcnt(7)
	v_fma_f32 v118, v123, v151, -v140
	v_add_f32_e32 v114, v122, v161
	v_add_f32_e32 v113, v113, v117
	v_mul_f32_e32 v166, v127, v142
	v_mul_f32_e32 v142, v128, v142
	s_waitcnt vmcnt(6)
	v_fma_f32 v119, v125, v152, -v141
	v_add_f32_e32 v114, v114, v162
	v_add_f32_e32 v113, v113, v118
	s_waitcnt lgkmcnt(1)
	v_mul_f32_e32 v167, v129, v143
	v_mul_f32_e32 v143, v130, v143
	v_fmac_f32_e32 v164, v124, v151
	s_waitcnt vmcnt(5)
	v_fma_f32 v120, v127, v153, -v142
	v_add_f32_e32 v114, v114, v163
	v_add_f32_e32 v113, v113, v119
	v_fmac_f32_e32 v165, v126, v152
	s_waitcnt vmcnt(4)
	v_fma_f32 v121, v129, v154, -v143
	v_add_f32_e32 v114, v114, v164
	v_add_f32_e32 v113, v113, v120
	v_mul_f32_e32 v115, v132, v144
	v_fmac_f32_e32 v166, v128, v153
	v_add_f32_e32 v114, v114, v165
	v_add_f32_e32 v113, v113, v121
	s_waitcnt vmcnt(3)
	v_fma_f32 v115, v131, v155, -v115
	v_mul_f32_e32 v168, v131, v144
	v_fmac_f32_e32 v167, v130, v154
	v_add_f32_e32 v114, v114, v166
	v_add_f32_e32 v113, v113, v115
	s_waitcnt lgkmcnt(0)
	v_mul_f32_e32 v115, v134, v145
	v_mul_f32_e32 v169, v133, v145
	v_fmac_f32_e32 v168, v132, v155
	v_add_f32_e32 v114, v114, v167
	s_waitcnt vmcnt(2)
	v_fma_f32 v115, v133, v156, -v115
	v_fmac_f32_e32 v169, v134, v156
	v_add_f32_e32 v114, v114, v168
	v_add_f32_e32 v113, v113, v115
	;; [unrolled: 1-line block ×3, first 2 shown]
	s_waitcnt vmcnt(1)
	v_sub_f32_e32 v113, v157, v113
	s_waitcnt vmcnt(0)
	v_sub_f32_e32 v114, v158, v114
	buffer_store_dword v113, off, s[0:3], 0 offset:344
	buffer_store_dword v114, off, s[0:3], 0 offset:348
	s_and_saveexec_b64 s[4:5], vcc
	s_cbranch_execz .LBB118_259
; %bb.258:
	buffer_load_dword v113, off, s[0:3], 0 offset:336
	buffer_load_dword v114, off, s[0:3], 0 offset:340
	s_waitcnt vmcnt(0)
	ds_write_b64 v111, v[113:114]
	buffer_store_dword v112, off, s[0:3], 0 offset:336
	buffer_store_dword v112, off, s[0:3], 0 offset:340
.LBB118_259:
	s_or_b64 exec, exec, s[4:5]
	s_waitcnt lgkmcnt(0)
	; wave barrier
	buffer_load_dword v137, off, s[0:3], 0 offset:348
	buffer_load_dword v138, off, s[0:3], 0 offset:356
	;; [unrolled: 1-line block ×26, first 2 shown]
	ds_read2_b64 v[113:116], v112 offset0:99 offset1:100
	ds_read2_b64 v[117:120], v112 offset0:101 offset1:102
	;; [unrolled: 1-line block ×6, first 2 shown]
	v_cmp_lt_u32_e32 vcc, 41, v0
	s_waitcnt vmcnt(25) lgkmcnt(5)
	v_mul_f32_e32 v112, v113, v137
	v_mul_f32_e32 v137, v114, v137
	s_waitcnt vmcnt(24)
	v_mul_f32_e32 v163, v115, v138
	v_mul_f32_e32 v138, v116, v138
	s_waitcnt vmcnt(23) lgkmcnt(4)
	v_mul_f32_e32 v164, v117, v139
	v_mul_f32_e32 v139, v118, v139
	s_waitcnt vmcnt(22)
	v_mul_f32_e32 v165, v119, v140
	v_mul_f32_e32 v140, v120, v140
	;; [unrolled: 6-line block ×3, first 2 shown]
	s_waitcnt vmcnt(13)
	v_fma_f32 v113, v113, v149, -v137
	v_fmac_f32_e32 v112, v114, v149
	s_waitcnt vmcnt(12)
	v_fma_f32 v114, v115, v150, -v138
	v_add_f32_e32 v113, 0, v113
	s_waitcnt vmcnt(11)
	v_fma_f32 v115, v117, v151, -v139
	v_add_f32_e32 v113, v113, v114
	v_fmac_f32_e32 v163, v116, v150
	s_waitcnt vmcnt(10)
	v_fma_f32 v116, v119, v152, -v140
	v_add_f32_e32 v113, v113, v115
	s_waitcnt vmcnt(9)
	v_fma_f32 v117, v121, v153, -v141
	v_add_f32_e32 v113, v113, v116
	s_waitcnt lgkmcnt(2)
	v_mul_f32_e32 v168, v125, v143
	v_mul_f32_e32 v143, v126, v143
	v_fmac_f32_e32 v164, v118, v151
	s_waitcnt vmcnt(8)
	v_fma_f32 v118, v123, v154, -v142
	v_add_f32_e32 v112, 0, v112
	v_add_f32_e32 v113, v113, v117
	v_mul_f32_e32 v169, v127, v144
	v_mul_f32_e32 v144, v128, v144
	s_waitcnt vmcnt(7)
	v_fma_f32 v119, v125, v155, -v143
	v_add_f32_e32 v112, v112, v163
	v_add_f32_e32 v113, v113, v118
	v_fmac_f32_e32 v165, v120, v152
	s_waitcnt vmcnt(6)
	v_fma_f32 v120, v127, v156, -v144
	v_add_f32_e32 v112, v112, v164
	v_add_f32_e32 v113, v113, v119
	s_waitcnt lgkmcnt(1)
	v_mul_f32_e32 v114, v130, v145
	v_fmac_f32_e32 v166, v122, v153
	v_add_f32_e32 v112, v112, v165
	v_add_f32_e32 v113, v113, v120
	s_waitcnt vmcnt(5)
	v_fma_f32 v114, v129, v157, -v114
	v_fmac_f32_e32 v167, v124, v154
	v_add_f32_e32 v112, v112, v166
	v_add_f32_e32 v113, v113, v114
	v_mul_f32_e32 v114, v132, v146
	v_fmac_f32_e32 v168, v126, v155
	v_add_f32_e32 v112, v112, v167
	s_waitcnt vmcnt(4)
	v_fma_f32 v114, v131, v158, -v114
	v_mul_f32_e32 v170, v129, v145
	v_fmac_f32_e32 v169, v128, v156
	v_add_f32_e32 v112, v112, v168
	v_add_f32_e32 v113, v113, v114
	s_waitcnt lgkmcnt(0)
	v_mul_f32_e32 v114, v134, v147
	v_mul_f32_e32 v171, v131, v146
	v_fmac_f32_e32 v170, v130, v157
	v_add_f32_e32 v112, v112, v169
	s_waitcnt vmcnt(3)
	v_fma_f32 v114, v133, v159, -v114
	v_mul_f32_e32 v172, v133, v147
	v_fmac_f32_e32 v171, v132, v158
	v_add_f32_e32 v112, v112, v170
	v_add_f32_e32 v113, v113, v114
	v_mul_f32_e32 v114, v136, v148
	v_mul_f32_e32 v173, v135, v148
	v_fmac_f32_e32 v172, v134, v159
	v_add_f32_e32 v112, v112, v171
	s_waitcnt vmcnt(2)
	v_fma_f32 v114, v135, v160, -v114
	v_fmac_f32_e32 v173, v136, v160
	v_add_f32_e32 v112, v112, v172
	v_add_f32_e32 v113, v113, v114
	;; [unrolled: 1-line block ×3, first 2 shown]
	s_waitcnt vmcnt(1)
	v_sub_f32_e32 v113, v161, v113
	s_waitcnt vmcnt(0)
	v_sub_f32_e32 v112, v162, v112
	buffer_store_dword v113, off, s[0:3], 0 offset:336
	buffer_store_dword v112, off, s[0:3], 0 offset:340
	s_and_saveexec_b64 s[4:5], vcc
	s_cbranch_execz .LBB118_261
; %bb.260:
	buffer_load_dword v112, off, s[0:3], 0 offset:328
	buffer_load_dword v113, off, s[0:3], 0 offset:332
	v_mov_b32_e32 v114, 0
	buffer_store_dword v114, off, s[0:3], 0 offset:328
	buffer_store_dword v114, off, s[0:3], 0 offset:332
	s_waitcnt vmcnt(2)
	ds_write_b64 v111, v[112:113]
.LBB118_261:
	s_or_b64 exec, exec, s[4:5]
	s_waitcnt lgkmcnt(0)
	; wave barrier
	buffer_load_dword v139, off, s[0:3], 0 offset:340
	buffer_load_dword v140, off, s[0:3], 0 offset:348
	;; [unrolled: 1-line block ×28, first 2 shown]
	v_mov_b32_e32 v112, 0
	ds_read_b128 v[113:116], v112 offset:784
	ds_read_b128 v[117:120], v112 offset:800
	;; [unrolled: 1-line block ×6, first 2 shown]
	ds_read_b64 v[137:138], v112 offset:880
	v_cmp_lt_u32_e32 vcc, 40, v0
	s_waitcnt vmcnt(27) lgkmcnt(6)
	v_mul_f32_e32 v167, v113, v139
	v_mul_f32_e32 v139, v114, v139
	s_waitcnt vmcnt(26)
	v_mul_f32_e32 v168, v115, v140
	v_mul_f32_e32 v140, v116, v140
	s_waitcnt vmcnt(25) lgkmcnt(5)
	v_mul_f32_e32 v169, v117, v141
	v_mul_f32_e32 v141, v118, v141
	s_waitcnt vmcnt(24)
	v_mul_f32_e32 v170, v119, v142
	v_mul_f32_e32 v142, v120, v142
	;; [unrolled: 6-line block ×3, first 2 shown]
	s_waitcnt vmcnt(21) lgkmcnt(3)
	v_mul_f32_e32 v173, v125, v145
	s_waitcnt vmcnt(14)
	v_fma_f32 v113, v113, v152, -v139
	v_fmac_f32_e32 v167, v114, v152
	s_waitcnt vmcnt(13)
	v_fma_f32 v114, v115, v153, -v140
	v_add_f32_e32 v113, 0, v113
	s_waitcnt vmcnt(12)
	v_fma_f32 v115, v117, v154, -v141
	v_add_f32_e32 v113, v113, v114
	v_fmac_f32_e32 v168, v116, v153
	s_waitcnt vmcnt(11)
	v_fma_f32 v116, v119, v155, -v142
	v_add_f32_e32 v113, v113, v115
	s_waitcnt vmcnt(10)
	v_fma_f32 v117, v121, v156, -v143
	v_add_f32_e32 v113, v113, v116
	v_fmac_f32_e32 v169, v118, v154
	s_waitcnt vmcnt(9)
	v_fma_f32 v118, v123, v157, -v144
	v_add_f32_e32 v113, v113, v117
	v_mul_f32_e32 v115, v126, v145
	v_add_f32_e32 v113, v113, v118
	s_waitcnt vmcnt(8)
	v_fma_f32 v115, v125, v158, -v115
	v_add_f32_e32 v113, v113, v115
	v_mul_f32_e32 v115, v128, v146
	v_add_f32_e32 v119, 0, v167
	s_waitcnt vmcnt(7)
	v_fma_f32 v115, v127, v159, -v115
	v_add_f32_e32 v119, v119, v168
	v_add_f32_e32 v113, v113, v115
	s_waitcnt lgkmcnt(2)
	v_mul_f32_e32 v115, v130, v147
	v_fmac_f32_e32 v170, v120, v155
	v_add_f32_e32 v114, v119, v169
	s_waitcnt vmcnt(6)
	v_fma_f32 v115, v129, v160, -v115
	v_fmac_f32_e32 v171, v122, v156
	v_add_f32_e32 v114, v114, v170
	v_add_f32_e32 v113, v113, v115
	v_mul_f32_e32 v115, v132, v148
	v_fmac_f32_e32 v172, v124, v157
	v_add_f32_e32 v114, v114, v171
	s_waitcnt vmcnt(5)
	v_fma_f32 v115, v131, v161, -v115
	v_mul_f32_e32 v174, v127, v146
	v_fmac_f32_e32 v173, v126, v158
	v_add_f32_e32 v114, v114, v172
	v_add_f32_e32 v113, v113, v115
	s_waitcnt lgkmcnt(1)
	v_mul_f32_e32 v115, v134, v149
	v_mul_f32_e32 v175, v129, v147
	v_fmac_f32_e32 v174, v128, v159
	v_add_f32_e32 v114, v114, v173
	s_waitcnt vmcnt(4)
	v_fma_f32 v115, v133, v162, -v115
	v_mul_f32_e32 v176, v131, v148
	v_fmac_f32_e32 v175, v130, v160
	v_add_f32_e32 v114, v114, v174
	v_add_f32_e32 v113, v113, v115
	v_mul_f32_e32 v115, v136, v150
	v_mul_f32_e32 v177, v133, v149
	v_fmac_f32_e32 v176, v132, v161
	v_add_f32_e32 v114, v114, v175
	s_waitcnt vmcnt(3)
	v_fma_f32 v115, v135, v163, -v115
	v_mul_f32_e32 v178, v135, v150
	v_fmac_f32_e32 v177, v134, v162
	v_add_f32_e32 v114, v114, v176
	v_add_f32_e32 v113, v113, v115
	s_waitcnt lgkmcnt(0)
	v_mul_f32_e32 v115, v138, v151
	v_mul_f32_e32 v179, v137, v151
	v_fmac_f32_e32 v178, v136, v163
	v_add_f32_e32 v114, v114, v177
	s_waitcnt vmcnt(2)
	v_fma_f32 v115, v137, v164, -v115
	v_fmac_f32_e32 v179, v138, v164
	v_add_f32_e32 v114, v114, v178
	v_add_f32_e32 v113, v113, v115
	;; [unrolled: 1-line block ×3, first 2 shown]
	s_waitcnt vmcnt(1)
	v_sub_f32_e32 v113, v165, v113
	s_waitcnt vmcnt(0)
	v_sub_f32_e32 v114, v166, v114
	buffer_store_dword v113, off, s[0:3], 0 offset:328
	buffer_store_dword v114, off, s[0:3], 0 offset:332
	s_and_saveexec_b64 s[4:5], vcc
	s_cbranch_execz .LBB118_263
; %bb.262:
	buffer_load_dword v113, off, s[0:3], 0 offset:320
	buffer_load_dword v114, off, s[0:3], 0 offset:324
	s_waitcnt vmcnt(0)
	ds_write_b64 v111, v[113:114]
	buffer_store_dword v112, off, s[0:3], 0 offset:320
	buffer_store_dword v112, off, s[0:3], 0 offset:324
.LBB118_263:
	s_or_b64 exec, exec, s[4:5]
	s_waitcnt lgkmcnt(0)
	; wave barrier
	buffer_load_dword v141, off, s[0:3], 0 offset:332
	buffer_load_dword v142, off, s[0:3], 0 offset:340
	;; [unrolled: 1-line block ×30, first 2 shown]
	ds_read2_b64 v[113:116], v112 offset0:97 offset1:98
	ds_read2_b64 v[117:120], v112 offset0:99 offset1:100
	;; [unrolled: 1-line block ×7, first 2 shown]
	v_cmp_lt_u32_e32 vcc, 39, v0
	s_waitcnt vmcnt(29) lgkmcnt(6)
	v_mul_f32_e32 v112, v113, v141
	v_mul_f32_e32 v141, v114, v141
	s_waitcnt vmcnt(28)
	v_mul_f32_e32 v171, v115, v142
	v_mul_f32_e32 v142, v116, v142
	s_waitcnt vmcnt(27) lgkmcnt(5)
	v_mul_f32_e32 v172, v117, v143
	v_mul_f32_e32 v143, v118, v143
	s_waitcnt vmcnt(26)
	v_mul_f32_e32 v173, v119, v144
	v_mul_f32_e32 v144, v120, v144
	s_waitcnt vmcnt(25) lgkmcnt(4)
	v_mul_f32_e32 v174, v121, v145
	v_mul_f32_e32 v145, v122, v145
	s_waitcnt vmcnt(24)
	v_mul_f32_e32 v175, v123, v146
	s_waitcnt vmcnt(23) lgkmcnt(3)
	v_mul_f32_e32 v176, v125, v147
	s_waitcnt vmcnt(22)
	v_mul_f32_e32 v177, v127, v148
	s_waitcnt vmcnt(21) lgkmcnt(2)
	v_mul_f32_e32 v178, v129, v149
	s_waitcnt vmcnt(15)
	v_fma_f32 v113, v113, v155, -v141
	v_fmac_f32_e32 v112, v114, v155
	s_waitcnt vmcnt(14)
	v_fma_f32 v114, v115, v156, -v142
	v_add_f32_e32 v113, 0, v113
	s_waitcnt vmcnt(13)
	v_fma_f32 v115, v117, v157, -v143
	v_add_f32_e32 v113, v113, v114
	v_fmac_f32_e32 v171, v116, v156
	s_waitcnt vmcnt(12)
	v_fma_f32 v116, v119, v158, -v144
	v_add_f32_e32 v113, v113, v115
	s_waitcnt vmcnt(11)
	v_fma_f32 v117, v121, v159, -v145
	v_add_f32_e32 v113, v113, v116
	v_mul_f32_e32 v114, v124, v146
	v_add_f32_e32 v113, v113, v117
	s_waitcnt vmcnt(10)
	v_fma_f32 v114, v123, v160, -v114
	v_add_f32_e32 v113, v113, v114
	v_mul_f32_e32 v114, v126, v147
	s_waitcnt vmcnt(9)
	v_fma_f32 v114, v125, v161, -v114
	v_add_f32_e32 v113, v113, v114
	v_mul_f32_e32 v114, v128, v148
	s_waitcnt vmcnt(8)
	v_fma_f32 v114, v127, v162, -v114
	v_add_f32_e32 v112, 0, v112
	v_add_f32_e32 v113, v113, v114
	v_mul_f32_e32 v114, v130, v149
	v_fmac_f32_e32 v172, v118, v157
	v_add_f32_e32 v112, v112, v171
	s_waitcnt vmcnt(7)
	v_fma_f32 v114, v129, v163, -v114
	v_fmac_f32_e32 v173, v120, v158
	v_add_f32_e32 v112, v112, v172
	v_add_f32_e32 v113, v113, v114
	v_mul_f32_e32 v114, v132, v150
	v_fmac_f32_e32 v174, v122, v159
	v_add_f32_e32 v112, v112, v173
	s_waitcnt vmcnt(6)
	v_fma_f32 v114, v131, v164, -v114
	v_fmac_f32_e32 v175, v124, v160
	v_add_f32_e32 v112, v112, v174
	v_add_f32_e32 v113, v113, v114
	s_waitcnt lgkmcnt(1)
	v_mul_f32_e32 v114, v134, v151
	v_fmac_f32_e32 v176, v126, v161
	v_add_f32_e32 v112, v112, v175
	s_waitcnt vmcnt(5)
	v_fma_f32 v114, v133, v165, -v114
	v_fmac_f32_e32 v177, v128, v162
	v_add_f32_e32 v112, v112, v176
	v_add_f32_e32 v113, v113, v114
	v_mul_f32_e32 v114, v136, v152
	v_mul_f32_e32 v179, v131, v150
	v_fmac_f32_e32 v178, v130, v163
	v_add_f32_e32 v112, v112, v177
	s_waitcnt vmcnt(4)
	v_fma_f32 v114, v135, v166, -v114
	v_mul_f32_e32 v180, v133, v151
	v_fmac_f32_e32 v179, v132, v164
	v_add_f32_e32 v112, v112, v178
	v_add_f32_e32 v113, v113, v114
	s_waitcnt lgkmcnt(0)
	v_mul_f32_e32 v114, v138, v153
	v_mul_f32_e32 v181, v135, v152
	v_fmac_f32_e32 v180, v134, v165
	v_add_f32_e32 v112, v112, v179
	s_waitcnt vmcnt(3)
	v_fma_f32 v114, v137, v167, -v114
	v_mul_f32_e32 v182, v137, v153
	v_fmac_f32_e32 v181, v136, v166
	v_add_f32_e32 v112, v112, v180
	v_add_f32_e32 v113, v113, v114
	v_mul_f32_e32 v114, v140, v154
	v_mul_f32_e32 v183, v139, v154
	v_fmac_f32_e32 v182, v138, v167
	v_add_f32_e32 v112, v112, v181
	s_waitcnt vmcnt(2)
	v_fma_f32 v114, v139, v168, -v114
	v_fmac_f32_e32 v183, v140, v168
	v_add_f32_e32 v112, v112, v182
	v_add_f32_e32 v113, v113, v114
	;; [unrolled: 1-line block ×3, first 2 shown]
	s_waitcnt vmcnt(1)
	v_sub_f32_e32 v113, v169, v113
	s_waitcnt vmcnt(0)
	v_sub_f32_e32 v112, v170, v112
	buffer_store_dword v113, off, s[0:3], 0 offset:320
	buffer_store_dword v112, off, s[0:3], 0 offset:324
	s_and_saveexec_b64 s[4:5], vcc
	s_cbranch_execz .LBB118_265
; %bb.264:
	buffer_load_dword v112, off, s[0:3], 0 offset:312
	buffer_load_dword v113, off, s[0:3], 0 offset:316
	v_mov_b32_e32 v114, 0
	buffer_store_dword v114, off, s[0:3], 0 offset:312
	buffer_store_dword v114, off, s[0:3], 0 offset:316
	s_waitcnt vmcnt(2)
	ds_write_b64 v111, v[112:113]
.LBB118_265:
	s_or_b64 exec, exec, s[4:5]
	s_waitcnt lgkmcnt(0)
	; wave barrier
	buffer_load_dword v143, off, s[0:3], 0 offset:324
	buffer_load_dword v144, off, s[0:3], 0 offset:332
	;; [unrolled: 1-line block ×32, first 2 shown]
	v_mov_b32_e32 v112, 0
	ds_read_b128 v[113:116], v112 offset:768
	ds_read_b128 v[117:120], v112 offset:784
	;; [unrolled: 1-line block ×7, first 2 shown]
	ds_read_b64 v[141:142], v112 offset:880
	v_cmp_lt_u32_e32 vcc, 38, v0
	s_waitcnt vmcnt(31) lgkmcnt(7)
	v_mul_f32_e32 v175, v113, v143
	v_mul_f32_e32 v143, v114, v143
	s_waitcnt vmcnt(30)
	v_mul_f32_e32 v176, v115, v144
	v_mul_f32_e32 v144, v116, v144
	s_waitcnt vmcnt(29) lgkmcnt(6)
	v_mul_f32_e32 v177, v117, v145
	v_mul_f32_e32 v145, v118, v145
	s_waitcnt vmcnt(28)
	v_mul_f32_e32 v178, v119, v146
	s_waitcnt vmcnt(27) lgkmcnt(5)
	v_mul_f32_e32 v179, v121, v147
	s_waitcnt vmcnt(26)
	v_mul_f32_e32 v180, v123, v148
	s_waitcnt vmcnt(25) lgkmcnt(4)
	;; [unrolled: 4-line block ×4, first 2 shown]
	v_mul_f32_e32 v185, v133, v153
	s_waitcnt vmcnt(20)
	v_mul_f32_e32 v186, v135, v154
	s_waitcnt vmcnt(16)
	v_fma_f32 v113, v113, v158, -v143
	v_fmac_f32_e32 v175, v114, v158
	s_waitcnt vmcnt(15)
	v_fma_f32 v114, v115, v159, -v144
	v_add_f32_e32 v113, 0, v113
	s_waitcnt vmcnt(14)
	v_fma_f32 v115, v117, v160, -v145
	v_add_f32_e32 v113, v113, v114
	v_add_f32_e32 v113, v113, v115
	v_mul_f32_e32 v115, v120, v146
	s_waitcnt vmcnt(13)
	v_fma_f32 v115, v119, v161, -v115
	v_add_f32_e32 v113, v113, v115
	v_mul_f32_e32 v115, v122, v147
	s_waitcnt vmcnt(12)
	v_fma_f32 v115, v121, v162, -v115
	;; [unrolled: 4-line block ×5, first 2 shown]
	v_add_f32_e32 v113, v113, v115
	v_mul_f32_e32 v115, v130, v151
	v_fmac_f32_e32 v176, v116, v159
	v_add_f32_e32 v116, 0, v175
	s_waitcnt vmcnt(8)
	v_fma_f32 v115, v129, v166, -v115
	v_fmac_f32_e32 v177, v118, v160
	v_add_f32_e32 v116, v116, v176
	v_add_f32_e32 v113, v113, v115
	v_mul_f32_e32 v115, v132, v152
	v_fmac_f32_e32 v178, v120, v161
	v_add_f32_e32 v114, v116, v177
	s_waitcnt vmcnt(7)
	v_fma_f32 v115, v131, v167, -v115
	v_fmac_f32_e32 v179, v122, v162
	v_add_f32_e32 v114, v114, v178
	;; [unrolled: 8-line block ×4, first 2 shown]
	v_add_f32_e32 v113, v113, v115
	s_waitcnt lgkmcnt(1)
	v_mul_f32_e32 v115, v138, v155
	v_fmac_f32_e32 v184, v132, v167
	v_add_f32_e32 v114, v114, v183
	s_waitcnt vmcnt(4)
	v_fma_f32 v115, v137, v170, -v115
	v_fmac_f32_e32 v185, v134, v168
	v_add_f32_e32 v114, v114, v184
	v_add_f32_e32 v113, v113, v115
	v_mul_f32_e32 v115, v140, v156
	v_mul_f32_e32 v187, v137, v155
	v_fmac_f32_e32 v186, v136, v169
	v_add_f32_e32 v114, v114, v185
	s_waitcnt vmcnt(3)
	v_fma_f32 v115, v139, v171, -v115
	v_mul_f32_e32 v188, v139, v156
	v_fmac_f32_e32 v187, v138, v170
	v_add_f32_e32 v114, v114, v186
	v_add_f32_e32 v113, v113, v115
	s_waitcnt lgkmcnt(0)
	v_mul_f32_e32 v115, v142, v157
	v_mul_f32_e32 v189, v141, v157
	v_fmac_f32_e32 v188, v140, v171
	v_add_f32_e32 v114, v114, v187
	s_waitcnt vmcnt(2)
	v_fma_f32 v115, v141, v172, -v115
	v_fmac_f32_e32 v189, v142, v172
	v_add_f32_e32 v114, v114, v188
	v_add_f32_e32 v113, v113, v115
	;; [unrolled: 1-line block ×3, first 2 shown]
	s_waitcnt vmcnt(1)
	v_sub_f32_e32 v113, v173, v113
	s_waitcnt vmcnt(0)
	v_sub_f32_e32 v114, v174, v114
	buffer_store_dword v113, off, s[0:3], 0 offset:312
	buffer_store_dword v114, off, s[0:3], 0 offset:316
	s_and_saveexec_b64 s[4:5], vcc
	s_cbranch_execz .LBB118_267
; %bb.266:
	buffer_load_dword v113, off, s[0:3], 0 offset:304
	buffer_load_dword v114, off, s[0:3], 0 offset:308
	s_waitcnt vmcnt(0)
	ds_write_b64 v111, v[113:114]
	buffer_store_dword v112, off, s[0:3], 0 offset:304
	buffer_store_dword v112, off, s[0:3], 0 offset:308
.LBB118_267:
	s_or_b64 exec, exec, s[4:5]
	s_waitcnt lgkmcnt(0)
	; wave barrier
	buffer_load_dword v145, off, s[0:3], 0 offset:316
	buffer_load_dword v146, off, s[0:3], 0 offset:324
	;; [unrolled: 1-line block ×34, first 2 shown]
	ds_read2_b64 v[113:116], v112 offset0:95 offset1:96
	ds_read2_b64 v[117:120], v112 offset0:97 offset1:98
	;; [unrolled: 1-line block ×8, first 2 shown]
	v_cmp_lt_u32_e32 vcc, 37, v0
	s_waitcnt vmcnt(33) lgkmcnt(7)
	v_mul_f32_e32 v112, v113, v145
	v_mul_f32_e32 v145, v114, v145
	s_waitcnt vmcnt(32)
	v_mul_f32_e32 v179, v115, v146
	v_mul_f32_e32 v146, v116, v146
	s_waitcnt vmcnt(31) lgkmcnt(6)
	v_mul_f32_e32 v180, v117, v147
	s_waitcnt vmcnt(30)
	v_mul_f32_e32 v181, v119, v148
	s_waitcnt vmcnt(29) lgkmcnt(5)
	v_mul_f32_e32 v182, v121, v149
	s_waitcnt vmcnt(28)
	;; [unrolled: 4-line block ×6, first 2 shown]
	v_mul_f32_e32 v191, v139, v158
	s_waitcnt vmcnt(17)
	v_fma_f32 v113, v113, v161, -v145
	v_fmac_f32_e32 v112, v114, v161
	s_waitcnt vmcnt(16)
	v_fma_f32 v114, v115, v162, -v146
	v_add_f32_e32 v113, 0, v113
	v_add_f32_e32 v113, v113, v114
	v_mul_f32_e32 v114, v118, v147
	s_waitcnt vmcnt(15)
	v_fma_f32 v114, v117, v163, -v114
	v_add_f32_e32 v113, v113, v114
	v_mul_f32_e32 v114, v120, v148
	s_waitcnt vmcnt(14)
	v_fma_f32 v114, v119, v164, -v114
	;; [unrolled: 4-line block ×7, first 2 shown]
	v_fmac_f32_e32 v179, v116, v162
	v_add_f32_e32 v112, 0, v112
	v_add_f32_e32 v113, v113, v114
	v_mul_f32_e32 v114, v132, v154
	v_fmac_f32_e32 v180, v118, v163
	v_add_f32_e32 v112, v112, v179
	s_waitcnt vmcnt(8)
	v_fma_f32 v114, v131, v170, -v114
	v_fmac_f32_e32 v181, v120, v164
	v_add_f32_e32 v112, v112, v180
	v_add_f32_e32 v113, v113, v114
	v_mul_f32_e32 v114, v134, v155
	v_fmac_f32_e32 v182, v122, v165
	v_add_f32_e32 v112, v112, v181
	s_waitcnt vmcnt(7)
	v_fma_f32 v114, v133, v171, -v114
	;; [unrolled: 8-line block ×5, first 2 shown]
	v_fmac_f32_e32 v189, v136, v172
	v_add_f32_e32 v112, v112, v188
	v_add_f32_e32 v113, v113, v114
	s_waitcnt lgkmcnt(0)
	v_mul_f32_e32 v114, v142, v159
	v_fmac_f32_e32 v190, v138, v173
	v_add_f32_e32 v112, v112, v189
	s_waitcnt vmcnt(3)
	v_fma_f32 v114, v141, v175, -v114
	v_mul_f32_e32 v192, v141, v159
	v_fmac_f32_e32 v191, v140, v174
	v_add_f32_e32 v112, v112, v190
	v_add_f32_e32 v113, v113, v114
	v_mul_f32_e32 v114, v144, v160
	v_mul_f32_e32 v193, v143, v160
	v_fmac_f32_e32 v192, v142, v175
	v_add_f32_e32 v112, v112, v191
	s_waitcnt vmcnt(2)
	v_fma_f32 v114, v143, v176, -v114
	v_fmac_f32_e32 v193, v144, v176
	v_add_f32_e32 v112, v112, v192
	v_add_f32_e32 v113, v113, v114
	;; [unrolled: 1-line block ×3, first 2 shown]
	s_waitcnt vmcnt(1)
	v_sub_f32_e32 v113, v177, v113
	s_waitcnt vmcnt(0)
	v_sub_f32_e32 v112, v178, v112
	buffer_store_dword v113, off, s[0:3], 0 offset:304
	buffer_store_dword v112, off, s[0:3], 0 offset:308
	s_and_saveexec_b64 s[4:5], vcc
	s_cbranch_execz .LBB118_269
; %bb.268:
	buffer_load_dword v112, off, s[0:3], 0 offset:296
	buffer_load_dword v113, off, s[0:3], 0 offset:300
	v_mov_b32_e32 v114, 0
	buffer_store_dword v114, off, s[0:3], 0 offset:296
	buffer_store_dword v114, off, s[0:3], 0 offset:300
	s_waitcnt vmcnt(2)
	ds_write_b64 v111, v[112:113]
.LBB118_269:
	s_or_b64 exec, exec, s[4:5]
	s_waitcnt lgkmcnt(0)
	; wave barrier
	buffer_load_dword v147, off, s[0:3], 0 offset:308
	buffer_load_dword v148, off, s[0:3], 0 offset:316
	;; [unrolled: 1-line block ×36, first 2 shown]
	v_mov_b32_e32 v112, 0
	ds_read_b128 v[113:116], v112 offset:752
	ds_read_b128 v[117:120], v112 offset:768
	;; [unrolled: 1-line block ×8, first 2 shown]
	ds_read_b64 v[145:146], v112 offset:880
	v_cmp_lt_u32_e32 vcc, 36, v0
	s_waitcnt vmcnt(35) lgkmcnt(8)
	v_mul_f32_e32 v183, v113, v147
	s_waitcnt vmcnt(34)
	v_mul_f32_e32 v184, v115, v148
	s_waitcnt vmcnt(33) lgkmcnt(7)
	v_mul_f32_e32 v185, v117, v149
	s_waitcnt vmcnt(32)
	v_mul_f32_e32 v186, v119, v150
	;; [unrolled: 4-line block ×8, first 2 shown]
	s_waitcnt vmcnt(19) lgkmcnt(0)
	v_mul_f32_e32 v199, v145, v163
	s_waitcnt vmcnt(18)
	v_fmac_f32_e32 v183, v114, v164
	v_mul_f32_e32 v114, v114, v147
	v_fma_f32 v113, v113, v164, -v114
	v_mul_f32_e32 v114, v116, v148
	v_add_f32_e32 v113, 0, v113
	s_waitcnt vmcnt(17)
	v_fma_f32 v114, v115, v165, -v114
	v_add_f32_e32 v113, v113, v114
	v_mul_f32_e32 v114, v118, v149
	s_waitcnt vmcnt(16)
	v_fma_f32 v114, v117, v166, -v114
	v_add_f32_e32 v113, v113, v114
	v_mul_f32_e32 v114, v120, v150
	;; [unrolled: 4-line block ×8, first 2 shown]
	v_fmac_f32_e32 v184, v116, v165
	v_add_f32_e32 v183, 0, v183
	s_waitcnt vmcnt(9)
	v_fma_f32 v114, v131, v173, -v114
	v_fmac_f32_e32 v185, v118, v166
	v_add_f32_e32 v183, v183, v184
	v_add_f32_e32 v113, v113, v114
	v_mul_f32_e32 v114, v134, v157
	v_fmac_f32_e32 v186, v120, v167
	v_add_f32_e32 v183, v183, v185
	s_waitcnt vmcnt(8)
	v_fma_f32 v114, v133, v174, -v114
	v_fmac_f32_e32 v187, v122, v168
	v_add_f32_e32 v183, v183, v186
	v_add_f32_e32 v113, v113, v114
	v_mul_f32_e32 v114, v136, v158
	v_fmac_f32_e32 v188, v124, v169
	v_add_f32_e32 v183, v183, v187
	s_waitcnt vmcnt(7)
	v_fma_f32 v114, v135, v175, -v114
	v_fmac_f32_e32 v189, v126, v170
	v_add_f32_e32 v183, v183, v188
	v_add_f32_e32 v113, v113, v114
	v_mul_f32_e32 v114, v138, v159
	v_fmac_f32_e32 v190, v128, v171
	v_add_f32_e32 v183, v183, v189
	s_waitcnt vmcnt(6)
	v_fma_f32 v114, v137, v176, -v114
	v_fmac_f32_e32 v191, v130, v172
	v_add_f32_e32 v183, v183, v190
	v_add_f32_e32 v113, v113, v114
	v_mul_f32_e32 v114, v140, v160
	v_fmac_f32_e32 v192, v132, v173
	v_add_f32_e32 v183, v183, v191
	s_waitcnt vmcnt(5)
	v_fma_f32 v114, v139, v177, -v114
	v_fmac_f32_e32 v193, v134, v174
	v_add_f32_e32 v183, v183, v192
	v_add_f32_e32 v113, v113, v114
	v_mul_f32_e32 v114, v142, v161
	v_fmac_f32_e32 v194, v136, v175
	v_add_f32_e32 v183, v183, v193
	s_waitcnt vmcnt(4)
	v_fma_f32 v114, v141, v178, -v114
	v_fmac_f32_e32 v195, v138, v176
	v_add_f32_e32 v183, v183, v194
	v_add_f32_e32 v113, v113, v114
	v_mul_f32_e32 v114, v144, v162
	v_fmac_f32_e32 v196, v140, v177
	v_add_f32_e32 v183, v183, v195
	s_waitcnt vmcnt(3)
	v_fma_f32 v114, v143, v179, -v114
	v_fmac_f32_e32 v197, v142, v178
	v_add_f32_e32 v183, v183, v196
	v_add_f32_e32 v113, v113, v114
	v_mul_f32_e32 v114, v146, v163
	v_fmac_f32_e32 v198, v144, v179
	v_add_f32_e32 v183, v183, v197
	s_waitcnt vmcnt(2)
	v_fma_f32 v114, v145, v180, -v114
	v_fmac_f32_e32 v199, v146, v180
	v_add_f32_e32 v183, v183, v198
	v_add_f32_e32 v113, v113, v114
	v_add_f32_e32 v183, v183, v199
	s_waitcnt vmcnt(1)
	v_sub_f32_e32 v113, v181, v113
	s_waitcnt vmcnt(0)
	v_sub_f32_e32 v114, v182, v183
	buffer_store_dword v113, off, s[0:3], 0 offset:296
	buffer_store_dword v114, off, s[0:3], 0 offset:300
	s_and_saveexec_b64 s[4:5], vcc
	s_cbranch_execz .LBB118_271
; %bb.270:
	buffer_load_dword v113, off, s[0:3], 0 offset:288
	buffer_load_dword v114, off, s[0:3], 0 offset:292
	s_waitcnt vmcnt(0)
	ds_write_b64 v111, v[113:114]
	buffer_store_dword v112, off, s[0:3], 0 offset:288
	buffer_store_dword v112, off, s[0:3], 0 offset:292
.LBB118_271:
	s_or_b64 exec, exec, s[4:5]
	s_waitcnt lgkmcnt(0)
	; wave barrier
	buffer_load_dword v149, off, s[0:3], 0 offset:300
	buffer_load_dword v150, off, s[0:3], 0 offset:308
	;; [unrolled: 1-line block ×38, first 2 shown]
	ds_read2_b64 v[113:116], v112 offset0:93 offset1:94
	ds_read2_b64 v[117:120], v112 offset0:95 offset1:96
	;; [unrolled: 1-line block ×9, first 2 shown]
	v_cmp_lt_u32_e32 vcc, 35, v0
	s_waitcnt vmcnt(37) lgkmcnt(8)
	v_mul_f32_e32 v112, v113, v149
	s_waitcnt vmcnt(36)
	v_mul_f32_e32 v187, v115, v150
	s_waitcnt vmcnt(35) lgkmcnt(7)
	v_mul_f32_e32 v188, v117, v151
	s_waitcnt vmcnt(34)
	v_mul_f32_e32 v189, v119, v152
	;; [unrolled: 4-line block ×8, first 2 shown]
	s_waitcnt vmcnt(21) lgkmcnt(0)
	v_mul_f32_e32 v202, v145, v165
	s_waitcnt vmcnt(20)
	v_fmac_f32_e32 v112, v114, v166
	v_mul_f32_e32 v114, v114, v149
	v_fma_f32 v113, v113, v166, -v114
	v_mul_f32_e32 v114, v116, v150
	v_add_f32_e32 v113, 0, v113
	s_waitcnt vmcnt(19)
	v_fma_f32 v114, v115, v167, -v114
	v_add_f32_e32 v113, v113, v114
	v_mul_f32_e32 v114, v118, v151
	s_waitcnt vmcnt(18)
	v_fma_f32 v114, v117, v168, -v114
	v_add_f32_e32 v113, v113, v114
	v_mul_f32_e32 v114, v120, v152
	;; [unrolled: 4-line block ×8, first 2 shown]
	s_waitcnt vmcnt(11)
	v_fma_f32 v114, v131, v175, -v114
	v_fmac_f32_e32 v187, v116, v167
	v_add_f32_e32 v112, 0, v112
	v_add_f32_e32 v113, v113, v114
	v_mul_f32_e32 v114, v134, v159
	v_fmac_f32_e32 v188, v118, v168
	v_add_f32_e32 v112, v112, v187
	s_waitcnt vmcnt(10)
	v_fma_f32 v114, v133, v176, -v114
	v_fmac_f32_e32 v189, v120, v169
	v_add_f32_e32 v112, v112, v188
	v_add_f32_e32 v113, v113, v114
	v_mul_f32_e32 v114, v136, v160
	v_fmac_f32_e32 v190, v122, v170
	v_add_f32_e32 v112, v112, v189
	;; [unrolled: 8-line block ×7, first 2 shown]
	s_waitcnt vmcnt(4)
	v_fma_f32 v114, v145, v182, -v114
	v_fmac_f32_e32 v201, v144, v181
	v_add_f32_e32 v112, v112, v200
	v_add_f32_e32 v113, v113, v114
	s_waitcnt vmcnt(3)
	v_mul_f32_e32 v114, v148, v183
	v_add_f32_e32 v112, v112, v201
	v_fmac_f32_e32 v202, v146, v182
	v_mul_f32_e32 v187, v147, v183
	s_waitcnt vmcnt(2)
	v_fma_f32 v114, v147, v184, -v114
	v_add_f32_e32 v112, v112, v202
	v_fmac_f32_e32 v187, v148, v184
	v_add_f32_e32 v113, v113, v114
	v_add_f32_e32 v112, v112, v187
	s_waitcnt vmcnt(1)
	v_sub_f32_e32 v113, v185, v113
	s_waitcnt vmcnt(0)
	v_sub_f32_e32 v112, v186, v112
	buffer_store_dword v113, off, s[0:3], 0 offset:288
	buffer_store_dword v112, off, s[0:3], 0 offset:292
	s_and_saveexec_b64 s[4:5], vcc
	s_cbranch_execz .LBB118_273
; %bb.272:
	buffer_load_dword v112, off, s[0:3], 0 offset:280
	buffer_load_dword v113, off, s[0:3], 0 offset:284
	v_mov_b32_e32 v114, 0
	buffer_store_dword v114, off, s[0:3], 0 offset:280
	buffer_store_dword v114, off, s[0:3], 0 offset:284
	s_waitcnt vmcnt(2)
	ds_write_b64 v111, v[112:113]
.LBB118_273:
	s_or_b64 exec, exec, s[4:5]
	s_waitcnt lgkmcnt(0)
	; wave barrier
	buffer_load_dword v151, off, s[0:3], 0 offset:292
	buffer_load_dword v152, off, s[0:3], 0 offset:300
	;; [unrolled: 1-line block ×40, first 2 shown]
	v_mov_b32_e32 v112, 0
	ds_read_b128 v[113:116], v112 offset:736
	ds_read_b128 v[117:120], v112 offset:752
	;; [unrolled: 1-line block ×9, first 2 shown]
	v_cmp_lt_u32_e32 vcc, 34, v0
	s_waitcnt vmcnt(39) lgkmcnt(8)
	v_mul_f32_e32 v149, v113, v151
	s_waitcnt vmcnt(38)
	v_mul_f32_e32 v150, v115, v152
	s_waitcnt vmcnt(37) lgkmcnt(7)
	v_mul_f32_e32 v191, v117, v153
	s_waitcnt vmcnt(36)
	v_mul_f32_e32 v192, v119, v154
	;; [unrolled: 4-line block ×7, first 2 shown]
	s_waitcnt vmcnt(25) lgkmcnt(1)
	v_mul_f32_e32 v203, v141, v165
	s_waitcnt vmcnt(24)
	v_fmac_f32_e32 v149, v114, v166
	v_mul_f32_e32 v114, v114, v151
	v_fma_f32 v113, v113, v166, -v114
	v_mul_f32_e32 v114, v116, v152
	v_add_f32_e32 v113, 0, v113
	s_waitcnt vmcnt(23)
	v_fma_f32 v114, v115, v167, -v114
	v_add_f32_e32 v113, v113, v114
	v_mul_f32_e32 v114, v118, v153
	s_waitcnt vmcnt(22)
	v_fma_f32 v114, v117, v168, -v114
	v_add_f32_e32 v113, v113, v114
	v_mul_f32_e32 v114, v120, v154
	;; [unrolled: 4-line block ×6, first 2 shown]
	s_waitcnt vmcnt(17)
	v_fma_f32 v114, v127, v173, -v114
	v_fmac_f32_e32 v150, v116, v167
	v_add_f32_e32 v149, 0, v149
	v_add_f32_e32 v113, v113, v114
	v_mul_f32_e32 v114, v130, v159
	v_fmac_f32_e32 v191, v118, v168
	v_add_f32_e32 v149, v149, v150
	s_waitcnt vmcnt(16)
	v_fma_f32 v114, v129, v174, -v114
	v_fmac_f32_e32 v192, v120, v169
	v_add_f32_e32 v149, v149, v191
	v_add_f32_e32 v113, v113, v114
	v_mul_f32_e32 v114, v132, v160
	v_fmac_f32_e32 v193, v122, v170
	v_add_f32_e32 v149, v149, v192
	;; [unrolled: 8-line block ×6, first 2 shown]
	s_waitcnt vmcnt(11)
	v_fma_f32 v114, v139, v179, -v114
	v_fmac_f32_e32 v202, v140, v179
	v_add_f32_e32 v149, v149, v201
	v_add_f32_e32 v113, v113, v114
	v_mul_f32_e32 v114, v142, v165
	s_waitcnt vmcnt(10)
	v_fmac_f32_e32 v203, v142, v180
	v_add_f32_e32 v149, v149, v202
	s_waitcnt vmcnt(9)
	v_mul_f32_e32 v150, v143, v181
	v_fma_f32 v114, v141, v180, -v114
	v_add_f32_e32 v149, v149, v203
	s_waitcnt vmcnt(8)
	v_fmac_f32_e32 v150, v144, v182
	v_add_f32_e32 v113, v113, v114
	v_mul_f32_e32 v114, v144, v181
	v_add_f32_e32 v191, v149, v150
	ds_read_b64 v[149:150], v112 offset:880
	v_fma_f32 v114, v143, v182, -v114
	v_add_f32_e32 v113, v113, v114
	s_waitcnt vmcnt(7) lgkmcnt(1)
	v_mul_f32_e32 v114, v146, v183
	v_mul_f32_e32 v192, v145, v183
	s_waitcnt vmcnt(6)
	v_fma_f32 v114, v145, v184, -v114
	v_fmac_f32_e32 v192, v146, v184
	v_add_f32_e32 v113, v113, v114
	s_waitcnt vmcnt(5)
	v_mul_f32_e32 v114, v148, v185
	v_add_f32_e32 v191, v191, v192
	v_mul_f32_e32 v192, v147, v185
	s_waitcnt vmcnt(4)
	v_fma_f32 v114, v147, v186, -v114
	v_fmac_f32_e32 v192, v148, v186
	v_add_f32_e32 v113, v113, v114
	s_waitcnt vmcnt(3) lgkmcnt(0)
	v_mul_f32_e32 v114, v150, v187
	v_add_f32_e32 v191, v191, v192
	v_mul_f32_e32 v192, v149, v187
	s_waitcnt vmcnt(2)
	v_fma_f32 v114, v149, v188, -v114
	v_fmac_f32_e32 v192, v150, v188
	v_add_f32_e32 v113, v113, v114
	v_add_f32_e32 v191, v191, v192
	s_waitcnt vmcnt(1)
	v_sub_f32_e32 v113, v189, v113
	s_waitcnt vmcnt(0)
	v_sub_f32_e32 v114, v190, v191
	buffer_store_dword v113, off, s[0:3], 0 offset:280
	buffer_store_dword v114, off, s[0:3], 0 offset:284
	s_and_saveexec_b64 s[4:5], vcc
	s_cbranch_execz .LBB118_275
; %bb.274:
	buffer_load_dword v113, off, s[0:3], 0 offset:272
	buffer_load_dword v114, off, s[0:3], 0 offset:276
	s_waitcnt vmcnt(0)
	ds_write_b64 v111, v[113:114]
	buffer_store_dword v112, off, s[0:3], 0 offset:272
	buffer_store_dword v112, off, s[0:3], 0 offset:276
.LBB118_275:
	s_or_b64 exec, exec, s[4:5]
	s_waitcnt lgkmcnt(0)
	; wave barrier
	buffer_load_dword v153, off, s[0:3], 0 offset:284
	buffer_load_dword v154, off, s[0:3], 0 offset:292
	;; [unrolled: 1-line block ×42, first 2 shown]
	ds_read2_b64 v[113:116], v112 offset0:91 offset1:92
	ds_read2_b64 v[117:120], v112 offset0:93 offset1:94
	;; [unrolled: 1-line block ×8, first 2 shown]
	v_cmp_lt_u32_e32 vcc, 33, v0
	s_waitcnt vmcnt(41) lgkmcnt(7)
	v_mul_f32_e32 v145, v113, v153
	s_waitcnt vmcnt(40)
	v_mul_f32_e32 v146, v115, v154
	s_waitcnt vmcnt(39) lgkmcnt(6)
	v_mul_f32_e32 v147, v117, v155
	s_waitcnt vmcnt(38)
	v_mul_f32_e32 v148, v119, v156
	;; [unrolled: 4-line block ×7, first 2 shown]
	s_waitcnt vmcnt(27) lgkmcnt(0)
	v_mul_f32_e32 v201, v141, v167
	s_waitcnt vmcnt(26)
	v_fmac_f32_e32 v145, v114, v168
	v_mul_f32_e32 v114, v114, v153
	v_fma_f32 v113, v113, v168, -v114
	v_mul_f32_e32 v114, v116, v154
	v_add_f32_e32 v113, 0, v113
	s_waitcnt vmcnt(25)
	v_fma_f32 v114, v115, v169, -v114
	v_add_f32_e32 v113, v113, v114
	v_mul_f32_e32 v114, v118, v155
	s_waitcnt vmcnt(24)
	v_fma_f32 v114, v117, v170, -v114
	v_add_f32_e32 v113, v113, v114
	v_mul_f32_e32 v114, v120, v156
	;; [unrolled: 4-line block ×5, first 2 shown]
	v_fmac_f32_e32 v146, v116, v169
	v_add_f32_e32 v145, 0, v145
	s_waitcnt vmcnt(20)
	v_fma_f32 v114, v125, v174, -v114
	v_fmac_f32_e32 v147, v118, v170
	v_add_f32_e32 v145, v145, v146
	v_add_f32_e32 v113, v113, v114
	v_mul_f32_e32 v114, v128, v160
	v_fmac_f32_e32 v148, v120, v171
	v_add_f32_e32 v145, v145, v147
	s_waitcnt vmcnt(19)
	v_fma_f32 v114, v127, v175, -v114
	v_fmac_f32_e32 v149, v122, v172
	v_add_f32_e32 v145, v145, v148
	v_add_f32_e32 v113, v113, v114
	v_mul_f32_e32 v114, v130, v161
	v_fmac_f32_e32 v150, v124, v173
	v_add_f32_e32 v145, v145, v149
	s_waitcnt vmcnt(18)
	v_fma_f32 v114, v129, v176, -v114
	v_fmac_f32_e32 v151, v126, v174
	v_add_f32_e32 v145, v145, v150
	v_add_f32_e32 v113, v113, v114
	v_mul_f32_e32 v114, v132, v162
	v_fmac_f32_e32 v152, v128, v175
	v_add_f32_e32 v145, v145, v151
	s_waitcnt vmcnt(17)
	v_fma_f32 v114, v131, v177, -v114
	v_fmac_f32_e32 v195, v130, v176
	v_add_f32_e32 v145, v145, v152
	v_add_f32_e32 v113, v113, v114
	v_mul_f32_e32 v114, v134, v163
	v_fmac_f32_e32 v196, v132, v177
	v_add_f32_e32 v145, v145, v195
	s_waitcnt vmcnt(16)
	v_fma_f32 v114, v133, v178, -v114
	v_fmac_f32_e32 v197, v134, v178
	v_add_f32_e32 v145, v145, v196
	v_add_f32_e32 v113, v113, v114
	v_mul_f32_e32 v114, v136, v164
	s_waitcnt vmcnt(15)
	v_fmac_f32_e32 v198, v136, v179
	v_add_f32_e32 v145, v145, v197
	v_fma_f32 v114, v135, v179, -v114
	s_waitcnt vmcnt(14)
	v_fmac_f32_e32 v199, v138, v180
	v_add_f32_e32 v145, v145, v198
	v_add_f32_e32 v113, v113, v114
	v_mul_f32_e32 v114, v138, v165
	s_waitcnt vmcnt(13)
	v_fmac_f32_e32 v200, v140, v181
	v_add_f32_e32 v145, v145, v199
	v_fma_f32 v114, v137, v180, -v114
	s_waitcnt vmcnt(12)
	v_fmac_f32_e32 v201, v142, v182
	v_add_f32_e32 v145, v145, v200
	v_add_f32_e32 v113, v113, v114
	v_mul_f32_e32 v114, v140, v166
	v_add_f32_e32 v149, v145, v201
	ds_read2_b64 v[145:148], v112 offset0:107 offset1:108
	v_fma_f32 v114, v139, v181, -v114
	v_add_f32_e32 v113, v113, v114
	v_mul_f32_e32 v114, v142, v167
	s_waitcnt vmcnt(11)
	v_mul_f32_e32 v150, v143, v183
	v_fma_f32 v114, v141, v182, -v114
	s_waitcnt vmcnt(10)
	v_fmac_f32_e32 v150, v144, v184
	v_add_f32_e32 v113, v113, v114
	v_mul_f32_e32 v114, v144, v183
	v_add_f32_e32 v195, v149, v150
	ds_read2_b64 v[149:152], v112 offset0:109 offset1:110
	v_fma_f32 v114, v143, v184, -v114
	v_add_f32_e32 v113, v113, v114
	s_waitcnt vmcnt(9) lgkmcnt(1)
	v_mul_f32_e32 v114, v146, v185
	v_mul_f32_e32 v112, v145, v185
	s_waitcnt vmcnt(8)
	v_fma_f32 v114, v145, v186, -v114
	v_fmac_f32_e32 v112, v146, v186
	v_add_f32_e32 v113, v113, v114
	s_waitcnt vmcnt(7)
	v_mul_f32_e32 v114, v148, v187
	v_add_f32_e32 v112, v195, v112
	v_mul_f32_e32 v195, v147, v187
	s_waitcnt vmcnt(6)
	v_fma_f32 v114, v147, v188, -v114
	v_fmac_f32_e32 v195, v148, v188
	v_add_f32_e32 v113, v113, v114
	s_waitcnt vmcnt(5) lgkmcnt(0)
	v_mul_f32_e32 v114, v150, v189
	v_add_f32_e32 v112, v112, v195
	v_mul_f32_e32 v195, v149, v189
	s_waitcnt vmcnt(4)
	v_fma_f32 v114, v149, v190, -v114
	v_fmac_f32_e32 v195, v150, v190
	v_add_f32_e32 v113, v113, v114
	s_waitcnt vmcnt(3)
	v_mul_f32_e32 v114, v152, v191
	v_add_f32_e32 v112, v112, v195
	v_mul_f32_e32 v195, v151, v191
	s_waitcnt vmcnt(2)
	v_fma_f32 v114, v151, v192, -v114
	v_fmac_f32_e32 v195, v152, v192
	v_add_f32_e32 v113, v113, v114
	v_add_f32_e32 v112, v112, v195
	s_waitcnt vmcnt(1)
	v_sub_f32_e32 v113, v193, v113
	s_waitcnt vmcnt(0)
	v_sub_f32_e32 v112, v194, v112
	buffer_store_dword v113, off, s[0:3], 0 offset:272
	buffer_store_dword v112, off, s[0:3], 0 offset:276
	s_and_saveexec_b64 s[4:5], vcc
	s_cbranch_execz .LBB118_277
; %bb.276:
	buffer_load_dword v112, off, s[0:3], 0 offset:264
	buffer_load_dword v113, off, s[0:3], 0 offset:268
	v_mov_b32_e32 v114, 0
	buffer_store_dword v114, off, s[0:3], 0 offset:264
	buffer_store_dword v114, off, s[0:3], 0 offset:268
	s_waitcnt vmcnt(2)
	ds_write_b64 v111, v[112:113]
.LBB118_277:
	s_or_b64 exec, exec, s[4:5]
	s_waitcnt lgkmcnt(0)
	; wave barrier
	buffer_load_dword v155, off, s[0:3], 0 offset:276
	buffer_load_dword v156, off, s[0:3], 0 offset:284
	;; [unrolled: 1-line block ×44, first 2 shown]
	v_mov_b32_e32 v112, 0
	ds_read_b128 v[113:116], v112 offset:720
	ds_read_b128 v[117:120], v112 offset:736
	;; [unrolled: 1-line block ×8, first 2 shown]
	v_cmp_lt_u32_e32 vcc, 32, v0
	s_waitcnt vmcnt(43) lgkmcnt(7)
	v_mul_f32_e32 v145, v113, v155
	s_waitcnt vmcnt(42)
	v_mul_f32_e32 v146, v115, v156
	s_waitcnt vmcnt(41) lgkmcnt(6)
	v_mul_f32_e32 v147, v117, v157
	s_waitcnt vmcnt(40)
	v_mul_f32_e32 v148, v119, v158
	s_waitcnt vmcnt(39) lgkmcnt(5)
	v_mul_f32_e32 v149, v121, v159
	s_waitcnt vmcnt(38)
	v_mul_f32_e32 v150, v123, v160
	s_waitcnt vmcnt(37) lgkmcnt(4)
	v_mul_f32_e32 v151, v125, v161
	s_waitcnt vmcnt(36)
	v_mul_f32_e32 v152, v127, v162
	s_waitcnt vmcnt(35) lgkmcnt(3)
	v_mul_f32_e32 v153, v129, v163
	s_waitcnt vmcnt(34)
	v_mul_f32_e32 v154, v131, v164
	s_waitcnt vmcnt(33) lgkmcnt(2)
	v_mul_f32_e32 v199, v133, v165
	s_waitcnt vmcnt(32)
	v_mul_f32_e32 v200, v135, v166
	s_waitcnt vmcnt(31) lgkmcnt(1)
	v_mul_f32_e32 v201, v137, v167
	s_waitcnt vmcnt(30)
	v_mul_f32_e32 v202, v139, v168
	s_waitcnt vmcnt(29)
	v_fmac_f32_e32 v145, v114, v169
	v_mul_f32_e32 v114, v114, v155
	v_fma_f32 v113, v113, v169, -v114
	v_mul_f32_e32 v114, v116, v156
	v_add_f32_e32 v113, 0, v113
	s_waitcnt vmcnt(28)
	v_fma_f32 v114, v115, v170, -v114
	v_add_f32_e32 v113, v113, v114
	v_mul_f32_e32 v114, v118, v157
	s_waitcnt vmcnt(27)
	v_fma_f32 v114, v117, v171, -v114
	v_add_f32_e32 v113, v113, v114
	v_mul_f32_e32 v114, v120, v158
	;; [unrolled: 4-line block ×4, first 2 shown]
	s_waitcnt vmcnt(24)
	v_fma_f32 v114, v123, v174, -v114
	v_fmac_f32_e32 v146, v116, v170
	v_add_f32_e32 v145, 0, v145
	v_add_f32_e32 v113, v113, v114
	v_mul_f32_e32 v114, v126, v161
	v_fmac_f32_e32 v147, v118, v171
	v_add_f32_e32 v145, v145, v146
	s_waitcnt vmcnt(23)
	v_fma_f32 v114, v125, v175, -v114
	v_fmac_f32_e32 v148, v120, v172
	v_add_f32_e32 v145, v145, v147
	v_add_f32_e32 v113, v113, v114
	v_mul_f32_e32 v114, v128, v162
	v_fmac_f32_e32 v149, v122, v173
	v_add_f32_e32 v145, v145, v148
	;; [unrolled: 8-line block ×4, first 2 shown]
	s_waitcnt vmcnt(20)
	v_fma_f32 v114, v131, v178, -v114
	v_fmac_f32_e32 v154, v132, v178
	v_add_f32_e32 v145, v145, v153
	v_add_f32_e32 v113, v113, v114
	v_mul_f32_e32 v114, v134, v165
	s_waitcnt vmcnt(19)
	v_fmac_f32_e32 v199, v134, v179
	v_add_f32_e32 v145, v145, v154
	v_fma_f32 v114, v133, v179, -v114
	s_waitcnt vmcnt(18)
	v_fmac_f32_e32 v200, v136, v180
	v_add_f32_e32 v145, v145, v199
	v_add_f32_e32 v113, v113, v114
	v_mul_f32_e32 v114, v136, v166
	s_waitcnt vmcnt(17)
	v_fmac_f32_e32 v201, v138, v181
	v_add_f32_e32 v145, v145, v200
	v_fma_f32 v114, v135, v180, -v114
	v_add_f32_e32 v145, v145, v201
	s_waitcnt vmcnt(16)
	v_fmac_f32_e32 v202, v140, v182
	s_waitcnt vmcnt(15) lgkmcnt(0)
	v_mul_f32_e32 v146, v141, v183
	v_add_f32_e32 v113, v113, v114
	v_mul_f32_e32 v114, v138, v167
	v_add_f32_e32 v145, v145, v202
	s_waitcnt vmcnt(14)
	v_fmac_f32_e32 v146, v142, v184
	v_fma_f32 v114, v137, v181, -v114
	v_add_f32_e32 v149, v145, v146
	ds_read_b128 v[145:148], v112 offset:848
	v_add_f32_e32 v113, v113, v114
	v_mul_f32_e32 v114, v140, v168
	v_fma_f32 v114, v139, v182, -v114
	v_add_f32_e32 v113, v113, v114
	v_mul_f32_e32 v114, v142, v183
	s_waitcnt vmcnt(13)
	v_mul_f32_e32 v150, v143, v185
	v_fma_f32 v114, v141, v184, -v114
	s_waitcnt vmcnt(12)
	v_fmac_f32_e32 v150, v144, v186
	v_add_f32_e32 v113, v113, v114
	v_mul_f32_e32 v114, v144, v185
	v_add_f32_e32 v153, v149, v150
	ds_read_b128 v[149:152], v112 offset:864
	s_waitcnt vmcnt(11) lgkmcnt(1)
	v_mul_f32_e32 v154, v145, v187
	v_fma_f32 v114, v143, v186, -v114
	s_waitcnt vmcnt(10)
	v_fmac_f32_e32 v154, v146, v188
	v_add_f32_e32 v113, v113, v114
	v_mul_f32_e32 v114, v146, v187
	v_add_f32_e32 v153, v153, v154
	s_waitcnt vmcnt(9)
	v_mul_f32_e32 v154, v147, v189
	v_fma_f32 v114, v145, v188, -v114
	s_waitcnt vmcnt(8)
	v_fmac_f32_e32 v154, v148, v190
	v_add_f32_e32 v113, v113, v114
	v_mul_f32_e32 v114, v148, v189
	v_add_f32_e32 v199, v153, v154
	ds_read_b64 v[153:154], v112 offset:880
	v_fma_f32 v114, v147, v190, -v114
	v_add_f32_e32 v113, v113, v114
	s_waitcnt vmcnt(7) lgkmcnt(1)
	v_mul_f32_e32 v114, v150, v191
	v_mul_f32_e32 v200, v149, v191
	s_waitcnt vmcnt(6)
	v_fma_f32 v114, v149, v192, -v114
	v_fmac_f32_e32 v200, v150, v192
	v_add_f32_e32 v113, v113, v114
	s_waitcnt vmcnt(5)
	v_mul_f32_e32 v114, v152, v193
	v_add_f32_e32 v199, v199, v200
	v_mul_f32_e32 v200, v151, v193
	s_waitcnt vmcnt(4)
	v_fma_f32 v114, v151, v194, -v114
	v_fmac_f32_e32 v200, v152, v194
	v_add_f32_e32 v113, v113, v114
	s_waitcnt vmcnt(3) lgkmcnt(0)
	v_mul_f32_e32 v114, v154, v195
	v_add_f32_e32 v199, v199, v200
	v_mul_f32_e32 v200, v153, v195
	s_waitcnt vmcnt(2)
	v_fma_f32 v114, v153, v196, -v114
	v_fmac_f32_e32 v200, v154, v196
	v_add_f32_e32 v113, v113, v114
	v_add_f32_e32 v199, v199, v200
	s_waitcnt vmcnt(1)
	v_sub_f32_e32 v113, v197, v113
	s_waitcnt vmcnt(0)
	v_sub_f32_e32 v114, v198, v199
	buffer_store_dword v113, off, s[0:3], 0 offset:264
	buffer_store_dword v114, off, s[0:3], 0 offset:268
	s_and_saveexec_b64 s[4:5], vcc
	s_cbranch_execz .LBB118_279
; %bb.278:
	buffer_load_dword v113, off, s[0:3], 0 offset:256
	buffer_load_dword v114, off, s[0:3], 0 offset:260
	s_waitcnt vmcnt(0)
	ds_write_b64 v111, v[113:114]
	buffer_store_dword v112, off, s[0:3], 0 offset:256
	buffer_store_dword v112, off, s[0:3], 0 offset:260
.LBB118_279:
	s_or_b64 exec, exec, s[4:5]
	s_waitcnt lgkmcnt(0)
	; wave barrier
	buffer_load_dword v157, off, s[0:3], 0 offset:268
	buffer_load_dword v158, off, s[0:3], 0 offset:276
	buffer_load_dword v159, off, s[0:3], 0 offset:284
	buffer_load_dword v160, off, s[0:3], 0 offset:292
	buffer_load_dword v161, off, s[0:3], 0 offset:300
	buffer_load_dword v162, off, s[0:3], 0 offset:308
	buffer_load_dword v163, off, s[0:3], 0 offset:316
	buffer_load_dword v164, off, s[0:3], 0 offset:324
	buffer_load_dword v165, off, s[0:3], 0 offset:332
	buffer_load_dword v166, off, s[0:3], 0 offset:340
	buffer_load_dword v167, off, s[0:3], 0 offset:348
	buffer_load_dword v168, off, s[0:3], 0 offset:356
	buffer_load_dword v169, off, s[0:3], 0 offset:364
	buffer_load_dword v170, off, s[0:3], 0 offset:264
	buffer_load_dword v171, off, s[0:3], 0 offset:272
	buffer_load_dword v172, off, s[0:3], 0 offset:280
	buffer_load_dword v173, off, s[0:3], 0 offset:288
	buffer_load_dword v174, off, s[0:3], 0 offset:296
	buffer_load_dword v175, off, s[0:3], 0 offset:304
	buffer_load_dword v176, off, s[0:3], 0 offset:312
	buffer_load_dword v177, off, s[0:3], 0 offset:320
	buffer_load_dword v178, off, s[0:3], 0 offset:328
	buffer_load_dword v179, off, s[0:3], 0 offset:336
	buffer_load_dword v180, off, s[0:3], 0 offset:344
	buffer_load_dword v181, off, s[0:3], 0 offset:352
	buffer_load_dword v182, off, s[0:3], 0 offset:360
	buffer_load_dword v183, off, s[0:3], 0 offset:372
	buffer_load_dword v184, off, s[0:3], 0 offset:368
	buffer_load_dword v185, off, s[0:3], 0 offset:380
	buffer_load_dword v186, off, s[0:3], 0 offset:376
	buffer_load_dword v187, off, s[0:3], 0 offset:388
	buffer_load_dword v188, off, s[0:3], 0 offset:384
	buffer_load_dword v189, off, s[0:3], 0 offset:396
	buffer_load_dword v190, off, s[0:3], 0 offset:392
	buffer_load_dword v191, off, s[0:3], 0 offset:404
	buffer_load_dword v192, off, s[0:3], 0 offset:400
	buffer_load_dword v193, off, s[0:3], 0 offset:412
	buffer_load_dword v194, off, s[0:3], 0 offset:408
	buffer_load_dword v195, off, s[0:3], 0 offset:420
	buffer_load_dword v196, off, s[0:3], 0 offset:416
	buffer_load_dword v197, off, s[0:3], 0 offset:428
	buffer_load_dword v198, off, s[0:3], 0 offset:424
	buffer_load_dword v199, off, s[0:3], 0 offset:436
	buffer_load_dword v200, off, s[0:3], 0 offset:432
	buffer_load_dword v201, off, s[0:3], 0 offset:256
	buffer_load_dword v202, off, s[0:3], 0 offset:260
	ds_read2_b64 v[113:116], v112 offset0:89 offset1:90
	ds_read2_b64 v[117:120], v112 offset0:91 offset1:92
	;; [unrolled: 1-line block ×8, first 2 shown]
	v_cmp_lt_u32_e32 vcc, 31, v0
	s_waitcnt vmcnt(45) lgkmcnt(7)
	v_mul_f32_e32 v145, v113, v157
	s_waitcnt vmcnt(44)
	v_mul_f32_e32 v146, v115, v158
	s_waitcnt vmcnt(43) lgkmcnt(6)
	v_mul_f32_e32 v147, v117, v159
	s_waitcnt vmcnt(42)
	v_mul_f32_e32 v148, v119, v160
	;; [unrolled: 4-line block ×6, first 2 shown]
	s_waitcnt vmcnt(33) lgkmcnt(1)
	v_mul_f32_e32 v203, v137, v169
	s_waitcnt vmcnt(32)
	v_fmac_f32_e32 v145, v114, v170
	v_mul_f32_e32 v114, v114, v157
	v_fma_f32 v113, v113, v170, -v114
	v_mul_f32_e32 v114, v116, v158
	v_add_f32_e32 v113, 0, v113
	s_waitcnt vmcnt(31)
	v_fma_f32 v114, v115, v171, -v114
	v_add_f32_e32 v113, v113, v114
	v_mul_f32_e32 v114, v118, v159
	s_waitcnt vmcnt(30)
	v_fma_f32 v114, v117, v172, -v114
	v_add_f32_e32 v113, v113, v114
	v_mul_f32_e32 v114, v120, v160
	;; [unrolled: 4-line block ×4, first 2 shown]
	v_fmac_f32_e32 v146, v116, v171
	v_add_f32_e32 v145, 0, v145
	s_waitcnt vmcnt(27)
	v_fma_f32 v114, v123, v175, -v114
	v_fmac_f32_e32 v147, v118, v172
	v_add_f32_e32 v145, v145, v146
	v_add_f32_e32 v113, v113, v114
	v_mul_f32_e32 v114, v126, v163
	v_fmac_f32_e32 v148, v120, v173
	v_add_f32_e32 v145, v145, v147
	s_waitcnt vmcnt(26)
	v_fma_f32 v114, v125, v176, -v114
	v_fmac_f32_e32 v149, v122, v174
	v_add_f32_e32 v145, v145, v148
	v_add_f32_e32 v113, v113, v114
	v_mul_f32_e32 v114, v128, v164
	;; [unrolled: 8-line block ×4, first 2 shown]
	s_waitcnt vmcnt(23)
	v_fmac_f32_e32 v154, v132, v179
	v_add_f32_e32 v145, v145, v153
	v_fma_f32 v114, v131, v179, -v114
	s_waitcnt vmcnt(22)
	v_fmac_f32_e32 v155, v134, v180
	v_add_f32_e32 v145, v145, v154
	v_add_f32_e32 v113, v113, v114
	v_mul_f32_e32 v114, v134, v167
	s_waitcnt vmcnt(21)
	v_fmac_f32_e32 v156, v136, v181
	v_add_f32_e32 v145, v145, v155
	v_fma_f32 v114, v133, v180, -v114
	s_waitcnt vmcnt(20)
	v_fmac_f32_e32 v203, v138, v182
	v_add_f32_e32 v145, v145, v156
	s_waitcnt vmcnt(19)
	v_mul_f32_e32 v146, v139, v183
	v_add_f32_e32 v113, v113, v114
	v_mul_f32_e32 v114, v136, v168
	v_add_f32_e32 v145, v145, v203
	s_waitcnt vmcnt(18)
	v_fmac_f32_e32 v146, v140, v184
	v_fma_f32 v114, v135, v181, -v114
	v_add_f32_e32 v145, v145, v146
	s_waitcnt vmcnt(17) lgkmcnt(0)
	v_mul_f32_e32 v146, v141, v185
	v_add_f32_e32 v113, v113, v114
	v_mul_f32_e32 v114, v138, v169
	s_waitcnt vmcnt(16)
	v_fmac_f32_e32 v146, v142, v186
	v_fma_f32 v114, v137, v182, -v114
	v_add_f32_e32 v149, v145, v146
	ds_read2_b64 v[145:148], v112 offset0:105 offset1:106
	v_add_f32_e32 v113, v113, v114
	v_mul_f32_e32 v114, v140, v183
	v_fma_f32 v114, v139, v184, -v114
	v_add_f32_e32 v113, v113, v114
	v_mul_f32_e32 v114, v142, v185
	s_waitcnt vmcnt(15)
	v_mul_f32_e32 v150, v143, v187
	v_fma_f32 v114, v141, v186, -v114
	s_waitcnt vmcnt(14)
	v_fmac_f32_e32 v150, v144, v188
	v_add_f32_e32 v113, v113, v114
	v_mul_f32_e32 v114, v144, v187
	v_add_f32_e32 v153, v149, v150
	ds_read2_b64 v[149:152], v112 offset0:107 offset1:108
	s_waitcnt vmcnt(13) lgkmcnt(1)
	v_mul_f32_e32 v154, v145, v189
	v_fma_f32 v114, v143, v188, -v114
	s_waitcnt vmcnt(12)
	v_fmac_f32_e32 v154, v146, v190
	v_add_f32_e32 v113, v113, v114
	v_mul_f32_e32 v114, v146, v189
	v_add_f32_e32 v153, v153, v154
	s_waitcnt vmcnt(11)
	v_mul_f32_e32 v154, v147, v191
	v_fma_f32 v114, v145, v190, -v114
	s_waitcnt vmcnt(10)
	v_fmac_f32_e32 v154, v148, v192
	v_add_f32_e32 v113, v113, v114
	v_mul_f32_e32 v114, v148, v191
	v_add_f32_e32 v203, v153, v154
	ds_read2_b64 v[153:156], v112 offset0:109 offset1:110
	v_fma_f32 v114, v147, v192, -v114
	v_add_f32_e32 v113, v113, v114
	s_waitcnt vmcnt(9) lgkmcnt(1)
	v_mul_f32_e32 v114, v150, v193
	v_mul_f32_e32 v204, v149, v193
	s_waitcnt vmcnt(8)
	v_fma_f32 v114, v149, v194, -v114
	v_fmac_f32_e32 v204, v150, v194
	v_add_f32_e32 v113, v113, v114
	s_waitcnt vmcnt(7)
	v_mul_f32_e32 v114, v152, v195
	v_add_f32_e32 v112, v203, v204
	v_mul_f32_e32 v203, v151, v195
	s_waitcnt vmcnt(6)
	v_fma_f32 v114, v151, v196, -v114
	v_fmac_f32_e32 v203, v152, v196
	v_add_f32_e32 v113, v113, v114
	s_waitcnt vmcnt(5) lgkmcnt(0)
	v_mul_f32_e32 v114, v154, v197
	v_add_f32_e32 v112, v112, v203
	v_mul_f32_e32 v203, v153, v197
	s_waitcnt vmcnt(4)
	v_fma_f32 v114, v153, v198, -v114
	v_fmac_f32_e32 v203, v154, v198
	v_add_f32_e32 v113, v113, v114
	s_waitcnt vmcnt(3)
	v_mul_f32_e32 v114, v156, v199
	v_add_f32_e32 v112, v112, v203
	v_mul_f32_e32 v203, v155, v199
	s_waitcnt vmcnt(2)
	v_fma_f32 v114, v155, v200, -v114
	v_fmac_f32_e32 v203, v156, v200
	v_add_f32_e32 v113, v113, v114
	v_add_f32_e32 v112, v112, v203
	s_waitcnt vmcnt(1)
	v_sub_f32_e32 v113, v201, v113
	s_waitcnt vmcnt(0)
	v_sub_f32_e32 v112, v202, v112
	buffer_store_dword v113, off, s[0:3], 0 offset:256
	buffer_store_dword v112, off, s[0:3], 0 offset:260
	s_and_saveexec_b64 s[4:5], vcc
	s_cbranch_execz .LBB118_281
; %bb.280:
	buffer_load_dword v112, off, s[0:3], 0 offset:248
	buffer_load_dword v113, off, s[0:3], 0 offset:252
	v_mov_b32_e32 v114, 0
	buffer_store_dword v114, off, s[0:3], 0 offset:248
	buffer_store_dword v114, off, s[0:3], 0 offset:252
	s_waitcnt vmcnt(2)
	ds_write_b64 v111, v[112:113]
.LBB118_281:
	s_or_b64 exec, exec, s[4:5]
	s_waitcnt lgkmcnt(0)
	; wave barrier
	buffer_load_dword v159, off, s[0:3], 0 offset:260
	buffer_load_dword v160, off, s[0:3], 0 offset:268
	;; [unrolled: 1-line block ×48, first 2 shown]
	v_mov_b32_e32 v112, 0
	ds_read_b128 v[113:116], v112 offset:704
	ds_read_b128 v[117:120], v112 offset:720
	;; [unrolled: 1-line block ×7, first 2 shown]
	v_cmp_lt_u32_e32 vcc, 30, v0
	s_waitcnt vmcnt(47) lgkmcnt(6)
	v_mul_f32_e32 v141, v113, v159
	s_waitcnt vmcnt(46)
	v_mul_f32_e32 v142, v115, v160
	s_waitcnt vmcnt(45) lgkmcnt(5)
	v_mul_f32_e32 v143, v117, v161
	s_waitcnt vmcnt(44)
	v_mul_f32_e32 v144, v119, v162
	;; [unrolled: 4-line block ×6, first 2 shown]
	s_waitcnt vmcnt(35)
	v_fmac_f32_e32 v141, v114, v171
	v_mul_f32_e32 v114, v114, v159
	v_fma_f32 v113, v113, v171, -v114
	v_mul_f32_e32 v114, v116, v160
	v_add_f32_e32 v113, 0, v113
	s_waitcnt vmcnt(34)
	v_fma_f32 v114, v115, v172, -v114
	v_add_f32_e32 v113, v113, v114
	v_mul_f32_e32 v114, v118, v161
	s_waitcnt vmcnt(33)
	v_fma_f32 v114, v117, v173, -v114
	v_fmac_f32_e32 v142, v116, v172
	v_add_f32_e32 v141, 0, v141
	v_add_f32_e32 v113, v113, v114
	v_mul_f32_e32 v114, v120, v162
	v_fmac_f32_e32 v143, v118, v173
	v_add_f32_e32 v141, v141, v142
	s_waitcnt vmcnt(32)
	v_fma_f32 v114, v119, v174, -v114
	v_fmac_f32_e32 v144, v120, v174
	v_add_f32_e32 v141, v141, v143
	v_add_f32_e32 v113, v113, v114
	v_mul_f32_e32 v114, v122, v163
	s_waitcnt vmcnt(31)
	v_fmac_f32_e32 v145, v122, v175
	v_add_f32_e32 v141, v141, v144
	v_fma_f32 v114, v121, v175, -v114
	s_waitcnt vmcnt(30)
	v_fmac_f32_e32 v146, v124, v176
	v_add_f32_e32 v141, v141, v145
	v_add_f32_e32 v113, v113, v114
	v_mul_f32_e32 v114, v124, v164
	s_waitcnt vmcnt(29)
	v_fmac_f32_e32 v147, v126, v177
	v_add_f32_e32 v141, v141, v146
	v_fma_f32 v114, v123, v176, -v114
	s_waitcnt vmcnt(28)
	;; [unrolled: 9-line block ×4, first 2 shown]
	v_fmac_f32_e32 v152, v136, v182
	v_add_f32_e32 v141, v141, v151
	v_add_f32_e32 v113, v113, v114
	v_mul_f32_e32 v114, v130, v167
	v_add_f32_e32 v145, v141, v152
	ds_read_b128 v[141:144], v112 offset:816
	v_fma_f32 v114, v129, v179, -v114
	s_waitcnt vmcnt(23) lgkmcnt(1)
	v_mul_f32_e32 v146, v137, v183
	v_add_f32_e32 v113, v113, v114
	v_mul_f32_e32 v114, v132, v168
	s_waitcnt vmcnt(22)
	v_fmac_f32_e32 v146, v138, v184
	v_fma_f32 v114, v131, v180, -v114
	v_add_f32_e32 v145, v145, v146
	s_waitcnt vmcnt(21)
	v_mul_f32_e32 v146, v139, v185
	v_add_f32_e32 v113, v113, v114
	v_mul_f32_e32 v114, v134, v169
	s_waitcnt vmcnt(20)
	v_fmac_f32_e32 v146, v140, v186
	v_fma_f32 v114, v133, v181, -v114
	v_add_f32_e32 v145, v145, v146
	s_waitcnt vmcnt(19) lgkmcnt(0)
	v_mul_f32_e32 v146, v141, v187
	v_add_f32_e32 v113, v113, v114
	v_mul_f32_e32 v114, v136, v170
	s_waitcnt vmcnt(18)
	v_fmac_f32_e32 v146, v142, v188
	v_fma_f32 v114, v135, v182, -v114
	v_add_f32_e32 v149, v145, v146
	ds_read_b128 v[145:148], v112 offset:832
	v_add_f32_e32 v113, v113, v114
	v_mul_f32_e32 v114, v138, v183
	v_fma_f32 v114, v137, v184, -v114
	s_waitcnt vmcnt(17)
	v_mul_f32_e32 v150, v143, v189
	v_add_f32_e32 v113, v113, v114
	v_mul_f32_e32 v114, v140, v185
	s_waitcnt vmcnt(16)
	v_fmac_f32_e32 v150, v144, v190
	v_fma_f32 v114, v139, v186, -v114
	v_add_f32_e32 v153, v149, v150
	ds_read_b128 v[149:152], v112 offset:848
	v_add_f32_e32 v113, v113, v114
	v_mul_f32_e32 v114, v142, v187
	s_waitcnt vmcnt(15) lgkmcnt(1)
	v_mul_f32_e32 v154, v145, v191
	v_fma_f32 v114, v141, v188, -v114
	s_waitcnt vmcnt(14)
	v_fmac_f32_e32 v154, v146, v192
	v_add_f32_e32 v113, v113, v114
	v_mul_f32_e32 v114, v144, v189
	v_add_f32_e32 v153, v153, v154
	s_waitcnt vmcnt(13)
	v_mul_f32_e32 v154, v147, v193
	v_fma_f32 v114, v143, v190, -v114
	s_waitcnt vmcnt(12)
	v_fmac_f32_e32 v154, v148, v194
	v_add_f32_e32 v113, v113, v114
	v_mul_f32_e32 v114, v146, v191
	v_add_f32_e32 v153, v153, v154
	s_waitcnt vmcnt(11) lgkmcnt(0)
	v_mul_f32_e32 v154, v149, v195
	v_fma_f32 v114, v145, v192, -v114
	s_waitcnt vmcnt(10)
	v_fmac_f32_e32 v154, v150, v196
	v_add_f32_e32 v113, v113, v114
	v_mul_f32_e32 v114, v148, v193
	v_add_f32_e32 v157, v153, v154
	ds_read_b128 v[153:156], v112 offset:864
	v_fma_f32 v114, v147, v194, -v114
	v_add_f32_e32 v113, v113, v114
	v_mul_f32_e32 v114, v150, v195
	s_waitcnt vmcnt(9)
	v_mul_f32_e32 v158, v151, v197
	v_fma_f32 v114, v149, v196, -v114
	s_waitcnt vmcnt(8)
	v_fmac_f32_e32 v158, v152, v198
	v_add_f32_e32 v113, v113, v114
	v_mul_f32_e32 v114, v152, v197
	v_add_f32_e32 v207, v157, v158
	ds_read_b64 v[157:158], v112 offset:880
	v_fma_f32 v114, v151, v198, -v114
	v_add_f32_e32 v113, v113, v114
	s_waitcnt vmcnt(6) lgkmcnt(1)
	v_mul_f32_e32 v114, v154, v200
	v_mul_f32_e32 v208, v153, v200
	v_fma_f32 v114, v153, v199, -v114
	v_fmac_f32_e32 v208, v154, v199
	v_add_f32_e32 v113, v113, v114
	s_waitcnt vmcnt(3)
	v_mul_f32_e32 v114, v156, v203
	v_add_f32_e32 v207, v207, v208
	v_mul_f32_e32 v208, v155, v203
	s_waitcnt vmcnt(2)
	v_fma_f32 v114, v155, v204, -v114
	v_fmac_f32_e32 v208, v156, v204
	v_add_f32_e32 v113, v113, v114
	s_waitcnt vmcnt(0) lgkmcnt(0)
	v_mul_f32_e32 v114, v158, v206
	v_add_f32_e32 v207, v207, v208
	v_mul_f32_e32 v208, v157, v206
	v_fma_f32 v114, v157, v205, -v114
	v_fmac_f32_e32 v208, v158, v205
	v_add_f32_e32 v113, v113, v114
	v_add_f32_e32 v207, v207, v208
	v_sub_f32_e32 v113, v201, v113
	v_sub_f32_e32 v114, v202, v207
	buffer_store_dword v113, off, s[0:3], 0 offset:248
	buffer_store_dword v114, off, s[0:3], 0 offset:252
	s_and_saveexec_b64 s[4:5], vcc
	s_cbranch_execz .LBB118_283
; %bb.282:
	buffer_load_dword v113, off, s[0:3], 0 offset:240
	buffer_load_dword v114, off, s[0:3], 0 offset:244
	s_waitcnt vmcnt(0)
	ds_write_b64 v111, v[113:114]
	buffer_store_dword v112, off, s[0:3], 0 offset:240
	buffer_store_dword v112, off, s[0:3], 0 offset:244
.LBB118_283:
	s_or_b64 exec, exec, s[4:5]
	s_waitcnt lgkmcnt(0)
	; wave barrier
	buffer_load_dword v161, off, s[0:3], 0 offset:252
	buffer_load_dword v162, off, s[0:3], 0 offset:260
	;; [unrolled: 1-line block ×48, first 2 shown]
	ds_read2_b64 v[113:116], v112 offset0:87 offset1:88
	ds_read2_b64 v[117:120], v112 offset0:89 offset1:90
	buffer_load_dword v209, off, s[0:3], 0 offset:432
	buffer_load_dword v210, off, s[0:3], 0 offset:436
	ds_read2_b64 v[121:124], v112 offset0:91 offset1:92
	ds_read2_b64 v[125:128], v112 offset0:93 offset1:94
	;; [unrolled: 1-line block ×5, first 2 shown]
	v_cmp_lt_u32_e32 vcc, 29, v0
	s_waitcnt vmcnt(49) lgkmcnt(6)
	v_mul_f32_e32 v141, v113, v161
	s_waitcnt vmcnt(48)
	v_mul_f32_e32 v142, v115, v162
	s_waitcnt vmcnt(47) lgkmcnt(5)
	v_mul_f32_e32 v143, v117, v163
	s_waitcnt vmcnt(46)
	v_mul_f32_e32 v144, v119, v164
	;; [unrolled: 4-line block ×6, first 2 shown]
	s_waitcnt vmcnt(37)
	v_fmac_f32_e32 v141, v114, v173
	v_mul_f32_e32 v114, v114, v161
	v_fma_f32 v113, v113, v173, -v114
	v_mul_f32_e32 v114, v116, v162
	v_add_f32_e32 v113, 0, v113
	s_waitcnt vmcnt(36)
	v_fma_f32 v114, v115, v174, -v114
	v_add_f32_e32 v113, v113, v114
	v_mul_f32_e32 v114, v118, v163
	s_waitcnt vmcnt(35)
	v_fma_f32 v114, v117, v175, -v114
	v_fmac_f32_e32 v142, v116, v174
	v_add_f32_e32 v141, 0, v141
	v_add_f32_e32 v113, v113, v114
	v_mul_f32_e32 v114, v120, v164
	v_fmac_f32_e32 v143, v118, v175
	v_add_f32_e32 v141, v141, v142
	s_waitcnt vmcnt(34)
	v_fma_f32 v114, v119, v176, -v114
	v_fmac_f32_e32 v144, v120, v176
	v_add_f32_e32 v141, v141, v143
	v_add_f32_e32 v113, v113, v114
	v_mul_f32_e32 v114, v122, v165
	s_waitcnt vmcnt(33)
	v_fmac_f32_e32 v145, v122, v177
	v_add_f32_e32 v141, v141, v144
	v_fma_f32 v114, v121, v177, -v114
	s_waitcnt vmcnt(32)
	v_fmac_f32_e32 v146, v124, v178
	v_add_f32_e32 v141, v141, v145
	v_add_f32_e32 v113, v113, v114
	v_mul_f32_e32 v114, v124, v166
	s_waitcnt vmcnt(31)
	v_fmac_f32_e32 v147, v126, v179
	v_add_f32_e32 v141, v141, v146
	v_fma_f32 v114, v123, v178, -v114
	s_waitcnt vmcnt(30)
	v_fmac_f32_e32 v148, v128, v180
	v_add_f32_e32 v141, v141, v147
	v_add_f32_e32 v113, v113, v114
	v_mul_f32_e32 v114, v126, v167
	s_waitcnt vmcnt(29)
	v_fmac_f32_e32 v149, v130, v181
	v_add_f32_e32 v141, v141, v148
	v_fma_f32 v114, v125, v179, -v114
	s_waitcnt vmcnt(28)
	v_fmac_f32_e32 v150, v132, v182
	v_add_f32_e32 v141, v141, v149
	v_add_f32_e32 v113, v113, v114
	v_mul_f32_e32 v114, v128, v168
	s_waitcnt vmcnt(27)
	v_fmac_f32_e32 v151, v134, v183
	v_add_f32_e32 v141, v141, v150
	v_fma_f32 v114, v127, v180, -v114
	v_add_f32_e32 v141, v141, v151
	s_waitcnt vmcnt(26)
	v_fmac_f32_e32 v152, v136, v184
	v_add_f32_e32 v113, v113, v114
	v_mul_f32_e32 v114, v130, v169
	v_add_f32_e32 v145, v141, v152
	ds_read2_b64 v[141:144], v112 offset0:101 offset1:102
	v_fma_f32 v114, v129, v181, -v114
	s_waitcnt vmcnt(25) lgkmcnt(1)
	v_mul_f32_e32 v146, v137, v185
	v_add_f32_e32 v113, v113, v114
	v_mul_f32_e32 v114, v132, v170
	s_waitcnt vmcnt(24)
	v_fmac_f32_e32 v146, v138, v186
	v_fma_f32 v114, v131, v182, -v114
	v_add_f32_e32 v145, v145, v146
	s_waitcnt vmcnt(23)
	v_mul_f32_e32 v146, v139, v187
	v_add_f32_e32 v113, v113, v114
	v_mul_f32_e32 v114, v134, v171
	s_waitcnt vmcnt(22)
	v_fmac_f32_e32 v146, v140, v188
	v_fma_f32 v114, v133, v183, -v114
	v_add_f32_e32 v145, v145, v146
	s_waitcnt vmcnt(21) lgkmcnt(0)
	v_mul_f32_e32 v146, v141, v189
	v_add_f32_e32 v113, v113, v114
	v_mul_f32_e32 v114, v136, v172
	s_waitcnt vmcnt(20)
	v_fmac_f32_e32 v146, v142, v190
	v_fma_f32 v114, v135, v184, -v114
	v_add_f32_e32 v149, v145, v146
	ds_read2_b64 v[145:148], v112 offset0:103 offset1:104
	v_add_f32_e32 v113, v113, v114
	v_mul_f32_e32 v114, v138, v185
	v_fma_f32 v114, v137, v186, -v114
	s_waitcnt vmcnt(19)
	v_mul_f32_e32 v150, v143, v191
	v_add_f32_e32 v113, v113, v114
	v_mul_f32_e32 v114, v140, v187
	s_waitcnt vmcnt(18)
	v_fmac_f32_e32 v150, v144, v192
	v_fma_f32 v114, v139, v188, -v114
	v_add_f32_e32 v153, v149, v150
	ds_read2_b64 v[149:152], v112 offset0:105 offset1:106
	v_add_f32_e32 v113, v113, v114
	v_mul_f32_e32 v114, v142, v189
	s_waitcnt vmcnt(17) lgkmcnt(1)
	v_mul_f32_e32 v154, v145, v193
	v_fma_f32 v114, v141, v190, -v114
	s_waitcnt vmcnt(16)
	v_fmac_f32_e32 v154, v146, v194
	v_add_f32_e32 v113, v113, v114
	v_mul_f32_e32 v114, v144, v191
	v_add_f32_e32 v153, v153, v154
	s_waitcnt vmcnt(15)
	v_mul_f32_e32 v154, v147, v195
	v_fma_f32 v114, v143, v192, -v114
	s_waitcnt vmcnt(14)
	v_fmac_f32_e32 v154, v148, v196
	v_add_f32_e32 v113, v113, v114
	v_mul_f32_e32 v114, v146, v193
	v_add_f32_e32 v153, v153, v154
	s_waitcnt vmcnt(13) lgkmcnt(0)
	v_mul_f32_e32 v154, v149, v197
	v_fma_f32 v114, v145, v194, -v114
	s_waitcnt vmcnt(12)
	v_fmac_f32_e32 v154, v150, v198
	v_add_f32_e32 v113, v113, v114
	v_mul_f32_e32 v114, v148, v195
	v_add_f32_e32 v157, v153, v154
	ds_read2_b64 v[153:156], v112 offset0:107 offset1:108
	v_fma_f32 v114, v147, v196, -v114
	v_add_f32_e32 v113, v113, v114
	v_mul_f32_e32 v114, v150, v197
	s_waitcnt vmcnt(11)
	v_mul_f32_e32 v158, v151, v199
	v_fma_f32 v114, v149, v198, -v114
	s_waitcnt vmcnt(10)
	v_fmac_f32_e32 v158, v152, v200
	v_add_f32_e32 v113, v113, v114
	v_mul_f32_e32 v114, v152, v199
	v_add_f32_e32 v211, v157, v158
	ds_read2_b64 v[157:160], v112 offset0:109 offset1:110
	v_fma_f32 v114, v151, v200, -v114
	v_add_f32_e32 v113, v113, v114
	s_waitcnt vmcnt(7) lgkmcnt(1)
	v_mul_f32_e32 v114, v154, v203
	v_mul_f32_e32 v112, v153, v203
	s_waitcnt vmcnt(6)
	v_fma_f32 v114, v153, v204, -v114
	v_fmac_f32_e32 v112, v154, v204
	v_add_f32_e32 v113, v113, v114
	s_waitcnt vmcnt(4)
	v_mul_f32_e32 v114, v156, v206
	v_add_f32_e32 v112, v211, v112
	v_mul_f32_e32 v211, v155, v206
	v_fma_f32 v114, v155, v205, -v114
	v_fmac_f32_e32 v211, v156, v205
	v_add_f32_e32 v113, v113, v114
	s_waitcnt vmcnt(2) lgkmcnt(0)
	v_mul_f32_e32 v114, v158, v208
	v_add_f32_e32 v112, v112, v211
	v_mul_f32_e32 v211, v157, v208
	v_fma_f32 v114, v157, v207, -v114
	v_fmac_f32_e32 v211, v158, v207
	v_add_f32_e32 v113, v113, v114
	s_waitcnt vmcnt(0)
	v_mul_f32_e32 v114, v160, v210
	v_add_f32_e32 v112, v112, v211
	v_mul_f32_e32 v211, v159, v210
	v_fma_f32 v114, v159, v209, -v114
	v_fmac_f32_e32 v211, v160, v209
	v_add_f32_e32 v113, v113, v114
	v_add_f32_e32 v112, v112, v211
	v_sub_f32_e32 v113, v201, v113
	v_sub_f32_e32 v112, v202, v112
	buffer_store_dword v113, off, s[0:3], 0 offset:240
	buffer_store_dword v112, off, s[0:3], 0 offset:244
	s_and_saveexec_b64 s[4:5], vcc
	s_cbranch_execz .LBB118_285
; %bb.284:
	buffer_load_dword v112, off, s[0:3], 0 offset:232
	buffer_load_dword v113, off, s[0:3], 0 offset:236
	v_mov_b32_e32 v114, 0
	buffer_store_dword v114, off, s[0:3], 0 offset:232
	buffer_store_dword v114, off, s[0:3], 0 offset:236
	s_waitcnt vmcnt(2)
	ds_write_b64 v111, v[112:113]
.LBB118_285:
	s_or_b64 exec, exec, s[4:5]
	s_waitcnt lgkmcnt(0)
	; wave barrier
	buffer_load_dword v163, off, s[0:3], 0 offset:244
	buffer_load_dword v164, off, s[0:3], 0 offset:252
	;; [unrolled: 1-line block ×52, first 2 shown]
	v_mov_b32_e32 v112, 0
	ds_read_b128 v[113:116], v112 offset:688
	ds_read_b128 v[117:120], v112 offset:704
	;; [unrolled: 1-line block ×6, first 2 shown]
	v_cmp_lt_u32_e32 vcc, 28, v0
	s_waitcnt vmcnt(51) lgkmcnt(5)
	v_mul_f32_e32 v137, v113, v163
	s_waitcnt vmcnt(50)
	v_mul_f32_e32 v138, v115, v164
	s_waitcnt vmcnt(49) lgkmcnt(4)
	v_mul_f32_e32 v139, v117, v165
	s_waitcnt vmcnt(48)
	v_mul_f32_e32 v140, v119, v166
	s_waitcnt vmcnt(47) lgkmcnt(3)
	v_mul_f32_e32 v141, v121, v167
	s_waitcnt vmcnt(46)
	v_mul_f32_e32 v142, v123, v168
	s_waitcnt vmcnt(45) lgkmcnt(2)
	v_mul_f32_e32 v143, v125, v169
	s_waitcnt vmcnt(44)
	v_mul_f32_e32 v144, v127, v170
	s_waitcnt vmcnt(43) lgkmcnt(1)
	v_mul_f32_e32 v145, v129, v171
	s_waitcnt vmcnt(42)
	v_mul_f32_e32 v146, v131, v172
	s_waitcnt vmcnt(41) lgkmcnt(0)
	v_mul_f32_e32 v147, v133, v173
	s_waitcnt vmcnt(40)
	v_fmac_f32_e32 v137, v114, v174
	v_mul_f32_e32 v114, v114, v163
	s_waitcnt vmcnt(39)
	v_fmac_f32_e32 v138, v116, v175
	v_add_f32_e32 v137, 0, v137
	v_fma_f32 v113, v113, v174, -v114
	v_mul_f32_e32 v114, v116, v164
	s_waitcnt vmcnt(38)
	v_fmac_f32_e32 v139, v118, v176
	v_add_f32_e32 v137, v137, v138
	v_add_f32_e32 v113, 0, v113
	v_fma_f32 v114, v115, v175, -v114
	s_waitcnt vmcnt(37)
	v_fmac_f32_e32 v140, v120, v177
	v_add_f32_e32 v137, v137, v139
	v_add_f32_e32 v113, v113, v114
	v_mul_f32_e32 v114, v118, v165
	s_waitcnt vmcnt(36)
	v_fmac_f32_e32 v141, v122, v178
	v_add_f32_e32 v137, v137, v140
	v_fma_f32 v114, v117, v176, -v114
	s_waitcnt vmcnt(35)
	v_fmac_f32_e32 v142, v124, v179
	v_add_f32_e32 v137, v137, v141
	v_add_f32_e32 v113, v113, v114
	v_mul_f32_e32 v114, v120, v166
	s_waitcnt vmcnt(34)
	v_fmac_f32_e32 v143, v126, v180
	v_add_f32_e32 v137, v137, v142
	v_fma_f32 v114, v119, v177, -v114
	s_waitcnt vmcnt(33)
	v_fmac_f32_e32 v144, v128, v181
	v_add_f32_e32 v137, v137, v143
	v_add_f32_e32 v113, v113, v114
	v_mul_f32_e32 v114, v122, v167
	s_waitcnt vmcnt(32)
	v_fmac_f32_e32 v145, v130, v182
	v_add_f32_e32 v137, v137, v144
	v_fma_f32 v114, v121, v178, -v114
	s_waitcnt vmcnt(31)
	v_fmac_f32_e32 v146, v132, v183
	v_add_f32_e32 v137, v137, v145
	v_add_f32_e32 v113, v113, v114
	v_mul_f32_e32 v114, v124, v168
	v_add_f32_e32 v137, v137, v146
	s_waitcnt vmcnt(30)
	v_fmac_f32_e32 v147, v134, v184
	v_fma_f32 v114, v123, v179, -v114
	v_add_f32_e32 v141, v137, v147
	ds_read_b128 v[137:140], v112 offset:784
	v_add_f32_e32 v113, v113, v114
	v_mul_f32_e32 v114, v126, v169
	v_fma_f32 v114, v125, v180, -v114
	s_waitcnt vmcnt(29)
	v_mul_f32_e32 v142, v135, v185
	v_add_f32_e32 v113, v113, v114
	v_mul_f32_e32 v114, v128, v170
	s_waitcnt vmcnt(28)
	v_fmac_f32_e32 v142, v136, v186
	v_fma_f32 v114, v127, v181, -v114
	v_add_f32_e32 v145, v141, v142
	ds_read_b128 v[141:144], v112 offset:800
	v_add_f32_e32 v113, v113, v114
	v_mul_f32_e32 v114, v130, v171
	s_waitcnt vmcnt(27) lgkmcnt(1)
	v_mul_f32_e32 v146, v137, v187
	v_fma_f32 v114, v129, v182, -v114
	s_waitcnt vmcnt(26)
	v_fmac_f32_e32 v146, v138, v188
	v_add_f32_e32 v113, v113, v114
	v_mul_f32_e32 v114, v132, v172
	v_add_f32_e32 v145, v145, v146
	s_waitcnt vmcnt(25)
	v_mul_f32_e32 v146, v139, v189
	v_fma_f32 v114, v131, v183, -v114
	s_waitcnt vmcnt(24)
	v_fmac_f32_e32 v146, v140, v190
	v_add_f32_e32 v113, v113, v114
	v_mul_f32_e32 v114, v134, v173
	v_add_f32_e32 v145, v145, v146
	s_waitcnt vmcnt(23) lgkmcnt(0)
	v_mul_f32_e32 v146, v141, v191
	v_fma_f32 v114, v133, v184, -v114
	s_waitcnt vmcnt(22)
	v_fmac_f32_e32 v146, v142, v192
	v_add_f32_e32 v113, v113, v114
	v_mul_f32_e32 v114, v136, v185
	v_add_f32_e32 v149, v145, v146
	ds_read_b128 v[145:148], v112 offset:816
	v_fma_f32 v114, v135, v186, -v114
	v_add_f32_e32 v113, v113, v114
	v_mul_f32_e32 v114, v138, v187
	s_waitcnt vmcnt(21)
	v_mul_f32_e32 v150, v143, v193
	v_fma_f32 v114, v137, v188, -v114
	s_waitcnt vmcnt(20)
	v_fmac_f32_e32 v150, v144, v194
	v_add_f32_e32 v113, v113, v114
	v_mul_f32_e32 v114, v140, v189
	v_add_f32_e32 v153, v149, v150
	ds_read_b128 v[149:152], v112 offset:832
	v_fma_f32 v114, v139, v190, -v114
	s_waitcnt vmcnt(19) lgkmcnt(1)
	v_mul_f32_e32 v154, v145, v195
	v_add_f32_e32 v113, v113, v114
	v_mul_f32_e32 v114, v142, v191
	s_waitcnt vmcnt(18)
	v_fmac_f32_e32 v154, v146, v196
	v_fma_f32 v114, v141, v192, -v114
	v_add_f32_e32 v153, v153, v154
	s_waitcnt vmcnt(17)
	v_mul_f32_e32 v154, v147, v197
	v_add_f32_e32 v113, v113, v114
	v_mul_f32_e32 v114, v144, v193
	s_waitcnt vmcnt(16)
	v_fmac_f32_e32 v154, v148, v198
	v_fma_f32 v114, v143, v194, -v114
	v_add_f32_e32 v153, v153, v154
	s_waitcnt vmcnt(14) lgkmcnt(0)
	v_mul_f32_e32 v154, v149, v200
	v_add_f32_e32 v113, v113, v114
	v_mul_f32_e32 v114, v146, v195
	v_fmac_f32_e32 v154, v150, v199
	v_fma_f32 v114, v145, v196, -v114
	v_add_f32_e32 v157, v153, v154
	ds_read_b128 v[153:156], v112 offset:848
	v_add_f32_e32 v113, v113, v114
	v_mul_f32_e32 v114, v148, v197
	v_fma_f32 v114, v147, v198, -v114
	v_add_f32_e32 v113, v113, v114
	v_mul_f32_e32 v114, v150, v200
	s_waitcnt vmcnt(11)
	v_mul_f32_e32 v158, v151, v203
	v_fma_f32 v114, v149, v199, -v114
	s_waitcnt vmcnt(10)
	v_fmac_f32_e32 v158, v152, v204
	v_add_f32_e32 v113, v113, v114
	v_mul_f32_e32 v114, v152, v203
	v_add_f32_e32 v161, v157, v158
	ds_read_b128 v[157:160], v112 offset:864
	s_waitcnt vmcnt(8) lgkmcnt(1)
	v_mul_f32_e32 v162, v153, v206
	v_fma_f32 v114, v151, v204, -v114
	v_fmac_f32_e32 v162, v154, v205
	v_add_f32_e32 v113, v113, v114
	v_mul_f32_e32 v114, v154, v206
	v_add_f32_e32 v161, v161, v162
	s_waitcnt vmcnt(6)
	v_mul_f32_e32 v162, v155, v208
	v_fma_f32 v114, v153, v205, -v114
	v_fmac_f32_e32 v162, v156, v207
	v_add_f32_e32 v113, v113, v114
	v_mul_f32_e32 v114, v156, v208
	v_add_f32_e32 v215, v161, v162
	ds_read_b64 v[161:162], v112 offset:880
	v_fma_f32 v114, v155, v207, -v114
	v_add_f32_e32 v113, v113, v114
	s_waitcnt vmcnt(4) lgkmcnt(1)
	v_mul_f32_e32 v114, v158, v210
	v_mul_f32_e32 v216, v157, v210
	v_fma_f32 v114, v157, v209, -v114
	v_fmac_f32_e32 v216, v158, v209
	v_add_f32_e32 v113, v113, v114
	s_waitcnt vmcnt(2)
	v_mul_f32_e32 v114, v160, v212
	v_add_f32_e32 v215, v215, v216
	v_mul_f32_e32 v216, v159, v212
	v_fma_f32 v114, v159, v211, -v114
	v_fmac_f32_e32 v216, v160, v211
	v_add_f32_e32 v113, v113, v114
	s_waitcnt vmcnt(0) lgkmcnt(0)
	v_mul_f32_e32 v114, v162, v214
	v_add_f32_e32 v215, v215, v216
	v_mul_f32_e32 v216, v161, v214
	v_fma_f32 v114, v161, v213, -v114
	v_fmac_f32_e32 v216, v162, v213
	v_add_f32_e32 v113, v113, v114
	v_add_f32_e32 v215, v215, v216
	v_sub_f32_e32 v113, v201, v113
	v_sub_f32_e32 v114, v202, v215
	buffer_store_dword v113, off, s[0:3], 0 offset:232
	buffer_store_dword v114, off, s[0:3], 0 offset:236
	s_and_saveexec_b64 s[4:5], vcc
	s_cbranch_execz .LBB118_287
; %bb.286:
	buffer_load_dword v113, off, s[0:3], 0 offset:224
	buffer_load_dword v114, off, s[0:3], 0 offset:228
	s_waitcnt vmcnt(0)
	ds_write_b64 v111, v[113:114]
	buffer_store_dword v112, off, s[0:3], 0 offset:224
	buffer_store_dword v112, off, s[0:3], 0 offset:228
.LBB118_287:
	s_or_b64 exec, exec, s[4:5]
	s_waitcnt lgkmcnt(0)
	; wave barrier
	buffer_load_dword v165, off, s[0:3], 0 offset:236
	buffer_load_dword v166, off, s[0:3], 0 offset:244
	;; [unrolled: 1-line block ×42, first 2 shown]
	ds_read2_b64 v[113:116], v112 offset0:85 offset1:86
	ds_read2_b64 v[117:120], v112 offset0:87 offset1:88
	;; [unrolled: 1-line block ×4, first 2 shown]
	buffer_load_dword v207, off, s[0:3], 0 offset:396
	buffer_load_dword v208, off, s[0:3], 0 offset:392
	;; [unrolled: 1-line block ×6, first 2 shown]
	ds_read2_b64 v[129:132], v112 offset0:93 offset1:94
	ds_read2_b64 v[133:136], v112 offset0:95 offset1:96
	buffer_load_dword v213, off, s[0:3], 0 offset:416
	buffer_load_dword v214, off, s[0:3], 0 offset:420
	;; [unrolled: 1-line block ×6, first 2 shown]
	v_cmp_lt_u32_e32 vcc, 27, v0
	s_waitcnt vmcnt(53) lgkmcnt(5)
	v_mul_f32_e32 v137, v113, v165
	s_waitcnt vmcnt(52)
	v_mul_f32_e32 v138, v115, v166
	s_waitcnt vmcnt(51) lgkmcnt(4)
	v_mul_f32_e32 v139, v117, v167
	s_waitcnt vmcnt(50)
	v_mul_f32_e32 v140, v119, v168
	;; [unrolled: 4-line block ×5, first 2 shown]
	s_waitcnt vmcnt(43)
	v_fmac_f32_e32 v137, v114, v175
	v_mul_f32_e32 v114, v114, v165
	s_waitcnt vmcnt(42)
	v_fmac_f32_e32 v138, v116, v176
	v_add_f32_e32 v137, 0, v137
	v_fma_f32 v113, v113, v175, -v114
	v_mul_f32_e32 v114, v116, v166
	s_waitcnt vmcnt(41)
	v_fmac_f32_e32 v139, v118, v177
	v_add_f32_e32 v137, v137, v138
	v_add_f32_e32 v113, 0, v113
	v_fma_f32 v114, v115, v176, -v114
	s_waitcnt vmcnt(40)
	v_fmac_f32_e32 v140, v120, v178
	v_add_f32_e32 v137, v137, v139
	v_add_f32_e32 v113, v113, v114
	v_mul_f32_e32 v114, v118, v167
	s_waitcnt vmcnt(39)
	v_fmac_f32_e32 v141, v122, v179
	v_add_f32_e32 v137, v137, v140
	v_fma_f32 v114, v117, v177, -v114
	s_waitcnt vmcnt(38)
	v_fmac_f32_e32 v142, v124, v180
	v_add_f32_e32 v137, v137, v141
	v_add_f32_e32 v113, v113, v114
	v_mul_f32_e32 v114, v120, v168
	s_waitcnt vmcnt(37)
	v_fmac_f32_e32 v143, v126, v181
	;; [unrolled: 9-line block ×3, first 2 shown]
	v_add_f32_e32 v137, v137, v144
	v_fma_f32 v114, v121, v179, -v114
	s_waitcnt vmcnt(34)
	v_fmac_f32_e32 v146, v132, v184
	v_add_f32_e32 v137, v137, v145
	s_waitcnt vmcnt(33) lgkmcnt(0)
	v_mul_f32_e32 v138, v133, v185
	v_add_f32_e32 v113, v113, v114
	v_mul_f32_e32 v114, v124, v170
	v_add_f32_e32 v137, v137, v146
	s_waitcnt vmcnt(32)
	v_fmac_f32_e32 v138, v134, v186
	v_fma_f32 v114, v123, v180, -v114
	v_add_f32_e32 v141, v137, v138
	ds_read2_b64 v[137:140], v112 offset0:97 offset1:98
	v_add_f32_e32 v113, v113, v114
	v_mul_f32_e32 v114, v126, v171
	v_fma_f32 v114, v125, v181, -v114
	s_waitcnt vmcnt(31)
	v_mul_f32_e32 v142, v135, v187
	v_add_f32_e32 v113, v113, v114
	v_mul_f32_e32 v114, v128, v172
	s_waitcnt vmcnt(30)
	v_fmac_f32_e32 v142, v136, v188
	v_fma_f32 v114, v127, v182, -v114
	v_add_f32_e32 v145, v141, v142
	ds_read2_b64 v[141:144], v112 offset0:99 offset1:100
	v_add_f32_e32 v113, v113, v114
	v_mul_f32_e32 v114, v130, v173
	s_waitcnt vmcnt(29) lgkmcnt(1)
	v_mul_f32_e32 v146, v137, v189
	v_fma_f32 v114, v129, v183, -v114
	s_waitcnt vmcnt(28)
	v_fmac_f32_e32 v146, v138, v190
	v_add_f32_e32 v113, v113, v114
	v_mul_f32_e32 v114, v132, v174
	v_add_f32_e32 v145, v145, v146
	s_waitcnt vmcnt(27)
	v_mul_f32_e32 v146, v139, v191
	v_fma_f32 v114, v131, v184, -v114
	s_waitcnt vmcnt(26)
	v_fmac_f32_e32 v146, v140, v192
	v_add_f32_e32 v113, v113, v114
	v_mul_f32_e32 v114, v134, v185
	v_add_f32_e32 v145, v145, v146
	s_waitcnt vmcnt(25) lgkmcnt(0)
	v_mul_f32_e32 v146, v141, v193
	v_fma_f32 v114, v133, v186, -v114
	s_waitcnt vmcnt(24)
	v_fmac_f32_e32 v146, v142, v194
	v_add_f32_e32 v113, v113, v114
	v_mul_f32_e32 v114, v136, v187
	v_add_f32_e32 v149, v145, v146
	ds_read2_b64 v[145:148], v112 offset0:101 offset1:102
	v_fma_f32 v114, v135, v188, -v114
	v_add_f32_e32 v113, v113, v114
	v_mul_f32_e32 v114, v138, v189
	s_waitcnt vmcnt(23)
	v_mul_f32_e32 v150, v143, v195
	v_fma_f32 v114, v137, v190, -v114
	s_waitcnt vmcnt(22)
	v_fmac_f32_e32 v150, v144, v196
	v_add_f32_e32 v113, v113, v114
	v_mul_f32_e32 v114, v140, v191
	v_add_f32_e32 v153, v149, v150
	ds_read2_b64 v[149:152], v112 offset0:103 offset1:104
	v_fma_f32 v114, v139, v192, -v114
	s_waitcnt vmcnt(21) lgkmcnt(1)
	v_mul_f32_e32 v154, v145, v197
	v_add_f32_e32 v113, v113, v114
	v_mul_f32_e32 v114, v142, v193
	s_waitcnt vmcnt(20)
	v_fmac_f32_e32 v154, v146, v198
	v_fma_f32 v114, v141, v194, -v114
	v_add_f32_e32 v153, v153, v154
	s_waitcnt vmcnt(18)
	v_mul_f32_e32 v154, v147, v200
	v_add_f32_e32 v113, v113, v114
	v_mul_f32_e32 v114, v144, v195
	v_fmac_f32_e32 v154, v148, v199
	v_fma_f32 v114, v143, v196, -v114
	v_add_f32_e32 v153, v153, v154
	s_waitcnt vmcnt(15) lgkmcnt(0)
	v_mul_f32_e32 v154, v149, v203
	v_add_f32_e32 v113, v113, v114
	v_mul_f32_e32 v114, v146, v197
	s_waitcnt vmcnt(14)
	v_fmac_f32_e32 v154, v150, v204
	v_fma_f32 v114, v145, v198, -v114
	v_add_f32_e32 v157, v153, v154
	ds_read2_b64 v[153:156], v112 offset0:105 offset1:106
	v_add_f32_e32 v113, v113, v114
	v_mul_f32_e32 v114, v148, v200
	v_fma_f32 v114, v147, v199, -v114
	v_add_f32_e32 v113, v113, v114
	v_mul_f32_e32 v114, v150, v203
	s_waitcnt vmcnt(12)
	v_mul_f32_e32 v158, v151, v206
	v_fma_f32 v114, v149, v204, -v114
	v_fmac_f32_e32 v158, v152, v205
	v_add_f32_e32 v113, v113, v114
	v_mul_f32_e32 v114, v152, v206
	v_add_f32_e32 v161, v157, v158
	ds_read2_b64 v[157:160], v112 offset0:107 offset1:108
	s_waitcnt vmcnt(11) lgkmcnt(1)
	v_mul_f32_e32 v162, v153, v207
	v_fma_f32 v114, v151, v205, -v114
	s_waitcnt vmcnt(10)
	v_fmac_f32_e32 v162, v154, v208
	v_add_f32_e32 v113, v113, v114
	v_mul_f32_e32 v114, v154, v207
	v_add_f32_e32 v161, v161, v162
	s_waitcnt vmcnt(8)
	v_mul_f32_e32 v162, v155, v210
	v_fma_f32 v114, v153, v208, -v114
	v_fmac_f32_e32 v162, v156, v209
	v_add_f32_e32 v113, v113, v114
	v_mul_f32_e32 v114, v156, v210
	v_add_f32_e32 v219, v161, v162
	ds_read2_b64 v[161:164], v112 offset0:109 offset1:110
	v_fma_f32 v114, v155, v209, -v114
	v_add_f32_e32 v113, v113, v114
	s_waitcnt vmcnt(6) lgkmcnt(1)
	v_mul_f32_e32 v114, v158, v212
	v_mul_f32_e32 v220, v157, v212
	v_fma_f32 v114, v157, v211, -v114
	v_fmac_f32_e32 v220, v158, v211
	v_add_f32_e32 v113, v113, v114
	s_waitcnt vmcnt(4)
	v_mul_f32_e32 v114, v160, v214
	v_add_f32_e32 v112, v219, v220
	v_mul_f32_e32 v219, v159, v214
	v_fma_f32 v114, v159, v213, -v114
	v_fmac_f32_e32 v219, v160, v213
	v_add_f32_e32 v113, v113, v114
	s_waitcnt vmcnt(2) lgkmcnt(0)
	v_mul_f32_e32 v114, v162, v216
	v_add_f32_e32 v112, v112, v219
	v_mul_f32_e32 v219, v161, v216
	v_fma_f32 v114, v161, v215, -v114
	v_fmac_f32_e32 v219, v162, v215
	v_add_f32_e32 v113, v113, v114
	s_waitcnt vmcnt(0)
	v_mul_f32_e32 v114, v164, v218
	v_add_f32_e32 v112, v112, v219
	v_mul_f32_e32 v219, v163, v218
	v_fma_f32 v114, v163, v217, -v114
	v_fmac_f32_e32 v219, v164, v217
	v_add_f32_e32 v113, v113, v114
	v_add_f32_e32 v112, v112, v219
	v_sub_f32_e32 v113, v201, v113
	v_sub_f32_e32 v112, v202, v112
	buffer_store_dword v113, off, s[0:3], 0 offset:224
	buffer_store_dword v112, off, s[0:3], 0 offset:228
	s_and_saveexec_b64 s[4:5], vcc
	s_cbranch_execz .LBB118_289
; %bb.288:
	buffer_load_dword v112, off, s[0:3], 0 offset:216
	buffer_load_dword v113, off, s[0:3], 0 offset:220
	v_mov_b32_e32 v114, 0
	buffer_store_dword v114, off, s[0:3], 0 offset:216
	buffer_store_dword v114, off, s[0:3], 0 offset:220
	s_waitcnt vmcnt(2)
	ds_write_b64 v111, v[112:113]
.LBB118_289:
	s_or_b64 exec, exec, s[4:5]
	s_waitcnt lgkmcnt(0)
	; wave barrier
	buffer_load_dword v167, off, s[0:3], 0 offset:228
	buffer_load_dword v168, off, s[0:3], 0 offset:236
	;; [unrolled: 1-line block ×56, first 2 shown]
	v_mov_b32_e32 v112, 0
	ds_read_b128 v[113:116], v112 offset:672
	ds_read_b128 v[117:120], v112 offset:688
	;; [unrolled: 1-line block ×6, first 2 shown]
	v_cmp_lt_u32_e32 vcc, 26, v0
	s_waitcnt vmcnt(55) lgkmcnt(5)
	v_mul_f32_e32 v137, v113, v167
	s_waitcnt vmcnt(54)
	v_mul_f32_e32 v138, v115, v168
	s_waitcnt vmcnt(53) lgkmcnt(4)
	v_mul_f32_e32 v139, v117, v169
	s_waitcnt vmcnt(52)
	v_mul_f32_e32 v140, v119, v170
	;; [unrolled: 4-line block ×4, first 2 shown]
	s_waitcnt vmcnt(47) lgkmcnt(1)
	v_mul_f32_e32 v145, v129, v175
	s_waitcnt vmcnt(46)
	v_fmac_f32_e32 v137, v114, v176
	s_waitcnt vmcnt(45)
	v_fmac_f32_e32 v138, v116, v177
	v_add_f32_e32 v137, 0, v137
	s_waitcnt vmcnt(44)
	v_fmac_f32_e32 v139, v118, v178
	v_add_f32_e32 v137, v137, v138
	;; [unrolled: 3-line block ×3, first 2 shown]
	v_mul_f32_e32 v114, v114, v167
	s_waitcnt vmcnt(42)
	v_fmac_f32_e32 v141, v122, v180
	v_add_f32_e32 v137, v137, v140
	v_fma_f32 v113, v113, v176, -v114
	v_mul_f32_e32 v114, v116, v168
	s_waitcnt vmcnt(41)
	v_fmac_f32_e32 v142, v124, v181
	v_add_f32_e32 v137, v137, v141
	v_add_f32_e32 v113, 0, v113
	v_fma_f32 v114, v115, v177, -v114
	s_waitcnt vmcnt(40)
	v_fmac_f32_e32 v143, v126, v182
	v_add_f32_e32 v137, v137, v142
	v_add_f32_e32 v113, v113, v114
	v_mul_f32_e32 v114, v118, v169
	s_waitcnt vmcnt(39)
	v_fmac_f32_e32 v144, v128, v183
	v_add_f32_e32 v137, v137, v143
	v_fma_f32 v114, v117, v178, -v114
	v_add_f32_e32 v137, v137, v144
	s_waitcnt vmcnt(38)
	v_fmac_f32_e32 v145, v130, v184
	s_waitcnt vmcnt(37)
	v_mul_f32_e32 v138, v131, v185
	v_add_f32_e32 v113, v113, v114
	v_mul_f32_e32 v114, v120, v170
	v_add_f32_e32 v137, v137, v145
	s_waitcnt vmcnt(36)
	v_fmac_f32_e32 v138, v132, v186
	v_fma_f32 v114, v119, v179, -v114
	v_add_f32_e32 v137, v137, v138
	s_waitcnt vmcnt(35) lgkmcnt(0)
	v_mul_f32_e32 v138, v133, v187
	v_add_f32_e32 v113, v113, v114
	v_mul_f32_e32 v114, v122, v171
	s_waitcnt vmcnt(34)
	v_fmac_f32_e32 v138, v134, v188
	v_fma_f32 v114, v121, v180, -v114
	v_add_f32_e32 v141, v137, v138
	ds_read_b128 v[137:140], v112 offset:768
	v_add_f32_e32 v113, v113, v114
	v_mul_f32_e32 v114, v124, v172
	v_fma_f32 v114, v123, v181, -v114
	s_waitcnt vmcnt(33)
	v_mul_f32_e32 v142, v135, v189
	v_add_f32_e32 v113, v113, v114
	v_mul_f32_e32 v114, v126, v173
	s_waitcnt vmcnt(32)
	v_fmac_f32_e32 v142, v136, v190
	v_fma_f32 v114, v125, v182, -v114
	v_add_f32_e32 v145, v141, v142
	ds_read_b128 v[141:144], v112 offset:784
	v_add_f32_e32 v113, v113, v114
	v_mul_f32_e32 v114, v128, v174
	s_waitcnt vmcnt(31) lgkmcnt(1)
	v_mul_f32_e32 v146, v137, v191
	v_fma_f32 v114, v127, v183, -v114
	s_waitcnt vmcnt(30)
	v_fmac_f32_e32 v146, v138, v192
	v_add_f32_e32 v113, v113, v114
	v_mul_f32_e32 v114, v130, v175
	v_add_f32_e32 v145, v145, v146
	s_waitcnt vmcnt(29)
	v_mul_f32_e32 v146, v139, v193
	v_fma_f32 v114, v129, v184, -v114
	s_waitcnt vmcnt(28)
	v_fmac_f32_e32 v146, v140, v194
	v_add_f32_e32 v113, v113, v114
	v_mul_f32_e32 v114, v132, v185
	v_add_f32_e32 v145, v145, v146
	s_waitcnt vmcnt(27) lgkmcnt(0)
	v_mul_f32_e32 v146, v141, v195
	v_fma_f32 v114, v131, v186, -v114
	s_waitcnt vmcnt(26)
	v_fmac_f32_e32 v146, v142, v196
	v_add_f32_e32 v113, v113, v114
	v_mul_f32_e32 v114, v134, v187
	v_add_f32_e32 v149, v145, v146
	ds_read_b128 v[145:148], v112 offset:800
	v_fma_f32 v114, v133, v188, -v114
	v_add_f32_e32 v113, v113, v114
	v_mul_f32_e32 v114, v136, v189
	s_waitcnt vmcnt(24)
	v_mul_f32_e32 v150, v143, v198
	v_fma_f32 v114, v135, v190, -v114
	v_fmac_f32_e32 v150, v144, v197
	v_add_f32_e32 v113, v113, v114
	v_mul_f32_e32 v114, v138, v191
	v_add_f32_e32 v153, v149, v150
	ds_read_b128 v[149:152], v112 offset:816
	v_fma_f32 v114, v137, v192, -v114
	s_waitcnt vmcnt(21) lgkmcnt(1)
	v_mul_f32_e32 v154, v145, v201
	v_add_f32_e32 v113, v113, v114
	v_mul_f32_e32 v114, v140, v193
	s_waitcnt vmcnt(20)
	v_fmac_f32_e32 v154, v146, v202
	v_fma_f32 v114, v139, v194, -v114
	v_add_f32_e32 v153, v153, v154
	s_waitcnt vmcnt(18)
	v_mul_f32_e32 v154, v147, v204
	v_add_f32_e32 v113, v113, v114
	v_mul_f32_e32 v114, v142, v195
	v_fmac_f32_e32 v154, v148, v203
	v_fma_f32 v114, v141, v196, -v114
	v_add_f32_e32 v153, v153, v154
	s_waitcnt vmcnt(16) lgkmcnt(0)
	v_mul_f32_e32 v154, v149, v206
	v_add_f32_e32 v113, v113, v114
	v_mul_f32_e32 v114, v144, v198
	v_fmac_f32_e32 v154, v150, v205
	v_fma_f32 v114, v143, v197, -v114
	v_add_f32_e32 v157, v153, v154
	ds_read_b128 v[153:156], v112 offset:832
	v_add_f32_e32 v113, v113, v114
	v_mul_f32_e32 v114, v146, v201
	v_fma_f32 v114, v145, v202, -v114
	s_waitcnt vmcnt(14)
	v_mul_f32_e32 v158, v151, v208
	v_add_f32_e32 v113, v113, v114
	v_mul_f32_e32 v114, v148, v204
	v_fmac_f32_e32 v158, v152, v207
	v_fma_f32 v114, v147, v203, -v114
	v_add_f32_e32 v161, v157, v158
	ds_read_b128 v[157:160], v112 offset:848
	v_add_f32_e32 v113, v113, v114
	v_mul_f32_e32 v114, v150, v206
	s_waitcnt vmcnt(12) lgkmcnt(1)
	v_mul_f32_e32 v162, v153, v210
	v_fma_f32 v114, v149, v205, -v114
	v_fmac_f32_e32 v162, v154, v209
	v_add_f32_e32 v113, v113, v114
	v_mul_f32_e32 v114, v152, v208
	v_add_f32_e32 v161, v161, v162
	s_waitcnt vmcnt(10)
	v_mul_f32_e32 v162, v155, v212
	v_fma_f32 v114, v151, v207, -v114
	v_fmac_f32_e32 v162, v156, v211
	v_add_f32_e32 v113, v113, v114
	v_mul_f32_e32 v114, v154, v210
	v_add_f32_e32 v161, v161, v162
	s_waitcnt vmcnt(8) lgkmcnt(0)
	v_mul_f32_e32 v162, v157, v214
	v_fma_f32 v114, v153, v209, -v114
	v_fmac_f32_e32 v162, v158, v213
	v_add_f32_e32 v113, v113, v114
	v_mul_f32_e32 v114, v156, v212
	v_add_f32_e32 v165, v161, v162
	ds_read_b128 v[161:164], v112 offset:864
	v_fma_f32 v114, v155, v211, -v114
	v_add_f32_e32 v113, v113, v114
	v_mul_f32_e32 v114, v158, v214
	s_waitcnt vmcnt(6)
	v_mul_f32_e32 v166, v159, v216
	v_fma_f32 v114, v157, v213, -v114
	v_fmac_f32_e32 v166, v160, v215
	v_add_f32_e32 v113, v113, v114
	v_mul_f32_e32 v114, v160, v216
	v_add_f32_e32 v223, v165, v166
	ds_read_b64 v[165:166], v112 offset:880
	v_fma_f32 v114, v159, v215, -v114
	v_add_f32_e32 v113, v113, v114
	s_waitcnt vmcnt(4) lgkmcnt(1)
	v_mul_f32_e32 v114, v162, v218
	v_mul_f32_e32 v224, v161, v218
	v_fma_f32 v114, v161, v217, -v114
	v_fmac_f32_e32 v224, v162, v217
	v_add_f32_e32 v113, v113, v114
	s_waitcnt vmcnt(2)
	v_mul_f32_e32 v114, v164, v220
	v_add_f32_e32 v223, v223, v224
	v_mul_f32_e32 v224, v163, v220
	v_fma_f32 v114, v163, v219, -v114
	v_fmac_f32_e32 v224, v164, v219
	v_add_f32_e32 v113, v113, v114
	s_waitcnt vmcnt(0) lgkmcnt(0)
	v_mul_f32_e32 v114, v166, v222
	v_add_f32_e32 v223, v223, v224
	v_mul_f32_e32 v224, v165, v222
	v_fma_f32 v114, v165, v221, -v114
	v_fmac_f32_e32 v224, v166, v221
	v_add_f32_e32 v113, v113, v114
	v_add_f32_e32 v223, v223, v224
	v_sub_f32_e32 v113, v199, v113
	v_sub_f32_e32 v114, v200, v223
	buffer_store_dword v113, off, s[0:3], 0 offset:216
	buffer_store_dword v114, off, s[0:3], 0 offset:220
	s_and_saveexec_b64 s[4:5], vcc
	s_cbranch_execz .LBB118_291
; %bb.290:
	buffer_load_dword v113, off, s[0:3], 0 offset:208
	buffer_load_dword v114, off, s[0:3], 0 offset:212
	s_waitcnt vmcnt(0)
	ds_write_b64 v111, v[113:114]
	buffer_store_dword v112, off, s[0:3], 0 offset:208
	buffer_store_dword v112, off, s[0:3], 0 offset:212
.LBB118_291:
	s_or_b64 exec, exec, s[4:5]
	s_waitcnt lgkmcnt(0)
	; wave barrier
	buffer_load_dword v169, off, s[0:3], 0 offset:220
	buffer_load_dword v170, off, s[0:3], 0 offset:228
	;; [unrolled: 1-line block ×34, first 2 shown]
	ds_read2_b64 v[113:116], v112 offset0:83 offset1:84
	ds_read2_b64 v[117:120], v112 offset0:85 offset1:86
	buffer_load_dword v203, off, s[0:3], 0 offset:348
	buffer_load_dword v204, off, s[0:3], 0 offset:344
	;; [unrolled: 1-line block ×6, first 2 shown]
	ds_read2_b64 v[121:124], v112 offset0:87 offset1:88
	ds_read2_b64 v[125:128], v112 offset0:89 offset1:90
	;; [unrolled: 1-line block ×4, first 2 shown]
	buffer_load_dword v209, off, s[0:3], 0 offset:372
	buffer_load_dword v210, off, s[0:3], 0 offset:368
	;; [unrolled: 1-line block ×18, first 2 shown]
	v_cmp_lt_u32_e32 vcc, 25, v0
	s_waitcnt vmcnt(57) lgkmcnt(5)
	v_mul_f32_e32 v137, v113, v169
	s_waitcnt vmcnt(56)
	v_mul_f32_e32 v138, v115, v170
	s_waitcnt vmcnt(55) lgkmcnt(4)
	v_mul_f32_e32 v139, v117, v171
	s_waitcnt vmcnt(54)
	v_mul_f32_e32 v140, v119, v172
	;; [unrolled: 4-line block ×4, first 2 shown]
	s_waitcnt vmcnt(49)
	v_fmac_f32_e32 v137, v114, v177
	s_waitcnt vmcnt(48)
	v_fmac_f32_e32 v138, v116, v178
	v_add_f32_e32 v137, 0, v137
	s_waitcnt vmcnt(47)
	v_fmac_f32_e32 v139, v118, v179
	v_add_f32_e32 v137, v137, v138
	;; [unrolled: 3-line block ×4, first 2 shown]
	v_mul_f32_e32 v114, v114, v169
	s_waitcnt vmcnt(44)
	v_fmac_f32_e32 v142, v124, v182
	v_add_f32_e32 v137, v137, v141
	v_fma_f32 v113, v113, v177, -v114
	v_mul_f32_e32 v114, v116, v170
	s_waitcnt vmcnt(43)
	v_fmac_f32_e32 v143, v126, v183
	v_add_f32_e32 v137, v137, v142
	v_add_f32_e32 v113, 0, v113
	v_fma_f32 v114, v115, v178, -v114
	s_waitcnt vmcnt(42)
	v_fmac_f32_e32 v144, v128, v184
	v_add_f32_e32 v137, v137, v143
	s_waitcnt vmcnt(41) lgkmcnt(1)
	v_mul_f32_e32 v138, v129, v185
	v_add_f32_e32 v113, v113, v114
	v_mul_f32_e32 v114, v118, v171
	v_add_f32_e32 v137, v137, v144
	s_waitcnt vmcnt(40)
	v_fmac_f32_e32 v138, v130, v186
	v_fma_f32 v114, v117, v179, -v114
	v_add_f32_e32 v137, v137, v138
	s_waitcnt vmcnt(39)
	v_mul_f32_e32 v138, v131, v187
	v_add_f32_e32 v113, v113, v114
	v_mul_f32_e32 v114, v120, v172
	s_waitcnt vmcnt(38)
	v_fmac_f32_e32 v138, v132, v188
	v_fma_f32 v114, v119, v180, -v114
	v_add_f32_e32 v137, v137, v138
	s_waitcnt vmcnt(37) lgkmcnt(0)
	v_mul_f32_e32 v138, v133, v189
	v_add_f32_e32 v113, v113, v114
	v_mul_f32_e32 v114, v122, v173
	s_waitcnt vmcnt(36)
	v_fmac_f32_e32 v138, v134, v190
	v_fma_f32 v114, v121, v181, -v114
	v_add_f32_e32 v141, v137, v138
	ds_read2_b64 v[137:140], v112 offset0:95 offset1:96
	v_add_f32_e32 v113, v113, v114
	v_mul_f32_e32 v114, v124, v174
	v_fma_f32 v114, v123, v182, -v114
	s_waitcnt vmcnt(35)
	v_mul_f32_e32 v142, v135, v191
	v_add_f32_e32 v113, v113, v114
	v_mul_f32_e32 v114, v126, v175
	s_waitcnt vmcnt(34)
	v_fmac_f32_e32 v142, v136, v192
	v_fma_f32 v114, v125, v183, -v114
	v_add_f32_e32 v145, v141, v142
	ds_read2_b64 v[141:144], v112 offset0:97 offset1:98
	v_add_f32_e32 v113, v113, v114
	v_mul_f32_e32 v114, v128, v176
	s_waitcnt vmcnt(33) lgkmcnt(1)
	v_mul_f32_e32 v146, v137, v193
	v_fma_f32 v114, v127, v184, -v114
	s_waitcnt vmcnt(32)
	v_fmac_f32_e32 v146, v138, v194
	v_add_f32_e32 v113, v113, v114
	v_mul_f32_e32 v114, v130, v185
	v_add_f32_e32 v145, v145, v146
	s_waitcnt vmcnt(31)
	v_mul_f32_e32 v146, v139, v195
	v_fma_f32 v114, v129, v186, -v114
	s_waitcnt vmcnt(30)
	v_fmac_f32_e32 v146, v140, v196
	v_add_f32_e32 v113, v113, v114
	v_mul_f32_e32 v114, v132, v187
	v_add_f32_e32 v145, v145, v146
	s_waitcnt vmcnt(29) lgkmcnt(0)
	v_mul_f32_e32 v146, v141, v197
	v_fma_f32 v114, v131, v188, -v114
	s_waitcnt vmcnt(28)
	v_fmac_f32_e32 v146, v142, v198
	v_add_f32_e32 v113, v113, v114
	v_mul_f32_e32 v114, v134, v189
	v_add_f32_e32 v149, v145, v146
	ds_read2_b64 v[145:148], v112 offset0:99 offset1:100
	v_fma_f32 v114, v133, v190, -v114
	v_add_f32_e32 v113, v113, v114
	v_mul_f32_e32 v114, v136, v191
	s_waitcnt vmcnt(25)
	v_mul_f32_e32 v150, v143, v201
	v_fma_f32 v114, v135, v192, -v114
	s_waitcnt vmcnt(24)
	v_fmac_f32_e32 v150, v144, v202
	v_add_f32_e32 v113, v113, v114
	v_mul_f32_e32 v114, v138, v193
	v_add_f32_e32 v153, v149, v150
	ds_read2_b64 v[149:152], v112 offset0:101 offset1:102
	v_fma_f32 v114, v137, v194, -v114
	s_waitcnt vmcnt(23) lgkmcnt(1)
	v_mul_f32_e32 v154, v145, v203
	v_add_f32_e32 v113, v113, v114
	v_mul_f32_e32 v114, v140, v195
	s_waitcnt vmcnt(22)
	v_fmac_f32_e32 v154, v146, v204
	v_fma_f32 v114, v139, v196, -v114
	v_add_f32_e32 v153, v153, v154
	s_waitcnt vmcnt(20)
	v_mul_f32_e32 v154, v147, v206
	v_add_f32_e32 v113, v113, v114
	v_mul_f32_e32 v114, v142, v197
	v_fmac_f32_e32 v154, v148, v205
	v_fma_f32 v114, v141, v198, -v114
	v_add_f32_e32 v153, v153, v154
	s_waitcnt vmcnt(18) lgkmcnt(0)
	v_mul_f32_e32 v154, v149, v208
	v_add_f32_e32 v113, v113, v114
	v_mul_f32_e32 v114, v144, v201
	v_fmac_f32_e32 v154, v150, v207
	v_fma_f32 v114, v143, v202, -v114
	v_add_f32_e32 v157, v153, v154
	ds_read2_b64 v[153:156], v112 offset0:103 offset1:104
	v_add_f32_e32 v113, v113, v114
	v_mul_f32_e32 v114, v146, v203
	v_fma_f32 v114, v145, v204, -v114
	s_waitcnt vmcnt(17)
	v_mul_f32_e32 v158, v151, v209
	v_add_f32_e32 v113, v113, v114
	v_mul_f32_e32 v114, v148, v206
	s_waitcnt vmcnt(16)
	v_fmac_f32_e32 v158, v152, v210
	v_fma_f32 v114, v147, v205, -v114
	v_add_f32_e32 v161, v157, v158
	ds_read2_b64 v[157:160], v112 offset0:105 offset1:106
	v_add_f32_e32 v113, v113, v114
	v_mul_f32_e32 v114, v150, v208
	s_waitcnt vmcnt(14) lgkmcnt(1)
	v_mul_f32_e32 v162, v153, v212
	v_fma_f32 v114, v149, v207, -v114
	v_fmac_f32_e32 v162, v154, v211
	v_add_f32_e32 v113, v113, v114
	v_mul_f32_e32 v114, v152, v209
	v_add_f32_e32 v161, v161, v162
	s_waitcnt vmcnt(12)
	v_mul_f32_e32 v162, v155, v214
	v_fma_f32 v114, v151, v210, -v114
	v_fmac_f32_e32 v162, v156, v213
	v_add_f32_e32 v113, v113, v114
	v_mul_f32_e32 v114, v154, v212
	v_add_f32_e32 v161, v161, v162
	s_waitcnt vmcnt(10) lgkmcnt(0)
	v_mul_f32_e32 v162, v157, v216
	v_fma_f32 v114, v153, v211, -v114
	v_fmac_f32_e32 v162, v158, v215
	v_add_f32_e32 v113, v113, v114
	v_mul_f32_e32 v114, v156, v214
	v_add_f32_e32 v165, v161, v162
	ds_read2_b64 v[161:164], v112 offset0:107 offset1:108
	v_fma_f32 v114, v155, v213, -v114
	v_add_f32_e32 v113, v113, v114
	v_mul_f32_e32 v114, v158, v216
	s_waitcnt vmcnt(8)
	v_mul_f32_e32 v166, v159, v218
	v_fma_f32 v114, v157, v215, -v114
	v_fmac_f32_e32 v166, v160, v217
	v_add_f32_e32 v113, v113, v114
	v_mul_f32_e32 v114, v160, v218
	v_add_f32_e32 v227, v165, v166
	ds_read2_b64 v[165:168], v112 offset0:109 offset1:110
	v_fma_f32 v114, v159, v217, -v114
	v_add_f32_e32 v113, v113, v114
	s_waitcnt vmcnt(6) lgkmcnt(1)
	v_mul_f32_e32 v114, v162, v220
	v_mul_f32_e32 v112, v161, v220
	v_fma_f32 v114, v161, v219, -v114
	v_fmac_f32_e32 v112, v162, v219
	v_add_f32_e32 v113, v113, v114
	s_waitcnt vmcnt(4)
	v_mul_f32_e32 v114, v164, v222
	v_add_f32_e32 v112, v227, v112
	v_mul_f32_e32 v227, v163, v222
	v_fma_f32 v114, v163, v221, -v114
	v_fmac_f32_e32 v227, v164, v221
	v_add_f32_e32 v113, v113, v114
	s_waitcnt vmcnt(2) lgkmcnt(0)
	v_mul_f32_e32 v114, v166, v224
	v_add_f32_e32 v112, v112, v227
	v_mul_f32_e32 v227, v165, v224
	v_fma_f32 v114, v165, v223, -v114
	v_fmac_f32_e32 v227, v166, v223
	v_add_f32_e32 v113, v113, v114
	s_waitcnt vmcnt(0)
	v_mul_f32_e32 v114, v168, v226
	v_add_f32_e32 v112, v112, v227
	v_mul_f32_e32 v227, v167, v226
	v_fma_f32 v114, v167, v225, -v114
	v_fmac_f32_e32 v227, v168, v225
	v_add_f32_e32 v113, v113, v114
	v_add_f32_e32 v112, v112, v227
	v_sub_f32_e32 v113, v199, v113
	v_sub_f32_e32 v112, v200, v112
	buffer_store_dword v113, off, s[0:3], 0 offset:208
	buffer_store_dword v112, off, s[0:3], 0 offset:212
	s_and_saveexec_b64 s[4:5], vcc
	s_cbranch_execz .LBB118_293
; %bb.292:
	buffer_load_dword v112, off, s[0:3], 0 offset:200
	buffer_load_dword v113, off, s[0:3], 0 offset:204
	v_mov_b32_e32 v114, 0
	buffer_store_dword v114, off, s[0:3], 0 offset:200
	buffer_store_dword v114, off, s[0:3], 0 offset:204
	s_waitcnt vmcnt(2)
	ds_write_b64 v111, v[112:113]
.LBB118_293:
	s_or_b64 exec, exec, s[4:5]
	s_waitcnt lgkmcnt(0)
	; wave barrier
	buffer_load_dword v171, off, s[0:3], 0 offset:212
	buffer_load_dword v172, off, s[0:3], 0 offset:220
	;; [unrolled: 1-line block ×60, first 2 shown]
	v_mov_b32_e32 v112, 0
	ds_read_b128 v[113:116], v112 offset:656
	ds_read_b128 v[117:120], v112 offset:672
	;; [unrolled: 1-line block ×5, first 2 shown]
	v_cmp_lt_u32_e32 vcc, 24, v0
	s_waitcnt vmcnt(59) lgkmcnt(4)
	v_mul_f32_e32 v133, v113, v171
	s_waitcnt vmcnt(58)
	v_mul_f32_e32 v134, v115, v172
	s_waitcnt vmcnt(57) lgkmcnt(3)
	v_mul_f32_e32 v135, v117, v173
	s_waitcnt vmcnt(56)
	v_mul_f32_e32 v136, v119, v174
	;; [unrolled: 4-line block ×3, first 2 shown]
	s_waitcnt vmcnt(53) lgkmcnt(1)
	v_mul_f32_e32 v139, v125, v177
	s_waitcnt vmcnt(52)
	v_fmac_f32_e32 v133, v114, v178
	s_waitcnt vmcnt(51)
	v_fmac_f32_e32 v134, v116, v179
	v_add_f32_e32 v133, 0, v133
	s_waitcnt vmcnt(50)
	v_fmac_f32_e32 v135, v118, v180
	v_add_f32_e32 v133, v133, v134
	;; [unrolled: 3-line block ×6, first 2 shown]
	s_waitcnt vmcnt(45)
	v_mul_f32_e32 v134, v127, v185
	v_add_f32_e32 v133, v133, v139
	s_waitcnt vmcnt(44)
	v_fmac_f32_e32 v134, v128, v186
	v_mul_f32_e32 v114, v114, v171
	v_add_f32_e32 v137, v133, v134
	ds_read_b128 v[133:136], v112 offset:736
	v_fma_f32 v113, v113, v178, -v114
	v_mul_f32_e32 v114, v116, v172
	s_waitcnt vmcnt(43) lgkmcnt(1)
	v_mul_f32_e32 v138, v129, v187
	v_add_f32_e32 v113, 0, v113
	v_fma_f32 v114, v115, v179, -v114
	s_waitcnt vmcnt(42)
	v_fmac_f32_e32 v138, v130, v188
	v_add_f32_e32 v113, v113, v114
	v_mul_f32_e32 v114, v118, v173
	v_add_f32_e32 v137, v137, v138
	s_waitcnt vmcnt(41)
	v_mul_f32_e32 v138, v131, v189
	v_fma_f32 v114, v117, v180, -v114
	s_waitcnt vmcnt(40)
	v_fmac_f32_e32 v138, v132, v190
	v_add_f32_e32 v113, v113, v114
	v_mul_f32_e32 v114, v120, v174
	v_add_f32_e32 v137, v137, v138
	s_waitcnt vmcnt(39) lgkmcnt(0)
	v_mul_f32_e32 v138, v133, v191
	v_fma_f32 v114, v119, v181, -v114
	s_waitcnt vmcnt(38)
	v_fmac_f32_e32 v138, v134, v192
	v_add_f32_e32 v113, v113, v114
	v_mul_f32_e32 v114, v122, v175
	v_add_f32_e32 v141, v137, v138
	ds_read_b128 v[137:140], v112 offset:752
	v_fma_f32 v114, v121, v182, -v114
	v_add_f32_e32 v113, v113, v114
	v_mul_f32_e32 v114, v124, v176
	s_waitcnt vmcnt(37)
	v_mul_f32_e32 v142, v135, v193
	v_fma_f32 v114, v123, v183, -v114
	s_waitcnt vmcnt(36)
	v_fmac_f32_e32 v142, v136, v194
	v_add_f32_e32 v113, v113, v114
	v_mul_f32_e32 v114, v126, v177
	v_add_f32_e32 v145, v141, v142
	ds_read_b128 v[141:144], v112 offset:768
	v_fma_f32 v114, v125, v184, -v114
	s_waitcnt vmcnt(34) lgkmcnt(1)
	v_mul_f32_e32 v146, v137, v196
	v_add_f32_e32 v113, v113, v114
	v_mul_f32_e32 v114, v128, v185
	v_fmac_f32_e32 v146, v138, v195
	v_fma_f32 v114, v127, v186, -v114
	v_add_f32_e32 v145, v145, v146
	s_waitcnt vmcnt(31)
	v_mul_f32_e32 v146, v139, v199
	v_add_f32_e32 v113, v113, v114
	v_mul_f32_e32 v114, v130, v187
	s_waitcnt vmcnt(30)
	v_fmac_f32_e32 v146, v140, v200
	v_fma_f32 v114, v129, v188, -v114
	v_add_f32_e32 v145, v145, v146
	s_waitcnt vmcnt(28) lgkmcnt(0)
	v_mul_f32_e32 v146, v141, v202
	v_add_f32_e32 v113, v113, v114
	v_mul_f32_e32 v114, v132, v189
	v_fmac_f32_e32 v146, v142, v201
	v_fma_f32 v114, v131, v190, -v114
	v_add_f32_e32 v149, v145, v146
	ds_read_b128 v[145:148], v112 offset:784
	v_add_f32_e32 v113, v113, v114
	v_mul_f32_e32 v114, v134, v191
	v_fma_f32 v114, v133, v192, -v114
	s_waitcnt vmcnt(26)
	v_mul_f32_e32 v150, v143, v204
	v_add_f32_e32 v113, v113, v114
	v_mul_f32_e32 v114, v136, v193
	v_fmac_f32_e32 v150, v144, v203
	v_fma_f32 v114, v135, v194, -v114
	v_add_f32_e32 v153, v149, v150
	ds_read_b128 v[149:152], v112 offset:800
	v_add_f32_e32 v113, v113, v114
	v_mul_f32_e32 v114, v138, v196
	s_waitcnt vmcnt(24) lgkmcnt(1)
	v_mul_f32_e32 v154, v145, v206
	v_fma_f32 v114, v137, v195, -v114
	v_fmac_f32_e32 v154, v146, v205
	v_add_f32_e32 v113, v113, v114
	v_mul_f32_e32 v114, v140, v199
	v_add_f32_e32 v153, v153, v154
	s_waitcnt vmcnt(22)
	v_mul_f32_e32 v154, v147, v208
	v_fma_f32 v114, v139, v200, -v114
	v_fmac_f32_e32 v154, v148, v207
	v_add_f32_e32 v113, v113, v114
	v_mul_f32_e32 v114, v142, v202
	v_add_f32_e32 v153, v153, v154
	s_waitcnt vmcnt(20) lgkmcnt(0)
	v_mul_f32_e32 v154, v149, v210
	v_fma_f32 v114, v141, v201, -v114
	v_fmac_f32_e32 v154, v150, v209
	v_add_f32_e32 v113, v113, v114
	v_mul_f32_e32 v114, v144, v204
	v_add_f32_e32 v157, v153, v154
	ds_read_b128 v[153:156], v112 offset:816
	v_fma_f32 v114, v143, v203, -v114
	v_add_f32_e32 v113, v113, v114
	v_mul_f32_e32 v114, v146, v206
	s_waitcnt vmcnt(18)
	v_mul_f32_e32 v158, v151, v212
	v_fma_f32 v114, v145, v205, -v114
	v_fmac_f32_e32 v158, v152, v211
	v_add_f32_e32 v113, v113, v114
	v_mul_f32_e32 v114, v148, v208
	v_add_f32_e32 v161, v157, v158
	ds_read_b128 v[157:160], v112 offset:832
	v_fma_f32 v114, v147, v207, -v114
	s_waitcnt vmcnt(16) lgkmcnt(1)
	v_mul_f32_e32 v162, v153, v214
	v_add_f32_e32 v113, v113, v114
	v_mul_f32_e32 v114, v150, v210
	v_fmac_f32_e32 v162, v154, v213
	v_fma_f32 v114, v149, v209, -v114
	v_add_f32_e32 v161, v161, v162
	s_waitcnt vmcnt(14)
	v_mul_f32_e32 v162, v155, v216
	v_add_f32_e32 v113, v113, v114
	v_mul_f32_e32 v114, v152, v212
	v_fmac_f32_e32 v162, v156, v215
	v_fma_f32 v114, v151, v211, -v114
	v_add_f32_e32 v161, v161, v162
	s_waitcnt vmcnt(12) lgkmcnt(0)
	v_mul_f32_e32 v162, v157, v218
	v_add_f32_e32 v113, v113, v114
	v_mul_f32_e32 v114, v154, v214
	v_fmac_f32_e32 v162, v158, v217
	v_fma_f32 v114, v153, v213, -v114
	v_add_f32_e32 v165, v161, v162
	ds_read_b128 v[161:164], v112 offset:848
	v_add_f32_e32 v113, v113, v114
	v_mul_f32_e32 v114, v156, v216
	v_fma_f32 v114, v155, v215, -v114
	v_add_f32_e32 v113, v113, v114
	v_mul_f32_e32 v114, v158, v218
	s_waitcnt vmcnt(10)
	v_mul_f32_e32 v166, v159, v220
	v_fma_f32 v114, v157, v217, -v114
	v_fmac_f32_e32 v166, v160, v219
	v_add_f32_e32 v113, v113, v114
	v_mul_f32_e32 v114, v160, v220
	v_add_f32_e32 v169, v165, v166
	ds_read_b128 v[165:168], v112 offset:864
	s_waitcnt vmcnt(8) lgkmcnt(1)
	v_mul_f32_e32 v170, v161, v222
	v_fma_f32 v114, v159, v219, -v114
	v_fmac_f32_e32 v170, v162, v221
	v_add_f32_e32 v113, v113, v114
	v_mul_f32_e32 v114, v162, v222
	v_add_f32_e32 v169, v169, v170
	s_waitcnt vmcnt(6)
	v_mul_f32_e32 v170, v163, v224
	v_fma_f32 v114, v161, v221, -v114
	v_fmac_f32_e32 v170, v164, v223
	v_add_f32_e32 v113, v113, v114
	v_mul_f32_e32 v114, v164, v224
	v_add_f32_e32 v231, v169, v170
	ds_read_b64 v[169:170], v112 offset:880
	v_fma_f32 v114, v163, v223, -v114
	v_add_f32_e32 v113, v113, v114
	s_waitcnt vmcnt(4) lgkmcnt(1)
	v_mul_f32_e32 v114, v166, v226
	v_mul_f32_e32 v232, v165, v226
	v_fma_f32 v114, v165, v225, -v114
	v_fmac_f32_e32 v232, v166, v225
	v_add_f32_e32 v113, v113, v114
	s_waitcnt vmcnt(2)
	v_mul_f32_e32 v114, v168, v228
	v_add_f32_e32 v231, v231, v232
	v_mul_f32_e32 v232, v167, v228
	v_fma_f32 v114, v167, v227, -v114
	v_fmac_f32_e32 v232, v168, v227
	v_add_f32_e32 v113, v113, v114
	s_waitcnt vmcnt(0) lgkmcnt(0)
	v_mul_f32_e32 v114, v170, v230
	v_add_f32_e32 v231, v231, v232
	v_mul_f32_e32 v232, v169, v230
	v_fma_f32 v114, v169, v229, -v114
	v_fmac_f32_e32 v232, v170, v229
	v_add_f32_e32 v113, v113, v114
	v_add_f32_e32 v231, v231, v232
	v_sub_f32_e32 v113, v197, v113
	v_sub_f32_e32 v114, v198, v231
	buffer_store_dword v113, off, s[0:3], 0 offset:200
	buffer_store_dword v114, off, s[0:3], 0 offset:204
	s_and_saveexec_b64 s[4:5], vcc
	s_cbranch_execz .LBB118_295
; %bb.294:
	buffer_load_dword v113, off, s[0:3], 0 offset:192
	buffer_load_dword v114, off, s[0:3], 0 offset:196
	s_waitcnt vmcnt(0)
	ds_write_b64 v111, v[113:114]
	buffer_store_dword v112, off, s[0:3], 0 offset:192
	buffer_store_dword v112, off, s[0:3], 0 offset:196
.LBB118_295:
	s_or_b64 exec, exec, s[4:5]
	s_waitcnt lgkmcnt(0)
	; wave barrier
	buffer_load_dword v173, off, s[0:3], 0 offset:204
	buffer_load_dword v174, off, s[0:3], 0 offset:212
	;; [unrolled: 1-line block ×32, first 2 shown]
	ds_read2_b64 v[113:116], v112 offset0:81 offset1:82
	ds_read2_b64 v[117:120], v112 offset0:83 offset1:84
	;; [unrolled: 1-line block ×4, first 2 shown]
	buffer_load_dword v205, off, s[0:3], 0 offset:324
	buffer_load_dword v206, off, s[0:3], 0 offset:320
	;; [unrolled: 1-line block ×30, first 2 shown]
	v_cmp_lt_u32_e32 vcc, 23, v0
	s_waitcnt vmcnt(61) lgkmcnt(3)
	v_mul_f32_e32 v129, v113, v173
	s_waitcnt vmcnt(60)
	v_mul_f32_e32 v130, v115, v174
	s_waitcnt vmcnt(59) lgkmcnt(2)
	v_mul_f32_e32 v131, v117, v175
	s_waitcnt vmcnt(58)
	v_mul_f32_e32 v132, v119, v176
	;; [unrolled: 4-line block ×3, first 2 shown]
	s_waitcnt vmcnt(55) lgkmcnt(0)
	v_mul_f32_e32 v135, v125, v179
	s_waitcnt vmcnt(54)
	v_fmac_f32_e32 v129, v114, v180
	s_waitcnt vmcnt(53)
	v_fmac_f32_e32 v130, v116, v181
	v_add_f32_e32 v129, 0, v129
	s_waitcnt vmcnt(52)
	v_fmac_f32_e32 v131, v118, v182
	v_add_f32_e32 v129, v129, v130
	;; [unrolled: 3-line block ×6, first 2 shown]
	v_add_f32_e32 v133, v129, v135
	ds_read2_b64 v[129:132], v112 offset0:89 offset1:90
	s_waitcnt vmcnt(47)
	v_mul_f32_e32 v134, v127, v187
	s_waitcnt vmcnt(46)
	v_fmac_f32_e32 v134, v128, v188
	v_mul_f32_e32 v114, v114, v173
	v_add_f32_e32 v137, v133, v134
	ds_read2_b64 v[133:136], v112 offset0:91 offset1:92
	v_fma_f32 v113, v113, v180, -v114
	v_mul_f32_e32 v114, v116, v174
	s_waitcnt vmcnt(45) lgkmcnt(1)
	v_mul_f32_e32 v138, v129, v189
	v_add_f32_e32 v113, 0, v113
	v_fma_f32 v114, v115, v181, -v114
	s_waitcnt vmcnt(44)
	v_fmac_f32_e32 v138, v130, v190
	v_add_f32_e32 v113, v113, v114
	v_mul_f32_e32 v114, v118, v175
	v_add_f32_e32 v137, v137, v138
	s_waitcnt vmcnt(43)
	v_mul_f32_e32 v138, v131, v191
	v_fma_f32 v114, v117, v182, -v114
	s_waitcnt vmcnt(42)
	v_fmac_f32_e32 v138, v132, v192
	v_add_f32_e32 v113, v113, v114
	v_mul_f32_e32 v114, v120, v176
	v_add_f32_e32 v137, v137, v138
	s_waitcnt vmcnt(41) lgkmcnt(0)
	v_mul_f32_e32 v138, v133, v193
	v_fma_f32 v114, v119, v183, -v114
	s_waitcnt vmcnt(40)
	v_fmac_f32_e32 v138, v134, v194
	v_add_f32_e32 v113, v113, v114
	v_mul_f32_e32 v114, v122, v177
	v_add_f32_e32 v141, v137, v138
	ds_read2_b64 v[137:140], v112 offset0:93 offset1:94
	v_fma_f32 v114, v121, v184, -v114
	v_add_f32_e32 v113, v113, v114
	v_mul_f32_e32 v114, v124, v178
	s_waitcnt vmcnt(39)
	v_mul_f32_e32 v142, v135, v195
	v_fma_f32 v114, v123, v185, -v114
	s_waitcnt vmcnt(38)
	v_fmac_f32_e32 v142, v136, v196
	v_add_f32_e32 v113, v113, v114
	v_mul_f32_e32 v114, v126, v179
	v_add_f32_e32 v145, v141, v142
	ds_read2_b64 v[141:144], v112 offset0:95 offset1:96
	v_fma_f32 v114, v125, v186, -v114
	s_waitcnt vmcnt(35) lgkmcnt(1)
	v_mul_f32_e32 v146, v137, v199
	v_add_f32_e32 v113, v113, v114
	v_mul_f32_e32 v114, v128, v187
	s_waitcnt vmcnt(34)
	v_fmac_f32_e32 v146, v138, v200
	v_fma_f32 v114, v127, v188, -v114
	v_add_f32_e32 v145, v145, v146
	s_waitcnt vmcnt(32)
	v_mul_f32_e32 v146, v139, v202
	v_add_f32_e32 v113, v113, v114
	v_mul_f32_e32 v114, v130, v189
	v_fmac_f32_e32 v146, v140, v201
	v_fma_f32 v114, v129, v190, -v114
	v_add_f32_e32 v145, v145, v146
	s_waitcnt vmcnt(30) lgkmcnt(0)
	v_mul_f32_e32 v146, v141, v204
	v_add_f32_e32 v113, v113, v114
	v_mul_f32_e32 v114, v132, v191
	v_fmac_f32_e32 v146, v142, v203
	v_fma_f32 v114, v131, v192, -v114
	v_add_f32_e32 v149, v145, v146
	ds_read2_b64 v[145:148], v112 offset0:97 offset1:98
	v_add_f32_e32 v113, v113, v114
	v_mul_f32_e32 v114, v134, v193
	v_fma_f32 v114, v133, v194, -v114
	s_waitcnt vmcnt(29)
	v_mul_f32_e32 v150, v143, v205
	v_add_f32_e32 v113, v113, v114
	v_mul_f32_e32 v114, v136, v195
	s_waitcnt vmcnt(28)
	v_fmac_f32_e32 v150, v144, v206
	v_fma_f32 v114, v135, v196, -v114
	v_add_f32_e32 v153, v149, v150
	ds_read2_b64 v[149:152], v112 offset0:99 offset1:100
	v_add_f32_e32 v113, v113, v114
	v_mul_f32_e32 v114, v138, v199
	s_waitcnt vmcnt(26) lgkmcnt(1)
	v_mul_f32_e32 v154, v145, v208
	v_fma_f32 v114, v137, v200, -v114
	v_fmac_f32_e32 v154, v146, v207
	v_add_f32_e32 v113, v113, v114
	v_mul_f32_e32 v114, v140, v202
	v_add_f32_e32 v153, v153, v154
	s_waitcnt vmcnt(24)
	v_mul_f32_e32 v154, v147, v210
	v_fma_f32 v114, v139, v201, -v114
	v_fmac_f32_e32 v154, v148, v209
	v_add_f32_e32 v113, v113, v114
	v_mul_f32_e32 v114, v142, v204
	v_add_f32_e32 v153, v153, v154
	s_waitcnt vmcnt(22) lgkmcnt(0)
	v_mul_f32_e32 v154, v149, v212
	v_fma_f32 v114, v141, v203, -v114
	v_fmac_f32_e32 v154, v150, v211
	v_add_f32_e32 v113, v113, v114
	v_mul_f32_e32 v114, v144, v205
	v_add_f32_e32 v157, v153, v154
	ds_read2_b64 v[153:156], v112 offset0:101 offset1:102
	v_fma_f32 v114, v143, v206, -v114
	v_add_f32_e32 v113, v113, v114
	v_mul_f32_e32 v114, v146, v208
	s_waitcnt vmcnt(20)
	v_mul_f32_e32 v158, v151, v214
	v_fma_f32 v114, v145, v207, -v114
	v_fmac_f32_e32 v158, v152, v213
	v_add_f32_e32 v113, v113, v114
	v_mul_f32_e32 v114, v148, v210
	v_add_f32_e32 v161, v157, v158
	ds_read2_b64 v[157:160], v112 offset0:103 offset1:104
	v_fma_f32 v114, v147, v209, -v114
	s_waitcnt vmcnt(18) lgkmcnt(1)
	v_mul_f32_e32 v162, v153, v216
	v_add_f32_e32 v113, v113, v114
	v_mul_f32_e32 v114, v150, v212
	v_fmac_f32_e32 v162, v154, v215
	v_fma_f32 v114, v149, v211, -v114
	v_add_f32_e32 v161, v161, v162
	s_waitcnt vmcnt(16)
	v_mul_f32_e32 v162, v155, v218
	v_add_f32_e32 v113, v113, v114
	v_mul_f32_e32 v114, v152, v214
	v_fmac_f32_e32 v162, v156, v217
	v_fma_f32 v114, v151, v213, -v114
	v_add_f32_e32 v161, v161, v162
	s_waitcnt vmcnt(14) lgkmcnt(0)
	v_mul_f32_e32 v162, v157, v220
	v_add_f32_e32 v113, v113, v114
	v_mul_f32_e32 v114, v154, v216
	v_fmac_f32_e32 v162, v158, v219
	v_fma_f32 v114, v153, v215, -v114
	v_add_f32_e32 v165, v161, v162
	ds_read2_b64 v[161:164], v112 offset0:105 offset1:106
	v_add_f32_e32 v113, v113, v114
	v_mul_f32_e32 v114, v156, v218
	v_fma_f32 v114, v155, v217, -v114
	v_add_f32_e32 v113, v113, v114
	v_mul_f32_e32 v114, v158, v220
	s_waitcnt vmcnt(12)
	v_mul_f32_e32 v166, v159, v222
	v_fma_f32 v114, v157, v219, -v114
	v_fmac_f32_e32 v166, v160, v221
	v_add_f32_e32 v113, v113, v114
	v_mul_f32_e32 v114, v160, v222
	v_add_f32_e32 v169, v165, v166
	ds_read2_b64 v[165:168], v112 offset0:107 offset1:108
	s_waitcnt vmcnt(10) lgkmcnt(1)
	v_mul_f32_e32 v170, v161, v224
	v_fma_f32 v114, v159, v221, -v114
	v_fmac_f32_e32 v170, v162, v223
	v_add_f32_e32 v113, v113, v114
	v_mul_f32_e32 v114, v162, v224
	v_add_f32_e32 v169, v169, v170
	s_waitcnt vmcnt(8)
	v_mul_f32_e32 v170, v163, v226
	v_fma_f32 v114, v161, v223, -v114
	v_fmac_f32_e32 v170, v164, v225
	v_add_f32_e32 v113, v113, v114
	v_mul_f32_e32 v114, v164, v226
	v_add_f32_e32 v235, v169, v170
	ds_read2_b64 v[169:172], v112 offset0:109 offset1:110
	v_fma_f32 v114, v163, v225, -v114
	v_add_f32_e32 v113, v113, v114
	s_waitcnt vmcnt(6) lgkmcnt(1)
	v_mul_f32_e32 v114, v166, v228
	v_mul_f32_e32 v236, v165, v228
	v_fma_f32 v114, v165, v227, -v114
	v_fmac_f32_e32 v236, v166, v227
	v_add_f32_e32 v113, v113, v114
	s_waitcnt vmcnt(4)
	v_mul_f32_e32 v114, v168, v230
	v_add_f32_e32 v112, v235, v236
	v_mul_f32_e32 v235, v167, v230
	v_fma_f32 v114, v167, v229, -v114
	v_fmac_f32_e32 v235, v168, v229
	v_add_f32_e32 v113, v113, v114
	s_waitcnt vmcnt(2) lgkmcnt(0)
	v_mul_f32_e32 v114, v170, v232
	v_add_f32_e32 v112, v112, v235
	v_mul_f32_e32 v235, v169, v232
	v_fma_f32 v114, v169, v231, -v114
	v_fmac_f32_e32 v235, v170, v231
	v_add_f32_e32 v113, v113, v114
	s_waitcnt vmcnt(0)
	v_mul_f32_e32 v114, v172, v234
	v_add_f32_e32 v112, v112, v235
	v_mul_f32_e32 v235, v171, v234
	v_fma_f32 v114, v171, v233, -v114
	v_fmac_f32_e32 v235, v172, v233
	v_add_f32_e32 v113, v113, v114
	v_add_f32_e32 v112, v112, v235
	v_sub_f32_e32 v113, v197, v113
	v_sub_f32_e32 v112, v198, v112
	buffer_store_dword v113, off, s[0:3], 0 offset:192
	buffer_store_dword v112, off, s[0:3], 0 offset:196
	s_and_saveexec_b64 s[4:5], vcc
	s_cbranch_execz .LBB118_297
; %bb.296:
	buffer_load_dword v112, off, s[0:3], 0 offset:184
	buffer_load_dword v113, off, s[0:3], 0 offset:188
	v_mov_b32_e32 v114, 0
	buffer_store_dword v114, off, s[0:3], 0 offset:184
	buffer_store_dword v114, off, s[0:3], 0 offset:188
	s_waitcnt vmcnt(2)
	ds_write_b64 v111, v[112:113]
.LBB118_297:
	s_or_b64 exec, exec, s[4:5]
	s_waitcnt lgkmcnt(0)
	; wave barrier
	buffer_load_dword v175, off, s[0:3], 0 offset:196
	buffer_load_dword v176, off, s[0:3], 0 offset:204
	;; [unrolled: 1-line block ×56, first 2 shown]
	v_mov_b32_e32 v112, 0
	ds_read_b128 v[113:116], v112 offset:640
	buffer_load_dword v231, off, s[0:3], 0 offset:408
	buffer_load_dword v232, off, s[0:3], 0 offset:412
	;; [unrolled: 1-line block ×4, first 2 shown]
	ds_read_b128 v[117:120], v112 offset:656
	ds_read_b128 v[121:124], v112 offset:672
	;; [unrolled: 1-line block ×3, first 2 shown]
	v_cmp_lt_u32_e32 vcc, 22, v0
	s_waitcnt vmcnt(59) lgkmcnt(3)
	v_mul_f32_e32 v129, v113, v175
	s_waitcnt vmcnt(58)
	v_mul_f32_e32 v130, v115, v176
	s_waitcnt vmcnt(57) lgkmcnt(2)
	v_mul_f32_e32 v131, v117, v177
	s_waitcnt vmcnt(56)
	v_mul_f32_e32 v132, v119, v178
	;; [unrolled: 4-line block ×4, first 2 shown]
	s_waitcnt vmcnt(51)
	v_fmac_f32_e32 v129, v114, v183
	s_waitcnt vmcnt(50)
	v_fmac_f32_e32 v130, v116, v184
	v_add_f32_e32 v129, 0, v129
	s_waitcnt vmcnt(49)
	v_fmac_f32_e32 v131, v118, v185
	v_add_f32_e32 v129, v129, v130
	s_waitcnt vmcnt(48)
	v_fmac_f32_e32 v132, v120, v186
	v_add_f32_e32 v129, v129, v131
	s_waitcnt vmcnt(47)
	v_fmac_f32_e32 v133, v122, v187
	v_add_f32_e32 v129, v129, v132
	s_waitcnt vmcnt(46)
	v_fmac_f32_e32 v134, v124, v188
	v_add_f32_e32 v129, v129, v133
	s_waitcnt vmcnt(45)
	v_fmac_f32_e32 v135, v126, v189
	v_add_f32_e32 v129, v129, v134
	v_add_f32_e32 v133, v129, v135
	ds_read_b128 v[129:132], v112 offset:704
	buffer_load_dword v235, off, s[0:3], 0 offset:428
	buffer_load_dword v236, off, s[0:3], 0 offset:424
	;; [unrolled: 1-line block ×4, first 2 shown]
	s_waitcnt vmcnt(48)
	v_fmac_f32_e32 v136, v128, v190
	v_add_f32_e32 v137, v133, v136
	ds_read_b128 v[133:136], v112 offset:720
	s_waitcnt vmcnt(47) lgkmcnt(1)
	v_mul_f32_e32 v138, v129, v191
	v_mul_f32_e32 v114, v114, v175
	s_waitcnt vmcnt(46)
	v_fmac_f32_e32 v138, v130, v192
	v_fma_f32 v113, v113, v183, -v114
	v_mul_f32_e32 v114, v116, v176
	v_add_f32_e32 v137, v137, v138
	s_waitcnt vmcnt(45)
	v_mul_f32_e32 v138, v131, v193
	v_add_f32_e32 v113, 0, v113
	v_fma_f32 v114, v115, v184, -v114
	s_waitcnt vmcnt(44)
	v_fmac_f32_e32 v138, v132, v194
	v_add_f32_e32 v113, v113, v114
	v_mul_f32_e32 v114, v118, v177
	v_add_f32_e32 v137, v137, v138
	s_waitcnt vmcnt(42) lgkmcnt(0)
	v_mul_f32_e32 v138, v133, v196
	v_fma_f32 v114, v117, v185, -v114
	v_fmac_f32_e32 v138, v134, v195
	v_add_f32_e32 v113, v113, v114
	v_mul_f32_e32 v114, v120, v178
	v_add_f32_e32 v141, v137, v138
	ds_read_b128 v[137:140], v112 offset:736
	v_fma_f32 v114, v119, v186, -v114
	v_add_f32_e32 v113, v113, v114
	v_mul_f32_e32 v114, v122, v179
	s_waitcnt vmcnt(39)
	v_mul_f32_e32 v142, v135, v199
	v_fma_f32 v114, v121, v187, -v114
	s_waitcnt vmcnt(38)
	v_fmac_f32_e32 v142, v136, v200
	v_add_f32_e32 v113, v113, v114
	v_mul_f32_e32 v114, v124, v180
	v_add_f32_e32 v145, v141, v142
	ds_read_b128 v[141:144], v112 offset:752
	v_fma_f32 v114, v123, v188, -v114
	s_waitcnt vmcnt(36) lgkmcnt(1)
	v_mul_f32_e32 v146, v137, v202
	v_add_f32_e32 v113, v113, v114
	v_mul_f32_e32 v114, v126, v181
	v_fmac_f32_e32 v146, v138, v201
	v_fma_f32 v114, v125, v189, -v114
	v_add_f32_e32 v145, v145, v146
	s_waitcnt vmcnt(34)
	v_mul_f32_e32 v146, v139, v204
	v_add_f32_e32 v113, v113, v114
	v_mul_f32_e32 v114, v128, v182
	v_fmac_f32_e32 v146, v140, v203
	v_fma_f32 v114, v127, v190, -v114
	v_add_f32_e32 v145, v145, v146
	s_waitcnt vmcnt(32) lgkmcnt(0)
	v_mul_f32_e32 v146, v141, v206
	v_add_f32_e32 v113, v113, v114
	v_mul_f32_e32 v114, v130, v191
	v_fmac_f32_e32 v146, v142, v205
	v_fma_f32 v114, v129, v192, -v114
	v_add_f32_e32 v149, v145, v146
	ds_read_b128 v[145:148], v112 offset:768
	v_add_f32_e32 v113, v113, v114
	v_mul_f32_e32 v114, v132, v193
	v_fma_f32 v114, v131, v194, -v114
	s_waitcnt vmcnt(30)
	v_mul_f32_e32 v150, v143, v208
	v_add_f32_e32 v113, v113, v114
	v_mul_f32_e32 v114, v134, v196
	v_fmac_f32_e32 v150, v144, v207
	v_fma_f32 v114, v133, v195, -v114
	v_add_f32_e32 v153, v149, v150
	ds_read_b128 v[149:152], v112 offset:784
	v_add_f32_e32 v113, v113, v114
	v_mul_f32_e32 v114, v136, v199
	s_waitcnt vmcnt(28) lgkmcnt(1)
	v_mul_f32_e32 v154, v145, v210
	v_fma_f32 v114, v135, v200, -v114
	v_fmac_f32_e32 v154, v146, v209
	v_add_f32_e32 v113, v113, v114
	v_mul_f32_e32 v114, v138, v202
	v_add_f32_e32 v153, v153, v154
	s_waitcnt vmcnt(26)
	v_mul_f32_e32 v154, v147, v212
	v_fma_f32 v114, v137, v201, -v114
	v_fmac_f32_e32 v154, v148, v211
	v_add_f32_e32 v113, v113, v114
	v_mul_f32_e32 v114, v140, v204
	v_add_f32_e32 v153, v153, v154
	s_waitcnt vmcnt(24) lgkmcnt(0)
	v_mul_f32_e32 v154, v149, v214
	v_fma_f32 v114, v139, v203, -v114
	v_fmac_f32_e32 v154, v150, v213
	v_add_f32_e32 v113, v113, v114
	v_mul_f32_e32 v114, v142, v206
	v_add_f32_e32 v157, v153, v154
	ds_read_b128 v[153:156], v112 offset:800
	v_fma_f32 v114, v141, v205, -v114
	v_add_f32_e32 v113, v113, v114
	v_mul_f32_e32 v114, v144, v208
	s_waitcnt vmcnt(22)
	v_mul_f32_e32 v158, v151, v216
	v_fma_f32 v114, v143, v207, -v114
	v_fmac_f32_e32 v158, v152, v215
	v_add_f32_e32 v113, v113, v114
	v_mul_f32_e32 v114, v146, v210
	v_add_f32_e32 v161, v157, v158
	ds_read_b128 v[157:160], v112 offset:816
	v_fma_f32 v114, v145, v209, -v114
	s_waitcnt vmcnt(20) lgkmcnt(1)
	v_mul_f32_e32 v162, v153, v218
	v_add_f32_e32 v113, v113, v114
	v_mul_f32_e32 v114, v148, v212
	v_fmac_f32_e32 v162, v154, v217
	v_fma_f32 v114, v147, v211, -v114
	v_add_f32_e32 v161, v161, v162
	s_waitcnt vmcnt(18)
	v_mul_f32_e32 v162, v155, v220
	v_add_f32_e32 v113, v113, v114
	v_mul_f32_e32 v114, v150, v214
	v_fmac_f32_e32 v162, v156, v219
	v_fma_f32 v114, v149, v213, -v114
	v_add_f32_e32 v161, v161, v162
	s_waitcnt vmcnt(16) lgkmcnt(0)
	v_mul_f32_e32 v162, v157, v222
	v_add_f32_e32 v113, v113, v114
	v_mul_f32_e32 v114, v152, v216
	v_fmac_f32_e32 v162, v158, v221
	v_fma_f32 v114, v151, v215, -v114
	v_add_f32_e32 v165, v161, v162
	ds_read_b128 v[161:164], v112 offset:832
	v_add_f32_e32 v113, v113, v114
	v_mul_f32_e32 v114, v154, v218
	v_fma_f32 v114, v153, v217, -v114
	s_waitcnt vmcnt(14)
	v_mul_f32_e32 v166, v159, v224
	v_add_f32_e32 v113, v113, v114
	v_mul_f32_e32 v114, v156, v220
	v_fmac_f32_e32 v166, v160, v223
	v_fma_f32 v114, v155, v219, -v114
	v_add_f32_e32 v169, v165, v166
	ds_read_b128 v[165:168], v112 offset:848
	v_add_f32_e32 v113, v113, v114
	v_mul_f32_e32 v114, v158, v222
	s_waitcnt vmcnt(12) lgkmcnt(1)
	v_mul_f32_e32 v170, v161, v226
	v_fma_f32 v114, v157, v221, -v114
	v_fmac_f32_e32 v170, v162, v225
	v_add_f32_e32 v113, v113, v114
	v_mul_f32_e32 v114, v160, v224
	v_add_f32_e32 v169, v169, v170
	s_waitcnt vmcnt(10)
	v_mul_f32_e32 v170, v163, v228
	v_fma_f32 v114, v159, v223, -v114
	v_fmac_f32_e32 v170, v164, v227
	v_add_f32_e32 v113, v113, v114
	v_mul_f32_e32 v114, v162, v226
	v_add_f32_e32 v169, v169, v170
	s_waitcnt vmcnt(8) lgkmcnt(0)
	v_mul_f32_e32 v170, v165, v230
	v_fma_f32 v114, v161, v225, -v114
	v_fmac_f32_e32 v170, v166, v229
	v_add_f32_e32 v113, v113, v114
	v_mul_f32_e32 v114, v164, v228
	v_add_f32_e32 v173, v169, v170
	ds_read_b128 v[169:172], v112 offset:864
	v_fma_f32 v114, v163, v227, -v114
	v_add_f32_e32 v113, v113, v114
	v_mul_f32_e32 v114, v166, v230
	s_waitcnt vmcnt(6)
	v_mul_f32_e32 v174, v167, v232
	v_fma_f32 v114, v165, v229, -v114
	v_fmac_f32_e32 v174, v168, v231
	v_add_f32_e32 v113, v113, v114
	v_mul_f32_e32 v114, v168, v232
	v_add_f32_e32 v239, v173, v174
	ds_read_b64 v[173:174], v112 offset:880
	v_fma_f32 v114, v167, v231, -v114
	v_add_f32_e32 v113, v113, v114
	s_waitcnt vmcnt(4) lgkmcnt(1)
	v_mul_f32_e32 v114, v170, v234
	v_mul_f32_e32 v240, v169, v234
	v_fma_f32 v114, v169, v233, -v114
	v_fmac_f32_e32 v240, v170, v233
	v_add_f32_e32 v113, v113, v114
	s_waitcnt vmcnt(3)
	v_mul_f32_e32 v114, v172, v235
	v_add_f32_e32 v239, v239, v240
	v_mul_f32_e32 v240, v171, v235
	s_waitcnt vmcnt(2)
	v_fma_f32 v114, v171, v236, -v114
	v_fmac_f32_e32 v240, v172, v236
	v_add_f32_e32 v113, v113, v114
	s_waitcnt vmcnt(0) lgkmcnt(0)
	v_mul_f32_e32 v114, v174, v238
	v_add_f32_e32 v239, v239, v240
	v_mul_f32_e32 v240, v173, v238
	v_fma_f32 v114, v173, v237, -v114
	v_fmac_f32_e32 v240, v174, v237
	v_add_f32_e32 v113, v113, v114
	v_add_f32_e32 v239, v239, v240
	v_sub_f32_e32 v113, v197, v113
	v_sub_f32_e32 v114, v198, v239
	buffer_store_dword v113, off, s[0:3], 0 offset:184
	buffer_store_dword v114, off, s[0:3], 0 offset:188
	s_and_saveexec_b64 s[4:5], vcc
	s_cbranch_execz .LBB118_299
; %bb.298:
	buffer_load_dword v113, off, s[0:3], 0 offset:176
	buffer_load_dword v114, off, s[0:3], 0 offset:180
	s_waitcnt vmcnt(0)
	ds_write_b64 v111, v[113:114]
	buffer_store_dword v112, off, s[0:3], 0 offset:176
	buffer_store_dword v112, off, s[0:3], 0 offset:180
.LBB118_299:
	s_or_b64 exec, exec, s[4:5]
	s_waitcnt lgkmcnt(0)
	; wave barrier
	buffer_load_dword v177, off, s[0:3], 0 offset:188
	buffer_load_dword v178, off, s[0:3], 0 offset:196
	buffer_load_dword v179, off, s[0:3], 0 offset:204
	buffer_load_dword v180, off, s[0:3], 0 offset:212
	buffer_load_dword v181, off, s[0:3], 0 offset:220
	buffer_load_dword v182, off, s[0:3], 0 offset:228
	buffer_load_dword v183, off, s[0:3], 0 offset:236
	buffer_load_dword v184, off, s[0:3], 0 offset:244
	buffer_load_dword v185, off, s[0:3], 0 offset:184
	buffer_load_dword v186, off, s[0:3], 0 offset:192
	buffer_load_dword v187, off, s[0:3], 0 offset:200
	buffer_load_dword v188, off, s[0:3], 0 offset:208
	buffer_load_dword v189, off, s[0:3], 0 offset:216
	buffer_load_dword v190, off, s[0:3], 0 offset:224
	buffer_load_dword v191, off, s[0:3], 0 offset:232
	buffer_load_dword v192, off, s[0:3], 0 offset:240
	buffer_load_dword v193, off, s[0:3], 0 offset:252
	buffer_load_dword v194, off, s[0:3], 0 offset:248
	buffer_load_dword v195, off, s[0:3], 0 offset:256
	buffer_load_dword v196, off, s[0:3], 0 offset:260
	buffer_load_dword v197, off, s[0:3], 0 offset:176
	buffer_load_dword v198, off, s[0:3], 0 offset:180
	buffer_load_dword v199, off, s[0:3], 0 offset:268
	buffer_load_dword v200, off, s[0:3], 0 offset:264
	buffer_load_dword v201, off, s[0:3], 0 offset:272
	buffer_load_dword v202, off, s[0:3], 0 offset:276
	ds_read2_b64 v[113:116], v112 offset0:79 offset1:80
	ds_read2_b64 v[117:120], v112 offset0:81 offset1:82
	;; [unrolled: 1-line block ×4, first 2 shown]
	buffer_load_dword v203, off, s[0:3], 0 offset:284
	buffer_load_dword v204, off, s[0:3], 0 offset:280
	;; [unrolled: 1-line block ×34, first 2 shown]
	v_cmp_lt_u32_e32 vcc, 21, v0
	s_waitcnt vmcnt(59) lgkmcnt(3)
	v_mul_f32_e32 v129, v113, v177
	s_waitcnt vmcnt(58)
	v_mul_f32_e32 v130, v115, v178
	s_waitcnt vmcnt(57) lgkmcnt(2)
	v_mul_f32_e32 v131, v117, v179
	s_waitcnt vmcnt(56)
	v_mul_f32_e32 v132, v119, v180
	;; [unrolled: 4-line block ×4, first 2 shown]
	s_waitcnt vmcnt(51)
	v_fmac_f32_e32 v129, v114, v185
	s_waitcnt vmcnt(50)
	v_fmac_f32_e32 v130, v116, v186
	v_add_f32_e32 v129, 0, v129
	s_waitcnt vmcnt(49)
	v_fmac_f32_e32 v131, v118, v187
	v_add_f32_e32 v129, v129, v130
	;; [unrolled: 3-line block ×7, first 2 shown]
	v_add_f32_e32 v137, v129, v136
	ds_read2_b64 v[129:132], v112 offset0:87 offset1:88
	buffer_load_dword v237, off, s[0:3], 0 offset:420
	buffer_load_dword v238, off, s[0:3], 0 offset:416
	;; [unrolled: 1-line block ×4, first 2 shown]
	ds_read2_b64 v[133:136], v112 offset0:89 offset1:90
	buffer_load_dword v241, off, s[0:3], 0 offset:432
	buffer_load_dword v242, off, s[0:3], 0 offset:436
	v_mul_f32_e32 v114, v114, v177
	s_waitcnt vmcnt(49) lgkmcnt(1)
	v_mul_f32_e32 v138, v129, v193
	s_waitcnt vmcnt(48)
	v_fmac_f32_e32 v138, v130, v194
	v_fma_f32 v113, v113, v185, -v114
	v_mul_f32_e32 v114, v116, v178
	v_add_f32_e32 v137, v137, v138
	s_waitcnt vmcnt(46)
	v_mul_f32_e32 v138, v131, v196
	v_add_f32_e32 v113, 0, v113
	v_fma_f32 v114, v115, v186, -v114
	v_fmac_f32_e32 v138, v132, v195
	v_add_f32_e32 v113, v113, v114
	v_mul_f32_e32 v114, v118, v179
	v_add_f32_e32 v137, v137, v138
	s_waitcnt vmcnt(43) lgkmcnt(0)
	v_mul_f32_e32 v138, v133, v199
	v_fma_f32 v114, v117, v187, -v114
	s_waitcnt vmcnt(42)
	v_fmac_f32_e32 v138, v134, v200
	v_add_f32_e32 v113, v113, v114
	v_mul_f32_e32 v114, v120, v180
	v_add_f32_e32 v141, v137, v138
	ds_read2_b64 v[137:140], v112 offset0:91 offset1:92
	v_fma_f32 v114, v119, v188, -v114
	v_add_f32_e32 v113, v113, v114
	v_mul_f32_e32 v114, v122, v181
	s_waitcnt vmcnt(40)
	v_mul_f32_e32 v142, v135, v202
	v_fma_f32 v114, v121, v189, -v114
	v_fmac_f32_e32 v142, v136, v201
	v_add_f32_e32 v113, v113, v114
	v_mul_f32_e32 v114, v124, v182
	v_add_f32_e32 v145, v141, v142
	ds_read2_b64 v[141:144], v112 offset0:93 offset1:94
	v_fma_f32 v114, v123, v190, -v114
	s_waitcnt vmcnt(39) lgkmcnt(1)
	v_mul_f32_e32 v146, v137, v203
	v_add_f32_e32 v113, v113, v114
	v_mul_f32_e32 v114, v126, v183
	s_waitcnt vmcnt(38)
	v_fmac_f32_e32 v146, v138, v204
	v_fma_f32 v114, v125, v191, -v114
	v_add_f32_e32 v145, v145, v146
	s_waitcnt vmcnt(36)
	v_mul_f32_e32 v146, v139, v206
	v_add_f32_e32 v113, v113, v114
	v_mul_f32_e32 v114, v128, v184
	v_fmac_f32_e32 v146, v140, v205
	v_fma_f32 v114, v127, v192, -v114
	v_add_f32_e32 v145, v145, v146
	s_waitcnt vmcnt(34) lgkmcnt(0)
	v_mul_f32_e32 v146, v141, v208
	v_add_f32_e32 v113, v113, v114
	v_mul_f32_e32 v114, v130, v193
	v_fmac_f32_e32 v146, v142, v207
	v_fma_f32 v114, v129, v194, -v114
	v_add_f32_e32 v149, v145, v146
	ds_read2_b64 v[145:148], v112 offset0:95 offset1:96
	v_add_f32_e32 v113, v113, v114
	v_mul_f32_e32 v114, v132, v196
	v_fma_f32 v114, v131, v195, -v114
	s_waitcnt vmcnt(32)
	v_mul_f32_e32 v150, v143, v210
	v_add_f32_e32 v113, v113, v114
	v_mul_f32_e32 v114, v134, v199
	v_fmac_f32_e32 v150, v144, v209
	v_fma_f32 v114, v133, v200, -v114
	v_add_f32_e32 v153, v149, v150
	ds_read2_b64 v[149:152], v112 offset0:97 offset1:98
	v_add_f32_e32 v113, v113, v114
	v_mul_f32_e32 v114, v136, v202
	s_waitcnt vmcnt(30) lgkmcnt(1)
	v_mul_f32_e32 v154, v145, v212
	v_fma_f32 v114, v135, v201, -v114
	v_fmac_f32_e32 v154, v146, v211
	v_add_f32_e32 v113, v113, v114
	v_mul_f32_e32 v114, v138, v203
	v_add_f32_e32 v153, v153, v154
	s_waitcnt vmcnt(28)
	v_mul_f32_e32 v154, v147, v214
	v_fma_f32 v114, v137, v204, -v114
	v_fmac_f32_e32 v154, v148, v213
	v_add_f32_e32 v113, v113, v114
	v_mul_f32_e32 v114, v140, v206
	v_add_f32_e32 v153, v153, v154
	s_waitcnt vmcnt(26) lgkmcnt(0)
	v_mul_f32_e32 v154, v149, v216
	v_fma_f32 v114, v139, v205, -v114
	v_fmac_f32_e32 v154, v150, v215
	v_add_f32_e32 v113, v113, v114
	v_mul_f32_e32 v114, v142, v208
	v_add_f32_e32 v157, v153, v154
	ds_read2_b64 v[153:156], v112 offset0:99 offset1:100
	v_fma_f32 v114, v141, v207, -v114
	v_add_f32_e32 v113, v113, v114
	v_mul_f32_e32 v114, v144, v210
	s_waitcnt vmcnt(24)
	v_mul_f32_e32 v158, v151, v218
	v_fma_f32 v114, v143, v209, -v114
	v_fmac_f32_e32 v158, v152, v217
	v_add_f32_e32 v113, v113, v114
	v_mul_f32_e32 v114, v146, v212
	v_add_f32_e32 v161, v157, v158
	ds_read2_b64 v[157:160], v112 offset0:101 offset1:102
	v_fma_f32 v114, v145, v211, -v114
	s_waitcnt vmcnt(22) lgkmcnt(1)
	v_mul_f32_e32 v162, v153, v220
	v_add_f32_e32 v113, v113, v114
	v_mul_f32_e32 v114, v148, v214
	v_fmac_f32_e32 v162, v154, v219
	v_fma_f32 v114, v147, v213, -v114
	v_add_f32_e32 v161, v161, v162
	s_waitcnt vmcnt(20)
	v_mul_f32_e32 v162, v155, v222
	v_add_f32_e32 v113, v113, v114
	v_mul_f32_e32 v114, v150, v216
	v_fmac_f32_e32 v162, v156, v221
	v_fma_f32 v114, v149, v215, -v114
	v_add_f32_e32 v161, v161, v162
	s_waitcnt vmcnt(18) lgkmcnt(0)
	v_mul_f32_e32 v162, v157, v224
	v_add_f32_e32 v113, v113, v114
	v_mul_f32_e32 v114, v152, v218
	v_fmac_f32_e32 v162, v158, v223
	v_fma_f32 v114, v151, v217, -v114
	v_add_f32_e32 v165, v161, v162
	ds_read2_b64 v[161:164], v112 offset0:103 offset1:104
	v_add_f32_e32 v113, v113, v114
	v_mul_f32_e32 v114, v154, v220
	v_fma_f32 v114, v153, v219, -v114
	s_waitcnt vmcnt(16)
	v_mul_f32_e32 v166, v159, v226
	v_add_f32_e32 v113, v113, v114
	v_mul_f32_e32 v114, v156, v222
	v_fmac_f32_e32 v166, v160, v225
	v_fma_f32 v114, v155, v221, -v114
	v_add_f32_e32 v169, v165, v166
	ds_read2_b64 v[165:168], v112 offset0:105 offset1:106
	v_add_f32_e32 v113, v113, v114
	v_mul_f32_e32 v114, v158, v224
	s_waitcnt vmcnt(14) lgkmcnt(1)
	v_mul_f32_e32 v170, v161, v228
	v_fma_f32 v114, v157, v223, -v114
	v_fmac_f32_e32 v170, v162, v227
	v_add_f32_e32 v113, v113, v114
	v_mul_f32_e32 v114, v160, v226
	v_add_f32_e32 v169, v169, v170
	s_waitcnt vmcnt(12)
	v_mul_f32_e32 v170, v163, v230
	v_fma_f32 v114, v159, v225, -v114
	v_fmac_f32_e32 v170, v164, v229
	v_add_f32_e32 v113, v113, v114
	v_mul_f32_e32 v114, v162, v228
	v_add_f32_e32 v169, v169, v170
	s_waitcnt vmcnt(10) lgkmcnt(0)
	v_mul_f32_e32 v170, v165, v232
	v_fma_f32 v114, v161, v227, -v114
	v_fmac_f32_e32 v170, v166, v231
	v_add_f32_e32 v113, v113, v114
	v_mul_f32_e32 v114, v164, v230
	v_add_f32_e32 v173, v169, v170
	ds_read2_b64 v[169:172], v112 offset0:107 offset1:108
	v_fma_f32 v114, v163, v229, -v114
	v_add_f32_e32 v113, v113, v114
	v_mul_f32_e32 v114, v166, v232
	s_waitcnt vmcnt(8)
	v_mul_f32_e32 v174, v167, v234
	v_fma_f32 v114, v165, v231, -v114
	v_fmac_f32_e32 v174, v168, v233
	v_add_f32_e32 v113, v113, v114
	v_mul_f32_e32 v114, v168, v234
	v_add_f32_e32 v243, v173, v174
	ds_read2_b64 v[173:176], v112 offset0:109 offset1:110
	v_fma_f32 v114, v167, v233, -v114
	v_add_f32_e32 v113, v113, v114
	s_waitcnt vmcnt(6) lgkmcnt(1)
	v_mul_f32_e32 v114, v170, v236
	v_mul_f32_e32 v112, v169, v236
	v_fma_f32 v114, v169, v235, -v114
	v_fmac_f32_e32 v112, v170, v235
	v_add_f32_e32 v113, v113, v114
	s_waitcnt vmcnt(5)
	v_mul_f32_e32 v114, v172, v237
	v_add_f32_e32 v112, v243, v112
	v_mul_f32_e32 v243, v171, v237
	s_waitcnt vmcnt(4)
	v_fma_f32 v114, v171, v238, -v114
	v_fmac_f32_e32 v243, v172, v238
	v_add_f32_e32 v113, v113, v114
	s_waitcnt vmcnt(2) lgkmcnt(0)
	v_mul_f32_e32 v114, v174, v240
	v_add_f32_e32 v112, v112, v243
	v_mul_f32_e32 v243, v173, v240
	v_fma_f32 v114, v173, v239, -v114
	v_fmac_f32_e32 v243, v174, v239
	v_add_f32_e32 v113, v113, v114
	s_waitcnt vmcnt(0)
	v_mul_f32_e32 v114, v176, v242
	v_add_f32_e32 v112, v112, v243
	v_mul_f32_e32 v243, v175, v242
	v_fma_f32 v114, v175, v241, -v114
	v_fmac_f32_e32 v243, v176, v241
	v_add_f32_e32 v113, v113, v114
	v_add_f32_e32 v112, v112, v243
	v_sub_f32_e32 v113, v197, v113
	v_sub_f32_e32 v112, v198, v112
	buffer_store_dword v113, off, s[0:3], 0 offset:176
	buffer_store_dword v112, off, s[0:3], 0 offset:180
	s_and_saveexec_b64 s[4:5], vcc
	s_cbranch_execz .LBB118_301
; %bb.300:
	buffer_load_dword v112, off, s[0:3], 0 offset:168
	buffer_load_dword v113, off, s[0:3], 0 offset:172
	v_mov_b32_e32 v114, 0
	buffer_store_dword v114, off, s[0:3], 0 offset:168
	buffer_store_dword v114, off, s[0:3], 0 offset:172
	s_waitcnt vmcnt(2)
	ds_write_b64 v111, v[112:113]
.LBB118_301:
	s_or_b64 exec, exec, s[4:5]
	s_waitcnt lgkmcnt(0)
	; wave barrier
	buffer_load_dword v179, off, s[0:3], 0 offset:180
	buffer_load_dword v180, off, s[0:3], 0 offset:188
	;; [unrolled: 1-line block ×58, first 2 shown]
	v_mov_b32_e32 v112, 0
	ds_read_b128 v[113:116], v112 offset:624
	ds_read_b128 v[117:120], v112 offset:640
	;; [unrolled: 1-line block ×5, first 2 shown]
	buffer_load_dword v237, off, s[0:3], 0 offset:400
	buffer_load_dword v238, off, s[0:3], 0 offset:404
	v_cmp_lt_u32_e32 vcc, 20, v0
	s_waitcnt vmcnt(59) lgkmcnt(4)
	v_mul_f32_e32 v133, v113, v179
	s_waitcnt vmcnt(58)
	v_mul_f32_e32 v134, v115, v180
	s_waitcnt vmcnt(57) lgkmcnt(3)
	v_mul_f32_e32 v135, v117, v181
	s_waitcnt vmcnt(56)
	v_mul_f32_e32 v136, v119, v182
	;; [unrolled: 4-line block ×4, first 2 shown]
	s_waitcnt vmcnt(51)
	v_fmac_f32_e32 v133, v114, v187
	s_waitcnt vmcnt(50)
	v_fmac_f32_e32 v134, v116, v188
	v_add_f32_e32 v133, 0, v133
	s_waitcnt vmcnt(49)
	v_fmac_f32_e32 v135, v118, v189
	v_add_f32_e32 v133, v133, v134
	;; [unrolled: 3-line block ×7, first 2 shown]
	v_add_f32_e32 v137, v133, v140
	ds_read_b128 v[133:136], v112 offset:704
	buffer_load_dword v239, off, s[0:3], 0 offset:412
	buffer_load_dword v240, off, s[0:3], 0 offset:408
	buffer_load_dword v241, off, s[0:3], 0 offset:416
	buffer_load_dword v242, off, s[0:3], 0 offset:420
	buffer_load_dword v243, off, s[0:3], 0 offset:428
	buffer_load_dword v244, off, s[0:3], 0 offset:424
	buffer_load_dword v245, off, s[0:3], 0 offset:432
	buffer_load_dword v246, off, s[0:3], 0 offset:436
	s_waitcnt vmcnt(51) lgkmcnt(1)
	v_mul_f32_e32 v138, v129, v195
	s_waitcnt vmcnt(50)
	v_fmac_f32_e32 v138, v130, v196
	v_mul_f32_e32 v114, v114, v179
	v_add_f32_e32 v137, v137, v138
	s_waitcnt vmcnt(49)
	v_mul_f32_e32 v138, v131, v197
	v_fma_f32 v113, v113, v187, -v114
	v_mul_f32_e32 v114, v116, v180
	s_waitcnt vmcnt(46)
	v_fmac_f32_e32 v138, v132, v200
	v_add_f32_e32 v113, 0, v113
	v_fma_f32 v114, v115, v188, -v114
	v_add_f32_e32 v137, v137, v138
	s_waitcnt vmcnt(44) lgkmcnt(0)
	v_mul_f32_e32 v138, v133, v202
	v_add_f32_e32 v113, v113, v114
	v_mul_f32_e32 v114, v118, v181
	v_fmac_f32_e32 v138, v134, v201
	v_fma_f32 v114, v117, v189, -v114
	v_add_f32_e32 v141, v137, v138
	ds_read_b128 v[137:140], v112 offset:720
	v_add_f32_e32 v113, v113, v114
	v_mul_f32_e32 v114, v120, v182
	v_fma_f32 v114, v119, v190, -v114
	s_waitcnt vmcnt(42)
	v_mul_f32_e32 v142, v135, v204
	v_add_f32_e32 v113, v113, v114
	v_mul_f32_e32 v114, v122, v183
	v_fmac_f32_e32 v142, v136, v203
	v_fma_f32 v114, v121, v191, -v114
	v_add_f32_e32 v145, v141, v142
	ds_read_b128 v[141:144], v112 offset:736
	v_add_f32_e32 v113, v113, v114
	v_mul_f32_e32 v114, v124, v184
	s_waitcnt vmcnt(40) lgkmcnt(1)
	v_mul_f32_e32 v146, v137, v206
	v_fma_f32 v114, v123, v192, -v114
	v_fmac_f32_e32 v146, v138, v205
	v_add_f32_e32 v113, v113, v114
	v_mul_f32_e32 v114, v126, v185
	v_add_f32_e32 v145, v145, v146
	s_waitcnt vmcnt(38)
	v_mul_f32_e32 v146, v139, v208
	v_fma_f32 v114, v125, v193, -v114
	v_fmac_f32_e32 v146, v140, v207
	v_add_f32_e32 v113, v113, v114
	v_mul_f32_e32 v114, v128, v186
	v_add_f32_e32 v145, v145, v146
	s_waitcnt vmcnt(36) lgkmcnt(0)
	v_mul_f32_e32 v146, v141, v210
	v_fma_f32 v114, v127, v194, -v114
	v_fmac_f32_e32 v146, v142, v209
	v_add_f32_e32 v113, v113, v114
	v_mul_f32_e32 v114, v130, v195
	v_add_f32_e32 v149, v145, v146
	ds_read_b128 v[145:148], v112 offset:752
	v_fma_f32 v114, v129, v196, -v114
	v_add_f32_e32 v113, v113, v114
	v_mul_f32_e32 v114, v132, v197
	s_waitcnt vmcnt(34)
	v_mul_f32_e32 v150, v143, v212
	v_fma_f32 v114, v131, v200, -v114
	v_fmac_f32_e32 v150, v144, v211
	v_add_f32_e32 v113, v113, v114
	v_mul_f32_e32 v114, v134, v202
	v_add_f32_e32 v153, v149, v150
	ds_read_b128 v[149:152], v112 offset:768
	v_fma_f32 v114, v133, v201, -v114
	s_waitcnt vmcnt(32) lgkmcnt(1)
	v_mul_f32_e32 v154, v145, v214
	v_add_f32_e32 v113, v113, v114
	v_mul_f32_e32 v114, v136, v204
	v_fmac_f32_e32 v154, v146, v213
	v_fma_f32 v114, v135, v203, -v114
	v_add_f32_e32 v153, v153, v154
	s_waitcnt vmcnt(30)
	v_mul_f32_e32 v154, v147, v216
	v_add_f32_e32 v113, v113, v114
	v_mul_f32_e32 v114, v138, v206
	v_fmac_f32_e32 v154, v148, v215
	v_fma_f32 v114, v137, v205, -v114
	v_add_f32_e32 v153, v153, v154
	s_waitcnt vmcnt(28) lgkmcnt(0)
	v_mul_f32_e32 v154, v149, v218
	v_add_f32_e32 v113, v113, v114
	v_mul_f32_e32 v114, v140, v208
	v_fmac_f32_e32 v154, v150, v217
	v_fma_f32 v114, v139, v207, -v114
	v_add_f32_e32 v157, v153, v154
	ds_read_b128 v[153:156], v112 offset:784
	v_add_f32_e32 v113, v113, v114
	v_mul_f32_e32 v114, v142, v210
	v_fma_f32 v114, v141, v209, -v114
	s_waitcnt vmcnt(26)
	v_mul_f32_e32 v158, v151, v220
	v_add_f32_e32 v113, v113, v114
	v_mul_f32_e32 v114, v144, v212
	v_fmac_f32_e32 v158, v152, v219
	v_fma_f32 v114, v143, v211, -v114
	v_add_f32_e32 v161, v157, v158
	ds_read_b128 v[157:160], v112 offset:800
	v_add_f32_e32 v113, v113, v114
	v_mul_f32_e32 v114, v146, v214
	s_waitcnt vmcnt(24) lgkmcnt(1)
	v_mul_f32_e32 v162, v153, v222
	v_fma_f32 v114, v145, v213, -v114
	v_fmac_f32_e32 v162, v154, v221
	v_add_f32_e32 v113, v113, v114
	v_mul_f32_e32 v114, v148, v216
	v_add_f32_e32 v161, v161, v162
	s_waitcnt vmcnt(22)
	v_mul_f32_e32 v162, v155, v224
	v_fma_f32 v114, v147, v215, -v114
	v_fmac_f32_e32 v162, v156, v223
	v_add_f32_e32 v113, v113, v114
	v_mul_f32_e32 v114, v150, v218
	v_add_f32_e32 v161, v161, v162
	s_waitcnt vmcnt(20) lgkmcnt(0)
	v_mul_f32_e32 v162, v157, v226
	v_fma_f32 v114, v149, v217, -v114
	v_fmac_f32_e32 v162, v158, v225
	v_add_f32_e32 v113, v113, v114
	v_mul_f32_e32 v114, v152, v220
	v_add_f32_e32 v165, v161, v162
	ds_read_b128 v[161:164], v112 offset:816
	v_fma_f32 v114, v151, v219, -v114
	v_add_f32_e32 v113, v113, v114
	v_mul_f32_e32 v114, v154, v222
	s_waitcnt vmcnt(18)
	v_mul_f32_e32 v166, v159, v228
	v_fma_f32 v114, v153, v221, -v114
	v_fmac_f32_e32 v166, v160, v227
	v_add_f32_e32 v113, v113, v114
	v_mul_f32_e32 v114, v156, v224
	v_add_f32_e32 v169, v165, v166
	ds_read_b128 v[165:168], v112 offset:832
	v_fma_f32 v114, v155, v223, -v114
	s_waitcnt vmcnt(16) lgkmcnt(1)
	v_mul_f32_e32 v170, v161, v230
	v_add_f32_e32 v113, v113, v114
	v_mul_f32_e32 v114, v158, v226
	v_fmac_f32_e32 v170, v162, v229
	v_fma_f32 v114, v157, v225, -v114
	v_add_f32_e32 v169, v169, v170
	s_waitcnt vmcnt(14)
	v_mul_f32_e32 v170, v163, v232
	v_add_f32_e32 v113, v113, v114
	v_mul_f32_e32 v114, v160, v228
	v_fmac_f32_e32 v170, v164, v231
	v_fma_f32 v114, v159, v227, -v114
	v_add_f32_e32 v169, v169, v170
	s_waitcnt vmcnt(12) lgkmcnt(0)
	v_mul_f32_e32 v170, v165, v234
	v_add_f32_e32 v113, v113, v114
	v_mul_f32_e32 v114, v162, v230
	v_fmac_f32_e32 v170, v166, v233
	v_fma_f32 v114, v161, v229, -v114
	v_add_f32_e32 v173, v169, v170
	ds_read_b128 v[169:172], v112 offset:848
	v_add_f32_e32 v113, v113, v114
	v_mul_f32_e32 v114, v164, v232
	v_fma_f32 v114, v163, v231, -v114
	v_add_f32_e32 v113, v113, v114
	v_mul_f32_e32 v114, v166, v234
	s_waitcnt vmcnt(10)
	v_mul_f32_e32 v174, v167, v236
	v_fma_f32 v114, v165, v233, -v114
	v_fmac_f32_e32 v174, v168, v235
	v_add_f32_e32 v113, v113, v114
	v_mul_f32_e32 v114, v168, v236
	v_add_f32_e32 v177, v173, v174
	ds_read_b128 v[173:176], v112 offset:864
	s_waitcnt vmcnt(8) lgkmcnt(1)
	v_mul_f32_e32 v178, v169, v238
	v_fma_f32 v114, v167, v235, -v114
	v_fmac_f32_e32 v178, v170, v237
	v_add_f32_e32 v113, v113, v114
	v_mul_f32_e32 v114, v170, v238
	v_add_f32_e32 v177, v177, v178
	s_waitcnt vmcnt(7)
	v_mul_f32_e32 v178, v171, v239
	v_fma_f32 v114, v169, v237, -v114
	s_waitcnt vmcnt(6)
	v_fmac_f32_e32 v178, v172, v240
	v_add_f32_e32 v113, v113, v114
	v_mul_f32_e32 v114, v172, v239
	v_add_f32_e32 v247, v177, v178
	ds_read_b64 v[177:178], v112 offset:880
	v_fma_f32 v114, v171, v240, -v114
	v_add_f32_e32 v113, v113, v114
	s_waitcnt vmcnt(4) lgkmcnt(1)
	v_mul_f32_e32 v114, v174, v242
	v_mul_f32_e32 v248, v173, v242
	v_fma_f32 v114, v173, v241, -v114
	v_fmac_f32_e32 v248, v174, v241
	v_add_f32_e32 v113, v113, v114
	s_waitcnt vmcnt(3)
	v_mul_f32_e32 v114, v176, v243
	v_add_f32_e32 v247, v247, v248
	v_mul_f32_e32 v248, v175, v243
	s_waitcnt vmcnt(2)
	v_fma_f32 v114, v175, v244, -v114
	v_fmac_f32_e32 v248, v176, v244
	v_add_f32_e32 v113, v113, v114
	s_waitcnt vmcnt(0) lgkmcnt(0)
	v_mul_f32_e32 v114, v178, v246
	v_add_f32_e32 v247, v247, v248
	v_mul_f32_e32 v248, v177, v246
	v_fma_f32 v114, v177, v245, -v114
	v_fmac_f32_e32 v248, v178, v245
	v_add_f32_e32 v113, v113, v114
	v_add_f32_e32 v247, v247, v248
	v_sub_f32_e32 v113, v198, v113
	v_sub_f32_e32 v114, v199, v247
	buffer_store_dword v113, off, s[0:3], 0 offset:168
	buffer_store_dword v114, off, s[0:3], 0 offset:172
	s_and_saveexec_b64 s[4:5], vcc
	s_cbranch_execz .LBB118_303
; %bb.302:
	buffer_load_dword v113, off, s[0:3], 0 offset:160
	buffer_load_dword v114, off, s[0:3], 0 offset:164
	s_waitcnt vmcnt(0)
	ds_write_b64 v111, v[113:114]
	buffer_store_dword v112, off, s[0:3], 0 offset:160
	buffer_store_dword v112, off, s[0:3], 0 offset:164
.LBB118_303:
	s_or_b64 exec, exec, s[4:5]
	s_waitcnt lgkmcnt(0)
	; wave barrier
	buffer_load_dword v181, off, s[0:3], 0 offset:172
	buffer_load_dword v182, off, s[0:3], 0 offset:180
	;; [unrolled: 1-line block ×24, first 2 shown]
	ds_read2_b64 v[113:116], v112 offset0:77 offset1:78
	ds_read2_b64 v[117:120], v112 offset0:79 offset1:80
	ds_read2_b64 v[121:124], v112 offset0:81 offset1:82
	ds_read2_b64 v[125:128], v112 offset0:83 offset1:84
	ds_read2_b64 v[129:132], v112 offset0:85 offset1:86
	ds_read2_b64 v[133:136], v112 offset0:87 offset1:88
	buffer_load_dword v205, off, s[0:3], 0 offset:260
	buffer_load_dword v206, off, s[0:3], 0 offset:256
	;; [unrolled: 1-line block ×46, first 2 shown]
	v_cmp_lt_u32_e32 vcc, 19, v0
	s_waitcnt vmcnt(62) lgkmcnt(5)
	v_mul_f32_e32 v137, v113, v181
	v_mul_f32_e32 v138, v115, v182
	s_waitcnt lgkmcnt(4)
	v_mul_f32_e32 v139, v117, v183
	v_mul_f32_e32 v140, v119, v184
	s_waitcnt lgkmcnt(3)
	;; [unrolled: 3-line block ×3, first 2 shown]
	v_mul_f32_e32 v143, v125, v187
	v_mul_f32_e32 v144, v127, v188
	s_waitcnt vmcnt(61)
	v_fmac_f32_e32 v137, v114, v189
	s_waitcnt vmcnt(60)
	v_fmac_f32_e32 v138, v116, v190
	v_add_f32_e32 v137, 0, v137
	s_waitcnt vmcnt(59)
	v_fmac_f32_e32 v139, v118, v191
	v_add_f32_e32 v137, v137, v138
	s_waitcnt vmcnt(58)
	v_fmac_f32_e32 v140, v120, v192
	v_add_f32_e32 v137, v137, v139
	s_waitcnt vmcnt(57)
	v_fmac_f32_e32 v141, v122, v193
	v_add_f32_e32 v137, v137, v140
	s_waitcnt vmcnt(56)
	v_fmac_f32_e32 v142, v124, v194
	v_add_f32_e32 v137, v137, v141
	s_waitcnt vmcnt(55)
	v_fmac_f32_e32 v143, v126, v195
	v_add_f32_e32 v137, v137, v142
	s_waitcnt vmcnt(54)
	v_fmac_f32_e32 v144, v128, v196
	v_add_f32_e32 v137, v137, v143
	s_waitcnt vmcnt(53) lgkmcnt(1)
	v_mul_f32_e32 v138, v129, v197
	v_add_f32_e32 v137, v137, v144
	s_waitcnt vmcnt(52)
	v_fmac_f32_e32 v138, v130, v198
	v_mul_f32_e32 v114, v114, v181
	v_add_f32_e32 v137, v137, v138
	s_waitcnt vmcnt(51)
	v_mul_f32_e32 v138, v131, v199
	v_fma_f32 v113, v113, v189, -v114
	v_mul_f32_e32 v114, v116, v182
	s_waitcnt vmcnt(50)
	v_fmac_f32_e32 v138, v132, v200
	v_add_f32_e32 v113, 0, v113
	v_fma_f32 v114, v115, v190, -v114
	v_add_f32_e32 v137, v137, v138
	s_waitcnt vmcnt(47) lgkmcnt(0)
	v_mul_f32_e32 v138, v133, v203
	v_add_f32_e32 v113, v113, v114
	v_mul_f32_e32 v114, v118, v183
	s_waitcnt vmcnt(46)
	v_fmac_f32_e32 v138, v134, v204
	v_fma_f32 v114, v117, v191, -v114
	v_add_f32_e32 v141, v137, v138
	ds_read2_b64 v[137:140], v112 offset0:89 offset1:90
	v_add_f32_e32 v113, v113, v114
	v_mul_f32_e32 v114, v120, v184
	v_fma_f32 v114, v119, v192, -v114
	s_waitcnt vmcnt(45)
	v_mul_f32_e32 v142, v135, v205
	v_add_f32_e32 v113, v113, v114
	v_mul_f32_e32 v114, v122, v185
	s_waitcnt vmcnt(44)
	v_fmac_f32_e32 v142, v136, v206
	v_fma_f32 v114, v121, v193, -v114
	v_add_f32_e32 v145, v141, v142
	ds_read2_b64 v[141:144], v112 offset0:91 offset1:92
	v_add_f32_e32 v113, v113, v114
	v_mul_f32_e32 v114, v124, v186
	s_waitcnt vmcnt(42) lgkmcnt(1)
	v_mul_f32_e32 v146, v137, v208
	v_fma_f32 v114, v123, v194, -v114
	v_fmac_f32_e32 v146, v138, v207
	v_add_f32_e32 v113, v113, v114
	v_mul_f32_e32 v114, v126, v187
	v_add_f32_e32 v145, v145, v146
	s_waitcnt vmcnt(40)
	v_mul_f32_e32 v146, v139, v210
	v_fma_f32 v114, v125, v195, -v114
	v_fmac_f32_e32 v146, v140, v209
	v_add_f32_e32 v113, v113, v114
	v_mul_f32_e32 v114, v128, v188
	v_add_f32_e32 v145, v145, v146
	s_waitcnt vmcnt(38) lgkmcnt(0)
	v_mul_f32_e32 v146, v141, v212
	v_fma_f32 v114, v127, v196, -v114
	v_fmac_f32_e32 v146, v142, v211
	v_add_f32_e32 v113, v113, v114
	v_mul_f32_e32 v114, v130, v197
	v_add_f32_e32 v149, v145, v146
	ds_read2_b64 v[145:148], v112 offset0:93 offset1:94
	v_fma_f32 v114, v129, v198, -v114
	v_add_f32_e32 v113, v113, v114
	v_mul_f32_e32 v114, v132, v199
	s_waitcnt vmcnt(36)
	v_mul_f32_e32 v150, v143, v214
	v_fma_f32 v114, v131, v200, -v114
	v_fmac_f32_e32 v150, v144, v213
	v_add_f32_e32 v113, v113, v114
	v_mul_f32_e32 v114, v134, v203
	v_add_f32_e32 v153, v149, v150
	ds_read2_b64 v[149:152], v112 offset0:95 offset1:96
	v_fma_f32 v114, v133, v204, -v114
	s_waitcnt vmcnt(34) lgkmcnt(1)
	v_mul_f32_e32 v154, v145, v216
	v_add_f32_e32 v113, v113, v114
	v_mul_f32_e32 v114, v136, v205
	v_fmac_f32_e32 v154, v146, v215
	v_fma_f32 v114, v135, v206, -v114
	v_add_f32_e32 v153, v153, v154
	s_waitcnt vmcnt(32)
	v_mul_f32_e32 v154, v147, v218
	v_add_f32_e32 v113, v113, v114
	v_mul_f32_e32 v114, v138, v208
	v_fmac_f32_e32 v154, v148, v217
	v_fma_f32 v114, v137, v207, -v114
	v_add_f32_e32 v153, v153, v154
	s_waitcnt vmcnt(30) lgkmcnt(0)
	v_mul_f32_e32 v154, v149, v220
	v_add_f32_e32 v113, v113, v114
	v_mul_f32_e32 v114, v140, v210
	v_fmac_f32_e32 v154, v150, v219
	v_fma_f32 v114, v139, v209, -v114
	v_add_f32_e32 v157, v153, v154
	ds_read2_b64 v[153:156], v112 offset0:97 offset1:98
	v_add_f32_e32 v113, v113, v114
	v_mul_f32_e32 v114, v142, v212
	v_fma_f32 v114, v141, v211, -v114
	s_waitcnt vmcnt(28)
	v_mul_f32_e32 v158, v151, v222
	v_add_f32_e32 v113, v113, v114
	v_mul_f32_e32 v114, v144, v214
	v_fmac_f32_e32 v158, v152, v221
	v_fma_f32 v114, v143, v213, -v114
	v_add_f32_e32 v161, v157, v158
	ds_read2_b64 v[157:160], v112 offset0:99 offset1:100
	v_add_f32_e32 v113, v113, v114
	v_mul_f32_e32 v114, v146, v216
	s_waitcnt vmcnt(26) lgkmcnt(1)
	v_mul_f32_e32 v162, v153, v224
	v_fma_f32 v114, v145, v215, -v114
	v_fmac_f32_e32 v162, v154, v223
	v_add_f32_e32 v113, v113, v114
	v_mul_f32_e32 v114, v148, v218
	v_add_f32_e32 v161, v161, v162
	s_waitcnt vmcnt(24)
	v_mul_f32_e32 v162, v155, v226
	v_fma_f32 v114, v147, v217, -v114
	v_fmac_f32_e32 v162, v156, v225
	v_add_f32_e32 v113, v113, v114
	v_mul_f32_e32 v114, v150, v220
	v_add_f32_e32 v161, v161, v162
	s_waitcnt vmcnt(22) lgkmcnt(0)
	v_mul_f32_e32 v162, v157, v228
	v_fma_f32 v114, v149, v219, -v114
	v_fmac_f32_e32 v162, v158, v227
	v_add_f32_e32 v113, v113, v114
	v_mul_f32_e32 v114, v152, v222
	v_add_f32_e32 v165, v161, v162
	ds_read2_b64 v[161:164], v112 offset0:101 offset1:102
	v_fma_f32 v114, v151, v221, -v114
	v_add_f32_e32 v113, v113, v114
	v_mul_f32_e32 v114, v154, v224
	s_waitcnt vmcnt(20)
	v_mul_f32_e32 v166, v159, v230
	v_fma_f32 v114, v153, v223, -v114
	v_fmac_f32_e32 v166, v160, v229
	v_add_f32_e32 v113, v113, v114
	v_mul_f32_e32 v114, v156, v226
	v_add_f32_e32 v169, v165, v166
	ds_read2_b64 v[165:168], v112 offset0:103 offset1:104
	v_fma_f32 v114, v155, v225, -v114
	s_waitcnt vmcnt(18) lgkmcnt(1)
	v_mul_f32_e32 v170, v161, v232
	v_add_f32_e32 v113, v113, v114
	v_mul_f32_e32 v114, v158, v228
	v_fmac_f32_e32 v170, v162, v231
	v_fma_f32 v114, v157, v227, -v114
	v_add_f32_e32 v169, v169, v170
	s_waitcnt vmcnt(16)
	v_mul_f32_e32 v170, v163, v234
	v_add_f32_e32 v113, v113, v114
	v_mul_f32_e32 v114, v160, v230
	v_fmac_f32_e32 v170, v164, v233
	v_fma_f32 v114, v159, v229, -v114
	v_add_f32_e32 v169, v169, v170
	s_waitcnt vmcnt(14) lgkmcnt(0)
	v_mul_f32_e32 v170, v165, v236
	v_add_f32_e32 v113, v113, v114
	v_mul_f32_e32 v114, v162, v232
	v_fmac_f32_e32 v170, v166, v235
	v_fma_f32 v114, v161, v231, -v114
	v_add_f32_e32 v173, v169, v170
	ds_read2_b64 v[169:172], v112 offset0:105 offset1:106
	v_add_f32_e32 v113, v113, v114
	v_mul_f32_e32 v114, v164, v234
	v_fma_f32 v114, v163, v233, -v114
	v_add_f32_e32 v113, v113, v114
	v_mul_f32_e32 v114, v166, v236
	s_waitcnt vmcnt(12)
	v_mul_f32_e32 v174, v167, v238
	v_fma_f32 v114, v165, v235, -v114
	v_fmac_f32_e32 v174, v168, v237
	v_add_f32_e32 v113, v113, v114
	v_mul_f32_e32 v114, v168, v238
	v_add_f32_e32 v177, v173, v174
	ds_read2_b64 v[173:176], v112 offset0:107 offset1:108
	s_waitcnt vmcnt(10) lgkmcnt(1)
	v_mul_f32_e32 v178, v169, v240
	v_fma_f32 v114, v167, v237, -v114
	v_fmac_f32_e32 v178, v170, v239
	v_add_f32_e32 v113, v113, v114
	v_mul_f32_e32 v114, v170, v240
	v_add_f32_e32 v177, v177, v178
	s_waitcnt vmcnt(9)
	v_mul_f32_e32 v178, v171, v241
	v_fma_f32 v114, v169, v239, -v114
	s_waitcnt vmcnt(8)
	v_fmac_f32_e32 v178, v172, v242
	v_add_f32_e32 v113, v113, v114
	v_mul_f32_e32 v114, v172, v241
	v_add_f32_e32 v251, v177, v178
	ds_read2_b64 v[177:180], v112 offset0:109 offset1:110
	v_fma_f32 v114, v171, v242, -v114
	v_add_f32_e32 v113, v113, v114
	s_waitcnt vmcnt(6) lgkmcnt(1)
	v_mul_f32_e32 v114, v174, v244
	v_mul_f32_e32 v252, v173, v244
	v_fma_f32 v114, v173, v243, -v114
	v_fmac_f32_e32 v252, v174, v243
	v_add_f32_e32 v113, v113, v114
	s_waitcnt vmcnt(4)
	v_mul_f32_e32 v114, v176, v246
	v_add_f32_e32 v112, v251, v252
	v_mul_f32_e32 v251, v175, v246
	v_fma_f32 v114, v175, v245, -v114
	v_fmac_f32_e32 v251, v176, v245
	v_add_f32_e32 v113, v113, v114
	s_waitcnt vmcnt(3) lgkmcnt(0)
	v_mul_f32_e32 v114, v178, v247
	v_add_f32_e32 v112, v112, v251
	v_mul_f32_e32 v251, v177, v247
	s_waitcnt vmcnt(2)
	v_fma_f32 v114, v177, v248, -v114
	v_fmac_f32_e32 v251, v178, v248
	v_add_f32_e32 v113, v113, v114
	s_waitcnt vmcnt(0)
	v_mul_f32_e32 v114, v180, v250
	v_add_f32_e32 v112, v112, v251
	v_mul_f32_e32 v251, v179, v250
	v_fma_f32 v114, v179, v249, -v114
	v_fmac_f32_e32 v251, v180, v249
	v_add_f32_e32 v113, v113, v114
	v_add_f32_e32 v112, v112, v251
	v_sub_f32_e32 v113, v201, v113
	v_sub_f32_e32 v112, v202, v112
	buffer_store_dword v113, off, s[0:3], 0 offset:160
	buffer_store_dword v112, off, s[0:3], 0 offset:164
	s_and_saveexec_b64 s[4:5], vcc
	s_cbranch_execz .LBB118_305
; %bb.304:
	buffer_load_dword v112, off, s[0:3], 0 offset:152
	buffer_load_dword v113, off, s[0:3], 0 offset:156
	v_mov_b32_e32 v114, 0
	buffer_store_dword v114, off, s[0:3], 0 offset:152
	buffer_store_dword v114, off, s[0:3], 0 offset:156
	s_waitcnt vmcnt(2)
	ds_write_b64 v111, v[112:113]
.LBB118_305:
	s_or_b64 exec, exec, s[4:5]
	s_waitcnt lgkmcnt(0)
	; wave barrier
	buffer_load_dword v183, off, s[0:3], 0 offset:164
	buffer_load_dword v184, off, s[0:3], 0 offset:172
	;; [unrolled: 1-line block ×56, first 2 shown]
	v_mov_b32_e32 v112, 0
	ds_read_b128 v[113:116], v112 offset:608
	ds_read_b128 v[117:120], v112 offset:624
	;; [unrolled: 1-line block ×6, first 2 shown]
	buffer_load_dword v239, off, s[0:3], 0 offset:376
	buffer_load_dword v240, off, s[0:3], 0 offset:380
	;; [unrolled: 1-line block ×16, first 2 shown]
	v_cmp_lt_u32_e32 vcc, 18, v0
	s_waitcnt vmcnt(62) lgkmcnt(5)
	v_mul_f32_e32 v137, v113, v183
	v_mul_f32_e32 v138, v115, v184
	s_waitcnt lgkmcnt(4)
	v_mul_f32_e32 v139, v117, v185
	v_mul_f32_e32 v140, v119, v186
	s_waitcnt lgkmcnt(3)
	;; [unrolled: 3-line block ×4, first 2 shown]
	v_mul_f32_e32 v145, v129, v191
	v_fmac_f32_e32 v139, v118, v192
	s_waitcnt vmcnt(61)
	v_fmac_f32_e32 v138, v116, v193
	s_waitcnt vmcnt(60)
	v_fmac_f32_e32 v137, v114, v194
	v_add_f32_e32 v137, 0, v137
	v_add_f32_e32 v137, v137, v138
	;; [unrolled: 1-line block ×3, first 2 shown]
	s_waitcnt vmcnt(56)
	v_fmac_f32_e32 v140, v120, v198
	v_fmac_f32_e32 v141, v122, v197
	v_add_f32_e32 v137, v137, v140
	v_fmac_f32_e32 v142, v124, v196
	v_add_f32_e32 v137, v137, v141
	;; [unrolled: 2-line block ×3, first 2 shown]
	s_waitcnt vmcnt(52)
	v_fmac_f32_e32 v144, v128, v202
	v_add_f32_e32 v137, v137, v143
	v_add_f32_e32 v137, v137, v144
	v_fmac_f32_e32 v145, v130, v201
	s_waitcnt vmcnt(51)
	v_mul_f32_e32 v138, v131, v203
	v_add_f32_e32 v137, v137, v145
	v_fmac_f32_e32 v138, v132, v200
	v_add_f32_e32 v137, v137, v138
	s_waitcnt vmcnt(50) lgkmcnt(0)
	v_mul_f32_e32 v138, v133, v204
	v_fmac_f32_e32 v138, v134, v199
	v_add_f32_e32 v141, v137, v138
	ds_read_b128 v[137:140], v112 offset:704
	s_waitcnt vmcnt(46)
	v_mul_f32_e32 v142, v135, v208
	v_fmac_f32_e32 v142, v136, v207
	v_add_f32_e32 v145, v141, v142
	ds_read_b128 v[141:144], v112 offset:720
	s_waitcnt vmcnt(44) lgkmcnt(1)
	v_mul_f32_e32 v146, v137, v210
	v_fmac_f32_e32 v146, v138, v209
	v_add_f32_e32 v145, v145, v146
	s_waitcnt vmcnt(42)
	v_mul_f32_e32 v146, v139, v212
	v_fmac_f32_e32 v146, v140, v211
	v_add_f32_e32 v145, v145, v146
	s_waitcnt vmcnt(40) lgkmcnt(0)
	v_mul_f32_e32 v146, v141, v214
	v_fmac_f32_e32 v146, v142, v213
	v_add_f32_e32 v149, v145, v146
	ds_read_b128 v[145:148], v112 offset:736
	s_waitcnt vmcnt(38)
	v_mul_f32_e32 v150, v143, v216
	v_fmac_f32_e32 v150, v144, v215
	v_add_f32_e32 v153, v149, v150
	ds_read_b128 v[149:152], v112 offset:752
	s_waitcnt vmcnt(36) lgkmcnt(1)
	v_mul_f32_e32 v154, v145, v218
	v_fmac_f32_e32 v154, v146, v217
	v_add_f32_e32 v153, v153, v154
	s_waitcnt vmcnt(34)
	v_mul_f32_e32 v154, v147, v220
	;; [unrolled: 18-line block ×5, first 2 shown]
	s_waitcnt vmcnt(8)
	v_fmac_f32_e32 v178, v172, v246
	v_add_f32_e32 v177, v177, v178
	s_waitcnt lgkmcnt(0)
	v_mul_f32_e32 v178, v173, v245
	v_fmac_f32_e32 v178, v174, v244
	v_add_f32_e32 v181, v177, v178
	ds_read_b128 v[177:180], v112 offset:864
	s_waitcnt vmcnt(6)
	v_mul_f32_e32 v182, v175, v248
	v_fmac_f32_e32 v182, v176, v247
	v_add_f32_e32 v255, v181, v182
	ds_read_b64 v[181:182], v112 offset:880
	s_waitcnt vmcnt(4) lgkmcnt(1)
	v_mul_f32_e32 v3, v177, v250
	v_fmac_f32_e32 v3, v178, v249
	s_waitcnt vmcnt(3)
	v_mul_f32_e32 v4, v179, v251
	v_add_f32_e32 v3, v255, v3
	s_waitcnt vmcnt(0)
	v_fmac_f32_e32 v4, v180, v254
	v_add_f32_e32 v3, v3, v4
	s_waitcnt lgkmcnt(0)
	v_mul_f32_e32 v4, v181, v253
	v_fmac_f32_e32 v4, v182, v252
	v_add_f32_e32 v3, v3, v4
	v_mul_f32_e32 v4, v114, v183
	v_fma_f32 v4, v113, v194, -v4
	v_mul_f32_e32 v113, v116, v184
	v_add_f32_e32 v4, 0, v4
	v_fma_f32 v113, v115, v193, -v113
	v_add_f32_e32 v4, v4, v113
	v_mul_f32_e32 v113, v118, v185
	v_fma_f32 v113, v117, v192, -v113
	v_add_f32_e32 v4, v4, v113
	v_mul_f32_e32 v113, v120, v186
	;; [unrolled: 3-line block ×33, first 2 shown]
	v_fma_f32 v113, v181, v252, -v113
	v_add_f32_e32 v4, v4, v113
	v_sub_f32_e32 v4, v205, v4
	v_sub_f32_e32 v3, v206, v3
	buffer_store_dword v4, off, s[0:3], 0 offset:152
	buffer_store_dword v3, off, s[0:3], 0 offset:156
	s_and_saveexec_b64 s[4:5], vcc
	s_cbranch_execz .LBB118_307
; %bb.306:
	buffer_load_dword v113, off, s[0:3], 0 offset:144
	buffer_load_dword v114, off, s[0:3], 0 offset:148
	s_waitcnt vmcnt(0)
	ds_write_b64 v111, v[113:114]
	buffer_store_dword v112, off, s[0:3], 0 offset:144
	buffer_store_dword v112, off, s[0:3], 0 offset:148
.LBB118_307:
	s_or_b64 exec, exec, s[4:5]
	s_waitcnt lgkmcnt(0)
	; wave barrier
	buffer_load_dword v3, off, s[0:3], 0 offset:156
	buffer_load_dword v4, off, s[0:3], 0 offset:164
	buffer_load_dword v185, off, s[0:3], 0 offset:172
	buffer_load_dword v186, off, s[0:3], 0 offset:180
	buffer_load_dword v187, off, s[0:3], 0 offset:188
	buffer_load_dword v188, off, s[0:3], 0 offset:196
	buffer_load_dword v189, off, s[0:3], 0 offset:204
	buffer_load_dword v190, off, s[0:3], 0 offset:212
	buffer_load_dword v191, off, s[0:3], 0 offset:220
	buffer_load_dword v192, off, s[0:3], 0 offset:168
	buffer_load_dword v193, off, s[0:3], 0 offset:160
	buffer_load_dword v194, off, s[0:3], 0 offset:152
	buffer_load_dword v195, off, s[0:3], 0 offset:200
	buffer_load_dword v196, off, s[0:3], 0 offset:192
	buffer_load_dword v197, off, s[0:3], 0 offset:184
	buffer_load_dword v198, off, s[0:3], 0 offset:176
	buffer_load_dword v199, off, s[0:3], 0 offset:232
	buffer_load_dword v200, off, s[0:3], 0 offset:224
	buffer_load_dword v201, off, s[0:3], 0 offset:216
	buffer_load_dword v202, off, s[0:3], 0 offset:208
	buffer_load_dword v203, off, s[0:3], 0 offset:228
	buffer_load_dword v204, off, s[0:3], 0 offset:236
	buffer_load_dword v205, off, s[0:3], 0 offset:144
	buffer_load_dword v206, off, s[0:3], 0 offset:148
	buffer_load_dword v207, off, s[0:3], 0 offset:240
	buffer_load_dword v208, off, s[0:3], 0 offset:244
	ds_read2_b64 v[113:116], v112 offset0:75 offset1:76
	ds_read2_b64 v[117:120], v112 offset0:77 offset1:78
	;; [unrolled: 1-line block ×6, first 2 shown]
	buffer_load_dword v209, off, s[0:3], 0 offset:248
	buffer_load_dword v210, off, s[0:3], 0 offset:252
	;; [unrolled: 1-line block ×46, first 2 shown]
	v_cmp_lt_u32_e32 vcc, 17, v0
	s_waitcnt vmcnt(62) lgkmcnt(5)
	v_mul_f32_e32 v137, v113, v3
	v_mul_f32_e32 v138, v115, v4
	s_waitcnt lgkmcnt(4)
	v_mul_f32_e32 v139, v117, v185
	v_mul_f32_e32 v140, v119, v186
	s_waitcnt lgkmcnt(3)
	;; [unrolled: 3-line block ×4, first 2 shown]
	v_mul_f32_e32 v145, v129, v191
	v_fmac_f32_e32 v139, v118, v192
	s_waitcnt vmcnt(61)
	v_fmac_f32_e32 v138, v116, v193
	s_waitcnt vmcnt(60)
	v_fmac_f32_e32 v137, v114, v194
	v_add_f32_e32 v137, 0, v137
	v_add_f32_e32 v137, v137, v138
	;; [unrolled: 1-line block ×3, first 2 shown]
	s_waitcnt vmcnt(56)
	v_fmac_f32_e32 v140, v120, v198
	v_fmac_f32_e32 v141, v122, v197
	v_add_f32_e32 v137, v137, v140
	v_fmac_f32_e32 v142, v124, v196
	v_add_f32_e32 v137, v137, v141
	;; [unrolled: 2-line block ×3, first 2 shown]
	s_waitcnt vmcnt(52)
	v_fmac_f32_e32 v144, v128, v202
	v_add_f32_e32 v137, v137, v143
	v_fmac_f32_e32 v145, v130, v201
	v_add_f32_e32 v137, v137, v144
	s_waitcnt vmcnt(51)
	v_mul_f32_e32 v138, v131, v203
	v_add_f32_e32 v137, v137, v145
	v_fmac_f32_e32 v138, v132, v200
	v_add_f32_e32 v137, v137, v138
	s_waitcnt vmcnt(50) lgkmcnt(0)
	v_mul_f32_e32 v138, v133, v204
	v_fmac_f32_e32 v138, v134, v199
	s_waitcnt vmcnt(46)
	v_mul_f32_e32 v142, v135, v208
	v_add_f32_e32 v141, v137, v138
	v_fmac_f32_e32 v142, v136, v207
	ds_read2_b64 v[137:140], v112 offset0:87 offset1:88
	v_add_f32_e32 v145, v141, v142
	ds_read2_b64 v[141:144], v112 offset0:89 offset1:90
	buffer_load_dword v255, off, s[0:3], 0 offset:432
	buffer_load_dword v5, off, s[0:3], 0 offset:436
	v_mul_f32_e32 v3, v114, v3
	v_fma_f32 v3, v113, v194, -v3
	v_mul_f32_e32 v4, v116, v4
	v_add_f32_e32 v3, 0, v3
	v_fma_f32 v4, v115, v193, -v4
	v_add_f32_e32 v3, v3, v4
	v_mul_f32_e32 v4, v118, v185
	v_fma_f32 v4, v117, v192, -v4
	v_add_f32_e32 v3, v3, v4
	v_mul_f32_e32 v4, v120, v186
	;; [unrolled: 3-line block ×3, first 2 shown]
	s_waitcnt vmcnt(46) lgkmcnt(1)
	v_mul_f32_e32 v6, v137, v210
	v_fma_f32 v4, v121, v197, -v4
	v_fmac_f32_e32 v6, v138, v209
	v_add_f32_e32 v3, v3, v4
	v_mul_f32_e32 v4, v124, v188
	v_add_f32_e32 v6, v145, v6
	s_waitcnt vmcnt(44)
	v_mul_f32_e32 v145, v139, v212
	v_fma_f32 v4, v123, v196, -v4
	v_fmac_f32_e32 v145, v140, v211
	v_add_f32_e32 v3, v3, v4
	v_mul_f32_e32 v4, v126, v189
	v_add_f32_e32 v6, v6, v145
	s_waitcnt vmcnt(42) lgkmcnt(0)
	v_mul_f32_e32 v145, v141, v214
	v_fma_f32 v4, v125, v195, -v4
	v_fmac_f32_e32 v145, v142, v213
	v_add_f32_e32 v3, v3, v4
	v_mul_f32_e32 v4, v128, v190
	v_add_f32_e32 v6, v6, v145
	ds_read2_b64 v[145:148], v112 offset0:91 offset1:92
	v_fma_f32 v4, v127, v202, -v4
	v_add_f32_e32 v3, v3, v4
	v_mul_f32_e32 v4, v130, v191
	s_waitcnt vmcnt(40)
	v_mul_f32_e32 v149, v143, v216
	v_fma_f32 v4, v129, v201, -v4
	v_fmac_f32_e32 v149, v144, v215
	v_add_f32_e32 v3, v3, v4
	v_mul_f32_e32 v4, v132, v203
	v_add_f32_e32 v6, v6, v149
	ds_read2_b64 v[149:152], v112 offset0:93 offset1:94
	v_fma_f32 v4, v131, v200, -v4
	s_waitcnt vmcnt(38) lgkmcnt(1)
	v_mul_f32_e32 v153, v145, v218
	v_add_f32_e32 v3, v3, v4
	v_mul_f32_e32 v4, v134, v204
	v_fmac_f32_e32 v153, v146, v217
	v_fma_f32 v4, v133, v199, -v4
	v_add_f32_e32 v6, v6, v153
	s_waitcnt vmcnt(36)
	v_mul_f32_e32 v153, v147, v220
	v_add_f32_e32 v3, v3, v4
	v_mul_f32_e32 v4, v136, v208
	v_fmac_f32_e32 v153, v148, v219
	v_fma_f32 v4, v135, v207, -v4
	v_add_f32_e32 v6, v6, v153
	s_waitcnt vmcnt(34) lgkmcnt(0)
	v_mul_f32_e32 v153, v149, v222
	v_add_f32_e32 v3, v3, v4
	v_mul_f32_e32 v4, v138, v210
	v_fmac_f32_e32 v153, v150, v221
	v_fma_f32 v4, v137, v209, -v4
	v_add_f32_e32 v6, v6, v153
	ds_read2_b64 v[153:156], v112 offset0:95 offset1:96
	v_add_f32_e32 v3, v3, v4
	v_mul_f32_e32 v4, v140, v212
	v_fma_f32 v4, v139, v211, -v4
	s_waitcnt vmcnt(32)
	v_mul_f32_e32 v157, v151, v224
	v_add_f32_e32 v3, v3, v4
	v_mul_f32_e32 v4, v142, v214
	v_fmac_f32_e32 v157, v152, v223
	v_fma_f32 v4, v141, v213, -v4
	v_add_f32_e32 v6, v6, v157
	ds_read2_b64 v[157:160], v112 offset0:97 offset1:98
	v_add_f32_e32 v3, v3, v4
	v_mul_f32_e32 v4, v144, v216
	s_waitcnt vmcnt(30) lgkmcnt(1)
	v_mul_f32_e32 v161, v153, v226
	v_fma_f32 v4, v143, v215, -v4
	v_fmac_f32_e32 v161, v154, v225
	v_add_f32_e32 v3, v3, v4
	v_mul_f32_e32 v4, v146, v218
	v_add_f32_e32 v6, v6, v161
	s_waitcnt vmcnt(28)
	v_mul_f32_e32 v161, v155, v228
	v_fma_f32 v4, v145, v217, -v4
	v_fmac_f32_e32 v161, v156, v227
	v_add_f32_e32 v3, v3, v4
	v_mul_f32_e32 v4, v148, v220
	v_add_f32_e32 v6, v6, v161
	s_waitcnt vmcnt(26) lgkmcnt(0)
	v_mul_f32_e32 v161, v157, v230
	v_fma_f32 v4, v147, v219, -v4
	v_fmac_f32_e32 v161, v158, v229
	v_add_f32_e32 v3, v3, v4
	v_mul_f32_e32 v4, v150, v222
	v_add_f32_e32 v6, v6, v161
	ds_read2_b64 v[161:164], v112 offset0:99 offset1:100
	v_fma_f32 v4, v149, v221, -v4
	v_add_f32_e32 v3, v3, v4
	v_mul_f32_e32 v4, v152, v224
	s_waitcnt vmcnt(24)
	v_mul_f32_e32 v165, v159, v232
	v_fma_f32 v4, v151, v223, -v4
	v_fmac_f32_e32 v165, v160, v231
	v_add_f32_e32 v3, v3, v4
	v_mul_f32_e32 v4, v154, v226
	v_add_f32_e32 v6, v6, v165
	ds_read2_b64 v[165:168], v112 offset0:101 offset1:102
	v_fma_f32 v4, v153, v225, -v4
	s_waitcnt vmcnt(22) lgkmcnt(1)
	v_mul_f32_e32 v169, v161, v234
	v_add_f32_e32 v3, v3, v4
	v_mul_f32_e32 v4, v156, v228
	v_fmac_f32_e32 v169, v162, v233
	v_fma_f32 v4, v155, v227, -v4
	v_add_f32_e32 v6, v6, v169
	s_waitcnt vmcnt(20)
	v_mul_f32_e32 v169, v163, v236
	v_add_f32_e32 v3, v3, v4
	v_mul_f32_e32 v4, v158, v230
	v_fmac_f32_e32 v169, v164, v235
	v_fma_f32 v4, v157, v229, -v4
	v_add_f32_e32 v6, v6, v169
	s_waitcnt vmcnt(18) lgkmcnt(0)
	v_mul_f32_e32 v169, v165, v238
	v_add_f32_e32 v3, v3, v4
	v_mul_f32_e32 v4, v160, v232
	v_fmac_f32_e32 v169, v166, v237
	v_fma_f32 v4, v159, v231, -v4
	v_add_f32_e32 v6, v6, v169
	ds_read2_b64 v[169:172], v112 offset0:103 offset1:104
	v_add_f32_e32 v3, v3, v4
	v_mul_f32_e32 v4, v162, v234
	v_fma_f32 v4, v161, v233, -v4
	s_waitcnt vmcnt(16)
	v_mul_f32_e32 v173, v167, v240
	v_add_f32_e32 v3, v3, v4
	v_mul_f32_e32 v4, v164, v236
	v_fmac_f32_e32 v173, v168, v239
	v_fma_f32 v4, v163, v235, -v4
	v_add_f32_e32 v6, v6, v173
	ds_read2_b64 v[173:176], v112 offset0:105 offset1:106
	v_add_f32_e32 v3, v3, v4
	v_mul_f32_e32 v4, v166, v238
	s_waitcnt vmcnt(14) lgkmcnt(1)
	v_mul_f32_e32 v177, v169, v242
	v_fma_f32 v4, v165, v237, -v4
	v_fmac_f32_e32 v177, v170, v241
	v_add_f32_e32 v3, v3, v4
	v_mul_f32_e32 v4, v168, v240
	v_add_f32_e32 v6, v6, v177
	s_waitcnt vmcnt(13)
	v_mul_f32_e32 v177, v171, v243
	v_fma_f32 v4, v167, v239, -v4
	s_waitcnt vmcnt(10)
	v_fmac_f32_e32 v177, v172, v246
	v_add_f32_e32 v3, v3, v4
	v_mul_f32_e32 v4, v170, v242
	v_add_f32_e32 v6, v6, v177
	s_waitcnt lgkmcnt(0)
	v_mul_f32_e32 v177, v173, v245
	v_fma_f32 v4, v169, v241, -v4
	v_fmac_f32_e32 v177, v174, v244
	v_add_f32_e32 v3, v3, v4
	v_mul_f32_e32 v4, v172, v243
	v_add_f32_e32 v6, v6, v177
	ds_read2_b64 v[177:180], v112 offset0:107 offset1:108
	v_fma_f32 v4, v171, v246, -v4
	v_add_f32_e32 v3, v3, v4
	v_mul_f32_e32 v4, v174, v245
	s_waitcnt vmcnt(8)
	v_mul_f32_e32 v181, v175, v248
	v_fma_f32 v4, v173, v244, -v4
	v_fmac_f32_e32 v181, v176, v247
	v_add_f32_e32 v3, v3, v4
	v_mul_f32_e32 v4, v176, v248
	v_add_f32_e32 v6, v6, v181
	ds_read2_b64 v[181:184], v112 offset0:109 offset1:110
	v_fma_f32 v4, v175, v247, -v4
	v_add_f32_e32 v3, v3, v4
	s_waitcnt vmcnt(6) lgkmcnt(1)
	v_mul_f32_e32 v4, v178, v250
	v_mul_f32_e32 v112, v177, v250
	v_fma_f32 v4, v177, v249, -v4
	v_fmac_f32_e32 v112, v178, v249
	v_add_f32_e32 v3, v3, v4
	s_waitcnt vmcnt(5)
	v_mul_f32_e32 v4, v180, v251
	v_add_f32_e32 v6, v6, v112
	v_mul_f32_e32 v112, v179, v251
	s_waitcnt vmcnt(2)
	v_fma_f32 v4, v179, v254, -v4
	v_fmac_f32_e32 v112, v180, v254
	v_add_f32_e32 v3, v3, v4
	s_waitcnt lgkmcnt(0)
	v_mul_f32_e32 v4, v182, v253
	v_add_f32_e32 v6, v6, v112
	v_mul_f32_e32 v112, v181, v253
	v_fma_f32 v4, v181, v252, -v4
	v_fmac_f32_e32 v112, v182, v252
	v_add_f32_e32 v3, v3, v4
	s_waitcnt vmcnt(0)
	v_mul_f32_e32 v4, v184, v5
	v_add_f32_e32 v6, v6, v112
	v_mul_f32_e32 v112, v183, v5
	v_fma_f32 v4, v183, v255, -v4
	v_fmac_f32_e32 v112, v184, v255
	v_add_f32_e32 v3, v3, v4
	v_add_f32_e32 v6, v6, v112
	v_sub_f32_e32 v3, v205, v3
	v_sub_f32_e32 v4, v206, v6
	buffer_store_dword v3, off, s[0:3], 0 offset:144
	buffer_store_dword v4, off, s[0:3], 0 offset:148
	s_and_saveexec_b64 s[4:5], vcc
	s_cbranch_execz .LBB118_309
; %bb.308:
	buffer_load_dword v112, off, s[0:3], 0 offset:136
	buffer_load_dword v113, off, s[0:3], 0 offset:140
	v_mov_b32_e32 v3, 0
	buffer_store_dword v3, off, s[0:3], 0 offset:136
	buffer_store_dword v3, off, s[0:3], 0 offset:140
	s_waitcnt vmcnt(2)
	ds_write_b64 v111, v[112:113]
.LBB118_309:
	s_or_b64 exec, exec, s[4:5]
	s_waitcnt lgkmcnt(0)
	; wave barrier
	buffer_load_dword v3, off, s[0:3], 0 offset:148
	buffer_load_dword v4, off, s[0:3], 0 offset:156
	;; [unrolled: 1-line block ×50, first 2 shown]
	v_mov_b32_e32 v112, 0
	ds_read_b128 v[113:116], v112 offset:592
	ds_read_b128 v[117:120], v112 offset:608
	;; [unrolled: 1-line block ×6, first 2 shown]
	buffer_load_dword v233, off, s[0:3], 0 offset:336
	buffer_load_dword v234, off, s[0:3], 0 offset:340
	;; [unrolled: 1-line block ×16, first 2 shown]
	v_cmp_lt_u32_e32 vcc, 16, v0
	s_waitcnt vmcnt(62) lgkmcnt(5)
	v_mul_f32_e32 v137, v113, v3
	v_mul_f32_e32 v138, v115, v4
	s_waitcnt lgkmcnt(4)
	v_mul_f32_e32 v139, v117, v5
	v_mul_f32_e32 v140, v119, v6
	s_waitcnt vmcnt(61) lgkmcnt(3)
	v_mul_f32_e32 v141, v121, v187
	s_waitcnt vmcnt(60)
	v_mul_f32_e32 v142, v123, v188
	s_waitcnt vmcnt(59) lgkmcnt(2)
	v_mul_f32_e32 v143, v125, v189
	s_waitcnt vmcnt(58)
	;; [unrolled: 4-line block ×3, first 2 shown]
	v_fmac_f32_e32 v139, v118, v192
	s_waitcnt vmcnt(55)
	v_fmac_f32_e32 v138, v116, v193
	s_waitcnt vmcnt(54)
	v_fmac_f32_e32 v137, v114, v194
	v_add_f32_e32 v137, 0, v137
	v_add_f32_e32 v137, v137, v138
	;; [unrolled: 1-line block ×3, first 2 shown]
	s_waitcnt vmcnt(50)
	v_fmac_f32_e32 v140, v120, v198
	v_fmac_f32_e32 v141, v122, v197
	v_add_f32_e32 v137, v137, v140
	v_fmac_f32_e32 v142, v124, v196
	v_add_f32_e32 v137, v137, v141
	v_fmac_f32_e32 v143, v126, v195
	v_add_f32_e32 v137, v137, v142
	s_waitcnt vmcnt(46)
	v_fmac_f32_e32 v144, v128, v202
	v_add_f32_e32 v137, v137, v143
	v_fmac_f32_e32 v145, v130, v201
	v_add_f32_e32 v137, v137, v144
	s_waitcnt vmcnt(45)
	v_mul_f32_e32 v138, v131, v203
	v_add_f32_e32 v137, v137, v145
	v_fmac_f32_e32 v138, v132, v200
	v_add_f32_e32 v137, v137, v138
	s_waitcnt vmcnt(44) lgkmcnt(0)
	v_mul_f32_e32 v138, v133, v204
	v_fmac_f32_e32 v138, v134, v199
	v_add_f32_e32 v141, v137, v138
	ds_read_b128 v[137:140], v112 offset:688
	buffer_load_dword v249, off, s[0:3], 0 offset:400
	buffer_load_dword v250, off, s[0:3], 0 offset:404
	;; [unrolled: 1-line block ×6, first 2 shown]
	s_waitcnt vmcnt(49)
	v_mul_f32_e32 v142, v135, v205
	s_waitcnt vmcnt(42)
	v_fmac_f32_e32 v142, v136, v212
	v_add_f32_e32 v145, v141, v142
	ds_read_b128 v[141:144], v112 offset:704
	buffer_load_dword v255, off, s[0:3], 0 offset:428
	buffer_load_dword v7, off, s[0:3], 0 offset:432
	;; [unrolled: 1-line block ×4, first 2 shown]
	v_mul_f32_e32 v3, v114, v3
	v_fma_f32 v3, v113, v194, -v3
	v_mul_f32_e32 v4, v116, v4
	v_add_f32_e32 v3, 0, v3
	v_fma_f32 v4, v115, v193, -v4
	v_add_f32_e32 v3, v3, v4
	v_mul_f32_e32 v4, v118, v5
	v_fma_f32 v4, v117, v192, -v4
	v_add_f32_e32 v3, v3, v4
	v_mul_f32_e32 v4, v120, v6
	v_fma_f32 v4, v119, v198, -v4
	s_waitcnt lgkmcnt(1)
	v_mul_f32_e32 v146, v137, v207
	v_add_f32_e32 v3, v3, v4
	v_mul_f32_e32 v4, v122, v187
	v_fmac_f32_e32 v146, v138, v206
	v_fma_f32 v4, v121, v197, -v4
	v_add_f32_e32 v10, v145, v146
	v_mul_f32_e32 v145, v139, v209
	v_add_f32_e32 v3, v3, v4
	v_mul_f32_e32 v4, v124, v188
	v_fmac_f32_e32 v145, v140, v208
	v_fma_f32 v4, v123, v196, -v4
	v_add_f32_e32 v10, v10, v145
	s_waitcnt lgkmcnt(0)
	v_mul_f32_e32 v145, v141, v211
	v_add_f32_e32 v3, v3, v4
	v_mul_f32_e32 v4, v126, v189
	v_fmac_f32_e32 v145, v142, v210
	v_fma_f32 v4, v125, v195, -v4
	v_add_f32_e32 v10, v10, v145
	ds_read_b128 v[145:148], v112 offset:720
	v_add_f32_e32 v3, v3, v4
	v_mul_f32_e32 v4, v128, v190
	v_fma_f32 v4, v127, v202, -v4
	s_waitcnt vmcnt(42)
	v_mul_f32_e32 v149, v143, v216
	v_add_f32_e32 v3, v3, v4
	v_mul_f32_e32 v4, v130, v191
	v_fmac_f32_e32 v149, v144, v215
	v_fma_f32 v4, v129, v201, -v4
	v_add_f32_e32 v10, v10, v149
	ds_read_b128 v[149:152], v112 offset:736
	v_add_f32_e32 v3, v3, v4
	v_mul_f32_e32 v4, v132, v203
	s_waitcnt vmcnt(40) lgkmcnt(1)
	v_mul_f32_e32 v153, v145, v218
	v_fma_f32 v4, v131, v200, -v4
	v_fmac_f32_e32 v153, v146, v217
	v_add_f32_e32 v3, v3, v4
	v_mul_f32_e32 v4, v134, v204
	v_add_f32_e32 v10, v10, v153
	s_waitcnt vmcnt(38)
	v_mul_f32_e32 v153, v147, v220
	v_fma_f32 v4, v133, v199, -v4
	v_fmac_f32_e32 v153, v148, v219
	v_add_f32_e32 v3, v3, v4
	v_mul_f32_e32 v4, v136, v205
	v_add_f32_e32 v10, v10, v153
	s_waitcnt vmcnt(36) lgkmcnt(0)
	v_mul_f32_e32 v153, v149, v222
	v_fma_f32 v4, v135, v212, -v4
	v_fmac_f32_e32 v153, v150, v221
	v_add_f32_e32 v3, v3, v4
	v_mul_f32_e32 v4, v138, v207
	v_add_f32_e32 v10, v10, v153
	ds_read_b128 v[153:156], v112 offset:752
	v_fma_f32 v4, v137, v206, -v4
	v_add_f32_e32 v3, v3, v4
	v_mul_f32_e32 v4, v140, v209
	s_waitcnt vmcnt(34)
	v_mul_f32_e32 v157, v151, v224
	v_fma_f32 v4, v139, v208, -v4
	v_fmac_f32_e32 v157, v152, v223
	v_add_f32_e32 v3, v3, v4
	v_mul_f32_e32 v4, v142, v211
	v_add_f32_e32 v10, v10, v157
	ds_read_b128 v[157:160], v112 offset:768
	v_fma_f32 v4, v141, v210, -v4
	s_waitcnt vmcnt(32) lgkmcnt(1)
	v_mul_f32_e32 v161, v153, v226
	v_add_f32_e32 v3, v3, v4
	v_mul_f32_e32 v4, v144, v216
	v_fmac_f32_e32 v161, v154, v225
	v_fma_f32 v4, v143, v215, -v4
	v_add_f32_e32 v10, v10, v161
	s_waitcnt vmcnt(30)
	v_mul_f32_e32 v161, v155, v228
	v_add_f32_e32 v3, v3, v4
	v_mul_f32_e32 v4, v146, v218
	v_fmac_f32_e32 v161, v156, v227
	v_fma_f32 v4, v145, v217, -v4
	v_add_f32_e32 v10, v10, v161
	s_waitcnt vmcnt(28) lgkmcnt(0)
	v_mul_f32_e32 v161, v157, v230
	v_add_f32_e32 v3, v3, v4
	v_mul_f32_e32 v4, v148, v220
	v_fmac_f32_e32 v161, v158, v229
	v_fma_f32 v4, v147, v219, -v4
	v_add_f32_e32 v10, v10, v161
	ds_read_b128 v[161:164], v112 offset:784
	v_add_f32_e32 v3, v3, v4
	v_mul_f32_e32 v4, v150, v222
	v_fma_f32 v4, v149, v221, -v4
	s_waitcnt vmcnt(26)
	v_mul_f32_e32 v165, v159, v232
	v_add_f32_e32 v3, v3, v4
	v_mul_f32_e32 v4, v152, v224
	v_fmac_f32_e32 v165, v160, v231
	v_fma_f32 v4, v151, v223, -v4
	v_add_f32_e32 v10, v10, v165
	ds_read_b128 v[165:168], v112 offset:800
	v_add_f32_e32 v3, v3, v4
	v_mul_f32_e32 v4, v154, v226
	s_waitcnt vmcnt(24) lgkmcnt(1)
	v_mul_f32_e32 v169, v161, v234
	v_fma_f32 v4, v153, v225, -v4
	v_fmac_f32_e32 v169, v162, v233
	v_add_f32_e32 v3, v3, v4
	v_mul_f32_e32 v4, v156, v228
	v_add_f32_e32 v10, v10, v169
	s_waitcnt vmcnt(23)
	v_mul_f32_e32 v169, v163, v235
	v_fma_f32 v4, v155, v227, -v4
	s_waitcnt vmcnt(20)
	v_fmac_f32_e32 v169, v164, v238
	v_add_f32_e32 v3, v3, v4
	v_mul_f32_e32 v4, v158, v230
	v_add_f32_e32 v10, v10, v169
	s_waitcnt lgkmcnt(0)
	v_mul_f32_e32 v169, v165, v237
	v_fma_f32 v4, v157, v229, -v4
	v_fmac_f32_e32 v169, v166, v236
	v_add_f32_e32 v3, v3, v4
	v_mul_f32_e32 v4, v160, v232
	v_add_f32_e32 v10, v10, v169
	ds_read_b128 v[169:172], v112 offset:816
	v_fma_f32 v4, v159, v231, -v4
	v_add_f32_e32 v3, v3, v4
	v_mul_f32_e32 v4, v162, v234
	s_waitcnt vmcnt(18)
	v_mul_f32_e32 v173, v167, v240
	v_fma_f32 v4, v161, v233, -v4
	v_fmac_f32_e32 v173, v168, v239
	v_add_f32_e32 v3, v3, v4
	v_mul_f32_e32 v4, v164, v235
	v_add_f32_e32 v10, v10, v173
	ds_read_b128 v[173:176], v112 offset:832
	v_fma_f32 v4, v163, v238, -v4
	s_waitcnt vmcnt(16) lgkmcnt(1)
	v_mul_f32_e32 v177, v169, v242
	v_add_f32_e32 v3, v3, v4
	v_mul_f32_e32 v4, v166, v237
	v_fmac_f32_e32 v177, v170, v241
	v_fma_f32 v4, v165, v236, -v4
	v_add_f32_e32 v10, v10, v177
	s_waitcnt vmcnt(15)
	v_mul_f32_e32 v177, v171, v243
	v_add_f32_e32 v3, v3, v4
	v_mul_f32_e32 v4, v168, v240
	s_waitcnt vmcnt(12)
	v_fmac_f32_e32 v177, v172, v246
	v_fma_f32 v4, v167, v239, -v4
	v_add_f32_e32 v10, v10, v177
	s_waitcnt lgkmcnt(0)
	v_mul_f32_e32 v177, v173, v245
	v_add_f32_e32 v3, v3, v4
	v_mul_f32_e32 v4, v170, v242
	v_fmac_f32_e32 v177, v174, v244
	v_fma_f32 v4, v169, v241, -v4
	v_add_f32_e32 v10, v10, v177
	ds_read_b128 v[177:180], v112 offset:848
	v_add_f32_e32 v3, v3, v4
	v_mul_f32_e32 v4, v172, v243
	v_fma_f32 v4, v171, v246, -v4
	v_add_f32_e32 v3, v3, v4
	v_mul_f32_e32 v4, v174, v245
	s_waitcnt vmcnt(10)
	v_mul_f32_e32 v181, v175, v248
	v_fma_f32 v4, v173, v244, -v4
	v_fmac_f32_e32 v181, v176, v247
	v_add_f32_e32 v3, v3, v4
	v_mul_f32_e32 v4, v176, v248
	v_add_f32_e32 v10, v10, v181
	ds_read_b128 v[181:184], v112 offset:864
	s_waitcnt vmcnt(8) lgkmcnt(1)
	v_mul_f32_e32 v185, v177, v250
	v_fma_f32 v4, v175, v247, -v4
	v_fmac_f32_e32 v185, v178, v249
	v_add_f32_e32 v3, v3, v4
	v_mul_f32_e32 v4, v178, v250
	v_add_f32_e32 v10, v10, v185
	s_waitcnt vmcnt(7)
	v_mul_f32_e32 v185, v179, v251
	v_fma_f32 v4, v177, v249, -v4
	s_waitcnt vmcnt(4)
	v_fmac_f32_e32 v185, v180, v254
	v_add_f32_e32 v3, v3, v4
	v_mul_f32_e32 v4, v180, v251
	v_add_f32_e32 v10, v10, v185
	ds_read_b64 v[185:186], v112 offset:880
	v_fma_f32 v4, v179, v254, -v4
	v_add_f32_e32 v3, v3, v4
	s_waitcnt lgkmcnt(1)
	v_mul_f32_e32 v4, v182, v253
	v_mul_f32_e32 v11, v181, v253
	v_fma_f32 v4, v181, v252, -v4
	v_fmac_f32_e32 v11, v182, v252
	v_add_f32_e32 v3, v3, v4
	s_waitcnt vmcnt(3)
	v_mul_f32_e32 v4, v184, v255
	v_add_f32_e32 v10, v10, v11
	v_mul_f32_e32 v11, v183, v255
	s_waitcnt vmcnt(0)
	v_fma_f32 v4, v183, v9, -v4
	v_fmac_f32_e32 v11, v184, v9
	v_add_f32_e32 v3, v3, v4
	s_waitcnt lgkmcnt(0)
	v_mul_f32_e32 v4, v186, v8
	v_add_f32_e32 v10, v10, v11
	v_mul_f32_e32 v11, v185, v8
	v_fma_f32 v4, v185, v7, -v4
	v_fmac_f32_e32 v11, v186, v7
	v_add_f32_e32 v3, v3, v4
	v_add_f32_e32 v10, v10, v11
	v_sub_f32_e32 v3, v213, v3
	v_sub_f32_e32 v4, v214, v10
	buffer_store_dword v3, off, s[0:3], 0 offset:136
	buffer_store_dword v4, off, s[0:3], 0 offset:140
	s_and_saveexec_b64 s[4:5], vcc
	s_cbranch_execz .LBB118_311
; %bb.310:
	buffer_load_dword v113, off, s[0:3], 0 offset:128
	buffer_load_dword v114, off, s[0:3], 0 offset:132
	s_waitcnt vmcnt(0)
	ds_write_b64 v111, v[113:114]
	buffer_store_dword v112, off, s[0:3], 0 offset:128
	buffer_store_dword v112, off, s[0:3], 0 offset:132
.LBB118_311:
	s_or_b64 exec, exec, s[4:5]
	s_waitcnt lgkmcnt(0)
	; wave barrier
	buffer_load_dword v3, off, s[0:3], 0 offset:140
	buffer_load_dword v4, off, s[0:3], 0 offset:148
	;; [unrolled: 1-line block ×32, first 2 shown]
	ds_read2_b64 v[113:116], v112 offset0:73 offset1:74
	ds_read2_b64 v[117:120], v112 offset0:75 offset1:76
	;; [unrolled: 1-line block ×6, first 2 shown]
	buffer_load_dword v211, off, s[0:3], 0 offset:256
	buffer_load_dword v212, off, s[0:3], 0 offset:260
	;; [unrolled: 1-line block ×32, first 2 shown]
	v_cmp_lt_u32_e32 vcc, 15, v0
	s_waitcnt vmcnt(62) lgkmcnt(5)
	v_mul_f32_e32 v137, v113, v3
	v_mul_f32_e32 v138, v115, v4
	s_waitcnt vmcnt(61) lgkmcnt(4)
	v_mul_f32_e32 v139, v117, v5
	s_waitcnt vmcnt(60)
	v_mul_f32_e32 v140, v119, v6
	s_waitcnt vmcnt(59) lgkmcnt(3)
	v_mul_f32_e32 v141, v121, v7
	s_waitcnt vmcnt(58)
	;; [unrolled: 4-line block ×4, first 2 shown]
	v_mul_f32_e32 v146, v131, v12
	s_waitcnt vmcnt(53)
	v_fmac_f32_e32 v139, v118, v189
	s_waitcnt vmcnt(52)
	v_fmac_f32_e32 v138, v116, v190
	;; [unrolled: 2-line block ×3, first 2 shown]
	v_add_f32_e32 v137, 0, v137
	v_add_f32_e32 v137, v137, v138
	;; [unrolled: 1-line block ×3, first 2 shown]
	s_waitcnt vmcnt(47)
	v_fmac_f32_e32 v140, v120, v195
	v_fmac_f32_e32 v141, v122, v194
	v_add_f32_e32 v137, v137, v140
	v_fmac_f32_e32 v142, v124, v193
	v_add_f32_e32 v137, v137, v141
	;; [unrolled: 2-line block ×3, first 2 shown]
	s_waitcnt vmcnt(43)
	v_fmac_f32_e32 v144, v128, v199
	v_add_f32_e32 v137, v137, v143
	v_fmac_f32_e32 v145, v130, v198
	v_add_f32_e32 v137, v137, v144
	;; [unrolled: 2-line block ×3, first 2 shown]
	s_waitcnt vmcnt(42) lgkmcnt(0)
	v_mul_f32_e32 v138, v133, v200
	v_add_f32_e32 v137, v137, v146
	v_fmac_f32_e32 v138, v134, v196
	v_add_f32_e32 v141, v137, v138
	ds_read2_b64 v[137:140], v112 offset0:85 offset1:86
	buffer_load_dword v243, off, s[0:3], 0 offset:384
	buffer_load_dword v244, off, s[0:3], 0 offset:388
	s_waitcnt vmcnt(43)
	v_mul_f32_e32 v142, v135, v201
	s_waitcnt vmcnt(37)
	v_fmac_f32_e32 v142, v136, v207
	v_add_f32_e32 v145, v141, v142
	ds_read2_b64 v[141:144], v112 offset0:87 offset1:88
	buffer_load_dword v245, off, s[0:3], 0 offset:392
	buffer_load_dword v246, off, s[0:3], 0 offset:396
	;; [unrolled: 1-line block ×12, first 2 shown]
	v_mul_f32_e32 v3, v114, v3
	v_fma_f32 v3, v113, v191, -v3
	v_mul_f32_e32 v4, v116, v4
	v_add_f32_e32 v3, 0, v3
	v_fma_f32 v4, v115, v190, -v4
	v_add_f32_e32 v3, v3, v4
	v_mul_f32_e32 v4, v118, v5
	v_fma_f32 v4, v117, v189, -v4
	v_add_f32_e32 v3, v3, v4
	v_mul_f32_e32 v4, v120, v6
	v_fma_f32 v4, v119, v195, -v4
	s_waitcnt vmcnt(48) lgkmcnt(1)
	v_mul_f32_e32 v146, v137, v208
	v_add_f32_e32 v3, v3, v4
	v_mul_f32_e32 v4, v122, v7
	v_fmac_f32_e32 v146, v138, v206
	v_fma_f32 v4, v121, v194, -v4
	v_add_f32_e32 v145, v145, v146
	v_mul_f32_e32 v146, v139, v203
	v_add_f32_e32 v3, v3, v4
	v_mul_f32_e32 v4, v124, v8
	v_fmac_f32_e32 v146, v140, v202
	v_fma_f32 v4, v123, v193, -v4
	v_add_f32_e32 v14, v145, v146
	s_waitcnt lgkmcnt(0)
	v_mul_f32_e32 v145, v141, v205
	v_add_f32_e32 v3, v3, v4
	v_mul_f32_e32 v4, v126, v9
	v_fmac_f32_e32 v145, v142, v204
	v_fma_f32 v4, v125, v192, -v4
	v_add_f32_e32 v14, v14, v145
	ds_read2_b64 v[145:148], v112 offset0:89 offset1:90
	v_add_f32_e32 v3, v3, v4
	v_mul_f32_e32 v4, v128, v10
	v_fma_f32 v4, v127, v199, -v4
	s_waitcnt vmcnt(44)
	v_mul_f32_e32 v149, v143, v212
	v_add_f32_e32 v3, v3, v4
	v_mul_f32_e32 v4, v130, v11
	v_fmac_f32_e32 v149, v144, v211
	v_fma_f32 v4, v129, v198, -v4
	v_add_f32_e32 v14, v14, v149
	ds_read2_b64 v[149:152], v112 offset0:91 offset1:92
	v_add_f32_e32 v3, v3, v4
	v_mul_f32_e32 v4, v132, v12
	s_waitcnt vmcnt(42) lgkmcnt(1)
	v_mul_f32_e32 v153, v145, v214
	v_fma_f32 v4, v131, v197, -v4
	v_fmac_f32_e32 v153, v146, v213
	v_add_f32_e32 v3, v3, v4
	v_mul_f32_e32 v4, v134, v200
	v_add_f32_e32 v14, v14, v153
	s_waitcnt vmcnt(40)
	v_mul_f32_e32 v153, v147, v216
	v_fma_f32 v4, v133, v196, -v4
	v_fmac_f32_e32 v153, v148, v215
	v_add_f32_e32 v3, v3, v4
	v_mul_f32_e32 v4, v136, v201
	v_add_f32_e32 v14, v14, v153
	s_waitcnt vmcnt(38) lgkmcnt(0)
	v_mul_f32_e32 v153, v149, v218
	v_fma_f32 v4, v135, v207, -v4
	v_fmac_f32_e32 v153, v150, v217
	v_add_f32_e32 v3, v3, v4
	v_mul_f32_e32 v4, v138, v208
	v_add_f32_e32 v14, v14, v153
	ds_read2_b64 v[153:156], v112 offset0:93 offset1:94
	v_fma_f32 v4, v137, v206, -v4
	v_add_f32_e32 v3, v3, v4
	v_mul_f32_e32 v4, v140, v203
	s_waitcnt vmcnt(36)
	v_mul_f32_e32 v157, v151, v220
	v_fma_f32 v4, v139, v202, -v4
	v_fmac_f32_e32 v157, v152, v219
	v_add_f32_e32 v3, v3, v4
	v_mul_f32_e32 v4, v142, v205
	v_add_f32_e32 v14, v14, v157
	ds_read2_b64 v[157:160], v112 offset0:95 offset1:96
	v_fma_f32 v4, v141, v204, -v4
	s_waitcnt vmcnt(34) lgkmcnt(1)
	v_mul_f32_e32 v161, v153, v222
	v_add_f32_e32 v3, v3, v4
	v_mul_f32_e32 v4, v144, v212
	v_fmac_f32_e32 v161, v154, v221
	v_fma_f32 v4, v143, v211, -v4
	v_add_f32_e32 v14, v14, v161
	s_waitcnt vmcnt(32)
	v_mul_f32_e32 v161, v155, v224
	v_add_f32_e32 v3, v3, v4
	v_mul_f32_e32 v4, v146, v214
	v_fmac_f32_e32 v161, v156, v223
	v_fma_f32 v4, v145, v213, -v4
	v_add_f32_e32 v14, v14, v161
	s_waitcnt vmcnt(30) lgkmcnt(0)
	v_mul_f32_e32 v161, v157, v226
	v_add_f32_e32 v3, v3, v4
	v_mul_f32_e32 v4, v148, v216
	v_fmac_f32_e32 v161, v158, v225
	v_fma_f32 v4, v147, v215, -v4
	v_add_f32_e32 v14, v14, v161
	ds_read2_b64 v[161:164], v112 offset0:97 offset1:98
	v_add_f32_e32 v3, v3, v4
	v_mul_f32_e32 v4, v150, v218
	v_fma_f32 v4, v149, v217, -v4
	s_waitcnt vmcnt(28)
	v_mul_f32_e32 v165, v159, v228
	v_add_f32_e32 v3, v3, v4
	v_mul_f32_e32 v4, v152, v220
	v_fmac_f32_e32 v165, v160, v227
	v_fma_f32 v4, v151, v219, -v4
	v_add_f32_e32 v14, v14, v165
	ds_read2_b64 v[165:168], v112 offset0:99 offset1:100
	v_add_f32_e32 v3, v3, v4
	v_mul_f32_e32 v4, v154, v222
	s_waitcnt vmcnt(26) lgkmcnt(1)
	v_mul_f32_e32 v169, v161, v230
	v_fma_f32 v4, v153, v221, -v4
	v_fmac_f32_e32 v169, v162, v229
	v_add_f32_e32 v3, v3, v4
	v_mul_f32_e32 v4, v156, v224
	v_add_f32_e32 v14, v14, v169
	s_waitcnt vmcnt(25)
	v_mul_f32_e32 v169, v163, v231
	v_fma_f32 v4, v155, v223, -v4
	s_waitcnt vmcnt(22)
	v_fmac_f32_e32 v169, v164, v234
	v_add_f32_e32 v3, v3, v4
	v_mul_f32_e32 v4, v158, v226
	v_add_f32_e32 v14, v14, v169
	s_waitcnt lgkmcnt(0)
	v_mul_f32_e32 v169, v165, v233
	v_fma_f32 v4, v157, v225, -v4
	v_fmac_f32_e32 v169, v166, v232
	v_add_f32_e32 v3, v3, v4
	v_mul_f32_e32 v4, v160, v228
	v_add_f32_e32 v14, v14, v169
	ds_read2_b64 v[169:172], v112 offset0:101 offset1:102
	v_fma_f32 v4, v159, v227, -v4
	v_add_f32_e32 v3, v3, v4
	v_mul_f32_e32 v4, v162, v230
	s_waitcnt vmcnt(20)
	v_mul_f32_e32 v173, v167, v236
	v_fma_f32 v4, v161, v229, -v4
	v_fmac_f32_e32 v173, v168, v235
	v_add_f32_e32 v3, v3, v4
	v_mul_f32_e32 v4, v164, v231
	v_add_f32_e32 v14, v14, v173
	ds_read2_b64 v[173:176], v112 offset0:103 offset1:104
	v_fma_f32 v4, v163, v234, -v4
	s_waitcnt vmcnt(18) lgkmcnt(1)
	v_mul_f32_e32 v177, v169, v238
	v_add_f32_e32 v3, v3, v4
	v_mul_f32_e32 v4, v166, v233
	v_fmac_f32_e32 v177, v170, v237
	v_fma_f32 v4, v165, v232, -v4
	v_add_f32_e32 v14, v14, v177
	s_waitcnt vmcnt(17)
	v_mul_f32_e32 v177, v171, v239
	v_add_f32_e32 v3, v3, v4
	v_mul_f32_e32 v4, v168, v236
	s_waitcnt vmcnt(14)
	v_fmac_f32_e32 v177, v172, v242
	v_fma_f32 v4, v167, v235, -v4
	v_add_f32_e32 v14, v14, v177
	s_waitcnt lgkmcnt(0)
	v_mul_f32_e32 v177, v173, v241
	v_add_f32_e32 v3, v3, v4
	v_mul_f32_e32 v4, v170, v238
	v_fmac_f32_e32 v177, v174, v240
	v_fma_f32 v4, v169, v237, -v4
	v_add_f32_e32 v14, v14, v177
	ds_read2_b64 v[177:180], v112 offset0:105 offset1:106
	v_add_f32_e32 v3, v3, v4
	v_mul_f32_e32 v4, v172, v239
	v_fma_f32 v4, v171, v242, -v4
	v_add_f32_e32 v3, v3, v4
	v_mul_f32_e32 v4, v174, v241
	s_waitcnt vmcnt(12)
	v_mul_f32_e32 v181, v175, v244
	v_fma_f32 v4, v173, v240, -v4
	v_fmac_f32_e32 v181, v176, v243
	v_add_f32_e32 v3, v3, v4
	v_mul_f32_e32 v4, v176, v244
	v_add_f32_e32 v14, v14, v181
	ds_read2_b64 v[181:184], v112 offset0:107 offset1:108
	s_waitcnt vmcnt(10) lgkmcnt(1)
	v_mul_f32_e32 v185, v177, v246
	v_fma_f32 v4, v175, v243, -v4
	v_fmac_f32_e32 v185, v178, v245
	v_add_f32_e32 v3, v3, v4
	v_mul_f32_e32 v4, v178, v246
	v_add_f32_e32 v14, v14, v185
	s_waitcnt vmcnt(9)
	v_mul_f32_e32 v185, v179, v247
	v_fma_f32 v4, v177, v245, -v4
	s_waitcnt vmcnt(6)
	v_fmac_f32_e32 v185, v180, v250
	v_add_f32_e32 v3, v3, v4
	v_mul_f32_e32 v4, v180, v247
	v_add_f32_e32 v14, v14, v185
	ds_read2_b64 v[185:188], v112 offset0:109 offset1:110
	v_fma_f32 v4, v179, v250, -v4
	v_add_f32_e32 v3, v3, v4
	s_waitcnt lgkmcnt(1)
	v_mul_f32_e32 v4, v182, v249
	v_mul_f32_e32 v15, v181, v249
	v_fma_f32 v4, v181, v248, -v4
	v_fmac_f32_e32 v15, v182, v248
	v_add_f32_e32 v3, v3, v4
	s_waitcnt vmcnt(4)
	v_mul_f32_e32 v4, v184, v252
	v_add_f32_e32 v14, v14, v15
	v_mul_f32_e32 v15, v183, v252
	v_fma_f32 v4, v183, v251, -v4
	v_fmac_f32_e32 v15, v184, v251
	v_add_f32_e32 v3, v3, v4
	s_waitcnt vmcnt(3) lgkmcnt(0)
	v_mul_f32_e32 v4, v186, v253
	v_add_f32_e32 v14, v14, v15
	v_mul_f32_e32 v15, v185, v253
	s_waitcnt vmcnt(0)
	v_fma_f32 v4, v185, v13, -v4
	v_fmac_f32_e32 v15, v186, v13
	v_add_f32_e32 v3, v3, v4
	v_mul_f32_e32 v4, v188, v255
	v_add_f32_e32 v14, v14, v15
	v_mul_f32_e32 v15, v187, v255
	v_fma_f32 v4, v187, v254, -v4
	v_fmac_f32_e32 v15, v188, v254
	v_add_f32_e32 v3, v3, v4
	v_add_f32_e32 v14, v14, v15
	v_sub_f32_e32 v3, v209, v3
	v_sub_f32_e32 v4, v210, v14
	buffer_store_dword v3, off, s[0:3], 0 offset:128
	buffer_store_dword v4, off, s[0:3], 0 offset:132
	s_and_saveexec_b64 s[4:5], vcc
	s_cbranch_execz .LBB118_313
; %bb.312:
	buffer_load_dword v112, off, s[0:3], 0 offset:120
	buffer_load_dword v113, off, s[0:3], 0 offset:124
	v_mov_b32_e32 v3, 0
	buffer_store_dword v3, off, s[0:3], 0 offset:120
	buffer_store_dword v3, off, s[0:3], 0 offset:124
	s_waitcnt vmcnt(2)
	ds_write_b64 v111, v[112:113]
.LBB118_313:
	s_or_b64 exec, exec, s[4:5]
	s_waitcnt lgkmcnt(0)
	; wave barrier
	buffer_load_dword v3, off, s[0:3], 0 offset:132
	buffer_load_dword v4, off, s[0:3], 0 offset:140
	;; [unrolled: 1-line block ×50, first 2 shown]
	v_mov_b32_e32 v112, 0
	ds_read_b128 v[113:116], v112 offset:576
	ds_read_b128 v[117:120], v112 offset:592
	;; [unrolled: 1-line block ×6, first 2 shown]
	buffer_load_dword v227, off, s[0:3], 0 offset:320
	buffer_load_dword v228, off, s[0:3], 0 offset:324
	;; [unrolled: 1-line block ×8, first 2 shown]
	v_cmp_lt_u32_e32 vcc, 14, v0
	s_waitcnt vmcnt(57) lgkmcnt(5)
	v_mul_f32_e32 v137, v113, v3
	s_waitcnt vmcnt(56)
	v_mul_f32_e32 v138, v115, v4
	s_waitcnt vmcnt(55) lgkmcnt(4)
	v_mul_f32_e32 v139, v117, v5
	s_waitcnt vmcnt(54)
	v_mul_f32_e32 v140, v119, v6
	;; [unrolled: 4-line block ×5, first 2 shown]
	s_waitcnt vmcnt(47) lgkmcnt(0)
	v_mul_f32_e32 v147, v133, v13
	s_waitcnt vmcnt(46)
	v_fmac_f32_e32 v139, v118, v14
	s_waitcnt vmcnt(45)
	v_fmac_f32_e32 v138, v116, v15
	s_waitcnt vmcnt(44)
	v_fmac_f32_e32 v137, v114, v16
	v_add_f32_e32 v137, 0, v137
	v_add_f32_e32 v137, v137, v138
	;; [unrolled: 1-line block ×3, first 2 shown]
	s_waitcnt vmcnt(40)
	v_fmac_f32_e32 v140, v120, v194
	v_fmac_f32_e32 v141, v122, v193
	v_add_f32_e32 v137, v137, v140
	v_fmac_f32_e32 v142, v124, v192
	v_add_f32_e32 v137, v137, v141
	;; [unrolled: 2-line block ×3, first 2 shown]
	s_waitcnt vmcnt(36)
	v_fmac_f32_e32 v144, v128, v198
	v_add_f32_e32 v137, v137, v143
	v_fmac_f32_e32 v145, v130, v197
	v_add_f32_e32 v137, v137, v144
	;; [unrolled: 2-line block ×3, first 2 shown]
	v_add_f32_e32 v137, v137, v146
	v_fmac_f32_e32 v147, v134, v195
	v_add_f32_e32 v141, v137, v147
	ds_read_b128 v[137:140], v112 offset:672
	buffer_load_dword v235, off, s[0:3], 0 offset:352
	buffer_load_dword v236, off, s[0:3], 0 offset:356
	;; [unrolled: 1-line block ×6, first 2 shown]
	s_waitcnt vmcnt(41)
	v_mul_f32_e32 v142, v135, v199
	s_waitcnt vmcnt(34)
	v_fmac_f32_e32 v142, v136, v206
	v_add_f32_e32 v145, v141, v142
	ds_read_b128 v[141:144], v112 offset:688
	buffer_load_dword v241, off, s[0:3], 0 offset:376
	buffer_load_dword v242, off, s[0:3], 0 offset:380
	;; [unrolled: 1-line block ×16, first 2 shown]
	v_mul_f32_e32 v3, v114, v3
	v_fma_f32 v3, v113, v16, -v3
	v_mul_f32_e32 v4, v116, v4
	v_add_f32_e32 v3, 0, v3
	v_fma_f32 v4, v115, v15, -v4
	v_add_f32_e32 v3, v3, v4
	v_mul_f32_e32 v4, v118, v5
	v_fma_f32 v4, v117, v14, -v4
	s_waitcnt lgkmcnt(1)
	v_mul_f32_e32 v146, v137, v201
	v_add_f32_e32 v3, v3, v4
	v_mul_f32_e32 v4, v120, v6
	v_fmac_f32_e32 v146, v138, v200
	v_fma_f32 v4, v119, v194, -v4
	v_add_f32_e32 v145, v145, v146
	v_mul_f32_e32 v146, v139, v203
	v_add_f32_e32 v3, v3, v4
	v_mul_f32_e32 v4, v122, v7
	v_fmac_f32_e32 v146, v140, v202
	v_fma_f32 v4, v121, v193, -v4
	v_add_f32_e32 v145, v145, v146
	s_waitcnt lgkmcnt(0)
	v_mul_f32_e32 v146, v141, v205
	v_add_f32_e32 v3, v3, v4
	v_mul_f32_e32 v4, v124, v8
	v_fmac_f32_e32 v146, v142, v204
	v_fma_f32 v4, v123, v192, -v4
	v_add_f32_e32 v149, v145, v146
	ds_read_b128 v[145:148], v112 offset:704
	v_add_f32_e32 v3, v3, v4
	v_mul_f32_e32 v4, v126, v9
	v_fma_f32 v4, v125, v191, -v4
	s_waitcnt vmcnt(46)
	v_mul_f32_e32 v18, v143, v210
	v_add_f32_e32 v3, v3, v4
	v_mul_f32_e32 v4, v128, v10
	v_fmac_f32_e32 v18, v144, v209
	v_fma_f32 v4, v127, v198, -v4
	v_add_f32_e32 v18, v149, v18
	ds_read_b128 v[149:152], v112 offset:720
	v_add_f32_e32 v3, v3, v4
	v_mul_f32_e32 v4, v130, v11
	s_waitcnt vmcnt(44) lgkmcnt(1)
	v_mul_f32_e32 v153, v145, v212
	v_fma_f32 v4, v129, v197, -v4
	v_fmac_f32_e32 v153, v146, v211
	v_add_f32_e32 v3, v3, v4
	v_mul_f32_e32 v4, v132, v12
	v_add_f32_e32 v18, v18, v153
	s_waitcnt vmcnt(42)
	v_mul_f32_e32 v153, v147, v214
	v_fma_f32 v4, v131, v196, -v4
	v_fmac_f32_e32 v153, v148, v213
	v_add_f32_e32 v3, v3, v4
	v_mul_f32_e32 v4, v134, v13
	v_add_f32_e32 v18, v18, v153
	s_waitcnt vmcnt(40) lgkmcnt(0)
	v_mul_f32_e32 v153, v149, v216
	v_fma_f32 v4, v133, v195, -v4
	v_fmac_f32_e32 v153, v150, v215
	v_add_f32_e32 v3, v3, v4
	v_mul_f32_e32 v4, v136, v199
	v_add_f32_e32 v18, v18, v153
	ds_read_b128 v[153:156], v112 offset:736
	v_fma_f32 v4, v135, v206, -v4
	v_add_f32_e32 v3, v3, v4
	v_mul_f32_e32 v4, v138, v201
	s_waitcnt vmcnt(38)
	v_mul_f32_e32 v157, v151, v218
	v_fma_f32 v4, v137, v200, -v4
	v_fmac_f32_e32 v157, v152, v217
	v_add_f32_e32 v3, v3, v4
	v_mul_f32_e32 v4, v140, v203
	v_add_f32_e32 v18, v18, v157
	ds_read_b128 v[157:160], v112 offset:752
	v_fma_f32 v4, v139, v202, -v4
	s_waitcnt vmcnt(36) lgkmcnt(1)
	v_mul_f32_e32 v161, v153, v220
	v_add_f32_e32 v3, v3, v4
	v_mul_f32_e32 v4, v142, v205
	v_fmac_f32_e32 v161, v154, v219
	v_fma_f32 v4, v141, v204, -v4
	v_add_f32_e32 v18, v18, v161
	s_waitcnt vmcnt(34)
	v_mul_f32_e32 v161, v155, v222
	v_add_f32_e32 v3, v3, v4
	v_mul_f32_e32 v4, v144, v210
	v_fmac_f32_e32 v161, v156, v221
	v_fma_f32 v4, v143, v209, -v4
	v_add_f32_e32 v18, v18, v161
	s_waitcnt vmcnt(32) lgkmcnt(0)
	v_mul_f32_e32 v161, v157, v224
	v_add_f32_e32 v3, v3, v4
	v_mul_f32_e32 v4, v146, v212
	v_fmac_f32_e32 v161, v158, v223
	v_fma_f32 v4, v145, v211, -v4
	v_add_f32_e32 v18, v18, v161
	ds_read_b128 v[161:164], v112 offset:768
	v_add_f32_e32 v3, v3, v4
	v_mul_f32_e32 v4, v148, v214
	v_fma_f32 v4, v147, v213, -v4
	s_waitcnt vmcnt(30)
	v_mul_f32_e32 v165, v159, v226
	v_add_f32_e32 v3, v3, v4
	v_mul_f32_e32 v4, v150, v216
	v_fmac_f32_e32 v165, v160, v225
	v_fma_f32 v4, v149, v215, -v4
	v_add_f32_e32 v18, v18, v165
	ds_read_b128 v[165:168], v112 offset:784
	v_add_f32_e32 v3, v3, v4
	v_mul_f32_e32 v4, v152, v218
	s_waitcnt vmcnt(28) lgkmcnt(1)
	v_mul_f32_e32 v169, v161, v228
	v_fma_f32 v4, v151, v217, -v4
	v_fmac_f32_e32 v169, v162, v227
	v_add_f32_e32 v3, v3, v4
	v_mul_f32_e32 v4, v154, v220
	v_add_f32_e32 v18, v18, v169
	s_waitcnt vmcnt(27)
	v_mul_f32_e32 v169, v163, v229
	v_fma_f32 v4, v153, v219, -v4
	s_waitcnt vmcnt(24)
	v_fmac_f32_e32 v169, v164, v232
	v_add_f32_e32 v3, v3, v4
	v_mul_f32_e32 v4, v156, v222
	v_add_f32_e32 v18, v18, v169
	s_waitcnt lgkmcnt(0)
	v_mul_f32_e32 v169, v165, v231
	v_fma_f32 v4, v155, v221, -v4
	v_fmac_f32_e32 v169, v166, v230
	v_add_f32_e32 v3, v3, v4
	v_mul_f32_e32 v4, v158, v224
	v_add_f32_e32 v18, v18, v169
	ds_read_b128 v[169:172], v112 offset:800
	v_fma_f32 v4, v157, v223, -v4
	v_add_f32_e32 v3, v3, v4
	v_mul_f32_e32 v4, v160, v226
	s_waitcnt vmcnt(22)
	v_mul_f32_e32 v173, v167, v234
	v_fma_f32 v4, v159, v225, -v4
	v_fmac_f32_e32 v173, v168, v233
	v_add_f32_e32 v3, v3, v4
	v_mul_f32_e32 v4, v162, v228
	v_add_f32_e32 v18, v18, v173
	ds_read_b128 v[173:176], v112 offset:816
	v_fma_f32 v4, v161, v227, -v4
	s_waitcnt vmcnt(20) lgkmcnt(1)
	v_mul_f32_e32 v177, v169, v236
	v_add_f32_e32 v3, v3, v4
	v_mul_f32_e32 v4, v164, v229
	v_fmac_f32_e32 v177, v170, v235
	v_fma_f32 v4, v163, v232, -v4
	v_add_f32_e32 v18, v18, v177
	s_waitcnt vmcnt(19)
	v_mul_f32_e32 v177, v171, v237
	v_add_f32_e32 v3, v3, v4
	v_mul_f32_e32 v4, v166, v231
	s_waitcnt vmcnt(16)
	v_fmac_f32_e32 v177, v172, v240
	v_fma_f32 v4, v165, v230, -v4
	v_add_f32_e32 v18, v18, v177
	s_waitcnt lgkmcnt(0)
	v_mul_f32_e32 v177, v173, v239
	v_add_f32_e32 v3, v3, v4
	v_mul_f32_e32 v4, v168, v234
	v_fmac_f32_e32 v177, v174, v238
	v_fma_f32 v4, v167, v233, -v4
	v_add_f32_e32 v18, v18, v177
	ds_read_b128 v[177:180], v112 offset:832
	v_add_f32_e32 v3, v3, v4
	v_mul_f32_e32 v4, v170, v236
	v_fma_f32 v4, v169, v235, -v4
	s_waitcnt vmcnt(14)
	v_mul_f32_e32 v181, v175, v242
	v_add_f32_e32 v3, v3, v4
	v_mul_f32_e32 v4, v172, v237
	v_fmac_f32_e32 v181, v176, v241
	v_fma_f32 v4, v171, v240, -v4
	v_add_f32_e32 v18, v18, v181
	ds_read_b128 v[181:184], v112 offset:848
	v_add_f32_e32 v3, v3, v4
	v_mul_f32_e32 v4, v174, v239
	s_waitcnt vmcnt(12) lgkmcnt(1)
	v_mul_f32_e32 v185, v177, v244
	v_fma_f32 v4, v173, v238, -v4
	v_fmac_f32_e32 v185, v178, v243
	v_add_f32_e32 v3, v3, v4
	v_mul_f32_e32 v4, v176, v242
	v_add_f32_e32 v18, v18, v185
	s_waitcnt vmcnt(11)
	v_mul_f32_e32 v185, v179, v245
	v_fma_f32 v4, v175, v241, -v4
	s_waitcnt vmcnt(8)
	v_fmac_f32_e32 v185, v180, v248
	v_add_f32_e32 v3, v3, v4
	v_mul_f32_e32 v4, v178, v244
	v_add_f32_e32 v18, v18, v185
	s_waitcnt lgkmcnt(0)
	v_mul_f32_e32 v185, v181, v247
	v_fma_f32 v4, v177, v243, -v4
	v_fmac_f32_e32 v185, v182, v246
	v_add_f32_e32 v3, v3, v4
	v_mul_f32_e32 v4, v180, v245
	v_add_f32_e32 v18, v18, v185
	ds_read_b128 v[185:188], v112 offset:864
	v_fma_f32 v4, v179, v248, -v4
	v_add_f32_e32 v3, v3, v4
	v_mul_f32_e32 v4, v182, v247
	s_waitcnt vmcnt(6)
	v_mul_f32_e32 v189, v183, v250
	v_fma_f32 v4, v181, v246, -v4
	v_fmac_f32_e32 v189, v184, v249
	v_add_f32_e32 v3, v3, v4
	v_mul_f32_e32 v4, v184, v250
	v_add_f32_e32 v18, v18, v189
	ds_read_b64 v[189:190], v112 offset:880
	v_fma_f32 v4, v183, v249, -v4
	v_add_f32_e32 v3, v3, v4
	s_waitcnt vmcnt(4) lgkmcnt(1)
	v_mul_f32_e32 v4, v186, v252
	v_mul_f32_e32 v19, v185, v252
	v_fma_f32 v4, v185, v251, -v4
	v_fmac_f32_e32 v19, v186, v251
	v_add_f32_e32 v3, v3, v4
	s_waitcnt vmcnt(3)
	v_mul_f32_e32 v4, v188, v253
	v_add_f32_e32 v18, v18, v19
	v_mul_f32_e32 v19, v187, v253
	s_waitcnt vmcnt(0)
	v_fma_f32 v4, v187, v17, -v4
	v_fmac_f32_e32 v19, v188, v17
	v_add_f32_e32 v3, v3, v4
	s_waitcnt lgkmcnt(0)
	v_mul_f32_e32 v4, v190, v255
	v_add_f32_e32 v18, v18, v19
	v_mul_f32_e32 v19, v189, v255
	v_fma_f32 v4, v189, v254, -v4
	v_fmac_f32_e32 v19, v190, v254
	v_add_f32_e32 v3, v3, v4
	v_add_f32_e32 v18, v18, v19
	v_sub_f32_e32 v3, v207, v3
	v_sub_f32_e32 v4, v208, v18
	buffer_store_dword v3, off, s[0:3], 0 offset:120
	buffer_store_dword v4, off, s[0:3], 0 offset:124
	s_and_saveexec_b64 s[4:5], vcc
	s_cbranch_execz .LBB118_315
; %bb.314:
	buffer_load_dword v113, off, s[0:3], 0 offset:112
	buffer_load_dword v114, off, s[0:3], 0 offset:116
	s_waitcnt vmcnt(0)
	ds_write_b64 v111, v[113:114]
	buffer_store_dword v112, off, s[0:3], 0 offset:112
	buffer_store_dword v112, off, s[0:3], 0 offset:116
.LBB118_315:
	s_or_b64 exec, exec, s[4:5]
	s_waitcnt lgkmcnt(0)
	; wave barrier
	buffer_load_dword v3, off, s[0:3], 0 offset:124
	buffer_load_dword v4, off, s[0:3], 0 offset:132
	;; [unrolled: 1-line block ×32, first 2 shown]
	ds_read2_b64 v[113:116], v112 offset0:71 offset1:72
	ds_read2_b64 v[117:120], v112 offset0:73 offset1:74
	;; [unrolled: 1-line block ×6, first 2 shown]
	buffer_load_dword v207, off, s[0:3], 0 offset:240
	buffer_load_dword v208, off, s[0:3], 0 offset:244
	;; [unrolled: 1-line block ×26, first 2 shown]
	v_cmp_lt_u32_e32 vcc, 13, v0
	s_waitcnt vmcnt(57) lgkmcnt(5)
	v_mul_f32_e32 v137, v113, v3
	s_waitcnt vmcnt(56)
	v_mul_f32_e32 v138, v115, v4
	s_waitcnt vmcnt(55) lgkmcnt(4)
	v_mul_f32_e32 v139, v117, v5
	s_waitcnt vmcnt(54)
	v_mul_f32_e32 v140, v119, v6
	;; [unrolled: 4-line block ×5, first 2 shown]
	s_waitcnt vmcnt(47) lgkmcnt(0)
	v_mul_f32_e32 v147, v133, v13
	s_waitcnt vmcnt(46)
	v_fmac_f32_e32 v139, v118, v14
	s_waitcnt vmcnt(45)
	v_fmac_f32_e32 v138, v116, v15
	;; [unrolled: 2-line block ×3, first 2 shown]
	v_add_f32_e32 v137, 0, v137
	v_add_f32_e32 v137, v137, v138
	;; [unrolled: 1-line block ×3, first 2 shown]
	s_waitcnt vmcnt(40)
	v_fmac_f32_e32 v140, v120, v20
	v_fmac_f32_e32 v141, v122, v19
	v_add_f32_e32 v137, v137, v140
	v_fmac_f32_e32 v142, v124, v18
	v_add_f32_e32 v137, v137, v141
	;; [unrolled: 2-line block ×3, first 2 shown]
	s_waitcnt vmcnt(36)
	v_fmac_f32_e32 v144, v128, v196
	v_add_f32_e32 v137, v137, v143
	v_fmac_f32_e32 v145, v130, v195
	v_add_f32_e32 v137, v137, v144
	;; [unrolled: 2-line block ×4, first 2 shown]
	v_add_f32_e32 v141, v137, v147
	ds_read2_b64 v[137:140], v112 offset0:83 offset1:84
	buffer_load_dword v233, off, s[0:3], 0 offset:344
	buffer_load_dword v234, off, s[0:3], 0 offset:348
	;; [unrolled: 1-line block ×6, first 2 shown]
	s_waitcnt vmcnt(41)
	v_mul_f32_e32 v142, v135, v197
	s_waitcnt vmcnt(35)
	v_fmac_f32_e32 v142, v136, v203
	v_add_f32_e32 v145, v141, v142
	ds_read2_b64 v[141:144], v112 offset0:85 offset1:86
	buffer_load_dword v239, off, s[0:3], 0 offset:368
	buffer_load_dword v240, off, s[0:3], 0 offset:372
	;; [unrolled: 1-line block ×10, first 2 shown]
	s_waitcnt vmcnt(44) lgkmcnt(1)
	v_mul_f32_e32 v146, v137, v204
	v_fmac_f32_e32 v146, v138, v202
	v_add_f32_e32 v145, v145, v146
	v_mul_f32_e32 v146, v139, v199
	v_fmac_f32_e32 v146, v140, v198
	v_add_f32_e32 v145, v145, v146
	s_waitcnt lgkmcnt(0)
	v_mul_f32_e32 v146, v141, v201
	buffer_load_dword v249, off, s[0:3], 0 offset:408
	buffer_load_dword v250, off, s[0:3], 0 offset:412
	;; [unrolled: 1-line block ×6, first 2 shown]
	v_fmac_f32_e32 v146, v142, v200
	s_waitcnt vmcnt(46)
	v_mul_f32_e32 v150, v143, v208
	v_add_f32_e32 v149, v145, v146
	v_fmac_f32_e32 v150, v144, v207
	ds_read2_b64 v[145:148], v112 offset0:87 offset1:88
	v_add_f32_e32 v153, v149, v150
	ds_read2_b64 v[149:152], v112 offset0:89 offset1:90
	buffer_load_dword v255, off, s[0:3], 0 offset:432
	buffer_load_dword v21, off, s[0:3], 0 offset:436
	v_mul_f32_e32 v3, v114, v3
	v_fma_f32 v3, v113, v16, -v3
	v_mul_f32_e32 v4, v116, v4
	v_add_f32_e32 v3, 0, v3
	v_fma_f32 v4, v115, v15, -v4
	v_add_f32_e32 v3, v3, v4
	v_mul_f32_e32 v4, v118, v5
	v_fma_f32 v4, v117, v14, -v4
	v_add_f32_e32 v3, v3, v4
	v_mul_f32_e32 v4, v120, v6
	;; [unrolled: 3-line block ×7, first 2 shown]
	s_waitcnt vmcnt(46) lgkmcnt(1)
	v_mul_f32_e32 v22, v145, v210
	v_fma_f32 v4, v129, v195, -v4
	v_fmac_f32_e32 v22, v146, v209
	v_add_f32_e32 v3, v3, v4
	v_mul_f32_e32 v4, v132, v12
	v_add_f32_e32 v22, v153, v22
	s_waitcnt vmcnt(44)
	v_mul_f32_e32 v153, v147, v212
	v_fma_f32 v4, v131, v194, -v4
	v_fmac_f32_e32 v153, v148, v211
	v_add_f32_e32 v3, v3, v4
	v_mul_f32_e32 v4, v134, v13
	v_add_f32_e32 v22, v22, v153
	s_waitcnt vmcnt(42) lgkmcnt(0)
	v_mul_f32_e32 v153, v149, v214
	v_fma_f32 v4, v133, v193, -v4
	v_fmac_f32_e32 v153, v150, v213
	v_add_f32_e32 v3, v3, v4
	v_mul_f32_e32 v4, v136, v197
	v_add_f32_e32 v22, v22, v153
	ds_read2_b64 v[153:156], v112 offset0:91 offset1:92
	v_fma_f32 v4, v135, v203, -v4
	v_add_f32_e32 v3, v3, v4
	v_mul_f32_e32 v4, v138, v204
	s_waitcnt vmcnt(40)
	v_mul_f32_e32 v157, v151, v216
	v_fma_f32 v4, v137, v202, -v4
	v_fmac_f32_e32 v157, v152, v215
	v_add_f32_e32 v3, v3, v4
	v_mul_f32_e32 v4, v140, v199
	v_add_f32_e32 v22, v22, v157
	ds_read2_b64 v[157:160], v112 offset0:93 offset1:94
	v_fma_f32 v4, v139, v198, -v4
	s_waitcnt vmcnt(38) lgkmcnt(1)
	v_mul_f32_e32 v161, v153, v218
	v_add_f32_e32 v3, v3, v4
	v_mul_f32_e32 v4, v142, v201
	v_fmac_f32_e32 v161, v154, v217
	v_fma_f32 v4, v141, v200, -v4
	v_add_f32_e32 v22, v22, v161
	s_waitcnt vmcnt(36)
	v_mul_f32_e32 v161, v155, v220
	v_add_f32_e32 v3, v3, v4
	v_mul_f32_e32 v4, v144, v208
	v_fmac_f32_e32 v161, v156, v219
	v_fma_f32 v4, v143, v207, -v4
	v_add_f32_e32 v22, v22, v161
	s_waitcnt vmcnt(34) lgkmcnt(0)
	v_mul_f32_e32 v161, v157, v222
	v_add_f32_e32 v3, v3, v4
	v_mul_f32_e32 v4, v146, v210
	v_fmac_f32_e32 v161, v158, v221
	v_fma_f32 v4, v145, v209, -v4
	v_add_f32_e32 v22, v22, v161
	ds_read2_b64 v[161:164], v112 offset0:95 offset1:96
	v_add_f32_e32 v3, v3, v4
	v_mul_f32_e32 v4, v148, v212
	v_fma_f32 v4, v147, v211, -v4
	s_waitcnt vmcnt(32)
	v_mul_f32_e32 v165, v159, v224
	v_add_f32_e32 v3, v3, v4
	v_mul_f32_e32 v4, v150, v214
	v_fmac_f32_e32 v165, v160, v223
	v_fma_f32 v4, v149, v213, -v4
	v_add_f32_e32 v22, v22, v165
	ds_read2_b64 v[165:168], v112 offset0:97 offset1:98
	v_add_f32_e32 v3, v3, v4
	v_mul_f32_e32 v4, v152, v216
	s_waitcnt vmcnt(30) lgkmcnt(1)
	v_mul_f32_e32 v169, v161, v226
	v_fma_f32 v4, v151, v215, -v4
	v_fmac_f32_e32 v169, v162, v225
	v_add_f32_e32 v3, v3, v4
	v_mul_f32_e32 v4, v154, v218
	v_add_f32_e32 v22, v22, v169
	s_waitcnt vmcnt(29)
	v_mul_f32_e32 v169, v163, v227
	v_fma_f32 v4, v153, v217, -v4
	s_waitcnt vmcnt(26)
	v_fmac_f32_e32 v169, v164, v230
	v_add_f32_e32 v3, v3, v4
	v_mul_f32_e32 v4, v156, v220
	v_add_f32_e32 v22, v22, v169
	s_waitcnt lgkmcnt(0)
	v_mul_f32_e32 v169, v165, v229
	v_fma_f32 v4, v155, v219, -v4
	v_fmac_f32_e32 v169, v166, v228
	v_add_f32_e32 v3, v3, v4
	v_mul_f32_e32 v4, v158, v222
	v_add_f32_e32 v22, v22, v169
	ds_read2_b64 v[169:172], v112 offset0:99 offset1:100
	v_fma_f32 v4, v157, v221, -v4
	v_add_f32_e32 v3, v3, v4
	v_mul_f32_e32 v4, v160, v224
	s_waitcnt vmcnt(24)
	v_mul_f32_e32 v173, v167, v232
	v_fma_f32 v4, v159, v223, -v4
	v_fmac_f32_e32 v173, v168, v231
	v_add_f32_e32 v3, v3, v4
	v_mul_f32_e32 v4, v162, v226
	v_add_f32_e32 v22, v22, v173
	ds_read2_b64 v[173:176], v112 offset0:101 offset1:102
	v_fma_f32 v4, v161, v225, -v4
	s_waitcnt vmcnt(22) lgkmcnt(1)
	v_mul_f32_e32 v177, v169, v234
	v_add_f32_e32 v3, v3, v4
	v_mul_f32_e32 v4, v164, v227
	v_fmac_f32_e32 v177, v170, v233
	v_fma_f32 v4, v163, v230, -v4
	v_add_f32_e32 v22, v22, v177
	s_waitcnt vmcnt(21)
	v_mul_f32_e32 v177, v171, v235
	v_add_f32_e32 v3, v3, v4
	v_mul_f32_e32 v4, v166, v229
	s_waitcnt vmcnt(18)
	v_fmac_f32_e32 v177, v172, v238
	v_fma_f32 v4, v165, v228, -v4
	v_add_f32_e32 v22, v22, v177
	s_waitcnt lgkmcnt(0)
	v_mul_f32_e32 v177, v173, v237
	v_add_f32_e32 v3, v3, v4
	v_mul_f32_e32 v4, v168, v232
	v_fmac_f32_e32 v177, v174, v236
	v_fma_f32 v4, v167, v231, -v4
	v_add_f32_e32 v22, v22, v177
	ds_read2_b64 v[177:180], v112 offset0:103 offset1:104
	v_add_f32_e32 v3, v3, v4
	v_mul_f32_e32 v4, v170, v234
	v_fma_f32 v4, v169, v233, -v4
	s_waitcnt vmcnt(16)
	v_mul_f32_e32 v181, v175, v240
	v_add_f32_e32 v3, v3, v4
	v_mul_f32_e32 v4, v172, v235
	v_fmac_f32_e32 v181, v176, v239
	v_fma_f32 v4, v171, v238, -v4
	v_add_f32_e32 v22, v22, v181
	ds_read2_b64 v[181:184], v112 offset0:105 offset1:106
	v_add_f32_e32 v3, v3, v4
	v_mul_f32_e32 v4, v174, v237
	s_waitcnt vmcnt(14) lgkmcnt(1)
	v_mul_f32_e32 v185, v177, v242
	v_fma_f32 v4, v173, v236, -v4
	v_fmac_f32_e32 v185, v178, v241
	v_add_f32_e32 v3, v3, v4
	v_mul_f32_e32 v4, v176, v240
	v_add_f32_e32 v22, v22, v185
	s_waitcnt vmcnt(13)
	v_mul_f32_e32 v185, v179, v243
	v_fma_f32 v4, v175, v239, -v4
	s_waitcnt vmcnt(10)
	v_fmac_f32_e32 v185, v180, v246
	v_add_f32_e32 v3, v3, v4
	v_mul_f32_e32 v4, v178, v242
	v_add_f32_e32 v22, v22, v185
	s_waitcnt lgkmcnt(0)
	v_mul_f32_e32 v185, v181, v245
	v_fma_f32 v4, v177, v241, -v4
	v_fmac_f32_e32 v185, v182, v244
	v_add_f32_e32 v3, v3, v4
	v_mul_f32_e32 v4, v180, v243
	v_add_f32_e32 v22, v22, v185
	ds_read2_b64 v[185:188], v112 offset0:107 offset1:108
	v_fma_f32 v4, v179, v246, -v4
	v_add_f32_e32 v3, v3, v4
	v_mul_f32_e32 v4, v182, v245
	s_waitcnt vmcnt(8)
	v_mul_f32_e32 v189, v183, v248
	v_fma_f32 v4, v181, v244, -v4
	v_fmac_f32_e32 v189, v184, v247
	v_add_f32_e32 v3, v3, v4
	v_mul_f32_e32 v4, v184, v248
	v_add_f32_e32 v22, v22, v189
	ds_read2_b64 v[189:192], v112 offset0:109 offset1:110
	v_fma_f32 v4, v183, v247, -v4
	v_add_f32_e32 v3, v3, v4
	s_waitcnt vmcnt(6) lgkmcnt(1)
	v_mul_f32_e32 v4, v186, v250
	v_mul_f32_e32 v112, v185, v250
	v_fma_f32 v4, v185, v249, -v4
	v_fmac_f32_e32 v112, v186, v249
	v_add_f32_e32 v3, v3, v4
	s_waitcnt vmcnt(5)
	v_mul_f32_e32 v4, v188, v251
	v_add_f32_e32 v22, v22, v112
	v_mul_f32_e32 v112, v187, v251
	s_waitcnt vmcnt(2)
	v_fma_f32 v4, v187, v254, -v4
	v_fmac_f32_e32 v112, v188, v254
	v_add_f32_e32 v3, v3, v4
	s_waitcnt lgkmcnt(0)
	v_mul_f32_e32 v4, v190, v253
	v_add_f32_e32 v22, v22, v112
	v_mul_f32_e32 v112, v189, v253
	v_fma_f32 v4, v189, v252, -v4
	v_fmac_f32_e32 v112, v190, v252
	v_add_f32_e32 v3, v3, v4
	s_waitcnt vmcnt(0)
	v_mul_f32_e32 v4, v192, v21
	v_add_f32_e32 v22, v22, v112
	v_mul_f32_e32 v112, v191, v21
	v_fma_f32 v4, v191, v255, -v4
	v_fmac_f32_e32 v112, v192, v255
	v_add_f32_e32 v3, v3, v4
	v_add_f32_e32 v22, v22, v112
	v_sub_f32_e32 v3, v205, v3
	v_sub_f32_e32 v4, v206, v22
	buffer_store_dword v3, off, s[0:3], 0 offset:112
	buffer_store_dword v4, off, s[0:3], 0 offset:116
	s_and_saveexec_b64 s[4:5], vcc
	s_cbranch_execz .LBB118_317
; %bb.316:
	buffer_load_dword v112, off, s[0:3], 0 offset:104
	buffer_load_dword v113, off, s[0:3], 0 offset:108
	v_mov_b32_e32 v3, 0
	buffer_store_dword v3, off, s[0:3], 0 offset:104
	buffer_store_dword v3, off, s[0:3], 0 offset:108
	s_waitcnt vmcnt(2)
	ds_write_b64 v111, v[112:113]
.LBB118_317:
	s_or_b64 exec, exec, s[4:5]
	s_waitcnt lgkmcnt(0)
	; wave barrier
	buffer_load_dword v121, off, s[0:3], 0 offset:116
	buffer_load_dword v120, off, s[0:3], 0 offset:124
	;; [unrolled: 1-line block ×50, first 2 shown]
	v_mov_b32_e32 v112, 0
	ds_read_b128 v[122:125], v112 offset:560
	ds_read_b128 v[126:129], v112 offset:576
	;; [unrolled: 1-line block ×6, first 2 shown]
	buffer_load_dword v225, off, s[0:3], 0 offset:304
	buffer_load_dword v226, off, s[0:3], 0 offset:308
	buffer_load_dword v227, off, s[0:3], 0 offset:316
	buffer_load_dword v228, off, s[0:3], 0 offset:320
	buffer_load_dword v229, off, s[0:3], 0 offset:324
	buffer_load_dword v230, off, s[0:3], 0 offset:312
	v_cmp_lt_u32_e32 vcc, 12, v0
	s_waitcnt vmcnt(55) lgkmcnt(5)
	v_mul_f32_e32 v146, v122, v121
	s_waitcnt vmcnt(54)
	v_mul_f32_e32 v147, v124, v120
	s_waitcnt vmcnt(53) lgkmcnt(4)
	v_mul_f32_e32 v148, v126, v119
	s_waitcnt vmcnt(52)
	v_mul_f32_e32 v149, v128, v118
	s_waitcnt vmcnt(51) lgkmcnt(3)
	v_mul_f32_e32 v150, v130, v117
	s_waitcnt vmcnt(50)
	v_mul_f32_e32 v151, v132, v116
	s_waitcnt vmcnt(49) lgkmcnt(2)
	v_mul_f32_e32 v152, v134, v115
	s_waitcnt vmcnt(48)
	v_mul_f32_e32 v153, v136, v3
	s_waitcnt vmcnt(47) lgkmcnt(1)
	v_mul_f32_e32 v154, v138, v4
	s_waitcnt vmcnt(46)
	v_mul_f32_e32 v155, v140, v5
	s_waitcnt vmcnt(45) lgkmcnt(0)
	v_mul_f32_e32 v156, v142, v6
	s_waitcnt vmcnt(44)
	v_fmac_f32_e32 v148, v127, v7
	s_waitcnt vmcnt(43)
	v_fmac_f32_e32 v147, v125, v8
	;; [unrolled: 2-line block ×3, first 2 shown]
	v_add_f32_e32 v146, 0, v146
	v_add_f32_e32 v146, v146, v147
	;; [unrolled: 1-line block ×3, first 2 shown]
	s_waitcnt vmcnt(38)
	v_fmac_f32_e32 v149, v129, v13
	v_fmac_f32_e32 v150, v131, v12
	v_add_f32_e32 v146, v146, v149
	v_fmac_f32_e32 v151, v133, v11
	v_add_f32_e32 v146, v146, v150
	;; [unrolled: 2-line block ×3, first 2 shown]
	s_waitcnt vmcnt(34)
	v_fmac_f32_e32 v153, v137, v17
	v_add_f32_e32 v146, v146, v152
	v_fmac_f32_e32 v154, v139, v16
	v_add_f32_e32 v146, v146, v153
	;; [unrolled: 2-line block ×4, first 2 shown]
	v_add_f32_e32 v150, v146, v156
	ds_read_b128 v[146:149], v112 offset:656
	buffer_load_dword v231, off, s[0:3], 0 offset:328
	buffer_load_dword v232, off, s[0:3], 0 offset:332
	s_waitcnt vmcnt(35)
	v_mul_f32_e32 v151, v144, v18
	s_waitcnt vmcnt(29)
	v_fmac_f32_e32 v151, v145, v205
	v_add_f32_e32 v154, v150, v151
	ds_read_b128 v[150:153], v112 offset:672
	buffer_load_dword v233, off, s[0:3], 0 offset:336
	buffer_load_dword v234, off, s[0:3], 0 offset:340
	;; [unrolled: 1-line block ×14, first 2 shown]
	s_waitcnt vmcnt(42) lgkmcnt(1)
	v_mul_f32_e32 v155, v146, v206
	v_fmac_f32_e32 v155, v147, v204
	buffer_load_dword v247, off, s[0:3], 0 offset:392
	buffer_load_dword v248, off, s[0:3], 0 offset:396
	v_add_f32_e32 v154, v154, v155
	v_mul_f32_e32 v155, v148, v20
	v_fmac_f32_e32 v155, v149, v19
	v_add_f32_e32 v154, v154, v155
	s_waitcnt lgkmcnt(0)
	v_mul_f32_e32 v155, v150, v22
	v_fmac_f32_e32 v155, v151, v21
	v_add_f32_e32 v158, v154, v155
	ds_read_b128 v[154:157], v112 offset:688
	buffer_load_dword v249, off, s[0:3], 0 offset:400
	buffer_load_dword v250, off, s[0:3], 0 offset:404
	;; [unrolled: 1-line block ×6, first 2 shown]
	s_waitcnt vmcnt(46)
	v_mul_f32_e32 v159, v152, v208
	v_fmac_f32_e32 v159, v153, v207
	v_add_f32_e32 v162, v158, v159
	ds_read_b128 v[158:161], v112 offset:704
	buffer_load_dword v255, off, s[0:3], 0 offset:428
	buffer_load_dword v23, off, s[0:3], 0 offset:432
	;; [unrolled: 1-line block ×4, first 2 shown]
	s_waitcnt vmcnt(48) lgkmcnt(1)
	v_mul_f32_e32 v163, v154, v210
	v_fmac_f32_e32 v163, v155, v209
	v_add_f32_e32 v26, v162, v163
	s_waitcnt vmcnt(46)
	v_mul_f32_e32 v162, v156, v212
	v_fmac_f32_e32 v162, v157, v211
	v_add_f32_e32 v26, v26, v162
	s_waitcnt vmcnt(44) lgkmcnt(0)
	v_mul_f32_e32 v162, v158, v214
	v_fmac_f32_e32 v162, v159, v213
	v_add_f32_e32 v26, v26, v162
	ds_read_b128 v[162:165], v112 offset:720
	s_waitcnt vmcnt(42)
	v_mul_f32_e32 v166, v160, v216
	v_fmac_f32_e32 v166, v161, v215
	v_add_f32_e32 v26, v26, v166
	ds_read_b128 v[166:169], v112 offset:736
	s_waitcnt vmcnt(40) lgkmcnt(1)
	v_mul_f32_e32 v170, v162, v218
	v_fmac_f32_e32 v170, v163, v217
	v_add_f32_e32 v26, v26, v170
	s_waitcnt vmcnt(38)
	v_mul_f32_e32 v170, v164, v220
	v_fmac_f32_e32 v170, v165, v219
	v_add_f32_e32 v26, v26, v170
	s_waitcnt vmcnt(36) lgkmcnt(0)
	v_mul_f32_e32 v170, v166, v222
	v_fmac_f32_e32 v170, v167, v221
	v_add_f32_e32 v26, v26, v170
	ds_read_b128 v[170:173], v112 offset:752
	s_waitcnt vmcnt(34)
	v_mul_f32_e32 v174, v168, v224
	v_fmac_f32_e32 v174, v169, v223
	v_add_f32_e32 v26, v26, v174
	ds_read_b128 v[174:177], v112 offset:768
	s_waitcnt vmcnt(32) lgkmcnt(1)
	v_mul_f32_e32 v178, v170, v226
	v_fmac_f32_e32 v178, v171, v225
	v_add_f32_e32 v26, v26, v178
	s_waitcnt vmcnt(31)
	v_mul_f32_e32 v178, v172, v227
	s_waitcnt vmcnt(28)
	v_fmac_f32_e32 v178, v173, v230
	v_add_f32_e32 v26, v26, v178
	s_waitcnt lgkmcnt(0)
	v_mul_f32_e32 v178, v174, v229
	v_fmac_f32_e32 v178, v175, v228
	v_add_f32_e32 v26, v26, v178
	ds_read_b128 v[178:181], v112 offset:784
	v_mul_f32_e32 v3, v137, v3
	v_fma_f32 v3, v136, v17, -v3
	v_mul_f32_e32 v4, v139, v4
	v_fma_f32 v4, v138, v16, -v4
	s_waitcnt vmcnt(26)
	v_mul_f32_e32 v182, v176, v232
	v_fmac_f32_e32 v182, v177, v231
	v_add_f32_e32 v26, v26, v182
	ds_read_b128 v[182:185], v112 offset:800
	s_waitcnt vmcnt(24) lgkmcnt(1)
	v_mul_f32_e32 v186, v178, v234
	v_fmac_f32_e32 v186, v179, v233
	v_add_f32_e32 v26, v26, v186
	s_waitcnt vmcnt(23)
	v_mul_f32_e32 v186, v180, v235
	s_waitcnt vmcnt(20)
	v_fmac_f32_e32 v186, v181, v238
	v_add_f32_e32 v26, v26, v186
	s_waitcnt lgkmcnt(0)
	v_mul_f32_e32 v186, v182, v237
	v_fmac_f32_e32 v186, v183, v236
	v_add_f32_e32 v26, v26, v186
	ds_read_b128 v[186:189], v112 offset:816
	s_waitcnt vmcnt(18)
	v_mul_f32_e32 v190, v184, v240
	v_fmac_f32_e32 v190, v185, v239
	v_add_f32_e32 v26, v26, v190
	ds_read_b128 v[190:193], v112 offset:832
	s_waitcnt vmcnt(16) lgkmcnt(1)
	v_mul_f32_e32 v194, v186, v242
	v_fmac_f32_e32 v194, v187, v241
	v_add_f32_e32 v26, v26, v194
	s_waitcnt vmcnt(15)
	v_mul_f32_e32 v194, v188, v243
	s_waitcnt vmcnt(12)
	v_fmac_f32_e32 v194, v189, v246
	v_add_f32_e32 v26, v26, v194
	s_waitcnt lgkmcnt(0)
	v_mul_f32_e32 v194, v190, v245
	v_fmac_f32_e32 v194, v191, v244
	v_add_f32_e32 v26, v26, v194
	ds_read_b128 v[194:197], v112 offset:848
	s_waitcnt vmcnt(10)
	v_mul_f32_e32 v198, v192, v248
	v_fmac_f32_e32 v198, v193, v247
	v_add_f32_e32 v26, v26, v198
	ds_read_b128 v[198:201], v112 offset:864
	s_waitcnt vmcnt(8) lgkmcnt(1)
	v_mul_f32_e32 v202, v194, v250
	v_fmac_f32_e32 v202, v195, v249
	v_add_f32_e32 v26, v26, v202
	s_waitcnt vmcnt(7)
	v_mul_f32_e32 v202, v196, v251
	s_waitcnt vmcnt(4)
	v_fmac_f32_e32 v202, v197, v254
	v_add_f32_e32 v26, v26, v202
	ds_read_b64 v[202:203], v112 offset:880
	s_waitcnt lgkmcnt(1)
	v_mul_f32_e32 v27, v198, v253
	v_fmac_f32_e32 v27, v199, v252
	v_add_f32_e32 v26, v26, v27
	s_waitcnt vmcnt(3)
	v_mul_f32_e32 v27, v200, v255
	s_waitcnt vmcnt(0)
	v_fmac_f32_e32 v27, v201, v25
	v_add_f32_e32 v26, v26, v27
	s_waitcnt lgkmcnt(0)
	v_mul_f32_e32 v27, v202, v24
	v_fmac_f32_e32 v27, v203, v23
	v_add_f32_e32 v26, v26, v27
	v_mul_f32_e32 v27, v123, v121
	v_fma_f32 v9, v122, v9, -v27
	v_mul_f32_e32 v27, v125, v120
	v_add_f32_e32 v9, 0, v9
	v_fma_f32 v8, v124, v8, -v27
	v_add_f32_e32 v8, v9, v8
	v_mul_f32_e32 v9, v127, v119
	v_fma_f32 v7, v126, v7, -v9
	v_add_f32_e32 v7, v8, v7
	v_mul_f32_e32 v8, v129, v118
	;; [unrolled: 3-line block ×5, first 2 shown]
	v_fma_f32 v8, v134, v10, -v8
	v_add_f32_e32 v7, v7, v8
	v_add_f32_e32 v3, v7, v3
	;; [unrolled: 1-line block ×3, first 2 shown]
	v_mul_f32_e32 v4, v141, v5
	v_fma_f32 v4, v140, v15, -v4
	v_add_f32_e32 v3, v3, v4
	v_mul_f32_e32 v4, v143, v6
	v_fma_f32 v4, v142, v14, -v4
	v_add_f32_e32 v3, v3, v4
	v_mul_f32_e32 v4, v145, v18
	v_fma_f32 v4, v144, v205, -v4
	v_add_f32_e32 v3, v3, v4
	v_mul_f32_e32 v4, v147, v206
	v_fma_f32 v4, v146, v204, -v4
	v_add_f32_e32 v3, v3, v4
	v_mul_f32_e32 v4, v149, v20
	v_fma_f32 v4, v148, v19, -v4
	v_add_f32_e32 v3, v3, v4
	v_mul_f32_e32 v4, v151, v22
	v_fma_f32 v4, v150, v21, -v4
	v_add_f32_e32 v3, v3, v4
	v_mul_f32_e32 v4, v153, v208
	v_fma_f32 v4, v152, v207, -v4
	v_add_f32_e32 v3, v3, v4
	v_mul_f32_e32 v4, v155, v210
	v_fma_f32 v4, v154, v209, -v4
	v_add_f32_e32 v3, v3, v4
	v_mul_f32_e32 v4, v157, v212
	v_fma_f32 v4, v156, v211, -v4
	v_add_f32_e32 v3, v3, v4
	v_mul_f32_e32 v4, v159, v214
	v_fma_f32 v4, v158, v213, -v4
	v_add_f32_e32 v3, v3, v4
	v_mul_f32_e32 v4, v161, v216
	v_fma_f32 v4, v160, v215, -v4
	v_add_f32_e32 v3, v3, v4
	v_mul_f32_e32 v4, v163, v218
	v_fma_f32 v4, v162, v217, -v4
	v_add_f32_e32 v3, v3, v4
	v_mul_f32_e32 v4, v165, v220
	v_fma_f32 v4, v164, v219, -v4
	v_add_f32_e32 v3, v3, v4
	v_mul_f32_e32 v4, v167, v222
	v_fma_f32 v4, v166, v221, -v4
	v_add_f32_e32 v3, v3, v4
	v_mul_f32_e32 v4, v169, v224
	v_fma_f32 v4, v168, v223, -v4
	v_add_f32_e32 v3, v3, v4
	v_mul_f32_e32 v4, v171, v226
	v_fma_f32 v4, v170, v225, -v4
	v_add_f32_e32 v3, v3, v4
	v_mul_f32_e32 v4, v173, v227
	v_fma_f32 v4, v172, v230, -v4
	v_add_f32_e32 v3, v3, v4
	v_mul_f32_e32 v4, v175, v229
	v_fma_f32 v4, v174, v228, -v4
	v_add_f32_e32 v3, v3, v4
	v_mul_f32_e32 v4, v177, v232
	v_fma_f32 v4, v176, v231, -v4
	v_add_f32_e32 v3, v3, v4
	v_mul_f32_e32 v4, v179, v234
	v_fma_f32 v4, v178, v233, -v4
	v_add_f32_e32 v3, v3, v4
	v_mul_f32_e32 v4, v181, v235
	v_fma_f32 v4, v180, v238, -v4
	v_add_f32_e32 v3, v3, v4
	v_mul_f32_e32 v4, v183, v237
	v_fma_f32 v4, v182, v236, -v4
	v_add_f32_e32 v3, v3, v4
	v_mul_f32_e32 v4, v185, v240
	v_fma_f32 v4, v184, v239, -v4
	v_add_f32_e32 v3, v3, v4
	v_mul_f32_e32 v4, v187, v242
	v_fma_f32 v4, v186, v241, -v4
	v_add_f32_e32 v3, v3, v4
	v_mul_f32_e32 v4, v189, v243
	v_fma_f32 v4, v188, v246, -v4
	v_add_f32_e32 v3, v3, v4
	v_mul_f32_e32 v4, v191, v245
	v_fma_f32 v4, v190, v244, -v4
	v_add_f32_e32 v3, v3, v4
	v_mul_f32_e32 v4, v193, v248
	v_fma_f32 v4, v192, v247, -v4
	v_add_f32_e32 v3, v3, v4
	v_mul_f32_e32 v4, v195, v250
	v_fma_f32 v4, v194, v249, -v4
	v_add_f32_e32 v3, v3, v4
	v_mul_f32_e32 v4, v197, v251
	v_fma_f32 v4, v196, v254, -v4
	v_add_f32_e32 v3, v3, v4
	v_mul_f32_e32 v4, v199, v253
	v_fma_f32 v4, v198, v252, -v4
	v_add_f32_e32 v3, v3, v4
	v_mul_f32_e32 v4, v201, v255
	v_fma_f32 v4, v200, v25, -v4
	v_add_f32_e32 v3, v3, v4
	v_mul_f32_e32 v4, v203, v24
	v_fma_f32 v4, v202, v23, -v4
	v_add_f32_e32 v3, v3, v4
	v_sub_f32_e32 v3, v113, v3
	v_sub_f32_e32 v4, v114, v26
	buffer_store_dword v3, off, s[0:3], 0 offset:104
	buffer_store_dword v4, off, s[0:3], 0 offset:108
	s_and_saveexec_b64 s[4:5], vcc
	s_cbranch_execz .LBB118_319
; %bb.318:
	buffer_load_dword v113, off, s[0:3], 0 offset:96
	buffer_load_dword v114, off, s[0:3], 0 offset:100
	s_waitcnt vmcnt(0)
	ds_write_b64 v111, v[113:114]
	buffer_store_dword v112, off, s[0:3], 0 offset:96
	buffer_store_dword v112, off, s[0:3], 0 offset:100
.LBB118_319:
	s_or_b64 exec, exec, s[4:5]
	s_waitcnt lgkmcnt(0)
	; wave barrier
	buffer_load_dword v3, off, s[0:3], 0 offset:108
	buffer_load_dword v4, off, s[0:3], 0 offset:116
	;; [unrolled: 1-line block ×32, first 2 shown]
	ds_read2_b64 v[113:116], v112 offset0:69 offset1:70
	ds_read2_b64 v[117:120], v112 offset0:71 offset1:72
	;; [unrolled: 1-line block ×6, first 2 shown]
	buffer_load_dword v203, off, s[0:3], 0 offset:224
	buffer_load_dword v204, off, s[0:3], 0 offset:228
	;; [unrolled: 1-line block ×18, first 2 shown]
	v_cmp_lt_u32_e32 vcc, 11, v0
	s_waitcnt vmcnt(49) lgkmcnt(5)
	v_mul_f32_e32 v137, v113, v3
	s_waitcnt vmcnt(48)
	v_mul_f32_e32 v138, v115, v4
	s_waitcnt vmcnt(47) lgkmcnt(4)
	v_mul_f32_e32 v139, v117, v5
	s_waitcnt vmcnt(46)
	v_mul_f32_e32 v140, v119, v6
	;; [unrolled: 4-line block ×6, first 2 shown]
	s_waitcnt vmcnt(37)
	v_fmac_f32_e32 v139, v118, v15
	s_waitcnt vmcnt(36)
	v_fmac_f32_e32 v138, v116, v16
	;; [unrolled: 2-line block ×3, first 2 shown]
	v_add_f32_e32 v137, 0, v137
	v_add_f32_e32 v137, v137, v138
	;; [unrolled: 1-line block ×3, first 2 shown]
	s_waitcnt vmcnt(31)
	v_fmac_f32_e32 v140, v120, v21
	v_fmac_f32_e32 v141, v122, v20
	v_add_f32_e32 v137, v137, v140
	v_fmac_f32_e32 v142, v124, v19
	v_add_f32_e32 v137, v137, v141
	;; [unrolled: 2-line block ×3, first 2 shown]
	s_waitcnt vmcnt(27)
	v_fmac_f32_e32 v144, v128, v25
	v_add_f32_e32 v137, v137, v143
	v_fmac_f32_e32 v145, v130, v24
	v_add_f32_e32 v137, v137, v144
	;; [unrolled: 2-line block ×3, first 2 shown]
	v_add_f32_e32 v141, v137, v146
	ds_read2_b64 v[137:140], v112 offset0:81 offset1:82
	buffer_load_dword v221, off, s[0:3], 0 offset:296
	buffer_load_dword v222, off, s[0:3], 0 offset:300
	;; [unrolled: 1-line block ×6, first 2 shown]
	v_fmac_f32_e32 v147, v134, v22
	s_waitcnt vmcnt(27)
	v_fmac_f32_e32 v148, v136, v199
	v_add_f32_e32 v141, v141, v147
	v_add_f32_e32 v145, v141, v148
	ds_read2_b64 v[141:144], v112 offset0:83 offset1:84
	buffer_load_dword v227, off, s[0:3], 0 offset:320
	buffer_load_dword v228, off, s[0:3], 0 offset:324
	;; [unrolled: 1-line block ×10, first 2 shown]
	s_waitcnt vmcnt(36) lgkmcnt(1)
	v_mul_f32_e32 v146, v137, v200
	buffer_load_dword v237, off, s[0:3], 0 offset:360
	buffer_load_dword v238, off, s[0:3], 0 offset:364
	;; [unrolled: 1-line block ×6, first 2 shown]
	v_fmac_f32_e32 v146, v138, v198
	v_add_f32_e32 v145, v145, v146
	v_mul_f32_e32 v146, v139, v27
	v_fmac_f32_e32 v146, v140, v26
	v_add_f32_e32 v145, v145, v146
	s_waitcnt lgkmcnt(0)
	v_mul_f32_e32 v146, v141, v197
	v_fmac_f32_e32 v146, v142, v28
	v_add_f32_e32 v149, v145, v146
	ds_read2_b64 v[145:148], v112 offset0:85 offset1:86
	buffer_load_dword v243, off, s[0:3], 0 offset:384
	buffer_load_dword v244, off, s[0:3], 0 offset:388
	s_waitcnt vmcnt(40)
	v_mul_f32_e32 v150, v143, v204
	v_fmac_f32_e32 v150, v144, v203
	v_add_f32_e32 v153, v149, v150
	ds_read2_b64 v[149:152], v112 offset0:87 offset1:88
	buffer_load_dword v245, off, s[0:3], 0 offset:392
	buffer_load_dword v246, off, s[0:3], 0 offset:396
	;; [unrolled: 1-line block ×12, first 2 shown]
	v_mul_f32_e32 v3, v114, v3
	v_fma_f32 v3, v113, v17, -v3
	v_mul_f32_e32 v4, v116, v4
	v_add_f32_e32 v3, 0, v3
	v_fma_f32 v4, v115, v16, -v4
	v_add_f32_e32 v3, v3, v4
	v_mul_f32_e32 v4, v118, v5
	v_fma_f32 v4, v117, v15, -v4
	v_add_f32_e32 v3, v3, v4
	v_mul_f32_e32 v4, v120, v6
	;; [unrolled: 3-line block ×6, first 2 shown]
	v_fma_f32 v4, v127, v25, -v4
	s_waitcnt vmcnt(50) lgkmcnt(1)
	v_mul_f32_e32 v154, v145, v206
	v_add_f32_e32 v3, v3, v4
	v_mul_f32_e32 v4, v130, v11
	v_fmac_f32_e32 v154, v146, v205
	v_fma_f32 v4, v129, v24, -v4
	v_add_f32_e32 v153, v153, v154
	s_waitcnt vmcnt(48)
	v_mul_f32_e32 v154, v147, v208
	v_add_f32_e32 v3, v3, v4
	v_mul_f32_e32 v4, v132, v12
	v_fmac_f32_e32 v154, v148, v207
	v_fma_f32 v4, v131, v23, -v4
	v_add_f32_e32 v30, v153, v154
	s_waitcnt vmcnt(46) lgkmcnt(0)
	v_mul_f32_e32 v153, v149, v210
	v_add_f32_e32 v3, v3, v4
	v_mul_f32_e32 v4, v134, v13
	v_fmac_f32_e32 v153, v150, v209
	v_fma_f32 v4, v133, v22, -v4
	v_add_f32_e32 v30, v30, v153
	ds_read2_b64 v[153:156], v112 offset0:89 offset1:90
	v_add_f32_e32 v3, v3, v4
	v_mul_f32_e32 v4, v136, v14
	v_fma_f32 v4, v135, v199, -v4
	s_waitcnt vmcnt(44)
	v_mul_f32_e32 v157, v151, v212
	v_add_f32_e32 v3, v3, v4
	v_mul_f32_e32 v4, v138, v200
	v_fmac_f32_e32 v157, v152, v211
	v_fma_f32 v4, v137, v198, -v4
	v_add_f32_e32 v30, v30, v157
	ds_read2_b64 v[157:160], v112 offset0:91 offset1:92
	v_add_f32_e32 v3, v3, v4
	v_mul_f32_e32 v4, v140, v27
	s_waitcnt vmcnt(42) lgkmcnt(1)
	v_mul_f32_e32 v161, v153, v214
	v_fma_f32 v4, v139, v26, -v4
	v_fmac_f32_e32 v161, v154, v213
	v_add_f32_e32 v3, v3, v4
	v_mul_f32_e32 v4, v142, v197
	v_add_f32_e32 v30, v30, v161
	s_waitcnt vmcnt(40)
	v_mul_f32_e32 v161, v155, v216
	v_fma_f32 v4, v141, v28, -v4
	v_fmac_f32_e32 v161, v156, v215
	v_add_f32_e32 v3, v3, v4
	v_mul_f32_e32 v4, v144, v204
	v_add_f32_e32 v30, v30, v161
	s_waitcnt vmcnt(38) lgkmcnt(0)
	v_mul_f32_e32 v161, v157, v218
	v_fma_f32 v4, v143, v203, -v4
	v_fmac_f32_e32 v161, v158, v217
	v_add_f32_e32 v3, v3, v4
	v_mul_f32_e32 v4, v146, v206
	v_add_f32_e32 v30, v30, v161
	ds_read2_b64 v[161:164], v112 offset0:93 offset1:94
	v_fma_f32 v4, v145, v205, -v4
	v_add_f32_e32 v3, v3, v4
	v_mul_f32_e32 v4, v148, v208
	s_waitcnt vmcnt(36)
	v_mul_f32_e32 v165, v159, v220
	v_fma_f32 v4, v147, v207, -v4
	v_fmac_f32_e32 v165, v160, v219
	v_add_f32_e32 v3, v3, v4
	v_mul_f32_e32 v4, v150, v210
	v_add_f32_e32 v30, v30, v165
	ds_read2_b64 v[165:168], v112 offset0:95 offset1:96
	v_fma_f32 v4, v149, v209, -v4
	s_waitcnt vmcnt(34) lgkmcnt(1)
	v_mul_f32_e32 v169, v161, v222
	v_add_f32_e32 v3, v3, v4
	v_mul_f32_e32 v4, v152, v212
	v_fmac_f32_e32 v169, v162, v221
	v_fma_f32 v4, v151, v211, -v4
	v_add_f32_e32 v30, v30, v169
	s_waitcnt vmcnt(33)
	v_mul_f32_e32 v169, v163, v223
	v_add_f32_e32 v3, v3, v4
	v_mul_f32_e32 v4, v154, v214
	s_waitcnt vmcnt(30)
	v_fmac_f32_e32 v169, v164, v226
	v_fma_f32 v4, v153, v213, -v4
	v_add_f32_e32 v30, v30, v169
	s_waitcnt lgkmcnt(0)
	v_mul_f32_e32 v169, v165, v225
	v_add_f32_e32 v3, v3, v4
	v_mul_f32_e32 v4, v156, v216
	v_fmac_f32_e32 v169, v166, v224
	v_fma_f32 v4, v155, v215, -v4
	v_add_f32_e32 v30, v30, v169
	ds_read2_b64 v[169:172], v112 offset0:97 offset1:98
	v_add_f32_e32 v3, v3, v4
	v_mul_f32_e32 v4, v158, v218
	v_fma_f32 v4, v157, v217, -v4
	s_waitcnt vmcnt(28)
	v_mul_f32_e32 v173, v167, v228
	v_add_f32_e32 v3, v3, v4
	v_mul_f32_e32 v4, v160, v220
	v_fmac_f32_e32 v173, v168, v227
	v_fma_f32 v4, v159, v219, -v4
	v_add_f32_e32 v30, v30, v173
	ds_read2_b64 v[173:176], v112 offset0:99 offset1:100
	v_add_f32_e32 v3, v3, v4
	v_mul_f32_e32 v4, v162, v222
	s_waitcnt vmcnt(26) lgkmcnt(1)
	v_mul_f32_e32 v177, v169, v230
	v_fma_f32 v4, v161, v221, -v4
	v_fmac_f32_e32 v177, v170, v229
	v_add_f32_e32 v3, v3, v4
	v_mul_f32_e32 v4, v164, v223
	v_add_f32_e32 v30, v30, v177
	s_waitcnt vmcnt(25)
	v_mul_f32_e32 v177, v171, v231
	v_fma_f32 v4, v163, v226, -v4
	s_waitcnt vmcnt(22)
	v_fmac_f32_e32 v177, v172, v234
	v_add_f32_e32 v3, v3, v4
	v_mul_f32_e32 v4, v166, v225
	v_add_f32_e32 v30, v30, v177
	s_waitcnt lgkmcnt(0)
	v_mul_f32_e32 v177, v173, v233
	v_fma_f32 v4, v165, v224, -v4
	v_fmac_f32_e32 v177, v174, v232
	v_add_f32_e32 v3, v3, v4
	v_mul_f32_e32 v4, v168, v228
	v_add_f32_e32 v30, v30, v177
	ds_read2_b64 v[177:180], v112 offset0:101 offset1:102
	v_fma_f32 v4, v167, v227, -v4
	v_add_f32_e32 v3, v3, v4
	v_mul_f32_e32 v4, v170, v230
	s_waitcnt vmcnt(20)
	v_mul_f32_e32 v181, v175, v236
	v_fma_f32 v4, v169, v229, -v4
	v_fmac_f32_e32 v181, v176, v235
	v_add_f32_e32 v3, v3, v4
	v_mul_f32_e32 v4, v172, v231
	v_add_f32_e32 v30, v30, v181
	ds_read2_b64 v[181:184], v112 offset0:103 offset1:104
	v_fma_f32 v4, v171, v234, -v4
	s_waitcnt vmcnt(18) lgkmcnt(1)
	v_mul_f32_e32 v185, v177, v238
	v_add_f32_e32 v3, v3, v4
	v_mul_f32_e32 v4, v174, v233
	v_fmac_f32_e32 v185, v178, v237
	v_fma_f32 v4, v173, v232, -v4
	v_add_f32_e32 v30, v30, v185
	s_waitcnt vmcnt(17)
	v_mul_f32_e32 v185, v179, v239
	v_add_f32_e32 v3, v3, v4
	v_mul_f32_e32 v4, v176, v236
	s_waitcnt vmcnt(14)
	v_fmac_f32_e32 v185, v180, v242
	v_fma_f32 v4, v175, v235, -v4
	v_add_f32_e32 v30, v30, v185
	s_waitcnt lgkmcnt(0)
	v_mul_f32_e32 v185, v181, v241
	v_add_f32_e32 v3, v3, v4
	v_mul_f32_e32 v4, v178, v238
	v_fmac_f32_e32 v185, v182, v240
	v_fma_f32 v4, v177, v237, -v4
	v_add_f32_e32 v30, v30, v185
	ds_read2_b64 v[185:188], v112 offset0:105 offset1:106
	v_add_f32_e32 v3, v3, v4
	v_mul_f32_e32 v4, v180, v239
	v_fma_f32 v4, v179, v242, -v4
	v_add_f32_e32 v3, v3, v4
	v_mul_f32_e32 v4, v182, v241
	s_waitcnt vmcnt(12)
	v_mul_f32_e32 v189, v183, v244
	v_fma_f32 v4, v181, v240, -v4
	v_fmac_f32_e32 v189, v184, v243
	v_add_f32_e32 v3, v3, v4
	v_mul_f32_e32 v4, v184, v244
	v_add_f32_e32 v30, v30, v189
	ds_read2_b64 v[189:192], v112 offset0:107 offset1:108
	s_waitcnt vmcnt(10) lgkmcnt(1)
	v_mul_f32_e32 v193, v185, v246
	v_fma_f32 v4, v183, v243, -v4
	v_fmac_f32_e32 v193, v186, v245
	v_add_f32_e32 v3, v3, v4
	v_mul_f32_e32 v4, v186, v246
	v_add_f32_e32 v30, v30, v193
	s_waitcnt vmcnt(9)
	v_mul_f32_e32 v193, v187, v247
	v_fma_f32 v4, v185, v245, -v4
	s_waitcnt vmcnt(6)
	v_fmac_f32_e32 v193, v188, v250
	v_add_f32_e32 v3, v3, v4
	v_mul_f32_e32 v4, v188, v247
	v_add_f32_e32 v30, v30, v193
	ds_read2_b64 v[193:196], v112 offset0:109 offset1:110
	v_fma_f32 v4, v187, v250, -v4
	v_add_f32_e32 v3, v3, v4
	s_waitcnt lgkmcnt(1)
	v_mul_f32_e32 v4, v190, v249
	v_mul_f32_e32 v31, v189, v249
	v_fma_f32 v4, v189, v248, -v4
	v_fmac_f32_e32 v31, v190, v248
	v_add_f32_e32 v3, v3, v4
	s_waitcnt vmcnt(4)
	v_mul_f32_e32 v4, v192, v252
	v_add_f32_e32 v30, v30, v31
	v_mul_f32_e32 v31, v191, v252
	v_fma_f32 v4, v191, v251, -v4
	v_fmac_f32_e32 v31, v192, v251
	v_add_f32_e32 v3, v3, v4
	s_waitcnt vmcnt(3) lgkmcnt(0)
	v_mul_f32_e32 v4, v194, v253
	v_add_f32_e32 v30, v30, v31
	v_mul_f32_e32 v31, v193, v253
	s_waitcnt vmcnt(0)
	v_fma_f32 v4, v193, v29, -v4
	v_fmac_f32_e32 v31, v194, v29
	v_add_f32_e32 v3, v3, v4
	v_mul_f32_e32 v4, v196, v255
	v_add_f32_e32 v30, v30, v31
	v_mul_f32_e32 v31, v195, v255
	v_fma_f32 v4, v195, v254, -v4
	v_fmac_f32_e32 v31, v196, v254
	v_add_f32_e32 v3, v3, v4
	v_add_f32_e32 v30, v30, v31
	v_sub_f32_e32 v3, v201, v3
	v_sub_f32_e32 v4, v202, v30
	buffer_store_dword v3, off, s[0:3], 0 offset:96
	buffer_store_dword v4, off, s[0:3], 0 offset:100
	s_and_saveexec_b64 s[4:5], vcc
	s_cbranch_execz .LBB118_321
; %bb.320:
	buffer_load_dword v112, off, s[0:3], 0 offset:88
	buffer_load_dword v113, off, s[0:3], 0 offset:92
	v_mov_b32_e32 v3, 0
	buffer_store_dword v3, off, s[0:3], 0 offset:88
	buffer_store_dword v3, off, s[0:3], 0 offset:92
	s_waitcnt vmcnt(2)
	ds_write_b64 v111, v[112:113]
.LBB118_321:
	s_or_b64 exec, exec, s[4:5]
	s_waitcnt lgkmcnt(0)
	; wave barrier
	buffer_load_dword v121, off, s[0:3], 0 offset:100
	buffer_load_dword v120, off, s[0:3], 0 offset:108
	;; [unrolled: 1-line block ×48, first 2 shown]
	v_mov_b32_e32 v112, 0
	ds_read_b128 v[127:130], v112 offset:544
	ds_read_b128 v[131:134], v112 offset:560
	;; [unrolled: 1-line block ×6, first 2 shown]
	buffer_load_dword v217, off, s[0:3], 0 offset:280
	buffer_load_dword v218, off, s[0:3], 0 offset:284
	v_cmp_lt_u32_e32 vcc, 10, v0
	s_waitcnt vmcnt(49) lgkmcnt(5)
	v_mul_f32_e32 v151, v127, v121
	s_waitcnt vmcnt(48)
	v_mul_f32_e32 v152, v129, v120
	s_waitcnt vmcnt(47) lgkmcnt(4)
	v_mul_f32_e32 v153, v131, v119
	s_waitcnt vmcnt(46)
	v_mul_f32_e32 v154, v133, v118
	;; [unrolled: 4-line block ×6, first 2 shown]
	s_waitcnt vmcnt(37)
	v_fmac_f32_e32 v153, v132, v3
	s_waitcnt vmcnt(36)
	v_fmac_f32_e32 v152, v130, v4
	;; [unrolled: 2-line block ×3, first 2 shown]
	v_add_f32_e32 v151, 0, v151
	v_add_f32_e32 v151, v151, v152
	;; [unrolled: 1-line block ×3, first 2 shown]
	s_waitcnt vmcnt(31)
	v_fmac_f32_e32 v154, v134, v9
	v_fmac_f32_e32 v155, v136, v8
	v_add_f32_e32 v151, v151, v154
	v_fmac_f32_e32 v156, v138, v7
	v_add_f32_e32 v151, v151, v155
	v_fmac_f32_e32 v157, v140, v6
	v_add_f32_e32 v151, v151, v156
	s_waitcnt vmcnt(27)
	v_fmac_f32_e32 v158, v142, v13
	v_add_f32_e32 v151, v151, v157
	v_fmac_f32_e32 v159, v144, v12
	v_add_f32_e32 v151, v151, v158
	;; [unrolled: 2-line block ×4, first 2 shown]
	v_add_f32_e32 v155, v151, v161
	ds_read_b128 v[151:154], v112 offset:640
	buffer_load_dword v219, off, s[0:3], 0 offset:288
	buffer_load_dword v220, off, s[0:3], 0 offset:292
	;; [unrolled: 1-line block ×6, first 2 shown]
	s_waitcnt vmcnt(28)
	v_fmac_f32_e32 v162, v150, v18
	v_add_f32_e32 v159, v155, v162
	ds_read_b128 v[155:158], v112 offset:656
	buffer_load_dword v225, off, s[0:3], 0 offset:312
	buffer_load_dword v226, off, s[0:3], 0 offset:316
	;; [unrolled: 1-line block ×8, first 2 shown]
	s_waitcnt vmcnt(35) lgkmcnt(1)
	v_mul_f32_e32 v160, v151, v19
	buffer_load_dword v233, off, s[0:3], 0 offset:344
	buffer_load_dword v234, off, s[0:3], 0 offset:348
	v_fmac_f32_e32 v160, v152, v17
	v_add_f32_e32 v159, v159, v160
	s_waitcnt vmcnt(36)
	v_mul_f32_e32 v160, v153, v20
	v_fmac_f32_e32 v160, v154, v16
	v_add_f32_e32 v159, v159, v160
	s_waitcnt lgkmcnt(0)
	v_mul_f32_e32 v160, v155, v15
	v_fmac_f32_e32 v160, v156, v14
	v_add_f32_e32 v163, v159, v160
	ds_read_b128 v[159:162], v112 offset:672
	buffer_load_dword v235, off, s[0:3], 0 offset:352
	buffer_load_dword v236, off, s[0:3], 0 offset:356
	;; [unrolled: 1-line block ×6, first 2 shown]
	s_waitcnt vmcnt(38)
	v_mul_f32_e32 v164, v157, v22
	v_fmac_f32_e32 v164, v158, v21
	v_add_f32_e32 v167, v163, v164
	ds_read_b128 v[163:166], v112 offset:688
	buffer_load_dword v241, off, s[0:3], 0 offset:376
	buffer_load_dword v242, off, s[0:3], 0 offset:380
	;; [unrolled: 1-line block ×16, first 2 shown]
	s_waitcnt vmcnt(52) lgkmcnt(1)
	v_mul_f32_e32 v168, v159, v24
	v_fmac_f32_e32 v168, v160, v23
	v_add_f32_e32 v167, v167, v168
	s_waitcnt vmcnt(50)
	v_mul_f32_e32 v168, v161, v26
	v_fmac_f32_e32 v168, v162, v25
	v_add_f32_e32 v167, v167, v168
	s_waitcnt vmcnt(48) lgkmcnt(0)
	v_mul_f32_e32 v168, v163, v28
	v_fmac_f32_e32 v168, v164, v27
	v_add_f32_e32 v171, v167, v168
	ds_read_b128 v[167:170], v112 offset:704
	s_waitcnt vmcnt(46)
	v_mul_f32_e32 v34, v165, v30
	v_fmac_f32_e32 v34, v166, v29
	v_add_f32_e32 v34, v171, v34
	ds_read_b128 v[171:174], v112 offset:720
	s_waitcnt vmcnt(44) lgkmcnt(1)
	v_mul_f32_e32 v175, v167, v32
	v_fmac_f32_e32 v175, v168, v31
	v_add_f32_e32 v34, v34, v175
	s_waitcnt vmcnt(42)
	v_mul_f32_e32 v175, v169, v214
	v_fmac_f32_e32 v175, v170, v213
	v_add_f32_e32 v34, v34, v175
	s_waitcnt vmcnt(40) lgkmcnt(0)
	v_mul_f32_e32 v175, v171, v216
	v_fmac_f32_e32 v175, v172, v215
	v_add_f32_e32 v34, v34, v175
	ds_read_b128 v[175:178], v112 offset:736
	s_waitcnt vmcnt(38)
	v_mul_f32_e32 v179, v173, v218
	v_fmac_f32_e32 v179, v174, v217
	v_add_f32_e32 v34, v34, v179
	ds_read_b128 v[179:182], v112 offset:752
	s_waitcnt vmcnt(36) lgkmcnt(1)
	v_mul_f32_e32 v183, v175, v220
	v_fmac_f32_e32 v183, v176, v219
	v_add_f32_e32 v34, v34, v183
	s_waitcnt vmcnt(35)
	v_mul_f32_e32 v183, v177, v221
	s_waitcnt vmcnt(32)
	v_fmac_f32_e32 v183, v178, v224
	v_add_f32_e32 v34, v34, v183
	s_waitcnt lgkmcnt(0)
	v_mul_f32_e32 v183, v179, v223
	v_fmac_f32_e32 v183, v180, v222
	v_add_f32_e32 v34, v34, v183
	ds_read_b128 v[183:186], v112 offset:768
	s_waitcnt vmcnt(30)
	v_mul_f32_e32 v187, v181, v226
	v_fmac_f32_e32 v187, v182, v225
	v_add_f32_e32 v34, v34, v187
	ds_read_b128 v[187:190], v112 offset:784
	s_waitcnt vmcnt(28) lgkmcnt(1)
	v_mul_f32_e32 v191, v183, v228
	v_fmac_f32_e32 v191, v184, v227
	v_add_f32_e32 v34, v34, v191
	s_waitcnt vmcnt(27)
	v_mul_f32_e32 v191, v185, v229
	s_waitcnt vmcnt(24)
	v_fmac_f32_e32 v191, v186, v232
	v_add_f32_e32 v34, v34, v191
	s_waitcnt lgkmcnt(0)
	;; [unrolled: 19-line block ×4, first 2 shown]
	v_mul_f32_e32 v207, v203, v247
	v_fmac_f32_e32 v207, v204, v246
	v_add_f32_e32 v34, v34, v207
	ds_read_b128 v[207:210], v112 offset:864
	s_waitcnt vmcnt(6)
	v_mul_f32_e32 v211, v205, v250
	v_fmac_f32_e32 v211, v206, v249
	v_add_f32_e32 v34, v34, v211
	ds_read_b64 v[211:212], v112 offset:880
	s_waitcnt vmcnt(4) lgkmcnt(1)
	v_mul_f32_e32 v35, v207, v252
	v_fmac_f32_e32 v35, v208, v251
	v_add_f32_e32 v34, v34, v35
	s_waitcnt vmcnt(3)
	v_mul_f32_e32 v35, v209, v253
	s_waitcnt vmcnt(0)
	v_fmac_f32_e32 v35, v210, v33
	v_add_f32_e32 v34, v34, v35
	s_waitcnt lgkmcnt(0)
	v_mul_f32_e32 v35, v211, v255
	v_fmac_f32_e32 v35, v212, v254
	v_add_f32_e32 v34, v34, v35
	v_mul_f32_e32 v35, v128, v121
	v_fma_f32 v5, v127, v5, -v35
	v_mul_f32_e32 v35, v130, v120
	v_add_f32_e32 v5, 0, v5
	v_fma_f32 v4, v129, v4, -v35
	v_add_f32_e32 v4, v5, v4
	v_mul_f32_e32 v5, v132, v119
	v_fma_f32 v3, v131, v3, -v5
	v_add_f32_e32 v3, v4, v3
	v_mul_f32_e32 v4, v134, v118
	;; [unrolled: 3-line block ×41, first 2 shown]
	v_fma_f32 v4, v211, v254, -v4
	v_add_f32_e32 v3, v3, v4
	v_sub_f32_e32 v3, v113, v3
	v_sub_f32_e32 v4, v114, v34
	buffer_store_dword v3, off, s[0:3], 0 offset:88
	buffer_store_dword v4, off, s[0:3], 0 offset:92
	s_and_saveexec_b64 s[4:5], vcc
	s_cbranch_execz .LBB118_323
; %bb.322:
	buffer_load_dword v113, off, s[0:3], 0 offset:80
	buffer_load_dword v114, off, s[0:3], 0 offset:84
	s_waitcnt vmcnt(0)
	ds_write_b64 v111, v[113:114]
	buffer_store_dword v112, off, s[0:3], 0 offset:80
	buffer_store_dword v112, off, s[0:3], 0 offset:84
.LBB118_323:
	s_or_b64 exec, exec, s[4:5]
	s_waitcnt lgkmcnt(0)
	; wave barrier
	buffer_load_dword v121, off, s[0:3], 0 offset:92
	buffer_load_dword v120, off, s[0:3], 0 offset:100
	;; [unrolled: 1-line block ×32, first 2 shown]
	ds_read2_b64 v[127:130], v112 offset0:67 offset1:68
	ds_read2_b64 v[131:134], v112 offset0:69 offset1:70
	;; [unrolled: 1-line block ×4, first 2 shown]
	buffer_load_dword v21, off, s[0:3], 0 offset:208
	buffer_load_dword v22, off, s[0:3], 0 offset:212
	ds_read2_b64 v[143:146], v112 offset0:75 offset1:76
	ds_read2_b64 v[147:150], v112 offset0:77 offset1:78
	;; [unrolled: 1-line block ×3, first 2 shown]
	buffer_load_dword v23, off, s[0:3], 0 offset:216
	buffer_load_dword v24, off, s[0:3], 0 offset:220
	;; [unrolled: 1-line block ×16, first 2 shown]
	v_cmp_lt_u32_e32 vcc, 9, v0
	s_waitcnt vmcnt(49) lgkmcnt(6)
	v_mul_f32_e32 v155, v127, v121
	s_waitcnt vmcnt(48)
	v_mul_f32_e32 v156, v129, v120
	s_waitcnt vmcnt(47) lgkmcnt(5)
	v_mul_f32_e32 v157, v131, v119
	s_waitcnt vmcnt(46)
	v_mul_f32_e32 v158, v133, v118
	;; [unrolled: 4-line block ×6, first 2 shown]
	s_waitcnt vmcnt(37)
	v_fmac_f32_e32 v157, v132, v3
	s_waitcnt vmcnt(36)
	v_fmac_f32_e32 v156, v130, v4
	;; [unrolled: 2-line block ×3, first 2 shown]
	v_add_f32_e32 v155, 0, v155
	v_add_f32_e32 v155, v155, v156
	v_add_f32_e32 v155, v155, v157
	s_waitcnt vmcnt(31)
	v_fmac_f32_e32 v158, v134, v9
	v_fmac_f32_e32 v159, v136, v8
	v_add_f32_e32 v155, v155, v158
	v_fmac_f32_e32 v160, v138, v7
	v_add_f32_e32 v155, v155, v159
	;; [unrolled: 2-line block ×3, first 2 shown]
	s_waitcnt vmcnt(27)
	v_fmac_f32_e32 v162, v142, v13
	v_add_f32_e32 v155, v155, v161
	v_fmac_f32_e32 v163, v144, v12
	v_add_f32_e32 v155, v155, v162
	;; [unrolled: 2-line block ×4, first 2 shown]
	s_waitcnt vmcnt(23)
	v_fmac_f32_e32 v166, v150, v17
	v_add_f32_e32 v155, v155, v165
	v_add_f32_e32 v159, v155, v166
	ds_read2_b64 v[155:158], v112 offset0:81 offset1:82
	buffer_load_dword v217, off, s[0:3], 0 offset:280
	buffer_load_dword v218, off, s[0:3], 0 offset:284
	;; [unrolled: 1-line block ×14, first 2 shown]
	s_waitcnt vmcnt(36) lgkmcnt(1)
	v_mul_f32_e32 v160, v151, v18
	buffer_load_dword v231, off, s[0:3], 0 offset:336
	buffer_load_dword v232, off, s[0:3], 0 offset:340
	v_fmac_f32_e32 v160, v152, v16
	v_add_f32_e32 v159, v159, v160
	s_waitcnt vmcnt(37)
	v_mul_f32_e32 v160, v153, v19
	v_fmac_f32_e32 v160, v154, v15
	v_add_f32_e32 v159, v159, v160
	s_waitcnt vmcnt(36) lgkmcnt(0)
	v_mul_f32_e32 v160, v155, v20
	v_fmac_f32_e32 v160, v156, v14
	v_add_f32_e32 v163, v159, v160
	ds_read2_b64 v[159:162], v112 offset0:83 offset1:84
	buffer_load_dword v233, off, s[0:3], 0 offset:344
	buffer_load_dword v234, off, s[0:3], 0 offset:348
	;; [unrolled: 1-line block ×6, first 2 shown]
	s_waitcnt vmcnt(38)
	v_mul_f32_e32 v164, v157, v22
	v_fmac_f32_e32 v164, v158, v21
	v_add_f32_e32 v167, v163, v164
	ds_read2_b64 v[163:166], v112 offset0:85 offset1:86
	buffer_load_dword v239, off, s[0:3], 0 offset:368
	buffer_load_dword v240, off, s[0:3], 0 offset:372
	;; [unrolled: 1-line block ×10, first 2 shown]
	s_waitcnt vmcnt(46) lgkmcnt(1)
	v_mul_f32_e32 v168, v159, v24
	v_fmac_f32_e32 v168, v160, v23
	v_add_f32_e32 v167, v167, v168
	s_waitcnt vmcnt(44)
	v_mul_f32_e32 v168, v161, v26
	v_fmac_f32_e32 v168, v162, v25
	v_add_f32_e32 v167, v167, v168
	s_waitcnt vmcnt(42) lgkmcnt(0)
	v_mul_f32_e32 v168, v163, v28
	buffer_load_dword v249, off, s[0:3], 0 offset:408
	buffer_load_dword v250, off, s[0:3], 0 offset:412
	;; [unrolled: 1-line block ×6, first 2 shown]
	v_fmac_f32_e32 v168, v164, v27
	s_waitcnt vmcnt(46)
	v_mul_f32_e32 v172, v165, v30
	v_add_f32_e32 v171, v167, v168
	v_fmac_f32_e32 v172, v166, v29
	ds_read2_b64 v[167:170], v112 offset0:87 offset1:88
	v_add_f32_e32 v175, v171, v172
	ds_read2_b64 v[171:174], v112 offset0:89 offset1:90
	buffer_load_dword v255, off, s[0:3], 0 offset:432
	buffer_load_dword v37, off, s[0:3], 0 offset:436
	s_waitcnt vmcnt(46) lgkmcnt(1)
	v_mul_f32_e32 v38, v167, v32
	v_fmac_f32_e32 v38, v168, v31
	v_add_f32_e32 v38, v175, v38
	s_waitcnt vmcnt(44)
	v_mul_f32_e32 v175, v169, v34
	v_fmac_f32_e32 v175, v170, v33
	v_add_f32_e32 v38, v38, v175
	s_waitcnt vmcnt(42) lgkmcnt(0)
	v_mul_f32_e32 v175, v171, v36
	v_fmac_f32_e32 v175, v172, v35
	v_add_f32_e32 v38, v38, v175
	ds_read2_b64 v[175:178], v112 offset0:91 offset1:92
	s_waitcnt vmcnt(40)
	v_mul_f32_e32 v179, v173, v216
	v_fmac_f32_e32 v179, v174, v215
	v_add_f32_e32 v38, v38, v179
	ds_read2_b64 v[179:182], v112 offset0:93 offset1:94
	s_waitcnt vmcnt(38) lgkmcnt(1)
	v_mul_f32_e32 v183, v175, v218
	v_fmac_f32_e32 v183, v176, v217
	v_add_f32_e32 v38, v38, v183
	s_waitcnt vmcnt(37)
	v_mul_f32_e32 v183, v177, v219
	s_waitcnt vmcnt(34)
	v_fmac_f32_e32 v183, v178, v222
	v_add_f32_e32 v38, v38, v183
	s_waitcnt lgkmcnt(0)
	v_mul_f32_e32 v183, v179, v221
	v_fmac_f32_e32 v183, v180, v220
	v_add_f32_e32 v38, v38, v183
	ds_read2_b64 v[183:186], v112 offset0:95 offset1:96
	s_waitcnt vmcnt(32)
	v_mul_f32_e32 v187, v181, v224
	v_fmac_f32_e32 v187, v182, v223
	v_add_f32_e32 v38, v38, v187
	ds_read2_b64 v[187:190], v112 offset0:97 offset1:98
	s_waitcnt vmcnt(30) lgkmcnt(1)
	v_mul_f32_e32 v191, v183, v226
	v_fmac_f32_e32 v191, v184, v225
	v_add_f32_e32 v38, v38, v191
	s_waitcnt vmcnt(29)
	v_mul_f32_e32 v191, v185, v227
	s_waitcnt vmcnt(26)
	v_fmac_f32_e32 v191, v186, v230
	v_add_f32_e32 v38, v38, v191
	s_waitcnt lgkmcnt(0)
	;; [unrolled: 19-line block ×5, first 2 shown]
	v_mul_f32_e32 v112, v211, v253
	v_fmac_f32_e32 v112, v212, v252
	v_add_f32_e32 v38, v38, v112
	s_waitcnt vmcnt(0)
	v_mul_f32_e32 v112, v213, v37
	v_fmac_f32_e32 v112, v214, v255
	v_add_f32_e32 v38, v38, v112
	v_mul_f32_e32 v112, v128, v121
	v_fma_f32 v5, v127, v5, -v112
	v_mul_f32_e32 v112, v130, v120
	v_add_f32_e32 v5, 0, v5
	v_fma_f32 v4, v129, v4, -v112
	v_add_f32_e32 v4, v5, v4
	v_mul_f32_e32 v5, v132, v119
	v_fma_f32 v3, v131, v3, -v5
	v_add_f32_e32 v3, v4, v3
	v_mul_f32_e32 v4, v134, v118
	;; [unrolled: 3-line block ×42, first 2 shown]
	v_fma_f32 v4, v213, v255, -v4
	v_add_f32_e32 v3, v3, v4
	v_sub_f32_e32 v3, v113, v3
	v_sub_f32_e32 v4, v114, v38
	buffer_store_dword v3, off, s[0:3], 0 offset:80
	buffer_store_dword v4, off, s[0:3], 0 offset:84
	s_and_saveexec_b64 s[4:5], vcc
	s_cbranch_execz .LBB118_325
; %bb.324:
	buffer_load_dword v112, off, s[0:3], 0 offset:72
	buffer_load_dword v113, off, s[0:3], 0 offset:76
	v_mov_b32_e32 v3, 0
	buffer_store_dword v3, off, s[0:3], 0 offset:72
	buffer_store_dword v3, off, s[0:3], 0 offset:76
	s_waitcnt vmcnt(2)
	ds_write_b64 v111, v[112:113]
.LBB118_325:
	s_or_b64 exec, exec, s[4:5]
	s_waitcnt lgkmcnt(0)
	; wave barrier
	buffer_load_dword v3, off, s[0:3], 0 offset:84
	buffer_load_dword v4, off, s[0:3], 0 offset:92
	;; [unrolled: 1-line block ×48, first 2 shown]
	v_mov_b32_e32 v112, 0
	ds_read_b128 v[115:118], v112 offset:528
	ds_read_b128 v[119:122], v112 offset:544
	;; [unrolled: 1-line block ×7, first 2 shown]
	v_cmp_lt_u32_e32 vcc, 8, v0
	s_waitcnt vmcnt(47) lgkmcnt(6)
	v_mul_f32_e32 v143, v115, v3
	s_waitcnt vmcnt(46)
	v_mul_f32_e32 v144, v117, v4
	s_waitcnt vmcnt(45) lgkmcnt(5)
	v_mul_f32_e32 v145, v119, v5
	s_waitcnt vmcnt(44)
	v_mul_f32_e32 v146, v121, v6
	;; [unrolled: 4-line block ×6, first 2 shown]
	s_waitcnt vmcnt(35)
	v_fmac_f32_e32 v145, v120, v15
	s_waitcnt vmcnt(34)
	v_fmac_f32_e32 v144, v118, v16
	;; [unrolled: 2-line block ×3, first 2 shown]
	v_add_f32_e32 v143, 0, v143
	v_add_f32_e32 v143, v143, v144
	;; [unrolled: 1-line block ×3, first 2 shown]
	s_waitcnt vmcnt(29)
	v_fmac_f32_e32 v146, v122, v21
	v_fmac_f32_e32 v147, v124, v20
	v_add_f32_e32 v143, v143, v146
	v_fmac_f32_e32 v148, v126, v19
	v_add_f32_e32 v143, v143, v147
	;; [unrolled: 2-line block ×3, first 2 shown]
	s_waitcnt vmcnt(25)
	v_fmac_f32_e32 v150, v130, v25
	v_add_f32_e32 v143, v143, v149
	v_fmac_f32_e32 v151, v132, v24
	v_add_f32_e32 v143, v143, v150
	;; [unrolled: 2-line block ×4, first 2 shown]
	s_waitcnt vmcnt(21)
	v_fmac_f32_e32 v154, v138, v29
	v_add_f32_e32 v143, v143, v153
	v_add_f32_e32 v147, v143, v154
	ds_read_b128 v[143:146], v112 offset:640
	buffer_load_dword v215, off, s[0:3], 0 offset:264
	buffer_load_dword v216, off, s[0:3], 0 offset:268
	;; [unrolled: 1-line block ×10, first 2 shown]
	s_waitcnt vmcnt(30) lgkmcnt(1)
	v_mul_f32_e32 v148, v139, v30
	v_fmac_f32_e32 v148, v140, v28
	buffer_load_dword v225, off, s[0:3], 0 offset:304
	buffer_load_dword v226, off, s[0:3], 0 offset:308
	buffer_load_dword v227, off, s[0:3], 0 offset:316
	buffer_load_dword v228, off, s[0:3], 0 offset:320
	buffer_load_dword v229, off, s[0:3], 0 offset:324
	buffer_load_dword v230, off, s[0:3], 0 offset:312
	v_add_f32_e32 v147, v147, v148
	s_waitcnt vmcnt(35)
	v_mul_f32_e32 v148, v141, v31
	v_fmac_f32_e32 v148, v142, v27
	v_add_f32_e32 v147, v147, v148
	s_waitcnt vmcnt(34) lgkmcnt(0)
	v_mul_f32_e32 v148, v143, v32
	v_fmac_f32_e32 v148, v144, v26
	v_add_f32_e32 v151, v147, v148
	ds_read_b128 v[147:150], v112 offset:656
	buffer_load_dword v231, off, s[0:3], 0 offset:328
	buffer_load_dword v232, off, s[0:3], 0 offset:332
	s_waitcnt vmcnt(32)
	v_mul_f32_e32 v152, v145, v34
	v_fmac_f32_e32 v152, v146, v33
	v_add_f32_e32 v155, v151, v152
	ds_read_b128 v[151:154], v112 offset:672
	buffer_load_dword v233, off, s[0:3], 0 offset:336
	buffer_load_dword v234, off, s[0:3], 0 offset:340
	;; [unrolled: 1-line block ×14, first 2 shown]
	s_waitcnt vmcnt(44) lgkmcnt(1)
	v_mul_f32_e32 v156, v147, v36
	v_fmac_f32_e32 v156, v148, v35
	buffer_load_dword v247, off, s[0:3], 0 offset:392
	buffer_load_dword v248, off, s[0:3], 0 offset:396
	v_add_f32_e32 v155, v155, v156
	s_waitcnt vmcnt(44)
	v_mul_f32_e32 v156, v149, v38
	v_fmac_f32_e32 v156, v150, v37
	v_add_f32_e32 v155, v155, v156
	s_waitcnt vmcnt(42) lgkmcnt(0)
	v_mul_f32_e32 v156, v151, v206
	v_fmac_f32_e32 v156, v152, v205
	v_mul_f32_e32 v3, v116, v3
	v_add_f32_e32 v159, v155, v156
	ds_read_b128 v[155:158], v112 offset:688
	buffer_load_dword v249, off, s[0:3], 0 offset:400
	buffer_load_dword v250, off, s[0:3], 0 offset:404
	buffer_load_dword v251, off, s[0:3], 0 offset:412
	buffer_load_dword v252, off, s[0:3], 0 offset:416
	buffer_load_dword v253, off, s[0:3], 0 offset:420
	buffer_load_dword v254, off, s[0:3], 0 offset:408
	v_fma_f32 v3, v115, v17, -v3
	v_mul_f32_e32 v4, v118, v4
	v_add_f32_e32 v3, 0, v3
	v_fma_f32 v4, v117, v16, -v4
	v_add_f32_e32 v3, v3, v4
	v_mul_f32_e32 v4, v120, v5
	s_waitcnt vmcnt(46)
	v_mul_f32_e32 v160, v153, v208
	v_fma_f32 v4, v119, v15, -v4
	v_fmac_f32_e32 v160, v154, v207
	v_add_f32_e32 v3, v3, v4
	v_mul_f32_e32 v4, v122, v6
	v_add_f32_e32 v163, v159, v160
	ds_read_b128 v[159:162], v112 offset:704
	buffer_load_dword v255, off, s[0:3], 0 offset:428
	buffer_load_dword v39, off, s[0:3], 0 offset:432
	;; [unrolled: 1-line block ×4, first 2 shown]
	v_fma_f32 v4, v121, v21, -v4
	v_add_f32_e32 v3, v3, v4
	v_mul_f32_e32 v4, v124, v7
	v_fma_f32 v4, v123, v20, -v4
	v_add_f32_e32 v3, v3, v4
	v_mul_f32_e32 v4, v126, v8
	;; [unrolled: 3-line block ×8, first 2 shown]
	v_fma_f32 v4, v137, v29, -v4
	s_waitcnt vmcnt(48) lgkmcnt(1)
	v_mul_f32_e32 v164, v155, v210
	v_add_f32_e32 v3, v3, v4
	v_mul_f32_e32 v4, v140, v30
	v_fmac_f32_e32 v164, v156, v209
	v_fma_f32 v4, v139, v28, -v4
	v_add_f32_e32 v42, v163, v164
	s_waitcnt vmcnt(46)
	v_mul_f32_e32 v163, v157, v212
	v_add_f32_e32 v3, v3, v4
	v_mul_f32_e32 v4, v142, v31
	v_fmac_f32_e32 v163, v158, v211
	v_fma_f32 v4, v141, v27, -v4
	v_add_f32_e32 v42, v42, v163
	s_waitcnt vmcnt(44) lgkmcnt(0)
	v_mul_f32_e32 v163, v159, v214
	v_add_f32_e32 v3, v3, v4
	v_mul_f32_e32 v4, v144, v32
	v_fmac_f32_e32 v163, v160, v213
	v_fma_f32 v4, v143, v26, -v4
	v_add_f32_e32 v42, v42, v163
	ds_read_b128 v[163:166], v112 offset:720
	v_add_f32_e32 v3, v3, v4
	v_mul_f32_e32 v4, v146, v34
	v_fma_f32 v4, v145, v33, -v4
	s_waitcnt vmcnt(42)
	v_mul_f32_e32 v167, v161, v216
	v_add_f32_e32 v3, v3, v4
	v_mul_f32_e32 v4, v148, v36
	v_fmac_f32_e32 v167, v162, v215
	v_fma_f32 v4, v147, v35, -v4
	v_add_f32_e32 v42, v42, v167
	ds_read_b128 v[167:170], v112 offset:736
	v_add_f32_e32 v3, v3, v4
	v_mul_f32_e32 v4, v150, v38
	s_waitcnt vmcnt(40) lgkmcnt(1)
	v_mul_f32_e32 v171, v163, v218
	v_fma_f32 v4, v149, v37, -v4
	v_fmac_f32_e32 v171, v164, v217
	v_add_f32_e32 v3, v3, v4
	v_mul_f32_e32 v4, v152, v206
	v_add_f32_e32 v42, v42, v171
	s_waitcnt vmcnt(39)
	v_mul_f32_e32 v171, v165, v219
	v_fma_f32 v4, v151, v205, -v4
	s_waitcnt vmcnt(36)
	v_fmac_f32_e32 v171, v166, v222
	v_add_f32_e32 v3, v3, v4
	v_mul_f32_e32 v4, v154, v208
	v_add_f32_e32 v42, v42, v171
	s_waitcnt lgkmcnt(0)
	v_mul_f32_e32 v171, v167, v221
	v_fma_f32 v4, v153, v207, -v4
	v_fmac_f32_e32 v171, v168, v220
	v_add_f32_e32 v3, v3, v4
	v_mul_f32_e32 v4, v156, v210
	v_add_f32_e32 v42, v42, v171
	ds_read_b128 v[171:174], v112 offset:752
	v_fma_f32 v4, v155, v209, -v4
	v_add_f32_e32 v3, v3, v4
	v_mul_f32_e32 v4, v158, v212
	s_waitcnt vmcnt(34)
	v_mul_f32_e32 v175, v169, v224
	v_fma_f32 v4, v157, v211, -v4
	v_fmac_f32_e32 v175, v170, v223
	v_add_f32_e32 v3, v3, v4
	v_mul_f32_e32 v4, v160, v214
	v_add_f32_e32 v42, v42, v175
	ds_read_b128 v[175:178], v112 offset:768
	v_fma_f32 v4, v159, v213, -v4
	s_waitcnt vmcnt(32) lgkmcnt(1)
	v_mul_f32_e32 v179, v171, v226
	v_add_f32_e32 v3, v3, v4
	v_mul_f32_e32 v4, v162, v216
	v_fmac_f32_e32 v179, v172, v225
	v_fma_f32 v4, v161, v215, -v4
	v_add_f32_e32 v42, v42, v179
	s_waitcnt vmcnt(31)
	v_mul_f32_e32 v179, v173, v227
	v_add_f32_e32 v3, v3, v4
	v_mul_f32_e32 v4, v164, v218
	s_waitcnt vmcnt(28)
	v_fmac_f32_e32 v179, v174, v230
	v_fma_f32 v4, v163, v217, -v4
	v_add_f32_e32 v42, v42, v179
	s_waitcnt lgkmcnt(0)
	v_mul_f32_e32 v179, v175, v229
	v_add_f32_e32 v3, v3, v4
	v_mul_f32_e32 v4, v166, v219
	v_fmac_f32_e32 v179, v176, v228
	v_fma_f32 v4, v165, v222, -v4
	v_add_f32_e32 v42, v42, v179
	ds_read_b128 v[179:182], v112 offset:784
	v_add_f32_e32 v3, v3, v4
	v_mul_f32_e32 v4, v168, v221
	v_fma_f32 v4, v167, v220, -v4
	s_waitcnt vmcnt(26)
	v_mul_f32_e32 v183, v177, v232
	v_add_f32_e32 v3, v3, v4
	v_mul_f32_e32 v4, v170, v224
	v_fmac_f32_e32 v183, v178, v231
	v_fma_f32 v4, v169, v223, -v4
	v_add_f32_e32 v42, v42, v183
	ds_read_b128 v[183:186], v112 offset:800
	v_add_f32_e32 v3, v3, v4
	v_mul_f32_e32 v4, v172, v226
	s_waitcnt vmcnt(24) lgkmcnt(1)
	v_mul_f32_e32 v187, v179, v234
	v_fma_f32 v4, v171, v225, -v4
	v_fmac_f32_e32 v187, v180, v233
	v_add_f32_e32 v3, v3, v4
	v_mul_f32_e32 v4, v174, v227
	v_add_f32_e32 v42, v42, v187
	s_waitcnt vmcnt(23)
	v_mul_f32_e32 v187, v181, v235
	v_fma_f32 v4, v173, v230, -v4
	s_waitcnt vmcnt(20)
	v_fmac_f32_e32 v187, v182, v238
	v_add_f32_e32 v3, v3, v4
	v_mul_f32_e32 v4, v176, v229
	v_add_f32_e32 v42, v42, v187
	s_waitcnt lgkmcnt(0)
	v_mul_f32_e32 v187, v183, v237
	v_fma_f32 v4, v175, v228, -v4
	v_fmac_f32_e32 v187, v184, v236
	v_add_f32_e32 v3, v3, v4
	v_mul_f32_e32 v4, v178, v232
	v_add_f32_e32 v42, v42, v187
	ds_read_b128 v[187:190], v112 offset:816
	v_fma_f32 v4, v177, v231, -v4
	v_add_f32_e32 v3, v3, v4
	v_mul_f32_e32 v4, v180, v234
	s_waitcnt vmcnt(18)
	v_mul_f32_e32 v191, v185, v240
	v_fma_f32 v4, v179, v233, -v4
	v_fmac_f32_e32 v191, v186, v239
	v_add_f32_e32 v3, v3, v4
	v_mul_f32_e32 v4, v182, v235
	v_add_f32_e32 v42, v42, v191
	ds_read_b128 v[191:194], v112 offset:832
	v_fma_f32 v4, v181, v238, -v4
	s_waitcnt vmcnt(16) lgkmcnt(1)
	v_mul_f32_e32 v195, v187, v242
	v_add_f32_e32 v3, v3, v4
	v_mul_f32_e32 v4, v184, v237
	v_fmac_f32_e32 v195, v188, v241
	v_fma_f32 v4, v183, v236, -v4
	v_add_f32_e32 v42, v42, v195
	s_waitcnt vmcnt(15)
	v_mul_f32_e32 v195, v189, v243
	v_add_f32_e32 v3, v3, v4
	v_mul_f32_e32 v4, v186, v240
	s_waitcnt vmcnt(12)
	v_fmac_f32_e32 v195, v190, v246
	v_fma_f32 v4, v185, v239, -v4
	v_add_f32_e32 v42, v42, v195
	s_waitcnt lgkmcnt(0)
	v_mul_f32_e32 v195, v191, v245
	v_add_f32_e32 v3, v3, v4
	v_mul_f32_e32 v4, v188, v242
	v_fmac_f32_e32 v195, v192, v244
	v_fma_f32 v4, v187, v241, -v4
	v_add_f32_e32 v42, v42, v195
	ds_read_b128 v[195:198], v112 offset:848
	v_add_f32_e32 v3, v3, v4
	v_mul_f32_e32 v4, v190, v243
	v_fma_f32 v4, v189, v246, -v4
	v_add_f32_e32 v3, v3, v4
	v_mul_f32_e32 v4, v192, v245
	s_waitcnt vmcnt(10)
	v_mul_f32_e32 v199, v193, v248
	v_fma_f32 v4, v191, v244, -v4
	v_fmac_f32_e32 v199, v194, v247
	v_add_f32_e32 v3, v3, v4
	v_mul_f32_e32 v4, v194, v248
	v_add_f32_e32 v42, v42, v199
	ds_read_b128 v[199:202], v112 offset:864
	s_waitcnt vmcnt(8) lgkmcnt(1)
	v_mul_f32_e32 v203, v195, v250
	v_fma_f32 v4, v193, v247, -v4
	v_fmac_f32_e32 v203, v196, v249
	v_add_f32_e32 v3, v3, v4
	v_mul_f32_e32 v4, v196, v250
	v_add_f32_e32 v42, v42, v203
	s_waitcnt vmcnt(7)
	v_mul_f32_e32 v203, v197, v251
	v_fma_f32 v4, v195, v249, -v4
	s_waitcnt vmcnt(4)
	v_fmac_f32_e32 v203, v198, v254
	v_add_f32_e32 v3, v3, v4
	v_mul_f32_e32 v4, v198, v251
	v_add_f32_e32 v42, v42, v203
	ds_read_b64 v[203:204], v112 offset:880
	v_fma_f32 v4, v197, v254, -v4
	v_add_f32_e32 v3, v3, v4
	s_waitcnt lgkmcnt(1)
	v_mul_f32_e32 v4, v200, v253
	v_mul_f32_e32 v43, v199, v253
	v_fma_f32 v4, v199, v252, -v4
	v_fmac_f32_e32 v43, v200, v252
	v_add_f32_e32 v3, v3, v4
	s_waitcnt vmcnt(3)
	v_mul_f32_e32 v4, v202, v255
	v_add_f32_e32 v42, v42, v43
	v_mul_f32_e32 v43, v201, v255
	s_waitcnt vmcnt(0)
	v_fma_f32 v4, v201, v41, -v4
	v_fmac_f32_e32 v43, v202, v41
	v_add_f32_e32 v3, v3, v4
	s_waitcnt lgkmcnt(0)
	v_mul_f32_e32 v4, v204, v40
	v_add_f32_e32 v42, v42, v43
	v_mul_f32_e32 v43, v203, v40
	v_fma_f32 v4, v203, v39, -v4
	v_fmac_f32_e32 v43, v204, v39
	v_add_f32_e32 v3, v3, v4
	v_add_f32_e32 v42, v42, v43
	v_sub_f32_e32 v3, v113, v3
	v_sub_f32_e32 v4, v114, v42
	buffer_store_dword v3, off, s[0:3], 0 offset:72
	buffer_store_dword v4, off, s[0:3], 0 offset:76
	s_and_saveexec_b64 s[4:5], vcc
	s_cbranch_execz .LBB118_327
; %bb.326:
	buffer_load_dword v113, off, s[0:3], 0 offset:64
	buffer_load_dword v114, off, s[0:3], 0 offset:68
	s_waitcnt vmcnt(0)
	ds_write_b64 v111, v[113:114]
	buffer_store_dword v112, off, s[0:3], 0 offset:64
	buffer_store_dword v112, off, s[0:3], 0 offset:68
.LBB118_327:
	s_or_b64 exec, exec, s[4:5]
	s_waitcnt lgkmcnt(0)
	; wave barrier
	buffer_load_dword v121, off, s[0:3], 0 offset:76
	buffer_load_dword v120, off, s[0:3], 0 offset:84
	;; [unrolled: 1-line block ×33, first 2 shown]
	ds_read2_b64 v[122:125], v112 offset0:65 offset1:66
	ds_read2_b64 v[126:129], v112 offset0:67 offset1:68
	;; [unrolled: 1-line block ×6, first 2 shown]
	buffer_load_dword v27, off, s[0:3], 0 offset:192
	buffer_load_dword v28, off, s[0:3], 0 offset:204
	;; [unrolled: 1-line block ×7, first 2 shown]
	ds_read2_b64 v[146:149], v112 offset0:77 offset1:78
	ds_read2_b64 v[150:153], v112 offset0:79 offset1:80
	buffer_load_dword v34, off, s[0:3], 0 offset:224
	buffer_load_dword v35, off, s[0:3], 0 offset:228
	;; [unrolled: 1-line block ×8, first 2 shown]
	v_cmp_lt_u32_e32 vcc, 7, v0
	s_waitcnt vmcnt(47) lgkmcnt(7)
	v_mul_f32_e32 v42, v122, v121
	s_waitcnt vmcnt(46)
	v_mul_f32_e32 v43, v124, v120
	s_waitcnt vmcnt(45) lgkmcnt(6)
	v_mul_f32_e32 v44, v126, v119
	s_waitcnt vmcnt(44)
	v_mul_f32_e32 v154, v128, v118
	;; [unrolled: 4-line block ×6, first 2 shown]
	s_waitcnt vmcnt(35)
	v_fmac_f32_e32 v44, v127, v8
	s_waitcnt vmcnt(34)
	v_fmac_f32_e32 v43, v125, v9
	;; [unrolled: 2-line block ×3, first 2 shown]
	v_add_f32_e32 v42, 0, v42
	v_add_f32_e32 v42, v42, v43
	;; [unrolled: 1-line block ×3, first 2 shown]
	s_waitcnt vmcnt(29)
	v_fmac_f32_e32 v154, v129, v14
	v_fmac_f32_e32 v155, v131, v13
	v_add_f32_e32 v42, v42, v154
	v_fmac_f32_e32 v156, v133, v12
	v_add_f32_e32 v42, v42, v155
	;; [unrolled: 2-line block ×3, first 2 shown]
	s_waitcnt vmcnt(25)
	v_fmac_f32_e32 v158, v137, v18
	v_add_f32_e32 v42, v42, v157
	v_fmac_f32_e32 v159, v139, v17
	v_add_f32_e32 v42, v42, v158
	;; [unrolled: 2-line block ×4, first 2 shown]
	s_waitcnt vmcnt(21)
	v_fmac_f32_e32 v162, v145, v22
	v_add_f32_e32 v42, v42, v161
	s_waitcnt vmcnt(20) lgkmcnt(1)
	v_mul_f32_e32 v43, v146, v23
	v_add_f32_e32 v42, v42, v162
	v_fmac_f32_e32 v43, v147, v21
	v_add_f32_e32 v42, v42, v43
	buffer_load_dword v43, off, s[0:3], 0 offset:256
	buffer_load_dword v44, off, s[0:3], 0 offset:260
	;; [unrolled: 1-line block ×10, first 2 shown]
	s_waitcnt vmcnt(29)
	v_mul_f32_e32 v154, v148, v24
	v_fmac_f32_e32 v154, v149, v20
	v_add_f32_e32 v42, v42, v154
	s_waitcnt vmcnt(28) lgkmcnt(0)
	v_mul_f32_e32 v154, v150, v25
	v_fmac_f32_e32 v154, v151, v19
	v_add_f32_e32 v42, v42, v154
	ds_read2_b64 v[154:157], v112 offset0:81 offset1:82
	buffer_load_dword v222, off, s[0:3], 0 offset:296
	buffer_load_dword v223, off, s[0:3], 0 offset:300
	;; [unrolled: 1-line block ×6, first 2 shown]
	s_waitcnt vmcnt(33)
	v_mul_f32_e32 v158, v152, v26
	s_waitcnt vmcnt(30)
	v_fmac_f32_e32 v158, v153, v27
	v_add_f32_e32 v42, v42, v158
	ds_read2_b64 v[158:161], v112 offset0:83 offset1:84
	buffer_load_dword v228, off, s[0:3], 0 offset:320
	buffer_load_dword v229, off, s[0:3], 0 offset:324
	;; [unrolled: 1-line block ×10, first 2 shown]
	s_waitcnt vmcnt(39) lgkmcnt(1)
	v_mul_f32_e32 v162, v154, v28
	buffer_load_dword v238, off, s[0:3], 0 offset:360
	buffer_load_dword v239, off, s[0:3], 0 offset:364
	;; [unrolled: 1-line block ×6, first 2 shown]
	s_waitcnt vmcnt(40)
	v_fmac_f32_e32 v162, v155, v33
	v_add_f32_e32 v42, v42, v162
	v_mul_f32_e32 v162, v156, v30
	v_fmac_f32_e32 v162, v157, v29
	v_add_f32_e32 v42, v42, v162
	s_waitcnt lgkmcnt(0)
	v_mul_f32_e32 v162, v158, v32
	v_fmac_f32_e32 v162, v159, v31
	v_add_f32_e32 v42, v42, v162
	ds_read2_b64 v[162:165], v112 offset0:85 offset1:86
	buffer_load_dword v244, off, s[0:3], 0 offset:384
	buffer_load_dword v245, off, s[0:3], 0 offset:388
	s_waitcnt vmcnt(40)
	v_mul_f32_e32 v166, v160, v35
	v_fmac_f32_e32 v166, v161, v34
	v_add_f32_e32 v42, v42, v166
	ds_read2_b64 v[166:169], v112 offset0:87 offset1:88
	buffer_load_dword v246, off, s[0:3], 0 offset:392
	buffer_load_dword v247, off, s[0:3], 0 offset:396
	;; [unrolled: 1-line block ×12, first 2 shown]
	s_waitcnt vmcnt(50) lgkmcnt(1)
	v_mul_f32_e32 v170, v162, v37
	v_fmac_f32_e32 v170, v163, v36
	v_add_f32_e32 v42, v42, v170
	s_waitcnt vmcnt(48)
	v_mul_f32_e32 v170, v164, v39
	v_fmac_f32_e32 v170, v165, v38
	v_add_f32_e32 v42, v42, v170
	s_waitcnt vmcnt(46) lgkmcnt(0)
	v_mul_f32_e32 v170, v166, v41
	v_fmac_f32_e32 v170, v167, v40
	v_add_f32_e32 v42, v42, v170
	ds_read2_b64 v[170:173], v112 offset0:89 offset1:90
	v_mul_f32_e32 v3, v137, v3
	v_fma_f32 v3, v136, v18, -v3
	v_mul_f32_e32 v4, v139, v4
	v_fma_f32 v4, v138, v17, -v4
	s_waitcnt vmcnt(44)
	v_mul_f32_e32 v174, v168, v44
	v_fmac_f32_e32 v174, v169, v43
	v_add_f32_e32 v42, v42, v174
	ds_read2_b64 v[174:177], v112 offset0:91 offset1:92
	s_waitcnt vmcnt(42) lgkmcnt(1)
	v_mul_f32_e32 v178, v170, v215
	v_fmac_f32_e32 v178, v171, v214
	v_add_f32_e32 v42, v42, v178
	s_waitcnt vmcnt(41)
	v_mul_f32_e32 v178, v172, v216
	s_waitcnt vmcnt(38)
	v_fmac_f32_e32 v178, v173, v219
	v_add_f32_e32 v42, v42, v178
	s_waitcnt lgkmcnt(0)
	v_mul_f32_e32 v178, v174, v218
	v_fmac_f32_e32 v178, v175, v217
	v_add_f32_e32 v42, v42, v178
	ds_read2_b64 v[178:181], v112 offset0:93 offset1:94
	s_waitcnt vmcnt(36)
	v_mul_f32_e32 v182, v176, v221
	v_fmac_f32_e32 v182, v177, v220
	v_add_f32_e32 v42, v42, v182
	ds_read2_b64 v[182:185], v112 offset0:95 offset1:96
	s_waitcnt vmcnt(34) lgkmcnt(1)
	v_mul_f32_e32 v186, v178, v223
	v_fmac_f32_e32 v186, v179, v222
	v_add_f32_e32 v42, v42, v186
	s_waitcnt vmcnt(33)
	v_mul_f32_e32 v186, v180, v224
	s_waitcnt vmcnt(30)
	v_fmac_f32_e32 v186, v181, v227
	v_add_f32_e32 v42, v42, v186
	s_waitcnt lgkmcnt(0)
	v_mul_f32_e32 v186, v182, v226
	v_fmac_f32_e32 v186, v183, v225
	v_add_f32_e32 v42, v42, v186
	ds_read2_b64 v[186:189], v112 offset0:97 offset1:98
	;; [unrolled: 19-line block ×4, first 2 shown]
	s_waitcnt vmcnt(12)
	v_mul_f32_e32 v206, v200, v245
	v_fmac_f32_e32 v206, v201, v244
	v_add_f32_e32 v42, v42, v206
	ds_read2_b64 v[206:209], v112 offset0:107 offset1:108
	s_waitcnt vmcnt(10) lgkmcnt(1)
	v_mul_f32_e32 v210, v202, v247
	v_fmac_f32_e32 v210, v203, v246
	v_add_f32_e32 v42, v42, v210
	s_waitcnt vmcnt(9)
	v_mul_f32_e32 v210, v204, v248
	s_waitcnt vmcnt(6)
	v_fmac_f32_e32 v210, v205, v251
	v_add_f32_e32 v42, v42, v210
	ds_read2_b64 v[210:213], v112 offset0:109 offset1:110
	s_waitcnt lgkmcnt(1)
	v_mul_f32_e32 v47, v206, v250
	v_fmac_f32_e32 v47, v207, v249
	v_add_f32_e32 v42, v42, v47
	s_waitcnt vmcnt(4)
	v_mul_f32_e32 v47, v208, v253
	v_fmac_f32_e32 v47, v209, v252
	v_add_f32_e32 v42, v42, v47
	s_waitcnt vmcnt(3) lgkmcnt(0)
	v_mul_f32_e32 v47, v210, v254
	s_waitcnt vmcnt(0)
	v_fmac_f32_e32 v47, v211, v46
	v_add_f32_e32 v42, v42, v47
	v_mul_f32_e32 v47, v212, v45
	v_fmac_f32_e32 v47, v213, v255
	v_add_f32_e32 v42, v42, v47
	v_mul_f32_e32 v47, v123, v121
	v_fma_f32 v10, v122, v10, -v47
	v_mul_f32_e32 v47, v125, v120
	v_add_f32_e32 v10, 0, v10
	v_fma_f32 v9, v124, v9, -v47
	v_add_f32_e32 v9, v10, v9
	v_mul_f32_e32 v10, v127, v119
	v_fma_f32 v8, v126, v8, -v10
	v_add_f32_e32 v8, v9, v8
	v_mul_f32_e32 v9, v129, v118
	;; [unrolled: 3-line block ×5, first 2 shown]
	v_fma_f32 v9, v134, v11, -v9
	v_add_f32_e32 v8, v8, v9
	v_add_f32_e32 v3, v8, v3
	;; [unrolled: 1-line block ×3, first 2 shown]
	v_mul_f32_e32 v4, v141, v5
	v_fma_f32 v4, v140, v16, -v4
	v_add_f32_e32 v3, v3, v4
	v_mul_f32_e32 v4, v143, v6
	v_fma_f32 v4, v142, v15, -v4
	v_add_f32_e32 v3, v3, v4
	;; [unrolled: 3-line block ×37, first 2 shown]
	v_sub_f32_e32 v3, v113, v3
	v_sub_f32_e32 v4, v114, v42
	buffer_store_dword v3, off, s[0:3], 0 offset:64
	buffer_store_dword v4, off, s[0:3], 0 offset:68
	s_and_saveexec_b64 s[4:5], vcc
	s_cbranch_execz .LBB118_329
; %bb.328:
	buffer_load_dword v112, off, s[0:3], 0 offset:56
	buffer_load_dword v113, off, s[0:3], 0 offset:60
	v_mov_b32_e32 v3, 0
	buffer_store_dword v3, off, s[0:3], 0 offset:56
	buffer_store_dword v3, off, s[0:3], 0 offset:60
	s_waitcnt vmcnt(2)
	ds_write_b64 v111, v[112:113]
.LBB118_329:
	s_or_b64 exec, exec, s[4:5]
	s_waitcnt lgkmcnt(0)
	; wave barrier
	buffer_load_dword v119, off, s[0:3], 0 offset:68
	buffer_load_dword v118, off, s[0:3], 0 offset:76
	;; [unrolled: 1-line block ×48, first 2 shown]
	v_mov_b32_e32 v112, 0
	ds_read_b128 v[122:125], v112 offset:512
	ds_read_b128 v[126:129], v112 offset:528
	;; [unrolled: 1-line block ×7, first 2 shown]
	v_cmp_lt_u32_e32 vcc, 6, v0
	s_waitcnt vmcnt(47) lgkmcnt(6)
	v_mul_f32_e32 v42, v122, v119
	s_waitcnt vmcnt(46)
	v_mul_f32_e32 v43, v124, v118
	s_waitcnt vmcnt(45) lgkmcnt(5)
	v_mul_f32_e32 v44, v126, v117
	s_waitcnt vmcnt(44)
	v_mul_f32_e32 v45, v128, v116
	;; [unrolled: 4-line block ×6, first 2 shown]
	s_waitcnt vmcnt(35)
	v_fmac_f32_e32 v44, v127, v8
	s_waitcnt vmcnt(34)
	v_fmac_f32_e32 v43, v125, v9
	;; [unrolled: 2-line block ×3, first 2 shown]
	v_add_f32_e32 v42, 0, v42
	v_add_f32_e32 v42, v42, v43
	;; [unrolled: 1-line block ×3, first 2 shown]
	s_waitcnt vmcnt(29)
	v_fmac_f32_e32 v45, v129, v14
	v_fmac_f32_e32 v46, v131, v13
	v_add_f32_e32 v42, v42, v45
	v_fmac_f32_e32 v47, v133, v12
	v_add_f32_e32 v42, v42, v46
	;; [unrolled: 2-line block ×3, first 2 shown]
	s_waitcnt vmcnt(25)
	v_fmac_f32_e32 v150, v137, v18
	v_add_f32_e32 v42, v42, v48
	v_fmac_f32_e32 v151, v139, v17
	v_add_f32_e32 v42, v42, v150
	;; [unrolled: 2-line block ×4, first 2 shown]
	v_add_f32_e32 v42, v42, v153
	ds_read_b128 v[150:153], v112 offset:624
	buffer_load_dword v43, off, s[0:3], 0 offset:248
	buffer_load_dword v44, off, s[0:3], 0 offset:252
	;; [unrolled: 1-line block ×8, first 2 shown]
	s_waitcnt vmcnt(29)
	v_fmac_f32_e32 v154, v145, v22
	s_waitcnt vmcnt(28) lgkmcnt(1)
	v_mul_f32_e32 v45, v146, v23
	v_add_f32_e32 v42, v42, v154
	v_fmac_f32_e32 v45, v147, v21
	v_add_f32_e32 v42, v42, v45
	s_waitcnt vmcnt(27)
	v_mul_f32_e32 v45, v148, v24
	buffer_load_dword v219, off, s[0:3], 0 offset:280
	buffer_load_dword v220, off, s[0:3], 0 offset:284
	v_fmac_f32_e32 v45, v149, v20
	v_add_f32_e32 v42, v42, v45
	s_waitcnt vmcnt(28) lgkmcnt(0)
	v_mul_f32_e32 v45, v150, v25
	v_fmac_f32_e32 v45, v151, v19
	v_add_f32_e32 v42, v42, v45
	s_waitcnt vmcnt(27)
	v_mul_f32_e32 v45, v152, v26
	s_waitcnt vmcnt(20)
	v_fmac_f32_e32 v45, v153, v33
	ds_read_b128 v[154:157], v112 offset:640
	v_add_f32_e32 v42, v42, v45
	buffer_load_dword v45, off, s[0:3], 0 offset:288
	buffer_load_dword v221, off, s[0:3], 0 offset:292
	;; [unrolled: 1-line block ×6, first 2 shown]
	ds_read_b128 v[158:161], v112 offset:656
	buffer_load_dword v226, off, s[0:3], 0 offset:312
	buffer_load_dword v227, off, s[0:3], 0 offset:316
	;; [unrolled: 1-line block ×8, first 2 shown]
	s_waitcnt lgkmcnt(1)
	v_mul_f32_e32 v162, v154, v28
	buffer_load_dword v234, off, s[0:3], 0 offset:344
	buffer_load_dword v235, off, s[0:3], 0 offset:348
	v_fmac_f32_e32 v162, v155, v27
	v_add_f32_e32 v42, v42, v162
	v_mul_f32_e32 v162, v156, v30
	v_fmac_f32_e32 v162, v157, v29
	v_add_f32_e32 v42, v42, v162
	s_waitcnt lgkmcnt(0)
	v_mul_f32_e32 v162, v158, v32
	v_fmac_f32_e32 v162, v159, v31
	v_add_f32_e32 v42, v42, v162
	ds_read_b128 v[162:165], v112 offset:672
	buffer_load_dword v236, off, s[0:3], 0 offset:352
	buffer_load_dword v237, off, s[0:3], 0 offset:356
	;; [unrolled: 1-line block ×6, first 2 shown]
	s_waitcnt vmcnt(38)
	v_mul_f32_e32 v166, v160, v35
	v_fmac_f32_e32 v166, v161, v34
	v_add_f32_e32 v42, v42, v166
	ds_read_b128 v[166:169], v112 offset:688
	buffer_load_dword v242, off, s[0:3], 0 offset:376
	buffer_load_dword v243, off, s[0:3], 0 offset:380
	;; [unrolled: 1-line block ×16, first 2 shown]
	s_waitcnt vmcnt(52) lgkmcnt(1)
	v_mul_f32_e32 v170, v162, v37
	v_fmac_f32_e32 v170, v163, v36
	v_add_f32_e32 v42, v42, v170
	s_waitcnt vmcnt(50)
	v_mul_f32_e32 v170, v164, v39
	v_fmac_f32_e32 v170, v165, v38
	v_add_f32_e32 v42, v42, v170
	s_waitcnt vmcnt(48) lgkmcnt(0)
	v_mul_f32_e32 v170, v166, v41
	v_fmac_f32_e32 v170, v167, v40
	v_add_f32_e32 v42, v42, v170
	ds_read_b128 v[170:173], v112 offset:704
	v_mul_f32_e32 v3, v137, v3
	v_fma_f32 v3, v136, v18, -v3
	v_mul_f32_e32 v4, v139, v4
	v_fma_f32 v4, v138, v17, -v4
	s_waitcnt vmcnt(46)
	v_mul_f32_e32 v174, v168, v44
	v_fmac_f32_e32 v174, v169, v43
	v_add_f32_e32 v42, v42, v174
	ds_read_b128 v[174:177], v112 offset:720
	s_waitcnt vmcnt(44) lgkmcnt(1)
	v_mul_f32_e32 v178, v170, v47
	v_fmac_f32_e32 v178, v171, v46
	v_add_f32_e32 v42, v42, v178
	s_waitcnt vmcnt(43)
	v_mul_f32_e32 v178, v172, v48
	s_waitcnt vmcnt(40)
	v_fmac_f32_e32 v178, v173, v218
	v_add_f32_e32 v42, v42, v178
	s_waitcnt lgkmcnt(0)
	v_mul_f32_e32 v178, v174, v217
	v_fmac_f32_e32 v178, v175, v216
	v_add_f32_e32 v42, v42, v178
	ds_read_b128 v[178:181], v112 offset:736
	s_waitcnt vmcnt(38)
	v_mul_f32_e32 v182, v176, v220
	v_fmac_f32_e32 v182, v177, v219
	v_add_f32_e32 v42, v42, v182
	ds_read_b128 v[182:185], v112 offset:752
	s_waitcnt vmcnt(36) lgkmcnt(1)
	v_mul_f32_e32 v186, v178, v221
	v_fmac_f32_e32 v186, v179, v45
	v_add_f32_e32 v42, v42, v186
	s_waitcnt vmcnt(35)
	v_mul_f32_e32 v186, v180, v222
	s_waitcnt vmcnt(32)
	v_fmac_f32_e32 v186, v181, v225
	v_add_f32_e32 v42, v42, v186
	s_waitcnt lgkmcnt(0)
	v_mul_f32_e32 v186, v182, v224
	v_fmac_f32_e32 v186, v183, v223
	v_add_f32_e32 v42, v42, v186
	ds_read_b128 v[186:189], v112 offset:768
	;; [unrolled: 19-line block ×5, first 2 shown]
	s_waitcnt vmcnt(6)
	v_mul_f32_e32 v214, v208, v251
	v_fmac_f32_e32 v214, v209, v250
	v_add_f32_e32 v42, v42, v214
	ds_read_b64 v[214:215], v112 offset:880
	s_waitcnt vmcnt(4) lgkmcnt(1)
	v_mul_f32_e32 v51, v210, v253
	v_fmac_f32_e32 v51, v211, v252
	v_add_f32_e32 v42, v42, v51
	s_waitcnt vmcnt(3)
	v_mul_f32_e32 v51, v212, v254
	s_waitcnt vmcnt(0)
	v_fmac_f32_e32 v51, v213, v50
	v_add_f32_e32 v42, v42, v51
	s_waitcnt lgkmcnt(0)
	v_mul_f32_e32 v51, v214, v49
	v_fmac_f32_e32 v51, v215, v255
	v_add_f32_e32 v42, v42, v51
	v_mul_f32_e32 v51, v123, v119
	v_fma_f32 v10, v122, v10, -v51
	v_mul_f32_e32 v51, v125, v118
	v_add_f32_e32 v10, 0, v10
	v_fma_f32 v9, v124, v9, -v51
	v_add_f32_e32 v9, v10, v9
	v_mul_f32_e32 v10, v127, v117
	v_fma_f32 v8, v126, v8, -v10
	v_add_f32_e32 v8, v9, v8
	v_mul_f32_e32 v9, v129, v116
	;; [unrolled: 3-line block ×5, first 2 shown]
	v_fma_f32 v9, v134, v11, -v9
	v_add_f32_e32 v8, v8, v9
	v_add_f32_e32 v3, v8, v3
	;; [unrolled: 1-line block ×3, first 2 shown]
	v_mul_f32_e32 v4, v141, v5
	v_fma_f32 v4, v140, v16, -v4
	v_add_f32_e32 v3, v3, v4
	v_mul_f32_e32 v4, v143, v6
	v_fma_f32 v4, v142, v15, -v4
	v_add_f32_e32 v3, v3, v4
	;; [unrolled: 3-line block ×38, first 2 shown]
	v_sub_f32_e32 v3, v120, v3
	v_sub_f32_e32 v4, v121, v42
	buffer_store_dword v3, off, s[0:3], 0 offset:56
	buffer_store_dword v4, off, s[0:3], 0 offset:60
	s_and_saveexec_b64 s[4:5], vcc
	s_cbranch_execz .LBB118_331
; %bb.330:
	buffer_load_dword v113, off, s[0:3], 0 offset:48
	buffer_load_dword v114, off, s[0:3], 0 offset:52
	s_waitcnt vmcnt(0)
	ds_write_b64 v111, v[113:114]
	buffer_store_dword v112, off, s[0:3], 0 offset:48
	buffer_store_dword v112, off, s[0:3], 0 offset:52
.LBB118_331:
	s_or_b64 exec, exec, s[4:5]
	s_waitcnt lgkmcnt(0)
	; wave barrier
	buffer_load_dword v119, off, s[0:3], 0 offset:60
	buffer_load_dword v118, off, s[0:3], 0 offset:68
	;; [unrolled: 1-line block ×40, first 2 shown]
	ds_read2_b64 v[150:153], v112 offset0:63 offset1:64
	ds_read2_b64 v[154:157], v112 offset0:65 offset1:66
	;; [unrolled: 1-line block ×7, first 2 shown]
	buffer_load_dword v6, off, s[0:3], 0 offset:208
	buffer_load_dword v7, off, s[0:3], 0 offset:212
	;; [unrolled: 1-line block ×8, first 2 shown]
	v_cmp_lt_u32_e32 vcc, 5, v0
	s_waitcnt vmcnt(47) lgkmcnt(6)
	v_mul_f32_e32 v14, v150, v119
	s_waitcnt vmcnt(46)
	v_mul_f32_e32 v15, v152, v118
	s_waitcnt vmcnt(45) lgkmcnt(5)
	v_mul_f32_e32 v16, v154, v117
	s_waitcnt vmcnt(44)
	v_mul_f32_e32 v17, v156, v116
	;; [unrolled: 4-line block ×6, first 2 shown]
	s_waitcnt vmcnt(35)
	v_fmac_f32_e32 v16, v155, v132
	s_waitcnt vmcnt(34)
	v_fmac_f32_e32 v15, v153, v135
	;; [unrolled: 2-line block ×3, first 2 shown]
	v_add_f32_e32 v14, 0, v14
	v_add_f32_e32 v14, v14, v15
	;; [unrolled: 1-line block ×3, first 2 shown]
	buffer_load_dword v15, off, s[0:3], 0 offset:240
	buffer_load_dword v16, off, s[0:3], 0 offset:244
	s_waitcnt vmcnt(31)
	v_fmac_f32_e32 v17, v157, v137
	v_fmac_f32_e32 v18, v159, v134
	v_add_f32_e32 v14, v14, v17
	v_fmac_f32_e32 v19, v161, v131
	v_add_f32_e32 v14, v14, v18
	;; [unrolled: 2-line block ×3, first 2 shown]
	s_waitcnt vmcnt(27)
	v_fmac_f32_e32 v21, v165, v133
	v_add_f32_e32 v14, v14, v20
	v_fmac_f32_e32 v22, v167, v130
	v_add_f32_e32 v14, v14, v21
	;; [unrolled: 2-line block ×4, first 2 shown]
	ds_read2_b64 v[178:181], v112 offset0:77 offset1:78
	s_waitcnt vmcnt(23)
	v_fmac_f32_e32 v25, v173, v145
	v_add_f32_e32 v14, v14, v24
	s_waitcnt vmcnt(22) lgkmcnt(1)
	v_mul_f32_e32 v17, v174, v144
	v_add_f32_e32 v14, v14, v25
	v_fmac_f32_e32 v17, v175, v141
	v_add_f32_e32 v14, v14, v17
	s_waitcnt vmcnt(21)
	v_mul_f32_e32 v17, v176, v142
	v_fmac_f32_e32 v17, v177, v139
	v_add_f32_e32 v14, v14, v17
	s_waitcnt vmcnt(20) lgkmcnt(0)
	v_mul_f32_e32 v17, v178, v140
	v_fmac_f32_e32 v17, v179, v136
	v_add_f32_e32 v14, v14, v17
	buffer_load_dword v17, off, s[0:3], 0 offset:248
	buffer_load_dword v18, off, s[0:3], 0 offset:252
	;; [unrolled: 1-line block ×6, first 2 shown]
	s_waitcnt vmcnt(25)
	v_mul_f32_e32 v23, v180, v143
	s_waitcnt vmcnt(18)
	v_fmac_f32_e32 v23, v181, v5
	ds_read2_b64 v[182:185], v112 offset0:79 offset1:80
	v_add_f32_e32 v14, v14, v23
	buffer_load_dword v23, off, s[0:3], 0 offset:272
	buffer_load_dword v24, off, s[0:3], 0 offset:276
	ds_read2_b64 v[186:189], v112 offset0:81 offset1:82
	buffer_load_dword v26, off, s[0:3], 0 offset:280
	buffer_load_dword v27, off, s[0:3], 0 offset:284
	buffer_load_dword v28, off, s[0:3], 0 offset:292
	buffer_load_dword v29, off, s[0:3], 0 offset:296
	buffer_load_dword v30, off, s[0:3], 0 offset:300
	buffer_load_dword v31, off, s[0:3], 0 offset:288
	buffer_load_dword v32, off, s[0:3], 0 offset:304
	buffer_load_dword v33, off, s[0:3], 0 offset:308
	buffer_load_dword v34, off, s[0:3], 0 offset:312
	buffer_load_dword v35, off, s[0:3], 0 offset:316
	buffer_load_dword v36, off, s[0:3], 0 offset:324
	buffer_load_dword v37, off, s[0:3], 0 offset:328
	buffer_load_dword v38, off, s[0:3], 0 offset:332
	buffer_load_dword v39, off, s[0:3], 0 offset:320
	s_waitcnt lgkmcnt(1)
	v_mul_f32_e32 v25, v182, v147
	v_fmac_f32_e32 v25, v183, v146
	v_add_f32_e32 v14, v14, v25
	v_mul_f32_e32 v25, v184, v149
	buffer_load_dword v40, off, s[0:3], 0 offset:336
	buffer_load_dword v41, off, s[0:3], 0 offset:340
	v_fmac_f32_e32 v25, v185, v148
	v_add_f32_e32 v14, v14, v25
	s_waitcnt lgkmcnt(0)
	v_mul_f32_e32 v25, v186, v4
	v_fmac_f32_e32 v25, v187, v3
	v_add_f32_e32 v14, v14, v25
	s_waitcnt vmcnt(32)
	v_mul_f32_e32 v25, v188, v7
	ds_read2_b64 v[190:193], v112 offset0:83 offset1:84
	v_fmac_f32_e32 v25, v189, v6
	v_add_f32_e32 v14, v14, v25
	buffer_load_dword v25, off, s[0:3], 0 offset:344
	buffer_load_dword v42, off, s[0:3], 0 offset:348
	;; [unrolled: 1-line block ×6, first 2 shown]
	ds_read2_b64 v[194:197], v112 offset0:85 offset1:86
	s_waitcnt vmcnt(36) lgkmcnt(1)
	v_mul_f32_e32 v47, v190, v9
	v_fmac_f32_e32 v47, v191, v8
	v_add_f32_e32 v14, v14, v47
	buffer_load_dword v47, off, s[0:3], 0 offset:368
	buffer_load_dword v48, off, s[0:3], 0 offset:372
	;; [unrolled: 1-line block ×8, first 2 shown]
	s_waitcnt vmcnt(42)
	v_mul_f32_e32 v49, v192, v11
	v_fmac_f32_e32 v49, v193, v10
	v_add_f32_e32 v14, v14, v49
	s_waitcnt vmcnt(40) lgkmcnt(0)
	v_mul_f32_e32 v49, v194, v13
	v_fmac_f32_e32 v49, v195, v12
	v_add_f32_e32 v14, v14, v49
	buffer_load_dword v49, off, s[0:3], 0 offset:400
	buffer_load_dword v249, off, s[0:3], 0 offset:404
	;; [unrolled: 1-line block ×8, first 2 shown]
	ds_read2_b64 v[198:201], v112 offset0:87 offset1:88
	v_mul_f32_e32 v118, v153, v118
	v_fma_f32 v118, v152, v135, -v118
	v_mul_f32_e32 v117, v155, v117
	v_fma_f32 v117, v154, v132, -v117
	;; [unrolled: 2-line block ×5, first 2 shown]
	v_mul_f32_e32 v113, v163, v113
	s_waitcnt vmcnt(46)
	v_mul_f32_e32 v202, v196, v16
	v_fmac_f32_e32 v202, v197, v15
	v_add_f32_e32 v14, v14, v202
	ds_read2_b64 v[202:205], v112 offset0:89 offset1:90
	buffer_load_dword v53, off, s[0:3], 0 offset:432
	buffer_load_dword v54, off, s[0:3], 0 offset:436
	v_fma_f32 v113, v162, v129, -v113
	v_mul_f32_e32 v4, v187, v4
	v_fma_f32 v3, v186, v3, -v4
	v_mul_f32_e32 v4, v189, v7
	v_fma_f32 v4, v188, v6, -v4
	s_waitcnt vmcnt(46) lgkmcnt(1)
	v_mul_f32_e32 v206, v198, v18
	v_fmac_f32_e32 v206, v199, v17
	v_add_f32_e32 v14, v14, v206
	s_waitcnt vmcnt(45)
	v_mul_f32_e32 v206, v200, v19
	s_waitcnt vmcnt(42)
	v_fmac_f32_e32 v206, v201, v22
	v_add_f32_e32 v14, v14, v206
	s_waitcnt lgkmcnt(0)
	v_mul_f32_e32 v206, v202, v21
	v_fmac_f32_e32 v206, v203, v20
	v_add_f32_e32 v14, v14, v206
	ds_read2_b64 v[206:209], v112 offset0:91 offset1:92
	s_waitcnt vmcnt(40)
	v_mul_f32_e32 v210, v204, v24
	v_fmac_f32_e32 v210, v205, v23
	v_add_f32_e32 v14, v14, v210
	ds_read2_b64 v[210:213], v112 offset0:93 offset1:94
	s_waitcnt vmcnt(38) lgkmcnt(1)
	v_mul_f32_e32 v214, v206, v27
	v_fmac_f32_e32 v214, v207, v26
	v_add_f32_e32 v14, v14, v214
	s_waitcnt vmcnt(37)
	v_mul_f32_e32 v214, v208, v28
	s_waitcnt vmcnt(34)
	v_fmac_f32_e32 v214, v209, v31
	v_add_f32_e32 v14, v14, v214
	s_waitcnt lgkmcnt(0)
	v_mul_f32_e32 v214, v210, v30
	v_fmac_f32_e32 v214, v211, v29
	v_add_f32_e32 v14, v14, v214
	ds_read2_b64 v[214:217], v112 offset0:95 offset1:96
	s_waitcnt vmcnt(32)
	v_mul_f32_e32 v218, v212, v33
	v_fmac_f32_e32 v218, v213, v32
	v_add_f32_e32 v14, v14, v218
	ds_read2_b64 v[218:221], v112 offset0:97 offset1:98
	;; [unrolled: 19-line block ×5, first 2 shown]
	s_waitcnt vmcnt(6) lgkmcnt(1)
	v_mul_f32_e32 v112, v238, v251
	v_fmac_f32_e32 v112, v239, v250
	v_add_f32_e32 v14, v14, v112
	s_waitcnt vmcnt(5)
	v_mul_f32_e32 v112, v240, v252
	s_waitcnt vmcnt(2)
	v_fmac_f32_e32 v112, v241, v255
	v_add_f32_e32 v14, v14, v112
	s_waitcnt lgkmcnt(0)
	v_mul_f32_e32 v112, v242, v254
	v_fmac_f32_e32 v112, v243, v253
	v_add_f32_e32 v14, v14, v112
	s_waitcnt vmcnt(0)
	v_mul_f32_e32 v112, v244, v54
	v_fmac_f32_e32 v112, v245, v53
	v_add_f32_e32 v14, v14, v112
	v_mul_f32_e32 v112, v151, v119
	v_fma_f32 v112, v150, v138, -v112
	v_add_f32_e32 v112, 0, v112
	v_add_f32_e32 v112, v112, v118
	;; [unrolled: 1-line block ×7, first 2 shown]
	v_mul_f32_e32 v113, v165, v122
	v_fma_f32 v113, v164, v133, -v113
	v_add_f32_e32 v112, v112, v113
	v_mul_f32_e32 v113, v167, v123
	v_fma_f32 v113, v166, v130, -v113
	v_add_f32_e32 v112, v112, v113
	;; [unrolled: 3-line block ×11, first 2 shown]
	v_add_f32_e32 v3, v5, v3
	v_add_f32_e32 v3, v3, v4
	v_mul_f32_e32 v4, v191, v9
	v_fma_f32 v4, v190, v8, -v4
	v_add_f32_e32 v3, v3, v4
	v_mul_f32_e32 v4, v193, v11
	v_fma_f32 v4, v192, v10, -v4
	;; [unrolled: 3-line block ×28, first 2 shown]
	v_add_f32_e32 v3, v3, v4
	v_sub_f32_e32 v3, v120, v3
	v_sub_f32_e32 v4, v121, v14
	buffer_store_dword v3, off, s[0:3], 0 offset:48
	buffer_store_dword v4, off, s[0:3], 0 offset:52
	s_and_saveexec_b64 s[4:5], vcc
	s_cbranch_execz .LBB118_333
; %bb.332:
	buffer_load_dword v112, off, s[0:3], 0 offset:40
	buffer_load_dword v113, off, s[0:3], 0 offset:44
	v_mov_b32_e32 v3, 0
	buffer_store_dword v3, off, s[0:3], 0 offset:40
	buffer_store_dword v3, off, s[0:3], 0 offset:44
	s_waitcnt vmcnt(2)
	ds_write_b64 v111, v[112:113]
.LBB118_333:
	s_or_b64 exec, exec, s[4:5]
	s_waitcnt lgkmcnt(0)
	; wave barrier
	buffer_load_dword v119, off, s[0:3], 0 offset:52
	buffer_load_dword v118, off, s[0:3], 0 offset:60
	;; [unrolled: 1-line block ×50, first 2 shown]
	v_mov_b32_e32 v112, 0
	ds_read_b128 v[126:129], v112 offset:496
	ds_read_b128 v[130:133], v112 offset:512
	;; [unrolled: 1-line block ×8, first 2 shown]
	v_cmp_lt_u32_e32 vcc, 4, v0
	s_waitcnt vmcnt(49) lgkmcnt(7)
	v_mul_f32_e32 v40, v126, v119
	s_waitcnt vmcnt(48)
	v_mul_f32_e32 v41, v128, v118
	s_waitcnt vmcnt(47) lgkmcnt(6)
	v_mul_f32_e32 v42, v130, v117
	s_waitcnt vmcnt(46)
	v_mul_f32_e32 v43, v132, v116
	;; [unrolled: 4-line block ×5, first 2 shown]
	s_waitcnt vmcnt(39) lgkmcnt(2)
	v_mul_f32_e32 v50, v146, v125
	s_waitcnt vmcnt(38)
	v_fmac_f32_e32 v42, v131, v3
	s_waitcnt vmcnt(37)
	v_fmac_f32_e32 v41, v129, v4
	;; [unrolled: 2-line block ×3, first 2 shown]
	v_add_f32_e32 v40, 0, v40
	v_add_f32_e32 v40, v40, v41
	;; [unrolled: 1-line block ×3, first 2 shown]
	s_waitcnt vmcnt(32)
	v_fmac_f32_e32 v43, v133, v9
	v_fmac_f32_e32 v44, v135, v8
	v_add_f32_e32 v40, v40, v43
	v_fmac_f32_e32 v45, v137, v7
	v_add_f32_e32 v40, v40, v44
	;; [unrolled: 2-line block ×3, first 2 shown]
	s_waitcnt vmcnt(28)
	v_fmac_f32_e32 v47, v141, v13
	v_add_f32_e32 v40, v40, v46
	v_fmac_f32_e32 v48, v143, v12
	v_add_f32_e32 v40, v40, v47
	;; [unrolled: 2-line block ×4, first 2 shown]
	s_waitcnt vmcnt(27)
	v_mul_f32_e32 v41, v148, v14
	v_add_f32_e32 v40, v40, v50
	s_waitcnt vmcnt(23)
	v_fmac_f32_e32 v41, v149, v18
	v_add_f32_e32 v40, v40, v41
	s_waitcnt vmcnt(22) lgkmcnt(1)
	v_mul_f32_e32 v41, v150, v19
	v_fmac_f32_e32 v41, v151, v17
	v_add_f32_e32 v40, v40, v41
	buffer_load_dword v41, off, s[0:3], 0 offset:240
	buffer_load_dword v42, off, s[0:3], 0 offset:244
	ds_read_b128 v[158:161], v112 offset:624
	buffer_load_dword v44, off, s[0:3], 0 offset:252
	buffer_load_dword v45, off, s[0:3], 0 offset:256
	;; [unrolled: 1-line block ×4, first 2 shown]
	s_waitcnt vmcnt(27)
	v_mul_f32_e32 v43, v152, v20
	v_fmac_f32_e32 v43, v153, v16
	v_add_f32_e32 v40, v40, v43
	s_waitcnt vmcnt(26) lgkmcnt(1)
	v_mul_f32_e32 v43, v154, v21
	ds_read_b128 v[162:165], v112 offset:640
	buffer_load_dword v48, off, s[0:3], 0 offset:264
	buffer_load_dword v49, off, s[0:3], 0 offset:268
	v_fmac_f32_e32 v43, v155, v15
	v_add_f32_e32 v40, v40, v43
	s_waitcnt vmcnt(27)
	v_mul_f32_e32 v43, v156, v22
	s_waitcnt vmcnt(21)
	v_fmac_f32_e32 v43, v157, v28
	v_add_f32_e32 v40, v40, v43
	s_waitcnt vmcnt(20) lgkmcnt(1)
	v_mul_f32_e32 v43, v158, v29
	v_fmac_f32_e32 v43, v159, v27
	v_add_f32_e32 v40, v40, v43
	buffer_load_dword v43, off, s[0:3], 0 offset:272
	buffer_load_dword v50, off, s[0:3], 0 offset:276
	;; [unrolled: 1-line block ×14, first 2 shown]
	v_mul_f32_e32 v166, v160, v24
	v_fmac_f32_e32 v166, v161, v23
	v_add_f32_e32 v40, v40, v166
	s_waitcnt lgkmcnt(0)
	v_mul_f32_e32 v166, v162, v26
	v_fmac_f32_e32 v166, v163, v25
	v_add_f32_e32 v40, v40, v166
	ds_read_b128 v[166:169], v112 offset:656
	buffer_load_dword v232, off, s[0:3], 0 offset:328
	buffer_load_dword v233, off, s[0:3], 0 offset:332
	s_waitcnt vmcnt(32)
	v_mul_f32_e32 v170, v164, v31
	v_fmac_f32_e32 v170, v165, v30
	v_add_f32_e32 v40, v40, v170
	ds_read_b128 v[170:173], v112 offset:672
	buffer_load_dword v234, off, s[0:3], 0 offset:336
	buffer_load_dword v235, off, s[0:3], 0 offset:340
	;; [unrolled: 1-line block ×14, first 2 shown]
	s_waitcnt vmcnt(44) lgkmcnt(1)
	v_mul_f32_e32 v174, v166, v33
	v_fmac_f32_e32 v174, v167, v32
	buffer_load_dword v248, off, s[0:3], 0 offset:392
	buffer_load_dword v249, off, s[0:3], 0 offset:396
	v_add_f32_e32 v40, v40, v174
	s_waitcnt vmcnt(44)
	v_mul_f32_e32 v174, v168, v35
	v_fmac_f32_e32 v174, v169, v34
	v_add_f32_e32 v40, v40, v174
	s_waitcnt vmcnt(42) lgkmcnt(0)
	v_mul_f32_e32 v174, v170, v37
	v_fmac_f32_e32 v174, v171, v36
	v_add_f32_e32 v40, v40, v174
	ds_read_b128 v[174:177], v112 offset:688
	buffer_load_dword v250, off, s[0:3], 0 offset:400
	buffer_load_dword v251, off, s[0:3], 0 offset:404
	;; [unrolled: 1-line block ×6, first 2 shown]
	s_waitcnt vmcnt(46)
	v_mul_f32_e32 v178, v172, v39
	v_fmac_f32_e32 v178, v173, v38
	v_add_f32_e32 v40, v40, v178
	ds_read_b128 v[178:181], v112 offset:704
	buffer_load_dword v55, off, s[0:3], 0 offset:428
	buffer_load_dword v56, off, s[0:3], 0 offset:432
	;; [unrolled: 1-line block ×4, first 2 shown]
	s_waitcnt vmcnt(48) lgkmcnt(1)
	v_mul_f32_e32 v182, v174, v42
	v_fmac_f32_e32 v182, v175, v41
	v_add_f32_e32 v40, v40, v182
	s_waitcnt vmcnt(47)
	v_mul_f32_e32 v182, v176, v44
	s_waitcnt vmcnt(44)
	v_fmac_f32_e32 v182, v177, v47
	v_add_f32_e32 v40, v40, v182
	s_waitcnt lgkmcnt(0)
	v_mul_f32_e32 v182, v178, v46
	v_fmac_f32_e32 v182, v179, v45
	v_add_f32_e32 v40, v40, v182
	ds_read_b128 v[182:185], v112 offset:720
	s_waitcnt vmcnt(42)
	v_mul_f32_e32 v186, v180, v49
	v_fmac_f32_e32 v186, v181, v48
	v_add_f32_e32 v40, v40, v186
	ds_read_b128 v[186:189], v112 offset:736
	s_waitcnt vmcnt(40) lgkmcnt(1)
	v_mul_f32_e32 v190, v182, v50
	v_fmac_f32_e32 v190, v183, v43
	v_add_f32_e32 v40, v40, v190
	s_waitcnt vmcnt(39)
	v_mul_f32_e32 v190, v184, v51
	s_waitcnt vmcnt(36)
	v_fmac_f32_e32 v190, v185, v54
	v_add_f32_e32 v40, v40, v190
	s_waitcnt lgkmcnt(0)
	v_mul_f32_e32 v190, v186, v53
	v_fmac_f32_e32 v190, v187, v52
	v_add_f32_e32 v40, v40, v190
	ds_read_b128 v[190:193], v112 offset:752
	s_waitcnt vmcnt(34)
	v_mul_f32_e32 v194, v188, v225
	v_fmac_f32_e32 v194, v189, v224
	v_add_f32_e32 v40, v40, v194
	ds_read_b128 v[194:197], v112 offset:768
	;; [unrolled: 19-line block ×5, first 2 shown]
	s_waitcnt vmcnt(8) lgkmcnt(1)
	v_mul_f32_e32 v222, v214, v251
	v_fmac_f32_e32 v222, v215, v250
	v_add_f32_e32 v40, v40, v222
	s_waitcnt vmcnt(7)
	v_mul_f32_e32 v222, v216, v252
	s_waitcnt vmcnt(4)
	v_fmac_f32_e32 v222, v217, v255
	v_add_f32_e32 v40, v40, v222
	ds_read_b64 v[222:223], v112 offset:880
	s_waitcnt lgkmcnt(1)
	v_mul_f32_e32 v59, v218, v254
	v_fmac_f32_e32 v59, v219, v253
	v_add_f32_e32 v40, v40, v59
	s_waitcnt vmcnt(3)
	v_mul_f32_e32 v59, v220, v55
	s_waitcnt vmcnt(0)
	v_fmac_f32_e32 v59, v221, v58
	v_add_f32_e32 v40, v40, v59
	s_waitcnt lgkmcnt(0)
	v_mul_f32_e32 v59, v222, v57
	v_fmac_f32_e32 v59, v223, v56
	v_add_f32_e32 v40, v40, v59
	v_mul_f32_e32 v59, v127, v119
	v_fma_f32 v5, v126, v5, -v59
	v_mul_f32_e32 v59, v129, v118
	v_add_f32_e32 v5, 0, v5
	v_fma_f32 v4, v128, v4, -v59
	v_add_f32_e32 v4, v5, v4
	v_mul_f32_e32 v5, v131, v117
	v_fma_f32 v3, v130, v3, -v5
	v_add_f32_e32 v3, v4, v3
	v_mul_f32_e32 v4, v133, v116
	;; [unrolled: 3-line block ×47, first 2 shown]
	v_fma_f32 v4, v222, v56, -v4
	v_add_f32_e32 v3, v3, v4
	v_sub_f32_e32 v3, v120, v3
	v_sub_f32_e32 v4, v121, v40
	buffer_store_dword v3, off, s[0:3], 0 offset:40
	buffer_store_dword v4, off, s[0:3], 0 offset:44
	s_and_saveexec_b64 s[4:5], vcc
	s_cbranch_execz .LBB118_335
; %bb.334:
	buffer_load_dword v113, off, s[0:3], 0 offset:32
	buffer_load_dword v114, off, s[0:3], 0 offset:36
	s_waitcnt vmcnt(0)
	ds_write_b64 v111, v[113:114]
	buffer_store_dword v112, off, s[0:3], 0 offset:32
	buffer_store_dword v112, off, s[0:3], 0 offset:36
.LBB118_335:
	s_or_b64 exec, exec, s[4:5]
	s_waitcnt lgkmcnt(0)
	; wave barrier
	buffer_load_dword v119, off, s[0:3], 0 offset:44
	buffer_load_dword v118, off, s[0:3], 0 offset:52
	;; [unrolled: 1-line block ×40, first 2 shown]
	ds_read2_b64 v[127:130], v112 offset0:61 offset1:62
	ds_read2_b64 v[131:134], v112 offset0:63 offset1:64
	ds_read2_b64 v[135:138], v112 offset0:65 offset1:66
	ds_read2_b64 v[139:142], v112 offset0:67 offset1:68
	ds_read2_b64 v[143:146], v112 offset0:69 offset1:70
	ds_read2_b64 v[147:150], v112 offset0:71 offset1:72
	ds_read2_b64 v[151:154], v112 offset0:73 offset1:74
	buffer_load_dword v29, off, s[0:3], 0 offset:192
	buffer_load_dword v30, off, s[0:3], 0 offset:196
	;; [unrolled: 1-line block ×10, first 2 shown]
	ds_read2_b64 v[155:158], v112 offset0:75 offset1:76
	v_cmp_lt_u32_e32 vcc, 3, v0
	s_waitcnt vmcnt(49) lgkmcnt(7)
	v_mul_f32_e32 v39, v127, v119
	s_waitcnt vmcnt(48)
	v_mul_f32_e32 v40, v129, v118
	s_waitcnt vmcnt(47) lgkmcnt(6)
	v_mul_f32_e32 v41, v131, v117
	s_waitcnt vmcnt(46)
	v_mul_f32_e32 v42, v133, v116
	;; [unrolled: 4-line block ×6, first 2 shown]
	s_waitcnt vmcnt(37)
	v_fmac_f32_e32 v41, v132, v3
	s_waitcnt vmcnt(36)
	v_fmac_f32_e32 v40, v130, v4
	;; [unrolled: 2-line block ×3, first 2 shown]
	v_add_f32_e32 v39, 0, v39
	v_add_f32_e32 v39, v39, v40
	;; [unrolled: 1-line block ×3, first 2 shown]
	s_waitcnt vmcnt(31)
	v_fmac_f32_e32 v42, v134, v9
	v_fmac_f32_e32 v43, v136, v8
	v_add_f32_e32 v39, v39, v42
	v_fmac_f32_e32 v44, v138, v7
	v_add_f32_e32 v39, v39, v43
	;; [unrolled: 2-line block ×3, first 2 shown]
	s_waitcnt vmcnt(27)
	v_fmac_f32_e32 v46, v142, v13
	v_add_f32_e32 v39, v39, v45
	v_fmac_f32_e32 v47, v144, v12
	v_add_f32_e32 v39, v39, v46
	;; [unrolled: 2-line block ×4, first 2 shown]
	v_add_f32_e32 v39, v39, v49
	s_waitcnt vmcnt(23)
	v_fmac_f32_e32 v50, v150, v17
	s_waitcnt vmcnt(22) lgkmcnt(1)
	v_mul_f32_e32 v40, v151, v18
	v_add_f32_e32 v39, v39, v50
	v_fmac_f32_e32 v40, v152, v16
	buffer_load_dword v41, off, s[0:3], 0 offset:236
	v_add_f32_e32 v39, v39, v40
	s_waitcnt vmcnt(22)
	v_mul_f32_e32 v40, v153, v19
	v_fmac_f32_e32 v40, v154, v15
	buffer_load_dword v42, off, s[0:3], 0 offset:232
	buffer_load_dword v43, off, s[0:3], 0 offset:240
	;; [unrolled: 1-line block ×3, first 2 shown]
	ds_read2_b64 v[159:162], v112 offset0:77 offset1:78
	v_add_f32_e32 v39, v39, v40
	s_waitcnt vmcnt(24) lgkmcnt(1)
	v_mul_f32_e32 v40, v155, v20
	v_fmac_f32_e32 v40, v156, v14
	v_add_f32_e32 v39, v39, v40
	s_waitcnt vmcnt(23)
	v_mul_f32_e32 v40, v157, v21
	buffer_load_dword v45, off, s[0:3], 0 offset:248
	buffer_load_dword v46, off, s[0:3], 0 offset:252
	s_waitcnt vmcnt(19)
	v_fmac_f32_e32 v40, v158, v27
	v_add_f32_e32 v39, v39, v40
	s_waitcnt vmcnt(18) lgkmcnt(0)
	v_mul_f32_e32 v40, v159, v28
	v_fmac_f32_e32 v40, v160, v26
	ds_read2_b64 v[163:166], v112 offset0:79 offset1:80
	v_add_f32_e32 v39, v39, v40
	buffer_load_dword v40, off, s[0:3], 0 offset:256
	buffer_load_dword v47, off, s[0:3], 0 offset:260
	;; [unrolled: 1-line block ×8, first 2 shown]
	v_mul_f32_e32 v48, v161, v23
	v_fmac_f32_e32 v48, v162, v22
	v_add_f32_e32 v39, v39, v48
	s_waitcnt lgkmcnt(0)
	v_mul_f32_e32 v48, v163, v25
	v_fmac_f32_e32 v48, v164, v24
	v_add_f32_e32 v39, v39, v48
	buffer_load_dword v48, off, s[0:3], 0 offset:288
	buffer_load_dword v55, off, s[0:3], 0 offset:292
	ds_read2_b64 v[167:170], v112 offset0:81 offset1:82
	buffer_load_dword v57, off, s[0:3], 0 offset:296
	buffer_load_dword v58, off, s[0:3], 0 offset:300
	;; [unrolled: 1-line block ×6, first 2 shown]
	ds_read2_b64 v[171:174], v112 offset0:83 offset1:84
	buffer_load_dword v229, off, s[0:3], 0 offset:320
	buffer_load_dword v230, off, s[0:3], 0 offset:324
	s_waitcnt vmcnt(32)
	v_mul_f32_e32 v56, v165, v30
	v_fmac_f32_e32 v56, v166, v29
	v_add_f32_e32 v39, v39, v56
	s_waitcnt vmcnt(30) lgkmcnt(1)
	v_mul_f32_e32 v56, v167, v32
	v_fmac_f32_e32 v56, v168, v31
	v_add_f32_e32 v39, v39, v56
	buffer_load_dword v56, off, s[0:3], 0 offset:328
	buffer_load_dword v231, off, s[0:3], 0 offset:332
	;; [unrolled: 1-line block ×14, first 2 shown]
	s_waitcnt vmcnt(42)
	v_mul_f32_e32 v175, v169, v34
	v_fmac_f32_e32 v175, v170, v33
	v_add_f32_e32 v39, v39, v175
	s_waitcnt vmcnt(40) lgkmcnt(0)
	v_mul_f32_e32 v175, v171, v36
	v_fmac_f32_e32 v175, v172, v35
	v_add_f32_e32 v39, v39, v175
	ds_read2_b64 v[175:178], v112 offset0:85 offset1:86
	buffer_load_dword v244, off, s[0:3], 0 offset:384
	buffer_load_dword v245, off, s[0:3], 0 offset:388
	s_waitcnt vmcnt(40)
	v_mul_f32_e32 v179, v173, v38
	v_fmac_f32_e32 v179, v174, v37
	v_add_f32_e32 v39, v39, v179
	ds_read2_b64 v[179:182], v112 offset0:87 offset1:88
	buffer_load_dword v246, off, s[0:3], 0 offset:392
	buffer_load_dword v247, off, s[0:3], 0 offset:396
	;; [unrolled: 1-line block ×12, first 2 shown]
	s_waitcnt vmcnt(51) lgkmcnt(1)
	v_mul_f32_e32 v183, v175, v41
	s_waitcnt vmcnt(50)
	v_fmac_f32_e32 v183, v176, v42
	v_add_f32_e32 v39, v39, v183
	s_waitcnt vmcnt(48)
	v_mul_f32_e32 v183, v177, v44
	v_fmac_f32_e32 v183, v178, v43
	v_add_f32_e32 v39, v39, v183
	s_waitcnt vmcnt(46) lgkmcnt(0)
	v_mul_f32_e32 v183, v179, v46
	v_fmac_f32_e32 v183, v180, v45
	v_add_f32_e32 v39, v39, v183
	ds_read2_b64 v[183:186], v112 offset0:89 offset1:90
	s_waitcnt vmcnt(44)
	v_mul_f32_e32 v187, v181, v47
	v_fmac_f32_e32 v187, v182, v40
	v_add_f32_e32 v39, v39, v187
	ds_read2_b64 v[187:190], v112 offset0:91 offset1:92
	s_waitcnt vmcnt(42) lgkmcnt(1)
	v_mul_f32_e32 v191, v183, v50
	v_fmac_f32_e32 v191, v184, v49
	v_add_f32_e32 v39, v39, v191
	s_waitcnt vmcnt(41)
	v_mul_f32_e32 v191, v185, v51
	s_waitcnt vmcnt(38)
	v_fmac_f32_e32 v191, v186, v54
	v_add_f32_e32 v39, v39, v191
	s_waitcnt lgkmcnt(0)
	v_mul_f32_e32 v191, v187, v53
	v_fmac_f32_e32 v191, v188, v52
	v_add_f32_e32 v39, v39, v191
	ds_read2_b64 v[191:194], v112 offset0:93 offset1:94
	s_waitcnt vmcnt(36)
	v_mul_f32_e32 v195, v189, v55
	v_fmac_f32_e32 v195, v190, v48
	v_add_f32_e32 v39, v39, v195
	ds_read2_b64 v[195:198], v112 offset0:95 offset1:96
	s_waitcnt vmcnt(34) lgkmcnt(1)
	v_mul_f32_e32 v199, v191, v58
	v_fmac_f32_e32 v199, v192, v57
	v_add_f32_e32 v39, v39, v199
	s_waitcnt vmcnt(33)
	v_mul_f32_e32 v199, v193, v59
	s_waitcnt vmcnt(30)
	v_fmac_f32_e32 v199, v194, v228
	v_add_f32_e32 v39, v39, v199
	s_waitcnt lgkmcnt(0)
	;; [unrolled: 19-line block ×4, first 2 shown]
	v_mul_f32_e32 v215, v211, v242
	v_fmac_f32_e32 v215, v212, v241
	v_add_f32_e32 v39, v39, v215
	ds_read2_b64 v[215:218], v112 offset0:105 offset1:106
	s_waitcnt vmcnt(12)
	v_mul_f32_e32 v219, v213, v245
	v_fmac_f32_e32 v219, v214, v244
	v_add_f32_e32 v39, v39, v219
	ds_read2_b64 v[219:222], v112 offset0:107 offset1:108
	s_waitcnt vmcnt(10) lgkmcnt(1)
	v_mul_f32_e32 v223, v215, v247
	v_fmac_f32_e32 v223, v216, v246
	v_add_f32_e32 v39, v39, v223
	s_waitcnt vmcnt(9)
	v_mul_f32_e32 v223, v217, v248
	s_waitcnt vmcnt(6)
	v_fmac_f32_e32 v223, v218, v251
	v_add_f32_e32 v39, v39, v223
	ds_read2_b64 v[223:226], v112 offset0:109 offset1:110
	s_waitcnt lgkmcnt(1)
	v_mul_f32_e32 v63, v219, v250
	v_fmac_f32_e32 v63, v220, v249
	v_add_f32_e32 v39, v39, v63
	s_waitcnt vmcnt(4)
	v_mul_f32_e32 v63, v221, v253
	v_fmac_f32_e32 v63, v222, v252
	v_add_f32_e32 v39, v39, v63
	s_waitcnt vmcnt(3) lgkmcnt(0)
	v_mul_f32_e32 v63, v223, v254
	s_waitcnt vmcnt(0)
	v_fmac_f32_e32 v63, v224, v62
	v_add_f32_e32 v39, v39, v63
	v_mul_f32_e32 v63, v225, v61
	v_fmac_f32_e32 v63, v226, v255
	v_add_f32_e32 v39, v39, v63
	v_mul_f32_e32 v63, v128, v119
	v_fma_f32 v5, v127, v5, -v63
	v_mul_f32_e32 v63, v130, v118
	v_add_f32_e32 v5, 0, v5
	v_fma_f32 v4, v129, v4, -v63
	v_add_f32_e32 v4, v5, v4
	v_mul_f32_e32 v5, v132, v117
	v_fma_f32 v3, v131, v3, -v5
	v_add_f32_e32 v3, v4, v3
	v_mul_f32_e32 v4, v134, v116
	;; [unrolled: 3-line block ×48, first 2 shown]
	v_fma_f32 v4, v225, v255, -v4
	v_add_f32_e32 v3, v3, v4
	v_sub_f32_e32 v3, v120, v3
	v_sub_f32_e32 v4, v121, v39
	buffer_store_dword v3, off, s[0:3], 0 offset:32
	buffer_store_dword v4, off, s[0:3], 0 offset:36
	s_and_saveexec_b64 s[4:5], vcc
	s_cbranch_execz .LBB118_337
; %bb.336:
	buffer_load_dword v112, off, s[0:3], 0 offset:24
	buffer_load_dword v113, off, s[0:3], 0 offset:28
	v_mov_b32_e32 v3, 0
	buffer_store_dword v3, off, s[0:3], 0 offset:24
	buffer_store_dword v3, off, s[0:3], 0 offset:28
	s_waitcnt vmcnt(2)
	ds_write_b64 v111, v[112:113]
.LBB118_337:
	s_or_b64 exec, exec, s[4:5]
	s_waitcnt lgkmcnt(0)
	; wave barrier
	buffer_load_dword v121, off, s[0:3], 0 offset:36
	buffer_load_dword v120, off, s[0:3], 0 offset:44
	;; [unrolled: 1-line block ×50, first 2 shown]
	v_mov_b32_e32 v112, 0
	ds_read_b128 v[128:131], v112 offset:480
	ds_read_b128 v[132:135], v112 offset:496
	;; [unrolled: 1-line block ×7, first 2 shown]
	v_cmp_lt_u32_e32 vcc, 2, v0
	s_waitcnt vmcnt(49) lgkmcnt(6)
	v_mul_f32_e32 v38, v128, v121
	s_waitcnt vmcnt(48)
	v_mul_f32_e32 v39, v130, v120
	s_waitcnt vmcnt(47) lgkmcnt(5)
	v_mul_f32_e32 v40, v132, v117
	s_waitcnt vmcnt(46)
	v_mul_f32_e32 v41, v134, v116
	;; [unrolled: 4-line block ×6, first 2 shown]
	s_waitcnt vmcnt(37)
	v_fmac_f32_e32 v40, v133, v3
	s_waitcnt vmcnt(36)
	v_fmac_f32_e32 v39, v131, v4
	;; [unrolled: 2-line block ×3, first 2 shown]
	v_add_f32_e32 v38, 0, v38
	v_add_f32_e32 v38, v38, v39
	;; [unrolled: 1-line block ×3, first 2 shown]
	s_waitcnt vmcnt(31)
	v_fmac_f32_e32 v41, v135, v9
	v_fmac_f32_e32 v42, v137, v8
	v_add_f32_e32 v38, v38, v41
	v_fmac_f32_e32 v43, v139, v7
	v_add_f32_e32 v38, v38, v42
	;; [unrolled: 2-line block ×3, first 2 shown]
	s_waitcnt vmcnt(27)
	v_fmac_f32_e32 v45, v143, v12
	v_add_f32_e32 v38, v38, v44
	v_fmac_f32_e32 v46, v145, v11
	v_add_f32_e32 v38, v38, v45
	;; [unrolled: 2-line block ×4, first 2 shown]
	buffer_load_dword v39, off, s[0:3], 0 offset:224
	buffer_load_dword v40, off, s[0:3], 0 offset:228
	ds_read_b128 v[156:159], v112 offset:592
	v_add_f32_e32 v38, v38, v48
	s_waitcnt vmcnt(25)
	v_fmac_f32_e32 v49, v151, v16
	s_waitcnt vmcnt(24) lgkmcnt(1)
	v_mul_f32_e32 v41, v152, v17
	v_add_f32_e32 v38, v38, v49
	v_fmac_f32_e32 v41, v153, v15
	v_add_f32_e32 v38, v38, v41
	s_waitcnt vmcnt(23)
	v_mul_f32_e32 v41, v154, v18
	v_fmac_f32_e32 v41, v155, v14
	v_add_f32_e32 v38, v38, v41
	s_waitcnt vmcnt(22) lgkmcnt(0)
	v_mul_f32_e32 v41, v156, v19
	v_fmac_f32_e32 v41, v157, v13
	v_add_f32_e32 v38, v38, v41
	buffer_load_dword v41, off, s[0:3], 0 offset:236
	buffer_load_dword v42, off, s[0:3], 0 offset:232
	;; [unrolled: 1-line block ×4, first 2 shown]
	s_waitcnt vmcnt(25)
	v_mul_f32_e32 v45, v158, v20
	s_waitcnt vmcnt(18)
	v_fmac_f32_e32 v45, v159, v27
	ds_read_b128 v[160:163], v112 offset:608
	ds_read_b128 v[164:167], v112 offset:624
	v_add_f32_e32 v38, v38, v45
	buffer_load_dword v45, off, s[0:3], 0 offset:248
	buffer_load_dword v46, off, s[0:3], 0 offset:252
	;; [unrolled: 1-line block ×8, first 2 shown]
	s_waitcnt lgkmcnt(1)
	v_mul_f32_e32 v47, v160, v22
	v_fmac_f32_e32 v47, v161, v21
	v_add_f32_e32 v38, v38, v47
	v_mul_f32_e32 v47, v162, v24
	buffer_load_dword v54, off, s[0:3], 0 offset:280
	buffer_load_dword v55, off, s[0:3], 0 offset:284
	v_fmac_f32_e32 v47, v163, v23
	v_add_f32_e32 v38, v38, v47
	s_waitcnt lgkmcnt(0)
	v_mul_f32_e32 v47, v164, v26
	v_fmac_f32_e32 v47, v165, v25
	v_add_f32_e32 v38, v38, v47
	s_waitcnt vmcnt(24)
	v_mul_f32_e32 v47, v166, v29
	ds_read_b128 v[168:171], v112 offset:640
	v_fmac_f32_e32 v47, v167, v28
	v_add_f32_e32 v38, v38, v47
	buffer_load_dword v47, off, s[0:3], 0 offset:288
	buffer_load_dword v56, off, s[0:3], 0 offset:292
	buffer_load_dword v57, off, s[0:3], 0 offset:300
	buffer_load_dword v58, off, s[0:3], 0 offset:304
	buffer_load_dword v59, off, s[0:3], 0 offset:308
	buffer_load_dword v60, off, s[0:3], 0 offset:296
	ds_read_b128 v[172:175], v112 offset:656
	s_waitcnt vmcnt(28) lgkmcnt(1)
	v_mul_f32_e32 v61, v168, v31
	v_fmac_f32_e32 v61, v169, v30
	v_add_f32_e32 v38, v38, v61
	buffer_load_dword v61, off, s[0:3], 0 offset:312
	buffer_load_dword v62, off, s[0:3], 0 offset:316
	;; [unrolled: 1-line block ×8, first 2 shown]
	s_waitcnt vmcnt(34)
	v_mul_f32_e32 v63, v170, v33
	v_fmac_f32_e32 v63, v171, v32
	v_add_f32_e32 v38, v38, v63
	s_waitcnt vmcnt(32) lgkmcnt(0)
	v_mul_f32_e32 v63, v172, v35
	v_fmac_f32_e32 v63, v173, v34
	v_add_f32_e32 v38, v38, v63
	buffer_load_dword v63, off, s[0:3], 0 offset:344
	buffer_load_dword v235, off, s[0:3], 0 offset:348
	ds_read_b128 v[176:179], v112 offset:672
	buffer_load_dword v236, off, s[0:3], 0 offset:352
	buffer_load_dword v237, off, s[0:3], 0 offset:356
	;; [unrolled: 1-line block ×6, first 2 shown]
	s_waitcnt vmcnt(38)
	v_mul_f32_e32 v180, v174, v37
	v_fmac_f32_e32 v180, v175, v36
	v_add_f32_e32 v38, v38, v180
	ds_read_b128 v[180:183], v112 offset:688
	buffer_load_dword v242, off, s[0:3], 0 offset:376
	buffer_load_dword v243, off, s[0:3], 0 offset:380
	;; [unrolled: 1-line block ×16, first 2 shown]
	s_waitcnt vmcnt(52) lgkmcnt(1)
	v_mul_f32_e32 v184, v176, v40
	v_fmac_f32_e32 v184, v177, v39
	v_add_f32_e32 v38, v38, v184
	s_waitcnt vmcnt(51)
	v_mul_f32_e32 v184, v178, v41
	s_waitcnt vmcnt(50)
	v_fmac_f32_e32 v184, v179, v42
	v_add_f32_e32 v38, v38, v184
	s_waitcnt vmcnt(48) lgkmcnt(0)
	v_mul_f32_e32 v184, v180, v44
	v_fmac_f32_e32 v184, v181, v43
	v_add_f32_e32 v38, v38, v184
	ds_read_b128 v[184:187], v112 offset:704
	s_waitcnt vmcnt(46)
	v_mul_f32_e32 v188, v182, v46
	v_fmac_f32_e32 v188, v183, v45
	v_add_f32_e32 v38, v38, v188
	ds_read_b128 v[188:191], v112 offset:720
	s_waitcnt vmcnt(44) lgkmcnt(1)
	v_mul_f32_e32 v192, v184, v49
	v_fmac_f32_e32 v192, v185, v48
	v_add_f32_e32 v38, v38, v192
	s_waitcnt vmcnt(43)
	v_mul_f32_e32 v192, v186, v50
	s_waitcnt vmcnt(40)
	v_fmac_f32_e32 v192, v187, v53
	v_add_f32_e32 v38, v38, v192
	s_waitcnt lgkmcnt(0)
	v_mul_f32_e32 v192, v188, v52
	v_fmac_f32_e32 v192, v189, v51
	v_add_f32_e32 v38, v38, v192
	ds_read_b128 v[192:195], v112 offset:736
	s_waitcnt vmcnt(38)
	v_mul_f32_e32 v196, v190, v55
	v_fmac_f32_e32 v196, v191, v54
	v_add_f32_e32 v38, v38, v196
	ds_read_b128 v[196:199], v112 offset:752
	s_waitcnt vmcnt(36) lgkmcnt(1)
	v_mul_f32_e32 v200, v192, v56
	v_fmac_f32_e32 v200, v193, v47
	v_add_f32_e32 v38, v38, v200
	s_waitcnt vmcnt(35)
	v_mul_f32_e32 v200, v194, v57
	s_waitcnt vmcnt(32)
	v_fmac_f32_e32 v200, v195, v60
	v_add_f32_e32 v38, v38, v200
	s_waitcnt lgkmcnt(0)
	;; [unrolled: 19-line block ×5, first 2 shown]
	v_mul_f32_e32 v224, v220, v248
	v_fmac_f32_e32 v224, v221, v247
	v_add_f32_e32 v38, v38, v224
	ds_read_b128 v[224:227], v112 offset:864
	s_waitcnt vmcnt(6)
	v_mul_f32_e32 v228, v222, v251
	v_fmac_f32_e32 v228, v223, v250
	v_add_f32_e32 v38, v38, v228
	ds_read_b64 v[228:229], v112 offset:880
	s_waitcnt vmcnt(4) lgkmcnt(1)
	v_mul_f32_e32 v67, v224, v253
	v_fmac_f32_e32 v67, v225, v252
	v_add_f32_e32 v38, v38, v67
	s_waitcnt vmcnt(3)
	v_mul_f32_e32 v67, v226, v254
	s_waitcnt vmcnt(0)
	v_fmac_f32_e32 v67, v227, v66
	v_add_f32_e32 v38, v38, v67
	s_waitcnt lgkmcnt(0)
	v_mul_f32_e32 v67, v228, v65
	v_fmac_f32_e32 v67, v229, v255
	v_add_f32_e32 v38, v38, v67
	v_mul_f32_e32 v67, v129, v121
	v_fma_f32 v5, v128, v5, -v67
	v_mul_f32_e32 v67, v131, v120
	v_add_f32_e32 v5, 0, v5
	v_fma_f32 v4, v130, v4, -v67
	v_add_f32_e32 v4, v5, v4
	v_mul_f32_e32 v5, v133, v117
	v_fma_f32 v3, v132, v3, -v5
	v_add_f32_e32 v3, v4, v3
	v_mul_f32_e32 v4, v135, v116
	;; [unrolled: 3-line block ×49, first 2 shown]
	v_fma_f32 v4, v228, v255, -v4
	v_add_f32_e32 v3, v3, v4
	v_sub_f32_e32 v3, v118, v3
	v_sub_f32_e32 v4, v119, v38
	buffer_store_dword v3, off, s[0:3], 0 offset:24
	buffer_store_dword v4, off, s[0:3], 0 offset:28
	s_and_saveexec_b64 s[4:5], vcc
	s_cbranch_execz .LBB118_339
; %bb.338:
	buffer_load_dword v113, off, s[0:3], 0 offset:16
	buffer_load_dword v114, off, s[0:3], 0 offset:20
	s_waitcnt vmcnt(0)
	ds_write_b64 v111, v[113:114]
	buffer_store_dword v112, off, s[0:3], 0 offset:16
	buffer_store_dword v112, off, s[0:3], 0 offset:20
.LBB118_339:
	s_or_b64 exec, exec, s[4:5]
	s_waitcnt lgkmcnt(0)
	; wave barrier
	buffer_load_dword v121, off, s[0:3], 0 offset:28
	buffer_load_dword v118, off, s[0:3], 0 offset:36
	;; [unrolled: 1-line block ×40, first 2 shown]
	ds_read2_b64 v[136:139], v112 offset0:59 offset1:60
	ds_read2_b64 v[140:143], v112 offset0:61 offset1:62
	;; [unrolled: 1-line block ×6, first 2 shown]
	buffer_load_dword v20, off, s[0:3], 0 offset:176
	buffer_load_dword v21, off, s[0:3], 0 offset:180
	;; [unrolled: 1-line block ×12, first 2 shown]
	ds_read2_b64 v[160:163], v112 offset0:71 offset1:72
	ds_read2_b64 v[164:167], v112 offset0:73 offset1:74
	v_cmp_lt_u32_e32 vcc, 1, v0
	s_waitcnt vmcnt(51) lgkmcnt(7)
	v_mul_f32_e32 v32, v136, v121
	s_waitcnt vmcnt(50)
	v_mul_f32_e32 v33, v138, v118
	s_waitcnt vmcnt(49) lgkmcnt(6)
	v_mul_f32_e32 v34, v140, v117
	s_waitcnt vmcnt(48)
	v_mul_f32_e32 v35, v142, v116
	;; [unrolled: 4-line block ×5, first 2 shown]
	s_waitcnt vmcnt(41) lgkmcnt(2)
	v_mul_f32_e32 v42, v156, v125
	s_waitcnt vmcnt(40)
	v_fmac_f32_e32 v34, v141, v132
	s_waitcnt vmcnt(39)
	v_fmac_f32_e32 v33, v139, v135
	;; [unrolled: 2-line block ×3, first 2 shown]
	v_add_f32_e32 v32, 0, v32
	v_add_f32_e32 v32, v32, v33
	;; [unrolled: 1-line block ×3, first 2 shown]
	s_waitcnt vmcnt(34)
	v_fmac_f32_e32 v35, v143, v4
	v_fmac_f32_e32 v36, v145, v134
	v_add_f32_e32 v32, v32, v35
	v_fmac_f32_e32 v37, v147, v131
	v_add_f32_e32 v32, v32, v36
	buffer_load_dword v34, off, s[0:3], 0 offset:224
	buffer_load_dword v35, off, s[0:3], 0 offset:228
	v_fmac_f32_e32 v38, v149, v128
	v_add_f32_e32 v32, v32, v37
	s_waitcnt vmcnt(32)
	v_fmac_f32_e32 v39, v151, v133
	v_add_f32_e32 v32, v32, v38
	buffer_load_dword v36, off, s[0:3], 0 offset:232
	buffer_load_dword v37, off, s[0:3], 0 offset:236
	v_add_f32_e32 v32, v32, v39
	ds_read2_b64 v[168:171], v112 offset0:75 offset1:76
	buffer_load_dword v38, off, s[0:3], 0 offset:240
	buffer_load_dword v39, off, s[0:3], 0 offset:244
	v_fmac_f32_e32 v40, v153, v130
	v_fmac_f32_e32 v41, v155, v127
	v_add_f32_e32 v32, v32, v40
	v_fmac_f32_e32 v42, v157, v126
	v_add_f32_e32 v32, v32, v41
	s_waitcnt vmcnt(35)
	v_mul_f32_e32 v33, v158, v129
	v_add_f32_e32 v32, v32, v42
	s_waitcnt vmcnt(31)
	v_fmac_f32_e32 v33, v159, v8
	v_add_f32_e32 v32, v32, v33
	s_waitcnt vmcnt(30) lgkmcnt(2)
	v_mul_f32_e32 v33, v160, v9
	v_fmac_f32_e32 v33, v161, v7
	v_add_f32_e32 v32, v32, v33
	s_waitcnt vmcnt(29)
	v_mul_f32_e32 v33, v162, v10
	v_fmac_f32_e32 v33, v163, v6
	v_add_f32_e32 v32, v32, v33
	s_waitcnt vmcnt(28) lgkmcnt(1)
	v_mul_f32_e32 v33, v164, v11
	v_fmac_f32_e32 v33, v165, v5
	v_add_f32_e32 v32, v32, v33
	s_waitcnt vmcnt(27)
	v_mul_f32_e32 v33, v166, v12
	s_waitcnt vmcnt(21)
	v_fmac_f32_e32 v33, v167, v18
	ds_read2_b64 v[172:175], v112 offset0:77 offset1:78
	v_add_f32_e32 v32, v32, v33
	s_waitcnt vmcnt(20) lgkmcnt(1)
	v_mul_f32_e32 v33, v168, v19
	v_fmac_f32_e32 v33, v169, v17
	v_add_f32_e32 v32, v32, v33
	v_mul_f32_e32 v33, v170, v14
	v_fmac_f32_e32 v33, v171, v13
	v_add_f32_e32 v32, v32, v33
	s_waitcnt lgkmcnt(0)
	v_mul_f32_e32 v33, v172, v16
	v_fmac_f32_e32 v33, v173, v15
	v_add_f32_e32 v32, v32, v33
	buffer_load_dword v33, off, s[0:3], 0 offset:248
	buffer_load_dword v40, off, s[0:3], 0 offset:252
	;; [unrolled: 1-line block ×6, first 2 shown]
	s_waitcnt vmcnt(22)
	v_mul_f32_e32 v45, v174, v21
	v_fmac_f32_e32 v45, v175, v20
	ds_read2_b64 v[176:179], v112 offset0:79 offset1:80
	v_add_f32_e32 v32, v32, v45
	buffer_load_dword v45, off, s[0:3], 0 offset:272
	buffer_load_dword v46, off, s[0:3], 0 offset:276
	ds_read2_b64 v[180:183], v112 offset0:81 offset1:82
	buffer_load_dword v48, off, s[0:3], 0 offset:280
	buffer_load_dword v49, off, s[0:3], 0 offset:284
	;; [unrolled: 1-line block ×14, first 2 shown]
	s_waitcnt vmcnt(36) lgkmcnt(1)
	v_mul_f32_e32 v47, v176, v23
	v_fmac_f32_e32 v47, v177, v22
	v_add_f32_e32 v32, v32, v47
	s_waitcnt vmcnt(34)
	v_mul_f32_e32 v47, v178, v25
	buffer_load_dword v62, off, s[0:3], 0 offset:336
	buffer_load_dword v63, off, s[0:3], 0 offset:340
	v_fmac_f32_e32 v47, v179, v24
	v_add_f32_e32 v32, v32, v47
	s_waitcnt vmcnt(34) lgkmcnt(0)
	v_mul_f32_e32 v47, v180, v27
	v_fmac_f32_e32 v47, v181, v26
	v_add_f32_e32 v32, v32, v47
	s_waitcnt vmcnt(32)
	v_mul_f32_e32 v47, v182, v29
	v_fmac_f32_e32 v47, v183, v28
	ds_read2_b64 v[184:187], v112 offset0:83 offset1:84
	v_add_f32_e32 v32, v32, v47
	buffer_load_dword v47, off, s[0:3], 0 offset:344
	buffer_load_dword v64, off, s[0:3], 0 offset:348
	;; [unrolled: 1-line block ×6, first 2 shown]
	ds_read2_b64 v[188:191], v112 offset0:85 offset1:86
	buffer_load_dword v240, off, s[0:3], 0 offset:368
	buffer_load_dword v241, off, s[0:3], 0 offset:372
	;; [unrolled: 1-line block ×10, first 2 shown]
	s_waitcnt vmcnt(46) lgkmcnt(1)
	v_mul_f32_e32 v192, v184, v31
	v_fmac_f32_e32 v192, v185, v30
	v_add_f32_e32 v32, v32, v192
	buffer_load_dword v250, off, s[0:3], 0 offset:408
	buffer_load_dword v251, off, s[0:3], 0 offset:412
	;; [unrolled: 1-line block ×6, first 2 shown]
	s_waitcnt vmcnt(50)
	v_mul_f32_e32 v192, v186, v35
	v_fmac_f32_e32 v192, v187, v34
	v_add_f32_e32 v32, v32, v192
	s_waitcnt vmcnt(48) lgkmcnt(0)
	v_mul_f32_e32 v192, v188, v37
	v_fmac_f32_e32 v192, v189, v36
	v_add_f32_e32 v32, v32, v192
	s_waitcnt vmcnt(46)
	v_mul_f32_e32 v196, v190, v39
	v_fmac_f32_e32 v196, v191, v38
	ds_read2_b64 v[192:195], v112 offset0:87 offset1:88
	v_add_f32_e32 v32, v32, v196
	ds_read2_b64 v[196:199], v112 offset0:89 offset1:90
	buffer_load_dword v69, off, s[0:3], 0 offset:432
	buffer_load_dword v70, off, s[0:3], 0 offset:436
	s_waitcnt vmcnt(46) lgkmcnt(1)
	v_mul_f32_e32 v200, v192, v40
	v_fmac_f32_e32 v200, v193, v33
	v_add_f32_e32 v32, v32, v200
	s_waitcnt vmcnt(45)
	v_mul_f32_e32 v200, v194, v41
	s_waitcnt vmcnt(42)
	v_fmac_f32_e32 v200, v195, v44
	v_add_f32_e32 v32, v32, v200
	s_waitcnt lgkmcnt(0)
	v_mul_f32_e32 v200, v196, v43
	v_fmac_f32_e32 v200, v197, v42
	v_add_f32_e32 v32, v32, v200
	ds_read2_b64 v[200:203], v112 offset0:91 offset1:92
	s_waitcnt vmcnt(40)
	v_mul_f32_e32 v204, v198, v46
	v_fmac_f32_e32 v204, v199, v45
	v_add_f32_e32 v32, v32, v204
	ds_read2_b64 v[204:207], v112 offset0:93 offset1:94
	s_waitcnt vmcnt(38) lgkmcnt(1)
	v_mul_f32_e32 v208, v200, v49
	v_fmac_f32_e32 v208, v201, v48
	v_add_f32_e32 v32, v32, v208
	s_waitcnt vmcnt(37)
	v_mul_f32_e32 v208, v202, v50
	s_waitcnt vmcnt(34)
	v_fmac_f32_e32 v208, v203, v53
	v_add_f32_e32 v32, v32, v208
	s_waitcnt lgkmcnt(0)
	v_mul_f32_e32 v208, v204, v52
	v_fmac_f32_e32 v208, v205, v51
	v_add_f32_e32 v32, v32, v208
	ds_read2_b64 v[208:211], v112 offset0:95 offset1:96
	s_waitcnt vmcnt(32)
	v_mul_f32_e32 v212, v206, v55
	v_fmac_f32_e32 v212, v207, v54
	v_add_f32_e32 v32, v32, v212
	ds_read2_b64 v[212:215], v112 offset0:97 offset1:98
	;; [unrolled: 19-line block ×5, first 2 shown]
	s_waitcnt vmcnt(6) lgkmcnt(1)
	v_mul_f32_e32 v112, v232, v251
	v_fmac_f32_e32 v112, v233, v250
	v_add_f32_e32 v32, v32, v112
	s_waitcnt vmcnt(5)
	v_mul_f32_e32 v112, v234, v252
	s_waitcnt vmcnt(2)
	v_fmac_f32_e32 v112, v235, v255
	v_add_f32_e32 v32, v32, v112
	s_waitcnt lgkmcnt(0)
	v_mul_f32_e32 v112, v236, v254
	v_fmac_f32_e32 v112, v237, v253
	v_add_f32_e32 v32, v32, v112
	s_waitcnt vmcnt(0)
	v_mul_f32_e32 v112, v238, v70
	v_fmac_f32_e32 v112, v239, v69
	v_add_f32_e32 v32, v32, v112
	v_mul_f32_e32 v112, v137, v121
	v_fma_f32 v3, v136, v3, -v112
	v_mul_f32_e32 v112, v139, v118
	v_add_f32_e32 v3, 0, v3
	v_fma_f32 v112, v138, v135, -v112
	v_add_f32_e32 v3, v3, v112
	v_mul_f32_e32 v112, v141, v117
	v_fma_f32 v112, v140, v132, -v112
	v_add_f32_e32 v3, v3, v112
	v_mul_f32_e32 v112, v143, v116
	;; [unrolled: 3-line block ×50, first 2 shown]
	v_fma_f32 v4, v238, v69, -v4
	v_add_f32_e32 v3, v3, v4
	v_sub_f32_e32 v3, v119, v3
	v_sub_f32_e32 v4, v120, v32
	buffer_store_dword v3, off, s[0:3], 0 offset:16
	buffer_store_dword v4, off, s[0:3], 0 offset:20
	s_and_saveexec_b64 s[4:5], vcc
	s_cbranch_execz .LBB118_341
; %bb.340:
	buffer_load_dword v112, off, s[0:3], 0 offset:8
	buffer_load_dword v113, off, s[0:3], 0 offset:12
	v_mov_b32_e32 v3, 0
	buffer_store_dword v3, off, s[0:3], 0 offset:8
	buffer_store_dword v3, off, s[0:3], 0 offset:12
	s_waitcnt vmcnt(2)
	ds_write_b64 v111, v[112:113]
.LBB118_341:
	s_or_b64 exec, exec, s[4:5]
	s_waitcnt lgkmcnt(0)
	; wave barrier
	buffer_load_dword v121, off, s[0:3], 0 offset:20
	buffer_load_dword v120, off, s[0:3], 0 offset:28
	;; [unrolled: 1-line block ×51, first 2 shown]
	v_mov_b32_e32 v112, 0
	ds_read_b128 v[149:152], v112 offset:464
	ds_read_b128 v[153:156], v112 offset:480
	;; [unrolled: 1-line block ×8, first 2 shown]
	v_cmp_ne_u32_e32 vcc, 0, v0
	s_waitcnt vmcnt(50) lgkmcnt(7)
	v_mul_f32_e32 v18, v149, v121
	s_waitcnt vmcnt(49)
	v_mul_f32_e32 v19, v151, v120
	s_waitcnt vmcnt(48) lgkmcnt(6)
	v_mul_f32_e32 v20, v153, v119
	s_waitcnt vmcnt(47)
	v_mul_f32_e32 v21, v155, v118
	;; [unrolled: 4-line block ×5, first 2 shown]
	s_waitcnt vmcnt(40) lgkmcnt(2)
	v_mul_f32_e32 v28, v169, v125
	s_waitcnt vmcnt(39)
	v_fmac_f32_e32 v20, v154, v132
	s_waitcnt vmcnt(38)
	v_fmac_f32_e32 v19, v152, v135
	;; [unrolled: 2-line block ×3, first 2 shown]
	v_add_f32_e32 v18, 0, v18
	v_add_f32_e32 v18, v18, v19
	;; [unrolled: 1-line block ×3, first 2 shown]
	s_waitcnt vmcnt(33)
	v_fmac_f32_e32 v21, v156, v136
	v_fmac_f32_e32 v22, v158, v134
	v_add_f32_e32 v18, v18, v21
	v_fmac_f32_e32 v23, v160, v131
	v_add_f32_e32 v18, v18, v22
	;; [unrolled: 2-line block ×3, first 2 shown]
	s_waitcnt vmcnt(29)
	v_fmac_f32_e32 v25, v164, v133
	v_add_f32_e32 v18, v18, v24
	v_fmac_f32_e32 v26, v166, v130
	v_add_f32_e32 v18, v18, v25
	;; [unrolled: 2-line block ×4, first 2 shown]
	s_waitcnt vmcnt(28)
	v_mul_f32_e32 v19, v171, v129
	v_add_f32_e32 v18, v18, v28
	s_waitcnt vmcnt(24)
	v_fmac_f32_e32 v19, v172, v144
	s_waitcnt vmcnt(23) lgkmcnt(1)
	v_mul_f32_e32 v22, v173, v143
	v_add_f32_e32 v18, v18, v19
	buffer_load_dword v19, off, s[0:3], 0 offset:208
	buffer_load_dword v20, off, s[0:3], 0 offset:216
	;; [unrolled: 1-line block ×3, first 2 shown]
	v_fmac_f32_e32 v22, v174, v141
	s_waitcnt vmcnt(25)
	v_mul_f32_e32 v24, v175, v142
	v_add_f32_e32 v18, v18, v22
	v_fmac_f32_e32 v24, v176, v139
	buffer_load_dword v22, off, s[0:3], 0 offset:224
	buffer_load_dword v23, off, s[0:3], 0 offset:228
	v_add_f32_e32 v18, v18, v24
	s_waitcnt vmcnt(26) lgkmcnt(0)
	v_mul_f32_e32 v24, v177, v140
	v_fmac_f32_e32 v24, v178, v138
	v_add_f32_e32 v18, v18, v24
	ds_read_b128 v[181:184], v112 offset:592
	buffer_load_dword v24, off, s[0:3], 0 offset:232
	buffer_load_dword v25, off, s[0:3], 0 offset:236
	s_waitcnt vmcnt(27)
	v_mul_f32_e32 v26, v179, v145
	s_waitcnt vmcnt(20)
	v_fmac_f32_e32 v26, v180, v6
	v_add_f32_e32 v18, v18, v26
	s_waitcnt lgkmcnt(0)
	v_mul_f32_e32 v26, v181, v147
	v_fmac_f32_e32 v26, v182, v146
	ds_read_b128 v[185:188], v112 offset:608
	v_add_f32_e32 v18, v18, v26
	buffer_load_dword v26, off, s[0:3], 0 offset:240
	buffer_load_dword v27, off, s[0:3], 0 offset:244
	ds_read_b128 v[189:192], v112 offset:624
	buffer_load_dword v29, off, s[0:3], 0 offset:252
	buffer_load_dword v30, off, s[0:3], 0 offset:256
	;; [unrolled: 1-line block ×4, first 2 shown]
	v_mul_f32_e32 v28, v183, v3
	v_fmac_f32_e32 v28, v184, v148
	v_add_f32_e32 v18, v18, v28
	s_waitcnt lgkmcnt(1)
	v_mul_f32_e32 v28, v185, v5
	ds_read_b128 v[193:196], v112 offset:640
	buffer_load_dword v33, off, s[0:3], 0 offset:264
	buffer_load_dword v34, off, s[0:3], 0 offset:268
	v_fmac_f32_e32 v28, v186, v4
	v_add_f32_e32 v18, v18, v28
	s_waitcnt vmcnt(24)
	v_mul_f32_e32 v28, v187, v8
	v_fmac_f32_e32 v28, v188, v7
	v_add_f32_e32 v18, v18, v28
	s_waitcnt vmcnt(22) lgkmcnt(1)
	v_mul_f32_e32 v28, v189, v10
	v_fmac_f32_e32 v28, v190, v9
	v_add_f32_e32 v18, v18, v28
	buffer_load_dword v28, off, s[0:3], 0 offset:272
	buffer_load_dword v35, off, s[0:3], 0 offset:276
	buffer_load_dword v36, off, s[0:3], 0 offset:284
	buffer_load_dword v37, off, s[0:3], 0 offset:288
	buffer_load_dword v38, off, s[0:3], 0 offset:292
	buffer_load_dword v39, off, s[0:3], 0 offset:280
	buffer_load_dword v41, off, s[0:3], 0 offset:296
	buffer_load_dword v42, off, s[0:3], 0 offset:300
	s_waitcnt vmcnt(28)
	v_mul_f32_e32 v40, v191, v12
	v_fmac_f32_e32 v40, v192, v11
	v_add_f32_e32 v18, v18, v40
	s_waitcnt vmcnt(26) lgkmcnt(0)
	v_mul_f32_e32 v40, v193, v14
	v_fmac_f32_e32 v40, v194, v13
	v_add_f32_e32 v18, v18, v40
	buffer_load_dword v40, off, s[0:3], 0 offset:304
	buffer_load_dword v43, off, s[0:3], 0 offset:308
	;; [unrolled: 1-line block ×6, first 2 shown]
	s_waitcnt vmcnt(30)
	v_mul_f32_e32 v48, v195, v16
	v_fmac_f32_e32 v48, v196, v15
	ds_read_b128 v[197:200], v112 offset:656
	v_add_f32_e32 v18, v18, v48
	buffer_load_dword v48, off, s[0:3], 0 offset:328
	buffer_load_dword v49, off, s[0:3], 0 offset:332
	ds_read_b128 v[201:204], v112 offset:672
	buffer_load_dword v51, off, s[0:3], 0 offset:336
	buffer_load_dword v52, off, s[0:3], 0 offset:340
	;; [unrolled: 1-line block ×14, first 2 shown]
	s_waitcnt vmcnt(45) lgkmcnt(1)
	v_mul_f32_e32 v50, v197, v17
	buffer_load_dword v65, off, s[0:3], 0 offset:392
	buffer_load_dword v66, off, s[0:3], 0 offset:396
	ds_read_b128 v[205:208], v112 offset:688
	v_mul_f32_e32 v76, v152, v120
	v_fma_f32 v76, v151, v135, -v76
	v_mul_f32_e32 v3, v184, v3
	v_fma_f32 v3, v183, v148, -v3
	;; [unrolled: 2-line block ×3, first 2 shown]
	s_waitcnt vmcnt(46)
	v_fmac_f32_e32 v50, v198, v19
	v_add_f32_e32 v18, v18, v50
	s_waitcnt vmcnt(44)
	v_mul_f32_e32 v50, v199, v21
	v_fmac_f32_e32 v50, v200, v20
	v_add_f32_e32 v18, v18, v50
	s_waitcnt vmcnt(42) lgkmcnt(1)
	v_mul_f32_e32 v50, v201, v23
	v_fmac_f32_e32 v50, v202, v22
	v_add_f32_e32 v18, v18, v50
	s_waitcnt vmcnt(40)
	v_mul_f32_e32 v50, v203, v25
	v_fmac_f32_e32 v50, v204, v24
	v_add_f32_e32 v18, v18, v50
	buffer_load_dword v50, off, s[0:3], 0 offset:400
	buffer_load_dword v67, off, s[0:3], 0 offset:404
	;; [unrolled: 1-line block ×6, first 2 shown]
	ds_read_b128 v[209:212], v112 offset:704
	buffer_load_dword v71, off, s[0:3], 0 offset:428
	buffer_load_dword v72, off, s[0:3], 0 offset:432
	;; [unrolled: 1-line block ×4, first 2 shown]
	s_waitcnt vmcnt(48) lgkmcnt(1)
	v_mul_f32_e32 v213, v205, v27
	v_fmac_f32_e32 v213, v206, v26
	v_add_f32_e32 v18, v18, v213
	s_waitcnt vmcnt(47)
	v_mul_f32_e32 v213, v207, v29
	s_waitcnt vmcnt(44)
	v_fmac_f32_e32 v213, v208, v32
	v_add_f32_e32 v18, v18, v213
	s_waitcnt lgkmcnt(0)
	v_mul_f32_e32 v213, v209, v31
	v_fmac_f32_e32 v213, v210, v30
	v_add_f32_e32 v18, v18, v213
	ds_read_b128 v[213:216], v112 offset:720
	s_waitcnt vmcnt(42)
	v_mul_f32_e32 v217, v211, v34
	v_fmac_f32_e32 v217, v212, v33
	v_add_f32_e32 v18, v18, v217
	ds_read_b128 v[217:220], v112 offset:736
	s_waitcnt vmcnt(40) lgkmcnt(1)
	v_mul_f32_e32 v221, v213, v35
	v_fmac_f32_e32 v221, v214, v28
	v_add_f32_e32 v18, v18, v221
	s_waitcnt vmcnt(39)
	v_mul_f32_e32 v221, v215, v36
	s_waitcnt vmcnt(36)
	v_fmac_f32_e32 v221, v216, v39
	v_add_f32_e32 v18, v18, v221
	s_waitcnt lgkmcnt(0)
	v_mul_f32_e32 v221, v217, v38
	v_fmac_f32_e32 v221, v218, v37
	v_add_f32_e32 v18, v18, v221
	ds_read_b128 v[221:224], v112 offset:752
	s_waitcnt vmcnt(34)
	v_mul_f32_e32 v225, v219, v42
	v_fmac_f32_e32 v225, v220, v41
	v_add_f32_e32 v18, v18, v225
	ds_read_b128 v[225:228], v112 offset:768
	;; [unrolled: 19-line block ×5, first 2 shown]
	s_waitcnt vmcnt(8) lgkmcnt(1)
	v_mul_f32_e32 v253, v245, v67
	v_fmac_f32_e32 v253, v246, v50
	v_add_f32_e32 v18, v18, v253
	s_waitcnt vmcnt(7)
	v_mul_f32_e32 v253, v247, v68
	s_waitcnt vmcnt(4)
	v_fmac_f32_e32 v253, v248, v255
	v_add_f32_e32 v18, v18, v253
	ds_read_b64 v[253:254], v112 offset:880
	s_waitcnt lgkmcnt(1)
	v_mul_f32_e32 v75, v249, v70
	v_fmac_f32_e32 v75, v250, v69
	v_add_f32_e32 v18, v18, v75
	s_waitcnt vmcnt(3)
	v_mul_f32_e32 v75, v251, v71
	s_waitcnt vmcnt(0)
	v_fmac_f32_e32 v75, v252, v74
	v_add_f32_e32 v18, v18, v75
	s_waitcnt lgkmcnt(0)
	v_mul_f32_e32 v75, v253, v73
	v_fmac_f32_e32 v75, v254, v72
	v_add_f32_e32 v18, v18, v75
	v_mul_f32_e32 v75, v150, v121
	v_fma_f32 v75, v149, v137, -v75
	v_add_f32_e32 v75, 0, v75
	v_add_f32_e32 v75, v75, v76
	v_mul_f32_e32 v76, v154, v119
	v_fma_f32 v76, v153, v132, -v76
	v_add_f32_e32 v75, v75, v76
	v_mul_f32_e32 v76, v156, v118
	v_fma_f32 v76, v155, v136, -v76
	;; [unrolled: 3-line block ×15, first 2 shown]
	v_add_f32_e32 v6, v6, v75
	v_add_f32_e32 v3, v6, v3
	v_add_f32_e32 v3, v3, v4
	v_mul_f32_e32 v4, v188, v8
	v_fma_f32 v4, v187, v7, -v4
	v_add_f32_e32 v3, v3, v4
	v_mul_f32_e32 v4, v190, v10
	v_fma_f32 v4, v189, v9, -v4
	v_add_f32_e32 v3, v3, v4
	;; [unrolled: 3-line block ×34, first 2 shown]
	v_sub_f32_e32 v3, v113, v3
	v_sub_f32_e32 v4, v114, v18
	buffer_store_dword v3, off, s[0:3], 0 offset:8
	buffer_store_dword v4, off, s[0:3], 0 offset:12
	s_and_saveexec_b64 s[4:5], vcc
	s_cbranch_execz .LBB118_343
; %bb.342:
	buffer_load_dword v113, off, s[0:3], 0
	buffer_load_dword v114, off, s[0:3], 0 offset:4
	s_waitcnt vmcnt(0)
	ds_write_b64 v111, v[113:114]
	buffer_store_dword v112, off, s[0:3], 0
	buffer_store_dword v112, off, s[0:3], 0 offset:4
.LBB118_343:
	s_or_b64 exec, exec, s[4:5]
	s_waitcnt lgkmcnt(0)
	; wave barrier
	buffer_load_dword v119, off, s[0:3], 0 offset:12
	buffer_load_dword v118, off, s[0:3], 0 offset:20
	buffer_load_dword v117, off, s[0:3], 0 offset:28
	buffer_load_dword v116, off, s[0:3], 0 offset:36
	buffer_load_dword v115, off, s[0:3], 0 offset:44
	buffer_load_dword v111, off, s[0:3], 0 offset:52
	buffer_load_dword v0, off, s[0:3], 0 offset:60
	buffer_load_dword v120, off, s[0:3], 0 offset:68
	buffer_load_dword v121, off, s[0:3], 0 offset:76
	buffer_load_dword v122, off, s[0:3], 0 offset:84
	buffer_load_dword v123, off, s[0:3], 0 offset:92
	buffer_load_dword v130, off, s[0:3], 0 offset:24
	buffer_load_dword v133, off, s[0:3], 0 offset:16
	buffer_load_dword v135, off, s[0:3], 0 offset:8
	buffer_load_dword v126, off, s[0:3], 0 offset:56
	buffer_load_dword v129, off, s[0:3], 0 offset:48
	buffer_load_dword v132, off, s[0:3], 0 offset:40
	buffer_load_dword v134, off, s[0:3], 0 offset:32
	buffer_load_dword v124, off, s[0:3], 0 offset:88
	buffer_load_dword v125, off, s[0:3], 0 offset:80
	buffer_load_dword v128, off, s[0:3], 0 offset:72
	buffer_load_dword v131, off, s[0:3], 0 offset:64
	buffer_load_dword v127, off, s[0:3], 0 offset:100
	buffer_load_dword v136, off, s[0:3], 0 offset:120
	buffer_load_dword v137, off, s[0:3], 0 offset:112
	buffer_load_dword v139, off, s[0:3], 0 offset:104
	buffer_load_dword v142, off, s[0:3], 0 offset:96
	buffer_load_dword v141, off, s[0:3], 0 offset:108
	buffer_load_dword v140, off, s[0:3], 0 offset:116
	buffer_load_dword v138, off, s[0:3], 0 offset:124
	buffer_load_dword v143, off, s[0:3], 0 offset:132
	buffer_load_dword v3, off, s[0:3], 0 offset:144
	buffer_load_dword v4, off, s[0:3], 0 offset:148
	buffer_load_dword v5, off, s[0:3], 0 offset:152
	buffer_load_dword v6, off, s[0:3], 0 offset:156
	buffer_load_dword v7, off, s[0:3], 0 offset:136
	buffer_load_dword v8, off, s[0:3], 0 offset:128
	buffer_load_dword v9, off, s[0:3], 0 offset:140
	buffer_load_dword v113, off, s[0:3], 0
	buffer_load_dword v114, off, s[0:3], 0 offset:4
	ds_read2_b64 v[144:147], v112 offset0:57 offset1:58
	ds_read2_b64 v[148:151], v112 offset0:59 offset1:60
	ds_read2_b64 v[152:155], v112 offset0:61 offset1:62
	ds_read2_b64 v[156:159], v112 offset0:63 offset1:64
	ds_read2_b64 v[160:163], v112 offset0:65 offset1:66
	ds_read2_b64 v[164:167], v112 offset0:67 offset1:68
	buffer_load_dword v10, off, s[0:3], 0 offset:160
	buffer_load_dword v11, off, s[0:3], 0 offset:164
	;; [unrolled: 1-line block ×12, first 2 shown]
	ds_read2_b64 v[168:171], v112 offset0:69 offset1:70
	ds_read2_b64 v[172:175], v112 offset0:71 offset1:72
	s_and_b64 vcc, exec, s[14:15]
	s_waitcnt vmcnt(51) lgkmcnt(7)
	v_mul_f32_e32 v22, v144, v119
	s_waitcnt vmcnt(50)
	v_mul_f32_e32 v23, v146, v118
	s_waitcnt vmcnt(49) lgkmcnt(6)
	v_mul_f32_e32 v24, v148, v117
	s_waitcnt vmcnt(48)
	v_mul_f32_e32 v25, v150, v116
	;; [unrolled: 4-line block ×5, first 2 shown]
	s_waitcnt vmcnt(41) lgkmcnt(2)
	v_mul_f32_e32 v32, v164, v123
	s_waitcnt vmcnt(40)
	v_fmac_f32_e32 v24, v149, v130
	s_waitcnt vmcnt(39)
	v_fmac_f32_e32 v23, v147, v133
	;; [unrolled: 2-line block ×3, first 2 shown]
	v_add_f32_e32 v22, 0, v22
	v_add_f32_e32 v22, v22, v23
	v_add_f32_e32 v22, v22, v24
	s_waitcnt vmcnt(34)
	v_fmac_f32_e32 v25, v151, v134
	v_fmac_f32_e32 v26, v153, v132
	v_add_f32_e32 v22, v22, v25
	v_fmac_f32_e32 v27, v155, v129
	v_add_f32_e32 v22, v22, v26
	;; [unrolled: 2-line block ×3, first 2 shown]
	s_waitcnt vmcnt(30)
	v_fmac_f32_e32 v29, v159, v131
	v_add_f32_e32 v22, v22, v28
	v_fmac_f32_e32 v30, v161, v128
	v_add_f32_e32 v22, v22, v29
	;; [unrolled: 2-line block ×4, first 2 shown]
	s_waitcnt vmcnt(29)
	v_mul_f32_e32 v23, v166, v127
	v_add_f32_e32 v22, v22, v32
	s_waitcnt vmcnt(25)
	v_fmac_f32_e32 v23, v167, v142
	v_add_f32_e32 v22, v22, v23
	s_waitcnt vmcnt(24) lgkmcnt(1)
	v_mul_f32_e32 v23, v168, v141
	buffer_load_dword v24, off, s[0:3], 0 offset:212
	buffer_load_dword v25, off, s[0:3], 0 offset:208
	;; [unrolled: 1-line block ×4, first 2 shown]
	v_fmac_f32_e32 v23, v169, v139
	v_add_f32_e32 v22, v22, v23
	s_waitcnt vmcnt(27)
	v_mul_f32_e32 v23, v170, v140
	v_fmac_f32_e32 v23, v171, v137
	v_add_f32_e32 v22, v22, v23
	buffer_load_dword v23, off, s[0:3], 0 offset:224
	buffer_load_dword v28, off, s[0:3], 0 offset:228
	ds_read2_b64 v[176:179], v112 offset0:73 offset1:74
	ds_read2_b64 v[180:183], v112 offset0:75 offset1:76
	s_waitcnt vmcnt(28) lgkmcnt(2)
	v_mul_f32_e32 v29, v172, v138
	v_fmac_f32_e32 v29, v173, v136
	v_add_f32_e32 v22, v22, v29
	s_waitcnt vmcnt(27)
	v_mul_f32_e32 v29, v174, v143
	s_waitcnt vmcnt(21)
	v_fmac_f32_e32 v29, v175, v8
	v_add_f32_e32 v22, v22, v29
	s_waitcnt vmcnt(20) lgkmcnt(1)
	v_mul_f32_e32 v29, v176, v9
	v_fmac_f32_e32 v29, v177, v7
	v_add_f32_e32 v22, v22, v29
	v_mul_f32_e32 v29, v178, v4
	buffer_load_dword v30, off, s[0:3], 0 offset:236
	v_fmac_f32_e32 v29, v179, v3
	buffer_load_dword v31, off, s[0:3], 0 offset:232
	buffer_load_dword v32, off, s[0:3], 0 offset:240
	;; [unrolled: 1-line block ×3, first 2 shown]
	ds_read2_b64 v[184:187], v112 offset0:77 offset1:78
	v_add_f32_e32 v22, v22, v29
	s_waitcnt lgkmcnt(1)
	v_mul_f32_e32 v29, v180, v6
	v_fmac_f32_e32 v29, v181, v5
	v_add_f32_e32 v22, v22, v29
	s_waitcnt vmcnt(20)
	v_mul_f32_e32 v29, v182, v11
	v_fmac_f32_e32 v29, v183, v10
	buffer_load_dword v34, off, s[0:3], 0 offset:248
	buffer_load_dword v35, off, s[0:3], 0 offset:252
	v_add_f32_e32 v22, v22, v29
	s_waitcnt vmcnt(20) lgkmcnt(0)
	v_mul_f32_e32 v29, v184, v13
	v_fmac_f32_e32 v29, v185, v12
	ds_read2_b64 v[188:191], v112 offset0:79 offset1:80
	v_add_f32_e32 v22, v22, v29
	buffer_load_dword v29, off, s[0:3], 0 offset:256
	buffer_load_dword v36, off, s[0:3], 0 offset:260
	s_waitcnt vmcnt(20)
	v_mul_f32_e32 v37, v186, v15
	v_fmac_f32_e32 v37, v187, v14
	buffer_load_dword v38, off, s[0:3], 0 offset:264
	buffer_load_dword v39, off, s[0:3], 0 offset:268
	buffer_load_dword v40, off, s[0:3], 0 offset:276
	buffer_load_dword v41, off, s[0:3], 0 offset:280
	buffer_load_dword v42, off, s[0:3], 0 offset:284
	buffer_load_dword v43, off, s[0:3], 0 offset:272
	v_add_f32_e32 v22, v22, v37
	s_waitcnt vmcnt(24) lgkmcnt(0)
	v_mul_f32_e32 v37, v188, v17
	v_fmac_f32_e32 v37, v189, v16
	v_add_f32_e32 v22, v22, v37
	buffer_load_dword v37, off, s[0:3], 0 offset:288
	buffer_load_dword v44, off, s[0:3], 0 offset:292
	ds_read2_b64 v[192:195], v112 offset0:81 offset1:82
	buffer_load_dword v46, off, s[0:3], 0 offset:296
	buffer_load_dword v47, off, s[0:3], 0 offset:300
	;; [unrolled: 1-line block ×6, first 2 shown]
	ds_read2_b64 v[196:199], v112 offset0:83 offset1:84
	buffer_load_dword v52, off, s[0:3], 0 offset:320
	buffer_load_dword v53, off, s[0:3], 0 offset:324
	s_waitcnt vmcnt(32)
	v_mul_f32_e32 v45, v190, v19
	v_fmac_f32_e32 v45, v191, v18
	v_add_f32_e32 v22, v22, v45
	s_waitcnt vmcnt(30) lgkmcnt(1)
	v_mul_f32_e32 v45, v192, v21
	v_fmac_f32_e32 v45, v193, v20
	v_add_f32_e32 v22, v22, v45
	buffer_load_dword v45, off, s[0:3], 0 offset:328
	buffer_load_dword v54, off, s[0:3], 0 offset:332
	;; [unrolled: 1-line block ×8, first 2 shown]
	v_mul_f32_e32 v78, v147, v118
	v_fma_f32 v78, v146, v133, -v78
	v_mul_f32_e32 v0, v157, v0
	v_fma_f32 v0, v156, v126, -v0
	;; [unrolled: 2-line block ×3, first 2 shown]
	s_waitcnt vmcnt(37)
	v_mul_f32_e32 v59, v194, v24
	s_waitcnt vmcnt(36)
	v_fmac_f32_e32 v59, v195, v25
	v_add_f32_e32 v22, v22, v59
	s_waitcnt vmcnt(34) lgkmcnt(0)
	v_mul_f32_e32 v59, v196, v27
	v_fmac_f32_e32 v59, v197, v26
	v_add_f32_e32 v22, v22, v59
	buffer_load_dword v59, off, s[0:3], 0 offset:360
	buffer_load_dword v62, off, s[0:3], 0 offset:364
	;; [unrolled: 1-line block ×6, first 2 shown]
	ds_read2_b64 v[200:203], v112 offset0:85 offset1:86
	s_waitcnt vmcnt(38)
	v_mul_f32_e32 v67, v198, v28
	v_fmac_f32_e32 v67, v199, v23
	v_add_f32_e32 v22, v22, v67
	buffer_load_dword v67, off, s[0:3], 0 offset:384
	buffer_load_dword v68, off, s[0:3], 0 offset:388
	ds_read2_b64 v[204:207], v112 offset0:87 offset1:88
	buffer_load_dword v70, off, s[0:3], 0 offset:392
	buffer_load_dword v71, off, s[0:3], 0 offset:396
	;; [unrolled: 1-line block ×12, first 2 shown]
	ds_read2_b64 v[208:211], v112 offset0:89 offset1:90
	ds_read2_b64 v[212:215], v112 offset0:91 offset1:92
	;; [unrolled: 1-line block ×6, first 2 shown]
	s_waitcnt vmcnt(51) lgkmcnt(7)
	v_mul_f32_e32 v69, v200, v30
	s_waitcnt vmcnt(50)
	v_fmac_f32_e32 v69, v201, v31
	v_add_f32_e32 v22, v22, v69
	s_waitcnt vmcnt(48)
	v_mul_f32_e32 v69, v202, v33
	v_fmac_f32_e32 v69, v203, v32
	v_add_f32_e32 v22, v22, v69
	ds_read2_b64 v[232:235], v112 offset0:101 offset1:102
	ds_read2_b64 v[236:239], v112 offset0:103 offset1:104
	;; [unrolled: 1-line block ×4, first 2 shown]
	s_waitcnt vmcnt(46) lgkmcnt(10)
	v_mul_f32_e32 v69, v204, v35
	v_fmac_f32_e32 v69, v205, v34
	v_add_f32_e32 v22, v22, v69
	ds_read2_b64 v[248:251], v112 offset0:109 offset1:110
	s_waitcnt vmcnt(44)
	v_mul_f32_e32 v69, v206, v36
	v_fmac_f32_e32 v69, v207, v29
	v_add_f32_e32 v22, v22, v69
	s_waitcnt vmcnt(42) lgkmcnt(10)
	v_mul_f32_e32 v69, v208, v39
	v_fmac_f32_e32 v69, v209, v38
	v_add_f32_e32 v22, v22, v69
	s_waitcnt vmcnt(41)
	v_mul_f32_e32 v69, v210, v40
	s_waitcnt vmcnt(38)
	v_fmac_f32_e32 v69, v211, v43
	v_add_f32_e32 v22, v22, v69
	s_waitcnt lgkmcnt(9)
	v_mul_f32_e32 v69, v212, v42
	v_fmac_f32_e32 v69, v213, v41
	v_add_f32_e32 v22, v22, v69
	s_waitcnt vmcnt(36)
	v_mul_f32_e32 v69, v214, v44
	v_fmac_f32_e32 v69, v215, v37
	v_add_f32_e32 v22, v22, v69
	s_waitcnt vmcnt(34) lgkmcnt(8)
	v_mul_f32_e32 v69, v216, v47
	v_fmac_f32_e32 v69, v217, v46
	v_add_f32_e32 v22, v22, v69
	s_waitcnt vmcnt(33)
	v_mul_f32_e32 v69, v218, v48
	s_waitcnt vmcnt(30)
	v_fmac_f32_e32 v69, v219, v51
	v_add_f32_e32 v22, v22, v69
	s_waitcnt lgkmcnt(7)
	v_mul_f32_e32 v69, v220, v50
	v_fmac_f32_e32 v69, v221, v49
	v_add_f32_e32 v22, v22, v69
	;; [unrolled: 17-line block ×5, first 2 shown]
	s_waitcnt vmcnt(4)
	v_mul_f32_e32 v69, v246, v252
	v_fmac_f32_e32 v69, v247, v76
	v_add_f32_e32 v22, v22, v69
	s_waitcnt vmcnt(3) lgkmcnt(0)
	v_mul_f32_e32 v69, v248, v253
	s_waitcnt vmcnt(0)
	v_fmac_f32_e32 v69, v249, v77
	v_add_f32_e32 v22, v22, v69
	v_mul_f32_e32 v69, v250, v255
	v_fmac_f32_e32 v69, v251, v254
	v_add_f32_e32 v22, v22, v69
	v_mul_f32_e32 v69, v145, v119
	v_fma_f32 v69, v144, v135, -v69
	v_add_f32_e32 v69, 0, v69
	v_add_f32_e32 v69, v69, v78
	v_mul_f32_e32 v78, v149, v117
	v_fma_f32 v78, v148, v130, -v78
	v_add_f32_e32 v69, v69, v78
	v_mul_f32_e32 v78, v151, v116
	v_fma_f32 v78, v150, v134, -v78
	;; [unrolled: 3-line block ×4, first 2 shown]
	v_add_f32_e32 v69, v69, v78
	v_add_f32_e32 v0, v69, v0
	v_mul_f32_e32 v69, v159, v120
	v_fma_f32 v69, v158, v131, -v69
	v_add_f32_e32 v0, v0, v69
	v_mul_f32_e32 v69, v161, v121
	v_fma_f32 v69, v160, v128, -v69
	;; [unrolled: 3-line block ×10, first 2 shown]
	v_add_f32_e32 v0, v0, v7
	v_add_f32_e32 v0, v0, v3
	v_mul_f32_e32 v3, v181, v6
	v_fma_f32 v3, v180, v5, -v3
	v_add_f32_e32 v0, v0, v3
	v_mul_f32_e32 v3, v183, v11
	v_fma_f32 v3, v182, v10, -v3
	;; [unrolled: 3-line block ×36, first 2 shown]
	v_add_f32_e32 v0, v0, v3
	v_sub_f32_e32 v0, v113, v0
	v_sub_f32_e32 v3, v114, v22
	buffer_store_dword v0, off, s[0:3], 0
	buffer_store_dword v3, off, s[0:3], 0 offset:4
	s_cbranch_vccz .LBB118_452
; %bb.344:
	v_mov_b32_e32 v0, 0
	global_load_dword v111, v0, s[12:13] offset:212
	s_waitcnt vmcnt(0)
	v_add_u32_e32 v111, -1, v111
	v_cmp_ne_u32_e32 vcc, 53, v111
	s_cbranch_vccz .LBB118_346
; %bb.345:
	v_lshlrev_b32_e32 v3, 3, v111
	buffer_load_dword v4, v3, s[0:3], 0 offen
	buffer_load_dword v5, v3, s[0:3], 0 offen offset:4
	buffer_load_dword v6, off, s[0:3], 0 offset:424
	buffer_load_dword v7, off, s[0:3], 0 offset:428
	s_waitcnt vmcnt(3)
	buffer_store_dword v4, off, s[0:3], 0 offset:424
	s_waitcnt vmcnt(3)
	buffer_store_dword v5, off, s[0:3], 0 offset:428
	s_waitcnt vmcnt(3)
	buffer_store_dword v6, v3, s[0:3], 0 offen
	s_waitcnt vmcnt(3)
	buffer_store_dword v7, v3, s[0:3], 0 offen offset:4
.LBB118_346:
	global_load_dword v0, v0, s[12:13] offset:208
	s_waitcnt vmcnt(0)
	v_add_u32_e32 v0, -1, v0
	v_cmp_eq_u32_e32 vcc, 52, v0
	s_cbranch_vccnz .LBB118_348
; %bb.347:
	v_lshlrev_b32_e32 v0, 3, v0
	buffer_load_dword v3, v0, s[0:3], 0 offen
	buffer_load_dword v4, v0, s[0:3], 0 offen offset:4
	buffer_load_dword v5, off, s[0:3], 0 offset:420
	buffer_load_dword v6, off, s[0:3], 0 offset:416
	s_waitcnt vmcnt(3)
	buffer_store_dword v3, off, s[0:3], 0 offset:416
	s_waitcnt vmcnt(3)
	buffer_store_dword v4, off, s[0:3], 0 offset:420
	s_waitcnt vmcnt(3)
	buffer_store_dword v5, v0, s[0:3], 0 offen offset:4
	s_waitcnt vmcnt(3)
	buffer_store_dword v6, v0, s[0:3], 0 offen
.LBB118_348:
	v_mov_b32_e32 v0, 0
	global_load_dword v3, v0, s[12:13] offset:204
	s_waitcnt vmcnt(0)
	v_add_u32_e32 v111, -1, v3
	v_cmp_eq_u32_e32 vcc, 51, v111
	s_cbranch_vccnz .LBB118_350
; %bb.349:
	v_lshlrev_b32_e32 v3, 3, v111
	buffer_load_dword v4, v3, s[0:3], 0 offen
	buffer_load_dword v5, v3, s[0:3], 0 offen offset:4
	buffer_load_dword v6, off, s[0:3], 0 offset:408
	buffer_load_dword v7, off, s[0:3], 0 offset:412
	s_waitcnt vmcnt(3)
	buffer_store_dword v4, off, s[0:3], 0 offset:408
	s_waitcnt vmcnt(3)
	buffer_store_dword v5, off, s[0:3], 0 offset:412
	s_waitcnt vmcnt(3)
	buffer_store_dword v6, v3, s[0:3], 0 offen
	s_waitcnt vmcnt(3)
	buffer_store_dword v7, v3, s[0:3], 0 offen offset:4
.LBB118_350:
	global_load_dword v0, v0, s[12:13] offset:200
	s_waitcnt vmcnt(0)
	v_add_u32_e32 v0, -1, v0
	v_cmp_eq_u32_e32 vcc, 50, v0
	s_cbranch_vccnz .LBB118_352
; %bb.351:
	v_lshlrev_b32_e32 v0, 3, v0
	buffer_load_dword v3, v0, s[0:3], 0 offen
	buffer_load_dword v4, v0, s[0:3], 0 offen offset:4
	buffer_load_dword v5, off, s[0:3], 0 offset:404
	buffer_load_dword v6, off, s[0:3], 0 offset:400
	s_waitcnt vmcnt(3)
	buffer_store_dword v3, off, s[0:3], 0 offset:400
	s_waitcnt vmcnt(3)
	buffer_store_dword v4, off, s[0:3], 0 offset:404
	s_waitcnt vmcnt(3)
	buffer_store_dword v5, v0, s[0:3], 0 offen offset:4
	s_waitcnt vmcnt(3)
	buffer_store_dword v6, v0, s[0:3], 0 offen
.LBB118_352:
	v_mov_b32_e32 v0, 0
	global_load_dword v3, v0, s[12:13] offset:196
	s_waitcnt vmcnt(0)
	v_add_u32_e32 v111, -1, v3
	v_cmp_eq_u32_e32 vcc, 49, v111
	s_cbranch_vccnz .LBB118_354
; %bb.353:
	v_lshlrev_b32_e32 v3, 3, v111
	buffer_load_dword v4, v3, s[0:3], 0 offen
	buffer_load_dword v5, v3, s[0:3], 0 offen offset:4
	buffer_load_dword v6, off, s[0:3], 0 offset:392
	buffer_load_dword v7, off, s[0:3], 0 offset:396
	s_waitcnt vmcnt(3)
	buffer_store_dword v4, off, s[0:3], 0 offset:392
	s_waitcnt vmcnt(3)
	buffer_store_dword v5, off, s[0:3], 0 offset:396
	s_waitcnt vmcnt(3)
	buffer_store_dword v6, v3, s[0:3], 0 offen
	s_waitcnt vmcnt(3)
	buffer_store_dword v7, v3, s[0:3], 0 offen offset:4
.LBB118_354:
	global_load_dword v0, v0, s[12:13] offset:192
	s_waitcnt vmcnt(0)
	v_add_u32_e32 v0, -1, v0
	v_cmp_eq_u32_e32 vcc, 48, v0
	s_cbranch_vccnz .LBB118_356
; %bb.355:
	v_lshlrev_b32_e32 v0, 3, v0
	buffer_load_dword v3, v0, s[0:3], 0 offen
	buffer_load_dword v4, v0, s[0:3], 0 offen offset:4
	buffer_load_dword v5, off, s[0:3], 0 offset:388
	buffer_load_dword v6, off, s[0:3], 0 offset:384
	s_waitcnt vmcnt(3)
	buffer_store_dword v3, off, s[0:3], 0 offset:384
	s_waitcnt vmcnt(3)
	buffer_store_dword v4, off, s[0:3], 0 offset:388
	s_waitcnt vmcnt(3)
	buffer_store_dword v5, v0, s[0:3], 0 offen offset:4
	s_waitcnt vmcnt(3)
	buffer_store_dword v6, v0, s[0:3], 0 offen
.LBB118_356:
	v_mov_b32_e32 v0, 0
	global_load_dword v3, v0, s[12:13] offset:188
	s_waitcnt vmcnt(0)
	v_add_u32_e32 v111, -1, v3
	v_cmp_eq_u32_e32 vcc, 47, v111
	s_cbranch_vccnz .LBB118_358
; %bb.357:
	v_lshlrev_b32_e32 v3, 3, v111
	buffer_load_dword v4, v3, s[0:3], 0 offen
	buffer_load_dword v5, v3, s[0:3], 0 offen offset:4
	buffer_load_dword v6, off, s[0:3], 0 offset:376
	buffer_load_dword v7, off, s[0:3], 0 offset:380
	s_waitcnt vmcnt(3)
	buffer_store_dword v4, off, s[0:3], 0 offset:376
	s_waitcnt vmcnt(3)
	buffer_store_dword v5, off, s[0:3], 0 offset:380
	s_waitcnt vmcnt(3)
	buffer_store_dword v6, v3, s[0:3], 0 offen
	s_waitcnt vmcnt(3)
	buffer_store_dword v7, v3, s[0:3], 0 offen offset:4
.LBB118_358:
	global_load_dword v0, v0, s[12:13] offset:184
	s_waitcnt vmcnt(0)
	v_add_u32_e32 v0, -1, v0
	v_cmp_eq_u32_e32 vcc, 46, v0
	s_cbranch_vccnz .LBB118_360
; %bb.359:
	v_lshlrev_b32_e32 v0, 3, v0
	buffer_load_dword v3, v0, s[0:3], 0 offen
	buffer_load_dword v4, v0, s[0:3], 0 offen offset:4
	buffer_load_dword v5, off, s[0:3], 0 offset:372
	buffer_load_dword v6, off, s[0:3], 0 offset:368
	s_waitcnt vmcnt(3)
	buffer_store_dword v3, off, s[0:3], 0 offset:368
	s_waitcnt vmcnt(3)
	buffer_store_dword v4, off, s[0:3], 0 offset:372
	s_waitcnt vmcnt(3)
	buffer_store_dword v5, v0, s[0:3], 0 offen offset:4
	s_waitcnt vmcnt(3)
	buffer_store_dword v6, v0, s[0:3], 0 offen
.LBB118_360:
	v_mov_b32_e32 v0, 0
	global_load_dword v3, v0, s[12:13] offset:180
	s_waitcnt vmcnt(0)
	v_add_u32_e32 v111, -1, v3
	v_cmp_eq_u32_e32 vcc, 45, v111
	s_cbranch_vccnz .LBB118_362
; %bb.361:
	v_lshlrev_b32_e32 v3, 3, v111
	buffer_load_dword v4, v3, s[0:3], 0 offen
	buffer_load_dword v5, v3, s[0:3], 0 offen offset:4
	buffer_load_dword v6, off, s[0:3], 0 offset:360
	buffer_load_dword v7, off, s[0:3], 0 offset:364
	s_waitcnt vmcnt(3)
	buffer_store_dword v4, off, s[0:3], 0 offset:360
	s_waitcnt vmcnt(3)
	buffer_store_dword v5, off, s[0:3], 0 offset:364
	s_waitcnt vmcnt(3)
	buffer_store_dword v6, v3, s[0:3], 0 offen
	s_waitcnt vmcnt(3)
	buffer_store_dword v7, v3, s[0:3], 0 offen offset:4
.LBB118_362:
	global_load_dword v0, v0, s[12:13] offset:176
	s_waitcnt vmcnt(0)
	v_add_u32_e32 v0, -1, v0
	v_cmp_eq_u32_e32 vcc, 44, v0
	s_cbranch_vccnz .LBB118_364
; %bb.363:
	v_lshlrev_b32_e32 v0, 3, v0
	buffer_load_dword v3, v0, s[0:3], 0 offen
	buffer_load_dword v4, v0, s[0:3], 0 offen offset:4
	buffer_load_dword v5, off, s[0:3], 0 offset:356
	buffer_load_dword v6, off, s[0:3], 0 offset:352
	s_waitcnt vmcnt(3)
	buffer_store_dword v3, off, s[0:3], 0 offset:352
	s_waitcnt vmcnt(3)
	buffer_store_dword v4, off, s[0:3], 0 offset:356
	s_waitcnt vmcnt(3)
	buffer_store_dword v5, v0, s[0:3], 0 offen offset:4
	s_waitcnt vmcnt(3)
	buffer_store_dword v6, v0, s[0:3], 0 offen
.LBB118_364:
	v_mov_b32_e32 v0, 0
	global_load_dword v3, v0, s[12:13] offset:172
	s_waitcnt vmcnt(0)
	v_add_u32_e32 v111, -1, v3
	v_cmp_eq_u32_e32 vcc, 43, v111
	s_cbranch_vccnz .LBB118_366
; %bb.365:
	v_lshlrev_b32_e32 v3, 3, v111
	buffer_load_dword v4, v3, s[0:3], 0 offen
	buffer_load_dword v5, v3, s[0:3], 0 offen offset:4
	buffer_load_dword v6, off, s[0:3], 0 offset:344
	buffer_load_dword v7, off, s[0:3], 0 offset:348
	s_waitcnt vmcnt(3)
	buffer_store_dword v4, off, s[0:3], 0 offset:344
	s_waitcnt vmcnt(3)
	buffer_store_dword v5, off, s[0:3], 0 offset:348
	s_waitcnt vmcnt(3)
	buffer_store_dword v6, v3, s[0:3], 0 offen
	s_waitcnt vmcnt(3)
	buffer_store_dword v7, v3, s[0:3], 0 offen offset:4
.LBB118_366:
	global_load_dword v0, v0, s[12:13] offset:168
	s_waitcnt vmcnt(0)
	v_add_u32_e32 v0, -1, v0
	v_cmp_eq_u32_e32 vcc, 42, v0
	s_cbranch_vccnz .LBB118_368
; %bb.367:
	v_lshlrev_b32_e32 v0, 3, v0
	buffer_load_dword v3, v0, s[0:3], 0 offen
	buffer_load_dword v4, v0, s[0:3], 0 offen offset:4
	buffer_load_dword v5, off, s[0:3], 0 offset:340
	buffer_load_dword v6, off, s[0:3], 0 offset:336
	s_waitcnt vmcnt(3)
	buffer_store_dword v3, off, s[0:3], 0 offset:336
	s_waitcnt vmcnt(3)
	buffer_store_dword v4, off, s[0:3], 0 offset:340
	s_waitcnt vmcnt(3)
	buffer_store_dword v5, v0, s[0:3], 0 offen offset:4
	s_waitcnt vmcnt(3)
	buffer_store_dword v6, v0, s[0:3], 0 offen
.LBB118_368:
	v_mov_b32_e32 v0, 0
	global_load_dword v3, v0, s[12:13] offset:164
	s_waitcnt vmcnt(0)
	v_add_u32_e32 v111, -1, v3
	v_cmp_eq_u32_e32 vcc, 41, v111
	s_cbranch_vccnz .LBB118_370
; %bb.369:
	v_lshlrev_b32_e32 v3, 3, v111
	buffer_load_dword v4, v3, s[0:3], 0 offen
	buffer_load_dword v5, v3, s[0:3], 0 offen offset:4
	buffer_load_dword v6, off, s[0:3], 0 offset:328
	buffer_load_dword v7, off, s[0:3], 0 offset:332
	s_waitcnt vmcnt(3)
	buffer_store_dword v4, off, s[0:3], 0 offset:328
	s_waitcnt vmcnt(3)
	buffer_store_dword v5, off, s[0:3], 0 offset:332
	s_waitcnt vmcnt(3)
	buffer_store_dword v6, v3, s[0:3], 0 offen
	s_waitcnt vmcnt(3)
	buffer_store_dword v7, v3, s[0:3], 0 offen offset:4
.LBB118_370:
	global_load_dword v0, v0, s[12:13] offset:160
	s_waitcnt vmcnt(0)
	v_add_u32_e32 v0, -1, v0
	v_cmp_eq_u32_e32 vcc, 40, v0
	s_cbranch_vccnz .LBB118_372
; %bb.371:
	v_lshlrev_b32_e32 v0, 3, v0
	buffer_load_dword v3, v0, s[0:3], 0 offen
	buffer_load_dword v4, v0, s[0:3], 0 offen offset:4
	buffer_load_dword v5, off, s[0:3], 0 offset:324
	buffer_load_dword v6, off, s[0:3], 0 offset:320
	s_waitcnt vmcnt(3)
	buffer_store_dword v3, off, s[0:3], 0 offset:320
	s_waitcnt vmcnt(3)
	buffer_store_dword v4, off, s[0:3], 0 offset:324
	s_waitcnt vmcnt(3)
	buffer_store_dword v5, v0, s[0:3], 0 offen offset:4
	s_waitcnt vmcnt(3)
	buffer_store_dword v6, v0, s[0:3], 0 offen
.LBB118_372:
	v_mov_b32_e32 v0, 0
	global_load_dword v3, v0, s[12:13] offset:156
	s_waitcnt vmcnt(0)
	v_add_u32_e32 v111, -1, v3
	v_cmp_eq_u32_e32 vcc, 39, v111
	s_cbranch_vccnz .LBB118_374
; %bb.373:
	v_lshlrev_b32_e32 v3, 3, v111
	buffer_load_dword v4, v3, s[0:3], 0 offen
	buffer_load_dword v5, v3, s[0:3], 0 offen offset:4
	buffer_load_dword v6, off, s[0:3], 0 offset:312
	buffer_load_dword v7, off, s[0:3], 0 offset:316
	s_waitcnt vmcnt(3)
	buffer_store_dword v4, off, s[0:3], 0 offset:312
	s_waitcnt vmcnt(3)
	buffer_store_dword v5, off, s[0:3], 0 offset:316
	s_waitcnt vmcnt(3)
	buffer_store_dword v6, v3, s[0:3], 0 offen
	s_waitcnt vmcnt(3)
	buffer_store_dword v7, v3, s[0:3], 0 offen offset:4
.LBB118_374:
	global_load_dword v0, v0, s[12:13] offset:152
	s_waitcnt vmcnt(0)
	v_add_u32_e32 v0, -1, v0
	v_cmp_eq_u32_e32 vcc, 38, v0
	s_cbranch_vccnz .LBB118_376
; %bb.375:
	v_lshlrev_b32_e32 v0, 3, v0
	buffer_load_dword v3, v0, s[0:3], 0 offen
	buffer_load_dword v4, v0, s[0:3], 0 offen offset:4
	buffer_load_dword v5, off, s[0:3], 0 offset:308
	buffer_load_dword v6, off, s[0:3], 0 offset:304
	s_waitcnt vmcnt(3)
	buffer_store_dword v3, off, s[0:3], 0 offset:304
	s_waitcnt vmcnt(3)
	buffer_store_dword v4, off, s[0:3], 0 offset:308
	s_waitcnt vmcnt(3)
	buffer_store_dword v5, v0, s[0:3], 0 offen offset:4
	s_waitcnt vmcnt(3)
	buffer_store_dword v6, v0, s[0:3], 0 offen
.LBB118_376:
	v_mov_b32_e32 v0, 0
	global_load_dword v3, v0, s[12:13] offset:148
	s_waitcnt vmcnt(0)
	v_add_u32_e32 v111, -1, v3
	v_cmp_eq_u32_e32 vcc, 37, v111
	s_cbranch_vccnz .LBB118_378
; %bb.377:
	v_lshlrev_b32_e32 v3, 3, v111
	buffer_load_dword v4, v3, s[0:3], 0 offen
	buffer_load_dword v5, v3, s[0:3], 0 offen offset:4
	buffer_load_dword v6, off, s[0:3], 0 offset:296
	buffer_load_dword v7, off, s[0:3], 0 offset:300
	s_waitcnt vmcnt(3)
	buffer_store_dword v4, off, s[0:3], 0 offset:296
	s_waitcnt vmcnt(3)
	buffer_store_dword v5, off, s[0:3], 0 offset:300
	s_waitcnt vmcnt(3)
	buffer_store_dword v6, v3, s[0:3], 0 offen
	s_waitcnt vmcnt(3)
	buffer_store_dword v7, v3, s[0:3], 0 offen offset:4
.LBB118_378:
	global_load_dword v0, v0, s[12:13] offset:144
	s_waitcnt vmcnt(0)
	v_add_u32_e32 v0, -1, v0
	v_cmp_eq_u32_e32 vcc, 36, v0
	s_cbranch_vccnz .LBB118_380
; %bb.379:
	v_lshlrev_b32_e32 v0, 3, v0
	buffer_load_dword v3, v0, s[0:3], 0 offen
	buffer_load_dword v4, v0, s[0:3], 0 offen offset:4
	buffer_load_dword v5, off, s[0:3], 0 offset:292
	buffer_load_dword v6, off, s[0:3], 0 offset:288
	s_waitcnt vmcnt(3)
	buffer_store_dword v3, off, s[0:3], 0 offset:288
	s_waitcnt vmcnt(3)
	buffer_store_dword v4, off, s[0:3], 0 offset:292
	s_waitcnt vmcnt(3)
	buffer_store_dword v5, v0, s[0:3], 0 offen offset:4
	s_waitcnt vmcnt(3)
	buffer_store_dword v6, v0, s[0:3], 0 offen
.LBB118_380:
	v_mov_b32_e32 v0, 0
	global_load_dword v3, v0, s[12:13] offset:140
	s_waitcnt vmcnt(0)
	v_add_u32_e32 v111, -1, v3
	v_cmp_eq_u32_e32 vcc, 35, v111
	s_cbranch_vccnz .LBB118_382
; %bb.381:
	v_lshlrev_b32_e32 v3, 3, v111
	buffer_load_dword v4, v3, s[0:3], 0 offen
	buffer_load_dword v5, v3, s[0:3], 0 offen offset:4
	buffer_load_dword v6, off, s[0:3], 0 offset:280
	buffer_load_dword v7, off, s[0:3], 0 offset:284
	s_waitcnt vmcnt(3)
	buffer_store_dword v4, off, s[0:3], 0 offset:280
	s_waitcnt vmcnt(3)
	buffer_store_dword v5, off, s[0:3], 0 offset:284
	s_waitcnt vmcnt(3)
	buffer_store_dword v6, v3, s[0:3], 0 offen
	s_waitcnt vmcnt(3)
	buffer_store_dword v7, v3, s[0:3], 0 offen offset:4
.LBB118_382:
	global_load_dword v0, v0, s[12:13] offset:136
	s_waitcnt vmcnt(0)
	v_add_u32_e32 v0, -1, v0
	v_cmp_eq_u32_e32 vcc, 34, v0
	s_cbranch_vccnz .LBB118_384
; %bb.383:
	v_lshlrev_b32_e32 v0, 3, v0
	buffer_load_dword v3, v0, s[0:3], 0 offen
	buffer_load_dword v4, v0, s[0:3], 0 offen offset:4
	buffer_load_dword v5, off, s[0:3], 0 offset:276
	buffer_load_dword v6, off, s[0:3], 0 offset:272
	s_waitcnt vmcnt(3)
	buffer_store_dword v3, off, s[0:3], 0 offset:272
	s_waitcnt vmcnt(3)
	buffer_store_dword v4, off, s[0:3], 0 offset:276
	s_waitcnt vmcnt(3)
	buffer_store_dword v5, v0, s[0:3], 0 offen offset:4
	s_waitcnt vmcnt(3)
	buffer_store_dword v6, v0, s[0:3], 0 offen
.LBB118_384:
	v_mov_b32_e32 v0, 0
	global_load_dword v3, v0, s[12:13] offset:132
	s_waitcnt vmcnt(0)
	v_add_u32_e32 v111, -1, v3
	v_cmp_eq_u32_e32 vcc, 33, v111
	s_cbranch_vccnz .LBB118_386
; %bb.385:
	v_lshlrev_b32_e32 v3, 3, v111
	buffer_load_dword v4, v3, s[0:3], 0 offen
	buffer_load_dword v5, v3, s[0:3], 0 offen offset:4
	buffer_load_dword v6, off, s[0:3], 0 offset:264
	buffer_load_dword v7, off, s[0:3], 0 offset:268
	s_waitcnt vmcnt(3)
	buffer_store_dword v4, off, s[0:3], 0 offset:264
	s_waitcnt vmcnt(3)
	buffer_store_dword v5, off, s[0:3], 0 offset:268
	s_waitcnt vmcnt(3)
	buffer_store_dword v6, v3, s[0:3], 0 offen
	s_waitcnt vmcnt(3)
	buffer_store_dword v7, v3, s[0:3], 0 offen offset:4
.LBB118_386:
	global_load_dword v0, v0, s[12:13] offset:128
	s_waitcnt vmcnt(0)
	v_add_u32_e32 v0, -1, v0
	v_cmp_eq_u32_e32 vcc, 32, v0
	s_cbranch_vccnz .LBB118_388
; %bb.387:
	v_lshlrev_b32_e32 v0, 3, v0
	buffer_load_dword v3, v0, s[0:3], 0 offen
	buffer_load_dword v4, v0, s[0:3], 0 offen offset:4
	buffer_load_dword v5, off, s[0:3], 0 offset:260
	buffer_load_dword v6, off, s[0:3], 0 offset:256
	s_waitcnt vmcnt(3)
	buffer_store_dword v3, off, s[0:3], 0 offset:256
	s_waitcnt vmcnt(3)
	buffer_store_dword v4, off, s[0:3], 0 offset:260
	s_waitcnt vmcnt(3)
	buffer_store_dword v5, v0, s[0:3], 0 offen offset:4
	s_waitcnt vmcnt(3)
	buffer_store_dword v6, v0, s[0:3], 0 offen
.LBB118_388:
	v_mov_b32_e32 v0, 0
	global_load_dword v3, v0, s[12:13] offset:124
	s_waitcnt vmcnt(0)
	v_add_u32_e32 v111, -1, v3
	v_cmp_eq_u32_e32 vcc, 31, v111
	s_cbranch_vccnz .LBB118_390
; %bb.389:
	v_lshlrev_b32_e32 v3, 3, v111
	buffer_load_dword v4, v3, s[0:3], 0 offen
	buffer_load_dword v5, v3, s[0:3], 0 offen offset:4
	buffer_load_dword v6, off, s[0:3], 0 offset:248
	buffer_load_dword v7, off, s[0:3], 0 offset:252
	s_waitcnt vmcnt(3)
	buffer_store_dword v4, off, s[0:3], 0 offset:248
	s_waitcnt vmcnt(3)
	buffer_store_dword v5, off, s[0:3], 0 offset:252
	s_waitcnt vmcnt(3)
	buffer_store_dword v6, v3, s[0:3], 0 offen
	s_waitcnt vmcnt(3)
	buffer_store_dword v7, v3, s[0:3], 0 offen offset:4
.LBB118_390:
	global_load_dword v0, v0, s[12:13] offset:120
	s_waitcnt vmcnt(0)
	v_add_u32_e32 v0, -1, v0
	v_cmp_eq_u32_e32 vcc, 30, v0
	s_cbranch_vccnz .LBB118_392
; %bb.391:
	v_lshlrev_b32_e32 v0, 3, v0
	buffer_load_dword v3, v0, s[0:3], 0 offen
	buffer_load_dword v4, v0, s[0:3], 0 offen offset:4
	buffer_load_dword v5, off, s[0:3], 0 offset:244
	buffer_load_dword v6, off, s[0:3], 0 offset:240
	s_waitcnt vmcnt(3)
	buffer_store_dword v3, off, s[0:3], 0 offset:240
	s_waitcnt vmcnt(3)
	buffer_store_dword v4, off, s[0:3], 0 offset:244
	s_waitcnt vmcnt(3)
	buffer_store_dword v5, v0, s[0:3], 0 offen offset:4
	s_waitcnt vmcnt(3)
	buffer_store_dword v6, v0, s[0:3], 0 offen
.LBB118_392:
	v_mov_b32_e32 v0, 0
	global_load_dword v3, v0, s[12:13] offset:116
	s_waitcnt vmcnt(0)
	v_add_u32_e32 v111, -1, v3
	v_cmp_eq_u32_e32 vcc, 29, v111
	s_cbranch_vccnz .LBB118_394
; %bb.393:
	v_lshlrev_b32_e32 v3, 3, v111
	buffer_load_dword v4, v3, s[0:3], 0 offen
	buffer_load_dword v5, v3, s[0:3], 0 offen offset:4
	buffer_load_dword v6, off, s[0:3], 0 offset:232
	buffer_load_dword v7, off, s[0:3], 0 offset:236
	s_waitcnt vmcnt(3)
	buffer_store_dword v4, off, s[0:3], 0 offset:232
	s_waitcnt vmcnt(3)
	buffer_store_dword v5, off, s[0:3], 0 offset:236
	s_waitcnt vmcnt(3)
	buffer_store_dword v6, v3, s[0:3], 0 offen
	s_waitcnt vmcnt(3)
	buffer_store_dword v7, v3, s[0:3], 0 offen offset:4
.LBB118_394:
	global_load_dword v0, v0, s[12:13] offset:112
	s_waitcnt vmcnt(0)
	v_add_u32_e32 v0, -1, v0
	v_cmp_eq_u32_e32 vcc, 28, v0
	s_cbranch_vccnz .LBB118_396
; %bb.395:
	v_lshlrev_b32_e32 v0, 3, v0
	buffer_load_dword v3, v0, s[0:3], 0 offen
	buffer_load_dword v4, v0, s[0:3], 0 offen offset:4
	buffer_load_dword v5, off, s[0:3], 0 offset:228
	buffer_load_dword v6, off, s[0:3], 0 offset:224
	s_waitcnt vmcnt(3)
	buffer_store_dword v3, off, s[0:3], 0 offset:224
	s_waitcnt vmcnt(3)
	buffer_store_dword v4, off, s[0:3], 0 offset:228
	s_waitcnt vmcnt(3)
	buffer_store_dword v5, v0, s[0:3], 0 offen offset:4
	s_waitcnt vmcnt(3)
	buffer_store_dword v6, v0, s[0:3], 0 offen
.LBB118_396:
	v_mov_b32_e32 v0, 0
	global_load_dword v3, v0, s[12:13] offset:108
	s_waitcnt vmcnt(0)
	v_add_u32_e32 v111, -1, v3
	v_cmp_eq_u32_e32 vcc, 27, v111
	s_cbranch_vccnz .LBB118_398
; %bb.397:
	v_lshlrev_b32_e32 v3, 3, v111
	buffer_load_dword v4, v3, s[0:3], 0 offen
	buffer_load_dword v5, v3, s[0:3], 0 offen offset:4
	buffer_load_dword v6, off, s[0:3], 0 offset:216
	buffer_load_dword v7, off, s[0:3], 0 offset:220
	s_waitcnt vmcnt(3)
	buffer_store_dword v4, off, s[0:3], 0 offset:216
	s_waitcnt vmcnt(3)
	buffer_store_dword v5, off, s[0:3], 0 offset:220
	s_waitcnt vmcnt(3)
	buffer_store_dword v6, v3, s[0:3], 0 offen
	s_waitcnt vmcnt(3)
	buffer_store_dword v7, v3, s[0:3], 0 offen offset:4
.LBB118_398:
	global_load_dword v0, v0, s[12:13] offset:104
	s_waitcnt vmcnt(0)
	v_add_u32_e32 v0, -1, v0
	v_cmp_eq_u32_e32 vcc, 26, v0
	s_cbranch_vccnz .LBB118_400
; %bb.399:
	v_lshlrev_b32_e32 v0, 3, v0
	buffer_load_dword v3, v0, s[0:3], 0 offen
	buffer_load_dword v4, v0, s[0:3], 0 offen offset:4
	buffer_load_dword v5, off, s[0:3], 0 offset:212
	buffer_load_dword v6, off, s[0:3], 0 offset:208
	s_waitcnt vmcnt(3)
	buffer_store_dword v3, off, s[0:3], 0 offset:208
	s_waitcnt vmcnt(3)
	buffer_store_dword v4, off, s[0:3], 0 offset:212
	s_waitcnt vmcnt(3)
	buffer_store_dword v5, v0, s[0:3], 0 offen offset:4
	s_waitcnt vmcnt(3)
	buffer_store_dword v6, v0, s[0:3], 0 offen
.LBB118_400:
	v_mov_b32_e32 v0, 0
	global_load_dword v3, v0, s[12:13] offset:100
	s_waitcnt vmcnt(0)
	v_add_u32_e32 v111, -1, v3
	v_cmp_eq_u32_e32 vcc, 25, v111
	s_cbranch_vccnz .LBB118_402
; %bb.401:
	v_lshlrev_b32_e32 v3, 3, v111
	buffer_load_dword v4, v3, s[0:3], 0 offen
	buffer_load_dword v5, v3, s[0:3], 0 offen offset:4
	buffer_load_dword v6, off, s[0:3], 0 offset:200
	buffer_load_dword v7, off, s[0:3], 0 offset:204
	s_waitcnt vmcnt(3)
	buffer_store_dword v4, off, s[0:3], 0 offset:200
	s_waitcnt vmcnt(3)
	buffer_store_dword v5, off, s[0:3], 0 offset:204
	s_waitcnt vmcnt(3)
	buffer_store_dword v6, v3, s[0:3], 0 offen
	s_waitcnt vmcnt(3)
	buffer_store_dword v7, v3, s[0:3], 0 offen offset:4
.LBB118_402:
	global_load_dword v0, v0, s[12:13] offset:96
	s_waitcnt vmcnt(0)
	v_add_u32_e32 v0, -1, v0
	v_cmp_eq_u32_e32 vcc, 24, v0
	s_cbranch_vccnz .LBB118_404
; %bb.403:
	v_lshlrev_b32_e32 v0, 3, v0
	buffer_load_dword v3, v0, s[0:3], 0 offen
	buffer_load_dword v4, v0, s[0:3], 0 offen offset:4
	buffer_load_dword v5, off, s[0:3], 0 offset:196
	buffer_load_dword v6, off, s[0:3], 0 offset:192
	s_waitcnt vmcnt(3)
	buffer_store_dword v3, off, s[0:3], 0 offset:192
	s_waitcnt vmcnt(3)
	buffer_store_dword v4, off, s[0:3], 0 offset:196
	s_waitcnt vmcnt(3)
	buffer_store_dword v5, v0, s[0:3], 0 offen offset:4
	s_waitcnt vmcnt(3)
	buffer_store_dword v6, v0, s[0:3], 0 offen
.LBB118_404:
	v_mov_b32_e32 v0, 0
	global_load_dword v3, v0, s[12:13] offset:92
	s_waitcnt vmcnt(0)
	v_add_u32_e32 v111, -1, v3
	v_cmp_eq_u32_e32 vcc, 23, v111
	s_cbranch_vccnz .LBB118_406
; %bb.405:
	v_lshlrev_b32_e32 v3, 3, v111
	buffer_load_dword v4, v3, s[0:3], 0 offen
	buffer_load_dword v5, v3, s[0:3], 0 offen offset:4
	buffer_load_dword v6, off, s[0:3], 0 offset:184
	buffer_load_dword v7, off, s[0:3], 0 offset:188
	s_waitcnt vmcnt(3)
	buffer_store_dword v4, off, s[0:3], 0 offset:184
	s_waitcnt vmcnt(3)
	buffer_store_dword v5, off, s[0:3], 0 offset:188
	s_waitcnt vmcnt(3)
	buffer_store_dword v6, v3, s[0:3], 0 offen
	s_waitcnt vmcnt(3)
	buffer_store_dword v7, v3, s[0:3], 0 offen offset:4
.LBB118_406:
	global_load_dword v0, v0, s[12:13] offset:88
	s_waitcnt vmcnt(0)
	v_add_u32_e32 v0, -1, v0
	v_cmp_eq_u32_e32 vcc, 22, v0
	s_cbranch_vccnz .LBB118_408
; %bb.407:
	v_lshlrev_b32_e32 v0, 3, v0
	buffer_load_dword v3, v0, s[0:3], 0 offen
	buffer_load_dword v4, v0, s[0:3], 0 offen offset:4
	buffer_load_dword v5, off, s[0:3], 0 offset:180
	buffer_load_dword v6, off, s[0:3], 0 offset:176
	s_waitcnt vmcnt(3)
	buffer_store_dword v3, off, s[0:3], 0 offset:176
	s_waitcnt vmcnt(3)
	buffer_store_dword v4, off, s[0:3], 0 offset:180
	s_waitcnt vmcnt(3)
	buffer_store_dword v5, v0, s[0:3], 0 offen offset:4
	s_waitcnt vmcnt(3)
	buffer_store_dword v6, v0, s[0:3], 0 offen
.LBB118_408:
	v_mov_b32_e32 v0, 0
	global_load_dword v3, v0, s[12:13] offset:84
	s_waitcnt vmcnt(0)
	v_add_u32_e32 v111, -1, v3
	v_cmp_eq_u32_e32 vcc, 21, v111
	s_cbranch_vccnz .LBB118_410
; %bb.409:
	v_lshlrev_b32_e32 v3, 3, v111
	buffer_load_dword v4, v3, s[0:3], 0 offen
	buffer_load_dword v5, v3, s[0:3], 0 offen offset:4
	buffer_load_dword v6, off, s[0:3], 0 offset:168
	buffer_load_dword v7, off, s[0:3], 0 offset:172
	s_waitcnt vmcnt(3)
	buffer_store_dword v4, off, s[0:3], 0 offset:168
	s_waitcnt vmcnt(3)
	buffer_store_dword v5, off, s[0:3], 0 offset:172
	s_waitcnt vmcnt(3)
	buffer_store_dword v6, v3, s[0:3], 0 offen
	s_waitcnt vmcnt(3)
	buffer_store_dword v7, v3, s[0:3], 0 offen offset:4
.LBB118_410:
	global_load_dword v0, v0, s[12:13] offset:80
	s_waitcnt vmcnt(0)
	v_add_u32_e32 v0, -1, v0
	v_cmp_eq_u32_e32 vcc, 20, v0
	s_cbranch_vccnz .LBB118_412
; %bb.411:
	v_lshlrev_b32_e32 v0, 3, v0
	buffer_load_dword v3, v0, s[0:3], 0 offen
	buffer_load_dword v4, v0, s[0:3], 0 offen offset:4
	buffer_load_dword v5, off, s[0:3], 0 offset:164
	buffer_load_dword v6, off, s[0:3], 0 offset:160
	s_waitcnt vmcnt(3)
	buffer_store_dword v3, off, s[0:3], 0 offset:160
	s_waitcnt vmcnt(3)
	buffer_store_dword v4, off, s[0:3], 0 offset:164
	s_waitcnt vmcnt(3)
	buffer_store_dword v5, v0, s[0:3], 0 offen offset:4
	s_waitcnt vmcnt(3)
	buffer_store_dword v6, v0, s[0:3], 0 offen
.LBB118_412:
	v_mov_b32_e32 v0, 0
	global_load_dword v3, v0, s[12:13] offset:76
	s_waitcnt vmcnt(0)
	v_add_u32_e32 v111, -1, v3
	v_cmp_eq_u32_e32 vcc, 19, v111
	s_cbranch_vccnz .LBB118_414
; %bb.413:
	v_lshlrev_b32_e32 v3, 3, v111
	buffer_load_dword v4, v3, s[0:3], 0 offen
	buffer_load_dword v5, v3, s[0:3], 0 offen offset:4
	buffer_load_dword v6, off, s[0:3], 0 offset:152
	buffer_load_dword v7, off, s[0:3], 0 offset:156
	s_waitcnt vmcnt(3)
	buffer_store_dword v4, off, s[0:3], 0 offset:152
	s_waitcnt vmcnt(3)
	buffer_store_dword v5, off, s[0:3], 0 offset:156
	s_waitcnt vmcnt(3)
	buffer_store_dword v6, v3, s[0:3], 0 offen
	s_waitcnt vmcnt(3)
	buffer_store_dword v7, v3, s[0:3], 0 offen offset:4
.LBB118_414:
	global_load_dword v0, v0, s[12:13] offset:72
	s_waitcnt vmcnt(0)
	v_add_u32_e32 v0, -1, v0
	v_cmp_eq_u32_e32 vcc, 18, v0
	s_cbranch_vccnz .LBB118_416
; %bb.415:
	v_lshlrev_b32_e32 v0, 3, v0
	buffer_load_dword v3, v0, s[0:3], 0 offen
	buffer_load_dword v4, v0, s[0:3], 0 offen offset:4
	buffer_load_dword v5, off, s[0:3], 0 offset:148
	buffer_load_dword v6, off, s[0:3], 0 offset:144
	s_waitcnt vmcnt(3)
	buffer_store_dword v3, off, s[0:3], 0 offset:144
	s_waitcnt vmcnt(3)
	buffer_store_dword v4, off, s[0:3], 0 offset:148
	s_waitcnt vmcnt(3)
	buffer_store_dword v5, v0, s[0:3], 0 offen offset:4
	s_waitcnt vmcnt(3)
	buffer_store_dword v6, v0, s[0:3], 0 offen
.LBB118_416:
	v_mov_b32_e32 v0, 0
	global_load_dword v3, v0, s[12:13] offset:68
	s_waitcnt vmcnt(0)
	v_add_u32_e32 v111, -1, v3
	v_cmp_eq_u32_e32 vcc, 17, v111
	s_cbranch_vccnz .LBB118_418
; %bb.417:
	v_lshlrev_b32_e32 v3, 3, v111
	buffer_load_dword v4, v3, s[0:3], 0 offen
	buffer_load_dword v5, v3, s[0:3], 0 offen offset:4
	buffer_load_dword v6, off, s[0:3], 0 offset:136
	buffer_load_dword v7, off, s[0:3], 0 offset:140
	s_waitcnt vmcnt(3)
	buffer_store_dword v4, off, s[0:3], 0 offset:136
	s_waitcnt vmcnt(3)
	buffer_store_dword v5, off, s[0:3], 0 offset:140
	s_waitcnt vmcnt(3)
	buffer_store_dword v6, v3, s[0:3], 0 offen
	s_waitcnt vmcnt(3)
	buffer_store_dword v7, v3, s[0:3], 0 offen offset:4
.LBB118_418:
	global_load_dword v0, v0, s[12:13] offset:64
	s_waitcnt vmcnt(0)
	v_add_u32_e32 v0, -1, v0
	v_cmp_eq_u32_e32 vcc, 16, v0
	s_cbranch_vccnz .LBB118_420
; %bb.419:
	v_lshlrev_b32_e32 v0, 3, v0
	buffer_load_dword v3, v0, s[0:3], 0 offen
	buffer_load_dword v4, v0, s[0:3], 0 offen offset:4
	buffer_load_dword v5, off, s[0:3], 0 offset:132
	buffer_load_dword v6, off, s[0:3], 0 offset:128
	s_waitcnt vmcnt(3)
	buffer_store_dword v3, off, s[0:3], 0 offset:128
	s_waitcnt vmcnt(3)
	buffer_store_dword v4, off, s[0:3], 0 offset:132
	s_waitcnt vmcnt(3)
	buffer_store_dword v5, v0, s[0:3], 0 offen offset:4
	s_waitcnt vmcnt(3)
	buffer_store_dword v6, v0, s[0:3], 0 offen
.LBB118_420:
	v_mov_b32_e32 v0, 0
	global_load_dword v3, v0, s[12:13] offset:60
	s_waitcnt vmcnt(0)
	v_add_u32_e32 v111, -1, v3
	v_cmp_eq_u32_e32 vcc, 15, v111
	s_cbranch_vccnz .LBB118_422
; %bb.421:
	v_lshlrev_b32_e32 v3, 3, v111
	buffer_load_dword v4, v3, s[0:3], 0 offen
	buffer_load_dword v5, v3, s[0:3], 0 offen offset:4
	buffer_load_dword v6, off, s[0:3], 0 offset:120
	buffer_load_dword v7, off, s[0:3], 0 offset:124
	s_waitcnt vmcnt(3)
	buffer_store_dword v4, off, s[0:3], 0 offset:120
	s_waitcnt vmcnt(3)
	buffer_store_dword v5, off, s[0:3], 0 offset:124
	s_waitcnt vmcnt(3)
	buffer_store_dword v6, v3, s[0:3], 0 offen
	s_waitcnt vmcnt(3)
	buffer_store_dword v7, v3, s[0:3], 0 offen offset:4
.LBB118_422:
	global_load_dword v0, v0, s[12:13] offset:56
	s_waitcnt vmcnt(0)
	v_add_u32_e32 v0, -1, v0
	v_cmp_eq_u32_e32 vcc, 14, v0
	s_cbranch_vccnz .LBB118_424
; %bb.423:
	v_lshlrev_b32_e32 v0, 3, v0
	buffer_load_dword v3, v0, s[0:3], 0 offen
	buffer_load_dword v4, v0, s[0:3], 0 offen offset:4
	buffer_load_dword v5, off, s[0:3], 0 offset:116
	buffer_load_dword v6, off, s[0:3], 0 offset:112
	s_waitcnt vmcnt(3)
	buffer_store_dword v3, off, s[0:3], 0 offset:112
	s_waitcnt vmcnt(3)
	buffer_store_dword v4, off, s[0:3], 0 offset:116
	s_waitcnt vmcnt(3)
	buffer_store_dword v5, v0, s[0:3], 0 offen offset:4
	s_waitcnt vmcnt(3)
	buffer_store_dword v6, v0, s[0:3], 0 offen
.LBB118_424:
	v_mov_b32_e32 v0, 0
	global_load_dword v3, v0, s[12:13] offset:52
	s_waitcnt vmcnt(0)
	v_add_u32_e32 v111, -1, v3
	v_cmp_eq_u32_e32 vcc, 13, v111
	s_cbranch_vccnz .LBB118_426
; %bb.425:
	v_lshlrev_b32_e32 v3, 3, v111
	buffer_load_dword v4, v3, s[0:3], 0 offen
	buffer_load_dword v5, v3, s[0:3], 0 offen offset:4
	buffer_load_dword v6, off, s[0:3], 0 offset:104
	buffer_load_dword v7, off, s[0:3], 0 offset:108
	s_waitcnt vmcnt(3)
	buffer_store_dword v4, off, s[0:3], 0 offset:104
	s_waitcnt vmcnt(3)
	buffer_store_dword v5, off, s[0:3], 0 offset:108
	s_waitcnt vmcnt(3)
	buffer_store_dword v6, v3, s[0:3], 0 offen
	s_waitcnt vmcnt(3)
	buffer_store_dword v7, v3, s[0:3], 0 offen offset:4
.LBB118_426:
	global_load_dword v0, v0, s[12:13] offset:48
	s_waitcnt vmcnt(0)
	v_add_u32_e32 v0, -1, v0
	v_cmp_eq_u32_e32 vcc, 12, v0
	s_cbranch_vccnz .LBB118_428
; %bb.427:
	v_lshlrev_b32_e32 v0, 3, v0
	buffer_load_dword v3, v0, s[0:3], 0 offen
	buffer_load_dword v4, v0, s[0:3], 0 offen offset:4
	buffer_load_dword v5, off, s[0:3], 0 offset:100
	buffer_load_dword v6, off, s[0:3], 0 offset:96
	s_waitcnt vmcnt(3)
	buffer_store_dword v3, off, s[0:3], 0 offset:96
	s_waitcnt vmcnt(3)
	buffer_store_dword v4, off, s[0:3], 0 offset:100
	s_waitcnt vmcnt(3)
	buffer_store_dword v5, v0, s[0:3], 0 offen offset:4
	s_waitcnt vmcnt(3)
	buffer_store_dword v6, v0, s[0:3], 0 offen
.LBB118_428:
	v_mov_b32_e32 v0, 0
	global_load_dword v3, v0, s[12:13] offset:44
	s_waitcnt vmcnt(0)
	v_add_u32_e32 v111, -1, v3
	v_cmp_eq_u32_e32 vcc, 11, v111
	s_cbranch_vccnz .LBB118_430
; %bb.429:
	v_lshlrev_b32_e32 v3, 3, v111
	buffer_load_dword v4, v3, s[0:3], 0 offen
	buffer_load_dword v5, v3, s[0:3], 0 offen offset:4
	buffer_load_dword v6, off, s[0:3], 0 offset:88
	buffer_load_dword v7, off, s[0:3], 0 offset:92
	s_waitcnt vmcnt(3)
	buffer_store_dword v4, off, s[0:3], 0 offset:88
	s_waitcnt vmcnt(3)
	buffer_store_dword v5, off, s[0:3], 0 offset:92
	s_waitcnt vmcnt(3)
	buffer_store_dword v6, v3, s[0:3], 0 offen
	s_waitcnt vmcnt(3)
	buffer_store_dword v7, v3, s[0:3], 0 offen offset:4
.LBB118_430:
	global_load_dword v0, v0, s[12:13] offset:40
	s_waitcnt vmcnt(0)
	v_add_u32_e32 v0, -1, v0
	v_cmp_eq_u32_e32 vcc, 10, v0
	s_cbranch_vccnz .LBB118_432
; %bb.431:
	v_lshlrev_b32_e32 v0, 3, v0
	buffer_load_dword v3, v0, s[0:3], 0 offen
	buffer_load_dword v4, v0, s[0:3], 0 offen offset:4
	buffer_load_dword v5, off, s[0:3], 0 offset:84
	buffer_load_dword v6, off, s[0:3], 0 offset:80
	s_waitcnt vmcnt(3)
	buffer_store_dword v3, off, s[0:3], 0 offset:80
	s_waitcnt vmcnt(3)
	buffer_store_dword v4, off, s[0:3], 0 offset:84
	s_waitcnt vmcnt(3)
	buffer_store_dword v5, v0, s[0:3], 0 offen offset:4
	s_waitcnt vmcnt(3)
	buffer_store_dword v6, v0, s[0:3], 0 offen
.LBB118_432:
	v_mov_b32_e32 v0, 0
	global_load_dword v3, v0, s[12:13] offset:36
	s_waitcnt vmcnt(0)
	v_add_u32_e32 v111, -1, v3
	v_cmp_eq_u32_e32 vcc, 9, v111
	s_cbranch_vccnz .LBB118_434
; %bb.433:
	v_lshlrev_b32_e32 v3, 3, v111
	buffer_load_dword v4, v3, s[0:3], 0 offen
	buffer_load_dword v5, v3, s[0:3], 0 offen offset:4
	buffer_load_dword v6, off, s[0:3], 0 offset:72
	buffer_load_dword v7, off, s[0:3], 0 offset:76
	s_waitcnt vmcnt(3)
	buffer_store_dword v4, off, s[0:3], 0 offset:72
	s_waitcnt vmcnt(3)
	buffer_store_dword v5, off, s[0:3], 0 offset:76
	s_waitcnt vmcnt(3)
	buffer_store_dword v6, v3, s[0:3], 0 offen
	s_waitcnt vmcnt(3)
	buffer_store_dword v7, v3, s[0:3], 0 offen offset:4
.LBB118_434:
	global_load_dword v0, v0, s[12:13] offset:32
	s_waitcnt vmcnt(0)
	v_add_u32_e32 v0, -1, v0
	v_cmp_eq_u32_e32 vcc, 8, v0
	s_cbranch_vccnz .LBB118_436
; %bb.435:
	v_lshlrev_b32_e32 v0, 3, v0
	buffer_load_dword v3, v0, s[0:3], 0 offen
	buffer_load_dword v4, v0, s[0:3], 0 offen offset:4
	buffer_load_dword v5, off, s[0:3], 0 offset:68
	buffer_load_dword v6, off, s[0:3], 0 offset:64
	s_waitcnt vmcnt(3)
	buffer_store_dword v3, off, s[0:3], 0 offset:64
	s_waitcnt vmcnt(3)
	buffer_store_dword v4, off, s[0:3], 0 offset:68
	s_waitcnt vmcnt(3)
	buffer_store_dword v5, v0, s[0:3], 0 offen offset:4
	s_waitcnt vmcnt(3)
	buffer_store_dword v6, v0, s[0:3], 0 offen
.LBB118_436:
	v_mov_b32_e32 v0, 0
	global_load_dword v3, v0, s[12:13] offset:28
	s_waitcnt vmcnt(0)
	v_add_u32_e32 v111, -1, v3
	v_cmp_eq_u32_e32 vcc, 7, v111
	s_cbranch_vccnz .LBB118_438
; %bb.437:
	v_lshlrev_b32_e32 v3, 3, v111
	buffer_load_dword v4, v3, s[0:3], 0 offen
	buffer_load_dword v5, v3, s[0:3], 0 offen offset:4
	buffer_load_dword v6, off, s[0:3], 0 offset:56
	buffer_load_dword v7, off, s[0:3], 0 offset:60
	s_waitcnt vmcnt(3)
	buffer_store_dword v4, off, s[0:3], 0 offset:56
	s_waitcnt vmcnt(3)
	buffer_store_dword v5, off, s[0:3], 0 offset:60
	s_waitcnt vmcnt(3)
	buffer_store_dword v6, v3, s[0:3], 0 offen
	s_waitcnt vmcnt(3)
	buffer_store_dword v7, v3, s[0:3], 0 offen offset:4
.LBB118_438:
	global_load_dword v0, v0, s[12:13] offset:24
	s_waitcnt vmcnt(0)
	v_add_u32_e32 v0, -1, v0
	v_cmp_eq_u32_e32 vcc, 6, v0
	s_cbranch_vccnz .LBB118_440
; %bb.439:
	v_lshlrev_b32_e32 v0, 3, v0
	buffer_load_dword v3, v0, s[0:3], 0 offen
	buffer_load_dword v4, v0, s[0:3], 0 offen offset:4
	buffer_load_dword v5, off, s[0:3], 0 offset:52
	buffer_load_dword v6, off, s[0:3], 0 offset:48
	s_waitcnt vmcnt(3)
	buffer_store_dword v3, off, s[0:3], 0 offset:48
	s_waitcnt vmcnt(3)
	buffer_store_dword v4, off, s[0:3], 0 offset:52
	s_waitcnt vmcnt(3)
	buffer_store_dword v5, v0, s[0:3], 0 offen offset:4
	s_waitcnt vmcnt(3)
	buffer_store_dword v6, v0, s[0:3], 0 offen
.LBB118_440:
	v_mov_b32_e32 v0, 0
	global_load_dword v3, v0, s[12:13] offset:20
	s_waitcnt vmcnt(0)
	v_add_u32_e32 v111, -1, v3
	v_cmp_eq_u32_e32 vcc, 5, v111
	s_cbranch_vccnz .LBB118_442
; %bb.441:
	v_lshlrev_b32_e32 v3, 3, v111
	buffer_load_dword v4, v3, s[0:3], 0 offen
	buffer_load_dword v5, v3, s[0:3], 0 offen offset:4
	buffer_load_dword v6, off, s[0:3], 0 offset:40
	buffer_load_dword v7, off, s[0:3], 0 offset:44
	s_waitcnt vmcnt(3)
	buffer_store_dword v4, off, s[0:3], 0 offset:40
	s_waitcnt vmcnt(3)
	buffer_store_dword v5, off, s[0:3], 0 offset:44
	s_waitcnt vmcnt(3)
	buffer_store_dword v6, v3, s[0:3], 0 offen
	s_waitcnt vmcnt(3)
	buffer_store_dword v7, v3, s[0:3], 0 offen offset:4
.LBB118_442:
	global_load_dword v0, v0, s[12:13] offset:16
	s_waitcnt vmcnt(0)
	v_add_u32_e32 v0, -1, v0
	v_cmp_eq_u32_e32 vcc, 4, v0
	s_cbranch_vccnz .LBB118_444
; %bb.443:
	v_lshlrev_b32_e32 v0, 3, v0
	buffer_load_dword v3, v0, s[0:3], 0 offen
	buffer_load_dword v4, v0, s[0:3], 0 offen offset:4
	buffer_load_dword v5, off, s[0:3], 0 offset:36
	buffer_load_dword v6, off, s[0:3], 0 offset:32
	s_waitcnt vmcnt(3)
	buffer_store_dword v3, off, s[0:3], 0 offset:32
	s_waitcnt vmcnt(3)
	buffer_store_dword v4, off, s[0:3], 0 offset:36
	s_waitcnt vmcnt(3)
	buffer_store_dword v5, v0, s[0:3], 0 offen offset:4
	s_waitcnt vmcnt(3)
	buffer_store_dword v6, v0, s[0:3], 0 offen
.LBB118_444:
	v_mov_b32_e32 v0, 0
	global_load_dword v3, v0, s[12:13] offset:12
	s_waitcnt vmcnt(0)
	v_add_u32_e32 v111, -1, v3
	v_cmp_eq_u32_e32 vcc, 3, v111
	s_cbranch_vccnz .LBB118_446
; %bb.445:
	v_lshlrev_b32_e32 v3, 3, v111
	buffer_load_dword v4, v3, s[0:3], 0 offen
	buffer_load_dword v5, v3, s[0:3], 0 offen offset:4
	buffer_load_dword v6, off, s[0:3], 0 offset:24
	buffer_load_dword v7, off, s[0:3], 0 offset:28
	s_waitcnt vmcnt(3)
	buffer_store_dword v4, off, s[0:3], 0 offset:24
	s_waitcnt vmcnt(3)
	buffer_store_dword v5, off, s[0:3], 0 offset:28
	s_waitcnt vmcnt(3)
	buffer_store_dword v6, v3, s[0:3], 0 offen
	s_waitcnt vmcnt(3)
	buffer_store_dword v7, v3, s[0:3], 0 offen offset:4
.LBB118_446:
	global_load_dword v0, v0, s[12:13] offset:8
	s_waitcnt vmcnt(0)
	v_add_u32_e32 v0, -1, v0
	v_cmp_eq_u32_e32 vcc, 2, v0
	s_cbranch_vccnz .LBB118_448
; %bb.447:
	v_lshlrev_b32_e32 v0, 3, v0
	buffer_load_dword v3, v0, s[0:3], 0 offen
	buffer_load_dword v4, v0, s[0:3], 0 offen offset:4
	buffer_load_dword v5, off, s[0:3], 0 offset:20
	buffer_load_dword v6, off, s[0:3], 0 offset:16
	s_waitcnt vmcnt(3)
	buffer_store_dword v3, off, s[0:3], 0 offset:16
	s_waitcnt vmcnt(3)
	buffer_store_dword v4, off, s[0:3], 0 offset:20
	s_waitcnt vmcnt(3)
	buffer_store_dword v5, v0, s[0:3], 0 offen offset:4
	s_waitcnt vmcnt(3)
	buffer_store_dword v6, v0, s[0:3], 0 offen
.LBB118_448:
	v_mov_b32_e32 v0, 0
	global_load_dword v3, v0, s[12:13] offset:4
	s_waitcnt vmcnt(0)
	v_add_u32_e32 v111, -1, v3
	v_cmp_eq_u32_e32 vcc, 1, v111
	s_cbranch_vccnz .LBB118_450
; %bb.449:
	v_lshlrev_b32_e32 v3, 3, v111
	buffer_load_dword v4, v3, s[0:3], 0 offen
	buffer_load_dword v5, v3, s[0:3], 0 offen offset:4
	buffer_load_dword v6, off, s[0:3], 0 offset:8
	buffer_load_dword v7, off, s[0:3], 0 offset:12
	s_waitcnt vmcnt(3)
	buffer_store_dword v4, off, s[0:3], 0 offset:8
	s_waitcnt vmcnt(3)
	buffer_store_dword v5, off, s[0:3], 0 offset:12
	s_waitcnt vmcnt(3)
	buffer_store_dword v6, v3, s[0:3], 0 offen
	s_waitcnt vmcnt(3)
	buffer_store_dword v7, v3, s[0:3], 0 offen offset:4
.LBB118_450:
	global_load_dword v0, v0, s[12:13]
	s_waitcnt vmcnt(0)
	v_add_u32_e32 v0, -1, v0
	v_cmp_eq_u32_e32 vcc, 0, v0
	s_cbranch_vccnz .LBB118_452
; %bb.451:
	v_lshlrev_b32_e32 v0, 3, v0
	buffer_load_dword v3, v0, s[0:3], 0 offen
	buffer_load_dword v4, v0, s[0:3], 0 offen offset:4
	buffer_load_dword v5, off, s[0:3], 0 offset:4
	buffer_load_dword v6, off, s[0:3], 0
	s_waitcnt vmcnt(3)
	buffer_store_dword v3, off, s[0:3], 0
	s_waitcnt vmcnt(3)
	buffer_store_dword v4, off, s[0:3], 0 offset:4
	s_waitcnt vmcnt(3)
	buffer_store_dword v5, v0, s[0:3], 0 offen offset:4
	s_waitcnt vmcnt(3)
	buffer_store_dword v6, v0, s[0:3], 0 offen
.LBB118_452:
	buffer_load_dword v111, off, s[0:3], 0
	buffer_load_dword v112, off, s[0:3], 0 offset:4
	s_waitcnt vmcnt(0)
	flat_store_dwordx2 v[1:2], v[111:112]
	buffer_load_dword v0, off, s[0:3], 0 offset:8
	s_nop 0
	buffer_load_dword v1, off, s[0:3], 0 offset:12
	buffer_load_dword v2, off, s[0:3], 0 offset:440 ; 4-byte Folded Reload
	buffer_load_dword v3, off, s[0:3], 0 offset:444 ; 4-byte Folded Reload
	s_waitcnt vmcnt(0)
	flat_store_dwordx2 v[2:3], v[0:1]
	buffer_load_dword v0, off, s[0:3], 0 offset:16
	s_nop 0
	buffer_load_dword v1, off, s[0:3], 0 offset:20
	buffer_load_dword v2, off, s[0:3], 0 offset:448 ; 4-byte Folded Reload
	buffer_load_dword v3, off, s[0:3], 0 offset:452 ; 4-byte Folded Reload
	;; [unrolled: 7-line block ×38, first 2 shown]
	s_waitcnt vmcnt(0)
	flat_store_dwordx2 v[2:3], v[0:1]
	buffer_load_dword v0, off, s[0:3], 0 offset:312
	s_nop 0
	buffer_load_dword v1, off, s[0:3], 0 offset:316
	s_waitcnt vmcnt(0)
	flat_store_dwordx2 v[79:80], v[0:1]
	buffer_load_dword v0, off, s[0:3], 0 offset:320
	s_nop 0
	buffer_load_dword v1, off, s[0:3], 0 offset:324
	;; [unrolled: 5-line block ×16, first 2 shown]
	s_waitcnt vmcnt(0)
	flat_store_dwordx2 v[109:110], v[0:1]
	s_endpgm
	.section	.rodata,"a",@progbits
	.p2align	6, 0x0
	.amdhsa_kernel _ZN9rocsolver6v33100L18getri_kernel_smallILi55E19rocblas_complex_numIfEPKPS3_EEvT1_iilPiilS8_bb
		.amdhsa_group_segment_fixed_size 888
		.amdhsa_private_segment_fixed_size 752
		.amdhsa_kernarg_size 60
		.amdhsa_user_sgpr_count 6
		.amdhsa_user_sgpr_private_segment_buffer 1
		.amdhsa_user_sgpr_dispatch_ptr 0
		.amdhsa_user_sgpr_queue_ptr 0
		.amdhsa_user_sgpr_kernarg_segment_ptr 1
		.amdhsa_user_sgpr_dispatch_id 0
		.amdhsa_user_sgpr_flat_scratch_init 0
		.amdhsa_user_sgpr_private_segment_size 0
		.amdhsa_uses_dynamic_stack 0
		.amdhsa_system_sgpr_private_segment_wavefront_offset 1
		.amdhsa_system_sgpr_workgroup_id_x 1
		.amdhsa_system_sgpr_workgroup_id_y 0
		.amdhsa_system_sgpr_workgroup_id_z 0
		.amdhsa_system_sgpr_workgroup_info 0
		.amdhsa_system_vgpr_workitem_id 0
		.amdhsa_next_free_vgpr 256
		.amdhsa_next_free_sgpr 21
		.amdhsa_reserve_vcc 1
		.amdhsa_reserve_flat_scratch 0
		.amdhsa_float_round_mode_32 0
		.amdhsa_float_round_mode_16_64 0
		.amdhsa_float_denorm_mode_32 3
		.amdhsa_float_denorm_mode_16_64 3
		.amdhsa_dx10_clamp 1
		.amdhsa_ieee_mode 1
		.amdhsa_fp16_overflow 0
		.amdhsa_exception_fp_ieee_invalid_op 0
		.amdhsa_exception_fp_denorm_src 0
		.amdhsa_exception_fp_ieee_div_zero 0
		.amdhsa_exception_fp_ieee_overflow 0
		.amdhsa_exception_fp_ieee_underflow 0
		.amdhsa_exception_fp_ieee_inexact 0
		.amdhsa_exception_int_div_zero 0
	.end_amdhsa_kernel
	.section	.text._ZN9rocsolver6v33100L18getri_kernel_smallILi55E19rocblas_complex_numIfEPKPS3_EEvT1_iilPiilS8_bb,"axG",@progbits,_ZN9rocsolver6v33100L18getri_kernel_smallILi55E19rocblas_complex_numIfEPKPS3_EEvT1_iilPiilS8_bb,comdat
.Lfunc_end118:
	.size	_ZN9rocsolver6v33100L18getri_kernel_smallILi55E19rocblas_complex_numIfEPKPS3_EEvT1_iilPiilS8_bb, .Lfunc_end118-_ZN9rocsolver6v33100L18getri_kernel_smallILi55E19rocblas_complex_numIfEPKPS3_EEvT1_iilPiilS8_bb
                                        ; -- End function
	.set _ZN9rocsolver6v33100L18getri_kernel_smallILi55E19rocblas_complex_numIfEPKPS3_EEvT1_iilPiilS8_bb.num_vgpr, 256
	.set _ZN9rocsolver6v33100L18getri_kernel_smallILi55E19rocblas_complex_numIfEPKPS3_EEvT1_iilPiilS8_bb.num_agpr, 0
	.set _ZN9rocsolver6v33100L18getri_kernel_smallILi55E19rocblas_complex_numIfEPKPS3_EEvT1_iilPiilS8_bb.numbered_sgpr, 21
	.set _ZN9rocsolver6v33100L18getri_kernel_smallILi55E19rocblas_complex_numIfEPKPS3_EEvT1_iilPiilS8_bb.num_named_barrier, 0
	.set _ZN9rocsolver6v33100L18getri_kernel_smallILi55E19rocblas_complex_numIfEPKPS3_EEvT1_iilPiilS8_bb.private_seg_size, 752
	.set _ZN9rocsolver6v33100L18getri_kernel_smallILi55E19rocblas_complex_numIfEPKPS3_EEvT1_iilPiilS8_bb.uses_vcc, 1
	.set _ZN9rocsolver6v33100L18getri_kernel_smallILi55E19rocblas_complex_numIfEPKPS3_EEvT1_iilPiilS8_bb.uses_flat_scratch, 0
	.set _ZN9rocsolver6v33100L18getri_kernel_smallILi55E19rocblas_complex_numIfEPKPS3_EEvT1_iilPiilS8_bb.has_dyn_sized_stack, 0
	.set _ZN9rocsolver6v33100L18getri_kernel_smallILi55E19rocblas_complex_numIfEPKPS3_EEvT1_iilPiilS8_bb.has_recursion, 0
	.set _ZN9rocsolver6v33100L18getri_kernel_smallILi55E19rocblas_complex_numIfEPKPS3_EEvT1_iilPiilS8_bb.has_indirect_call, 0
	.section	.AMDGPU.csdata,"",@progbits
; Kernel info:
; codeLenInByte = 110724
; TotalNumSgprs: 25
; NumVgprs: 256
; ScratchSize: 752
; MemoryBound: 0
; FloatMode: 240
; IeeeMode: 1
; LDSByteSize: 888 bytes/workgroup (compile time only)
; SGPRBlocks: 3
; VGPRBlocks: 63
; NumSGPRsForWavesPerEU: 25
; NumVGPRsForWavesPerEU: 256
; Occupancy: 1
; WaveLimiterHint : 1
; COMPUTE_PGM_RSRC2:SCRATCH_EN: 1
; COMPUTE_PGM_RSRC2:USER_SGPR: 6
; COMPUTE_PGM_RSRC2:TRAP_HANDLER: 0
; COMPUTE_PGM_RSRC2:TGID_X_EN: 1
; COMPUTE_PGM_RSRC2:TGID_Y_EN: 0
; COMPUTE_PGM_RSRC2:TGID_Z_EN: 0
; COMPUTE_PGM_RSRC2:TIDIG_COMP_CNT: 0
	.section	.text._ZN9rocsolver6v33100L18getri_kernel_smallILi56E19rocblas_complex_numIfEPKPS3_EEvT1_iilPiilS8_bb,"axG",@progbits,_ZN9rocsolver6v33100L18getri_kernel_smallILi56E19rocblas_complex_numIfEPKPS3_EEvT1_iilPiilS8_bb,comdat
	.globl	_ZN9rocsolver6v33100L18getri_kernel_smallILi56E19rocblas_complex_numIfEPKPS3_EEvT1_iilPiilS8_bb ; -- Begin function _ZN9rocsolver6v33100L18getri_kernel_smallILi56E19rocblas_complex_numIfEPKPS3_EEvT1_iilPiilS8_bb
	.p2align	8
	.type	_ZN9rocsolver6v33100L18getri_kernel_smallILi56E19rocblas_complex_numIfEPKPS3_EEvT1_iilPiilS8_bb,@function
_ZN9rocsolver6v33100L18getri_kernel_smallILi56E19rocblas_complex_numIfEPKPS3_EEvT1_iilPiilS8_bb: ; @_ZN9rocsolver6v33100L18getri_kernel_smallILi56E19rocblas_complex_numIfEPKPS3_EEvT1_iilPiilS8_bb
; %bb.0:
	s_add_u32 s0, s0, s7
	s_addc_u32 s1, s1, 0
	v_cmp_gt_u32_e32 vcc, 56, v0
	s_and_saveexec_b64 s[8:9], vcc
	s_cbranch_execz .LBB119_238
; %bb.1:
	s_load_dword s18, s[4:5], 0x38
	s_load_dwordx2 s[12:13], s[4:5], 0x0
	s_load_dwordx4 s[8:11], s[4:5], 0x28
	s_waitcnt lgkmcnt(0)
	s_bitcmp1_b32 s18, 8
	s_cselect_b64 s[14:15], -1, 0
	s_ashr_i32 s7, s6, 31
	s_lshl_b64 s[16:17], s[6:7], 3
	s_add_u32 s12, s12, s16
	s_addc_u32 s13, s13, s17
	s_load_dwordx2 s[16:17], s[12:13], 0x0
	s_bfe_u32 s12, s18, 0x10008
	s_cmp_eq_u32 s12, 0
                                        ; implicit-def: $sgpr12_sgpr13
	s_cbranch_scc1 .LBB119_3
; %bb.2:
	s_load_dword s12, s[4:5], 0x20
	s_load_dwordx2 s[18:19], s[4:5], 0x18
	s_mul_i32 s13, s8, s7
	s_mul_hi_u32 s20, s8, s6
	s_add_i32 s20, s20, s13
	s_mul_i32 s9, s9, s6
	s_add_i32 s9, s20, s9
	s_mul_i32 s8, s8, s6
	s_waitcnt lgkmcnt(0)
	s_ashr_i32 s13, s12, 31
	s_lshl_b64 s[8:9], s[8:9], 2
	s_add_u32 s18, s18, s8
	s_addc_u32 s19, s19, s9
	s_lshl_b64 s[8:9], s[12:13], 2
	s_add_u32 s12, s18, s8
	s_addc_u32 s13, s19, s9
.LBB119_3:
	s_load_dwordx2 s[8:9], s[4:5], 0x8
	s_load_dword s18, s[4:5], 0x38
	v_lshlrev_b32_e32 v115, 3, v0
	s_waitcnt lgkmcnt(0)
	s_ashr_i32 s5, s8, 31
	s_mov_b32 s4, s8
	s_lshl_b64 s[4:5], s[4:5], 3
	s_add_u32 s4, s16, s4
	s_addc_u32 s5, s17, s5
	v_mov_b32_e32 v2, s5
	v_add_co_u32_e32 v1, vcc, s4, v115
	v_addc_co_u32_e32 v2, vcc, 0, v2, vcc
	flat_load_dwordx2 v[3:4], v[1:2]
	s_mov_b32 s16, s9
	s_ashr_i32 s17, s9, 31
	s_lshl_b64 s[16:17], s[16:17], 3
	v_mov_b32_e32 v5, s17
	v_add_co_u32_e32 v6, vcc, s16, v1
	v_addc_co_u32_e32 v7, vcc, v2, v5, vcc
	s_add_i32 s8, s9, s9
	v_add_u32_e32 v5, s8, v0
	v_mov_b32_e32 v8, s5
	v_mov_b32_e32 v9, s5
	s_bitcmp0_b32 s18, 0
	s_waitcnt vmcnt(0) lgkmcnt(0)
	buffer_store_dword v4, off, s[0:3], 0 offset:4
	buffer_store_dword v3, off, s[0:3], 0
	buffer_store_dword v6, off, s[0:3], 0 offset:448 ; 4-byte Folded Spill
	s_nop 0
	buffer_store_dword v7, off, s[0:3], 0 offset:452 ; 4-byte Folded Spill
	flat_load_dwordx2 v[3:4], v[6:7]
	v_ashrrev_i32_e32 v6, 31, v5
	v_lshlrev_b64 v[6:7], 3, v[5:6]
	v_add_u32_e32 v5, s9, v5
	v_add_co_u32_e32 v6, vcc, s4, v6
	v_addc_co_u32_e32 v7, vcc, v8, v7, vcc
	s_waitcnt vmcnt(0) lgkmcnt(0)
	buffer_store_dword v4, off, s[0:3], 0 offset:12
	buffer_store_dword v3, off, s[0:3], 0 offset:8
	buffer_store_dword v6, off, s[0:3], 0 offset:456 ; 4-byte Folded Spill
	s_nop 0
	buffer_store_dword v7, off, s[0:3], 0 offset:460 ; 4-byte Folded Spill
	flat_load_dwordx2 v[3:4], v[6:7]
	v_ashrrev_i32_e32 v6, 31, v5
	v_lshlrev_b64 v[7:8], 3, v[5:6]
	v_add_u32_e32 v5, s9, v5
	v_add_co_u32_e32 v6, vcc, s4, v7
	v_addc_co_u32_e32 v7, vcc, v9, v8, vcc
	s_waitcnt vmcnt(0) lgkmcnt(0)
	buffer_store_dword v4, off, s[0:3], 0 offset:20
	buffer_store_dword v3, off, s[0:3], 0 offset:16
	buffer_store_dword v6, off, s[0:3], 0 offset:464 ; 4-byte Folded Spill
	s_nop 0
	buffer_store_dword v7, off, s[0:3], 0 offset:468 ; 4-byte Folded Spill
	flat_load_dwordx2 v[3:4], v[6:7]
	v_ashrrev_i32_e32 v6, 31, v5
	v_lshlrev_b64 v[9:10], 3, v[5:6]
	v_mov_b32_e32 v7, s5
	v_add_co_u32_e32 v6, vcc, s4, v9
	v_addc_co_u32_e32 v7, vcc, v7, v10, vcc
	v_add_u32_e32 v5, s9, v5
	s_waitcnt vmcnt(0) lgkmcnt(0)
	buffer_store_dword v4, off, s[0:3], 0 offset:28
	buffer_store_dword v3, off, s[0:3], 0 offset:24
	buffer_store_dword v6, off, s[0:3], 0 offset:472 ; 4-byte Folded Spill
	s_nop 0
	buffer_store_dword v7, off, s[0:3], 0 offset:476 ; 4-byte Folded Spill
	flat_load_dwordx2 v[3:4], v[6:7]
	v_ashrrev_i32_e32 v6, 31, v5
	v_lshlrev_b64 v[11:12], 3, v[5:6]
	v_mov_b32_e32 v7, s5
	v_add_co_u32_e32 v6, vcc, s4, v11
	v_addc_co_u32_e32 v7, vcc, v7, v12, vcc
	v_add_u32_e32 v5, s9, v5
	;; [unrolled: 13-line block ×39, first 2 shown]
	v_ashrrev_i32_e32 v6, 31, v5
	v_lshlrev_b64 v[87:88], 3, v[5:6]
	v_add_u32_e32 v5, s9, v5
	v_add_co_u32_e32 v87, vcc, s4, v87
	v_addc_co_u32_e32 v88, vcc, v7, v88, vcc
	v_ashrrev_i32_e32 v6, 31, v5
	v_lshlrev_b64 v[89:90], 3, v[5:6]
	v_add_u32_e32 v5, s9, v5
	v_add_co_u32_e32 v89, vcc, s4, v89
	v_addc_co_u32_e32 v90, vcc, v7, v90, vcc
	;; [unrolled: 5-line block ×9, first 2 shown]
	v_ashrrev_i32_e32 v6, 31, v5
	v_lshlrev_b64 v[105:106], 3, v[5:6]
	v_add_u32_e32 v5, s9, v5
	v_add_co_u32_e32 v105, vcc, s4, v105
	s_waitcnt vmcnt(0) lgkmcnt(0)
	buffer_store_dword v4, off, s[0:3], 0 offset:332
	buffer_store_dword v3, off, s[0:3], 0 offset:328
	flat_load_dwordx2 v[3:4], v[85:86]
	v_addc_co_u32_e32 v106, vcc, v7, v106, vcc
	v_ashrrev_i32_e32 v6, 31, v5
	v_lshlrev_b64 v[107:108], 3, v[5:6]
	v_add_u32_e32 v5, s9, v5
	v_add_co_u32_e32 v107, vcc, s4, v107
	v_addc_co_u32_e32 v108, vcc, v7, v108, vcc
	v_ashrrev_i32_e32 v6, 31, v5
	v_lshlrev_b64 v[109:110], 3, v[5:6]
	v_add_u32_e32 v5, s9, v5
	v_add_co_u32_e32 v109, vcc, s4, v109
	v_addc_co_u32_e32 v110, vcc, v7, v110, vcc
	v_ashrrev_i32_e32 v6, 31, v5
	v_lshlrev_b64 v[5:6], 3, v[5:6]
	s_mov_b64 s[8:9], -1
	v_add_co_u32_e32 v111, vcc, s4, v5
	v_addc_co_u32_e32 v112, vcc, v7, v6, vcc
	s_waitcnt vmcnt(0) lgkmcnt(0)
	buffer_store_dword v4, off, s[0:3], 0 offset:340
	buffer_store_dword v3, off, s[0:3], 0 offset:336
	flat_load_dwordx2 v[3:4], v[87:88]
	s_waitcnt vmcnt(0) lgkmcnt(0)
	buffer_store_dword v4, off, s[0:3], 0 offset:348
	buffer_store_dword v3, off, s[0:3], 0 offset:344
	flat_load_dwordx2 v[3:4], v[89:90]
	;; [unrolled: 4-line block ×13, first 2 shown]
	s_waitcnt vmcnt(0) lgkmcnt(0)
	buffer_store_dword v4, off, s[0:3], 0 offset:444
	buffer_store_dword v3, off, s[0:3], 0 offset:440
	s_cbranch_scc1 .LBB119_236
; %bb.4:
	v_cmp_eq_u32_e64 s[4:5], 0, v0
	s_and_saveexec_b64 s[8:9], s[4:5]
; %bb.5:
	v_mov_b32_e32 v3, 0
	ds_write_b32 v3, v3 offset:896
; %bb.6:
	s_or_b64 exec, exec, s[8:9]
	v_mov_b32_e32 v3, 0
	v_lshl_add_u32 v117, v0, 3, v3
	s_waitcnt lgkmcnt(0)
	; wave barrier
	buffer_load_dword v3, v117, s[0:3], 0 offen
	buffer_load_dword v4, v117, s[0:3], 0 offen offset:4
	s_waitcnt vmcnt(1)
	v_cmp_eq_f32_e32 vcc, 0, v3
	s_waitcnt vmcnt(0)
	v_cmp_eq_f32_e64 s[8:9], 0, v4
	s_and_b64 s[8:9], vcc, s[8:9]
	s_and_saveexec_b64 s[16:17], s[8:9]
	s_cbranch_execz .LBB119_10
; %bb.7:
	v_mov_b32_e32 v113, 0
	ds_read_b32 v3, v113 offset:896
	v_add_u32_e32 v114, 1, v0
	s_waitcnt lgkmcnt(0)
	v_readfirstlane_b32 s8, v3
	s_cmp_eq_u32 s8, 0
	s_cselect_b64 s[18:19], -1, 0
	v_cmp_gt_i32_e32 vcc, s8, v114
	s_or_b64 s[18:19], s[18:19], vcc
	s_and_b64 exec, exec, s[18:19]
	s_cbranch_execz .LBB119_10
; %bb.8:
	s_mov_b64 s[18:19], 0
	v_mov_b32_e32 v116, s8
.LBB119_9:                              ; =>This Inner Loop Header: Depth=1
	ds_cmpst_rtn_b32 v116, v113, v116, v114 offset:896
	s_waitcnt lgkmcnt(0)
	v_cmp_ne_u32_e32 vcc, 0, v116
	v_cmp_le_i32_e64 s[8:9], v116, v114
	s_and_b64 s[8:9], vcc, s[8:9]
	s_and_b64 s[8:9], exec, s[8:9]
	s_or_b64 s[18:19], s[8:9], s[18:19]
	s_andn2_b64 exec, exec, s[18:19]
	s_cbranch_execnz .LBB119_9
.LBB119_10:
	s_or_b64 exec, exec, s[16:17]
	v_mov_b32_e32 v114, 0
	; wave barrier
	ds_read_b32 v113, v114 offset:896
	s_and_saveexec_b64 s[8:9], s[4:5]
	s_cbranch_execz .LBB119_12
; %bb.11:
	s_lshl_b64 s[16:17], s[6:7], 2
	s_add_u32 s16, s10, s16
	s_addc_u32 s17, s11, s17
	s_waitcnt lgkmcnt(0)
	global_store_dword v114, v113, s[16:17]
.LBB119_12:
	s_or_b64 exec, exec, s[8:9]
	s_waitcnt lgkmcnt(0)
	v_cmp_ne_u32_e32 vcc, 0, v113
	s_mov_b64 s[8:9], 0
	s_cbranch_vccnz .LBB119_236
; %bb.13:
	buffer_load_dword v114, v117, s[0:3], 0 offen
	buffer_load_dword v116, v117, s[0:3], 0 offen offset:4
                                        ; implicit-def: $vgpr119
                                        ; implicit-def: $vgpr118
                                        ; implicit-def: $vgpr113
	s_waitcnt vmcnt(0)
	v_cmp_ngt_f32_e64 s[8:9], |v114|, |v116|
	s_and_saveexec_b64 s[16:17], s[8:9]
	s_xor_b64 s[8:9], exec, s[16:17]
	s_cbranch_execz .LBB119_15
; %bb.14:
	v_div_scale_f32 v3, s[16:17], v116, v116, v114
	v_div_scale_f32 v4, vcc, v114, v116, v114
	v_rcp_f32_e32 v5, v3
	v_fma_f32 v6, -v3, v5, 1.0
	v_fmac_f32_e32 v5, v6, v5
	v_mul_f32_e32 v6, v4, v5
	v_fma_f32 v7, -v3, v6, v4
	v_fmac_f32_e32 v6, v7, v5
	v_fma_f32 v3, -v3, v6, v4
	v_div_fmas_f32 v3, v3, v5, v6
	v_div_fixup_f32 v3, v3, v116, v114
	v_fmac_f32_e32 v116, v114, v3
	v_div_scale_f32 v4, s[16:17], v116, v116, 1.0
	v_div_scale_f32 v5, vcc, 1.0, v116, 1.0
                                        ; implicit-def: $vgpr114
	v_rcp_f32_e32 v6, v4
	v_fma_f32 v7, -v4, v6, 1.0
	v_fmac_f32_e32 v6, v7, v6
	v_mul_f32_e32 v7, v5, v6
	v_fma_f32 v8, -v4, v7, v5
	v_fmac_f32_e32 v7, v8, v6
	v_fma_f32 v4, -v4, v7, v5
	v_div_fmas_f32 v4, v4, v6, v7
	v_div_fixup_f32 v4, v4, v116, 1.0
	v_mul_f32_e32 v119, v3, v4
	v_xor_b32_e32 v118, 0x80000000, v4
	v_xor_b32_e32 v113, 0x80000000, v119
                                        ; implicit-def: $vgpr116
.LBB119_15:
	s_andn2_saveexec_b64 s[8:9], s[8:9]
	s_cbranch_execz .LBB119_17
; %bb.16:
	v_div_scale_f32 v3, s[16:17], v114, v114, v116
	v_div_scale_f32 v4, vcc, v116, v114, v116
	v_rcp_f32_e32 v5, v3
	v_fma_f32 v6, -v3, v5, 1.0
	v_fmac_f32_e32 v5, v6, v5
	v_mul_f32_e32 v6, v4, v5
	v_fma_f32 v7, -v3, v6, v4
	v_fmac_f32_e32 v6, v7, v5
	v_fma_f32 v3, -v3, v6, v4
	v_div_fmas_f32 v3, v3, v5, v6
	v_div_fixup_f32 v3, v3, v114, v116
	v_fmac_f32_e32 v114, v116, v3
	v_div_scale_f32 v4, s[16:17], v114, v114, 1.0
	v_div_scale_f32 v5, vcc, 1.0, v114, 1.0
	v_rcp_f32_e32 v6, v4
	v_fma_f32 v7, -v4, v6, 1.0
	v_fmac_f32_e32 v6, v7, v6
	v_mul_f32_e32 v7, v5, v6
	v_fma_f32 v8, -v4, v7, v5
	v_fmac_f32_e32 v7, v8, v6
	v_fma_f32 v4, -v4, v7, v5
	v_div_fmas_f32 v4, v4, v6, v7
	v_div_fixup_f32 v119, v4, v114, 1.0
	v_xor_b32_e32 v113, 0x80000000, v119
	v_mul_f32_e64 v118, v3, -v119
.LBB119_17:
	s_or_b64 exec, exec, s[8:9]
	buffer_store_dword v119, v117, s[0:3], 0 offen
	buffer_store_dword v118, v117, s[0:3], 0 offen offset:4
	buffer_load_dword v4, off, s[0:3], 0 offset:12
	buffer_load_dword v3, off, s[0:3], 0 offset:8
	v_xor_b32_e32 v114, 0x80000000, v118
	v_add_u32_e32 v116, 0x1c0, v115
	s_waitcnt vmcnt(0)
	ds_write2_b64 v115, v[113:114], v[3:4] offset1:56
	s_waitcnt lgkmcnt(0)
	; wave barrier
	s_and_saveexec_b64 s[8:9], s[4:5]
	s_cbranch_execz .LBB119_19
; %bb.18:
	buffer_load_dword v7, v117, s[0:3], 0 offen offset:4
	buffer_load_dword v8, v117, s[0:3], 0 offen
	ds_read_b64 v[3:4], v116
	v_mov_b32_e32 v5, 0
	ds_read_b64 v[5:6], v5 offset:8
	s_waitcnt vmcnt(1) lgkmcnt(1)
	v_mul_f32_e32 v113, v4, v7
	v_mul_f32_e32 v7, v3, v7
	s_waitcnt vmcnt(0)
	v_fmac_f32_e32 v7, v4, v8
	v_fma_f32 v3, v3, v8, -v113
	v_add_f32_e32 v4, 0, v7
	v_add_f32_e32 v3, 0, v3
	s_waitcnt lgkmcnt(0)
	v_mul_f32_e32 v7, v4, v6
	v_mul_f32_e32 v6, v3, v6
	v_fma_f32 v3, v3, v5, -v7
	v_fmac_f32_e32 v6, v4, v5
	buffer_store_dword v3, off, s[0:3], 0 offset:8
	buffer_store_dword v6, off, s[0:3], 0 offset:12
.LBB119_19:
	s_or_b64 exec, exec, s[8:9]
	; wave barrier
	buffer_load_dword v3, off, s[0:3], 0 offset:16
	buffer_load_dword v4, off, s[0:3], 0 offset:20
	v_cmp_gt_u32_e32 vcc, 2, v0
	s_waitcnt vmcnt(0)
	ds_write_b64 v116, v[3:4]
	s_waitcnt lgkmcnt(0)
	; wave barrier
	s_and_saveexec_b64 s[8:9], vcc
	s_cbranch_execz .LBB119_23
; %bb.20:
	buffer_load_dword v5, v117, s[0:3], 0 offen offset:4
	buffer_load_dword v6, v117, s[0:3], 0 offen
	ds_read_b64 v[3:4], v116
	s_waitcnt vmcnt(1) lgkmcnt(0)
	v_mul_f32_e32 v7, v4, v5
	v_mul_f32_e32 v5, v3, v5
	s_waitcnt vmcnt(0)
	v_fma_f32 v3, v3, v6, -v7
	v_fmac_f32_e32 v5, v4, v6
	v_add_f32_e32 v114, 0, v3
	v_add_f32_e32 v113, 0, v5
	s_and_saveexec_b64 s[16:17], s[4:5]
	s_cbranch_execz .LBB119_22
; %bb.21:
	buffer_load_dword v5, off, s[0:3], 0 offset:12
	buffer_load_dword v6, off, s[0:3], 0 offset:8
	v_mov_b32_e32 v3, 0
	ds_read_b64 v[3:4], v3 offset:456
	s_waitcnt vmcnt(1) lgkmcnt(0)
	v_mul_f32_e32 v7, v3, v5
	v_mul_f32_e32 v5, v4, v5
	s_waitcnt vmcnt(0)
	v_fmac_f32_e32 v7, v4, v6
	v_fma_f32 v3, v3, v6, -v5
	v_add_f32_e32 v113, v113, v7
	v_add_f32_e32 v114, v114, v3
.LBB119_22:
	s_or_b64 exec, exec, s[16:17]
	v_mov_b32_e32 v3, 0
	ds_read_b64 v[3:4], v3 offset:16
	s_waitcnt lgkmcnt(0)
	v_mul_f32_e32 v5, v113, v4
	v_mul_f32_e32 v4, v114, v4
	v_fma_f32 v5, v114, v3, -v5
	v_fmac_f32_e32 v4, v113, v3
	buffer_store_dword v5, off, s[0:3], 0 offset:16
	buffer_store_dword v4, off, s[0:3], 0 offset:20
.LBB119_23:
	s_or_b64 exec, exec, s[8:9]
	; wave barrier
	buffer_load_dword v3, off, s[0:3], 0 offset:24
	buffer_load_dword v4, off, s[0:3], 0 offset:28
	v_cmp_gt_u32_e32 vcc, 3, v0
	v_add_u32_e32 v113, -1, v0
	s_waitcnt vmcnt(0)
	ds_write_b64 v116, v[3:4]
	s_waitcnt lgkmcnt(0)
	; wave barrier
	s_and_saveexec_b64 s[4:5], vcc
	s_cbranch_execz .LBB119_27
; %bb.24:
	v_add_u32_e32 v117, -1, v0
	v_add_u32_e32 v118, 0x1c0, v115
	v_mov_b32_e32 v119, v115
	v_mov_b32_e32 v114, 0
	s_mov_b64 s[8:9], 0
	v_mov_b32_e32 v120, 0
.LBB119_25:                             ; =>This Inner Loop Header: Depth=1
	buffer_load_dword v5, v119, s[0:3], 0 offen offset:4
	buffer_load_dword v6, v119, s[0:3], 0 offen
	ds_read_b64 v[3:4], v118
	v_add_u32_e32 v117, 1, v117
	v_cmp_lt_u32_e32 vcc, 1, v117
	v_add_u32_e32 v118, 8, v118
	v_add_u32_e32 v119, 8, v119
	s_or_b64 s[8:9], vcc, s[8:9]
	s_waitcnt vmcnt(1) lgkmcnt(0)
	v_mul_f32_e32 v7, v4, v5
	v_mul_f32_e32 v5, v3, v5
	s_waitcnt vmcnt(0)
	v_fma_f32 v3, v3, v6, -v7
	v_fmac_f32_e32 v5, v4, v6
	v_add_f32_e32 v120, v120, v3
	v_add_f32_e32 v114, v114, v5
	s_andn2_b64 exec, exec, s[8:9]
	s_cbranch_execnz .LBB119_25
; %bb.26:
	s_or_b64 exec, exec, s[8:9]
	v_mov_b32_e32 v3, 0
	ds_read_b64 v[3:4], v3 offset:24
	s_waitcnt lgkmcnt(0)
	v_mul_f32_e32 v5, v114, v4
	v_mul_f32_e32 v4, v120, v4
	v_fma_f32 v5, v120, v3, -v5
	v_fmac_f32_e32 v4, v114, v3
	buffer_store_dword v5, off, s[0:3], 0 offset:24
	buffer_store_dword v4, off, s[0:3], 0 offset:28
.LBB119_27:
	s_or_b64 exec, exec, s[4:5]
	; wave barrier
	buffer_load_dword v3, off, s[0:3], 0 offset:32
	buffer_load_dword v4, off, s[0:3], 0 offset:36
	v_cmp_gt_u32_e32 vcc, 4, v0
	s_waitcnt vmcnt(0)
	ds_write_b64 v116, v[3:4]
	s_waitcnt lgkmcnt(0)
	; wave barrier
	s_and_saveexec_b64 s[4:5], vcc
	s_cbranch_execz .LBB119_31
; %bb.28:
	v_add_u32_e32 v117, -1, v0
	v_add_u32_e32 v118, 0x1c0, v115
	v_mov_b32_e32 v119, v115
	v_mov_b32_e32 v114, 0
	s_mov_b64 s[8:9], 0
	v_mov_b32_e32 v120, 0
.LBB119_29:                             ; =>This Inner Loop Header: Depth=1
	buffer_load_dword v5, v119, s[0:3], 0 offen offset:4
	buffer_load_dword v6, v119, s[0:3], 0 offen
	ds_read_b64 v[3:4], v118
	v_add_u32_e32 v117, 1, v117
	v_cmp_lt_u32_e32 vcc, 2, v117
	v_add_u32_e32 v118, 8, v118
	v_add_u32_e32 v119, 8, v119
	s_or_b64 s[8:9], vcc, s[8:9]
	s_waitcnt vmcnt(1) lgkmcnt(0)
	v_mul_f32_e32 v7, v4, v5
	v_mul_f32_e32 v5, v3, v5
	s_waitcnt vmcnt(0)
	v_fma_f32 v3, v3, v6, -v7
	v_fmac_f32_e32 v5, v4, v6
	v_add_f32_e32 v120, v120, v3
	v_add_f32_e32 v114, v114, v5
	s_andn2_b64 exec, exec, s[8:9]
	s_cbranch_execnz .LBB119_29
; %bb.30:
	s_or_b64 exec, exec, s[8:9]
	v_mov_b32_e32 v3, 0
	ds_read_b64 v[3:4], v3 offset:32
	s_waitcnt lgkmcnt(0)
	v_mul_f32_e32 v5, v114, v4
	v_mul_f32_e32 v4, v120, v4
	v_fma_f32 v5, v120, v3, -v5
	v_fmac_f32_e32 v4, v114, v3
	buffer_store_dword v5, off, s[0:3], 0 offset:32
	buffer_store_dword v4, off, s[0:3], 0 offset:36
.LBB119_31:
	s_or_b64 exec, exec, s[4:5]
	; wave barrier
	buffer_load_dword v3, off, s[0:3], 0 offset:40
	buffer_load_dword v4, off, s[0:3], 0 offset:44
	v_cmp_gt_u32_e32 vcc, 5, v0
	;; [unrolled: 49-line block ×19, first 2 shown]
	s_waitcnt vmcnt(0)
	ds_write_b64 v116, v[3:4]
	s_waitcnt lgkmcnt(0)
	; wave barrier
	s_and_saveexec_b64 s[4:5], vcc
	s_cbranch_execz .LBB119_103
; %bb.100:
	v_add_u32_e32 v117, -1, v0
	v_add_u32_e32 v118, 0x1c0, v115
	v_mov_b32_e32 v119, v115
	v_mov_b32_e32 v114, 0
	s_mov_b64 s[8:9], 0
	v_mov_b32_e32 v120, 0
.LBB119_101:                            ; =>This Inner Loop Header: Depth=1
	buffer_load_dword v5, v119, s[0:3], 0 offen offset:4
	buffer_load_dword v6, v119, s[0:3], 0 offen
	ds_read_b64 v[3:4], v118
	v_add_u32_e32 v117, 1, v117
	v_cmp_lt_u32_e32 vcc, 20, v117
	v_add_u32_e32 v118, 8, v118
	v_add_u32_e32 v119, 8, v119
	s_or_b64 s[8:9], vcc, s[8:9]
	s_waitcnt vmcnt(1) lgkmcnt(0)
	v_mul_f32_e32 v7, v4, v5
	v_mul_f32_e32 v5, v3, v5
	s_waitcnt vmcnt(0)
	v_fma_f32 v3, v3, v6, -v7
	v_fmac_f32_e32 v5, v4, v6
	v_add_f32_e32 v120, v120, v3
	v_add_f32_e32 v114, v114, v5
	s_andn2_b64 exec, exec, s[8:9]
	s_cbranch_execnz .LBB119_101
; %bb.102:
	s_or_b64 exec, exec, s[8:9]
	v_mov_b32_e32 v3, 0
	ds_read_b64 v[3:4], v3 offset:176
	s_waitcnt lgkmcnt(0)
	v_mul_f32_e32 v5, v114, v4
	v_mul_f32_e32 v4, v120, v4
	v_fma_f32 v5, v120, v3, -v5
	v_fmac_f32_e32 v4, v114, v3
	buffer_store_dword v5, off, s[0:3], 0 offset:176
	buffer_store_dword v4, off, s[0:3], 0 offset:180
.LBB119_103:
	s_or_b64 exec, exec, s[4:5]
	; wave barrier
	buffer_load_dword v3, off, s[0:3], 0 offset:184
	buffer_load_dword v4, off, s[0:3], 0 offset:188
	v_cmp_gt_u32_e32 vcc, 23, v0
	s_waitcnt vmcnt(0)
	ds_write_b64 v116, v[3:4]
	s_waitcnt lgkmcnt(0)
	; wave barrier
	s_and_saveexec_b64 s[4:5], vcc
	s_cbranch_execz .LBB119_107
; %bb.104:
	v_add_u32_e32 v117, -1, v0
	v_add_u32_e32 v118, 0x1c0, v115
	v_mov_b32_e32 v119, v115
	v_mov_b32_e32 v114, 0
	s_mov_b64 s[8:9], 0
	v_mov_b32_e32 v120, 0
.LBB119_105:                            ; =>This Inner Loop Header: Depth=1
	buffer_load_dword v5, v119, s[0:3], 0 offen offset:4
	buffer_load_dword v6, v119, s[0:3], 0 offen
	ds_read_b64 v[3:4], v118
	v_add_u32_e32 v117, 1, v117
	v_cmp_lt_u32_e32 vcc, 21, v117
	v_add_u32_e32 v118, 8, v118
	v_add_u32_e32 v119, 8, v119
	s_or_b64 s[8:9], vcc, s[8:9]
	s_waitcnt vmcnt(1) lgkmcnt(0)
	v_mul_f32_e32 v7, v4, v5
	v_mul_f32_e32 v5, v3, v5
	s_waitcnt vmcnt(0)
	v_fma_f32 v3, v3, v6, -v7
	v_fmac_f32_e32 v5, v4, v6
	v_add_f32_e32 v120, v120, v3
	v_add_f32_e32 v114, v114, v5
	s_andn2_b64 exec, exec, s[8:9]
	s_cbranch_execnz .LBB119_105
; %bb.106:
	s_or_b64 exec, exec, s[8:9]
	v_mov_b32_e32 v3, 0
	ds_read_b64 v[3:4], v3 offset:184
	s_waitcnt lgkmcnt(0)
	v_mul_f32_e32 v5, v114, v4
	v_mul_f32_e32 v4, v120, v4
	v_fma_f32 v5, v120, v3, -v5
	v_fmac_f32_e32 v4, v114, v3
	buffer_store_dword v5, off, s[0:3], 0 offset:184
	buffer_store_dword v4, off, s[0:3], 0 offset:188
.LBB119_107:
	s_or_b64 exec, exec, s[4:5]
	; wave barrier
	buffer_load_dword v3, off, s[0:3], 0 offset:192
	buffer_load_dword v4, off, s[0:3], 0 offset:196
	v_cmp_gt_u32_e32 vcc, 24, v0
	;; [unrolled: 49-line block ×32, first 2 shown]
	s_waitcnt vmcnt(0)
	ds_write_b64 v116, v[3:4]
	s_waitcnt lgkmcnt(0)
	; wave barrier
	s_and_saveexec_b64 s[4:5], vcc
	s_cbranch_execz .LBB119_231
; %bb.228:
	v_add_u32_e32 v117, -1, v0
	v_add_u32_e32 v118, 0x1c0, v115
	v_mov_b32_e32 v119, v115
	v_mov_b32_e32 v114, 0
	s_mov_b64 s[8:9], 0
	v_mov_b32_e32 v120, 0
.LBB119_229:                            ; =>This Inner Loop Header: Depth=1
	buffer_load_dword v5, v119, s[0:3], 0 offen offset:4
	buffer_load_dword v6, v119, s[0:3], 0 offen
	ds_read_b64 v[3:4], v118
	v_add_u32_e32 v117, 1, v117
	v_cmp_lt_u32_e32 vcc, 52, v117
	v_add_u32_e32 v118, 8, v118
	v_add_u32_e32 v119, 8, v119
	s_or_b64 s[8:9], vcc, s[8:9]
	s_waitcnt vmcnt(1) lgkmcnt(0)
	v_mul_f32_e32 v7, v4, v5
	v_mul_f32_e32 v5, v3, v5
	s_waitcnt vmcnt(0)
	v_fma_f32 v3, v3, v6, -v7
	v_fmac_f32_e32 v5, v4, v6
	v_add_f32_e32 v120, v120, v3
	v_add_f32_e32 v114, v114, v5
	s_andn2_b64 exec, exec, s[8:9]
	s_cbranch_execnz .LBB119_229
; %bb.230:
	s_or_b64 exec, exec, s[8:9]
	v_mov_b32_e32 v3, 0
	ds_read_b64 v[3:4], v3 offset:432
	s_waitcnt lgkmcnt(0)
	v_mul_f32_e32 v5, v114, v4
	v_mul_f32_e32 v4, v120, v4
	v_fma_f32 v5, v120, v3, -v5
	v_fmac_f32_e32 v4, v114, v3
	buffer_store_dword v5, off, s[0:3], 0 offset:432
	buffer_store_dword v4, off, s[0:3], 0 offset:436
.LBB119_231:
	s_or_b64 exec, exec, s[4:5]
	; wave barrier
	buffer_load_dword v3, off, s[0:3], 0 offset:440
	buffer_load_dword v4, off, s[0:3], 0 offset:444
	v_cmp_ne_u32_e32 vcc, 55, v0
	s_waitcnt vmcnt(0)
	ds_write_b64 v116, v[3:4]
	s_waitcnt lgkmcnt(0)
	; wave barrier
	s_and_saveexec_b64 s[4:5], vcc
	s_cbranch_execz .LBB119_235
; %bb.232:
	v_add_u32_e32 v116, 0x1c0, v115
	v_mov_b32_e32 v114, 0
	s_mov_b64 s[8:9], 0
	v_mov_b32_e32 v117, 0
.LBB119_233:                            ; =>This Inner Loop Header: Depth=1
	buffer_load_dword v5, v115, s[0:3], 0 offen offset:4
	buffer_load_dword v6, v115, s[0:3], 0 offen
	ds_read_b64 v[3:4], v116
	v_add_u32_e32 v113, 1, v113
	v_cmp_lt_u32_e32 vcc, 53, v113
	v_add_u32_e32 v116, 8, v116
	v_add_u32_e32 v115, 8, v115
	s_or_b64 s[8:9], vcc, s[8:9]
	s_waitcnt vmcnt(1) lgkmcnt(0)
	v_mul_f32_e32 v7, v4, v5
	v_mul_f32_e32 v5, v3, v5
	s_waitcnt vmcnt(0)
	v_fma_f32 v3, v3, v6, -v7
	v_fmac_f32_e32 v5, v4, v6
	v_add_f32_e32 v117, v117, v3
	v_add_f32_e32 v114, v114, v5
	s_andn2_b64 exec, exec, s[8:9]
	s_cbranch_execnz .LBB119_233
; %bb.234:
	s_or_b64 exec, exec, s[8:9]
	v_mov_b32_e32 v3, 0
	ds_read_b64 v[3:4], v3 offset:440
	s_waitcnt lgkmcnt(0)
	v_mul_f32_e32 v5, v114, v4
	v_mul_f32_e32 v4, v117, v4
	v_fma_f32 v5, v117, v3, -v5
	v_fmac_f32_e32 v4, v114, v3
	buffer_store_dword v5, off, s[0:3], 0 offset:440
	buffer_store_dword v4, off, s[0:3], 0 offset:444
.LBB119_235:
	s_or_b64 exec, exec, s[4:5]
	s_mov_b64 s[8:9], -1
	; wave barrier
.LBB119_236:
	s_and_b64 vcc, exec, s[8:9]
	s_cbranch_vccz .LBB119_238
; %bb.237:
	s_lshl_b64 s[4:5], s[6:7], 2
	s_add_u32 s4, s10, s4
	s_addc_u32 s5, s11, s5
	v_mov_b32_e32 v3, 0
	global_load_dword v3, v3, s[4:5]
	s_waitcnt vmcnt(0)
	v_cmp_ne_u32_e32 vcc, 0, v3
	s_cbranch_vccz .LBB119_239
.LBB119_238:
	s_endpgm
.LBB119_239:
	v_mov_b32_e32 v3, 0x1c0
	v_lshl_add_u32 v113, v0, 3, v3
	v_cmp_eq_u32_e32 vcc, 55, v0
	s_and_saveexec_b64 s[4:5], vcc
	s_cbranch_execz .LBB119_241
; %bb.240:
	buffer_load_dword v3, off, s[0:3], 0 offset:432
	buffer_load_dword v4, off, s[0:3], 0 offset:436
	v_mov_b32_e32 v5, 0
	buffer_store_dword v5, off, s[0:3], 0 offset:432
	buffer_store_dword v5, off, s[0:3], 0 offset:436
	s_waitcnt vmcnt(2)
	ds_write_b64 v113, v[3:4]
.LBB119_241:
	s_or_b64 exec, exec, s[4:5]
	s_waitcnt lgkmcnt(0)
	; wave barrier
	buffer_load_dword v5, off, s[0:3], 0 offset:444
	buffer_load_dword v6, off, s[0:3], 0 offset:440
	;; [unrolled: 1-line block ×4, first 2 shown]
	v_mov_b32_e32 v114, 0
	ds_read_b64 v[3:4], v114 offset:888
	v_cmp_lt_u32_e32 vcc, 53, v0
	s_waitcnt vmcnt(3) lgkmcnt(0)
	v_mul_f32_e32 v115, v3, v5
	v_mul_f32_e32 v5, v4, v5
	s_waitcnt vmcnt(2)
	v_fma_f32 v3, v3, v6, -v5
	v_fmac_f32_e32 v115, v4, v6
	v_add_f32_e32 v3, 0, v3
	v_add_f32_e32 v4, 0, v115
	s_waitcnt vmcnt(1)
	v_sub_f32_e32 v3, v7, v3
	s_waitcnt vmcnt(0)
	v_sub_f32_e32 v4, v8, v4
	buffer_store_dword v3, off, s[0:3], 0 offset:432
	buffer_store_dword v4, off, s[0:3], 0 offset:436
	s_and_saveexec_b64 s[4:5], vcc
	s_cbranch_execz .LBB119_243
; %bb.242:
	buffer_load_dword v3, off, s[0:3], 0 offset:424
	buffer_load_dword v4, off, s[0:3], 0 offset:428
	s_waitcnt vmcnt(0)
	ds_write_b64 v113, v[3:4]
	buffer_store_dword v114, off, s[0:3], 0 offset:424
	buffer_store_dword v114, off, s[0:3], 0 offset:428
.LBB119_243:
	s_or_b64 exec, exec, s[4:5]
	s_waitcnt lgkmcnt(0)
	; wave barrier
	buffer_load_dword v3, off, s[0:3], 0 offset:436
	buffer_load_dword v4, off, s[0:3], 0 offset:444
	;; [unrolled: 1-line block ×6, first 2 shown]
	ds_read_b128 v[114:117], v114 offset:880
	v_cmp_lt_u32_e32 vcc, 52, v0
	s_waitcnt vmcnt(5) lgkmcnt(0)
	v_mul_f32_e32 v118, v114, v3
	v_mul_f32_e32 v3, v115, v3
	s_waitcnt vmcnt(4)
	v_mul_f32_e32 v119, v116, v4
	v_mul_f32_e32 v4, v117, v4
	s_waitcnt vmcnt(3)
	v_fma_f32 v3, v114, v5, -v3
	v_fmac_f32_e32 v118, v115, v5
	s_waitcnt vmcnt(2)
	v_fma_f32 v4, v116, v6, -v4
	v_add_f32_e32 v3, 0, v3
	v_fmac_f32_e32 v119, v117, v6
	v_add_f32_e32 v5, 0, v118
	v_add_f32_e32 v3, v3, v4
	;; [unrolled: 1-line block ×3, first 2 shown]
	s_waitcnt vmcnt(1)
	v_sub_f32_e32 v3, v7, v3
	s_waitcnt vmcnt(0)
	v_sub_f32_e32 v4, v8, v5
	buffer_store_dword v3, off, s[0:3], 0 offset:424
	buffer_store_dword v4, off, s[0:3], 0 offset:428
	s_and_saveexec_b64 s[4:5], vcc
	s_cbranch_execz .LBB119_245
; %bb.244:
	buffer_load_dword v3, off, s[0:3], 0 offset:416
	buffer_load_dword v4, off, s[0:3], 0 offset:420
	v_mov_b32_e32 v5, 0
	buffer_store_dword v5, off, s[0:3], 0 offset:416
	buffer_store_dword v5, off, s[0:3], 0 offset:420
	s_waitcnt vmcnt(2)
	ds_write_b64 v113, v[3:4]
.LBB119_245:
	s_or_b64 exec, exec, s[4:5]
	s_waitcnt lgkmcnt(0)
	; wave barrier
	buffer_load_dword v5, off, s[0:3], 0 offset:428
	buffer_load_dword v6, off, s[0:3], 0 offset:436
	;; [unrolled: 1-line block ×8, first 2 shown]
	v_mov_b32_e32 v114, 0
	ds_read2_b64 v[115:118], v114 offset0:109 offset1:110
	ds_read_b64 v[3:4], v114 offset:888
	v_cmp_lt_u32_e32 vcc, 51, v0
	s_waitcnt vmcnt(7) lgkmcnt(1)
	v_mul_f32_e32 v123, v115, v5
	v_mul_f32_e32 v5, v116, v5
	s_waitcnt vmcnt(5) lgkmcnt(0)
	v_mul_f32_e32 v125, v3, v7
	v_mul_f32_e32 v124, v117, v6
	;; [unrolled: 1-line block ×4, first 2 shown]
	s_waitcnt vmcnt(2)
	v_fmac_f32_e32 v125, v4, v120
	v_fma_f32 v4, v115, v8, -v5
	v_fmac_f32_e32 v123, v116, v8
	v_fma_f32 v5, v117, v119, -v6
	v_add_f32_e32 v4, 0, v4
	v_fmac_f32_e32 v124, v118, v119
	v_fma_f32 v3, v3, v120, -v7
	v_add_f32_e32 v6, 0, v123
	v_add_f32_e32 v4, v4, v5
	;; [unrolled: 1-line block ×5, first 2 shown]
	s_waitcnt vmcnt(1)
	v_sub_f32_e32 v3, v121, v3
	s_waitcnt vmcnt(0)
	v_sub_f32_e32 v4, v122, v5
	buffer_store_dword v3, off, s[0:3], 0 offset:416
	buffer_store_dword v4, off, s[0:3], 0 offset:420
	s_and_saveexec_b64 s[4:5], vcc
	s_cbranch_execz .LBB119_247
; %bb.246:
	buffer_load_dword v3, off, s[0:3], 0 offset:408
	buffer_load_dword v4, off, s[0:3], 0 offset:412
	s_waitcnt vmcnt(0)
	ds_write_b64 v113, v[3:4]
	buffer_store_dword v114, off, s[0:3], 0 offset:408
	buffer_store_dword v114, off, s[0:3], 0 offset:412
.LBB119_247:
	s_or_b64 exec, exec, s[4:5]
	s_waitcnt lgkmcnt(0)
	; wave barrier
	buffer_load_dword v3, off, s[0:3], 0 offset:420
	buffer_load_dword v4, off, s[0:3], 0 offset:428
	;; [unrolled: 1-line block ×10, first 2 shown]
	ds_read_b128 v[115:118], v114 offset:864
	ds_read_b128 v[119:122], v114 offset:880
	v_cmp_lt_u32_e32 vcc, 50, v0
	s_waitcnt vmcnt(9) lgkmcnt(1)
	v_mul_f32_e32 v114, v115, v3
	v_mul_f32_e32 v3, v116, v3
	s_waitcnt vmcnt(8)
	v_mul_f32_e32 v127, v117, v4
	v_mul_f32_e32 v4, v118, v4
	s_waitcnt vmcnt(5)
	v_fma_f32 v3, v115, v7, -v3
	s_waitcnt lgkmcnt(0)
	v_mul_f32_e32 v128, v119, v5
	v_mul_f32_e32 v5, v120, v5
	v_fmac_f32_e32 v114, v116, v7
	s_waitcnt vmcnt(4)
	v_fma_f32 v4, v117, v8, -v4
	v_add_f32_e32 v3, 0, v3
	v_mul_f32_e32 v129, v121, v6
	v_mul_f32_e32 v6, v122, v6
	v_fmac_f32_e32 v127, v118, v8
	s_waitcnt vmcnt(3)
	v_fma_f32 v5, v119, v123, -v5
	v_add_f32_e32 v7, 0, v114
	v_add_f32_e32 v3, v3, v4
	v_fmac_f32_e32 v128, v120, v123
	s_waitcnt vmcnt(2)
	v_fma_f32 v6, v121, v124, -v6
	v_add_f32_e32 v7, v7, v127
	v_add_f32_e32 v3, v3, v5
	v_fmac_f32_e32 v129, v122, v124
	v_add_f32_e32 v4, v7, v128
	v_add_f32_e32 v3, v3, v6
	;; [unrolled: 1-line block ×3, first 2 shown]
	s_waitcnt vmcnt(1)
	v_sub_f32_e32 v3, v125, v3
	s_waitcnt vmcnt(0)
	v_sub_f32_e32 v4, v126, v4
	buffer_store_dword v3, off, s[0:3], 0 offset:408
	buffer_store_dword v4, off, s[0:3], 0 offset:412
	s_and_saveexec_b64 s[4:5], vcc
	s_cbranch_execz .LBB119_249
; %bb.248:
	buffer_load_dword v3, off, s[0:3], 0 offset:400
	buffer_load_dword v4, off, s[0:3], 0 offset:404
	v_mov_b32_e32 v5, 0
	buffer_store_dword v5, off, s[0:3], 0 offset:400
	buffer_store_dword v5, off, s[0:3], 0 offset:404
	s_waitcnt vmcnt(2)
	ds_write_b64 v113, v[3:4]
.LBB119_249:
	s_or_b64 exec, exec, s[4:5]
	s_waitcnt lgkmcnt(0)
	; wave barrier
	buffer_load_dword v5, off, s[0:3], 0 offset:412
	buffer_load_dword v6, off, s[0:3], 0 offset:420
	;; [unrolled: 1-line block ×12, first 2 shown]
	v_mov_b32_e32 v114, 0
	ds_read2_b64 v[115:118], v114 offset0:107 offset1:108
	ds_read2_b64 v[119:122], v114 offset0:109 offset1:110
	ds_read_b64 v[3:4], v114 offset:888
	v_cmp_lt_u32_e32 vcc, 49, v0
	s_waitcnt vmcnt(11) lgkmcnt(2)
	v_mul_f32_e32 v131, v115, v5
	v_mul_f32_e32 v5, v116, v5
	s_waitcnt vmcnt(10)
	v_mul_f32_e32 v132, v117, v6
	v_mul_f32_e32 v6, v118, v6
	s_waitcnt vmcnt(7) lgkmcnt(0)
	v_mul_f32_e32 v135, v3, v123
	v_mul_f32_e32 v123, v4, v123
	;; [unrolled: 1-line block ×5, first 2 shown]
	s_waitcnt vmcnt(2)
	v_fmac_f32_e32 v135, v4, v128
	v_fma_f32 v4, v115, v124, -v5
	v_mul_f32_e32 v8, v122, v8
	v_fmac_f32_e32 v131, v116, v124
	v_fma_f32 v5, v117, v125, -v6
	v_add_f32_e32 v4, 0, v4
	v_fmac_f32_e32 v132, v118, v125
	v_fma_f32 v6, v119, v126, -v7
	v_fma_f32 v7, v121, v127, -v8
	v_add_f32_e32 v8, 0, v131
	v_add_f32_e32 v4, v4, v5
	v_fmac_f32_e32 v133, v120, v126
	v_add_f32_e32 v8, v8, v132
	v_add_f32_e32 v4, v4, v6
	v_fmac_f32_e32 v134, v122, v127
	v_fma_f32 v3, v3, v128, -v123
	v_add_f32_e32 v5, v8, v133
	v_add_f32_e32 v4, v4, v7
	;; [unrolled: 1-line block ×5, first 2 shown]
	s_waitcnt vmcnt(1)
	v_sub_f32_e32 v3, v129, v3
	s_waitcnt vmcnt(0)
	v_sub_f32_e32 v4, v130, v5
	buffer_store_dword v3, off, s[0:3], 0 offset:400
	buffer_store_dword v4, off, s[0:3], 0 offset:404
	s_and_saveexec_b64 s[4:5], vcc
	s_cbranch_execz .LBB119_251
; %bb.250:
	buffer_load_dword v3, off, s[0:3], 0 offset:392
	buffer_load_dword v4, off, s[0:3], 0 offset:396
	s_waitcnt vmcnt(0)
	ds_write_b64 v113, v[3:4]
	buffer_store_dword v114, off, s[0:3], 0 offset:392
	buffer_store_dword v114, off, s[0:3], 0 offset:396
.LBB119_251:
	s_or_b64 exec, exec, s[4:5]
	s_waitcnt lgkmcnt(0)
	; wave barrier
	buffer_load_dword v3, off, s[0:3], 0 offset:404
	buffer_load_dword v4, off, s[0:3], 0 offset:412
	buffer_load_dword v5, off, s[0:3], 0 offset:420
	buffer_load_dword v6, off, s[0:3], 0 offset:428
	buffer_load_dword v7, off, s[0:3], 0 offset:436
	buffer_load_dword v8, off, s[0:3], 0 offset:444
	buffer_load_dword v127, off, s[0:3], 0 offset:400
	buffer_load_dword v128, off, s[0:3], 0 offset:408
	buffer_load_dword v129, off, s[0:3], 0 offset:416
	buffer_load_dword v130, off, s[0:3], 0 offset:424
	buffer_load_dword v131, off, s[0:3], 0 offset:432
	buffer_load_dword v132, off, s[0:3], 0 offset:440
	buffer_load_dword v133, off, s[0:3], 0 offset:392
	buffer_load_dword v134, off, s[0:3], 0 offset:396
	ds_read_b128 v[115:118], v114 offset:848
	ds_read_b128 v[119:122], v114 offset:864
	;; [unrolled: 1-line block ×3, first 2 shown]
	v_cmp_lt_u32_e32 vcc, 48, v0
	s_waitcnt vmcnt(13) lgkmcnt(2)
	v_mul_f32_e32 v114, v115, v3
	v_mul_f32_e32 v3, v116, v3
	s_waitcnt vmcnt(12)
	v_mul_f32_e32 v135, v117, v4
	v_mul_f32_e32 v4, v118, v4
	s_waitcnt vmcnt(11) lgkmcnt(1)
	v_mul_f32_e32 v136, v119, v5
	v_mul_f32_e32 v5, v120, v5
	s_waitcnt vmcnt(7)
	v_fma_f32 v3, v115, v127, -v3
	v_fmac_f32_e32 v114, v116, v127
	s_waitcnt vmcnt(6)
	v_fma_f32 v4, v117, v128, -v4
	v_add_f32_e32 v3, 0, v3
	v_mul_f32_e32 v137, v121, v6
	v_mul_f32_e32 v6, v122, v6
	v_fmac_f32_e32 v135, v118, v128
	s_waitcnt vmcnt(5)
	v_fma_f32 v5, v119, v129, -v5
	v_add_f32_e32 v114, 0, v114
	v_add_f32_e32 v3, v3, v4
	s_waitcnt lgkmcnt(0)
	v_mul_f32_e32 v138, v123, v7
	v_mul_f32_e32 v7, v124, v7
	v_fmac_f32_e32 v136, v120, v129
	s_waitcnt vmcnt(4)
	v_fma_f32 v6, v121, v130, -v6
	v_add_f32_e32 v114, v114, v135
	v_add_f32_e32 v3, v3, v5
	v_mul_f32_e32 v139, v125, v8
	v_mul_f32_e32 v8, v126, v8
	v_fmac_f32_e32 v137, v122, v130
	s_waitcnt vmcnt(3)
	v_fma_f32 v7, v123, v131, -v7
	v_add_f32_e32 v4, v114, v136
	v_add_f32_e32 v3, v3, v6
	v_fmac_f32_e32 v138, v124, v131
	s_waitcnt vmcnt(2)
	v_fma_f32 v8, v125, v132, -v8
	v_add_f32_e32 v4, v4, v137
	v_add_f32_e32 v3, v3, v7
	v_fmac_f32_e32 v139, v126, v132
	v_add_f32_e32 v4, v4, v138
	v_add_f32_e32 v3, v3, v8
	;; [unrolled: 1-line block ×3, first 2 shown]
	s_waitcnt vmcnt(1)
	v_sub_f32_e32 v3, v133, v3
	s_waitcnt vmcnt(0)
	v_sub_f32_e32 v4, v134, v4
	buffer_store_dword v3, off, s[0:3], 0 offset:392
	buffer_store_dword v4, off, s[0:3], 0 offset:396
	s_and_saveexec_b64 s[4:5], vcc
	s_cbranch_execz .LBB119_253
; %bb.252:
	buffer_load_dword v3, off, s[0:3], 0 offset:384
	buffer_load_dword v4, off, s[0:3], 0 offset:388
	v_mov_b32_e32 v5, 0
	buffer_store_dword v5, off, s[0:3], 0 offset:384
	buffer_store_dword v5, off, s[0:3], 0 offset:388
	s_waitcnt vmcnt(2)
	ds_write_b64 v113, v[3:4]
.LBB119_253:
	s_or_b64 exec, exec, s[4:5]
	s_waitcnt lgkmcnt(0)
	; wave barrier
	buffer_load_dword v5, off, s[0:3], 0 offset:396
	buffer_load_dword v6, off, s[0:3], 0 offset:404
	;; [unrolled: 1-line block ×16, first 2 shown]
	v_mov_b32_e32 v114, 0
	ds_read2_b64 v[115:118], v114 offset0:105 offset1:106
	ds_read2_b64 v[119:122], v114 offset0:107 offset1:108
	;; [unrolled: 1-line block ×3, first 2 shown]
	ds_read_b64 v[3:4], v114 offset:888
	v_cmp_lt_u32_e32 vcc, 47, v0
	s_waitcnt vmcnt(15) lgkmcnt(3)
	v_mul_f32_e32 v139, v115, v5
	v_mul_f32_e32 v5, v116, v5
	s_waitcnt vmcnt(14)
	v_mul_f32_e32 v140, v117, v6
	v_mul_f32_e32 v6, v118, v6
	s_waitcnt vmcnt(13) lgkmcnt(2)
	v_mul_f32_e32 v141, v119, v7
	v_mul_f32_e32 v7, v120, v7
	s_waitcnt vmcnt(9) lgkmcnt(0)
	v_mul_f32_e32 v145, v3, v129
	v_mul_f32_e32 v129, v4, v129
	s_waitcnt vmcnt(8)
	v_fmac_f32_e32 v139, v116, v130
	v_mul_f32_e32 v142, v121, v8
	v_mul_f32_e32 v8, v122, v8
	s_waitcnt vmcnt(7)
	v_fmac_f32_e32 v140, v118, v131
	v_add_f32_e32 v116, 0, v139
	s_waitcnt vmcnt(2)
	v_fmac_f32_e32 v145, v4, v136
	v_fma_f32 v4, v115, v130, -v5
	v_fma_f32 v5, v117, v131, -v6
	v_add_f32_e32 v4, 0, v4
	v_fma_f32 v6, v119, v132, -v7
	v_add_f32_e32 v4, v4, v5
	v_mul_f32_e32 v143, v123, v127
	v_mul_f32_e32 v127, v124, v127
	v_fmac_f32_e32 v141, v120, v132
	v_fma_f32 v7, v121, v133, -v8
	v_add_f32_e32 v116, v116, v140
	v_add_f32_e32 v4, v4, v6
	v_mul_f32_e32 v144, v125, v128
	v_mul_f32_e32 v128, v126, v128
	v_fmac_f32_e32 v142, v122, v133
	v_fma_f32 v8, v123, v134, -v127
	v_add_f32_e32 v5, v116, v141
	v_add_f32_e32 v4, v4, v7
	v_fmac_f32_e32 v143, v124, v134
	v_fma_f32 v115, v125, v135, -v128
	v_add_f32_e32 v5, v5, v142
	v_add_f32_e32 v4, v4, v8
	;; [unrolled: 4-line block ×3, first 2 shown]
	v_add_f32_e32 v5, v5, v144
	v_add_f32_e32 v3, v4, v3
	;; [unrolled: 1-line block ×3, first 2 shown]
	s_waitcnt vmcnt(1)
	v_sub_f32_e32 v3, v137, v3
	s_waitcnt vmcnt(0)
	v_sub_f32_e32 v4, v138, v5
	buffer_store_dword v3, off, s[0:3], 0 offset:384
	buffer_store_dword v4, off, s[0:3], 0 offset:388
	s_and_saveexec_b64 s[4:5], vcc
	s_cbranch_execz .LBB119_255
; %bb.254:
	buffer_load_dword v3, off, s[0:3], 0 offset:376
	buffer_load_dword v4, off, s[0:3], 0 offset:380
	s_waitcnt vmcnt(0)
	ds_write_b64 v113, v[3:4]
	buffer_store_dword v114, off, s[0:3], 0 offset:376
	buffer_store_dword v114, off, s[0:3], 0 offset:380
.LBB119_255:
	s_or_b64 exec, exec, s[4:5]
	s_waitcnt lgkmcnt(0)
	; wave barrier
	buffer_load_dword v3, off, s[0:3], 0 offset:388
	buffer_load_dword v4, off, s[0:3], 0 offset:396
	;; [unrolled: 1-line block ×18, first 2 shown]
	ds_read_b128 v[115:118], v114 offset:832
	ds_read_b128 v[119:122], v114 offset:848
	;; [unrolled: 1-line block ×4, first 2 shown]
	v_cmp_lt_u32_e32 vcc, 46, v0
	s_waitcnt vmcnt(17) lgkmcnt(3)
	v_mul_f32_e32 v114, v115, v3
	v_mul_f32_e32 v3, v116, v3
	s_waitcnt vmcnt(16)
	v_mul_f32_e32 v143, v117, v4
	v_mul_f32_e32 v4, v118, v4
	s_waitcnt vmcnt(15) lgkmcnt(2)
	v_mul_f32_e32 v144, v119, v5
	v_mul_f32_e32 v5, v120, v5
	s_waitcnt vmcnt(14)
	v_mul_f32_e32 v145, v121, v6
	v_mul_f32_e32 v6, v122, v6
	s_waitcnt vmcnt(9)
	v_fma_f32 v3, v115, v133, -v3
	v_fmac_f32_e32 v114, v116, v133
	s_waitcnt vmcnt(8)
	v_fma_f32 v4, v117, v134, -v4
	v_add_f32_e32 v3, 0, v3
	v_fmac_f32_e32 v143, v118, v134
	s_waitcnt vmcnt(7)
	v_fma_f32 v5, v119, v135, -v5
	v_add_f32_e32 v114, 0, v114
	v_add_f32_e32 v3, v3, v4
	s_waitcnt lgkmcnt(1)
	v_mul_f32_e32 v146, v123, v7
	v_mul_f32_e32 v7, v124, v7
	v_fmac_f32_e32 v144, v120, v135
	s_waitcnt vmcnt(6)
	v_fma_f32 v6, v121, v136, -v6
	v_add_f32_e32 v114, v114, v143
	v_add_f32_e32 v3, v3, v5
	v_mul_f32_e32 v147, v125, v8
	v_mul_f32_e32 v8, v126, v8
	v_fmac_f32_e32 v145, v122, v136
	s_waitcnt vmcnt(5)
	v_fma_f32 v7, v123, v137, -v7
	v_add_f32_e32 v4, v114, v144
	v_add_f32_e32 v3, v3, v6
	s_waitcnt lgkmcnt(0)
	v_mul_f32_e32 v148, v127, v131
	v_mul_f32_e32 v131, v128, v131
	v_fmac_f32_e32 v146, v124, v137
	s_waitcnt vmcnt(4)
	v_fma_f32 v8, v125, v138, -v8
	v_add_f32_e32 v4, v4, v145
	v_add_f32_e32 v3, v3, v7
	v_mul_f32_e32 v149, v129, v132
	v_mul_f32_e32 v132, v130, v132
	v_fmac_f32_e32 v147, v126, v138
	s_waitcnt vmcnt(3)
	v_fma_f32 v115, v127, v139, -v131
	v_add_f32_e32 v4, v4, v146
	v_add_f32_e32 v3, v3, v8
	v_fmac_f32_e32 v148, v128, v139
	s_waitcnt vmcnt(2)
	v_fma_f32 v116, v129, v140, -v132
	v_add_f32_e32 v4, v4, v147
	v_add_f32_e32 v3, v3, v115
	v_fmac_f32_e32 v149, v130, v140
	v_add_f32_e32 v4, v4, v148
	v_add_f32_e32 v3, v3, v116
	;; [unrolled: 1-line block ×3, first 2 shown]
	s_waitcnt vmcnt(1)
	v_sub_f32_e32 v3, v141, v3
	s_waitcnt vmcnt(0)
	v_sub_f32_e32 v4, v142, v4
	buffer_store_dword v3, off, s[0:3], 0 offset:376
	buffer_store_dword v4, off, s[0:3], 0 offset:380
	s_and_saveexec_b64 s[4:5], vcc
	s_cbranch_execz .LBB119_257
; %bb.256:
	buffer_load_dword v3, off, s[0:3], 0 offset:368
	buffer_load_dword v4, off, s[0:3], 0 offset:372
	v_mov_b32_e32 v5, 0
	buffer_store_dword v5, off, s[0:3], 0 offset:368
	buffer_store_dword v5, off, s[0:3], 0 offset:372
	s_waitcnt vmcnt(2)
	ds_write_b64 v113, v[3:4]
.LBB119_257:
	s_or_b64 exec, exec, s[4:5]
	s_waitcnt lgkmcnt(0)
	; wave barrier
	buffer_load_dword v5, off, s[0:3], 0 offset:380
	buffer_load_dword v6, off, s[0:3], 0 offset:388
	;; [unrolled: 1-line block ×20, first 2 shown]
	v_mov_b32_e32 v114, 0
	ds_read2_b64 v[115:118], v114 offset0:103 offset1:104
	ds_read2_b64 v[119:122], v114 offset0:105 offset1:106
	;; [unrolled: 1-line block ×4, first 2 shown]
	ds_read_b64 v[3:4], v114 offset:888
	v_cmp_lt_u32_e32 vcc, 45, v0
	s_waitcnt vmcnt(19) lgkmcnt(4)
	v_mul_f32_e32 v147, v115, v5
	v_mul_f32_e32 v5, v116, v5
	s_waitcnt vmcnt(18)
	v_mul_f32_e32 v148, v117, v6
	v_mul_f32_e32 v6, v118, v6
	s_waitcnt vmcnt(17) lgkmcnt(3)
	v_mul_f32_e32 v149, v119, v7
	v_mul_f32_e32 v7, v120, v7
	s_waitcnt vmcnt(16)
	v_mul_f32_e32 v150, v121, v8
	v_mul_f32_e32 v8, v122, v8
	s_waitcnt vmcnt(11) lgkmcnt(0)
	v_mul_f32_e32 v155, v3, v135
	v_mul_f32_e32 v135, v4, v135
	s_waitcnt vmcnt(10)
	v_fmac_f32_e32 v147, v116, v136
	s_waitcnt vmcnt(9)
	v_fmac_f32_e32 v148, v118, v137
	v_add_f32_e32 v118, 0, v147
	v_mul_f32_e32 v151, v123, v131
	v_mul_f32_e32 v131, v124, v131
	s_waitcnt vmcnt(8)
	v_fmac_f32_e32 v149, v120, v138
	v_add_f32_e32 v118, v118, v148
	s_waitcnt vmcnt(2)
	v_fmac_f32_e32 v155, v4, v144
	v_fma_f32 v4, v115, v136, -v5
	v_fma_f32 v5, v117, v137, -v6
	v_add_f32_e32 v4, 0, v4
	v_fma_f32 v6, v119, v138, -v7
	v_add_f32_e32 v4, v4, v5
	;; [unrolled: 2-line block ×3, first 2 shown]
	v_mul_f32_e32 v152, v125, v132
	v_mul_f32_e32 v132, v126, v132
	v_fmac_f32_e32 v150, v122, v139
	v_fma_f32 v8, v123, v140, -v131
	v_add_f32_e32 v5, v118, v149
	v_add_f32_e32 v4, v4, v7
	v_mul_f32_e32 v153, v127, v133
	v_mul_f32_e32 v133, v128, v133
	v_fmac_f32_e32 v151, v124, v140
	v_fma_f32 v115, v125, v141, -v132
	v_add_f32_e32 v5, v5, v150
	v_add_f32_e32 v4, v4, v8
	;; [unrolled: 6-line block ×3, first 2 shown]
	v_fmac_f32_e32 v153, v128, v142
	v_fma_f32 v117, v129, v143, -v134
	v_add_f32_e32 v5, v5, v152
	v_add_f32_e32 v4, v4, v116
	v_fmac_f32_e32 v154, v130, v143
	v_fma_f32 v3, v3, v144, -v135
	v_add_f32_e32 v5, v5, v153
	v_add_f32_e32 v4, v4, v117
	;; [unrolled: 1-line block ×5, first 2 shown]
	s_waitcnt vmcnt(1)
	v_sub_f32_e32 v3, v145, v3
	s_waitcnt vmcnt(0)
	v_sub_f32_e32 v4, v146, v5
	buffer_store_dword v3, off, s[0:3], 0 offset:368
	buffer_store_dword v4, off, s[0:3], 0 offset:372
	s_and_saveexec_b64 s[4:5], vcc
	s_cbranch_execz .LBB119_259
; %bb.258:
	buffer_load_dword v3, off, s[0:3], 0 offset:360
	buffer_load_dword v4, off, s[0:3], 0 offset:364
	s_waitcnt vmcnt(0)
	ds_write_b64 v113, v[3:4]
	buffer_store_dword v114, off, s[0:3], 0 offset:360
	buffer_store_dword v114, off, s[0:3], 0 offset:364
.LBB119_259:
	s_or_b64 exec, exec, s[4:5]
	s_waitcnt lgkmcnt(0)
	; wave barrier
	buffer_load_dword v3, off, s[0:3], 0 offset:372
	buffer_load_dword v4, off, s[0:3], 0 offset:380
	;; [unrolled: 1-line block ×22, first 2 shown]
	ds_read_b128 v[115:118], v114 offset:816
	ds_read_b128 v[119:122], v114 offset:832
	;; [unrolled: 1-line block ×5, first 2 shown]
	v_cmp_lt_u32_e32 vcc, 44, v0
	s_waitcnt vmcnt(21) lgkmcnt(4)
	v_mul_f32_e32 v114, v115, v3
	v_mul_f32_e32 v3, v116, v3
	s_waitcnt vmcnt(20)
	v_mul_f32_e32 v151, v117, v4
	v_mul_f32_e32 v4, v118, v4
	s_waitcnt vmcnt(19) lgkmcnt(3)
	v_mul_f32_e32 v152, v119, v5
	v_mul_f32_e32 v5, v120, v5
	s_waitcnt vmcnt(18)
	v_mul_f32_e32 v153, v121, v6
	v_mul_f32_e32 v6, v122, v6
	s_waitcnt vmcnt(17) lgkmcnt(2)
	v_mul_f32_e32 v154, v123, v7
	v_mul_f32_e32 v7, v124, v7
	s_waitcnt vmcnt(11)
	v_fma_f32 v3, v115, v139, -v3
	v_fmac_f32_e32 v114, v116, v139
	s_waitcnt vmcnt(10)
	v_fma_f32 v4, v117, v140, -v4
	v_add_f32_e32 v3, 0, v3
	v_fmac_f32_e32 v151, v118, v140
	s_waitcnt vmcnt(9)
	v_fma_f32 v5, v119, v141, -v5
	v_add_f32_e32 v114, 0, v114
	v_add_f32_e32 v3, v3, v4
	v_fmac_f32_e32 v152, v120, v141
	s_waitcnt vmcnt(8)
	v_fma_f32 v6, v121, v142, -v6
	v_add_f32_e32 v114, v114, v151
	v_add_f32_e32 v3, v3, v5
	v_mul_f32_e32 v155, v125, v8
	v_mul_f32_e32 v8, v126, v8
	v_fmac_f32_e32 v153, v122, v142
	s_waitcnt vmcnt(7)
	v_fma_f32 v7, v123, v143, -v7
	v_add_f32_e32 v4, v114, v152
	v_add_f32_e32 v3, v3, v6
	s_waitcnt lgkmcnt(1)
	v_mul_f32_e32 v156, v127, v135
	v_mul_f32_e32 v135, v128, v135
	v_fmac_f32_e32 v154, v124, v143
	s_waitcnt vmcnt(6)
	v_fma_f32 v8, v125, v144, -v8
	v_add_f32_e32 v4, v4, v153
	v_add_f32_e32 v3, v3, v7
	v_mul_f32_e32 v157, v129, v136
	v_mul_f32_e32 v136, v130, v136
	v_fmac_f32_e32 v155, v126, v144
	s_waitcnt vmcnt(5)
	v_fma_f32 v115, v127, v145, -v135
	v_add_f32_e32 v4, v4, v154
	v_add_f32_e32 v3, v3, v8
	s_waitcnt lgkmcnt(0)
	v_mul_f32_e32 v158, v131, v137
	v_mul_f32_e32 v137, v132, v137
	v_fmac_f32_e32 v156, v128, v145
	s_waitcnt vmcnt(4)
	v_fma_f32 v116, v129, v146, -v136
	v_add_f32_e32 v4, v4, v155
	v_add_f32_e32 v3, v3, v115
	v_mul_f32_e32 v159, v133, v138
	v_mul_f32_e32 v138, v134, v138
	v_fmac_f32_e32 v157, v130, v146
	s_waitcnt vmcnt(3)
	v_fma_f32 v117, v131, v147, -v137
	v_add_f32_e32 v4, v4, v156
	v_add_f32_e32 v3, v3, v116
	v_fmac_f32_e32 v158, v132, v147
	s_waitcnt vmcnt(2)
	v_fma_f32 v118, v133, v148, -v138
	v_add_f32_e32 v4, v4, v157
	v_add_f32_e32 v3, v3, v117
	v_fmac_f32_e32 v159, v134, v148
	v_add_f32_e32 v4, v4, v158
	v_add_f32_e32 v3, v3, v118
	;; [unrolled: 1-line block ×3, first 2 shown]
	s_waitcnt vmcnt(1)
	v_sub_f32_e32 v3, v149, v3
	s_waitcnt vmcnt(0)
	v_sub_f32_e32 v4, v150, v4
	buffer_store_dword v3, off, s[0:3], 0 offset:360
	buffer_store_dword v4, off, s[0:3], 0 offset:364
	s_and_saveexec_b64 s[4:5], vcc
	s_cbranch_execz .LBB119_261
; %bb.260:
	buffer_load_dword v3, off, s[0:3], 0 offset:352
	buffer_load_dword v4, off, s[0:3], 0 offset:356
	v_mov_b32_e32 v5, 0
	buffer_store_dword v5, off, s[0:3], 0 offset:352
	buffer_store_dword v5, off, s[0:3], 0 offset:356
	s_waitcnt vmcnt(2)
	ds_write_b64 v113, v[3:4]
.LBB119_261:
	s_or_b64 exec, exec, s[4:5]
	s_waitcnt lgkmcnt(0)
	; wave barrier
	buffer_load_dword v5, off, s[0:3], 0 offset:364
	buffer_load_dword v6, off, s[0:3], 0 offset:372
	;; [unrolled: 1-line block ×24, first 2 shown]
	v_mov_b32_e32 v114, 0
	ds_read2_b64 v[115:118], v114 offset0:101 offset1:102
	ds_read2_b64 v[119:122], v114 offset0:103 offset1:104
	;; [unrolled: 1-line block ×5, first 2 shown]
	ds_read_b64 v[3:4], v114 offset:888
	v_cmp_lt_u32_e32 vcc, 43, v0
	s_waitcnt vmcnt(23) lgkmcnt(5)
	v_mul_f32_e32 v155, v115, v5
	v_mul_f32_e32 v5, v116, v5
	s_waitcnt vmcnt(22)
	v_mul_f32_e32 v156, v117, v6
	v_mul_f32_e32 v6, v118, v6
	s_waitcnt vmcnt(21) lgkmcnt(4)
	v_mul_f32_e32 v157, v119, v7
	v_mul_f32_e32 v7, v120, v7
	s_waitcnt vmcnt(20)
	v_mul_f32_e32 v158, v121, v8
	v_mul_f32_e32 v8, v122, v8
	s_waitcnt vmcnt(19) lgkmcnt(3)
	v_mul_f32_e32 v159, v123, v135
	v_mul_f32_e32 v135, v124, v135
	s_waitcnt vmcnt(18)
	v_mul_f32_e32 v160, v125, v136
	s_waitcnt vmcnt(12)
	v_fma_f32 v5, v115, v142, -v5
	v_fmac_f32_e32 v155, v116, v142
	s_waitcnt vmcnt(11)
	v_fma_f32 v6, v117, v143, -v6
	v_add_f32_e32 v5, 0, v5
	v_fmac_f32_e32 v156, v118, v143
	s_waitcnt vmcnt(10)
	v_fmac_f32_e32 v157, v120, v144
	v_fma_f32 v7, v119, v144, -v7
	v_add_f32_e32 v120, 0, v155
	v_add_f32_e32 v5, v5, v6
	s_waitcnt vmcnt(9)
	v_fma_f32 v8, v121, v145, -v8
	v_add_f32_e32 v120, v120, v156
	v_add_f32_e32 v5, v5, v7
	v_mul_f32_e32 v136, v126, v136
	v_fmac_f32_e32 v158, v122, v145
	s_waitcnt vmcnt(8)
	v_fma_f32 v115, v123, v146, -v135
	v_add_f32_e32 v6, v120, v157
	v_add_f32_e32 v5, v5, v8
	s_waitcnt lgkmcnt(2)
	v_mul_f32_e32 v161, v127, v137
	v_mul_f32_e32 v137, v128, v137
	v_fmac_f32_e32 v159, v124, v146
	s_waitcnt vmcnt(7)
	v_fma_f32 v116, v125, v147, -v136
	v_add_f32_e32 v6, v6, v158
	v_add_f32_e32 v5, v5, v115
	v_mul_f32_e32 v162, v129, v138
	v_mul_f32_e32 v138, v130, v138
	v_fmac_f32_e32 v160, v126, v147
	s_waitcnt vmcnt(6)
	v_fma_f32 v117, v127, v148, -v137
	v_add_f32_e32 v6, v6, v159
	v_add_f32_e32 v5, v5, v116
	s_waitcnt lgkmcnt(1)
	v_mul_f32_e32 v163, v131, v139
	v_mul_f32_e32 v139, v132, v139
	v_fmac_f32_e32 v161, v128, v148
	s_waitcnt vmcnt(5)
	v_fma_f32 v118, v129, v149, -v138
	v_add_f32_e32 v6, v6, v160
	v_add_f32_e32 v5, v5, v117
	s_waitcnt lgkmcnt(0)
	v_mul_f32_e32 v165, v3, v141
	v_fmac_f32_e32 v162, v130, v149
	s_waitcnt vmcnt(4)
	v_fma_f32 v119, v131, v150, -v139
	v_add_f32_e32 v6, v6, v161
	v_add_f32_e32 v5, v5, v118
	v_mul_f32_e32 v7, v134, v140
	v_mul_f32_e32 v164, v133, v140
	v_fmac_f32_e32 v163, v132, v150
	s_waitcnt vmcnt(2)
	v_fmac_f32_e32 v165, v4, v152
	v_add_f32_e32 v6, v6, v162
	v_add_f32_e32 v5, v5, v119
	v_fma_f32 v7, v133, v151, -v7
	v_mul_f32_e32 v4, v4, v141
	v_fmac_f32_e32 v164, v134, v151
	v_add_f32_e32 v6, v6, v163
	v_add_f32_e32 v5, v5, v7
	v_fma_f32 v3, v3, v152, -v4
	v_add_f32_e32 v6, v6, v164
	v_add_f32_e32 v3, v5, v3
	;; [unrolled: 1-line block ×3, first 2 shown]
	s_waitcnt vmcnt(1)
	v_sub_f32_e32 v3, v153, v3
	s_waitcnt vmcnt(0)
	v_sub_f32_e32 v4, v154, v6
	buffer_store_dword v3, off, s[0:3], 0 offset:352
	buffer_store_dword v4, off, s[0:3], 0 offset:356
	s_and_saveexec_b64 s[4:5], vcc
	s_cbranch_execz .LBB119_263
; %bb.262:
	buffer_load_dword v3, off, s[0:3], 0 offset:344
	buffer_load_dword v4, off, s[0:3], 0 offset:348
	s_waitcnt vmcnt(0)
	ds_write_b64 v113, v[3:4]
	buffer_store_dword v114, off, s[0:3], 0 offset:344
	buffer_store_dword v114, off, s[0:3], 0 offset:348
.LBB119_263:
	s_or_b64 exec, exec, s[4:5]
	s_waitcnt lgkmcnt(0)
	; wave barrier
	buffer_load_dword v3, off, s[0:3], 0 offset:356
	buffer_load_dword v4, off, s[0:3], 0 offset:364
	;; [unrolled: 1-line block ×26, first 2 shown]
	ds_read_b128 v[115:118], v114 offset:800
	ds_read_b128 v[119:122], v114 offset:816
	;; [unrolled: 1-line block ×6, first 2 shown]
	v_cmp_lt_u32_e32 vcc, 42, v0
	s_waitcnt vmcnt(25) lgkmcnt(5)
	v_mul_f32_e32 v114, v115, v3
	v_mul_f32_e32 v3, v116, v3
	s_waitcnt vmcnt(24)
	v_mul_f32_e32 v159, v117, v4
	v_mul_f32_e32 v4, v118, v4
	s_waitcnt vmcnt(23) lgkmcnt(4)
	v_mul_f32_e32 v160, v119, v5
	v_mul_f32_e32 v5, v120, v5
	s_waitcnt vmcnt(22)
	v_mul_f32_e32 v161, v121, v6
	v_mul_f32_e32 v6, v122, v6
	;; [unrolled: 6-line block ×3, first 2 shown]
	s_waitcnt vmcnt(13)
	v_fma_f32 v3, v115, v145, -v3
	s_waitcnt vmcnt(12)
	v_fma_f32 v4, v117, v146, -v4
	v_add_f32_e32 v3, 0, v3
	s_waitcnt vmcnt(11)
	v_fma_f32 v5, v119, v147, -v5
	v_add_f32_e32 v3, v3, v4
	;; [unrolled: 3-line block ×3, first 2 shown]
	v_fmac_f32_e32 v114, v116, v145
	s_waitcnt vmcnt(9)
	v_fma_f32 v7, v123, v149, -v7
	v_add_f32_e32 v3, v3, v6
	s_waitcnt lgkmcnt(2)
	v_mul_f32_e32 v164, v127, v139
	v_mul_f32_e32 v139, v128, v139
	v_fmac_f32_e32 v159, v118, v146
	s_waitcnt vmcnt(8)
	v_fma_f32 v8, v125, v150, -v8
	v_add_f32_e32 v114, 0, v114
	v_add_f32_e32 v3, v3, v7
	v_mul_f32_e32 v165, v129, v140
	v_mul_f32_e32 v140, v130, v140
	v_fmac_f32_e32 v160, v120, v147
	s_waitcnt vmcnt(7)
	v_fma_f32 v115, v127, v151, -v139
	v_add_f32_e32 v114, v114, v159
	v_add_f32_e32 v3, v3, v8
	v_fmac_f32_e32 v161, v122, v148
	s_waitcnt vmcnt(6)
	v_fma_f32 v116, v129, v152, -v140
	v_add_f32_e32 v4, v114, v160
	v_add_f32_e32 v3, v3, v115
	s_waitcnt lgkmcnt(1)
	v_mul_f32_e32 v5, v132, v141
	v_fmac_f32_e32 v162, v124, v149
	v_add_f32_e32 v4, v4, v161
	v_add_f32_e32 v3, v3, v116
	s_waitcnt vmcnt(5)
	v_fma_f32 v5, v131, v153, -v5
	v_fmac_f32_e32 v163, v126, v150
	v_add_f32_e32 v4, v4, v162
	v_add_f32_e32 v3, v3, v5
	v_mul_f32_e32 v5, v134, v142
	v_fmac_f32_e32 v164, v128, v151
	v_add_f32_e32 v4, v4, v163
	s_waitcnt vmcnt(4)
	v_fma_f32 v5, v133, v154, -v5
	v_mul_f32_e32 v166, v131, v141
	v_fmac_f32_e32 v165, v130, v152
	v_add_f32_e32 v4, v4, v164
	v_add_f32_e32 v3, v3, v5
	s_waitcnt lgkmcnt(0)
	v_mul_f32_e32 v5, v136, v143
	v_mul_f32_e32 v167, v133, v142
	v_fmac_f32_e32 v166, v132, v153
	v_add_f32_e32 v4, v4, v165
	s_waitcnt vmcnt(3)
	v_fma_f32 v5, v135, v155, -v5
	v_mul_f32_e32 v168, v135, v143
	v_fmac_f32_e32 v167, v134, v154
	v_add_f32_e32 v4, v4, v166
	v_add_f32_e32 v3, v3, v5
	v_mul_f32_e32 v5, v138, v144
	v_mul_f32_e32 v169, v137, v144
	v_fmac_f32_e32 v168, v136, v155
	v_add_f32_e32 v4, v4, v167
	s_waitcnt vmcnt(2)
	v_fma_f32 v5, v137, v156, -v5
	v_fmac_f32_e32 v169, v138, v156
	v_add_f32_e32 v4, v4, v168
	v_add_f32_e32 v3, v3, v5
	;; [unrolled: 1-line block ×3, first 2 shown]
	s_waitcnt vmcnt(1)
	v_sub_f32_e32 v3, v157, v3
	s_waitcnt vmcnt(0)
	v_sub_f32_e32 v4, v158, v4
	buffer_store_dword v3, off, s[0:3], 0 offset:344
	buffer_store_dword v4, off, s[0:3], 0 offset:348
	s_and_saveexec_b64 s[4:5], vcc
	s_cbranch_execz .LBB119_265
; %bb.264:
	buffer_load_dword v3, off, s[0:3], 0 offset:336
	buffer_load_dword v4, off, s[0:3], 0 offset:340
	v_mov_b32_e32 v5, 0
	buffer_store_dword v5, off, s[0:3], 0 offset:336
	buffer_store_dword v5, off, s[0:3], 0 offset:340
	s_waitcnt vmcnt(2)
	ds_write_b64 v113, v[3:4]
.LBB119_265:
	s_or_b64 exec, exec, s[4:5]
	s_waitcnt lgkmcnt(0)
	; wave barrier
	buffer_load_dword v5, off, s[0:3], 0 offset:348
	buffer_load_dword v6, off, s[0:3], 0 offset:356
	;; [unrolled: 1-line block ×28, first 2 shown]
	v_mov_b32_e32 v114, 0
	ds_read2_b64 v[115:118], v114 offset0:99 offset1:100
	ds_read2_b64 v[119:122], v114 offset0:101 offset1:102
	;; [unrolled: 1-line block ×6, first 2 shown]
	ds_read_b64 v[3:4], v114 offset:888
	v_cmp_lt_u32_e32 vcc, 41, v0
	s_waitcnt vmcnt(27) lgkmcnt(6)
	v_mul_f32_e32 v163, v115, v5
	v_mul_f32_e32 v5, v116, v5
	s_waitcnt vmcnt(26)
	v_mul_f32_e32 v164, v117, v6
	v_mul_f32_e32 v6, v118, v6
	s_waitcnt vmcnt(25) lgkmcnt(5)
	v_mul_f32_e32 v165, v119, v7
	v_mul_f32_e32 v7, v120, v7
	s_waitcnt vmcnt(24)
	v_mul_f32_e32 v166, v121, v8
	v_mul_f32_e32 v8, v122, v8
	;; [unrolled: 6-line block ×3, first 2 shown]
	s_waitcnt vmcnt(21) lgkmcnt(3)
	v_mul_f32_e32 v169, v127, v141
	s_waitcnt vmcnt(14)
	v_fma_f32 v5, v115, v148, -v5
	s_waitcnt vmcnt(13)
	v_fma_f32 v6, v117, v149, -v6
	v_add_f32_e32 v5, 0, v5
	s_waitcnt vmcnt(12)
	v_fma_f32 v7, v119, v150, -v7
	v_add_f32_e32 v5, v5, v6
	;; [unrolled: 3-line block ×4, first 2 shown]
	v_fmac_f32_e32 v163, v116, v148
	s_waitcnt vmcnt(9)
	v_fma_f32 v116, v125, v153, -v140
	v_add_f32_e32 v5, v5, v115
	v_mul_f32_e32 v7, v128, v141
	v_add_f32_e32 v5, v5, v116
	s_waitcnt vmcnt(8)
	v_fma_f32 v7, v127, v154, -v7
	v_fmac_f32_e32 v164, v118, v149
	v_add_f32_e32 v117, 0, v163
	v_add_f32_e32 v5, v5, v7
	v_mul_f32_e32 v7, v130, v142
	v_fmac_f32_e32 v165, v120, v150
	v_add_f32_e32 v117, v117, v164
	s_waitcnt vmcnt(7)
	v_fma_f32 v7, v129, v155, -v7
	v_fmac_f32_e32 v166, v122, v151
	v_add_f32_e32 v6, v117, v165
	v_add_f32_e32 v5, v5, v7
	s_waitcnt lgkmcnt(2)
	v_mul_f32_e32 v7, v132, v143
	v_fmac_f32_e32 v167, v124, v152
	v_add_f32_e32 v6, v6, v166
	s_waitcnt vmcnt(6)
	v_fma_f32 v7, v131, v156, -v7
	v_fmac_f32_e32 v168, v126, v153
	v_add_f32_e32 v6, v6, v167
	v_add_f32_e32 v5, v5, v7
	v_mul_f32_e32 v7, v134, v144
	v_mul_f32_e32 v170, v129, v142
	v_fmac_f32_e32 v169, v128, v154
	v_add_f32_e32 v6, v6, v168
	s_waitcnt vmcnt(5)
	v_fma_f32 v7, v133, v157, -v7
	v_mul_f32_e32 v171, v131, v143
	v_fmac_f32_e32 v170, v130, v155
	v_add_f32_e32 v6, v6, v169
	v_add_f32_e32 v5, v5, v7
	s_waitcnt lgkmcnt(1)
	v_mul_f32_e32 v7, v136, v145
	v_mul_f32_e32 v172, v133, v144
	v_fmac_f32_e32 v171, v132, v156
	v_add_f32_e32 v6, v6, v170
	s_waitcnt vmcnt(4)
	v_fma_f32 v7, v135, v158, -v7
	v_mul_f32_e32 v173, v135, v145
	s_waitcnt lgkmcnt(0)
	v_mul_f32_e32 v175, v3, v147
	v_fmac_f32_e32 v172, v134, v157
	v_add_f32_e32 v6, v6, v171
	v_add_f32_e32 v5, v5, v7
	v_mul_f32_e32 v7, v138, v146
	v_mul_f32_e32 v174, v137, v146
	v_fmac_f32_e32 v173, v136, v158
	s_waitcnt vmcnt(2)
	v_fmac_f32_e32 v175, v4, v160
	v_add_f32_e32 v6, v6, v172
	v_fma_f32 v7, v137, v159, -v7
	v_mul_f32_e32 v4, v4, v147
	v_fmac_f32_e32 v174, v138, v159
	v_add_f32_e32 v6, v6, v173
	v_add_f32_e32 v5, v5, v7
	v_fma_f32 v3, v3, v160, -v4
	v_add_f32_e32 v6, v6, v174
	v_add_f32_e32 v3, v5, v3
	;; [unrolled: 1-line block ×3, first 2 shown]
	s_waitcnt vmcnt(1)
	v_sub_f32_e32 v3, v161, v3
	s_waitcnt vmcnt(0)
	v_sub_f32_e32 v4, v162, v6
	buffer_store_dword v3, off, s[0:3], 0 offset:336
	buffer_store_dword v4, off, s[0:3], 0 offset:340
	s_and_saveexec_b64 s[4:5], vcc
	s_cbranch_execz .LBB119_267
; %bb.266:
	buffer_load_dword v3, off, s[0:3], 0 offset:328
	buffer_load_dword v4, off, s[0:3], 0 offset:332
	s_waitcnt vmcnt(0)
	ds_write_b64 v113, v[3:4]
	buffer_store_dword v114, off, s[0:3], 0 offset:328
	buffer_store_dword v114, off, s[0:3], 0 offset:332
.LBB119_267:
	s_or_b64 exec, exec, s[4:5]
	s_waitcnt lgkmcnt(0)
	; wave barrier
	buffer_load_dword v3, off, s[0:3], 0 offset:340
	buffer_load_dword v4, off, s[0:3], 0 offset:348
	buffer_load_dword v5, off, s[0:3], 0 offset:356
	buffer_load_dword v6, off, s[0:3], 0 offset:364
	buffer_load_dword v7, off, s[0:3], 0 offset:372
	buffer_load_dword v8, off, s[0:3], 0 offset:380
	buffer_load_dword v143, off, s[0:3], 0 offset:388
	buffer_load_dword v144, off, s[0:3], 0 offset:396
	buffer_load_dword v145, off, s[0:3], 0 offset:404
	buffer_load_dword v146, off, s[0:3], 0 offset:412
	buffer_load_dword v147, off, s[0:3], 0 offset:420
	buffer_load_dword v148, off, s[0:3], 0 offset:428
	buffer_load_dword v149, off, s[0:3], 0 offset:436
	buffer_load_dword v150, off, s[0:3], 0 offset:444
	buffer_load_dword v151, off, s[0:3], 0 offset:336
	buffer_load_dword v152, off, s[0:3], 0 offset:344
	buffer_load_dword v153, off, s[0:3], 0 offset:352
	buffer_load_dword v154, off, s[0:3], 0 offset:360
	buffer_load_dword v155, off, s[0:3], 0 offset:368
	buffer_load_dword v156, off, s[0:3], 0 offset:376
	buffer_load_dword v157, off, s[0:3], 0 offset:384
	buffer_load_dword v158, off, s[0:3], 0 offset:392
	buffer_load_dword v159, off, s[0:3], 0 offset:400
	buffer_load_dword v160, off, s[0:3], 0 offset:408
	buffer_load_dword v161, off, s[0:3], 0 offset:416
	buffer_load_dword v162, off, s[0:3], 0 offset:424
	buffer_load_dword v163, off, s[0:3], 0 offset:432
	buffer_load_dword v164, off, s[0:3], 0 offset:440
	buffer_load_dword v165, off, s[0:3], 0 offset:328
	buffer_load_dword v166, off, s[0:3], 0 offset:332
	ds_read_b128 v[115:118], v114 offset:784
	ds_read_b128 v[119:122], v114 offset:800
	;; [unrolled: 1-line block ×7, first 2 shown]
	v_cmp_lt_u32_e32 vcc, 40, v0
	s_waitcnt vmcnt(29) lgkmcnt(6)
	v_mul_f32_e32 v114, v115, v3
	v_mul_f32_e32 v3, v116, v3
	s_waitcnt vmcnt(28)
	v_mul_f32_e32 v167, v117, v4
	v_mul_f32_e32 v4, v118, v4
	s_waitcnt vmcnt(27) lgkmcnt(5)
	v_mul_f32_e32 v168, v119, v5
	v_mul_f32_e32 v5, v120, v5
	s_waitcnt vmcnt(26)
	v_mul_f32_e32 v169, v121, v6
	v_mul_f32_e32 v6, v122, v6
	s_waitcnt vmcnt(25) lgkmcnt(4)
	v_mul_f32_e32 v170, v123, v7
	v_mul_f32_e32 v7, v124, v7
	s_waitcnt vmcnt(24)
	v_mul_f32_e32 v171, v125, v8
	s_waitcnt vmcnt(23) lgkmcnt(3)
	v_mul_f32_e32 v172, v127, v143
	s_waitcnt vmcnt(22)
	v_mul_f32_e32 v173, v129, v144
	s_waitcnt vmcnt(21) lgkmcnt(2)
	v_mul_f32_e32 v174, v131, v145
	s_waitcnt vmcnt(15)
	v_fma_f32 v3, v115, v151, -v3
	s_waitcnt vmcnt(14)
	v_fma_f32 v4, v117, v152, -v4
	v_add_f32_e32 v3, 0, v3
	s_waitcnt vmcnt(13)
	v_fma_f32 v5, v119, v153, -v5
	v_add_f32_e32 v3, v3, v4
	;; [unrolled: 3-line block ×4, first 2 shown]
	v_mul_f32_e32 v5, v126, v8
	v_add_f32_e32 v3, v3, v7
	s_waitcnt vmcnt(10)
	v_fma_f32 v5, v125, v156, -v5
	v_add_f32_e32 v3, v3, v5
	v_mul_f32_e32 v5, v128, v143
	s_waitcnt vmcnt(9)
	v_fma_f32 v5, v127, v157, -v5
	v_add_f32_e32 v3, v3, v5
	v_mul_f32_e32 v5, v130, v144
	v_fmac_f32_e32 v114, v116, v151
	s_waitcnt vmcnt(8)
	v_fma_f32 v5, v129, v158, -v5
	v_fmac_f32_e32 v167, v118, v152
	v_add_f32_e32 v114, 0, v114
	v_add_f32_e32 v3, v3, v5
	v_mul_f32_e32 v5, v132, v145
	v_fmac_f32_e32 v168, v120, v153
	v_add_f32_e32 v114, v114, v167
	s_waitcnt vmcnt(7)
	v_fma_f32 v5, v131, v159, -v5
	v_fmac_f32_e32 v169, v122, v154
	v_add_f32_e32 v4, v114, v168
	v_add_f32_e32 v3, v3, v5
	v_mul_f32_e32 v5, v134, v146
	v_fmac_f32_e32 v170, v124, v155
	v_add_f32_e32 v4, v4, v169
	s_waitcnt vmcnt(6)
	v_fma_f32 v5, v133, v160, -v5
	v_fmac_f32_e32 v171, v126, v156
	v_add_f32_e32 v4, v4, v170
	v_add_f32_e32 v3, v3, v5
	s_waitcnt lgkmcnt(1)
	v_mul_f32_e32 v5, v136, v147
	v_fmac_f32_e32 v172, v128, v157
	v_add_f32_e32 v4, v4, v171
	s_waitcnt vmcnt(5)
	v_fma_f32 v5, v135, v161, -v5
	v_fmac_f32_e32 v173, v130, v158
	v_add_f32_e32 v4, v4, v172
	v_add_f32_e32 v3, v3, v5
	v_mul_f32_e32 v5, v138, v148
	v_mul_f32_e32 v175, v133, v146
	v_fmac_f32_e32 v174, v132, v159
	v_add_f32_e32 v4, v4, v173
	s_waitcnt vmcnt(4)
	v_fma_f32 v5, v137, v162, -v5
	v_mul_f32_e32 v176, v135, v147
	v_fmac_f32_e32 v175, v134, v160
	v_add_f32_e32 v4, v4, v174
	v_add_f32_e32 v3, v3, v5
	s_waitcnt lgkmcnt(0)
	v_mul_f32_e32 v5, v140, v149
	v_mul_f32_e32 v177, v137, v148
	v_fmac_f32_e32 v176, v136, v161
	v_add_f32_e32 v4, v4, v175
	s_waitcnt vmcnt(3)
	v_fma_f32 v5, v139, v163, -v5
	v_mul_f32_e32 v178, v139, v149
	v_fmac_f32_e32 v177, v138, v162
	v_add_f32_e32 v4, v4, v176
	v_add_f32_e32 v3, v3, v5
	v_mul_f32_e32 v5, v142, v150
	v_mul_f32_e32 v179, v141, v150
	v_fmac_f32_e32 v178, v140, v163
	v_add_f32_e32 v4, v4, v177
	s_waitcnt vmcnt(2)
	v_fma_f32 v5, v141, v164, -v5
	v_fmac_f32_e32 v179, v142, v164
	v_add_f32_e32 v4, v4, v178
	v_add_f32_e32 v3, v3, v5
	;; [unrolled: 1-line block ×3, first 2 shown]
	s_waitcnt vmcnt(1)
	v_sub_f32_e32 v3, v165, v3
	s_waitcnt vmcnt(0)
	v_sub_f32_e32 v4, v166, v4
	buffer_store_dword v3, off, s[0:3], 0 offset:328
	buffer_store_dword v4, off, s[0:3], 0 offset:332
	s_and_saveexec_b64 s[4:5], vcc
	s_cbranch_execz .LBB119_269
; %bb.268:
	buffer_load_dword v3, off, s[0:3], 0 offset:320
	buffer_load_dword v4, off, s[0:3], 0 offset:324
	v_mov_b32_e32 v5, 0
	buffer_store_dword v5, off, s[0:3], 0 offset:320
	buffer_store_dword v5, off, s[0:3], 0 offset:324
	s_waitcnt vmcnt(2)
	ds_write_b64 v113, v[3:4]
.LBB119_269:
	s_or_b64 exec, exec, s[4:5]
	s_waitcnt lgkmcnt(0)
	; wave barrier
	buffer_load_dword v5, off, s[0:3], 0 offset:332
	buffer_load_dword v6, off, s[0:3], 0 offset:340
	;; [unrolled: 1-line block ×32, first 2 shown]
	v_mov_b32_e32 v114, 0
	ds_read2_b64 v[115:118], v114 offset0:97 offset1:98
	ds_read2_b64 v[119:122], v114 offset0:99 offset1:100
	;; [unrolled: 1-line block ×7, first 2 shown]
	ds_read_b64 v[3:4], v114 offset:888
	v_cmp_lt_u32_e32 vcc, 39, v0
	s_waitcnt vmcnt(31) lgkmcnt(7)
	v_mul_f32_e32 v171, v115, v5
	v_mul_f32_e32 v5, v116, v5
	s_waitcnt vmcnt(30)
	v_mul_f32_e32 v172, v117, v6
	v_mul_f32_e32 v6, v118, v6
	s_waitcnt vmcnt(29) lgkmcnt(6)
	v_mul_f32_e32 v173, v119, v7
	v_mul_f32_e32 v7, v120, v7
	s_waitcnt vmcnt(28)
	v_mul_f32_e32 v174, v121, v8
	s_waitcnt vmcnt(27) lgkmcnt(5)
	v_mul_f32_e32 v175, v123, v143
	s_waitcnt vmcnt(26)
	v_mul_f32_e32 v176, v125, v144
	s_waitcnt vmcnt(25) lgkmcnt(4)
	;; [unrolled: 4-line block ×4, first 2 shown]
	v_mul_f32_e32 v181, v135, v149
	s_waitcnt vmcnt(20)
	v_mul_f32_e32 v182, v137, v150
	s_waitcnt vmcnt(16)
	v_fma_f32 v5, v115, v154, -v5
	s_waitcnt vmcnt(15)
	v_fma_f32 v6, v117, v155, -v6
	v_add_f32_e32 v5, 0, v5
	s_waitcnt vmcnt(14)
	v_fma_f32 v7, v119, v156, -v7
	v_add_f32_e32 v5, v5, v6
	v_add_f32_e32 v5, v5, v7
	v_mul_f32_e32 v7, v122, v8
	s_waitcnt vmcnt(13)
	v_fma_f32 v7, v121, v157, -v7
	v_add_f32_e32 v5, v5, v7
	v_mul_f32_e32 v7, v124, v143
	s_waitcnt vmcnt(12)
	v_fma_f32 v7, v123, v158, -v7
	;; [unrolled: 4-line block ×4, first 2 shown]
	v_add_f32_e32 v5, v5, v7
	v_mul_f32_e32 v7, v130, v146
	v_fmac_f32_e32 v171, v116, v154
	s_waitcnt vmcnt(9)
	v_fma_f32 v7, v129, v161, -v7
	v_fmac_f32_e32 v172, v118, v155
	v_add_f32_e32 v115, 0, v171
	v_add_f32_e32 v5, v5, v7
	v_mul_f32_e32 v7, v132, v147
	v_fmac_f32_e32 v173, v120, v156
	v_add_f32_e32 v115, v115, v172
	s_waitcnt vmcnt(8)
	v_fma_f32 v7, v131, v162, -v7
	v_fmac_f32_e32 v174, v122, v157
	v_add_f32_e32 v6, v115, v173
	v_add_f32_e32 v5, v5, v7
	v_mul_f32_e32 v7, v134, v148
	v_fmac_f32_e32 v175, v124, v158
	v_add_f32_e32 v6, v6, v174
	;; [unrolled: 8-line block ×4, first 2 shown]
	s_waitcnt vmcnt(5)
	v_fma_f32 v7, v137, v165, -v7
	v_fmac_f32_e32 v180, v134, v163
	v_add_f32_e32 v6, v6, v179
	v_add_f32_e32 v5, v5, v7
	s_waitcnt lgkmcnt(1)
	v_mul_f32_e32 v7, v140, v151
	v_fmac_f32_e32 v181, v136, v164
	v_add_f32_e32 v6, v6, v180
	s_waitcnt vmcnt(4)
	v_fma_f32 v7, v139, v166, -v7
	v_mul_f32_e32 v183, v139, v151
	s_waitcnt lgkmcnt(0)
	v_mul_f32_e32 v185, v3, v153
	v_fmac_f32_e32 v182, v138, v165
	v_add_f32_e32 v6, v6, v181
	v_add_f32_e32 v5, v5, v7
	v_mul_f32_e32 v7, v142, v152
	v_mul_f32_e32 v184, v141, v152
	v_fmac_f32_e32 v183, v140, v166
	s_waitcnt vmcnt(2)
	v_fmac_f32_e32 v185, v4, v168
	v_add_f32_e32 v6, v6, v182
	v_fma_f32 v7, v141, v167, -v7
	v_mul_f32_e32 v4, v4, v153
	v_fmac_f32_e32 v184, v142, v167
	v_add_f32_e32 v6, v6, v183
	v_add_f32_e32 v5, v5, v7
	v_fma_f32 v3, v3, v168, -v4
	v_add_f32_e32 v6, v6, v184
	v_add_f32_e32 v3, v5, v3
	;; [unrolled: 1-line block ×3, first 2 shown]
	s_waitcnt vmcnt(1)
	v_sub_f32_e32 v3, v169, v3
	s_waitcnt vmcnt(0)
	v_sub_f32_e32 v4, v170, v6
	buffer_store_dword v3, off, s[0:3], 0 offset:320
	buffer_store_dword v4, off, s[0:3], 0 offset:324
	s_and_saveexec_b64 s[4:5], vcc
	s_cbranch_execz .LBB119_271
; %bb.270:
	buffer_load_dword v3, off, s[0:3], 0 offset:312
	buffer_load_dword v4, off, s[0:3], 0 offset:316
	s_waitcnt vmcnt(0)
	ds_write_b64 v113, v[3:4]
	buffer_store_dword v114, off, s[0:3], 0 offset:312
	buffer_store_dword v114, off, s[0:3], 0 offset:316
.LBB119_271:
	s_or_b64 exec, exec, s[4:5]
	s_waitcnt lgkmcnt(0)
	; wave barrier
	buffer_load_dword v3, off, s[0:3], 0 offset:324
	buffer_load_dword v4, off, s[0:3], 0 offset:332
	buffer_load_dword v5, off, s[0:3], 0 offset:340
	buffer_load_dword v6, off, s[0:3], 0 offset:348
	buffer_load_dword v7, off, s[0:3], 0 offset:356
	buffer_load_dword v8, off, s[0:3], 0 offset:364
	buffer_load_dword v147, off, s[0:3], 0 offset:372
	buffer_load_dword v148, off, s[0:3], 0 offset:380
	buffer_load_dword v149, off, s[0:3], 0 offset:388
	buffer_load_dword v150, off, s[0:3], 0 offset:396
	buffer_load_dword v151, off, s[0:3], 0 offset:404
	buffer_load_dword v152, off, s[0:3], 0 offset:412
	buffer_load_dword v153, off, s[0:3], 0 offset:420
	buffer_load_dword v154, off, s[0:3], 0 offset:428
	buffer_load_dword v155, off, s[0:3], 0 offset:436
	buffer_load_dword v156, off, s[0:3], 0 offset:444
	buffer_load_dword v157, off, s[0:3], 0 offset:320
	buffer_load_dword v158, off, s[0:3], 0 offset:328
	buffer_load_dword v159, off, s[0:3], 0 offset:336
	buffer_load_dword v160, off, s[0:3], 0 offset:344
	buffer_load_dword v161, off, s[0:3], 0 offset:352
	buffer_load_dword v162, off, s[0:3], 0 offset:360
	buffer_load_dword v163, off, s[0:3], 0 offset:368
	buffer_load_dword v164, off, s[0:3], 0 offset:376
	buffer_load_dword v165, off, s[0:3], 0 offset:384
	buffer_load_dword v166, off, s[0:3], 0 offset:392
	buffer_load_dword v167, off, s[0:3], 0 offset:400
	buffer_load_dword v168, off, s[0:3], 0 offset:408
	buffer_load_dword v169, off, s[0:3], 0 offset:416
	buffer_load_dword v170, off, s[0:3], 0 offset:424
	buffer_load_dword v171, off, s[0:3], 0 offset:432
	buffer_load_dword v172, off, s[0:3], 0 offset:440
	buffer_load_dword v173, off, s[0:3], 0 offset:312
	buffer_load_dword v174, off, s[0:3], 0 offset:316
	ds_read_b128 v[115:118], v114 offset:768
	ds_read_b128 v[119:122], v114 offset:784
	ds_read_b128 v[123:126], v114 offset:800
	ds_read_b128 v[127:130], v114 offset:816
	ds_read_b128 v[131:134], v114 offset:832
	ds_read_b128 v[135:138], v114 offset:848
	ds_read_b128 v[139:142], v114 offset:864
	ds_read_b128 v[143:146], v114 offset:880
	v_cmp_lt_u32_e32 vcc, 38, v0
	s_waitcnt vmcnt(33) lgkmcnt(7)
	v_mul_f32_e32 v114, v115, v3
	v_mul_f32_e32 v3, v116, v3
	s_waitcnt vmcnt(32)
	v_mul_f32_e32 v175, v117, v4
	v_mul_f32_e32 v4, v118, v4
	s_waitcnt vmcnt(31) lgkmcnt(6)
	v_mul_f32_e32 v176, v119, v5
	v_mul_f32_e32 v5, v120, v5
	s_waitcnt vmcnt(30)
	v_mul_f32_e32 v177, v121, v6
	s_waitcnt vmcnt(29) lgkmcnt(5)
	v_mul_f32_e32 v178, v123, v7
	s_waitcnt vmcnt(28)
	v_mul_f32_e32 v179, v125, v8
	s_waitcnt vmcnt(27) lgkmcnt(4)
	;; [unrolled: 4-line block ×5, first 2 shown]
	v_mul_f32_e32 v186, v139, v153
	s_waitcnt vmcnt(17)
	v_fma_f32 v3, v115, v157, -v3
	s_waitcnt vmcnt(16)
	v_fma_f32 v4, v117, v158, -v4
	v_add_f32_e32 v3, 0, v3
	v_add_f32_e32 v3, v3, v4
	s_waitcnt vmcnt(15)
	v_fma_f32 v5, v119, v159, -v5
	v_add_f32_e32 v3, v3, v5
	v_mul_f32_e32 v5, v122, v6
	s_waitcnt vmcnt(14)
	v_fma_f32 v5, v121, v160, -v5
	v_add_f32_e32 v3, v3, v5
	v_mul_f32_e32 v5, v124, v7
	;; [unrolled: 4-line block ×6, first 2 shown]
	v_fmac_f32_e32 v114, v116, v157
	s_waitcnt vmcnt(9)
	v_fma_f32 v5, v131, v165, -v5
	v_fmac_f32_e32 v175, v118, v158
	v_add_f32_e32 v114, 0, v114
	v_add_f32_e32 v3, v3, v5
	v_mul_f32_e32 v5, v134, v150
	v_fmac_f32_e32 v176, v120, v159
	v_add_f32_e32 v114, v114, v175
	s_waitcnt vmcnt(8)
	v_fma_f32 v5, v133, v166, -v5
	v_fmac_f32_e32 v177, v122, v160
	v_add_f32_e32 v4, v114, v176
	v_add_f32_e32 v3, v3, v5
	v_mul_f32_e32 v5, v136, v151
	v_fmac_f32_e32 v178, v124, v161
	v_add_f32_e32 v4, v4, v177
	;; [unrolled: 8-line block ×5, first 2 shown]
	s_waitcnt vmcnt(4)
	v_fma_f32 v5, v141, v170, -v5
	v_fmac_f32_e32 v185, v138, v168
	v_add_f32_e32 v4, v4, v184
	v_add_f32_e32 v3, v3, v5
	s_waitcnt lgkmcnt(0)
	v_mul_f32_e32 v5, v144, v155
	v_mul_f32_e32 v187, v141, v154
	v_fmac_f32_e32 v186, v140, v169
	v_add_f32_e32 v4, v4, v185
	s_waitcnt vmcnt(3)
	v_fma_f32 v5, v143, v171, -v5
	v_mul_f32_e32 v188, v143, v155
	v_fmac_f32_e32 v187, v142, v170
	v_add_f32_e32 v4, v4, v186
	v_add_f32_e32 v3, v3, v5
	v_mul_f32_e32 v5, v146, v156
	v_mul_f32_e32 v189, v145, v156
	v_fmac_f32_e32 v188, v144, v171
	v_add_f32_e32 v4, v4, v187
	s_waitcnt vmcnt(2)
	v_fma_f32 v5, v145, v172, -v5
	v_fmac_f32_e32 v189, v146, v172
	v_add_f32_e32 v4, v4, v188
	v_add_f32_e32 v3, v3, v5
	;; [unrolled: 1-line block ×3, first 2 shown]
	s_waitcnt vmcnt(1)
	v_sub_f32_e32 v3, v173, v3
	s_waitcnt vmcnt(0)
	v_sub_f32_e32 v4, v174, v4
	buffer_store_dword v3, off, s[0:3], 0 offset:312
	buffer_store_dword v4, off, s[0:3], 0 offset:316
	s_and_saveexec_b64 s[4:5], vcc
	s_cbranch_execz .LBB119_273
; %bb.272:
	buffer_load_dword v3, off, s[0:3], 0 offset:304
	buffer_load_dword v4, off, s[0:3], 0 offset:308
	v_mov_b32_e32 v5, 0
	buffer_store_dword v5, off, s[0:3], 0 offset:304
	buffer_store_dword v5, off, s[0:3], 0 offset:308
	s_waitcnt vmcnt(2)
	ds_write_b64 v113, v[3:4]
.LBB119_273:
	s_or_b64 exec, exec, s[4:5]
	s_waitcnt lgkmcnt(0)
	; wave barrier
	buffer_load_dword v5, off, s[0:3], 0 offset:316
	buffer_load_dword v6, off, s[0:3], 0 offset:324
	;; [unrolled: 1-line block ×36, first 2 shown]
	v_mov_b32_e32 v114, 0
	ds_read2_b64 v[115:118], v114 offset0:95 offset1:96
	ds_read2_b64 v[119:122], v114 offset0:97 offset1:98
	;; [unrolled: 1-line block ×8, first 2 shown]
	ds_read_b64 v[3:4], v114 offset:888
	v_cmp_lt_u32_e32 vcc, 37, v0
	s_waitcnt vmcnt(35) lgkmcnt(8)
	v_mul_f32_e32 v179, v115, v5
	v_mul_f32_e32 v5, v116, v5
	s_waitcnt vmcnt(34)
	v_mul_f32_e32 v180, v117, v6
	v_mul_f32_e32 v6, v118, v6
	s_waitcnt vmcnt(33) lgkmcnt(7)
	v_mul_f32_e32 v181, v119, v7
	s_waitcnt vmcnt(32)
	v_mul_f32_e32 v182, v121, v8
	s_waitcnt vmcnt(31) lgkmcnt(6)
	v_mul_f32_e32 v183, v123, v147
	s_waitcnt vmcnt(30)
	;; [unrolled: 4-line block ×7, first 2 shown]
	v_fma_f32 v5, v115, v160, -v5
	v_add_f32_e32 v5, 0, v5
	s_waitcnt vmcnt(17)
	v_fma_f32 v6, v117, v161, -v6
	v_add_f32_e32 v5, v5, v6
	v_mul_f32_e32 v6, v120, v7
	s_waitcnt vmcnt(16)
	v_fma_f32 v6, v119, v162, -v6
	v_add_f32_e32 v5, v5, v6
	v_mul_f32_e32 v6, v122, v8
	s_waitcnt vmcnt(15)
	v_fma_f32 v6, v121, v163, -v6
	v_add_f32_e32 v5, v5, v6
	v_mul_f32_e32 v6, v124, v147
	s_waitcnt vmcnt(14)
	v_fma_f32 v6, v123, v164, -v6
	v_add_f32_e32 v5, v5, v6
	v_mul_f32_e32 v6, v126, v148
	s_waitcnt vmcnt(13)
	v_fma_f32 v6, v125, v165, -v6
	v_add_f32_e32 v5, v5, v6
	v_mul_f32_e32 v6, v128, v149
	s_waitcnt vmcnt(12)
	v_fma_f32 v6, v127, v166, -v6
	v_add_f32_e32 v5, v5, v6
	v_mul_f32_e32 v6, v130, v150
	s_waitcnt vmcnt(11)
	v_fma_f32 v6, v129, v167, -v6
	v_add_f32_e32 v5, v5, v6
	v_mul_f32_e32 v6, v132, v151
	v_fmac_f32_e32 v179, v116, v160
	s_waitcnt vmcnt(10)
	v_fma_f32 v6, v131, v168, -v6
	v_fmac_f32_e32 v180, v118, v161
	v_add_f32_e32 v179, 0, v179
	v_add_f32_e32 v5, v5, v6
	v_mul_f32_e32 v6, v134, v152
	v_fmac_f32_e32 v181, v120, v162
	v_add_f32_e32 v179, v179, v180
	s_waitcnt vmcnt(9)
	v_fma_f32 v6, v133, v169, -v6
	v_fmac_f32_e32 v182, v122, v163
	v_add_f32_e32 v179, v179, v181
	v_add_f32_e32 v5, v5, v6
	v_mul_f32_e32 v6, v136, v153
	v_fmac_f32_e32 v183, v124, v164
	v_add_f32_e32 v179, v179, v182
	;; [unrolled: 8-line block ×6, first 2 shown]
	s_waitcnt vmcnt(4)
	v_fma_f32 v6, v143, v174, -v6
	s_waitcnt lgkmcnt(0)
	v_mul_f32_e32 v195, v3, v159
	v_fmac_f32_e32 v192, v142, v173
	v_add_f32_e32 v179, v179, v191
	v_add_f32_e32 v5, v5, v6
	v_mul_f32_e32 v6, v146, v158
	v_mul_f32_e32 v194, v145, v158
	v_fmac_f32_e32 v193, v144, v174
	s_waitcnt vmcnt(2)
	v_fmac_f32_e32 v195, v4, v176
	v_add_f32_e32 v179, v179, v192
	v_fma_f32 v6, v145, v175, -v6
	v_mul_f32_e32 v4, v4, v159
	v_fmac_f32_e32 v194, v146, v175
	v_add_f32_e32 v179, v179, v193
	v_add_f32_e32 v5, v5, v6
	v_fma_f32 v3, v3, v176, -v4
	v_add_f32_e32 v179, v179, v194
	v_add_f32_e32 v3, v5, v3
	;; [unrolled: 1-line block ×3, first 2 shown]
	s_waitcnt vmcnt(1)
	v_sub_f32_e32 v3, v177, v3
	s_waitcnt vmcnt(0)
	v_sub_f32_e32 v4, v178, v179
	buffer_store_dword v3, off, s[0:3], 0 offset:304
	buffer_store_dword v4, off, s[0:3], 0 offset:308
	s_and_saveexec_b64 s[4:5], vcc
	s_cbranch_execz .LBB119_275
; %bb.274:
	buffer_load_dword v3, off, s[0:3], 0 offset:296
	buffer_load_dword v4, off, s[0:3], 0 offset:300
	s_waitcnt vmcnt(0)
	ds_write_b64 v113, v[3:4]
	buffer_store_dword v114, off, s[0:3], 0 offset:296
	buffer_store_dword v114, off, s[0:3], 0 offset:300
.LBB119_275:
	s_or_b64 exec, exec, s[4:5]
	s_waitcnt lgkmcnt(0)
	; wave barrier
	buffer_load_dword v3, off, s[0:3], 0 offset:308
	buffer_load_dword v4, off, s[0:3], 0 offset:316
	;; [unrolled: 1-line block ×38, first 2 shown]
	ds_read_b128 v[115:118], v114 offset:752
	ds_read_b128 v[119:122], v114 offset:768
	;; [unrolled: 1-line block ×9, first 2 shown]
	v_cmp_lt_u32_e32 vcc, 36, v0
	s_waitcnt vmcnt(37) lgkmcnt(8)
	v_mul_f32_e32 v114, v115, v3
	v_mul_f32_e32 v3, v116, v3
	s_waitcnt vmcnt(36)
	v_mul_f32_e32 v183, v117, v4
	v_mul_f32_e32 v4, v118, v4
	s_waitcnt vmcnt(35) lgkmcnt(7)
	v_mul_f32_e32 v184, v119, v5
	s_waitcnt vmcnt(34)
	v_mul_f32_e32 v185, v121, v6
	s_waitcnt vmcnt(33) lgkmcnt(6)
	v_mul_f32_e32 v186, v123, v7
	s_waitcnt vmcnt(32)
	;; [unrolled: 4-line block ×7, first 2 shown]
	v_fma_f32 v3, v115, v162, -v3
	v_add_f32_e32 v3, 0, v3
	s_waitcnt vmcnt(19)
	v_fma_f32 v4, v117, v163, -v4
	v_add_f32_e32 v3, v3, v4
	v_mul_f32_e32 v4, v120, v5
	s_waitcnt vmcnt(18)
	v_fma_f32 v4, v119, v164, -v4
	v_add_f32_e32 v3, v3, v4
	v_mul_f32_e32 v4, v122, v6
	;; [unrolled: 4-line block ×8, first 2 shown]
	v_fmac_f32_e32 v114, v116, v162
	s_waitcnt vmcnt(11)
	v_fma_f32 v4, v133, v171, -v4
	v_fmac_f32_e32 v183, v118, v163
	v_add_f32_e32 v114, 0, v114
	v_add_f32_e32 v3, v3, v4
	v_mul_f32_e32 v4, v136, v155
	v_fmac_f32_e32 v184, v120, v164
	v_add_f32_e32 v114, v114, v183
	s_waitcnt vmcnt(10)
	v_fma_f32 v4, v135, v172, -v4
	v_fmac_f32_e32 v185, v122, v165
	v_add_f32_e32 v114, v114, v184
	v_add_f32_e32 v3, v3, v4
	v_mul_f32_e32 v4, v138, v156
	v_fmac_f32_e32 v186, v124, v166
	v_add_f32_e32 v114, v114, v185
	;; [unrolled: 8-line block ×6, first 2 shown]
	s_waitcnt vmcnt(5)
	v_fma_f32 v4, v145, v177, -v4
	v_fmac_f32_e32 v195, v142, v175
	v_add_f32_e32 v114, v114, v194
	v_add_f32_e32 v3, v3, v4
	s_waitcnt lgkmcnt(0)
	v_mul_f32_e32 v4, v148, v161
	v_mul_f32_e32 v197, v145, v160
	v_fmac_f32_e32 v196, v144, v176
	v_add_f32_e32 v114, v114, v195
	s_waitcnt vmcnt(4)
	v_fma_f32 v4, v147, v178, -v4
	v_mul_f32_e32 v198, v147, v161
	v_fmac_f32_e32 v197, v146, v177
	v_add_f32_e32 v114, v114, v196
	v_add_f32_e32 v3, v3, v4
	s_waitcnt vmcnt(3)
	v_mul_f32_e32 v4, v150, v179
	v_add_f32_e32 v114, v114, v197
	v_fmac_f32_e32 v198, v148, v178
	v_mul_f32_e32 v183, v149, v179
	s_waitcnt vmcnt(2)
	v_fma_f32 v4, v149, v180, -v4
	v_add_f32_e32 v114, v114, v198
	v_fmac_f32_e32 v183, v150, v180
	v_add_f32_e32 v3, v3, v4
	v_add_f32_e32 v114, v114, v183
	s_waitcnt vmcnt(1)
	v_sub_f32_e32 v3, v181, v3
	s_waitcnt vmcnt(0)
	v_sub_f32_e32 v4, v182, v114
	buffer_store_dword v3, off, s[0:3], 0 offset:296
	buffer_store_dword v4, off, s[0:3], 0 offset:300
	s_and_saveexec_b64 s[4:5], vcc
	s_cbranch_execz .LBB119_277
; %bb.276:
	buffer_load_dword v3, off, s[0:3], 0 offset:288
	buffer_load_dword v4, off, s[0:3], 0 offset:292
	v_mov_b32_e32 v5, 0
	buffer_store_dword v5, off, s[0:3], 0 offset:288
	buffer_store_dword v5, off, s[0:3], 0 offset:292
	s_waitcnt vmcnt(2)
	ds_write_b64 v113, v[3:4]
.LBB119_277:
	s_or_b64 exec, exec, s[4:5]
	s_waitcnt lgkmcnt(0)
	; wave barrier
	buffer_load_dword v5, off, s[0:3], 0 offset:300
	buffer_load_dword v6, off, s[0:3], 0 offset:308
	buffer_load_dword v7, off, s[0:3], 0 offset:316
	buffer_load_dword v8, off, s[0:3], 0 offset:324
	buffer_load_dword v151, off, s[0:3], 0 offset:332
	buffer_load_dword v152, off, s[0:3], 0 offset:340
	buffer_load_dword v153, off, s[0:3], 0 offset:348
	buffer_load_dword v154, off, s[0:3], 0 offset:356
	buffer_load_dword v155, off, s[0:3], 0 offset:364
	buffer_load_dword v156, off, s[0:3], 0 offset:372
	buffer_load_dword v157, off, s[0:3], 0 offset:380
	buffer_load_dword v158, off, s[0:3], 0 offset:388
	buffer_load_dword v159, off, s[0:3], 0 offset:396
	buffer_load_dword v160, off, s[0:3], 0 offset:404
	buffer_load_dword v161, off, s[0:3], 0 offset:412
	buffer_load_dword v162, off, s[0:3], 0 offset:296
	buffer_load_dword v163, off, s[0:3], 0 offset:304
	buffer_load_dword v164, off, s[0:3], 0 offset:312
	buffer_load_dword v165, off, s[0:3], 0 offset:320
	buffer_load_dword v166, off, s[0:3], 0 offset:328
	buffer_load_dword v167, off, s[0:3], 0 offset:336
	buffer_load_dword v168, off, s[0:3], 0 offset:344
	buffer_load_dword v169, off, s[0:3], 0 offset:352
	buffer_load_dword v170, off, s[0:3], 0 offset:360
	buffer_load_dword v171, off, s[0:3], 0 offset:368
	buffer_load_dword v172, off, s[0:3], 0 offset:376
	buffer_load_dword v173, off, s[0:3], 0 offset:384
	buffer_load_dword v174, off, s[0:3], 0 offset:392
	buffer_load_dword v175, off, s[0:3], 0 offset:400
	buffer_load_dword v176, off, s[0:3], 0 offset:408
	buffer_load_dword v177, off, s[0:3], 0 offset:420
	buffer_load_dword v178, off, s[0:3], 0 offset:416
	buffer_load_dword v179, off, s[0:3], 0 offset:428
	buffer_load_dword v180, off, s[0:3], 0 offset:424
	buffer_load_dword v181, off, s[0:3], 0 offset:436
	buffer_load_dword v182, off, s[0:3], 0 offset:432
	buffer_load_dword v183, off, s[0:3], 0 offset:444
	buffer_load_dword v184, off, s[0:3], 0 offset:440
	buffer_load_dword v185, off, s[0:3], 0 offset:288
	buffer_load_dword v186, off, s[0:3], 0 offset:292
	v_mov_b32_e32 v114, 0
	ds_read2_b64 v[115:118], v114 offset0:93 offset1:94
	ds_read2_b64 v[119:122], v114 offset0:95 offset1:96
	;; [unrolled: 1-line block ×9, first 2 shown]
	v_cmp_lt_u32_e32 vcc, 35, v0
	s_waitcnt vmcnt(39) lgkmcnt(8)
	v_mul_f32_e32 v3, v115, v5
	v_mul_f32_e32 v5, v116, v5
	s_waitcnt vmcnt(38)
	v_mul_f32_e32 v4, v117, v6
	v_mul_f32_e32 v6, v118, v6
	s_waitcnt vmcnt(37) lgkmcnt(7)
	v_mul_f32_e32 v187, v119, v7
	s_waitcnt vmcnt(36)
	v_mul_f32_e32 v188, v121, v8
	s_waitcnt vmcnt(35) lgkmcnt(6)
	v_mul_f32_e32 v189, v123, v151
	s_waitcnt vmcnt(34)
	;; [unrolled: 4-line block ×6, first 2 shown]
	v_fma_f32 v5, v115, v162, -v5
	v_add_f32_e32 v5, 0, v5
	s_waitcnt vmcnt(23)
	v_fma_f32 v6, v117, v163, -v6
	v_add_f32_e32 v5, v5, v6
	v_mul_f32_e32 v6, v120, v7
	s_waitcnt vmcnt(22)
	v_fma_f32 v6, v119, v164, -v6
	v_add_f32_e32 v5, v5, v6
	v_mul_f32_e32 v6, v122, v8
	;; [unrolled: 4-line block ×5, first 2 shown]
	v_fmac_f32_e32 v3, v116, v162
	s_waitcnt vmcnt(18)
	v_fma_f32 v6, v127, v168, -v6
	v_fmac_f32_e32 v4, v118, v163
	v_add_f32_e32 v3, 0, v3
	v_add_f32_e32 v5, v5, v6
	v_mul_f32_e32 v6, v130, v154
	v_fmac_f32_e32 v187, v120, v164
	v_add_f32_e32 v3, v3, v4
	s_waitcnt vmcnt(17)
	v_fma_f32 v6, v129, v169, -v6
	v_fmac_f32_e32 v188, v122, v165
	v_add_f32_e32 v3, v3, v187
	v_add_f32_e32 v5, v5, v6
	v_mul_f32_e32 v6, v132, v155
	v_fmac_f32_e32 v189, v124, v166
	v_add_f32_e32 v3, v3, v188
	s_waitcnt vmcnt(16)
	v_fma_f32 v6, v131, v170, -v6
	v_fmac_f32_e32 v190, v126, v167
	v_add_f32_e32 v3, v3, v189
	v_add_f32_e32 v5, v5, v6
	v_mul_f32_e32 v6, v134, v156
	v_fmac_f32_e32 v191, v128, v168
	v_add_f32_e32 v3, v3, v190
	s_waitcnt vmcnt(15)
	v_fma_f32 v6, v133, v171, -v6
	v_fmac_f32_e32 v192, v130, v169
	v_add_f32_e32 v3, v3, v191
	v_add_f32_e32 v5, v5, v6
	v_mul_f32_e32 v6, v136, v157
	v_fmac_f32_e32 v193, v132, v170
	v_add_f32_e32 v3, v3, v192
	s_waitcnt vmcnt(14)
	v_fma_f32 v6, v135, v172, -v6
	v_fmac_f32_e32 v194, v134, v171
	v_add_f32_e32 v3, v3, v193
	v_add_f32_e32 v5, v5, v6
	v_mul_f32_e32 v6, v138, v158
	v_fmac_f32_e32 v195, v136, v172
	v_add_f32_e32 v3, v3, v194
	s_waitcnt vmcnt(13)
	v_fma_f32 v6, v137, v173, -v6
	v_fmac_f32_e32 v196, v138, v173
	v_add_f32_e32 v3, v3, v195
	v_add_f32_e32 v5, v5, v6
	v_mul_f32_e32 v6, v140, v159
	v_mul_f32_e32 v198, v141, v160
	s_waitcnt vmcnt(12)
	v_fmac_f32_e32 v197, v140, v174
	v_add_f32_e32 v3, v3, v196
	v_fma_f32 v6, v139, v174, -v6
	s_waitcnt lgkmcnt(1)
	v_mul_f32_e32 v199, v143, v161
	s_waitcnt vmcnt(11)
	v_fmac_f32_e32 v198, v142, v175
	v_add_f32_e32 v3, v3, v197
	v_add_f32_e32 v5, v5, v6
	v_mul_f32_e32 v6, v142, v160
	s_waitcnt vmcnt(10)
	v_fmac_f32_e32 v199, v144, v176
	v_add_f32_e32 v3, v3, v198
	s_waitcnt vmcnt(9)
	v_mul_f32_e32 v4, v145, v177
	v_fma_f32 v6, v141, v175, -v6
	v_add_f32_e32 v3, v3, v199
	s_waitcnt vmcnt(8)
	v_fmac_f32_e32 v4, v146, v178
	v_add_f32_e32 v5, v5, v6
	v_mul_f32_e32 v6, v144, v161
	v_add_f32_e32 v187, v3, v4
	ds_read_b64 v[3:4], v114 offset:888
	v_fma_f32 v6, v143, v176, -v6
	s_waitcnt vmcnt(7) lgkmcnt(1)
	v_mul_f32_e32 v188, v147, v179
	v_add_f32_e32 v5, v5, v6
	v_mul_f32_e32 v6, v146, v177
	s_waitcnt vmcnt(6)
	v_fmac_f32_e32 v188, v148, v180
	v_fma_f32 v6, v145, v178, -v6
	v_add_f32_e32 v187, v187, v188
	s_waitcnt vmcnt(5)
	v_mul_f32_e32 v188, v149, v181
	v_add_f32_e32 v5, v5, v6
	v_mul_f32_e32 v6, v148, v179
	s_waitcnt vmcnt(4)
	v_fmac_f32_e32 v188, v150, v182
	v_fma_f32 v6, v147, v180, -v6
	v_add_f32_e32 v187, v187, v188
	s_waitcnt vmcnt(3) lgkmcnt(0)
	v_mul_f32_e32 v188, v3, v183
	v_add_f32_e32 v5, v5, v6
	v_mul_f32_e32 v6, v150, v181
	s_waitcnt vmcnt(2)
	v_fmac_f32_e32 v188, v4, v184
	v_fma_f32 v6, v149, v182, -v6
	v_mul_f32_e32 v4, v4, v183
	v_add_f32_e32 v5, v5, v6
	v_fma_f32 v3, v3, v184, -v4
	v_add_f32_e32 v3, v5, v3
	v_add_f32_e32 v187, v187, v188
	s_waitcnt vmcnt(1)
	v_sub_f32_e32 v3, v185, v3
	s_waitcnt vmcnt(0)
	v_sub_f32_e32 v4, v186, v187
	buffer_store_dword v3, off, s[0:3], 0 offset:288
	buffer_store_dword v4, off, s[0:3], 0 offset:292
	s_and_saveexec_b64 s[4:5], vcc
	s_cbranch_execz .LBB119_279
; %bb.278:
	buffer_load_dword v3, off, s[0:3], 0 offset:280
	buffer_load_dword v4, off, s[0:3], 0 offset:284
	s_waitcnt vmcnt(0)
	ds_write_b64 v113, v[3:4]
	buffer_store_dword v114, off, s[0:3], 0 offset:280
	buffer_store_dword v114, off, s[0:3], 0 offset:284
.LBB119_279:
	s_or_b64 exec, exec, s[4:5]
	s_waitcnt lgkmcnt(0)
	; wave barrier
	buffer_load_dword v3, off, s[0:3], 0 offset:292
	buffer_load_dword v4, off, s[0:3], 0 offset:300
	;; [unrolled: 1-line block ×42, first 2 shown]
	ds_read_b128 v[115:118], v114 offset:736
	ds_read_b128 v[119:122], v114 offset:752
	;; [unrolled: 1-line block ×8, first 2 shown]
	v_cmp_lt_u32_e32 vcc, 34, v0
	s_waitcnt vmcnt(41) lgkmcnt(7)
	v_mul_f32_e32 v147, v115, v3
	v_mul_f32_e32 v3, v116, v3
	s_waitcnt vmcnt(40)
	v_mul_f32_e32 v148, v117, v4
	v_mul_f32_e32 v4, v118, v4
	s_waitcnt vmcnt(39) lgkmcnt(6)
	v_mul_f32_e32 v149, v119, v5
	s_waitcnt vmcnt(38)
	v_mul_f32_e32 v150, v121, v6
	s_waitcnt vmcnt(37) lgkmcnt(5)
	v_mul_f32_e32 v151, v123, v7
	s_waitcnt vmcnt(36)
	;; [unrolled: 4-line block ×6, first 2 shown]
	v_fma_f32 v3, v115, v164, -v3
	v_add_f32_e32 v3, 0, v3
	s_waitcnt vmcnt(25)
	v_fma_f32 v4, v117, v165, -v4
	v_add_f32_e32 v3, v3, v4
	v_mul_f32_e32 v4, v120, v5
	s_waitcnt vmcnt(24)
	v_fma_f32 v4, v119, v166, -v4
	v_add_f32_e32 v3, v3, v4
	v_mul_f32_e32 v4, v122, v6
	;; [unrolled: 4-line block ×4, first 2 shown]
	s_waitcnt vmcnt(21)
	v_fma_f32 v4, v125, v169, -v4
	v_fmac_f32_e32 v147, v116, v164
	v_add_f32_e32 v3, v3, v4
	v_mul_f32_e32 v4, v128, v155
	v_fmac_f32_e32 v148, v118, v165
	v_add_f32_e32 v147, 0, v147
	s_waitcnt vmcnt(20)
	v_fma_f32 v4, v127, v170, -v4
	v_fmac_f32_e32 v149, v120, v166
	v_add_f32_e32 v147, v147, v148
	v_add_f32_e32 v3, v3, v4
	v_mul_f32_e32 v4, v130, v156
	v_fmac_f32_e32 v150, v122, v167
	v_add_f32_e32 v147, v147, v149
	s_waitcnt vmcnt(19)
	v_fma_f32 v4, v129, v171, -v4
	v_fmac_f32_e32 v151, v124, v168
	v_add_f32_e32 v147, v147, v150
	v_add_f32_e32 v3, v3, v4
	v_mul_f32_e32 v4, v132, v157
	v_fmac_f32_e32 v152, v126, v169
	v_add_f32_e32 v147, v147, v151
	s_waitcnt vmcnt(18)
	v_fma_f32 v4, v131, v172, -v4
	v_fmac_f32_e32 v153, v128, v170
	v_add_f32_e32 v147, v147, v152
	v_add_f32_e32 v3, v3, v4
	v_mul_f32_e32 v4, v134, v158
	v_fmac_f32_e32 v154, v130, v171
	v_add_f32_e32 v147, v147, v153
	s_waitcnt vmcnt(17)
	v_fma_f32 v4, v133, v173, -v4
	v_fmac_f32_e32 v191, v132, v172
	v_add_f32_e32 v147, v147, v154
	v_add_f32_e32 v3, v3, v4
	v_mul_f32_e32 v4, v136, v159
	v_fmac_f32_e32 v192, v134, v173
	v_add_f32_e32 v147, v147, v191
	s_waitcnt vmcnt(16)
	v_fma_f32 v4, v135, v174, -v4
	v_fmac_f32_e32 v193, v136, v174
	v_add_f32_e32 v147, v147, v192
	v_add_f32_e32 v3, v3, v4
	v_mul_f32_e32 v4, v138, v160
	s_waitcnt vmcnt(15)
	v_fmac_f32_e32 v194, v138, v175
	v_add_f32_e32 v147, v147, v193
	v_fma_f32 v4, v137, v175, -v4
	v_mul_f32_e32 v196, v141, v162
	s_waitcnt vmcnt(14)
	v_fmac_f32_e32 v195, v140, v176
	v_add_f32_e32 v147, v147, v194
	v_add_f32_e32 v3, v3, v4
	v_mul_f32_e32 v4, v140, v161
	s_waitcnt lgkmcnt(0)
	v_mul_f32_e32 v197, v143, v163
	s_waitcnt vmcnt(13)
	v_fmac_f32_e32 v196, v142, v177
	v_add_f32_e32 v147, v147, v195
	v_fma_f32 v4, v139, v176, -v4
	s_waitcnt vmcnt(12)
	v_fmac_f32_e32 v197, v144, v178
	v_add_f32_e32 v147, v147, v196
	v_add_f32_e32 v3, v3, v4
	v_mul_f32_e32 v4, v142, v162
	v_add_f32_e32 v151, v147, v197
	ds_read_b128 v[147:150], v114 offset:864
	v_fma_f32 v4, v141, v177, -v4
	v_add_f32_e32 v3, v3, v4
	v_mul_f32_e32 v4, v144, v163
	s_waitcnt vmcnt(11)
	v_mul_f32_e32 v152, v145, v179
	v_fma_f32 v4, v143, v178, -v4
	s_waitcnt vmcnt(10)
	v_fmac_f32_e32 v152, v146, v180
	v_add_f32_e32 v3, v3, v4
	v_mul_f32_e32 v4, v146, v179
	v_add_f32_e32 v191, v151, v152
	ds_read_b128 v[151:154], v114 offset:880
	v_fma_f32 v4, v145, v180, -v4
	v_add_f32_e32 v3, v3, v4
	s_waitcnt vmcnt(9) lgkmcnt(1)
	v_mul_f32_e32 v4, v148, v181
	v_mul_f32_e32 v114, v147, v181
	s_waitcnt vmcnt(8)
	v_fma_f32 v4, v147, v182, -v4
	v_fmac_f32_e32 v114, v148, v182
	v_add_f32_e32 v3, v3, v4
	s_waitcnt vmcnt(7)
	v_mul_f32_e32 v4, v150, v183
	v_add_f32_e32 v114, v191, v114
	v_mul_f32_e32 v191, v149, v183
	s_waitcnt vmcnt(6)
	v_fma_f32 v4, v149, v184, -v4
	v_fmac_f32_e32 v191, v150, v184
	v_add_f32_e32 v3, v3, v4
	s_waitcnt vmcnt(5) lgkmcnt(0)
	v_mul_f32_e32 v4, v152, v185
	v_add_f32_e32 v114, v114, v191
	v_mul_f32_e32 v191, v151, v185
	s_waitcnt vmcnt(4)
	v_fma_f32 v4, v151, v186, -v4
	v_fmac_f32_e32 v191, v152, v186
	v_add_f32_e32 v3, v3, v4
	s_waitcnt vmcnt(3)
	v_mul_f32_e32 v4, v154, v187
	v_add_f32_e32 v114, v114, v191
	v_mul_f32_e32 v191, v153, v187
	s_waitcnt vmcnt(2)
	v_fma_f32 v4, v153, v188, -v4
	v_fmac_f32_e32 v191, v154, v188
	v_add_f32_e32 v3, v3, v4
	v_add_f32_e32 v114, v114, v191
	s_waitcnt vmcnt(1)
	v_sub_f32_e32 v3, v189, v3
	s_waitcnt vmcnt(0)
	v_sub_f32_e32 v4, v190, v114
	buffer_store_dword v3, off, s[0:3], 0 offset:280
	buffer_store_dword v4, off, s[0:3], 0 offset:284
	s_and_saveexec_b64 s[4:5], vcc
	s_cbranch_execz .LBB119_281
; %bb.280:
	buffer_load_dword v3, off, s[0:3], 0 offset:272
	buffer_load_dword v4, off, s[0:3], 0 offset:276
	v_mov_b32_e32 v5, 0
	buffer_store_dword v5, off, s[0:3], 0 offset:272
	buffer_store_dword v5, off, s[0:3], 0 offset:276
	s_waitcnt vmcnt(2)
	ds_write_b64 v113, v[3:4]
.LBB119_281:
	s_or_b64 exec, exec, s[4:5]
	s_waitcnt lgkmcnt(0)
	; wave barrier
	buffer_load_dword v5, off, s[0:3], 0 offset:284
	buffer_load_dword v6, off, s[0:3], 0 offset:292
	buffer_load_dword v7, off, s[0:3], 0 offset:300
	buffer_load_dword v8, off, s[0:3], 0 offset:308
	buffer_load_dword v155, off, s[0:3], 0 offset:316
	buffer_load_dword v156, off, s[0:3], 0 offset:324
	buffer_load_dword v157, off, s[0:3], 0 offset:332
	buffer_load_dword v158, off, s[0:3], 0 offset:340
	buffer_load_dword v159, off, s[0:3], 0 offset:348
	buffer_load_dword v160, off, s[0:3], 0 offset:356
	buffer_load_dword v161, off, s[0:3], 0 offset:364
	buffer_load_dword v162, off, s[0:3], 0 offset:372
	buffer_load_dword v163, off, s[0:3], 0 offset:380
	buffer_load_dword v164, off, s[0:3], 0 offset:388
	buffer_load_dword v165, off, s[0:3], 0 offset:280
	buffer_load_dword v166, off, s[0:3], 0 offset:288
	buffer_load_dword v167, off, s[0:3], 0 offset:296
	buffer_load_dword v168, off, s[0:3], 0 offset:304
	buffer_load_dword v169, off, s[0:3], 0 offset:312
	buffer_load_dword v170, off, s[0:3], 0 offset:320
	buffer_load_dword v171, off, s[0:3], 0 offset:328
	buffer_load_dword v172, off, s[0:3], 0 offset:336
	buffer_load_dword v173, off, s[0:3], 0 offset:344
	buffer_load_dword v174, off, s[0:3], 0 offset:352
	buffer_load_dword v175, off, s[0:3], 0 offset:360
	buffer_load_dword v176, off, s[0:3], 0 offset:368
	buffer_load_dword v177, off, s[0:3], 0 offset:376
	buffer_load_dword v178, off, s[0:3], 0 offset:384
	buffer_load_dword v179, off, s[0:3], 0 offset:396
	buffer_load_dword v180, off, s[0:3], 0 offset:392
	buffer_load_dword v181, off, s[0:3], 0 offset:404
	buffer_load_dword v182, off, s[0:3], 0 offset:400
	buffer_load_dword v183, off, s[0:3], 0 offset:412
	buffer_load_dword v184, off, s[0:3], 0 offset:408
	buffer_load_dword v185, off, s[0:3], 0 offset:420
	buffer_load_dword v186, off, s[0:3], 0 offset:416
	buffer_load_dword v187, off, s[0:3], 0 offset:428
	buffer_load_dword v188, off, s[0:3], 0 offset:424
	buffer_load_dword v189, off, s[0:3], 0 offset:436
	buffer_load_dword v190, off, s[0:3], 0 offset:432
	buffer_load_dword v191, off, s[0:3], 0 offset:444
	buffer_load_dword v192, off, s[0:3], 0 offset:440
	buffer_load_dword v193, off, s[0:3], 0 offset:272
	buffer_load_dword v194, off, s[0:3], 0 offset:276
	v_mov_b32_e32 v114, 0
	ds_read2_b64 v[115:118], v114 offset0:91 offset1:92
	ds_read2_b64 v[119:122], v114 offset0:93 offset1:94
	;; [unrolled: 1-line block ×8, first 2 shown]
	v_cmp_lt_u32_e32 vcc, 33, v0
	s_waitcnt vmcnt(43) lgkmcnt(7)
	v_mul_f32_e32 v3, v115, v5
	v_mul_f32_e32 v5, v116, v5
	s_waitcnt vmcnt(42)
	v_mul_f32_e32 v4, v117, v6
	v_mul_f32_e32 v6, v118, v6
	s_waitcnt vmcnt(41) lgkmcnt(6)
	v_mul_f32_e32 v147, v119, v7
	s_waitcnt vmcnt(40)
	v_mul_f32_e32 v148, v121, v8
	s_waitcnt vmcnt(39) lgkmcnt(5)
	v_mul_f32_e32 v149, v123, v155
	s_waitcnt vmcnt(38)
	;; [unrolled: 4-line block ×5, first 2 shown]
	v_mul_f32_e32 v196, v137, v162
	s_waitcnt vmcnt(29)
	v_fma_f32 v5, v115, v165, -v5
	v_add_f32_e32 v5, 0, v5
	s_waitcnt vmcnt(28)
	v_fma_f32 v6, v117, v166, -v6
	v_add_f32_e32 v5, v5, v6
	v_mul_f32_e32 v6, v120, v7
	s_waitcnt vmcnt(27)
	v_fma_f32 v6, v119, v167, -v6
	v_add_f32_e32 v5, v5, v6
	v_mul_f32_e32 v6, v122, v8
	;; [unrolled: 4-line block ×4, first 2 shown]
	s_waitcnt vmcnt(24)
	v_fma_f32 v6, v125, v170, -v6
	v_fmac_f32_e32 v3, v116, v165
	v_add_f32_e32 v5, v5, v6
	v_mul_f32_e32 v6, v128, v157
	v_fmac_f32_e32 v4, v118, v166
	v_add_f32_e32 v3, 0, v3
	s_waitcnt vmcnt(23)
	v_fma_f32 v6, v127, v171, -v6
	v_fmac_f32_e32 v147, v120, v167
	v_add_f32_e32 v3, v3, v4
	v_add_f32_e32 v5, v5, v6
	v_mul_f32_e32 v6, v130, v158
	v_fmac_f32_e32 v148, v122, v168
	v_add_f32_e32 v3, v3, v147
	s_waitcnt vmcnt(22)
	v_fma_f32 v6, v129, v172, -v6
	v_fmac_f32_e32 v149, v124, v169
	v_add_f32_e32 v3, v3, v148
	;; [unrolled: 8-line block ×5, first 2 shown]
	v_add_f32_e32 v5, v5, v6
	v_mul_f32_e32 v6, v138, v162
	s_waitcnt lgkmcnt(1)
	v_mul_f32_e32 v197, v139, v163
	s_waitcnt vmcnt(18)
	v_fmac_f32_e32 v196, v138, v176
	v_add_f32_e32 v3, v3, v195
	v_fma_f32 v6, v137, v176, -v6
	v_mul_f32_e32 v198, v141, v164
	s_waitcnt vmcnt(17)
	v_fmac_f32_e32 v197, v140, v177
	v_add_f32_e32 v3, v3, v196
	ds_read2_b64 v[147:150], v114 offset0:107 offset1:108
	ds_read2_b64 v[151:154], v114 offset0:109 offset1:110
	v_add_f32_e32 v5, v5, v6
	v_mul_f32_e32 v6, v140, v163
	v_add_f32_e32 v3, v3, v197
	s_waitcnt vmcnt(16)
	v_fmac_f32_e32 v198, v142, v178
	s_waitcnt vmcnt(15) lgkmcnt(2)
	v_mul_f32_e32 v4, v143, v179
	v_fma_f32 v6, v139, v177, -v6
	v_add_f32_e32 v3, v3, v198
	s_waitcnt vmcnt(14)
	v_fmac_f32_e32 v4, v144, v180
	v_add_f32_e32 v5, v5, v6
	v_mul_f32_e32 v6, v142, v164
	v_add_f32_e32 v3, v3, v4
	s_waitcnt vmcnt(13)
	v_mul_f32_e32 v4, v145, v181
	v_fma_f32 v6, v141, v178, -v6
	s_waitcnt vmcnt(12)
	v_fmac_f32_e32 v4, v146, v182
	v_add_f32_e32 v5, v5, v6
	v_mul_f32_e32 v6, v144, v179
	v_add_f32_e32 v3, v3, v4
	s_waitcnt vmcnt(11) lgkmcnt(1)
	v_mul_f32_e32 v4, v147, v183
	v_fma_f32 v6, v143, v180, -v6
	s_waitcnt vmcnt(10)
	v_fmac_f32_e32 v4, v148, v184
	v_add_f32_e32 v5, v5, v6
	v_mul_f32_e32 v6, v146, v181
	v_add_f32_e32 v3, v3, v4
	s_waitcnt vmcnt(9)
	v_mul_f32_e32 v4, v149, v185
	v_fma_f32 v6, v145, v182, -v6
	s_waitcnt vmcnt(8)
	v_fmac_f32_e32 v4, v150, v186
	v_add_f32_e32 v5, v5, v6
	v_mul_f32_e32 v6, v148, v183
	v_add_f32_e32 v195, v3, v4
	ds_read_b64 v[3:4], v114 offset:888
	v_fma_f32 v6, v147, v184, -v6
	s_waitcnt vmcnt(7) lgkmcnt(1)
	v_mul_f32_e32 v196, v151, v187
	v_add_f32_e32 v5, v5, v6
	v_mul_f32_e32 v6, v150, v185
	s_waitcnt vmcnt(6)
	v_fmac_f32_e32 v196, v152, v188
	v_fma_f32 v6, v149, v186, -v6
	v_add_f32_e32 v195, v195, v196
	s_waitcnt vmcnt(5)
	v_mul_f32_e32 v196, v153, v189
	v_add_f32_e32 v5, v5, v6
	v_mul_f32_e32 v6, v152, v187
	s_waitcnt vmcnt(4)
	v_fmac_f32_e32 v196, v154, v190
	v_fma_f32 v6, v151, v188, -v6
	v_add_f32_e32 v195, v195, v196
	s_waitcnt vmcnt(3) lgkmcnt(0)
	v_mul_f32_e32 v196, v3, v191
	v_add_f32_e32 v5, v5, v6
	v_mul_f32_e32 v6, v154, v189
	s_waitcnt vmcnt(2)
	v_fmac_f32_e32 v196, v4, v192
	v_fma_f32 v6, v153, v190, -v6
	v_mul_f32_e32 v4, v4, v191
	v_add_f32_e32 v5, v5, v6
	v_fma_f32 v3, v3, v192, -v4
	v_add_f32_e32 v3, v5, v3
	v_add_f32_e32 v195, v195, v196
	s_waitcnt vmcnt(1)
	v_sub_f32_e32 v3, v193, v3
	s_waitcnt vmcnt(0)
	v_sub_f32_e32 v4, v194, v195
	buffer_store_dword v3, off, s[0:3], 0 offset:272
	buffer_store_dword v4, off, s[0:3], 0 offset:276
	s_and_saveexec_b64 s[4:5], vcc
	s_cbranch_execz .LBB119_283
; %bb.282:
	buffer_load_dword v3, off, s[0:3], 0 offset:264
	buffer_load_dword v4, off, s[0:3], 0 offset:268
	s_waitcnt vmcnt(0)
	ds_write_b64 v113, v[3:4]
	buffer_store_dword v114, off, s[0:3], 0 offset:264
	buffer_store_dword v114, off, s[0:3], 0 offset:268
.LBB119_283:
	s_or_b64 exec, exec, s[4:5]
	s_waitcnt lgkmcnt(0)
	; wave barrier
	buffer_load_dword v3, off, s[0:3], 0 offset:276
	buffer_load_dword v4, off, s[0:3], 0 offset:284
	;; [unrolled: 1-line block ×46, first 2 shown]
	ds_read_b128 v[115:118], v114 offset:720
	ds_read_b128 v[119:122], v114 offset:736
	;; [unrolled: 1-line block ×8, first 2 shown]
	v_cmp_lt_u32_e32 vcc, 32, v0
	s_waitcnt vmcnt(45) lgkmcnt(7)
	v_mul_f32_e32 v147, v115, v3
	v_mul_f32_e32 v3, v116, v3
	s_waitcnt vmcnt(44)
	v_mul_f32_e32 v148, v117, v4
	v_mul_f32_e32 v4, v118, v4
	s_waitcnt vmcnt(43) lgkmcnt(6)
	v_mul_f32_e32 v149, v119, v5
	s_waitcnt vmcnt(42)
	v_mul_f32_e32 v150, v121, v6
	s_waitcnt vmcnt(41) lgkmcnt(5)
	v_mul_f32_e32 v151, v123, v7
	s_waitcnt vmcnt(40)
	;; [unrolled: 4-line block ×5, first 2 shown]
	v_fma_f32 v3, v115, v166, -v3
	v_add_f32_e32 v3, 0, v3
	s_waitcnt vmcnt(31)
	v_fma_f32 v4, v117, v167, -v4
	v_add_f32_e32 v3, v3, v4
	v_mul_f32_e32 v4, v120, v5
	s_waitcnt vmcnt(30)
	v_fma_f32 v4, v119, v168, -v4
	v_add_f32_e32 v3, v3, v4
	v_mul_f32_e32 v4, v122, v6
	s_waitcnt vmcnt(29)
	v_fma_f32 v4, v121, v169, -v4
	v_add_f32_e32 v3, v3, v4
	v_mul_f32_e32 v4, v124, v7
	s_waitcnt vmcnt(28)
	v_fma_f32 v4, v123, v170, -v4
	v_fmac_f32_e32 v147, v116, v166
	v_add_f32_e32 v3, v3, v4
	v_mul_f32_e32 v4, v126, v8
	v_fmac_f32_e32 v148, v118, v167
	v_add_f32_e32 v147, 0, v147
	s_waitcnt vmcnt(27)
	v_fma_f32 v4, v125, v171, -v4
	v_fmac_f32_e32 v149, v120, v168
	v_add_f32_e32 v147, v147, v148
	v_add_f32_e32 v3, v3, v4
	v_mul_f32_e32 v4, v128, v159
	v_fmac_f32_e32 v150, v122, v169
	v_add_f32_e32 v147, v147, v149
	s_waitcnt vmcnt(26)
	v_fma_f32 v4, v127, v172, -v4
	v_fmac_f32_e32 v151, v124, v170
	v_add_f32_e32 v147, v147, v150
	;; [unrolled: 8-line block ×4, first 2 shown]
	v_add_f32_e32 v3, v3, v4
	v_mul_f32_e32 v4, v134, v162
	s_waitcnt vmcnt(23)
	v_fmac_f32_e32 v156, v134, v175
	v_add_f32_e32 v147, v147, v155
	v_fma_f32 v4, v133, v175, -v4
	v_mul_f32_e32 v158, v137, v164
	s_waitcnt vmcnt(22)
	v_fmac_f32_e32 v157, v136, v176
	v_add_f32_e32 v147, v147, v156
	v_add_f32_e32 v3, v3, v4
	v_mul_f32_e32 v4, v136, v163
	s_waitcnt lgkmcnt(1)
	v_mul_f32_e32 v199, v139, v165
	s_waitcnt vmcnt(21)
	v_fmac_f32_e32 v158, v138, v177
	v_add_f32_e32 v147, v147, v157
	v_fma_f32 v4, v135, v176, -v4
	s_waitcnt vmcnt(20)
	v_fmac_f32_e32 v199, v140, v178
	v_add_f32_e32 v147, v147, v158
	s_waitcnt vmcnt(19)
	v_mul_f32_e32 v148, v141, v179
	v_add_f32_e32 v3, v3, v4
	v_mul_f32_e32 v4, v138, v164
	v_add_f32_e32 v147, v147, v199
	s_waitcnt vmcnt(18)
	v_fmac_f32_e32 v148, v142, v180
	v_fma_f32 v4, v137, v177, -v4
	v_add_f32_e32 v147, v147, v148
	s_waitcnt vmcnt(17) lgkmcnt(0)
	v_mul_f32_e32 v148, v143, v181
	v_add_f32_e32 v3, v3, v4
	v_mul_f32_e32 v4, v140, v165
	s_waitcnt vmcnt(16)
	v_fmac_f32_e32 v148, v144, v182
	v_fma_f32 v4, v139, v178, -v4
	v_add_f32_e32 v151, v147, v148
	ds_read_b128 v[147:150], v114 offset:848
	v_add_f32_e32 v3, v3, v4
	v_mul_f32_e32 v4, v142, v179
	v_fma_f32 v4, v141, v180, -v4
	v_add_f32_e32 v3, v3, v4
	v_mul_f32_e32 v4, v144, v181
	s_waitcnt vmcnt(15)
	v_mul_f32_e32 v152, v145, v183
	v_fma_f32 v4, v143, v182, -v4
	s_waitcnt vmcnt(14)
	v_fmac_f32_e32 v152, v146, v184
	v_add_f32_e32 v3, v3, v4
	v_mul_f32_e32 v4, v146, v183
	v_add_f32_e32 v155, v151, v152
	ds_read_b128 v[151:154], v114 offset:864
	s_waitcnt vmcnt(13) lgkmcnt(1)
	v_mul_f32_e32 v156, v147, v185
	v_fma_f32 v4, v145, v184, -v4
	s_waitcnt vmcnt(12)
	v_fmac_f32_e32 v156, v148, v186
	v_add_f32_e32 v3, v3, v4
	v_mul_f32_e32 v4, v148, v185
	v_add_f32_e32 v155, v155, v156
	s_waitcnt vmcnt(11)
	v_mul_f32_e32 v156, v149, v187
	v_fma_f32 v4, v147, v186, -v4
	s_waitcnt vmcnt(10)
	v_fmac_f32_e32 v156, v150, v188
	v_add_f32_e32 v3, v3, v4
	v_mul_f32_e32 v4, v150, v187
	v_add_f32_e32 v199, v155, v156
	ds_read_b128 v[155:158], v114 offset:880
	v_fma_f32 v4, v149, v188, -v4
	v_add_f32_e32 v3, v3, v4
	s_waitcnt vmcnt(9) lgkmcnt(1)
	v_mul_f32_e32 v4, v152, v189
	v_mul_f32_e32 v200, v151, v189
	s_waitcnt vmcnt(8)
	v_fma_f32 v4, v151, v190, -v4
	v_fmac_f32_e32 v200, v152, v190
	v_add_f32_e32 v3, v3, v4
	s_waitcnt vmcnt(7)
	v_mul_f32_e32 v4, v154, v191
	v_add_f32_e32 v114, v199, v200
	v_mul_f32_e32 v199, v153, v191
	s_waitcnt vmcnt(6)
	v_fma_f32 v4, v153, v192, -v4
	v_fmac_f32_e32 v199, v154, v192
	v_add_f32_e32 v3, v3, v4
	s_waitcnt vmcnt(5) lgkmcnt(0)
	v_mul_f32_e32 v4, v156, v193
	v_add_f32_e32 v114, v114, v199
	v_mul_f32_e32 v199, v155, v193
	s_waitcnt vmcnt(4)
	v_fma_f32 v4, v155, v194, -v4
	v_fmac_f32_e32 v199, v156, v194
	v_add_f32_e32 v3, v3, v4
	s_waitcnt vmcnt(3)
	v_mul_f32_e32 v4, v158, v195
	v_add_f32_e32 v114, v114, v199
	v_mul_f32_e32 v199, v157, v195
	s_waitcnt vmcnt(2)
	v_fma_f32 v4, v157, v196, -v4
	v_fmac_f32_e32 v199, v158, v196
	v_add_f32_e32 v3, v3, v4
	v_add_f32_e32 v114, v114, v199
	s_waitcnt vmcnt(1)
	v_sub_f32_e32 v3, v197, v3
	s_waitcnt vmcnt(0)
	v_sub_f32_e32 v4, v198, v114
	buffer_store_dword v3, off, s[0:3], 0 offset:264
	buffer_store_dword v4, off, s[0:3], 0 offset:268
	s_and_saveexec_b64 s[4:5], vcc
	s_cbranch_execz .LBB119_285
; %bb.284:
	buffer_load_dword v3, off, s[0:3], 0 offset:256
	buffer_load_dword v4, off, s[0:3], 0 offset:260
	v_mov_b32_e32 v5, 0
	buffer_store_dword v5, off, s[0:3], 0 offset:256
	buffer_store_dword v5, off, s[0:3], 0 offset:260
	s_waitcnt vmcnt(2)
	ds_write_b64 v113, v[3:4]
.LBB119_285:
	s_or_b64 exec, exec, s[4:5]
	s_waitcnt lgkmcnt(0)
	; wave barrier
	buffer_load_dword v5, off, s[0:3], 0 offset:268
	buffer_load_dword v6, off, s[0:3], 0 offset:276
	;; [unrolled: 1-line block ×48, first 2 shown]
	v_mov_b32_e32 v114, 0
	ds_read2_b64 v[115:118], v114 offset0:89 offset1:90
	ds_read2_b64 v[119:122], v114 offset0:91 offset1:92
	;; [unrolled: 1-line block ×7, first 2 shown]
	v_cmp_lt_u32_e32 vcc, 31, v0
	ds_read2_b64 v[155:158], v114 offset0:109 offset1:110
	s_waitcnt vmcnt(47) lgkmcnt(7)
	v_mul_f32_e32 v3, v115, v5
	v_mul_f32_e32 v5, v116, v5
	s_waitcnt vmcnt(46)
	v_mul_f32_e32 v4, v117, v6
	v_mul_f32_e32 v6, v118, v6
	s_waitcnt vmcnt(45) lgkmcnt(6)
	v_mul_f32_e32 v143, v119, v7
	s_waitcnt vmcnt(44)
	v_mul_f32_e32 v144, v121, v8
	s_waitcnt vmcnt(43) lgkmcnt(5)
	v_mul_f32_e32 v145, v123, v159
	s_waitcnt vmcnt(42)
	;; [unrolled: 4-line block ×4, first 2 shown]
	v_mul_f32_e32 v150, v133, v164
	s_waitcnt vmcnt(35)
	v_fma_f32 v5, v115, v167, -v5
	v_add_f32_e32 v5, 0, v5
	s_waitcnt vmcnt(34)
	v_fma_f32 v6, v117, v168, -v6
	v_add_f32_e32 v5, v5, v6
	v_mul_f32_e32 v6, v120, v7
	s_waitcnt vmcnt(33)
	v_fma_f32 v6, v119, v169, -v6
	v_add_f32_e32 v5, v5, v6
	v_mul_f32_e32 v6, v122, v8
	;; [unrolled: 4-line block ×3, first 2 shown]
	s_waitcnt vmcnt(31)
	v_fma_f32 v6, v123, v171, -v6
	v_fmac_f32_e32 v3, v116, v167
	v_add_f32_e32 v5, v5, v6
	v_mul_f32_e32 v6, v126, v160
	v_fmac_f32_e32 v4, v118, v168
	v_add_f32_e32 v3, 0, v3
	s_waitcnt vmcnt(30)
	v_fma_f32 v6, v125, v172, -v6
	v_fmac_f32_e32 v143, v120, v169
	v_add_f32_e32 v3, v3, v4
	v_add_f32_e32 v5, v5, v6
	v_mul_f32_e32 v6, v128, v161
	v_fmac_f32_e32 v144, v122, v170
	v_add_f32_e32 v3, v3, v143
	s_waitcnt vmcnt(29)
	v_fma_f32 v6, v127, v173, -v6
	v_fmac_f32_e32 v145, v124, v171
	v_add_f32_e32 v3, v3, v144
	;; [unrolled: 8-line block ×4, first 2 shown]
	v_add_f32_e32 v5, v5, v6
	v_mul_f32_e32 v6, v134, v164
	s_waitcnt lgkmcnt(2)
	v_mul_f32_e32 v151, v135, v165
	s_waitcnt vmcnt(26)
	v_fmac_f32_e32 v150, v134, v176
	v_add_f32_e32 v3, v3, v149
	v_fma_f32 v6, v133, v176, -v6
	v_mul_f32_e32 v152, v137, v166
	s_waitcnt vmcnt(25)
	v_fmac_f32_e32 v151, v136, v177
	v_add_f32_e32 v3, v3, v150
	ds_read2_b64 v[143:146], v114 offset0:103 offset1:104
	ds_read2_b64 v[147:150], v114 offset0:105 offset1:106
	v_add_f32_e32 v5, v5, v6
	v_mul_f32_e32 v6, v136, v165
	s_waitcnt vmcnt(24)
	v_fmac_f32_e32 v152, v138, v178
	v_add_f32_e32 v3, v3, v151
	s_waitcnt vmcnt(23) lgkmcnt(3)
	v_mul_f32_e32 v4, v139, v179
	v_fma_f32 v6, v135, v177, -v6
	v_add_f32_e32 v3, v3, v152
	s_waitcnt vmcnt(22)
	v_fmac_f32_e32 v4, v140, v180
	v_add_f32_e32 v5, v5, v6
	v_mul_f32_e32 v6, v138, v166
	v_add_f32_e32 v3, v3, v4
	s_waitcnt vmcnt(21)
	v_mul_f32_e32 v4, v141, v181
	v_fma_f32 v6, v137, v178, -v6
	s_waitcnt vmcnt(20)
	v_fmac_f32_e32 v4, v142, v182
	v_add_f32_e32 v5, v5, v6
	v_mul_f32_e32 v6, v140, v179
	v_add_f32_e32 v3, v3, v4
	s_waitcnt vmcnt(19) lgkmcnt(1)
	v_mul_f32_e32 v4, v143, v183
	v_fma_f32 v6, v139, v180, -v6
	s_waitcnt vmcnt(18)
	v_fmac_f32_e32 v4, v144, v184
	v_add_f32_e32 v5, v5, v6
	v_mul_f32_e32 v6, v142, v181
	v_add_f32_e32 v3, v3, v4
	s_waitcnt vmcnt(17)
	v_mul_f32_e32 v4, v145, v185
	v_fma_f32 v6, v141, v182, -v6
	s_waitcnt vmcnt(16)
	v_fmac_f32_e32 v4, v146, v186
	ds_read2_b64 v[151:154], v114 offset0:107 offset1:108
	v_add_f32_e32 v5, v5, v6
	v_mul_f32_e32 v6, v144, v183
	v_add_f32_e32 v3, v3, v4
	s_waitcnt vmcnt(15) lgkmcnt(1)
	v_mul_f32_e32 v4, v147, v187
	v_fma_f32 v6, v143, v184, -v6
	s_waitcnt vmcnt(14)
	v_fmac_f32_e32 v4, v148, v188
	v_add_f32_e32 v5, v5, v6
	v_mul_f32_e32 v6, v146, v185
	v_add_f32_e32 v3, v3, v4
	s_waitcnt vmcnt(13)
	v_mul_f32_e32 v4, v149, v189
	v_fma_f32 v6, v145, v186, -v6
	s_waitcnt vmcnt(12)
	v_fmac_f32_e32 v4, v150, v190
	v_add_f32_e32 v5, v5, v6
	v_mul_f32_e32 v6, v148, v187
	v_add_f32_e32 v3, v3, v4
	s_waitcnt vmcnt(11) lgkmcnt(0)
	v_mul_f32_e32 v4, v151, v191
	v_fma_f32 v6, v147, v188, -v6
	s_waitcnt vmcnt(10)
	v_fmac_f32_e32 v4, v152, v192
	v_add_f32_e32 v5, v5, v6
	v_mul_f32_e32 v6, v150, v189
	v_add_f32_e32 v3, v3, v4
	s_waitcnt vmcnt(9)
	v_mul_f32_e32 v4, v153, v193
	v_fma_f32 v6, v149, v190, -v6
	s_waitcnt vmcnt(8)
	v_fmac_f32_e32 v4, v154, v194
	v_add_f32_e32 v5, v5, v6
	v_mul_f32_e32 v6, v152, v191
	v_add_f32_e32 v203, v3, v4
	ds_read_b64 v[3:4], v114 offset:888
	v_fma_f32 v6, v151, v192, -v6
	s_waitcnt vmcnt(6)
	v_mul_f32_e32 v204, v155, v196
	v_add_f32_e32 v5, v5, v6
	v_mul_f32_e32 v6, v154, v193
	v_fmac_f32_e32 v204, v156, v195
	v_fma_f32 v6, v153, v194, -v6
	v_add_f32_e32 v203, v203, v204
	s_waitcnt vmcnt(3)
	v_mul_f32_e32 v204, v157, v199
	v_add_f32_e32 v5, v5, v6
	v_mul_f32_e32 v6, v156, v196
	s_waitcnt vmcnt(2)
	v_fmac_f32_e32 v204, v158, v200
	v_fma_f32 v6, v155, v195, -v6
	v_add_f32_e32 v203, v203, v204
	s_waitcnt vmcnt(0) lgkmcnt(0)
	v_mul_f32_e32 v204, v3, v202
	v_add_f32_e32 v5, v5, v6
	v_mul_f32_e32 v6, v158, v199
	v_fmac_f32_e32 v204, v4, v201
	v_fma_f32 v6, v157, v200, -v6
	v_mul_f32_e32 v4, v4, v202
	v_add_f32_e32 v5, v5, v6
	v_fma_f32 v3, v3, v201, -v4
	v_add_f32_e32 v3, v5, v3
	v_add_f32_e32 v203, v203, v204
	v_sub_f32_e32 v3, v197, v3
	v_sub_f32_e32 v4, v198, v203
	buffer_store_dword v3, off, s[0:3], 0 offset:256
	buffer_store_dword v4, off, s[0:3], 0 offset:260
	s_and_saveexec_b64 s[4:5], vcc
	s_cbranch_execz .LBB119_287
; %bb.286:
	buffer_load_dword v3, off, s[0:3], 0 offset:248
	buffer_load_dword v4, off, s[0:3], 0 offset:252
	s_waitcnt vmcnt(0)
	ds_write_b64 v113, v[3:4]
	buffer_store_dword v114, off, s[0:3], 0 offset:248
	buffer_store_dword v114, off, s[0:3], 0 offset:252
.LBB119_287:
	s_or_b64 exec, exec, s[4:5]
	s_waitcnt lgkmcnt(0)
	; wave barrier
	buffer_load_dword v3, off, s[0:3], 0 offset:260
	buffer_load_dword v4, off, s[0:3], 0 offset:268
	;; [unrolled: 1-line block ×48, first 2 shown]
	ds_read_b128 v[115:118], v114 offset:704
	ds_read_b128 v[119:122], v114 offset:720
	buffer_load_dword v205, off, s[0:3], 0 offset:440
	buffer_load_dword v206, off, s[0:3], 0 offset:444
	ds_read_b128 v[123:126], v114 offset:736
	ds_read_b128 v[127:130], v114 offset:752
	;; [unrolled: 1-line block ×5, first 2 shown]
	v_cmp_lt_u32_e32 vcc, 30, v0
	s_waitcnt vmcnt(49) lgkmcnt(6)
	v_mul_f32_e32 v143, v115, v3
	v_mul_f32_e32 v3, v116, v3
	s_waitcnt vmcnt(48)
	v_mul_f32_e32 v144, v117, v4
	v_mul_f32_e32 v4, v118, v4
	s_waitcnt vmcnt(47) lgkmcnt(5)
	v_mul_f32_e32 v145, v119, v5
	s_waitcnt vmcnt(46)
	v_mul_f32_e32 v146, v121, v6
	s_waitcnt vmcnt(45) lgkmcnt(4)
	v_mul_f32_e32 v147, v123, v7
	s_waitcnt vmcnt(44)
	;; [unrolled: 4-line block ×4, first 2 shown]
	v_mul_f32_e32 v152, v133, v166
	s_waitcnt vmcnt(37)
	v_fma_f32 v3, v115, v169, -v3
	v_add_f32_e32 v3, 0, v3
	s_waitcnt vmcnt(36)
	v_fma_f32 v4, v117, v170, -v4
	v_add_f32_e32 v3, v3, v4
	v_mul_f32_e32 v4, v120, v5
	v_fmac_f32_e32 v143, v116, v169
	s_waitcnt vmcnt(35)
	v_fma_f32 v4, v119, v171, -v4
	v_fmac_f32_e32 v144, v118, v170
	v_add_f32_e32 v143, 0, v143
	v_add_f32_e32 v3, v3, v4
	v_mul_f32_e32 v4, v122, v6
	v_fmac_f32_e32 v145, v120, v171
	v_add_f32_e32 v143, v143, v144
	s_waitcnt vmcnt(34)
	v_fma_f32 v4, v121, v172, -v4
	v_fmac_f32_e32 v146, v122, v172
	v_add_f32_e32 v143, v143, v145
	v_add_f32_e32 v3, v3, v4
	v_mul_f32_e32 v4, v124, v7
	s_waitcnt vmcnt(33)
	v_fmac_f32_e32 v147, v124, v173
	v_add_f32_e32 v143, v143, v146
	v_fma_f32 v4, v123, v173, -v4
	s_waitcnt vmcnt(32)
	v_fmac_f32_e32 v148, v126, v174
	v_add_f32_e32 v143, v143, v147
	v_add_f32_e32 v3, v3, v4
	v_mul_f32_e32 v4, v126, v8
	s_waitcnt vmcnt(31)
	v_fmac_f32_e32 v149, v128, v175
	v_add_f32_e32 v143, v143, v148
	v_fma_f32 v4, v125, v174, -v4
	s_waitcnt vmcnt(30)
	v_fmac_f32_e32 v150, v130, v176
	v_add_f32_e32 v143, v143, v149
	v_add_f32_e32 v3, v3, v4
	v_mul_f32_e32 v4, v128, v163
	s_waitcnt vmcnt(29)
	v_fmac_f32_e32 v151, v132, v177
	v_add_f32_e32 v143, v143, v150
	v_fma_f32 v4, v127, v175, -v4
	s_waitcnt lgkmcnt(1)
	v_mul_f32_e32 v153, v135, v167
	s_waitcnt vmcnt(28)
	v_fmac_f32_e32 v152, v134, v178
	v_add_f32_e32 v143, v143, v151
	v_add_f32_e32 v3, v3, v4
	v_mul_f32_e32 v4, v130, v164
	v_mul_f32_e32 v154, v137, v168
	s_waitcnt vmcnt(27)
	v_fmac_f32_e32 v153, v136, v179
	v_add_f32_e32 v143, v143, v152
	v_fma_f32 v4, v129, v176, -v4
	v_add_f32_e32 v143, v143, v153
	s_waitcnt vmcnt(26)
	v_fmac_f32_e32 v154, v138, v180
	v_add_f32_e32 v3, v3, v4
	v_mul_f32_e32 v4, v132, v165
	v_add_f32_e32 v147, v143, v154
	ds_read_b128 v[143:146], v114 offset:816
	v_fma_f32 v4, v131, v177, -v4
	s_waitcnt vmcnt(25) lgkmcnt(1)
	v_mul_f32_e32 v148, v139, v181
	v_add_f32_e32 v3, v3, v4
	v_mul_f32_e32 v4, v134, v166
	s_waitcnt vmcnt(24)
	v_fmac_f32_e32 v148, v140, v182
	v_fma_f32 v4, v133, v178, -v4
	v_add_f32_e32 v147, v147, v148
	s_waitcnt vmcnt(23)
	v_mul_f32_e32 v148, v141, v183
	v_add_f32_e32 v3, v3, v4
	v_mul_f32_e32 v4, v136, v167
	s_waitcnt vmcnt(22)
	v_fmac_f32_e32 v148, v142, v184
	v_fma_f32 v4, v135, v179, -v4
	v_add_f32_e32 v147, v147, v148
	s_waitcnt vmcnt(21) lgkmcnt(0)
	v_mul_f32_e32 v148, v143, v185
	v_add_f32_e32 v3, v3, v4
	v_mul_f32_e32 v4, v138, v168
	s_waitcnt vmcnt(20)
	v_fmac_f32_e32 v148, v144, v186
	v_fma_f32 v4, v137, v180, -v4
	v_add_f32_e32 v151, v147, v148
	ds_read_b128 v[147:150], v114 offset:832
	v_add_f32_e32 v3, v3, v4
	v_mul_f32_e32 v4, v140, v181
	v_fma_f32 v4, v139, v182, -v4
	s_waitcnt vmcnt(19)
	v_mul_f32_e32 v152, v145, v187
	v_add_f32_e32 v3, v3, v4
	v_mul_f32_e32 v4, v142, v183
	s_waitcnt vmcnt(18)
	v_fmac_f32_e32 v152, v146, v188
	v_fma_f32 v4, v141, v184, -v4
	v_add_f32_e32 v155, v151, v152
	ds_read_b128 v[151:154], v114 offset:848
	v_add_f32_e32 v3, v3, v4
	v_mul_f32_e32 v4, v144, v185
	s_waitcnt vmcnt(17) lgkmcnt(1)
	v_mul_f32_e32 v156, v147, v189
	v_fma_f32 v4, v143, v186, -v4
	s_waitcnt vmcnt(16)
	v_fmac_f32_e32 v156, v148, v190
	v_add_f32_e32 v3, v3, v4
	v_mul_f32_e32 v4, v146, v187
	v_add_f32_e32 v155, v155, v156
	s_waitcnt vmcnt(15)
	v_mul_f32_e32 v156, v149, v191
	v_fma_f32 v4, v145, v188, -v4
	s_waitcnt vmcnt(14)
	v_fmac_f32_e32 v156, v150, v192
	v_add_f32_e32 v3, v3, v4
	v_mul_f32_e32 v4, v148, v189
	v_add_f32_e32 v155, v155, v156
	s_waitcnt vmcnt(13) lgkmcnt(0)
	v_mul_f32_e32 v156, v151, v193
	v_fma_f32 v4, v147, v190, -v4
	s_waitcnt vmcnt(12)
	v_fmac_f32_e32 v156, v152, v194
	v_add_f32_e32 v3, v3, v4
	v_mul_f32_e32 v4, v150, v191
	v_add_f32_e32 v159, v155, v156
	ds_read_b128 v[155:158], v114 offset:864
	v_fma_f32 v4, v149, v192, -v4
	v_add_f32_e32 v3, v3, v4
	v_mul_f32_e32 v4, v152, v193
	s_waitcnt vmcnt(11)
	v_mul_f32_e32 v160, v153, v195
	v_fma_f32 v4, v151, v194, -v4
	s_waitcnt vmcnt(10)
	v_fmac_f32_e32 v160, v154, v196
	v_add_f32_e32 v3, v3, v4
	v_mul_f32_e32 v4, v154, v195
	v_add_f32_e32 v207, v159, v160
	ds_read_b128 v[159:162], v114 offset:880
	v_fma_f32 v4, v153, v196, -v4
	v_add_f32_e32 v3, v3, v4
	s_waitcnt vmcnt(7) lgkmcnt(1)
	v_mul_f32_e32 v4, v156, v199
	v_mul_f32_e32 v114, v155, v199
	s_waitcnt vmcnt(6)
	v_fma_f32 v4, v155, v200, -v4
	v_fmac_f32_e32 v114, v156, v200
	v_add_f32_e32 v3, v3, v4
	s_waitcnt vmcnt(4)
	v_mul_f32_e32 v4, v158, v202
	v_add_f32_e32 v114, v207, v114
	v_mul_f32_e32 v207, v157, v202
	v_fma_f32 v4, v157, v201, -v4
	v_fmac_f32_e32 v207, v158, v201
	v_add_f32_e32 v3, v3, v4
	s_waitcnt vmcnt(2) lgkmcnt(0)
	v_mul_f32_e32 v4, v160, v204
	v_add_f32_e32 v114, v114, v207
	v_mul_f32_e32 v207, v159, v204
	v_fma_f32 v4, v159, v203, -v4
	v_fmac_f32_e32 v207, v160, v203
	v_add_f32_e32 v3, v3, v4
	s_waitcnt vmcnt(0)
	v_mul_f32_e32 v4, v162, v206
	v_add_f32_e32 v114, v114, v207
	v_mul_f32_e32 v207, v161, v206
	v_fma_f32 v4, v161, v205, -v4
	v_fmac_f32_e32 v207, v162, v205
	v_add_f32_e32 v3, v3, v4
	v_add_f32_e32 v114, v114, v207
	v_sub_f32_e32 v3, v197, v3
	v_sub_f32_e32 v4, v198, v114
	buffer_store_dword v3, off, s[0:3], 0 offset:248
	buffer_store_dword v4, off, s[0:3], 0 offset:252
	s_and_saveexec_b64 s[4:5], vcc
	s_cbranch_execz .LBB119_289
; %bb.288:
	buffer_load_dword v3, off, s[0:3], 0 offset:240
	buffer_load_dword v4, off, s[0:3], 0 offset:244
	v_mov_b32_e32 v5, 0
	buffer_store_dword v5, off, s[0:3], 0 offset:240
	buffer_store_dword v5, off, s[0:3], 0 offset:244
	s_waitcnt vmcnt(2)
	ds_write_b64 v113, v[3:4]
.LBB119_289:
	s_or_b64 exec, exec, s[4:5]
	s_waitcnt lgkmcnt(0)
	; wave barrier
	buffer_load_dword v5, off, s[0:3], 0 offset:252
	buffer_load_dword v6, off, s[0:3], 0 offset:260
	;; [unrolled: 1-line block ×52, first 2 shown]
	v_mov_b32_e32 v114, 0
	ds_read2_b64 v[115:118], v114 offset0:87 offset1:88
	ds_read2_b64 v[119:122], v114 offset0:89 offset1:90
	;; [unrolled: 1-line block ×8, first 2 shown]
	v_cmp_lt_u32_e32 vcc, 29, v0
	ds_read2_b64 v[151:154], v114 offset0:105 offset1:106
	s_waitcnt vmcnt(51) lgkmcnt(8)
	v_mul_f32_e32 v3, v115, v5
	v_mul_f32_e32 v5, v116, v5
	s_waitcnt vmcnt(50)
	v_mul_f32_e32 v4, v117, v6
	v_mul_f32_e32 v6, v118, v6
	s_waitcnt vmcnt(49) lgkmcnt(7)
	v_mul_f32_e32 v139, v119, v7
	s_waitcnt vmcnt(48)
	v_mul_f32_e32 v140, v121, v8
	s_waitcnt vmcnt(47) lgkmcnt(6)
	v_mul_f32_e32 v141, v123, v163
	s_waitcnt vmcnt(46)
	;; [unrolled: 4-line block ×4, first 2 shown]
	v_fma_f32 v5, v115, v170, -v5
	v_add_f32_e32 v5, 0, v5
	s_waitcnt vmcnt(39)
	v_fma_f32 v6, v117, v171, -v6
	v_add_f32_e32 v5, v5, v6
	v_mul_f32_e32 v6, v120, v7
	s_waitcnt vmcnt(38)
	v_fma_f32 v6, v119, v172, -v6
	v_add_f32_e32 v5, v5, v6
	v_mul_f32_e32 v6, v122, v8
	;; [unrolled: 4-line block ×3, first 2 shown]
	v_fmac_f32_e32 v3, v116, v170
	s_waitcnt vmcnt(36)
	v_fma_f32 v6, v123, v174, -v6
	v_fmac_f32_e32 v4, v118, v171
	v_add_f32_e32 v3, 0, v3
	v_add_f32_e32 v5, v5, v6
	v_mul_f32_e32 v6, v126, v164
	v_fmac_f32_e32 v139, v120, v172
	v_add_f32_e32 v3, v3, v4
	s_waitcnt vmcnt(35)
	v_fma_f32 v6, v125, v175, -v6
	v_fmac_f32_e32 v140, v122, v173
	v_add_f32_e32 v3, v3, v139
	v_add_f32_e32 v5, v5, v6
	v_mul_f32_e32 v6, v128, v165
	v_fmac_f32_e32 v141, v124, v174
	v_add_f32_e32 v3, v3, v140
	;; [unrolled: 8-line block ×3, first 2 shown]
	s_waitcnt vmcnt(33)
	v_fma_f32 v6, v129, v177, -v6
	v_fmac_f32_e32 v144, v130, v177
	v_add_f32_e32 v3, v3, v143
	ds_read2_b64 v[139:142], v114 offset0:99 offset1:100
	v_add_f32_e32 v5, v5, v6
	v_mul_f32_e32 v6, v132, v167
	v_mul_f32_e32 v146, v133, v168
	s_waitcnt vmcnt(32)
	v_fmac_f32_e32 v145, v132, v178
	v_add_f32_e32 v3, v3, v144
	v_fma_f32 v6, v131, v178, -v6
	s_waitcnt lgkmcnt(4)
	v_mul_f32_e32 v147, v135, v169
	s_waitcnt vmcnt(31)
	v_fmac_f32_e32 v146, v134, v179
	v_add_f32_e32 v3, v3, v145
	v_add_f32_e32 v5, v5, v6
	v_mul_f32_e32 v6, v134, v168
	v_add_f32_e32 v3, v3, v146
	s_waitcnt vmcnt(30)
	v_fmac_f32_e32 v147, v136, v180
	s_waitcnt vmcnt(29)
	v_mul_f32_e32 v4, v137, v181
	v_fma_f32 v6, v133, v179, -v6
	v_add_f32_e32 v3, v3, v147
	s_waitcnt vmcnt(28)
	v_fmac_f32_e32 v4, v138, v182
	ds_read2_b64 v[143:146], v114 offset0:101 offset1:102
	v_add_f32_e32 v5, v5, v6
	v_mul_f32_e32 v6, v136, v169
	v_add_f32_e32 v3, v3, v4
	s_waitcnt vmcnt(27) lgkmcnt(1)
	v_mul_f32_e32 v4, v139, v183
	v_fma_f32 v6, v135, v180, -v6
	s_waitcnt vmcnt(26)
	v_fmac_f32_e32 v4, v140, v184
	v_add_f32_e32 v5, v5, v6
	v_mul_f32_e32 v6, v138, v181
	v_add_f32_e32 v3, v3, v4
	s_waitcnt vmcnt(25)
	v_mul_f32_e32 v4, v141, v185
	v_fma_f32 v6, v137, v182, -v6
	s_waitcnt vmcnt(24)
	v_fmac_f32_e32 v4, v142, v186
	ds_read2_b64 v[147:150], v114 offset0:103 offset1:104
	v_add_f32_e32 v5, v5, v6
	v_mul_f32_e32 v6, v140, v183
	v_add_f32_e32 v3, v3, v4
	s_waitcnt vmcnt(23) lgkmcnt(1)
	v_mul_f32_e32 v4, v143, v187
	v_fma_f32 v6, v139, v184, -v6
	s_waitcnt vmcnt(22)
	v_fmac_f32_e32 v4, v144, v188
	v_add_f32_e32 v5, v5, v6
	v_mul_f32_e32 v6, v142, v185
	v_add_f32_e32 v3, v3, v4
	s_waitcnt vmcnt(21)
	v_mul_f32_e32 v4, v145, v189
	v_fma_f32 v6, v141, v186, -v6
	s_waitcnt vmcnt(20)
	v_fmac_f32_e32 v4, v146, v190
	v_add_f32_e32 v5, v5, v6
	v_mul_f32_e32 v6, v144, v187
	v_add_f32_e32 v3, v3, v4
	s_waitcnt vmcnt(19) lgkmcnt(0)
	v_mul_f32_e32 v4, v147, v191
	v_fma_f32 v6, v143, v188, -v6
	s_waitcnt vmcnt(18)
	v_fmac_f32_e32 v4, v148, v192
	v_add_f32_e32 v5, v5, v6
	v_mul_f32_e32 v6, v146, v189
	v_add_f32_e32 v3, v3, v4
	s_waitcnt vmcnt(17)
	v_mul_f32_e32 v4, v149, v193
	v_fma_f32 v6, v145, v190, -v6
	s_waitcnt vmcnt(16)
	v_fmac_f32_e32 v4, v150, v194
	v_add_f32_e32 v5, v5, v6
	v_mul_f32_e32 v6, v148, v191
	v_add_f32_e32 v3, v3, v4
	s_waitcnt vmcnt(14)
	v_mul_f32_e32 v4, v151, v196
	v_fma_f32 v6, v147, v192, -v6
	v_fmac_f32_e32 v4, v152, v195
	v_add_f32_e32 v5, v5, v6
	v_mul_f32_e32 v6, v150, v193
	v_add_f32_e32 v3, v3, v4
	s_waitcnt vmcnt(11)
	v_mul_f32_e32 v4, v153, v199
	v_fma_f32 v6, v149, v194, -v6
	s_waitcnt vmcnt(10)
	v_fmac_f32_e32 v4, v154, v200
	v_add_f32_e32 v5, v5, v6
	v_mul_f32_e32 v6, v152, v196
	v_add_f32_e32 v3, v3, v4
	s_waitcnt vmcnt(8)
	v_mul_f32_e32 v4, v155, v202
	v_fma_f32 v6, v151, v195, -v6
	v_fmac_f32_e32 v4, v156, v201
	v_add_f32_e32 v5, v5, v6
	v_mul_f32_e32 v6, v154, v199
	v_add_f32_e32 v3, v3, v4
	s_waitcnt vmcnt(6)
	v_mul_f32_e32 v4, v157, v204
	v_fma_f32 v6, v153, v200, -v6
	v_fmac_f32_e32 v4, v158, v203
	v_add_f32_e32 v5, v5, v6
	v_mul_f32_e32 v6, v156, v202
	v_add_f32_e32 v211, v3, v4
	ds_read_b64 v[3:4], v114 offset:888
	v_fma_f32 v6, v155, v201, -v6
	s_waitcnt vmcnt(4)
	v_mul_f32_e32 v212, v159, v206
	v_add_f32_e32 v5, v5, v6
	v_mul_f32_e32 v6, v158, v204
	v_fmac_f32_e32 v212, v160, v205
	v_fma_f32 v6, v157, v203, -v6
	v_add_f32_e32 v211, v211, v212
	s_waitcnt vmcnt(2)
	v_mul_f32_e32 v212, v161, v208
	v_add_f32_e32 v5, v5, v6
	v_mul_f32_e32 v6, v160, v206
	v_fmac_f32_e32 v212, v162, v207
	v_fma_f32 v6, v159, v205, -v6
	v_add_f32_e32 v211, v211, v212
	s_waitcnt vmcnt(0) lgkmcnt(0)
	v_mul_f32_e32 v212, v3, v210
	v_add_f32_e32 v5, v5, v6
	v_mul_f32_e32 v6, v162, v208
	v_fmac_f32_e32 v212, v4, v209
	v_fma_f32 v6, v161, v207, -v6
	v_mul_f32_e32 v4, v4, v210
	v_add_f32_e32 v5, v5, v6
	v_fma_f32 v3, v3, v209, -v4
	v_add_f32_e32 v3, v5, v3
	v_add_f32_e32 v211, v211, v212
	v_sub_f32_e32 v3, v197, v3
	v_sub_f32_e32 v4, v198, v211
	buffer_store_dword v3, off, s[0:3], 0 offset:240
	buffer_store_dword v4, off, s[0:3], 0 offset:244
	s_and_saveexec_b64 s[4:5], vcc
	s_cbranch_execz .LBB119_291
; %bb.290:
	buffer_load_dword v3, off, s[0:3], 0 offset:232
	buffer_load_dword v4, off, s[0:3], 0 offset:236
	s_waitcnt vmcnt(0)
	ds_write_b64 v113, v[3:4]
	buffer_store_dword v114, off, s[0:3], 0 offset:232
	buffer_store_dword v114, off, s[0:3], 0 offset:236
.LBB119_291:
	s_or_b64 exec, exec, s[4:5]
	s_waitcnt lgkmcnt(0)
	; wave barrier
	buffer_load_dword v3, off, s[0:3], 0 offset:244
	buffer_load_dword v4, off, s[0:3], 0 offset:252
	;; [unrolled: 1-line block ×42, first 2 shown]
	ds_read_b128 v[115:118], v114 offset:688
	ds_read_b128 v[119:122], v114 offset:704
	;; [unrolled: 1-line block ×4, first 2 shown]
	buffer_load_dword v203, off, s[0:3], 0 offset:404
	buffer_load_dword v204, off, s[0:3], 0 offset:400
	;; [unrolled: 1-line block ×6, first 2 shown]
	ds_read_b128 v[131:134], v114 offset:752
	ds_read_b128 v[135:138], v114 offset:768
	buffer_load_dword v209, off, s[0:3], 0 offset:424
	buffer_load_dword v210, off, s[0:3], 0 offset:428
	;; [unrolled: 1-line block ×6, first 2 shown]
	v_cmp_lt_u32_e32 vcc, 28, v0
	s_waitcnt vmcnt(53) lgkmcnt(5)
	v_mul_f32_e32 v139, v115, v3
	s_waitcnt vmcnt(52)
	v_mul_f32_e32 v140, v117, v4
	v_mul_f32_e32 v3, v116, v3
	s_waitcnt vmcnt(51) lgkmcnt(4)
	v_mul_f32_e32 v141, v119, v5
	v_mul_f32_e32 v4, v118, v4
	s_waitcnt vmcnt(50)
	v_mul_f32_e32 v142, v121, v6
	s_waitcnt vmcnt(49) lgkmcnt(3)
	v_mul_f32_e32 v143, v123, v7
	s_waitcnt vmcnt(48)
	v_mul_f32_e32 v144, v125, v8
	s_waitcnt vmcnt(47) lgkmcnt(2)
	v_mul_f32_e32 v145, v127, v167
	s_waitcnt vmcnt(46)
	v_mul_f32_e32 v146, v129, v168
	s_waitcnt vmcnt(43)
	v_fmac_f32_e32 v139, v116, v171
	s_waitcnt vmcnt(42)
	v_fmac_f32_e32 v140, v118, v172
	v_add_f32_e32 v139, 0, v139
	v_fma_f32 v3, v115, v171, -v3
	s_waitcnt vmcnt(41)
	v_fmac_f32_e32 v141, v120, v173
	v_add_f32_e32 v139, v139, v140
	v_add_f32_e32 v3, 0, v3
	v_fma_f32 v4, v117, v172, -v4
	s_waitcnt vmcnt(40)
	v_fmac_f32_e32 v142, v122, v174
	v_add_f32_e32 v139, v139, v141
	v_add_f32_e32 v3, v3, v4
	v_mul_f32_e32 v4, v120, v5
	s_waitcnt vmcnt(39)
	v_fmac_f32_e32 v143, v124, v175
	v_add_f32_e32 v139, v139, v142
	v_fma_f32 v4, v119, v173, -v4
	s_waitcnt vmcnt(38)
	v_fmac_f32_e32 v144, v126, v176
	v_add_f32_e32 v139, v139, v143
	v_add_f32_e32 v3, v3, v4
	v_mul_f32_e32 v4, v122, v6
	s_waitcnt vmcnt(37)
	v_fmac_f32_e32 v145, v128, v177
	v_add_f32_e32 v139, v139, v144
	v_fma_f32 v4, v121, v174, -v4
	s_waitcnt lgkmcnt(1)
	v_mul_f32_e32 v147, v131, v169
	s_waitcnt vmcnt(36)
	v_fmac_f32_e32 v146, v130, v178
	v_add_f32_e32 v139, v139, v145
	v_add_f32_e32 v3, v3, v4
	v_mul_f32_e32 v4, v124, v7
	v_mul_f32_e32 v148, v133, v170
	s_waitcnt vmcnt(35)
	v_fmac_f32_e32 v147, v132, v179
	v_add_f32_e32 v139, v139, v146
	v_fma_f32 v4, v123, v175, -v4
	s_waitcnt vmcnt(34)
	v_fmac_f32_e32 v148, v134, v180
	v_add_f32_e32 v139, v139, v147
	s_waitcnt vmcnt(33) lgkmcnt(0)
	v_mul_f32_e32 v140, v135, v181
	v_add_f32_e32 v3, v3, v4
	v_mul_f32_e32 v4, v126, v8
	v_add_f32_e32 v139, v139, v148
	s_waitcnt vmcnt(32)
	v_fmac_f32_e32 v140, v136, v182
	v_fma_f32 v4, v125, v176, -v4
	v_add_f32_e32 v143, v139, v140
	ds_read_b128 v[139:142], v114 offset:784
	v_add_f32_e32 v3, v3, v4
	v_mul_f32_e32 v4, v128, v167
	v_fma_f32 v4, v127, v177, -v4
	s_waitcnt vmcnt(31)
	v_mul_f32_e32 v144, v137, v183
	v_add_f32_e32 v3, v3, v4
	v_mul_f32_e32 v4, v130, v168
	s_waitcnt vmcnt(30)
	v_fmac_f32_e32 v144, v138, v184
	v_fma_f32 v4, v129, v178, -v4
	v_add_f32_e32 v147, v143, v144
	ds_read_b128 v[143:146], v114 offset:800
	v_add_f32_e32 v3, v3, v4
	v_mul_f32_e32 v4, v132, v169
	s_waitcnt vmcnt(29) lgkmcnt(1)
	v_mul_f32_e32 v148, v139, v185
	v_fma_f32 v4, v131, v179, -v4
	s_waitcnt vmcnt(28)
	v_fmac_f32_e32 v148, v140, v186
	v_add_f32_e32 v3, v3, v4
	v_mul_f32_e32 v4, v134, v170
	v_add_f32_e32 v147, v147, v148
	s_waitcnt vmcnt(27)
	v_mul_f32_e32 v148, v141, v187
	v_fma_f32 v4, v133, v180, -v4
	s_waitcnt vmcnt(26)
	v_fmac_f32_e32 v148, v142, v188
	v_add_f32_e32 v3, v3, v4
	v_mul_f32_e32 v4, v136, v181
	v_add_f32_e32 v147, v147, v148
	s_waitcnt vmcnt(25) lgkmcnt(0)
	v_mul_f32_e32 v148, v143, v189
	v_fma_f32 v4, v135, v182, -v4
	s_waitcnt vmcnt(24)
	v_fmac_f32_e32 v148, v144, v190
	v_add_f32_e32 v3, v3, v4
	v_mul_f32_e32 v4, v138, v183
	v_add_f32_e32 v151, v147, v148
	ds_read_b128 v[147:150], v114 offset:816
	v_fma_f32 v4, v137, v184, -v4
	v_add_f32_e32 v3, v3, v4
	v_mul_f32_e32 v4, v140, v185
	s_waitcnt vmcnt(23)
	v_mul_f32_e32 v152, v145, v191
	v_fma_f32 v4, v139, v186, -v4
	s_waitcnt vmcnt(22)
	v_fmac_f32_e32 v152, v146, v192
	v_add_f32_e32 v3, v3, v4
	v_mul_f32_e32 v4, v142, v187
	v_add_f32_e32 v155, v151, v152
	ds_read_b128 v[151:154], v114 offset:832
	v_fma_f32 v4, v141, v188, -v4
	s_waitcnt vmcnt(21) lgkmcnt(1)
	v_mul_f32_e32 v156, v147, v193
	v_add_f32_e32 v3, v3, v4
	v_mul_f32_e32 v4, v144, v189
	s_waitcnt vmcnt(20)
	v_fmac_f32_e32 v156, v148, v194
	v_fma_f32 v4, v143, v190, -v4
	v_add_f32_e32 v155, v155, v156
	s_waitcnt vmcnt(18)
	v_mul_f32_e32 v156, v149, v196
	v_add_f32_e32 v3, v3, v4
	v_mul_f32_e32 v4, v146, v191
	v_fmac_f32_e32 v156, v150, v195
	v_fma_f32 v4, v145, v192, -v4
	v_add_f32_e32 v155, v155, v156
	s_waitcnt vmcnt(15) lgkmcnt(0)
	v_mul_f32_e32 v156, v151, v199
	v_add_f32_e32 v3, v3, v4
	v_mul_f32_e32 v4, v148, v193
	s_waitcnt vmcnt(14)
	v_fmac_f32_e32 v156, v152, v200
	v_fma_f32 v4, v147, v194, -v4
	v_add_f32_e32 v159, v155, v156
	ds_read_b128 v[155:158], v114 offset:848
	v_add_f32_e32 v3, v3, v4
	v_mul_f32_e32 v4, v150, v196
	v_fma_f32 v4, v149, v195, -v4
	v_add_f32_e32 v3, v3, v4
	v_mul_f32_e32 v4, v152, v199
	s_waitcnt vmcnt(12)
	v_mul_f32_e32 v160, v153, v202
	v_fma_f32 v4, v151, v200, -v4
	v_fmac_f32_e32 v160, v154, v201
	v_add_f32_e32 v3, v3, v4
	v_mul_f32_e32 v4, v154, v202
	v_add_f32_e32 v163, v159, v160
	ds_read_b128 v[159:162], v114 offset:864
	s_waitcnt vmcnt(11) lgkmcnt(1)
	v_mul_f32_e32 v164, v155, v203
	v_fma_f32 v4, v153, v201, -v4
	s_waitcnt vmcnt(10)
	v_fmac_f32_e32 v164, v156, v204
	v_add_f32_e32 v3, v3, v4
	v_mul_f32_e32 v4, v156, v203
	v_add_f32_e32 v163, v163, v164
	s_waitcnt vmcnt(8)
	v_mul_f32_e32 v164, v157, v206
	v_fma_f32 v4, v155, v204, -v4
	v_fmac_f32_e32 v164, v158, v205
	v_add_f32_e32 v3, v3, v4
	v_mul_f32_e32 v4, v158, v206
	v_add_f32_e32 v215, v163, v164
	ds_read_b128 v[163:166], v114 offset:880
	v_fma_f32 v4, v157, v205, -v4
	v_add_f32_e32 v3, v3, v4
	s_waitcnt vmcnt(6) lgkmcnt(1)
	v_mul_f32_e32 v4, v160, v208
	v_mul_f32_e32 v216, v159, v208
	v_fma_f32 v4, v159, v207, -v4
	v_fmac_f32_e32 v216, v160, v207
	v_add_f32_e32 v3, v3, v4
	s_waitcnt vmcnt(4)
	v_mul_f32_e32 v4, v162, v210
	v_add_f32_e32 v114, v215, v216
	v_mul_f32_e32 v215, v161, v210
	v_fma_f32 v4, v161, v209, -v4
	v_fmac_f32_e32 v215, v162, v209
	v_add_f32_e32 v3, v3, v4
	s_waitcnt vmcnt(2) lgkmcnt(0)
	v_mul_f32_e32 v4, v164, v212
	v_add_f32_e32 v114, v114, v215
	v_mul_f32_e32 v215, v163, v212
	v_fma_f32 v4, v163, v211, -v4
	v_fmac_f32_e32 v215, v164, v211
	v_add_f32_e32 v3, v3, v4
	s_waitcnt vmcnt(0)
	v_mul_f32_e32 v4, v166, v214
	v_add_f32_e32 v114, v114, v215
	v_mul_f32_e32 v215, v165, v214
	v_fma_f32 v4, v165, v213, -v4
	v_fmac_f32_e32 v215, v166, v213
	v_add_f32_e32 v3, v3, v4
	v_add_f32_e32 v114, v114, v215
	v_sub_f32_e32 v3, v197, v3
	v_sub_f32_e32 v4, v198, v114
	buffer_store_dword v3, off, s[0:3], 0 offset:232
	buffer_store_dword v4, off, s[0:3], 0 offset:236
	s_and_saveexec_b64 s[4:5], vcc
	s_cbranch_execz .LBB119_293
; %bb.292:
	buffer_load_dword v3, off, s[0:3], 0 offset:224
	buffer_load_dword v4, off, s[0:3], 0 offset:228
	v_mov_b32_e32 v5, 0
	buffer_store_dword v5, off, s[0:3], 0 offset:224
	buffer_store_dword v5, off, s[0:3], 0 offset:228
	s_waitcnt vmcnt(2)
	ds_write_b64 v113, v[3:4]
.LBB119_293:
	s_or_b64 exec, exec, s[4:5]
	s_waitcnt lgkmcnt(0)
	; wave barrier
	buffer_load_dword v5, off, s[0:3], 0 offset:236
	buffer_load_dword v6, off, s[0:3], 0 offset:244
	;; [unrolled: 1-line block ×56, first 2 shown]
	v_mov_b32_e32 v114, 0
	ds_read2_b64 v[115:118], v114 offset0:85 offset1:86
	ds_read2_b64 v[119:122], v114 offset0:87 offset1:88
	;; [unrolled: 1-line block ×11, first 2 shown]
	v_cmp_lt_u32_e32 vcc, 27, v0
	s_waitcnt vmcnt(55) lgkmcnt(10)
	v_mul_f32_e32 v3, v115, v5
	v_mul_f32_e32 v5, v116, v5
	s_waitcnt vmcnt(54)
	v_mul_f32_e32 v4, v117, v6
	v_mul_f32_e32 v6, v118, v6
	s_waitcnt vmcnt(53) lgkmcnt(9)
	v_mul_f32_e32 v139, v119, v7
	s_waitcnt vmcnt(52)
	v_mul_f32_e32 v140, v121, v8
	s_waitcnt vmcnt(51) lgkmcnt(8)
	v_mul_f32_e32 v141, v123, v167
	s_waitcnt vmcnt(50)
	;; [unrolled: 4-line block ×3, first 2 shown]
	v_fma_f32 v5, v115, v172, -v5
	v_add_f32_e32 v5, 0, v5
	s_waitcnt vmcnt(45)
	v_fma_f32 v6, v117, v173, -v6
	v_add_f32_e32 v5, v5, v6
	v_mul_f32_e32 v6, v120, v7
	s_waitcnt vmcnt(44)
	v_fma_f32 v6, v119, v174, -v6
	v_add_f32_e32 v5, v5, v6
	v_mul_f32_e32 v6, v122, v8
	v_fmac_f32_e32 v3, v116, v172
	s_waitcnt vmcnt(43)
	v_fma_f32 v6, v121, v175, -v6
	v_fmac_f32_e32 v4, v118, v173
	v_add_f32_e32 v3, 0, v3
	v_add_f32_e32 v5, v5, v6
	v_mul_f32_e32 v6, v124, v167
	v_fmac_f32_e32 v139, v120, v174
	v_add_f32_e32 v3, v3, v4
	s_waitcnt vmcnt(42)
	v_fma_f32 v6, v123, v176, -v6
	v_fmac_f32_e32 v140, v122, v175
	v_add_f32_e32 v3, v3, v139
	v_add_f32_e32 v5, v5, v6
	v_mul_f32_e32 v6, v126, v168
	v_fmac_f32_e32 v141, v124, v176
	v_add_f32_e32 v3, v3, v140
	s_waitcnt vmcnt(41)
	v_fma_f32 v6, v125, v177, -v6
	v_fmac_f32_e32 v142, v126, v177
	v_add_f32_e32 v3, v3, v141
	v_add_f32_e32 v5, v5, v6
	v_mul_f32_e32 v6, v128, v169
	v_mul_f32_e32 v144, v129, v170
	s_waitcnt vmcnt(40)
	v_fmac_f32_e32 v143, v128, v178
	v_add_f32_e32 v3, v3, v142
	v_fma_f32 v6, v127, v178, -v6
	s_waitcnt lgkmcnt(6)
	v_mul_f32_e32 v145, v131, v171
	s_waitcnt vmcnt(39)
	v_fmac_f32_e32 v144, v130, v179
	v_add_f32_e32 v3, v3, v143
	v_add_f32_e32 v5, v5, v6
	v_mul_f32_e32 v6, v130, v170
	v_add_f32_e32 v3, v3, v144
	s_waitcnt vmcnt(38)
	v_fmac_f32_e32 v145, v132, v180
	s_waitcnt vmcnt(37)
	v_mul_f32_e32 v4, v133, v181
	v_fma_f32 v6, v129, v179, -v6
	v_add_f32_e32 v3, v3, v145
	s_waitcnt vmcnt(36)
	v_fmac_f32_e32 v4, v134, v182
	ds_read2_b64 v[139:142], v114 offset0:97 offset1:98
	ds_read2_b64 v[143:146], v114 offset0:99 offset1:100
	v_add_f32_e32 v5, v5, v6
	v_mul_f32_e32 v6, v132, v171
	v_add_f32_e32 v3, v3, v4
	s_waitcnt vmcnt(35) lgkmcnt(7)
	v_mul_f32_e32 v4, v135, v183
	v_fma_f32 v6, v131, v180, -v6
	s_waitcnt vmcnt(34)
	v_fmac_f32_e32 v4, v136, v184
	v_add_f32_e32 v5, v5, v6
	v_mul_f32_e32 v6, v134, v181
	v_add_f32_e32 v3, v3, v4
	s_waitcnt vmcnt(33)
	v_mul_f32_e32 v4, v137, v185
	v_fma_f32 v6, v133, v182, -v6
	s_waitcnt vmcnt(32)
	v_fmac_f32_e32 v4, v138, v186
	v_add_f32_e32 v5, v5, v6
	v_mul_f32_e32 v6, v136, v183
	v_add_f32_e32 v3, v3, v4
	s_waitcnt vmcnt(31) lgkmcnt(1)
	v_mul_f32_e32 v4, v139, v187
	v_fma_f32 v6, v135, v184, -v6
	s_waitcnt vmcnt(30)
	v_fmac_f32_e32 v4, v140, v188
	v_add_f32_e32 v5, v5, v6
	v_mul_f32_e32 v6, v138, v185
	v_add_f32_e32 v3, v3, v4
	s_waitcnt vmcnt(29)
	v_mul_f32_e32 v4, v141, v189
	v_fma_f32 v6, v137, v186, -v6
	s_waitcnt vmcnt(28)
	v_fmac_f32_e32 v4, v142, v190
	v_add_f32_e32 v5, v5, v6
	v_mul_f32_e32 v6, v140, v187
	v_add_f32_e32 v3, v3, v4
	s_waitcnt vmcnt(27) lgkmcnt(0)
	v_mul_f32_e32 v4, v143, v191
	v_fma_f32 v6, v139, v188, -v6
	s_waitcnt vmcnt(26)
	v_fmac_f32_e32 v4, v144, v192
	v_add_f32_e32 v5, v5, v6
	v_mul_f32_e32 v6, v142, v189
	v_add_f32_e32 v3, v3, v4
	s_waitcnt vmcnt(24)
	v_mul_f32_e32 v4, v145, v194
	v_fma_f32 v6, v141, v190, -v6
	v_fmac_f32_e32 v4, v146, v193
	v_add_f32_e32 v5, v5, v6
	v_mul_f32_e32 v6, v144, v191
	v_add_f32_e32 v3, v3, v4
	s_waitcnt vmcnt(21)
	v_mul_f32_e32 v4, v147, v197
	v_fma_f32 v6, v143, v192, -v6
	s_waitcnt vmcnt(20)
	v_fmac_f32_e32 v4, v148, v198
	v_add_f32_e32 v5, v5, v6
	v_mul_f32_e32 v6, v146, v194
	v_add_f32_e32 v3, v3, v4
	s_waitcnt vmcnt(18)
	v_mul_f32_e32 v4, v149, v200
	v_fma_f32 v6, v145, v193, -v6
	v_fmac_f32_e32 v4, v150, v199
	v_add_f32_e32 v5, v5, v6
	v_mul_f32_e32 v6, v148, v197
	v_add_f32_e32 v3, v3, v4
	s_waitcnt vmcnt(16)
	v_mul_f32_e32 v4, v151, v202
	v_fma_f32 v6, v147, v198, -v6
	;; [unrolled: 7-line block ×7, first 2 shown]
	v_fmac_f32_e32 v4, v162, v211
	v_add_f32_e32 v5, v5, v6
	v_mul_f32_e32 v6, v160, v210
	v_add_f32_e32 v219, v3, v4
	ds_read_b64 v[3:4], v114 offset:888
	v_fma_f32 v6, v159, v209, -v6
	s_waitcnt vmcnt(4)
	v_mul_f32_e32 v220, v163, v214
	v_add_f32_e32 v5, v5, v6
	v_mul_f32_e32 v6, v162, v212
	v_fmac_f32_e32 v220, v164, v213
	v_fma_f32 v6, v161, v211, -v6
	v_add_f32_e32 v219, v219, v220
	s_waitcnt vmcnt(2)
	v_mul_f32_e32 v220, v165, v216
	v_add_f32_e32 v5, v5, v6
	v_mul_f32_e32 v6, v164, v214
	v_fmac_f32_e32 v220, v166, v215
	v_fma_f32 v6, v163, v213, -v6
	v_add_f32_e32 v219, v219, v220
	s_waitcnt vmcnt(0) lgkmcnt(0)
	v_mul_f32_e32 v220, v3, v218
	v_add_f32_e32 v5, v5, v6
	v_mul_f32_e32 v6, v166, v216
	v_fmac_f32_e32 v220, v4, v217
	v_fma_f32 v6, v165, v215, -v6
	v_mul_f32_e32 v4, v4, v218
	v_add_f32_e32 v5, v5, v6
	v_fma_f32 v3, v3, v217, -v4
	v_add_f32_e32 v3, v5, v3
	v_add_f32_e32 v219, v219, v220
	v_sub_f32_e32 v3, v195, v3
	v_sub_f32_e32 v4, v196, v219
	buffer_store_dword v3, off, s[0:3], 0 offset:224
	buffer_store_dword v4, off, s[0:3], 0 offset:228
	s_and_saveexec_b64 s[4:5], vcc
	s_cbranch_execz .LBB119_295
; %bb.294:
	buffer_load_dword v3, off, s[0:3], 0 offset:216
	buffer_load_dword v4, off, s[0:3], 0 offset:220
	s_waitcnt vmcnt(0)
	ds_write_b64 v113, v[3:4]
	buffer_store_dword v114, off, s[0:3], 0 offset:216
	buffer_store_dword v114, off, s[0:3], 0 offset:220
.LBB119_295:
	s_or_b64 exec, exec, s[4:5]
	s_waitcnt lgkmcnt(0)
	; wave barrier
	buffer_load_dword v3, off, s[0:3], 0 offset:228
	buffer_load_dword v4, off, s[0:3], 0 offset:236
	;; [unrolled: 1-line block ×34, first 2 shown]
	ds_read_b128 v[115:118], v114 offset:672
	ds_read_b128 v[119:122], v114 offset:688
	buffer_load_dword v199, off, s[0:3], 0 offset:356
	buffer_load_dword v200, off, s[0:3], 0 offset:352
	;; [unrolled: 1-line block ×6, first 2 shown]
	ds_read_b128 v[123:126], v114 offset:704
	ds_read_b128 v[127:130], v114 offset:720
	;; [unrolled: 1-line block ×4, first 2 shown]
	buffer_load_dword v205, off, s[0:3], 0 offset:380
	buffer_load_dword v206, off, s[0:3], 0 offset:376
	;; [unrolled: 1-line block ×18, first 2 shown]
	v_cmp_lt_u32_e32 vcc, 26, v0
	s_waitcnt vmcnt(57) lgkmcnt(5)
	v_mul_f32_e32 v139, v115, v3
	s_waitcnt vmcnt(56)
	v_mul_f32_e32 v140, v117, v4
	s_waitcnt vmcnt(55) lgkmcnt(4)
	v_mul_f32_e32 v141, v119, v5
	s_waitcnt vmcnt(54)
	v_mul_f32_e32 v142, v121, v6
	;; [unrolled: 4-line block ×3, first 2 shown]
	v_mul_f32_e32 v3, v116, v3
	s_waitcnt vmcnt(51) lgkmcnt(2)
	v_mul_f32_e32 v145, v127, v171
	s_waitcnt vmcnt(49)
	v_fmac_f32_e32 v139, v116, v173
	s_waitcnt vmcnt(48)
	v_fmac_f32_e32 v140, v118, v174
	v_add_f32_e32 v139, 0, v139
	s_waitcnt vmcnt(47)
	v_fmac_f32_e32 v141, v120, v175
	v_add_f32_e32 v139, v139, v140
	;; [unrolled: 3-line block ×5, first 2 shown]
	v_fma_f32 v3, v115, v173, -v3
	v_mul_f32_e32 v4, v118, v4
	v_mul_f32_e32 v146, v129, v172
	s_waitcnt vmcnt(43)
	v_fmac_f32_e32 v145, v128, v179
	v_add_f32_e32 v139, v139, v144
	v_add_f32_e32 v3, 0, v3
	v_fma_f32 v4, v117, v174, -v4
	s_waitcnt vmcnt(42)
	v_fmac_f32_e32 v146, v130, v180
	v_add_f32_e32 v139, v139, v145
	s_waitcnt vmcnt(41) lgkmcnt(1)
	v_mul_f32_e32 v140, v131, v181
	v_add_f32_e32 v3, v3, v4
	v_mul_f32_e32 v4, v120, v5
	v_add_f32_e32 v139, v139, v146
	s_waitcnt vmcnt(40)
	v_fmac_f32_e32 v140, v132, v182
	v_fma_f32 v4, v119, v175, -v4
	v_add_f32_e32 v139, v139, v140
	s_waitcnt vmcnt(39)
	v_mul_f32_e32 v140, v133, v183
	v_add_f32_e32 v3, v3, v4
	v_mul_f32_e32 v4, v122, v6
	s_waitcnt vmcnt(38)
	v_fmac_f32_e32 v140, v134, v184
	v_fma_f32 v4, v121, v176, -v4
	v_add_f32_e32 v139, v139, v140
	s_waitcnt vmcnt(37) lgkmcnt(0)
	v_mul_f32_e32 v140, v135, v185
	v_add_f32_e32 v3, v3, v4
	v_mul_f32_e32 v4, v124, v7
	s_waitcnt vmcnt(36)
	v_fmac_f32_e32 v140, v136, v186
	v_fma_f32 v4, v123, v177, -v4
	v_add_f32_e32 v143, v139, v140
	ds_read_b128 v[139:142], v114 offset:768
	v_add_f32_e32 v3, v3, v4
	v_mul_f32_e32 v4, v126, v8
	v_fma_f32 v4, v125, v178, -v4
	s_waitcnt vmcnt(35)
	v_mul_f32_e32 v144, v137, v187
	v_add_f32_e32 v3, v3, v4
	v_mul_f32_e32 v4, v128, v171
	s_waitcnt vmcnt(34)
	v_fmac_f32_e32 v144, v138, v188
	v_fma_f32 v4, v127, v179, -v4
	v_add_f32_e32 v147, v143, v144
	ds_read_b128 v[143:146], v114 offset:784
	v_add_f32_e32 v3, v3, v4
	v_mul_f32_e32 v4, v130, v172
	s_waitcnt vmcnt(33) lgkmcnt(1)
	v_mul_f32_e32 v148, v139, v189
	v_fma_f32 v4, v129, v180, -v4
	s_waitcnt vmcnt(32)
	v_fmac_f32_e32 v148, v140, v190
	v_add_f32_e32 v3, v3, v4
	v_mul_f32_e32 v4, v132, v181
	v_add_f32_e32 v147, v147, v148
	s_waitcnt vmcnt(31)
	v_mul_f32_e32 v148, v141, v191
	v_fma_f32 v4, v131, v182, -v4
	s_waitcnt vmcnt(30)
	v_fmac_f32_e32 v148, v142, v192
	v_add_f32_e32 v3, v3, v4
	v_mul_f32_e32 v4, v134, v183
	v_add_f32_e32 v147, v147, v148
	s_waitcnt vmcnt(29) lgkmcnt(0)
	v_mul_f32_e32 v148, v143, v193
	v_fma_f32 v4, v133, v184, -v4
	s_waitcnt vmcnt(28)
	v_fmac_f32_e32 v148, v144, v194
	v_add_f32_e32 v3, v3, v4
	v_mul_f32_e32 v4, v136, v185
	v_add_f32_e32 v151, v147, v148
	ds_read_b128 v[147:150], v114 offset:800
	v_fma_f32 v4, v135, v186, -v4
	v_add_f32_e32 v3, v3, v4
	v_mul_f32_e32 v4, v138, v187
	s_waitcnt vmcnt(25)
	v_mul_f32_e32 v152, v145, v197
	v_fma_f32 v4, v137, v188, -v4
	s_waitcnt vmcnt(24)
	v_fmac_f32_e32 v152, v146, v198
	v_add_f32_e32 v3, v3, v4
	v_mul_f32_e32 v4, v140, v189
	v_add_f32_e32 v155, v151, v152
	ds_read_b128 v[151:154], v114 offset:816
	v_fma_f32 v4, v139, v190, -v4
	s_waitcnt vmcnt(23) lgkmcnt(1)
	v_mul_f32_e32 v156, v147, v199
	v_add_f32_e32 v3, v3, v4
	v_mul_f32_e32 v4, v142, v191
	s_waitcnt vmcnt(22)
	v_fmac_f32_e32 v156, v148, v200
	v_fma_f32 v4, v141, v192, -v4
	v_add_f32_e32 v155, v155, v156
	s_waitcnt vmcnt(20)
	v_mul_f32_e32 v156, v149, v202
	v_add_f32_e32 v3, v3, v4
	v_mul_f32_e32 v4, v144, v193
	v_fmac_f32_e32 v156, v150, v201
	v_fma_f32 v4, v143, v194, -v4
	v_add_f32_e32 v155, v155, v156
	s_waitcnt vmcnt(18) lgkmcnt(0)
	v_mul_f32_e32 v156, v151, v204
	v_add_f32_e32 v3, v3, v4
	v_mul_f32_e32 v4, v146, v197
	v_fmac_f32_e32 v156, v152, v203
	v_fma_f32 v4, v145, v198, -v4
	v_add_f32_e32 v159, v155, v156
	ds_read_b128 v[155:158], v114 offset:832
	v_add_f32_e32 v3, v3, v4
	v_mul_f32_e32 v4, v148, v199
	v_fma_f32 v4, v147, v200, -v4
	s_waitcnt vmcnt(17)
	v_mul_f32_e32 v160, v153, v205
	v_add_f32_e32 v3, v3, v4
	v_mul_f32_e32 v4, v150, v202
	s_waitcnt vmcnt(16)
	v_fmac_f32_e32 v160, v154, v206
	v_fma_f32 v4, v149, v201, -v4
	v_add_f32_e32 v163, v159, v160
	ds_read_b128 v[159:162], v114 offset:848
	v_add_f32_e32 v3, v3, v4
	v_mul_f32_e32 v4, v152, v204
	s_waitcnt vmcnt(14) lgkmcnt(1)
	v_mul_f32_e32 v164, v155, v208
	v_fma_f32 v4, v151, v203, -v4
	v_fmac_f32_e32 v164, v156, v207
	v_add_f32_e32 v3, v3, v4
	v_mul_f32_e32 v4, v154, v205
	v_add_f32_e32 v163, v163, v164
	s_waitcnt vmcnt(12)
	v_mul_f32_e32 v164, v157, v210
	v_fma_f32 v4, v153, v206, -v4
	v_fmac_f32_e32 v164, v158, v209
	v_add_f32_e32 v3, v3, v4
	v_mul_f32_e32 v4, v156, v208
	v_add_f32_e32 v163, v163, v164
	s_waitcnt vmcnt(10) lgkmcnt(0)
	v_mul_f32_e32 v164, v159, v212
	v_fma_f32 v4, v155, v207, -v4
	v_fmac_f32_e32 v164, v160, v211
	v_add_f32_e32 v3, v3, v4
	v_mul_f32_e32 v4, v158, v210
	v_add_f32_e32 v167, v163, v164
	ds_read_b128 v[163:166], v114 offset:864
	v_fma_f32 v4, v157, v209, -v4
	v_add_f32_e32 v3, v3, v4
	v_mul_f32_e32 v4, v160, v212
	s_waitcnt vmcnt(8)
	v_mul_f32_e32 v168, v161, v214
	v_fma_f32 v4, v159, v211, -v4
	v_fmac_f32_e32 v168, v162, v213
	v_add_f32_e32 v3, v3, v4
	v_mul_f32_e32 v4, v162, v214
	v_add_f32_e32 v223, v167, v168
	ds_read_b128 v[167:170], v114 offset:880
	v_fma_f32 v4, v161, v213, -v4
	v_add_f32_e32 v3, v3, v4
	s_waitcnt vmcnt(6) lgkmcnt(1)
	v_mul_f32_e32 v4, v164, v216
	v_mul_f32_e32 v114, v163, v216
	v_fma_f32 v4, v163, v215, -v4
	v_fmac_f32_e32 v114, v164, v215
	v_add_f32_e32 v3, v3, v4
	s_waitcnt vmcnt(4)
	v_mul_f32_e32 v4, v166, v218
	v_add_f32_e32 v114, v223, v114
	v_mul_f32_e32 v223, v165, v218
	v_fma_f32 v4, v165, v217, -v4
	v_fmac_f32_e32 v223, v166, v217
	v_add_f32_e32 v3, v3, v4
	s_waitcnt vmcnt(2) lgkmcnt(0)
	v_mul_f32_e32 v4, v168, v220
	v_add_f32_e32 v114, v114, v223
	v_mul_f32_e32 v223, v167, v220
	v_fma_f32 v4, v167, v219, -v4
	v_fmac_f32_e32 v223, v168, v219
	v_add_f32_e32 v3, v3, v4
	s_waitcnt vmcnt(0)
	v_mul_f32_e32 v4, v170, v222
	v_add_f32_e32 v114, v114, v223
	v_mul_f32_e32 v223, v169, v222
	v_fma_f32 v4, v169, v221, -v4
	v_fmac_f32_e32 v223, v170, v221
	v_add_f32_e32 v3, v3, v4
	v_add_f32_e32 v114, v114, v223
	v_sub_f32_e32 v3, v195, v3
	v_sub_f32_e32 v4, v196, v114
	buffer_store_dword v3, off, s[0:3], 0 offset:216
	buffer_store_dword v4, off, s[0:3], 0 offset:220
	s_and_saveexec_b64 s[4:5], vcc
	s_cbranch_execz .LBB119_297
; %bb.296:
	buffer_load_dword v3, off, s[0:3], 0 offset:208
	buffer_load_dword v4, off, s[0:3], 0 offset:212
	v_mov_b32_e32 v5, 0
	buffer_store_dword v5, off, s[0:3], 0 offset:208
	buffer_store_dword v5, off, s[0:3], 0 offset:212
	s_waitcnt vmcnt(2)
	ds_write_b64 v113, v[3:4]
.LBB119_297:
	s_or_b64 exec, exec, s[4:5]
	s_waitcnt lgkmcnt(0)
	; wave barrier
	buffer_load_dword v5, off, s[0:3], 0 offset:220
	buffer_load_dword v6, off, s[0:3], 0 offset:228
	;; [unrolled: 1-line block ×60, first 2 shown]
	v_mov_b32_e32 v114, 0
	ds_read2_b64 v[115:118], v114 offset0:83 offset1:84
	ds_read2_b64 v[119:122], v114 offset0:85 offset1:86
	;; [unrolled: 1-line block ×12, first 2 shown]
	v_cmp_lt_u32_e32 vcc, 25, v0
	s_waitcnt vmcnt(59) lgkmcnt(11)
	v_mul_f32_e32 v3, v115, v5
	v_mul_f32_e32 v5, v116, v5
	s_waitcnt vmcnt(58)
	v_mul_f32_e32 v4, v117, v6
	v_mul_f32_e32 v6, v118, v6
	s_waitcnt vmcnt(57) lgkmcnt(10)
	v_mul_f32_e32 v135, v119, v7
	s_waitcnt vmcnt(56)
	v_mul_f32_e32 v136, v121, v8
	s_waitcnt vmcnt(55) lgkmcnt(9)
	v_mul_f32_e32 v137, v123, v171
	s_waitcnt vmcnt(52)
	v_fma_f32 v5, v115, v174, -v5
	v_add_f32_e32 v5, 0, v5
	s_waitcnt vmcnt(51)
	v_fma_f32 v6, v117, v175, -v6
	v_add_f32_e32 v5, v5, v6
	v_mul_f32_e32 v6, v120, v7
	v_fmac_f32_e32 v3, v116, v174
	s_waitcnt vmcnt(50)
	v_fma_f32 v6, v119, v176, -v6
	v_fmac_f32_e32 v4, v118, v175
	v_add_f32_e32 v3, 0, v3
	v_add_f32_e32 v5, v5, v6
	v_mul_f32_e32 v6, v122, v8
	v_fmac_f32_e32 v135, v120, v176
	v_add_f32_e32 v3, v3, v4
	s_waitcnt vmcnt(49)
	v_fma_f32 v6, v121, v177, -v6
	v_fmac_f32_e32 v136, v122, v177
	v_add_f32_e32 v3, v3, v135
	v_add_f32_e32 v5, v5, v6
	v_mul_f32_e32 v6, v124, v171
	v_mul_f32_e32 v138, v125, v172
	s_waitcnt vmcnt(48)
	v_fmac_f32_e32 v137, v124, v178
	v_add_f32_e32 v3, v3, v136
	v_fma_f32 v6, v123, v178, -v6
	s_waitcnt lgkmcnt(8)
	v_mul_f32_e32 v139, v127, v173
	s_waitcnt vmcnt(47)
	v_fmac_f32_e32 v138, v126, v179
	v_add_f32_e32 v3, v3, v137
	v_add_f32_e32 v5, v5, v6
	v_mul_f32_e32 v6, v126, v172
	s_waitcnt vmcnt(46)
	v_fmac_f32_e32 v139, v128, v180
	v_add_f32_e32 v3, v3, v138
	s_waitcnt vmcnt(45)
	v_mul_f32_e32 v4, v129, v181
	v_fma_f32 v6, v125, v179, -v6
	v_add_f32_e32 v3, v3, v139
	s_waitcnt vmcnt(44)
	v_fmac_f32_e32 v4, v130, v182
	ds_read2_b64 v[135:138], v114 offset0:93 offset1:94
	ds_read2_b64 v[139:142], v114 offset0:95 offset1:96
	v_add_f32_e32 v5, v5, v6
	v_mul_f32_e32 v6, v128, v173
	v_add_f32_e32 v3, v3, v4
	s_waitcnt vmcnt(43) lgkmcnt(9)
	v_mul_f32_e32 v4, v131, v183
	v_fma_f32 v6, v127, v180, -v6
	s_waitcnt vmcnt(42)
	v_fmac_f32_e32 v4, v132, v184
	v_add_f32_e32 v5, v5, v6
	v_mul_f32_e32 v6, v130, v181
	v_add_f32_e32 v3, v3, v4
	s_waitcnt vmcnt(41)
	v_mul_f32_e32 v4, v133, v185
	v_fma_f32 v6, v129, v182, -v6
	s_waitcnt vmcnt(40)
	v_fmac_f32_e32 v4, v134, v186
	v_add_f32_e32 v5, v5, v6
	v_mul_f32_e32 v6, v132, v183
	v_add_f32_e32 v3, v3, v4
	s_waitcnt vmcnt(39) lgkmcnt(1)
	v_mul_f32_e32 v4, v135, v187
	v_fma_f32 v6, v131, v184, -v6
	s_waitcnt vmcnt(38)
	v_fmac_f32_e32 v4, v136, v188
	v_add_f32_e32 v5, v5, v6
	v_mul_f32_e32 v6, v134, v185
	v_add_f32_e32 v3, v3, v4
	s_waitcnt vmcnt(37)
	v_mul_f32_e32 v4, v137, v189
	v_fma_f32 v6, v133, v186, -v6
	s_waitcnt vmcnt(36)
	v_fmac_f32_e32 v4, v138, v190
	v_add_f32_e32 v5, v5, v6
	v_mul_f32_e32 v6, v136, v187
	v_add_f32_e32 v3, v3, v4
	s_waitcnt vmcnt(34) lgkmcnt(0)
	v_mul_f32_e32 v4, v139, v192
	v_fma_f32 v6, v135, v188, -v6
	v_fmac_f32_e32 v4, v140, v191
	v_add_f32_e32 v5, v5, v6
	v_mul_f32_e32 v6, v138, v189
	v_add_f32_e32 v3, v3, v4
	s_waitcnt vmcnt(31)
	v_mul_f32_e32 v4, v141, v195
	v_fma_f32 v6, v137, v190, -v6
	s_waitcnt vmcnt(30)
	v_fmac_f32_e32 v4, v142, v196
	v_add_f32_e32 v5, v5, v6
	v_mul_f32_e32 v6, v140, v192
	v_add_f32_e32 v3, v3, v4
	s_waitcnt vmcnt(28)
	v_mul_f32_e32 v4, v143, v198
	v_fma_f32 v6, v139, v191, -v6
	v_fmac_f32_e32 v4, v144, v197
	v_add_f32_e32 v5, v5, v6
	v_mul_f32_e32 v6, v142, v195
	v_add_f32_e32 v3, v3, v4
	s_waitcnt vmcnt(26)
	v_mul_f32_e32 v4, v145, v200
	v_fma_f32 v6, v141, v196, -v6
	;; [unrolled: 7-line block ×12, first 2 shown]
	v_fmac_f32_e32 v4, v166, v219
	v_add_f32_e32 v5, v5, v6
	v_mul_f32_e32 v6, v164, v218
	v_add_f32_e32 v227, v3, v4
	ds_read_b64 v[3:4], v114 offset:888
	v_fma_f32 v6, v163, v217, -v6
	s_waitcnt vmcnt(4)
	v_mul_f32_e32 v228, v167, v222
	v_add_f32_e32 v5, v5, v6
	v_mul_f32_e32 v6, v166, v220
	v_fmac_f32_e32 v228, v168, v221
	v_fma_f32 v6, v165, v219, -v6
	v_add_f32_e32 v227, v227, v228
	s_waitcnt vmcnt(2)
	v_mul_f32_e32 v228, v169, v224
	v_add_f32_e32 v5, v5, v6
	v_mul_f32_e32 v6, v168, v222
	v_fmac_f32_e32 v228, v170, v223
	v_fma_f32 v6, v167, v221, -v6
	v_add_f32_e32 v227, v227, v228
	s_waitcnt vmcnt(0) lgkmcnt(0)
	v_mul_f32_e32 v228, v3, v226
	v_add_f32_e32 v5, v5, v6
	v_mul_f32_e32 v6, v170, v224
	v_fmac_f32_e32 v228, v4, v225
	v_fma_f32 v6, v169, v223, -v6
	v_mul_f32_e32 v4, v4, v226
	v_add_f32_e32 v5, v5, v6
	v_fma_f32 v3, v3, v225, -v4
	v_add_f32_e32 v3, v5, v3
	v_add_f32_e32 v227, v227, v228
	v_sub_f32_e32 v3, v193, v3
	v_sub_f32_e32 v4, v194, v227
	buffer_store_dword v3, off, s[0:3], 0 offset:208
	buffer_store_dword v4, off, s[0:3], 0 offset:212
	s_and_saveexec_b64 s[4:5], vcc
	s_cbranch_execz .LBB119_299
; %bb.298:
	buffer_load_dword v3, off, s[0:3], 0 offset:200
	buffer_load_dword v4, off, s[0:3], 0 offset:204
	s_waitcnt vmcnt(0)
	ds_write_b64 v113, v[3:4]
	buffer_store_dword v114, off, s[0:3], 0 offset:200
	buffer_store_dword v114, off, s[0:3], 0 offset:204
.LBB119_299:
	s_or_b64 exec, exec, s[4:5]
	s_waitcnt lgkmcnt(0)
	; wave barrier
	buffer_load_dword v3, off, s[0:3], 0 offset:212
	buffer_load_dword v4, off, s[0:3], 0 offset:220
	;; [unrolled: 1-line block ×32, first 2 shown]
	ds_read_b128 v[115:118], v114 offset:656
	ds_read_b128 v[119:122], v114 offset:672
	;; [unrolled: 1-line block ×4, first 2 shown]
	buffer_load_dword v201, off, s[0:3], 0 offset:332
	buffer_load_dword v202, off, s[0:3], 0 offset:328
	;; [unrolled: 1-line block ×30, first 2 shown]
	v_cmp_lt_u32_e32 vcc, 24, v0
	s_waitcnt vmcnt(61) lgkmcnt(3)
	v_mul_f32_e32 v131, v115, v3
	s_waitcnt vmcnt(60)
	v_mul_f32_e32 v132, v117, v4
	s_waitcnt vmcnt(59) lgkmcnt(2)
	v_mul_f32_e32 v133, v119, v5
	s_waitcnt vmcnt(58)
	v_mul_f32_e32 v134, v121, v6
	;; [unrolled: 4-line block ×3, first 2 shown]
	s_waitcnt vmcnt(55) lgkmcnt(0)
	v_mul_f32_e32 v137, v127, v175
	s_waitcnt vmcnt(54)
	v_fmac_f32_e32 v131, v116, v176
	s_waitcnt vmcnt(53)
	v_fmac_f32_e32 v132, v118, v177
	v_add_f32_e32 v131, 0, v131
	s_waitcnt vmcnt(52)
	v_fmac_f32_e32 v133, v120, v178
	v_add_f32_e32 v131, v131, v132
	;; [unrolled: 3-line block ×6, first 2 shown]
	v_add_f32_e32 v135, v131, v137
	ds_read_b128 v[131:134], v114 offset:720
	s_waitcnt vmcnt(47)
	v_mul_f32_e32 v136, v129, v183
	s_waitcnt vmcnt(46)
	v_fmac_f32_e32 v136, v130, v184
	v_mul_f32_e32 v3, v116, v3
	v_add_f32_e32 v139, v135, v136
	ds_read_b128 v[135:138], v114 offset:736
	v_fma_f32 v3, v115, v176, -v3
	v_mul_f32_e32 v4, v118, v4
	s_waitcnt vmcnt(45) lgkmcnt(1)
	v_mul_f32_e32 v140, v131, v185
	v_add_f32_e32 v3, 0, v3
	v_fma_f32 v4, v117, v177, -v4
	s_waitcnt vmcnt(44)
	v_fmac_f32_e32 v140, v132, v186
	v_add_f32_e32 v3, v3, v4
	v_mul_f32_e32 v4, v120, v5
	v_add_f32_e32 v139, v139, v140
	s_waitcnt vmcnt(43)
	v_mul_f32_e32 v140, v133, v187
	v_fma_f32 v4, v119, v178, -v4
	s_waitcnt vmcnt(42)
	v_fmac_f32_e32 v140, v134, v188
	v_add_f32_e32 v3, v3, v4
	v_mul_f32_e32 v4, v122, v6
	v_add_f32_e32 v139, v139, v140
	s_waitcnt vmcnt(41) lgkmcnt(0)
	v_mul_f32_e32 v140, v135, v189
	v_fma_f32 v4, v121, v179, -v4
	s_waitcnt vmcnt(40)
	v_fmac_f32_e32 v140, v136, v190
	v_add_f32_e32 v3, v3, v4
	v_mul_f32_e32 v4, v124, v7
	v_add_f32_e32 v143, v139, v140
	ds_read_b128 v[139:142], v114 offset:752
	v_fma_f32 v4, v123, v180, -v4
	v_add_f32_e32 v3, v3, v4
	v_mul_f32_e32 v4, v126, v8
	s_waitcnt vmcnt(39)
	v_mul_f32_e32 v144, v137, v191
	v_fma_f32 v4, v125, v181, -v4
	s_waitcnt vmcnt(38)
	v_fmac_f32_e32 v144, v138, v192
	v_add_f32_e32 v3, v3, v4
	v_mul_f32_e32 v4, v128, v175
	v_add_f32_e32 v147, v143, v144
	ds_read_b128 v[143:146], v114 offset:768
	v_fma_f32 v4, v127, v182, -v4
	s_waitcnt vmcnt(35) lgkmcnt(1)
	v_mul_f32_e32 v148, v139, v195
	v_add_f32_e32 v3, v3, v4
	v_mul_f32_e32 v4, v130, v183
	s_waitcnt vmcnt(34)
	v_fmac_f32_e32 v148, v140, v196
	v_fma_f32 v4, v129, v184, -v4
	v_add_f32_e32 v147, v147, v148
	s_waitcnt vmcnt(32)
	v_mul_f32_e32 v148, v141, v198
	v_add_f32_e32 v3, v3, v4
	v_mul_f32_e32 v4, v132, v185
	v_fmac_f32_e32 v148, v142, v197
	v_fma_f32 v4, v131, v186, -v4
	v_add_f32_e32 v147, v147, v148
	s_waitcnt vmcnt(30) lgkmcnt(0)
	v_mul_f32_e32 v148, v143, v200
	v_add_f32_e32 v3, v3, v4
	v_mul_f32_e32 v4, v134, v187
	v_fmac_f32_e32 v148, v144, v199
	v_fma_f32 v4, v133, v188, -v4
	v_add_f32_e32 v151, v147, v148
	ds_read_b128 v[147:150], v114 offset:784
	v_add_f32_e32 v3, v3, v4
	v_mul_f32_e32 v4, v136, v189
	v_fma_f32 v4, v135, v190, -v4
	s_waitcnt vmcnt(29)
	v_mul_f32_e32 v152, v145, v201
	v_add_f32_e32 v3, v3, v4
	v_mul_f32_e32 v4, v138, v191
	s_waitcnt vmcnt(28)
	v_fmac_f32_e32 v152, v146, v202
	v_fma_f32 v4, v137, v192, -v4
	v_add_f32_e32 v155, v151, v152
	ds_read_b128 v[151:154], v114 offset:800
	v_add_f32_e32 v3, v3, v4
	v_mul_f32_e32 v4, v140, v195
	s_waitcnt vmcnt(26) lgkmcnt(1)
	v_mul_f32_e32 v156, v147, v204
	v_fma_f32 v4, v139, v196, -v4
	v_fmac_f32_e32 v156, v148, v203
	v_add_f32_e32 v3, v3, v4
	v_mul_f32_e32 v4, v142, v198
	v_add_f32_e32 v155, v155, v156
	s_waitcnt vmcnt(24)
	v_mul_f32_e32 v156, v149, v206
	v_fma_f32 v4, v141, v197, -v4
	v_fmac_f32_e32 v156, v150, v205
	v_add_f32_e32 v3, v3, v4
	v_mul_f32_e32 v4, v144, v200
	v_add_f32_e32 v155, v155, v156
	s_waitcnt vmcnt(22) lgkmcnt(0)
	v_mul_f32_e32 v156, v151, v208
	v_fma_f32 v4, v143, v199, -v4
	v_fmac_f32_e32 v156, v152, v207
	v_add_f32_e32 v3, v3, v4
	v_mul_f32_e32 v4, v146, v201
	v_add_f32_e32 v159, v155, v156
	ds_read_b128 v[155:158], v114 offset:816
	v_fma_f32 v4, v145, v202, -v4
	v_add_f32_e32 v3, v3, v4
	v_mul_f32_e32 v4, v148, v204
	s_waitcnt vmcnt(20)
	v_mul_f32_e32 v160, v153, v210
	v_fma_f32 v4, v147, v203, -v4
	v_fmac_f32_e32 v160, v154, v209
	v_add_f32_e32 v3, v3, v4
	v_mul_f32_e32 v4, v150, v206
	v_add_f32_e32 v163, v159, v160
	ds_read_b128 v[159:162], v114 offset:832
	v_fma_f32 v4, v149, v205, -v4
	s_waitcnt vmcnt(18) lgkmcnt(1)
	v_mul_f32_e32 v164, v155, v212
	v_add_f32_e32 v3, v3, v4
	v_mul_f32_e32 v4, v152, v208
	v_fmac_f32_e32 v164, v156, v211
	v_fma_f32 v4, v151, v207, -v4
	v_add_f32_e32 v163, v163, v164
	s_waitcnt vmcnt(16)
	v_mul_f32_e32 v164, v157, v214
	v_add_f32_e32 v3, v3, v4
	v_mul_f32_e32 v4, v154, v210
	v_fmac_f32_e32 v164, v158, v213
	v_fma_f32 v4, v153, v209, -v4
	v_add_f32_e32 v163, v163, v164
	s_waitcnt vmcnt(14) lgkmcnt(0)
	v_mul_f32_e32 v164, v159, v216
	v_add_f32_e32 v3, v3, v4
	v_mul_f32_e32 v4, v156, v212
	v_fmac_f32_e32 v164, v160, v215
	v_fma_f32 v4, v155, v211, -v4
	v_add_f32_e32 v167, v163, v164
	ds_read_b128 v[163:166], v114 offset:848
	v_add_f32_e32 v3, v3, v4
	v_mul_f32_e32 v4, v158, v214
	v_fma_f32 v4, v157, v213, -v4
	v_add_f32_e32 v3, v3, v4
	v_mul_f32_e32 v4, v160, v216
	s_waitcnt vmcnt(12)
	v_mul_f32_e32 v168, v161, v218
	v_fma_f32 v4, v159, v215, -v4
	v_fmac_f32_e32 v168, v162, v217
	v_add_f32_e32 v3, v3, v4
	v_mul_f32_e32 v4, v162, v218
	v_add_f32_e32 v171, v167, v168
	ds_read_b128 v[167:170], v114 offset:864
	s_waitcnt vmcnt(10) lgkmcnt(1)
	v_mul_f32_e32 v172, v163, v220
	v_fma_f32 v4, v161, v217, -v4
	v_fmac_f32_e32 v172, v164, v219
	v_add_f32_e32 v3, v3, v4
	v_mul_f32_e32 v4, v164, v220
	v_add_f32_e32 v171, v171, v172
	s_waitcnt vmcnt(8)
	v_mul_f32_e32 v172, v165, v222
	v_fma_f32 v4, v163, v219, -v4
	v_fmac_f32_e32 v172, v166, v221
	v_add_f32_e32 v3, v3, v4
	v_mul_f32_e32 v4, v166, v222
	v_add_f32_e32 v231, v171, v172
	ds_read_b128 v[171:174], v114 offset:880
	v_fma_f32 v4, v165, v221, -v4
	v_add_f32_e32 v3, v3, v4
	s_waitcnt vmcnt(6) lgkmcnt(1)
	v_mul_f32_e32 v4, v168, v224
	v_mul_f32_e32 v232, v167, v224
	v_fma_f32 v4, v167, v223, -v4
	v_fmac_f32_e32 v232, v168, v223
	v_add_f32_e32 v3, v3, v4
	s_waitcnt vmcnt(4)
	v_mul_f32_e32 v4, v170, v226
	v_add_f32_e32 v114, v231, v232
	v_mul_f32_e32 v231, v169, v226
	v_fma_f32 v4, v169, v225, -v4
	v_fmac_f32_e32 v231, v170, v225
	v_add_f32_e32 v3, v3, v4
	s_waitcnt vmcnt(2) lgkmcnt(0)
	v_mul_f32_e32 v4, v172, v228
	v_add_f32_e32 v114, v114, v231
	v_mul_f32_e32 v231, v171, v228
	v_fma_f32 v4, v171, v227, -v4
	v_fmac_f32_e32 v231, v172, v227
	v_add_f32_e32 v3, v3, v4
	s_waitcnt vmcnt(0)
	v_mul_f32_e32 v4, v174, v230
	v_add_f32_e32 v114, v114, v231
	v_mul_f32_e32 v231, v173, v230
	v_fma_f32 v4, v173, v229, -v4
	v_fmac_f32_e32 v231, v174, v229
	v_add_f32_e32 v3, v3, v4
	v_add_f32_e32 v114, v114, v231
	v_sub_f32_e32 v3, v193, v3
	v_sub_f32_e32 v4, v194, v114
	buffer_store_dword v3, off, s[0:3], 0 offset:200
	buffer_store_dword v4, off, s[0:3], 0 offset:204
	s_and_saveexec_b64 s[4:5], vcc
	s_cbranch_execz .LBB119_301
; %bb.300:
	buffer_load_dword v3, off, s[0:3], 0 offset:192
	buffer_load_dword v4, off, s[0:3], 0 offset:196
	v_mov_b32_e32 v5, 0
	buffer_store_dword v5, off, s[0:3], 0 offset:192
	buffer_store_dword v5, off, s[0:3], 0 offset:196
	s_waitcnt vmcnt(2)
	ds_write_b64 v113, v[3:4]
.LBB119_301:
	s_or_b64 exec, exec, s[4:5]
	s_waitcnt lgkmcnt(0)
	; wave barrier
	buffer_load_dword v5, off, s[0:3], 0 offset:204
	buffer_load_dword v6, off, s[0:3], 0 offset:212
	buffer_load_dword v7, off, s[0:3], 0 offset:220
	buffer_load_dword v8, off, s[0:3], 0 offset:228
	buffer_load_dword v175, off, s[0:3], 0 offset:236
	buffer_load_dword v176, off, s[0:3], 0 offset:244
	buffer_load_dword v177, off, s[0:3], 0 offset:252
	buffer_load_dword v178, off, s[0:3], 0 offset:260
	buffer_load_dword v179, off, s[0:3], 0 offset:200
	buffer_load_dword v180, off, s[0:3], 0 offset:208
	buffer_load_dword v181, off, s[0:3], 0 offset:216
	buffer_load_dword v182, off, s[0:3], 0 offset:224
	buffer_load_dword v183, off, s[0:3], 0 offset:232
	buffer_load_dword v184, off, s[0:3], 0 offset:240
	buffer_load_dword v185, off, s[0:3], 0 offset:248
	buffer_load_dword v186, off, s[0:3], 0 offset:256
	buffer_load_dword v187, off, s[0:3], 0 offset:268
	buffer_load_dword v188, off, s[0:3], 0 offset:264
	buffer_load_dword v189, off, s[0:3], 0 offset:276
	buffer_load_dword v190, off, s[0:3], 0 offset:272
	buffer_load_dword v191, off, s[0:3], 0 offset:280
	buffer_load_dword v192, off, s[0:3], 0 offset:284
	buffer_load_dword v193, off, s[0:3], 0 offset:192
	buffer_load_dword v194, off, s[0:3], 0 offset:196
	v_mov_b32_e32 v114, 0
	buffer_load_dword v195, off, s[0:3], 0 offset:292
	buffer_load_dword v196, off, s[0:3], 0 offset:288
	;; [unrolled: 1-line block ×32, first 2 shown]
	ds_read2_b64 v[115:118], v114 offset0:81 offset1:82
	buffer_load_dword v227, off, s[0:3], 0 offset:416
	buffer_load_dword v228, off, s[0:3], 0 offset:420
	;; [unrolled: 1-line block ×4, first 2 shown]
	ds_read2_b64 v[119:122], v114 offset0:83 offset1:84
	ds_read2_b64 v[123:126], v114 offset0:85 offset1:86
	;; [unrolled: 1-line block ×3, first 2 shown]
	v_cmp_lt_u32_e32 vcc, 23, v0
	s_waitcnt vmcnt(59) lgkmcnt(3)
	v_mul_f32_e32 v3, v115, v5
	s_waitcnt vmcnt(58)
	v_mul_f32_e32 v4, v117, v6
	s_waitcnt vmcnt(57) lgkmcnt(2)
	v_mul_f32_e32 v131, v119, v7
	s_waitcnt vmcnt(56)
	v_mul_f32_e32 v132, v121, v8
	s_waitcnt vmcnt(55) lgkmcnt(1)
	v_mul_f32_e32 v133, v123, v175
	s_waitcnt vmcnt(54)
	v_mul_f32_e32 v134, v125, v176
	v_mul_f32_e32 v5, v116, v5
	v_mul_f32_e32 v6, v118, v6
	s_waitcnt vmcnt(51)
	v_fmac_f32_e32 v3, v116, v179
	s_waitcnt vmcnt(50)
	v_fmac_f32_e32 v4, v118, v180
	v_add_f32_e32 v3, 0, v3
	s_waitcnt vmcnt(49)
	v_fmac_f32_e32 v131, v120, v181
	v_add_f32_e32 v3, v3, v4
	s_waitcnt vmcnt(48)
	v_fmac_f32_e32 v132, v122, v182
	v_add_f32_e32 v3, v3, v131
	s_waitcnt vmcnt(47)
	v_fmac_f32_e32 v133, v124, v183
	v_add_f32_e32 v3, v3, v132
	s_waitcnt vmcnt(46)
	v_fmac_f32_e32 v134, v126, v184
	v_add_f32_e32 v3, v3, v133
	v_add_f32_e32 v3, v3, v134
	ds_read2_b64 v[131:134], v114 offset0:89 offset1:90
	buffer_load_dword v231, off, s[0:3], 0 offset:436
	buffer_load_dword v232, off, s[0:3], 0 offset:432
	;; [unrolled: 1-line block ×4, first 2 shown]
	v_fma_f32 v5, v115, v179, -v5
	v_add_f32_e32 v5, 0, v5
	v_fma_f32 v6, v117, v180, -v6
	v_add_f32_e32 v5, v5, v6
	v_mul_f32_e32 v6, v120, v7
	v_fma_f32 v6, v119, v181, -v6
	v_add_f32_e32 v5, v5, v6
	v_mul_f32_e32 v6, v122, v8
	;; [unrolled: 3-line block ×3, first 2 shown]
	s_waitcnt lgkmcnt(1)
	v_mul_f32_e32 v135, v127, v177
	v_fma_f32 v6, v123, v183, -v6
	v_mul_f32_e32 v136, v129, v178
	s_waitcnt vmcnt(49)
	v_fmac_f32_e32 v135, v128, v185
	v_add_f32_e32 v5, v5, v6
	v_mul_f32_e32 v6, v126, v176
	v_add_f32_e32 v3, v3, v135
	s_waitcnt vmcnt(48)
	v_fmac_f32_e32 v136, v130, v186
	v_fma_f32 v6, v125, v184, -v6
	v_add_f32_e32 v3, v3, v136
	ds_read2_b64 v[135:138], v114 offset0:91 offset1:92
	ds_read2_b64 v[139:142], v114 offset0:93 offset1:94
	v_add_f32_e32 v5, v5, v6
	v_mul_f32_e32 v6, v128, v177
	s_waitcnt vmcnt(47) lgkmcnt(2)
	v_mul_f32_e32 v4, v131, v187
	v_fma_f32 v6, v127, v185, -v6
	s_waitcnt vmcnt(46)
	v_fmac_f32_e32 v4, v132, v188
	v_add_f32_e32 v5, v5, v6
	v_mul_f32_e32 v6, v130, v178
	v_add_f32_e32 v3, v3, v4
	s_waitcnt vmcnt(45)
	v_mul_f32_e32 v4, v133, v189
	v_fma_f32 v6, v129, v186, -v6
	s_waitcnt vmcnt(44)
	v_fmac_f32_e32 v4, v134, v190
	v_add_f32_e32 v5, v5, v6
	v_mul_f32_e32 v6, v132, v187
	v_add_f32_e32 v3, v3, v4
	s_waitcnt vmcnt(42) lgkmcnt(1)
	v_mul_f32_e32 v4, v135, v192
	v_fma_f32 v6, v131, v188, -v6
	v_fmac_f32_e32 v4, v136, v191
	v_add_f32_e32 v5, v5, v6
	v_mul_f32_e32 v6, v134, v189
	v_add_f32_e32 v3, v3, v4
	s_waitcnt vmcnt(39)
	v_mul_f32_e32 v4, v137, v195
	v_fma_f32 v6, v133, v190, -v6
	s_waitcnt vmcnt(38)
	v_fmac_f32_e32 v4, v138, v196
	ds_read2_b64 v[143:146], v114 offset0:95 offset1:96
	ds_read2_b64 v[147:150], v114 offset0:97 offset1:98
	v_add_f32_e32 v5, v5, v6
	v_mul_f32_e32 v6, v136, v192
	v_add_f32_e32 v3, v3, v4
	s_waitcnt vmcnt(36) lgkmcnt(2)
	v_mul_f32_e32 v4, v139, v198
	v_fma_f32 v6, v135, v191, -v6
	v_fmac_f32_e32 v4, v140, v197
	v_add_f32_e32 v5, v5, v6
	v_mul_f32_e32 v6, v138, v195
	v_add_f32_e32 v3, v3, v4
	s_waitcnt vmcnt(34)
	v_mul_f32_e32 v4, v141, v200
	v_fma_f32 v6, v137, v196, -v6
	v_fmac_f32_e32 v4, v142, v199
	v_add_f32_e32 v5, v5, v6
	v_mul_f32_e32 v6, v140, v198
	v_add_f32_e32 v3, v3, v4
	s_waitcnt vmcnt(32) lgkmcnt(1)
	v_mul_f32_e32 v4, v143, v202
	v_fma_f32 v6, v139, v197, -v6
	v_fmac_f32_e32 v4, v144, v201
	v_add_f32_e32 v5, v5, v6
	v_mul_f32_e32 v6, v142, v200
	v_add_f32_e32 v3, v3, v4
	s_waitcnt vmcnt(30)
	v_mul_f32_e32 v4, v145, v204
	v_fma_f32 v6, v141, v199, -v6
	v_fmac_f32_e32 v4, v146, v203
	ds_read2_b64 v[151:154], v114 offset0:99 offset1:100
	ds_read2_b64 v[155:158], v114 offset0:101 offset1:102
	v_add_f32_e32 v5, v5, v6
	v_mul_f32_e32 v6, v144, v202
	v_add_f32_e32 v3, v3, v4
	s_waitcnt vmcnt(28) lgkmcnt(2)
	v_mul_f32_e32 v4, v147, v206
	v_fma_f32 v6, v143, v201, -v6
	v_fmac_f32_e32 v4, v148, v205
	v_add_f32_e32 v5, v5, v6
	v_mul_f32_e32 v6, v146, v204
	v_add_f32_e32 v3, v3, v4
	s_waitcnt vmcnt(26)
	v_mul_f32_e32 v4, v149, v208
	v_fma_f32 v6, v145, v203, -v6
	v_fmac_f32_e32 v4, v150, v207
	v_add_f32_e32 v5, v5, v6
	v_mul_f32_e32 v6, v148, v206
	v_add_f32_e32 v3, v3, v4
	s_waitcnt vmcnt(24) lgkmcnt(1)
	v_mul_f32_e32 v4, v151, v210
	v_fma_f32 v6, v147, v205, -v6
	v_fmac_f32_e32 v4, v152, v209
	v_add_f32_e32 v5, v5, v6
	v_mul_f32_e32 v6, v150, v208
	v_add_f32_e32 v3, v3, v4
	s_waitcnt vmcnt(22)
	v_mul_f32_e32 v4, v153, v212
	v_fma_f32 v6, v149, v207, -v6
	;; [unrolled: 30-line block ×4, first 2 shown]
	v_fmac_f32_e32 v4, v170, v227
	v_add_f32_e32 v5, v5, v6
	v_mul_f32_e32 v6, v168, v226
	v_add_f32_e32 v235, v3, v4
	ds_read_b64 v[3:4], v114 offset:888
	v_fma_f32 v6, v167, v225, -v6
	s_waitcnt vmcnt(4) lgkmcnt(1)
	v_mul_f32_e32 v236, v171, v230
	v_add_f32_e32 v5, v5, v6
	v_mul_f32_e32 v6, v170, v228
	v_fmac_f32_e32 v236, v172, v229
	v_fma_f32 v6, v169, v227, -v6
	v_add_f32_e32 v235, v235, v236
	s_waitcnt vmcnt(3)
	v_mul_f32_e32 v236, v173, v231
	v_add_f32_e32 v5, v5, v6
	v_mul_f32_e32 v6, v172, v230
	s_waitcnt vmcnt(2)
	v_fmac_f32_e32 v236, v174, v232
	v_fma_f32 v6, v171, v229, -v6
	v_add_f32_e32 v235, v235, v236
	s_waitcnt vmcnt(0) lgkmcnt(0)
	v_mul_f32_e32 v236, v3, v234
	v_add_f32_e32 v5, v5, v6
	v_mul_f32_e32 v6, v174, v231
	v_fmac_f32_e32 v236, v4, v233
	v_fma_f32 v6, v173, v232, -v6
	v_mul_f32_e32 v4, v4, v234
	v_add_f32_e32 v5, v5, v6
	v_fma_f32 v3, v3, v233, -v4
	v_add_f32_e32 v3, v5, v3
	v_add_f32_e32 v235, v235, v236
	v_sub_f32_e32 v3, v193, v3
	v_sub_f32_e32 v4, v194, v235
	buffer_store_dword v3, off, s[0:3], 0 offset:192
	buffer_store_dword v4, off, s[0:3], 0 offset:196
	s_and_saveexec_b64 s[4:5], vcc
	s_cbranch_execz .LBB119_303
; %bb.302:
	buffer_load_dword v3, off, s[0:3], 0 offset:184
	buffer_load_dword v4, off, s[0:3], 0 offset:188
	s_waitcnt vmcnt(0)
	ds_write_b64 v113, v[3:4]
	buffer_store_dword v114, off, s[0:3], 0 offset:184
	buffer_store_dword v114, off, s[0:3], 0 offset:188
.LBB119_303:
	s_or_b64 exec, exec, s[4:5]
	s_waitcnt lgkmcnt(0)
	; wave barrier
	buffer_load_dword v3, off, s[0:3], 0 offset:196
	buffer_load_dword v4, off, s[0:3], 0 offset:204
	;; [unrolled: 1-line block ×26, first 2 shown]
	ds_read_b128 v[115:118], v114 offset:640
	ds_read_b128 v[119:122], v114 offset:656
	;; [unrolled: 1-line block ×4, first 2 shown]
	buffer_load_dword v199, off, s[0:3], 0 offset:292
	buffer_load_dword v200, off, s[0:3], 0 offset:288
	;; [unrolled: 1-line block ×34, first 2 shown]
	v_cmp_lt_u32_e32 vcc, 22, v0
	s_waitcnt vmcnt(59) lgkmcnt(3)
	v_mul_f32_e32 v131, v115, v3
	s_waitcnt vmcnt(58)
	v_mul_f32_e32 v132, v117, v4
	s_waitcnt vmcnt(57) lgkmcnt(2)
	v_mul_f32_e32 v133, v119, v5
	s_waitcnt vmcnt(56)
	v_mul_f32_e32 v134, v121, v6
	;; [unrolled: 4-line block ×4, first 2 shown]
	s_waitcnt vmcnt(51)
	v_fmac_f32_e32 v131, v116, v181
	s_waitcnt vmcnt(50)
	v_fmac_f32_e32 v132, v118, v182
	v_add_f32_e32 v131, 0, v131
	s_waitcnt vmcnt(49)
	v_fmac_f32_e32 v133, v120, v183
	v_add_f32_e32 v131, v131, v132
	;; [unrolled: 3-line block ×7, first 2 shown]
	v_add_f32_e32 v139, v131, v138
	ds_read_b128 v[131:134], v114 offset:704
	buffer_load_dword v233, off, s[0:3], 0 offset:428
	buffer_load_dword v234, off, s[0:3], 0 offset:424
	;; [unrolled: 1-line block ×4, first 2 shown]
	ds_read_b128 v[135:138], v114 offset:720
	buffer_load_dword v237, off, s[0:3], 0 offset:440
	buffer_load_dword v238, off, s[0:3], 0 offset:444
	v_mul_f32_e32 v3, v116, v3
	s_waitcnt vmcnt(49) lgkmcnt(1)
	v_mul_f32_e32 v140, v131, v189
	s_waitcnt vmcnt(48)
	v_fmac_f32_e32 v140, v132, v190
	v_fma_f32 v3, v115, v181, -v3
	v_mul_f32_e32 v4, v118, v4
	v_add_f32_e32 v139, v139, v140
	s_waitcnt vmcnt(46)
	v_mul_f32_e32 v140, v133, v192
	v_add_f32_e32 v3, 0, v3
	v_fma_f32 v4, v117, v182, -v4
	v_fmac_f32_e32 v140, v134, v191
	v_add_f32_e32 v3, v3, v4
	v_mul_f32_e32 v4, v120, v5
	v_add_f32_e32 v139, v139, v140
	s_waitcnt vmcnt(43) lgkmcnt(0)
	v_mul_f32_e32 v140, v135, v195
	v_fma_f32 v4, v119, v183, -v4
	s_waitcnt vmcnt(42)
	v_fmac_f32_e32 v140, v136, v196
	v_add_f32_e32 v3, v3, v4
	v_mul_f32_e32 v4, v122, v6
	v_add_f32_e32 v143, v139, v140
	ds_read_b128 v[139:142], v114 offset:736
	v_fma_f32 v4, v121, v184, -v4
	v_add_f32_e32 v3, v3, v4
	v_mul_f32_e32 v4, v124, v7
	s_waitcnt vmcnt(40)
	v_mul_f32_e32 v144, v137, v198
	v_fma_f32 v4, v123, v185, -v4
	v_fmac_f32_e32 v144, v138, v197
	v_add_f32_e32 v3, v3, v4
	v_mul_f32_e32 v4, v126, v8
	v_add_f32_e32 v147, v143, v144
	ds_read_b128 v[143:146], v114 offset:752
	v_fma_f32 v4, v125, v186, -v4
	s_waitcnt vmcnt(39) lgkmcnt(1)
	v_mul_f32_e32 v148, v139, v199
	v_add_f32_e32 v3, v3, v4
	v_mul_f32_e32 v4, v128, v179
	s_waitcnt vmcnt(38)
	v_fmac_f32_e32 v148, v140, v200
	v_fma_f32 v4, v127, v187, -v4
	v_add_f32_e32 v147, v147, v148
	s_waitcnt vmcnt(36)
	v_mul_f32_e32 v148, v141, v202
	v_add_f32_e32 v3, v3, v4
	v_mul_f32_e32 v4, v130, v180
	v_fmac_f32_e32 v148, v142, v201
	v_fma_f32 v4, v129, v188, -v4
	v_add_f32_e32 v147, v147, v148
	s_waitcnt vmcnt(34) lgkmcnt(0)
	v_mul_f32_e32 v148, v143, v204
	v_add_f32_e32 v3, v3, v4
	v_mul_f32_e32 v4, v132, v189
	v_fmac_f32_e32 v148, v144, v203
	v_fma_f32 v4, v131, v190, -v4
	v_add_f32_e32 v151, v147, v148
	ds_read_b128 v[147:150], v114 offset:768
	v_add_f32_e32 v3, v3, v4
	v_mul_f32_e32 v4, v134, v192
	v_fma_f32 v4, v133, v191, -v4
	s_waitcnt vmcnt(32)
	v_mul_f32_e32 v152, v145, v206
	v_add_f32_e32 v3, v3, v4
	v_mul_f32_e32 v4, v136, v195
	v_fmac_f32_e32 v152, v146, v205
	v_fma_f32 v4, v135, v196, -v4
	v_add_f32_e32 v155, v151, v152
	ds_read_b128 v[151:154], v114 offset:784
	v_add_f32_e32 v3, v3, v4
	v_mul_f32_e32 v4, v138, v198
	s_waitcnt vmcnt(30) lgkmcnt(1)
	v_mul_f32_e32 v156, v147, v208
	v_fma_f32 v4, v137, v197, -v4
	v_fmac_f32_e32 v156, v148, v207
	v_add_f32_e32 v3, v3, v4
	v_mul_f32_e32 v4, v140, v199
	v_add_f32_e32 v155, v155, v156
	s_waitcnt vmcnt(28)
	v_mul_f32_e32 v156, v149, v210
	v_fma_f32 v4, v139, v200, -v4
	v_fmac_f32_e32 v156, v150, v209
	v_add_f32_e32 v3, v3, v4
	v_mul_f32_e32 v4, v142, v202
	v_add_f32_e32 v155, v155, v156
	s_waitcnt vmcnt(26) lgkmcnt(0)
	v_mul_f32_e32 v156, v151, v212
	v_fma_f32 v4, v141, v201, -v4
	v_fmac_f32_e32 v156, v152, v211
	v_add_f32_e32 v3, v3, v4
	v_mul_f32_e32 v4, v144, v204
	v_add_f32_e32 v159, v155, v156
	ds_read_b128 v[155:158], v114 offset:800
	v_fma_f32 v4, v143, v203, -v4
	v_add_f32_e32 v3, v3, v4
	v_mul_f32_e32 v4, v146, v206
	s_waitcnt vmcnt(24)
	v_mul_f32_e32 v160, v153, v214
	v_fma_f32 v4, v145, v205, -v4
	v_fmac_f32_e32 v160, v154, v213
	v_add_f32_e32 v3, v3, v4
	v_mul_f32_e32 v4, v148, v208
	v_add_f32_e32 v163, v159, v160
	ds_read_b128 v[159:162], v114 offset:816
	v_fma_f32 v4, v147, v207, -v4
	s_waitcnt vmcnt(22) lgkmcnt(1)
	v_mul_f32_e32 v164, v155, v216
	v_add_f32_e32 v3, v3, v4
	v_mul_f32_e32 v4, v150, v210
	v_fmac_f32_e32 v164, v156, v215
	v_fma_f32 v4, v149, v209, -v4
	v_add_f32_e32 v163, v163, v164
	s_waitcnt vmcnt(20)
	v_mul_f32_e32 v164, v157, v218
	v_add_f32_e32 v3, v3, v4
	v_mul_f32_e32 v4, v152, v212
	v_fmac_f32_e32 v164, v158, v217
	v_fma_f32 v4, v151, v211, -v4
	v_add_f32_e32 v163, v163, v164
	s_waitcnt vmcnt(18) lgkmcnt(0)
	v_mul_f32_e32 v164, v159, v220
	v_add_f32_e32 v3, v3, v4
	v_mul_f32_e32 v4, v154, v214
	v_fmac_f32_e32 v164, v160, v219
	v_fma_f32 v4, v153, v213, -v4
	v_add_f32_e32 v167, v163, v164
	ds_read_b128 v[163:166], v114 offset:832
	v_add_f32_e32 v3, v3, v4
	v_mul_f32_e32 v4, v156, v216
	v_fma_f32 v4, v155, v215, -v4
	s_waitcnt vmcnt(16)
	v_mul_f32_e32 v168, v161, v222
	v_add_f32_e32 v3, v3, v4
	v_mul_f32_e32 v4, v158, v218
	v_fmac_f32_e32 v168, v162, v221
	v_fma_f32 v4, v157, v217, -v4
	v_add_f32_e32 v171, v167, v168
	ds_read_b128 v[167:170], v114 offset:848
	v_add_f32_e32 v3, v3, v4
	v_mul_f32_e32 v4, v160, v220
	s_waitcnt vmcnt(14) lgkmcnt(1)
	v_mul_f32_e32 v172, v163, v224
	v_fma_f32 v4, v159, v219, -v4
	v_fmac_f32_e32 v172, v164, v223
	v_add_f32_e32 v3, v3, v4
	v_mul_f32_e32 v4, v162, v222
	v_add_f32_e32 v171, v171, v172
	s_waitcnt vmcnt(12)
	v_mul_f32_e32 v172, v165, v226
	v_fma_f32 v4, v161, v221, -v4
	v_fmac_f32_e32 v172, v166, v225
	v_add_f32_e32 v3, v3, v4
	v_mul_f32_e32 v4, v164, v224
	v_add_f32_e32 v171, v171, v172
	s_waitcnt vmcnt(10) lgkmcnt(0)
	v_mul_f32_e32 v172, v167, v228
	v_fma_f32 v4, v163, v223, -v4
	v_fmac_f32_e32 v172, v168, v227
	v_add_f32_e32 v3, v3, v4
	v_mul_f32_e32 v4, v166, v226
	v_add_f32_e32 v175, v171, v172
	ds_read_b128 v[171:174], v114 offset:864
	v_fma_f32 v4, v165, v225, -v4
	v_add_f32_e32 v3, v3, v4
	v_mul_f32_e32 v4, v168, v228
	s_waitcnt vmcnt(8)
	v_mul_f32_e32 v176, v169, v230
	v_fma_f32 v4, v167, v227, -v4
	v_fmac_f32_e32 v176, v170, v229
	v_add_f32_e32 v3, v3, v4
	v_mul_f32_e32 v4, v170, v230
	v_add_f32_e32 v239, v175, v176
	ds_read_b128 v[175:178], v114 offset:880
	v_fma_f32 v4, v169, v229, -v4
	v_add_f32_e32 v3, v3, v4
	s_waitcnt vmcnt(6) lgkmcnt(1)
	v_mul_f32_e32 v4, v172, v232
	v_mul_f32_e32 v114, v171, v232
	v_fma_f32 v4, v171, v231, -v4
	v_fmac_f32_e32 v114, v172, v231
	v_add_f32_e32 v3, v3, v4
	s_waitcnt vmcnt(5)
	v_mul_f32_e32 v4, v174, v233
	v_add_f32_e32 v114, v239, v114
	v_mul_f32_e32 v239, v173, v233
	s_waitcnt vmcnt(4)
	v_fma_f32 v4, v173, v234, -v4
	v_fmac_f32_e32 v239, v174, v234
	v_add_f32_e32 v3, v3, v4
	s_waitcnt vmcnt(2) lgkmcnt(0)
	v_mul_f32_e32 v4, v176, v236
	v_add_f32_e32 v114, v114, v239
	v_mul_f32_e32 v239, v175, v236
	v_fma_f32 v4, v175, v235, -v4
	v_fmac_f32_e32 v239, v176, v235
	v_add_f32_e32 v3, v3, v4
	s_waitcnt vmcnt(0)
	v_mul_f32_e32 v4, v178, v238
	v_add_f32_e32 v114, v114, v239
	v_mul_f32_e32 v239, v177, v238
	v_fma_f32 v4, v177, v237, -v4
	v_fmac_f32_e32 v239, v178, v237
	v_add_f32_e32 v3, v3, v4
	v_add_f32_e32 v114, v114, v239
	v_sub_f32_e32 v3, v193, v3
	v_sub_f32_e32 v4, v194, v114
	buffer_store_dword v3, off, s[0:3], 0 offset:184
	buffer_store_dword v4, off, s[0:3], 0 offset:188
	s_and_saveexec_b64 s[4:5], vcc
	s_cbranch_execz .LBB119_305
; %bb.304:
	buffer_load_dword v3, off, s[0:3], 0 offset:176
	buffer_load_dword v4, off, s[0:3], 0 offset:180
	v_mov_b32_e32 v5, 0
	buffer_store_dword v5, off, s[0:3], 0 offset:176
	buffer_store_dword v5, off, s[0:3], 0 offset:180
	s_waitcnt vmcnt(2)
	ds_write_b64 v113, v[3:4]
.LBB119_305:
	s_or_b64 exec, exec, s[4:5]
	s_waitcnt lgkmcnt(0)
	; wave barrier
	buffer_load_dword v5, off, s[0:3], 0 offset:188
	buffer_load_dword v6, off, s[0:3], 0 offset:196
	;; [unrolled: 1-line block ×21, first 2 shown]
	v_mov_b32_e32 v114, 0
	buffer_load_dword v196, off, s[0:3], 0 offset:256
	buffer_load_dword v197, off, s[0:3], 0 offset:264
	buffer_load_dword v198, off, s[0:3], 0 offset:268
	buffer_load_dword v199, off, s[0:3], 0 offset:272
	buffer_load_dword v200, off, s[0:3], 0 offset:276
	buffer_load_dword v201, off, s[0:3], 0 offset:280
	buffer_load_dword v202, off, s[0:3], 0 offset:284
	buffer_load_dword v203, off, s[0:3], 0 offset:288
	buffer_load_dword v204, off, s[0:3], 0 offset:292
	buffer_load_dword v205, off, s[0:3], 0 offset:296
	buffer_load_dword v206, off, s[0:3], 0 offset:300
	buffer_load_dword v207, off, s[0:3], 0 offset:304
	buffer_load_dword v208, off, s[0:3], 0 offset:308
	buffer_load_dword v209, off, s[0:3], 0 offset:312
	buffer_load_dword v210, off, s[0:3], 0 offset:316
	buffer_load_dword v211, off, s[0:3], 0 offset:320
	buffer_load_dword v212, off, s[0:3], 0 offset:324
	buffer_load_dword v213, off, s[0:3], 0 offset:328
	buffer_load_dword v214, off, s[0:3], 0 offset:332
	buffer_load_dword v215, off, s[0:3], 0 offset:336
	buffer_load_dword v216, off, s[0:3], 0 offset:340
	buffer_load_dword v217, off, s[0:3], 0 offset:344
	buffer_load_dword v218, off, s[0:3], 0 offset:348
	buffer_load_dword v219, off, s[0:3], 0 offset:352
	buffer_load_dword v220, off, s[0:3], 0 offset:356
	buffer_load_dword v221, off, s[0:3], 0 offset:360
	buffer_load_dword v222, off, s[0:3], 0 offset:364
	buffer_load_dword v223, off, s[0:3], 0 offset:368
	buffer_load_dword v224, off, s[0:3], 0 offset:372
	buffer_load_dword v225, off, s[0:3], 0 offset:376
	buffer_load_dword v226, off, s[0:3], 0 offset:380
	buffer_load_dword v227, off, s[0:3], 0 offset:384
	buffer_load_dword v228, off, s[0:3], 0 offset:388
	buffer_load_dword v229, off, s[0:3], 0 offset:392
	buffer_load_dword v230, off, s[0:3], 0 offset:396
	buffer_load_dword v231, off, s[0:3], 0 offset:400
	buffer_load_dword v232, off, s[0:3], 0 offset:404
	ds_read2_b64 v[115:118], v114 offset0:79 offset1:80
	ds_read2_b64 v[119:122], v114 offset0:81 offset1:82
	;; [unrolled: 1-line block ×5, first 2 shown]
	buffer_load_dword v233, off, s[0:3], 0 offset:408
	buffer_load_dword v234, off, s[0:3], 0 offset:412
	v_cmp_lt_u32_e32 vcc, 21, v0
	s_waitcnt vmcnt(59) lgkmcnt(4)
	v_mul_f32_e32 v3, v115, v5
	s_waitcnt vmcnt(58)
	v_mul_f32_e32 v4, v117, v6
	s_waitcnt vmcnt(57) lgkmcnt(3)
	v_mul_f32_e32 v135, v119, v7
	s_waitcnt vmcnt(56)
	v_mul_f32_e32 v136, v121, v8
	;; [unrolled: 4-line block ×3, first 2 shown]
	v_mul_f32_e32 v5, v116, v5
	v_mul_f32_e32 v6, v118, v6
	s_waitcnt vmcnt(51)
	v_fmac_f32_e32 v3, v116, v183
	s_waitcnt vmcnt(50)
	v_fmac_f32_e32 v4, v118, v184
	v_add_f32_e32 v3, 0, v3
	s_waitcnt vmcnt(49)
	v_fmac_f32_e32 v135, v120, v185
	v_add_f32_e32 v3, v3, v4
	;; [unrolled: 3-line block ×5, first 2 shown]
	v_add_f32_e32 v3, v3, v138
	ds_read2_b64 v[135:138], v114 offset0:89 offset1:90
	buffer_load_dword v235, off, s[0:3], 0 offset:420
	buffer_load_dword v236, off, s[0:3], 0 offset:416
	;; [unrolled: 1-line block ×8, first 2 shown]
	v_fma_f32 v5, v115, v183, -v5
	v_add_f32_e32 v5, 0, v5
	v_fma_f32 v6, v117, v184, -v6
	v_add_f32_e32 v5, v5, v6
	v_mul_f32_e32 v6, v120, v7
	v_fma_f32 v6, v119, v185, -v6
	v_add_f32_e32 v5, v5, v6
	v_mul_f32_e32 v6, v122, v8
	v_fma_f32 v6, v121, v186, -v6
	v_add_f32_e32 v5, v5, v6
	v_mul_f32_e32 v6, v124, v179
	v_fma_f32 v6, v123, v187, -v6
	v_add_f32_e32 v5, v5, v6
	v_mul_f32_e32 v6, v126, v180
	s_waitcnt lgkmcnt(2)
	v_mul_f32_e32 v139, v127, v181
	v_fma_f32 v6, v125, v188, -v6
	v_mul_f32_e32 v140, v129, v182
	s_waitcnt vmcnt(53)
	v_fmac_f32_e32 v139, v128, v189
	v_add_f32_e32 v5, v5, v6
	v_mul_f32_e32 v6, v128, v181
	s_waitcnt vmcnt(52)
	v_fmac_f32_e32 v140, v130, v190
	v_add_f32_e32 v3, v3, v139
	s_waitcnt vmcnt(51) lgkmcnt(1)
	v_mul_f32_e32 v4, v131, v191
	v_fma_f32 v6, v127, v189, -v6
	v_add_f32_e32 v3, v3, v140
	s_waitcnt vmcnt(50)
	v_fmac_f32_e32 v4, v132, v192
	v_add_f32_e32 v5, v5, v6
	v_mul_f32_e32 v6, v130, v182
	v_add_f32_e32 v3, v3, v4
	s_waitcnt vmcnt(49)
	v_mul_f32_e32 v4, v133, v193
	v_fma_f32 v6, v129, v190, -v6
	s_waitcnt vmcnt(46)
	v_fmac_f32_e32 v4, v134, v196
	ds_read2_b64 v[139:142], v114 offset0:91 offset1:92
	ds_read2_b64 v[143:146], v114 offset0:93 offset1:94
	v_add_f32_e32 v5, v5, v6
	v_mul_f32_e32 v6, v132, v191
	v_add_f32_e32 v3, v3, v4
	s_waitcnt vmcnt(44) lgkmcnt(2)
	v_mul_f32_e32 v4, v135, v198
	v_fma_f32 v6, v131, v192, -v6
	v_fmac_f32_e32 v4, v136, v197
	v_add_f32_e32 v5, v5, v6
	v_mul_f32_e32 v6, v134, v193
	v_add_f32_e32 v3, v3, v4
	s_waitcnt vmcnt(42)
	v_mul_f32_e32 v4, v137, v200
	v_fma_f32 v6, v133, v196, -v6
	v_fmac_f32_e32 v4, v138, v199
	v_add_f32_e32 v5, v5, v6
	v_mul_f32_e32 v6, v136, v198
	v_add_f32_e32 v3, v3, v4
	s_waitcnt vmcnt(40) lgkmcnt(1)
	v_mul_f32_e32 v4, v139, v202
	v_fma_f32 v6, v135, v197, -v6
	v_fmac_f32_e32 v4, v140, v201
	v_add_f32_e32 v5, v5, v6
	v_mul_f32_e32 v6, v138, v200
	v_add_f32_e32 v3, v3, v4
	s_waitcnt vmcnt(38)
	v_mul_f32_e32 v4, v141, v204
	v_fma_f32 v6, v137, v199, -v6
	v_fmac_f32_e32 v4, v142, v203
	ds_read2_b64 v[147:150], v114 offset0:95 offset1:96
	ds_read2_b64 v[151:154], v114 offset0:97 offset1:98
	v_add_f32_e32 v5, v5, v6
	v_mul_f32_e32 v6, v140, v202
	v_add_f32_e32 v3, v3, v4
	s_waitcnt vmcnt(36) lgkmcnt(2)
	v_mul_f32_e32 v4, v143, v206
	v_fma_f32 v6, v139, v201, -v6
	v_fmac_f32_e32 v4, v144, v205
	v_add_f32_e32 v5, v5, v6
	v_mul_f32_e32 v6, v142, v204
	v_add_f32_e32 v3, v3, v4
	s_waitcnt vmcnt(34)
	v_mul_f32_e32 v4, v145, v208
	v_fma_f32 v6, v141, v203, -v6
	v_fmac_f32_e32 v4, v146, v207
	v_add_f32_e32 v5, v5, v6
	v_mul_f32_e32 v6, v144, v206
	v_add_f32_e32 v3, v3, v4
	s_waitcnt vmcnt(32) lgkmcnt(1)
	v_mul_f32_e32 v4, v147, v210
	v_fma_f32 v6, v143, v205, -v6
	v_fmac_f32_e32 v4, v148, v209
	v_add_f32_e32 v5, v5, v6
	v_mul_f32_e32 v6, v146, v208
	v_add_f32_e32 v3, v3, v4
	s_waitcnt vmcnt(30)
	v_mul_f32_e32 v4, v149, v212
	v_fma_f32 v6, v145, v207, -v6
	;; [unrolled: 30-line block ×5, first 2 shown]
	s_waitcnt vmcnt(6)
	v_fmac_f32_e32 v4, v174, v236
	v_add_f32_e32 v5, v5, v6
	v_mul_f32_e32 v6, v172, v234
	v_add_f32_e32 v243, v3, v4
	ds_read_b64 v[3:4], v114 offset:888
	v_fma_f32 v6, v171, v233, -v6
	s_waitcnt vmcnt(4) lgkmcnt(1)
	v_mul_f32_e32 v244, v175, v238
	v_add_f32_e32 v5, v5, v6
	v_mul_f32_e32 v6, v174, v235
	v_fmac_f32_e32 v244, v176, v237
	v_fma_f32 v6, v173, v236, -v6
	v_add_f32_e32 v243, v243, v244
	s_waitcnt vmcnt(3)
	v_mul_f32_e32 v244, v177, v239
	v_add_f32_e32 v5, v5, v6
	v_mul_f32_e32 v6, v176, v238
	s_waitcnt vmcnt(2)
	v_fmac_f32_e32 v244, v178, v240
	v_fma_f32 v6, v175, v237, -v6
	v_add_f32_e32 v243, v243, v244
	s_waitcnt vmcnt(0) lgkmcnt(0)
	v_mul_f32_e32 v244, v3, v242
	v_add_f32_e32 v5, v5, v6
	v_mul_f32_e32 v6, v178, v239
	v_fmac_f32_e32 v244, v4, v241
	v_fma_f32 v6, v177, v240, -v6
	v_mul_f32_e32 v4, v4, v242
	v_add_f32_e32 v5, v5, v6
	v_fma_f32 v3, v3, v241, -v4
	v_add_f32_e32 v3, v5, v3
	v_add_f32_e32 v243, v243, v244
	v_sub_f32_e32 v3, v194, v3
	v_sub_f32_e32 v4, v195, v243
	buffer_store_dword v3, off, s[0:3], 0 offset:176
	buffer_store_dword v4, off, s[0:3], 0 offset:180
	s_and_saveexec_b64 s[4:5], vcc
	s_cbranch_execz .LBB119_307
; %bb.306:
	buffer_load_dword v3, off, s[0:3], 0 offset:168
	buffer_load_dword v4, off, s[0:3], 0 offset:172
	s_waitcnt vmcnt(0)
	ds_write_b64 v113, v[3:4]
	buffer_store_dword v114, off, s[0:3], 0 offset:168
	buffer_store_dword v114, off, s[0:3], 0 offset:172
.LBB119_307:
	s_or_b64 exec, exec, s[4:5]
	s_waitcnt lgkmcnt(0)
	; wave barrier
	buffer_load_dword v3, off, s[0:3], 0 offset:180
	buffer_load_dword v4, off, s[0:3], 0 offset:188
	;; [unrolled: 1-line block ×24, first 2 shown]
	ds_read_b128 v[115:118], v114 offset:624
	ds_read_b128 v[119:122], v114 offset:640
	;; [unrolled: 1-line block ×6, first 2 shown]
	buffer_load_dword v201, off, s[0:3], 0 offset:268
	buffer_load_dword v202, off, s[0:3], 0 offset:264
	;; [unrolled: 1-line block ×46, first 2 shown]
	v_cmp_lt_u32_e32 vcc, 20, v0
	s_waitcnt vmcnt(62) lgkmcnt(5)
	v_mul_f32_e32 v139, v115, v3
	v_mul_f32_e32 v140, v117, v4
	s_waitcnt lgkmcnt(4)
	v_mul_f32_e32 v141, v119, v5
	v_mul_f32_e32 v142, v121, v6
	s_waitcnt lgkmcnt(3)
	;; [unrolled: 3-line block ×3, first 2 shown]
	v_mul_f32_e32 v145, v127, v183
	v_mul_f32_e32 v146, v129, v184
	s_waitcnt vmcnt(61)
	v_fmac_f32_e32 v139, v116, v185
	s_waitcnt vmcnt(60)
	v_fmac_f32_e32 v140, v118, v186
	v_add_f32_e32 v139, 0, v139
	s_waitcnt vmcnt(59)
	v_fmac_f32_e32 v141, v120, v187
	v_add_f32_e32 v139, v139, v140
	;; [unrolled: 3-line block ×7, first 2 shown]
	s_waitcnt vmcnt(53) lgkmcnt(1)
	v_mul_f32_e32 v140, v131, v193
	v_add_f32_e32 v139, v139, v146
	s_waitcnt vmcnt(52)
	v_fmac_f32_e32 v140, v132, v194
	v_mul_f32_e32 v3, v116, v3
	v_add_f32_e32 v139, v139, v140
	s_waitcnt vmcnt(51)
	v_mul_f32_e32 v140, v133, v195
	v_fma_f32 v3, v115, v185, -v3
	v_mul_f32_e32 v4, v118, v4
	s_waitcnt vmcnt(50)
	v_fmac_f32_e32 v140, v134, v196
	v_add_f32_e32 v3, 0, v3
	v_fma_f32 v4, v117, v186, -v4
	v_add_f32_e32 v139, v139, v140
	s_waitcnt vmcnt(47) lgkmcnt(0)
	v_mul_f32_e32 v140, v135, v199
	v_add_f32_e32 v3, v3, v4
	v_mul_f32_e32 v4, v120, v5
	s_waitcnt vmcnt(46)
	v_fmac_f32_e32 v140, v136, v200
	v_fma_f32 v4, v119, v187, -v4
	v_add_f32_e32 v143, v139, v140
	ds_read_b128 v[139:142], v114 offset:720
	v_add_f32_e32 v3, v3, v4
	v_mul_f32_e32 v4, v122, v6
	v_fma_f32 v4, v121, v188, -v4
	s_waitcnt vmcnt(45)
	v_mul_f32_e32 v144, v137, v201
	v_add_f32_e32 v3, v3, v4
	v_mul_f32_e32 v4, v124, v7
	s_waitcnt vmcnt(44)
	v_fmac_f32_e32 v144, v138, v202
	v_fma_f32 v4, v123, v189, -v4
	v_add_f32_e32 v147, v143, v144
	ds_read_b128 v[143:146], v114 offset:736
	v_add_f32_e32 v3, v3, v4
	v_mul_f32_e32 v4, v126, v8
	s_waitcnt vmcnt(42) lgkmcnt(1)
	v_mul_f32_e32 v148, v139, v204
	v_fma_f32 v4, v125, v190, -v4
	v_fmac_f32_e32 v148, v140, v203
	v_add_f32_e32 v3, v3, v4
	v_mul_f32_e32 v4, v128, v183
	v_add_f32_e32 v147, v147, v148
	s_waitcnt vmcnt(40)
	v_mul_f32_e32 v148, v141, v206
	v_fma_f32 v4, v127, v191, -v4
	v_fmac_f32_e32 v148, v142, v205
	v_add_f32_e32 v3, v3, v4
	v_mul_f32_e32 v4, v130, v184
	v_add_f32_e32 v147, v147, v148
	s_waitcnt vmcnt(38) lgkmcnt(0)
	v_mul_f32_e32 v148, v143, v208
	v_fma_f32 v4, v129, v192, -v4
	v_fmac_f32_e32 v148, v144, v207
	v_add_f32_e32 v3, v3, v4
	v_mul_f32_e32 v4, v132, v193
	v_add_f32_e32 v151, v147, v148
	ds_read_b128 v[147:150], v114 offset:752
	v_fma_f32 v4, v131, v194, -v4
	v_add_f32_e32 v3, v3, v4
	v_mul_f32_e32 v4, v134, v195
	s_waitcnt vmcnt(36)
	v_mul_f32_e32 v152, v145, v210
	v_fma_f32 v4, v133, v196, -v4
	v_fmac_f32_e32 v152, v146, v209
	v_add_f32_e32 v3, v3, v4
	v_mul_f32_e32 v4, v136, v199
	v_add_f32_e32 v155, v151, v152
	ds_read_b128 v[151:154], v114 offset:768
	v_fma_f32 v4, v135, v200, -v4
	s_waitcnt vmcnt(34) lgkmcnt(1)
	v_mul_f32_e32 v156, v147, v212
	v_add_f32_e32 v3, v3, v4
	v_mul_f32_e32 v4, v138, v201
	v_fmac_f32_e32 v156, v148, v211
	v_fma_f32 v4, v137, v202, -v4
	v_add_f32_e32 v155, v155, v156
	s_waitcnt vmcnt(32)
	v_mul_f32_e32 v156, v149, v214
	v_add_f32_e32 v3, v3, v4
	v_mul_f32_e32 v4, v140, v204
	v_fmac_f32_e32 v156, v150, v213
	v_fma_f32 v4, v139, v203, -v4
	v_add_f32_e32 v155, v155, v156
	s_waitcnt vmcnt(30) lgkmcnt(0)
	v_mul_f32_e32 v156, v151, v216
	v_add_f32_e32 v3, v3, v4
	v_mul_f32_e32 v4, v142, v206
	v_fmac_f32_e32 v156, v152, v215
	v_fma_f32 v4, v141, v205, -v4
	v_add_f32_e32 v159, v155, v156
	ds_read_b128 v[155:158], v114 offset:784
	v_add_f32_e32 v3, v3, v4
	v_mul_f32_e32 v4, v144, v208
	v_fma_f32 v4, v143, v207, -v4
	s_waitcnt vmcnt(28)
	v_mul_f32_e32 v160, v153, v218
	v_add_f32_e32 v3, v3, v4
	v_mul_f32_e32 v4, v146, v210
	v_fmac_f32_e32 v160, v154, v217
	v_fma_f32 v4, v145, v209, -v4
	v_add_f32_e32 v163, v159, v160
	ds_read_b128 v[159:162], v114 offset:800
	v_add_f32_e32 v3, v3, v4
	v_mul_f32_e32 v4, v148, v212
	s_waitcnt vmcnt(26) lgkmcnt(1)
	v_mul_f32_e32 v164, v155, v220
	v_fma_f32 v4, v147, v211, -v4
	v_fmac_f32_e32 v164, v156, v219
	v_add_f32_e32 v3, v3, v4
	v_mul_f32_e32 v4, v150, v214
	v_add_f32_e32 v163, v163, v164
	s_waitcnt vmcnt(24)
	v_mul_f32_e32 v164, v157, v222
	v_fma_f32 v4, v149, v213, -v4
	v_fmac_f32_e32 v164, v158, v221
	v_add_f32_e32 v3, v3, v4
	v_mul_f32_e32 v4, v152, v216
	v_add_f32_e32 v163, v163, v164
	s_waitcnt vmcnt(22) lgkmcnt(0)
	v_mul_f32_e32 v164, v159, v224
	v_fma_f32 v4, v151, v215, -v4
	v_fmac_f32_e32 v164, v160, v223
	v_add_f32_e32 v3, v3, v4
	v_mul_f32_e32 v4, v154, v218
	v_add_f32_e32 v167, v163, v164
	ds_read_b128 v[163:166], v114 offset:816
	v_fma_f32 v4, v153, v217, -v4
	v_add_f32_e32 v3, v3, v4
	v_mul_f32_e32 v4, v156, v220
	s_waitcnt vmcnt(20)
	v_mul_f32_e32 v168, v161, v226
	v_fma_f32 v4, v155, v219, -v4
	v_fmac_f32_e32 v168, v162, v225
	v_add_f32_e32 v3, v3, v4
	v_mul_f32_e32 v4, v158, v222
	v_add_f32_e32 v171, v167, v168
	ds_read_b128 v[167:170], v114 offset:832
	v_fma_f32 v4, v157, v221, -v4
	s_waitcnt vmcnt(18) lgkmcnt(1)
	v_mul_f32_e32 v172, v163, v228
	v_add_f32_e32 v3, v3, v4
	v_mul_f32_e32 v4, v160, v224
	v_fmac_f32_e32 v172, v164, v227
	v_fma_f32 v4, v159, v223, -v4
	v_add_f32_e32 v171, v171, v172
	s_waitcnt vmcnt(16)
	v_mul_f32_e32 v172, v165, v230
	v_add_f32_e32 v3, v3, v4
	v_mul_f32_e32 v4, v162, v226
	v_fmac_f32_e32 v172, v166, v229
	v_fma_f32 v4, v161, v225, -v4
	v_add_f32_e32 v171, v171, v172
	s_waitcnt vmcnt(14) lgkmcnt(0)
	v_mul_f32_e32 v172, v167, v232
	v_add_f32_e32 v3, v3, v4
	v_mul_f32_e32 v4, v164, v228
	v_fmac_f32_e32 v172, v168, v231
	v_fma_f32 v4, v163, v227, -v4
	v_add_f32_e32 v175, v171, v172
	ds_read_b128 v[171:174], v114 offset:848
	v_add_f32_e32 v3, v3, v4
	v_mul_f32_e32 v4, v166, v230
	v_fma_f32 v4, v165, v229, -v4
	v_add_f32_e32 v3, v3, v4
	v_mul_f32_e32 v4, v168, v232
	s_waitcnt vmcnt(12)
	v_mul_f32_e32 v176, v169, v234
	v_fma_f32 v4, v167, v231, -v4
	v_fmac_f32_e32 v176, v170, v233
	v_add_f32_e32 v3, v3, v4
	v_mul_f32_e32 v4, v170, v234
	v_add_f32_e32 v179, v175, v176
	ds_read_b128 v[175:178], v114 offset:864
	s_waitcnt vmcnt(10) lgkmcnt(1)
	v_mul_f32_e32 v180, v171, v236
	v_fma_f32 v4, v169, v233, -v4
	v_fmac_f32_e32 v180, v172, v235
	v_add_f32_e32 v3, v3, v4
	v_mul_f32_e32 v4, v172, v236
	v_add_f32_e32 v179, v179, v180
	s_waitcnt vmcnt(9)
	v_mul_f32_e32 v180, v173, v237
	v_fma_f32 v4, v171, v235, -v4
	s_waitcnt vmcnt(8)
	v_fmac_f32_e32 v180, v174, v238
	v_add_f32_e32 v3, v3, v4
	v_mul_f32_e32 v4, v174, v237
	v_add_f32_e32 v247, v179, v180
	ds_read_b128 v[179:182], v114 offset:880
	v_fma_f32 v4, v173, v238, -v4
	v_add_f32_e32 v3, v3, v4
	s_waitcnt vmcnt(6) lgkmcnt(1)
	v_mul_f32_e32 v4, v176, v240
	v_mul_f32_e32 v248, v175, v240
	v_fma_f32 v4, v175, v239, -v4
	v_fmac_f32_e32 v248, v176, v239
	v_add_f32_e32 v3, v3, v4
	s_waitcnt vmcnt(4)
	v_mul_f32_e32 v4, v178, v242
	v_add_f32_e32 v114, v247, v248
	v_mul_f32_e32 v247, v177, v242
	v_fma_f32 v4, v177, v241, -v4
	v_fmac_f32_e32 v247, v178, v241
	v_add_f32_e32 v3, v3, v4
	s_waitcnt vmcnt(3) lgkmcnt(0)
	v_mul_f32_e32 v4, v180, v243
	v_add_f32_e32 v114, v114, v247
	v_mul_f32_e32 v247, v179, v243
	s_waitcnt vmcnt(2)
	v_fma_f32 v4, v179, v244, -v4
	v_fmac_f32_e32 v247, v180, v244
	v_add_f32_e32 v3, v3, v4
	s_waitcnt vmcnt(0)
	v_mul_f32_e32 v4, v182, v246
	v_add_f32_e32 v114, v114, v247
	v_mul_f32_e32 v247, v181, v246
	v_fma_f32 v4, v181, v245, -v4
	v_fmac_f32_e32 v247, v182, v245
	v_add_f32_e32 v3, v3, v4
	v_add_f32_e32 v114, v114, v247
	v_sub_f32_e32 v3, v197, v3
	v_sub_f32_e32 v4, v198, v114
	buffer_store_dword v3, off, s[0:3], 0 offset:168
	buffer_store_dword v4, off, s[0:3], 0 offset:172
	s_and_saveexec_b64 s[4:5], vcc
	s_cbranch_execz .LBB119_309
; %bb.308:
	buffer_load_dword v3, off, s[0:3], 0 offset:160
	buffer_load_dword v4, off, s[0:3], 0 offset:164
	v_mov_b32_e32 v5, 0
	buffer_store_dword v5, off, s[0:3], 0 offset:160
	buffer_store_dword v5, off, s[0:3], 0 offset:164
	s_waitcnt vmcnt(2)
	ds_write_b64 v113, v[3:4]
.LBB119_309:
	s_or_b64 exec, exec, s[4:5]
	s_waitcnt lgkmcnt(0)
	; wave barrier
	buffer_load_dword v5, off, s[0:3], 0 offset:172
	buffer_load_dword v6, off, s[0:3], 0 offset:180
	;; [unrolled: 1-line block ×56, first 2 shown]
	v_mov_b32_e32 v114, 0
	ds_read2_b64 v[115:118], v114 offset0:77 offset1:78
	ds_read2_b64 v[119:122], v114 offset0:79 offset1:80
	;; [unrolled: 1-line block ×6, first 2 shown]
	buffer_load_dword v235, off, s[0:3], 0 offset:384
	buffer_load_dword v236, off, s[0:3], 0 offset:388
	;; [unrolled: 1-line block ×16, first 2 shown]
	ds_read2_b64 v[147:150], v114 offset0:93 offset1:94
	ds_read2_b64 v[151:154], v114 offset0:95 offset1:96
	;; [unrolled: 1-line block ×9, first 2 shown]
	v_cmp_lt_u32_e32 vcc, 19, v0
	s_waitcnt vmcnt(62) lgkmcnt(14)
	v_mul_f32_e32 v3, v115, v5
	v_mul_f32_e32 v5, v116, v5
	;; [unrolled: 1-line block ×4, first 2 shown]
	s_waitcnt lgkmcnt(13)
	v_mul_f32_e32 v139, v119, v7
	v_mul_f32_e32 v140, v121, v8
	s_waitcnt lgkmcnt(12)
	v_mul_f32_e32 v141, v123, v183
	v_mul_f32_e32 v142, v125, v184
	s_waitcnt lgkmcnt(11)
	v_mul_f32_e32 v143, v127, v185
	v_fmac_f32_e32 v139, v120, v188
	s_waitcnt vmcnt(61)
	v_fma_f32 v6, v117, v189, -v6
	s_waitcnt vmcnt(60)
	v_fma_f32 v5, v115, v190, -v5
	v_add_f32_e32 v5, 0, v5
	v_add_f32_e32 v5, v5, v6
	v_mul_f32_e32 v6, v120, v7
	v_fma_f32 v6, v119, v188, -v6
	v_add_f32_e32 v5, v5, v6
	v_mul_f32_e32 v6, v122, v8
	v_fmac_f32_e32 v3, v116, v190
	s_waitcnt vmcnt(56)
	v_fma_f32 v6, v121, v194, -v6
	v_fmac_f32_e32 v4, v118, v189
	v_add_f32_e32 v3, 0, v3
	v_add_f32_e32 v5, v5, v6
	v_mul_f32_e32 v6, v124, v183
	v_add_f32_e32 v3, v3, v4
	v_fma_f32 v6, v123, v193, -v6
	v_fmac_f32_e32 v140, v122, v194
	v_add_f32_e32 v3, v3, v139
	v_add_f32_e32 v5, v5, v6
	v_mul_f32_e32 v6, v126, v184
	v_fmac_f32_e32 v141, v124, v193
	v_add_f32_e32 v3, v3, v140
	v_fma_f32 v6, v125, v192, -v6
	v_fmac_f32_e32 v142, v126, v192
	v_add_f32_e32 v3, v3, v141
	v_add_f32_e32 v5, v5, v6
	v_mul_f32_e32 v6, v128, v185
	v_mul_f32_e32 v144, v129, v186
	v_fmac_f32_e32 v143, v128, v191
	v_add_f32_e32 v3, v3, v142
	v_fma_f32 v6, v127, v191, -v6
	s_waitcnt lgkmcnt(10)
	v_mul_f32_e32 v145, v131, v187
	s_waitcnt vmcnt(52)
	v_fmac_f32_e32 v144, v130, v198
	v_add_f32_e32 v3, v3, v143
	v_add_f32_e32 v5, v5, v6
	v_mul_f32_e32 v6, v130, v186
	v_add_f32_e32 v3, v3, v144
	v_fmac_f32_e32 v145, v132, v197
	s_waitcnt vmcnt(51)
	v_mul_f32_e32 v4, v133, v199
	v_fma_f32 v6, v129, v198, -v6
	v_add_f32_e32 v3, v3, v145
	v_fmac_f32_e32 v4, v134, v196
	ds_read2_b64 v[139:142], v114 offset0:89 offset1:90
	ds_read2_b64 v[143:146], v114 offset0:91 offset1:92
	v_add_f32_e32 v5, v5, v6
	v_mul_f32_e32 v6, v132, v187
	v_add_f32_e32 v3, v3, v4
	s_waitcnt vmcnt(50) lgkmcnt(11)
	v_mul_f32_e32 v4, v135, v200
	v_fma_f32 v6, v131, v197, -v6
	v_fmac_f32_e32 v4, v136, v195
	v_add_f32_e32 v5, v5, v6
	v_mul_f32_e32 v6, v134, v199
	v_add_f32_e32 v3, v3, v4
	s_waitcnt vmcnt(46)
	v_mul_f32_e32 v4, v137, v204
	v_fma_f32 v6, v133, v196, -v6
	v_fmac_f32_e32 v4, v138, v203
	v_add_f32_e32 v5, v5, v6
	v_mul_f32_e32 v6, v136, v200
	v_add_f32_e32 v3, v3, v4
	s_waitcnt vmcnt(44) lgkmcnt(1)
	v_mul_f32_e32 v4, v139, v206
	v_fma_f32 v6, v135, v195, -v6
	v_fmac_f32_e32 v4, v140, v205
	v_add_f32_e32 v5, v5, v6
	v_mul_f32_e32 v6, v138, v204
	v_add_f32_e32 v3, v3, v4
	s_waitcnt vmcnt(42)
	v_mul_f32_e32 v4, v141, v208
	v_fma_f32 v6, v137, v203, -v6
	v_fmac_f32_e32 v4, v142, v207
	;; [unrolled: 14-line block ×3, first 2 shown]
	v_add_f32_e32 v5, v5, v6
	v_mul_f32_e32 v6, v144, v210
	v_add_f32_e32 v3, v3, v4
	s_waitcnt vmcnt(36)
	v_mul_f32_e32 v4, v147, v214
	v_fma_f32 v6, v143, v209, -v6
	v_fmac_f32_e32 v4, v148, v213
	v_add_f32_e32 v5, v5, v6
	v_mul_f32_e32 v6, v146, v212
	v_add_f32_e32 v3, v3, v4
	s_waitcnt vmcnt(34)
	v_mul_f32_e32 v4, v149, v216
	v_fma_f32 v6, v145, v211, -v6
	v_fmac_f32_e32 v4, v150, v215
	;; [unrolled: 7-line block ×13, first 2 shown]
	v_add_f32_e32 v5, v5, v6
	v_mul_f32_e32 v6, v170, v236
	v_add_f32_e32 v3, v3, v4
	s_waitcnt vmcnt(11)
	v_mul_f32_e32 v4, v173, v239
	v_fma_f32 v6, v169, v235, -v6
	s_waitcnt vmcnt(8)
	v_fmac_f32_e32 v4, v174, v242
	v_add_f32_e32 v5, v5, v6
	v_mul_f32_e32 v6, v172, v238
	v_add_f32_e32 v3, v3, v4
	v_mul_f32_e32 v4, v175, v241
	v_fma_f32 v6, v171, v237, -v6
	v_fmac_f32_e32 v4, v176, v240
	v_add_f32_e32 v5, v5, v6
	v_mul_f32_e32 v6, v174, v239
	v_add_f32_e32 v3, v3, v4
	s_waitcnt vmcnt(6)
	v_mul_f32_e32 v4, v177, v244
	v_fma_f32 v6, v173, v242, -v6
	v_fmac_f32_e32 v4, v178, v243
	v_add_f32_e32 v5, v5, v6
	v_mul_f32_e32 v6, v176, v241
	v_add_f32_e32 v251, v3, v4
	ds_read_b64 v[3:4], v114 offset:888
	v_fma_f32 v6, v175, v240, -v6
	s_waitcnt vmcnt(4)
	v_mul_f32_e32 v252, v179, v246
	v_add_f32_e32 v5, v5, v6
	v_mul_f32_e32 v6, v178, v244
	v_fmac_f32_e32 v252, v180, v245
	v_fma_f32 v6, v177, v243, -v6
	v_add_f32_e32 v251, v251, v252
	s_waitcnt vmcnt(3)
	v_mul_f32_e32 v252, v181, v247
	v_add_f32_e32 v5, v5, v6
	v_mul_f32_e32 v6, v180, v246
	s_waitcnt vmcnt(0)
	v_fmac_f32_e32 v252, v182, v250
	v_fma_f32 v6, v179, v245, -v6
	v_add_f32_e32 v251, v251, v252
	s_waitcnt lgkmcnt(0)
	v_mul_f32_e32 v252, v3, v249
	v_add_f32_e32 v5, v5, v6
	v_mul_f32_e32 v6, v182, v247
	v_fmac_f32_e32 v252, v4, v248
	v_fma_f32 v6, v181, v250, -v6
	v_mul_f32_e32 v4, v4, v249
	v_add_f32_e32 v5, v5, v6
	v_fma_f32 v3, v3, v248, -v4
	v_add_f32_e32 v3, v5, v3
	v_add_f32_e32 v251, v251, v252
	v_sub_f32_e32 v3, v201, v3
	v_sub_f32_e32 v4, v202, v251
	buffer_store_dword v3, off, s[0:3], 0 offset:160
	buffer_store_dword v4, off, s[0:3], 0 offset:164
	s_and_saveexec_b64 s[4:5], vcc
	s_cbranch_execz .LBB119_311
; %bb.310:
	buffer_load_dword v3, off, s[0:3], 0 offset:152
	buffer_load_dword v4, off, s[0:3], 0 offset:156
	s_waitcnt vmcnt(0)
	ds_write_b64 v113, v[3:4]
	buffer_store_dword v114, off, s[0:3], 0 offset:152
	buffer_store_dword v114, off, s[0:3], 0 offset:156
.LBB119_311:
	s_or_b64 exec, exec, s[4:5]
	s_waitcnt lgkmcnt(0)
	; wave barrier
	buffer_load_dword v3, off, s[0:3], 0 offset:164
	buffer_load_dword v4, off, s[0:3], 0 offset:172
	;; [unrolled: 1-line block ×26, first 2 shown]
	ds_read_b128 v[115:118], v114 offset:608
	ds_read_b128 v[119:122], v114 offset:624
	ds_read_b128 v[123:126], v114 offset:640
	ds_read_b128 v[127:130], v114 offset:656
	ds_read_b128 v[131:134], v114 offset:672
	ds_read_b128 v[135:138], v114 offset:688
	buffer_load_dword v207, off, s[0:3], 0 offset:256
	buffer_load_dword v208, off, s[0:3], 0 offset:260
	;; [unrolled: 1-line block ×46, first 2 shown]
	v_cmp_lt_u32_e32 vcc, 18, v0
	s_waitcnt vmcnt(62) lgkmcnt(5)
	v_mul_f32_e32 v139, v115, v3
	v_mul_f32_e32 v140, v117, v4
	s_waitcnt lgkmcnt(4)
	v_mul_f32_e32 v141, v119, v5
	v_mul_f32_e32 v142, v121, v6
	s_waitcnt lgkmcnt(3)
	;; [unrolled: 3-line block ×4, first 2 shown]
	v_mul_f32_e32 v147, v131, v189
	v_fmac_f32_e32 v141, v120, v190
	s_waitcnt vmcnt(61)
	v_fmac_f32_e32 v140, v118, v191
	s_waitcnt vmcnt(60)
	v_fmac_f32_e32 v139, v116, v192
	v_add_f32_e32 v139, 0, v139
	v_add_f32_e32 v139, v139, v140
	;; [unrolled: 1-line block ×3, first 2 shown]
	s_waitcnt vmcnt(56)
	v_fmac_f32_e32 v142, v122, v196
	v_fmac_f32_e32 v143, v124, v195
	v_add_f32_e32 v139, v139, v142
	v_fmac_f32_e32 v144, v126, v194
	v_add_f32_e32 v139, v139, v143
	;; [unrolled: 2-line block ×3, first 2 shown]
	s_waitcnt vmcnt(52)
	v_fmac_f32_e32 v146, v130, v200
	v_add_f32_e32 v139, v139, v145
	v_fmac_f32_e32 v147, v132, v199
	v_add_f32_e32 v139, v139, v146
	s_waitcnt vmcnt(51)
	v_mul_f32_e32 v140, v133, v201
	v_add_f32_e32 v139, v139, v147
	v_fmac_f32_e32 v140, v134, v198
	v_add_f32_e32 v139, v139, v140
	s_waitcnt vmcnt(50) lgkmcnt(0)
	v_mul_f32_e32 v140, v135, v202
	v_fmac_f32_e32 v140, v136, v197
	s_waitcnt vmcnt(46)
	v_mul_f32_e32 v144, v137, v206
	v_add_f32_e32 v143, v139, v140
	v_fmac_f32_e32 v144, v138, v205
	ds_read_b128 v[139:142], v114 offset:704
	v_add_f32_e32 v147, v143, v144
	ds_read_b128 v[143:146], v114 offset:720
	buffer_load_dword v253, off, s[0:3], 0 offset:440
	buffer_load_dword v254, off, s[0:3], 0 offset:444
	v_mul_f32_e32 v3, v116, v3
	v_fma_f32 v3, v115, v192, -v3
	v_mul_f32_e32 v4, v118, v4
	v_add_f32_e32 v3, 0, v3
	v_fma_f32 v4, v117, v191, -v4
	v_add_f32_e32 v3, v3, v4
	v_mul_f32_e32 v4, v120, v5
	v_fma_f32 v4, v119, v190, -v4
	v_add_f32_e32 v3, v3, v4
	v_mul_f32_e32 v4, v122, v6
	;; [unrolled: 3-line block ×3, first 2 shown]
	s_waitcnt vmcnt(46) lgkmcnt(1)
	v_mul_f32_e32 v148, v139, v208
	v_fma_f32 v4, v123, v195, -v4
	v_fmac_f32_e32 v148, v140, v207
	v_add_f32_e32 v3, v3, v4
	v_mul_f32_e32 v4, v126, v8
	v_add_f32_e32 v147, v147, v148
	s_waitcnt vmcnt(44)
	v_mul_f32_e32 v148, v141, v210
	v_fma_f32 v4, v125, v194, -v4
	v_fmac_f32_e32 v148, v142, v209
	v_add_f32_e32 v3, v3, v4
	v_mul_f32_e32 v4, v128, v187
	v_add_f32_e32 v147, v147, v148
	s_waitcnt vmcnt(42) lgkmcnt(0)
	v_mul_f32_e32 v148, v143, v212
	v_fma_f32 v4, v127, v193, -v4
	v_fmac_f32_e32 v148, v144, v211
	v_add_f32_e32 v3, v3, v4
	v_mul_f32_e32 v4, v130, v188
	v_add_f32_e32 v151, v147, v148
	ds_read_b128 v[147:150], v114 offset:736
	v_fma_f32 v4, v129, v200, -v4
	v_add_f32_e32 v3, v3, v4
	v_mul_f32_e32 v4, v132, v189
	s_waitcnt vmcnt(40)
	v_mul_f32_e32 v152, v145, v214
	v_fma_f32 v4, v131, v199, -v4
	v_fmac_f32_e32 v152, v146, v213
	v_add_f32_e32 v3, v3, v4
	v_mul_f32_e32 v4, v134, v201
	v_add_f32_e32 v155, v151, v152
	ds_read_b128 v[151:154], v114 offset:752
	v_fma_f32 v4, v133, v198, -v4
	s_waitcnt vmcnt(38) lgkmcnt(1)
	v_mul_f32_e32 v156, v147, v216
	v_add_f32_e32 v3, v3, v4
	v_mul_f32_e32 v4, v136, v202
	v_fmac_f32_e32 v156, v148, v215
	v_fma_f32 v4, v135, v197, -v4
	v_add_f32_e32 v155, v155, v156
	s_waitcnt vmcnt(36)
	v_mul_f32_e32 v156, v149, v218
	v_add_f32_e32 v3, v3, v4
	v_mul_f32_e32 v4, v138, v206
	v_fmac_f32_e32 v156, v150, v217
	v_fma_f32 v4, v137, v205, -v4
	v_add_f32_e32 v155, v155, v156
	s_waitcnt vmcnt(34) lgkmcnt(0)
	v_mul_f32_e32 v156, v151, v220
	v_add_f32_e32 v3, v3, v4
	v_mul_f32_e32 v4, v140, v208
	v_fmac_f32_e32 v156, v152, v219
	v_fma_f32 v4, v139, v207, -v4
	v_add_f32_e32 v159, v155, v156
	ds_read_b128 v[155:158], v114 offset:768
	v_add_f32_e32 v3, v3, v4
	v_mul_f32_e32 v4, v142, v210
	v_fma_f32 v4, v141, v209, -v4
	s_waitcnt vmcnt(32)
	v_mul_f32_e32 v160, v153, v222
	v_add_f32_e32 v3, v3, v4
	v_mul_f32_e32 v4, v144, v212
	v_fmac_f32_e32 v160, v154, v221
	v_fma_f32 v4, v143, v211, -v4
	v_add_f32_e32 v163, v159, v160
	ds_read_b128 v[159:162], v114 offset:784
	v_add_f32_e32 v3, v3, v4
	v_mul_f32_e32 v4, v146, v214
	s_waitcnt vmcnt(30) lgkmcnt(1)
	v_mul_f32_e32 v164, v155, v224
	v_fma_f32 v4, v145, v213, -v4
	v_fmac_f32_e32 v164, v156, v223
	v_add_f32_e32 v3, v3, v4
	v_mul_f32_e32 v4, v148, v216
	v_add_f32_e32 v163, v163, v164
	s_waitcnt vmcnt(28)
	v_mul_f32_e32 v164, v157, v226
	v_fma_f32 v4, v147, v215, -v4
	v_fmac_f32_e32 v164, v158, v225
	v_add_f32_e32 v3, v3, v4
	v_mul_f32_e32 v4, v150, v218
	v_add_f32_e32 v163, v163, v164
	s_waitcnt vmcnt(26) lgkmcnt(0)
	v_mul_f32_e32 v164, v159, v228
	v_fma_f32 v4, v149, v217, -v4
	v_fmac_f32_e32 v164, v160, v227
	v_add_f32_e32 v3, v3, v4
	v_mul_f32_e32 v4, v152, v220
	v_add_f32_e32 v167, v163, v164
	ds_read_b128 v[163:166], v114 offset:800
	v_fma_f32 v4, v151, v219, -v4
	v_add_f32_e32 v3, v3, v4
	v_mul_f32_e32 v4, v154, v222
	s_waitcnt vmcnt(24)
	v_mul_f32_e32 v168, v161, v230
	v_fma_f32 v4, v153, v221, -v4
	v_fmac_f32_e32 v168, v162, v229
	v_add_f32_e32 v3, v3, v4
	v_mul_f32_e32 v4, v156, v224
	v_add_f32_e32 v171, v167, v168
	ds_read_b128 v[167:170], v114 offset:816
	v_fma_f32 v4, v155, v223, -v4
	s_waitcnt vmcnt(22) lgkmcnt(1)
	v_mul_f32_e32 v172, v163, v232
	v_add_f32_e32 v3, v3, v4
	v_mul_f32_e32 v4, v158, v226
	v_fmac_f32_e32 v172, v164, v231
	v_fma_f32 v4, v157, v225, -v4
	v_add_f32_e32 v171, v171, v172
	s_waitcnt vmcnt(20)
	v_mul_f32_e32 v172, v165, v234
	v_add_f32_e32 v3, v3, v4
	v_mul_f32_e32 v4, v160, v228
	v_fmac_f32_e32 v172, v166, v233
	v_fma_f32 v4, v159, v227, -v4
	v_add_f32_e32 v171, v171, v172
	s_waitcnt vmcnt(18) lgkmcnt(0)
	v_mul_f32_e32 v172, v167, v236
	v_add_f32_e32 v3, v3, v4
	v_mul_f32_e32 v4, v162, v230
	v_fmac_f32_e32 v172, v168, v235
	v_fma_f32 v4, v161, v229, -v4
	v_add_f32_e32 v175, v171, v172
	ds_read_b128 v[171:174], v114 offset:832
	v_add_f32_e32 v3, v3, v4
	v_mul_f32_e32 v4, v164, v232
	v_fma_f32 v4, v163, v231, -v4
	s_waitcnt vmcnt(16)
	v_mul_f32_e32 v176, v169, v238
	v_add_f32_e32 v3, v3, v4
	v_mul_f32_e32 v4, v166, v234
	v_fmac_f32_e32 v176, v170, v237
	v_fma_f32 v4, v165, v233, -v4
	v_add_f32_e32 v179, v175, v176
	ds_read_b128 v[175:178], v114 offset:848
	v_add_f32_e32 v3, v3, v4
	v_mul_f32_e32 v4, v168, v236
	s_waitcnt vmcnt(14) lgkmcnt(1)
	v_mul_f32_e32 v180, v171, v240
	v_fma_f32 v4, v167, v235, -v4
	v_fmac_f32_e32 v180, v172, v239
	v_add_f32_e32 v3, v3, v4
	v_mul_f32_e32 v4, v170, v238
	v_add_f32_e32 v179, v179, v180
	s_waitcnt vmcnt(13)
	v_mul_f32_e32 v180, v173, v241
	v_fma_f32 v4, v169, v237, -v4
	s_waitcnt vmcnt(10)
	v_fmac_f32_e32 v180, v174, v244
	v_add_f32_e32 v3, v3, v4
	v_mul_f32_e32 v4, v172, v240
	v_add_f32_e32 v179, v179, v180
	s_waitcnt lgkmcnt(0)
	v_mul_f32_e32 v180, v175, v243
	v_fma_f32 v4, v171, v239, -v4
	v_fmac_f32_e32 v180, v176, v242
	v_add_f32_e32 v3, v3, v4
	v_mul_f32_e32 v4, v174, v241
	v_add_f32_e32 v183, v179, v180
	ds_read_b128 v[179:182], v114 offset:864
	v_fma_f32 v4, v173, v244, -v4
	v_add_f32_e32 v3, v3, v4
	v_mul_f32_e32 v4, v176, v243
	s_waitcnt vmcnt(8)
	v_mul_f32_e32 v184, v177, v246
	v_fma_f32 v4, v175, v242, -v4
	v_fmac_f32_e32 v184, v178, v245
	v_add_f32_e32 v3, v3, v4
	v_mul_f32_e32 v4, v178, v246
	v_add_f32_e32 v255, v183, v184
	ds_read_b128 v[183:186], v114 offset:880
	v_fma_f32 v4, v177, v245, -v4
	v_add_f32_e32 v3, v3, v4
	s_waitcnt vmcnt(6) lgkmcnt(1)
	v_mul_f32_e32 v4, v180, v248
	v_mul_f32_e32 v114, v179, v248
	v_fma_f32 v4, v179, v247, -v4
	v_fmac_f32_e32 v114, v180, v247
	v_add_f32_e32 v3, v3, v4
	s_waitcnt vmcnt(5)
	v_mul_f32_e32 v4, v182, v249
	v_add_f32_e32 v114, v255, v114
	v_mul_f32_e32 v255, v181, v249
	s_waitcnt vmcnt(2)
	v_fma_f32 v4, v181, v252, -v4
	v_fmac_f32_e32 v255, v182, v252
	v_add_f32_e32 v3, v3, v4
	s_waitcnt lgkmcnt(0)
	v_mul_f32_e32 v4, v184, v251
	v_add_f32_e32 v114, v114, v255
	v_mul_f32_e32 v255, v183, v251
	v_fma_f32 v4, v183, v250, -v4
	v_fmac_f32_e32 v255, v184, v250
	v_add_f32_e32 v3, v3, v4
	s_waitcnt vmcnt(0)
	v_mul_f32_e32 v4, v186, v254
	v_add_f32_e32 v114, v114, v255
	v_mul_f32_e32 v255, v185, v254
	v_fma_f32 v4, v185, v253, -v4
	v_fmac_f32_e32 v255, v186, v253
	v_add_f32_e32 v3, v3, v4
	v_add_f32_e32 v114, v114, v255
	v_sub_f32_e32 v3, v203, v3
	v_sub_f32_e32 v4, v204, v114
	buffer_store_dword v3, off, s[0:3], 0 offset:152
	buffer_store_dword v4, off, s[0:3], 0 offset:156
	s_and_saveexec_b64 s[4:5], vcc
	s_cbranch_execz .LBB119_313
; %bb.312:
	buffer_load_dword v3, off, s[0:3], 0 offset:144
	buffer_load_dword v4, off, s[0:3], 0 offset:148
	v_mov_b32_e32 v5, 0
	buffer_store_dword v5, off, s[0:3], 0 offset:144
	buffer_store_dword v5, off, s[0:3], 0 offset:148
	s_waitcnt vmcnt(2)
	ds_write_b64 v113, v[3:4]
.LBB119_313:
	s_or_b64 exec, exec, s[4:5]
	s_waitcnt lgkmcnt(0)
	; wave barrier
	buffer_load_dword v5, off, s[0:3], 0 offset:156
	buffer_load_dword v6, off, s[0:3], 0 offset:164
	;; [unrolled: 1-line block ×50, first 2 shown]
	v_mov_b32_e32 v114, 0
	ds_read2_b64 v[115:118], v114 offset0:75 offset1:76
	ds_read2_b64 v[119:122], v114 offset0:77 offset1:78
	ds_read2_b64 v[123:126], v114 offset0:79 offset1:80
	ds_read2_b64 v[127:130], v114 offset0:81 offset1:82
	ds_read2_b64 v[131:134], v114 offset0:83 offset1:84
	ds_read2_b64 v[135:138], v114 offset0:85 offset1:86
	buffer_load_dword v233, off, s[0:3], 0 offset:344
	buffer_load_dword v234, off, s[0:3], 0 offset:348
	;; [unrolled: 1-line block ×16, first 2 shown]
	v_cmp_lt_u32_e32 vcc, 17, v0
	s_waitcnt vmcnt(62) lgkmcnt(5)
	v_mul_f32_e32 v3, v115, v5
	v_mul_f32_e32 v4, v117, v6
	s_waitcnt lgkmcnt(4)
	v_mul_f32_e32 v139, v119, v7
	v_mul_f32_e32 v140, v121, v8
	s_waitcnt vmcnt(61) lgkmcnt(3)
	v_mul_f32_e32 v141, v123, v187
	s_waitcnt vmcnt(60)
	v_mul_f32_e32 v142, v125, v188
	s_waitcnt vmcnt(59) lgkmcnt(2)
	v_mul_f32_e32 v143, v127, v189
	s_waitcnt vmcnt(58)
	;; [unrolled: 4-line block ×3, first 2 shown]
	v_fmac_f32_e32 v139, v120, v192
	s_waitcnt vmcnt(55)
	v_fmac_f32_e32 v4, v118, v193
	s_waitcnt vmcnt(54)
	v_fmac_f32_e32 v3, v116, v194
	v_add_f32_e32 v3, 0, v3
	v_add_f32_e32 v3, v3, v4
	;; [unrolled: 1-line block ×3, first 2 shown]
	s_waitcnt vmcnt(50)
	v_fmac_f32_e32 v140, v122, v198
	v_fmac_f32_e32 v141, v124, v197
	v_add_f32_e32 v3, v3, v140
	v_fmac_f32_e32 v142, v126, v196
	v_add_f32_e32 v3, v3, v141
	v_add_f32_e32 v3, v3, v142
	ds_read2_b64 v[139:142], v114 offset0:87 offset1:88
	buffer_load_dword v249, off, s[0:3], 0 offset:408
	buffer_load_dword v250, off, s[0:3], 0 offset:412
	;; [unrolled: 1-line block ×6, first 2 shown]
	v_fmac_f32_e32 v143, v128, v195
	s_waitcnt vmcnt(52)
	v_fmac_f32_e32 v144, v130, v202
	v_add_f32_e32 v3, v3, v143
	v_fmac_f32_e32 v145, v132, v201
	v_add_f32_e32 v3, v3, v144
	v_add_f32_e32 v3, v3, v145
	ds_read2_b64 v[143:146], v114 offset0:89 offset1:90
	buffer_load_dword v255, off, s[0:3], 0 offset:436
	buffer_load_dword v9, off, s[0:3], 0 offset:440
	;; [unrolled: 1-line block ×4, first 2 shown]
	v_mul_f32_e32 v5, v116, v5
	v_fma_f32 v5, v115, v194, -v5
	v_mul_f32_e32 v6, v118, v6
	v_add_f32_e32 v5, 0, v5
	v_fma_f32 v6, v117, v193, -v6
	v_add_f32_e32 v5, v5, v6
	v_mul_f32_e32 v6, v120, v7
	v_fma_f32 v6, v119, v192, -v6
	v_add_f32_e32 v5, v5, v6
	v_mul_f32_e32 v6, v122, v8
	;; [unrolled: 3-line block ×6, first 2 shown]
	s_waitcnt vmcnt(55)
	v_mul_f32_e32 v4, v133, v203
	v_fma_f32 v6, v129, v202, -v6
	v_fmac_f32_e32 v4, v134, v200
	v_add_f32_e32 v5, v5, v6
	v_mul_f32_e32 v6, v132, v191
	v_add_f32_e32 v3, v3, v4
	s_waitcnt vmcnt(54) lgkmcnt(2)
	v_mul_f32_e32 v4, v135, v204
	v_fma_f32 v6, v131, v201, -v6
	v_fmac_f32_e32 v4, v136, v199
	v_add_f32_e32 v5, v5, v6
	v_mul_f32_e32 v6, v134, v203
	v_add_f32_e32 v3, v3, v4
	s_waitcnt vmcnt(53)
	v_mul_f32_e32 v4, v137, v205
	v_fma_f32 v6, v133, v200, -v6
	s_waitcnt vmcnt(46)
	v_fmac_f32_e32 v4, v138, v212
	v_add_f32_e32 v5, v5, v6
	v_mul_f32_e32 v6, v136, v204
	v_add_f32_e32 v3, v3, v4
	s_waitcnt lgkmcnt(1)
	v_mul_f32_e32 v4, v139, v207
	v_fma_f32 v6, v135, v199, -v6
	v_fmac_f32_e32 v4, v140, v206
	v_add_f32_e32 v5, v5, v6
	v_mul_f32_e32 v6, v138, v205
	v_add_f32_e32 v3, v3, v4
	v_mul_f32_e32 v4, v141, v209
	v_fma_f32 v6, v137, v212, -v6
	v_fmac_f32_e32 v4, v142, v208
	ds_read2_b64 v[147:150], v114 offset0:91 offset1:92
	ds_read2_b64 v[151:154], v114 offset0:93 offset1:94
	v_add_f32_e32 v5, v5, v6
	v_mul_f32_e32 v6, v140, v207
	v_add_f32_e32 v3, v3, v4
	s_waitcnt lgkmcnt(2)
	v_mul_f32_e32 v4, v143, v211
	v_fma_f32 v6, v139, v206, -v6
	v_fmac_f32_e32 v4, v144, v210
	v_add_f32_e32 v5, v5, v6
	v_mul_f32_e32 v6, v142, v209
	v_add_f32_e32 v3, v3, v4
	s_waitcnt vmcnt(42)
	v_mul_f32_e32 v4, v145, v216
	v_fma_f32 v6, v141, v208, -v6
	v_fmac_f32_e32 v4, v146, v215
	v_add_f32_e32 v5, v5, v6
	v_mul_f32_e32 v6, v144, v211
	v_add_f32_e32 v3, v3, v4
	s_waitcnt vmcnt(40) lgkmcnt(1)
	v_mul_f32_e32 v4, v147, v218
	v_fma_f32 v6, v143, v210, -v6
	v_fmac_f32_e32 v4, v148, v217
	v_add_f32_e32 v5, v5, v6
	v_mul_f32_e32 v6, v146, v216
	v_add_f32_e32 v3, v3, v4
	s_waitcnt vmcnt(38)
	v_mul_f32_e32 v4, v149, v220
	v_fma_f32 v6, v145, v215, -v6
	v_fmac_f32_e32 v4, v150, v219
	ds_read2_b64 v[155:158], v114 offset0:95 offset1:96
	ds_read2_b64 v[159:162], v114 offset0:97 offset1:98
	v_add_f32_e32 v5, v5, v6
	v_mul_f32_e32 v6, v148, v218
	v_add_f32_e32 v3, v3, v4
	s_waitcnt vmcnt(36) lgkmcnt(2)
	v_mul_f32_e32 v4, v151, v222
	v_fma_f32 v6, v147, v217, -v6
	v_fmac_f32_e32 v4, v152, v221
	v_add_f32_e32 v5, v5, v6
	v_mul_f32_e32 v6, v150, v220
	v_add_f32_e32 v3, v3, v4
	s_waitcnt vmcnt(34)
	v_mul_f32_e32 v4, v153, v224
	v_fma_f32 v6, v149, v219, -v6
	v_fmac_f32_e32 v4, v154, v223
	v_add_f32_e32 v5, v5, v6
	v_mul_f32_e32 v6, v152, v222
	v_add_f32_e32 v3, v3, v4
	s_waitcnt vmcnt(32) lgkmcnt(1)
	v_mul_f32_e32 v4, v155, v226
	v_fma_f32 v6, v151, v221, -v6
	v_fmac_f32_e32 v4, v156, v225
	v_add_f32_e32 v5, v5, v6
	v_mul_f32_e32 v6, v154, v224
	v_add_f32_e32 v3, v3, v4
	s_waitcnt vmcnt(30)
	v_mul_f32_e32 v4, v157, v228
	v_fma_f32 v6, v153, v223, -v6
	v_fmac_f32_e32 v4, v158, v227
	ds_read2_b64 v[163:166], v114 offset0:99 offset1:100
	ds_read2_b64 v[167:170], v114 offset0:101 offset1:102
	v_add_f32_e32 v5, v5, v6
	v_mul_f32_e32 v6, v156, v226
	v_add_f32_e32 v3, v3, v4
	s_waitcnt vmcnt(28) lgkmcnt(2)
	v_mul_f32_e32 v4, v159, v230
	v_fma_f32 v6, v155, v225, -v6
	v_fmac_f32_e32 v4, v160, v229
	v_add_f32_e32 v5, v5, v6
	v_mul_f32_e32 v6, v158, v228
	v_add_f32_e32 v3, v3, v4
	s_waitcnt vmcnt(26)
	v_mul_f32_e32 v4, v161, v232
	v_fma_f32 v6, v157, v227, -v6
	v_fmac_f32_e32 v4, v162, v231
	v_add_f32_e32 v5, v5, v6
	v_mul_f32_e32 v6, v160, v230
	v_add_f32_e32 v3, v3, v4
	s_waitcnt vmcnt(24) lgkmcnt(1)
	v_mul_f32_e32 v4, v163, v234
	v_fma_f32 v6, v159, v229, -v6
	v_fmac_f32_e32 v4, v164, v233
	v_add_f32_e32 v5, v5, v6
	v_mul_f32_e32 v6, v162, v232
	v_add_f32_e32 v3, v3, v4
	s_waitcnt vmcnt(23)
	v_mul_f32_e32 v4, v165, v235
	v_fma_f32 v6, v161, v231, -v6
	s_waitcnt vmcnt(20)
	v_fmac_f32_e32 v4, v166, v238
	ds_read2_b64 v[171:174], v114 offset0:103 offset1:104
	ds_read2_b64 v[175:178], v114 offset0:105 offset1:106
	v_add_f32_e32 v5, v5, v6
	v_mul_f32_e32 v6, v164, v234
	v_add_f32_e32 v3, v3, v4
	s_waitcnt lgkmcnt(2)
	v_mul_f32_e32 v4, v167, v237
	v_fma_f32 v6, v163, v233, -v6
	v_fmac_f32_e32 v4, v168, v236
	v_add_f32_e32 v5, v5, v6
	v_mul_f32_e32 v6, v166, v235
	v_add_f32_e32 v3, v3, v4
	s_waitcnt vmcnt(18)
	v_mul_f32_e32 v4, v169, v240
	v_fma_f32 v6, v165, v238, -v6
	v_fmac_f32_e32 v4, v170, v239
	v_add_f32_e32 v5, v5, v6
	v_mul_f32_e32 v6, v168, v237
	v_add_f32_e32 v3, v3, v4
	s_waitcnt vmcnt(16) lgkmcnt(1)
	v_mul_f32_e32 v4, v171, v242
	v_fma_f32 v6, v167, v236, -v6
	v_fmac_f32_e32 v4, v172, v241
	v_add_f32_e32 v5, v5, v6
	v_mul_f32_e32 v6, v170, v240
	v_add_f32_e32 v3, v3, v4
	s_waitcnt vmcnt(15)
	v_mul_f32_e32 v4, v173, v243
	v_fma_f32 v6, v169, v239, -v6
	s_waitcnt vmcnt(12)
	v_fmac_f32_e32 v4, v174, v246
	ds_read2_b64 v[179:182], v114 offset0:107 offset1:108
	ds_read2_b64 v[183:186], v114 offset0:109 offset1:110
	v_add_f32_e32 v5, v5, v6
	v_mul_f32_e32 v6, v172, v242
	v_add_f32_e32 v3, v3, v4
	s_waitcnt lgkmcnt(2)
	v_mul_f32_e32 v4, v175, v245
	v_fma_f32 v6, v171, v241, -v6
	v_fmac_f32_e32 v4, v176, v244
	v_add_f32_e32 v5, v5, v6
	v_mul_f32_e32 v6, v174, v243
	v_add_f32_e32 v3, v3, v4
	s_waitcnt vmcnt(10)
	v_mul_f32_e32 v4, v177, v248
	v_fma_f32 v6, v173, v246, -v6
	v_fmac_f32_e32 v4, v178, v247
	v_add_f32_e32 v5, v5, v6
	v_mul_f32_e32 v6, v176, v245
	v_add_f32_e32 v3, v3, v4
	s_waitcnt vmcnt(8) lgkmcnt(1)
	v_mul_f32_e32 v4, v179, v250
	v_fma_f32 v6, v175, v244, -v6
	v_fmac_f32_e32 v4, v180, v249
	v_add_f32_e32 v5, v5, v6
	v_mul_f32_e32 v6, v178, v248
	v_add_f32_e32 v3, v3, v4
	s_waitcnt vmcnt(7)
	v_mul_f32_e32 v4, v181, v251
	v_fma_f32 v6, v177, v247, -v6
	s_waitcnt vmcnt(4)
	v_fmac_f32_e32 v4, v182, v254
	v_add_f32_e32 v5, v5, v6
	v_mul_f32_e32 v6, v180, v250
	v_add_f32_e32 v12, v3, v4
	ds_read_b64 v[3:4], v114 offset:888
	v_fma_f32 v6, v179, v249, -v6
	s_waitcnt lgkmcnt(1)
	v_mul_f32_e32 v13, v183, v253
	v_add_f32_e32 v5, v5, v6
	v_mul_f32_e32 v6, v182, v251
	v_fmac_f32_e32 v13, v184, v252
	v_fma_f32 v6, v181, v254, -v6
	v_add_f32_e32 v12, v12, v13
	s_waitcnt vmcnt(3)
	v_mul_f32_e32 v13, v185, v255
	v_add_f32_e32 v5, v5, v6
	v_mul_f32_e32 v6, v184, v253
	s_waitcnt vmcnt(0)
	v_fmac_f32_e32 v13, v186, v11
	v_fma_f32 v6, v183, v252, -v6
	v_add_f32_e32 v12, v12, v13
	s_waitcnt lgkmcnt(0)
	v_mul_f32_e32 v13, v3, v10
	v_add_f32_e32 v5, v5, v6
	v_mul_f32_e32 v6, v186, v255
	v_fmac_f32_e32 v13, v4, v9
	v_fma_f32 v6, v185, v11, -v6
	v_mul_f32_e32 v4, v4, v10
	v_add_f32_e32 v5, v5, v6
	v_fma_f32 v3, v3, v9, -v4
	v_add_f32_e32 v3, v5, v3
	v_add_f32_e32 v12, v12, v13
	v_sub_f32_e32 v3, v213, v3
	v_sub_f32_e32 v4, v214, v12
	buffer_store_dword v3, off, s[0:3], 0 offset:144
	buffer_store_dword v4, off, s[0:3], 0 offset:148
	s_and_saveexec_b64 s[4:5], vcc
	s_cbranch_execz .LBB119_315
; %bb.314:
	buffer_load_dword v3, off, s[0:3], 0 offset:136
	buffer_load_dword v4, off, s[0:3], 0 offset:140
	s_waitcnt vmcnt(0)
	ds_write_b64 v113, v[3:4]
	buffer_store_dword v114, off, s[0:3], 0 offset:136
	buffer_store_dword v114, off, s[0:3], 0 offset:140
.LBB119_315:
	s_or_b64 exec, exec, s[4:5]
	s_waitcnt lgkmcnt(0)
	; wave barrier
	buffer_load_dword v3, off, s[0:3], 0 offset:148
	buffer_load_dword v4, off, s[0:3], 0 offset:156
	;; [unrolled: 1-line block ×32, first 2 shown]
	ds_read_b128 v[115:118], v114 offset:592
	ds_read_b128 v[119:122], v114 offset:608
	;; [unrolled: 1-line block ×6, first 2 shown]
	buffer_load_dword v211, off, s[0:3], 0 offset:264
	buffer_load_dword v212, off, s[0:3], 0 offset:268
	;; [unrolled: 1-line block ×32, first 2 shown]
	v_cmp_lt_u32_e32 vcc, 16, v0
	s_waitcnt vmcnt(62) lgkmcnt(5)
	v_mul_f32_e32 v139, v115, v3
	v_mul_f32_e32 v140, v117, v4
	s_waitcnt vmcnt(61) lgkmcnt(4)
	v_mul_f32_e32 v141, v119, v5
	s_waitcnt vmcnt(60)
	v_mul_f32_e32 v142, v121, v6
	s_waitcnt vmcnt(59) lgkmcnt(3)
	v_mul_f32_e32 v143, v123, v7
	s_waitcnt vmcnt(58)
	;; [unrolled: 4-line block ×4, first 2 shown]
	v_mul_f32_e32 v148, v133, v12
	s_waitcnt vmcnt(53)
	v_fmac_f32_e32 v141, v120, v13
	s_waitcnt vmcnt(52)
	v_fmac_f32_e32 v140, v118, v14
	;; [unrolled: 2-line block ×3, first 2 shown]
	v_add_f32_e32 v139, 0, v139
	v_add_f32_e32 v139, v139, v140
	;; [unrolled: 1-line block ×3, first 2 shown]
	s_waitcnt vmcnt(47)
	v_fmac_f32_e32 v142, v122, v195
	v_fmac_f32_e32 v143, v124, v194
	v_add_f32_e32 v139, v139, v142
	v_fmac_f32_e32 v144, v126, v193
	v_add_f32_e32 v139, v139, v143
	;; [unrolled: 2-line block ×3, first 2 shown]
	s_waitcnt vmcnt(43)
	v_fmac_f32_e32 v146, v130, v199
	v_add_f32_e32 v139, v139, v145
	v_fmac_f32_e32 v147, v132, v198
	v_add_f32_e32 v139, v139, v146
	;; [unrolled: 2-line block ×3, first 2 shown]
	s_waitcnt vmcnt(42) lgkmcnt(0)
	v_mul_f32_e32 v140, v135, v200
	v_add_f32_e32 v139, v139, v148
	v_fmac_f32_e32 v140, v136, v196
	v_add_f32_e32 v143, v139, v140
	ds_read_b128 v[139:142], v114 offset:688
	buffer_load_dword v243, off, s[0:3], 0 offset:392
	buffer_load_dword v244, off, s[0:3], 0 offset:396
	s_waitcnt vmcnt(43)
	v_mul_f32_e32 v144, v137, v201
	s_waitcnt vmcnt(37)
	v_fmac_f32_e32 v144, v138, v207
	v_add_f32_e32 v147, v143, v144
	ds_read_b128 v[143:146], v114 offset:704
	buffer_load_dword v245, off, s[0:3], 0 offset:400
	buffer_load_dword v246, off, s[0:3], 0 offset:404
	buffer_load_dword v247, off, s[0:3], 0 offset:412
	buffer_load_dword v248, off, s[0:3], 0 offset:416
	buffer_load_dword v249, off, s[0:3], 0 offset:420
	buffer_load_dword v250, off, s[0:3], 0 offset:408
	buffer_load_dword v251, off, s[0:3], 0 offset:424
	buffer_load_dword v252, off, s[0:3], 0 offset:428
	buffer_load_dword v253, off, s[0:3], 0 offset:436
	buffer_load_dword v254, off, s[0:3], 0 offset:440
	buffer_load_dword v255, off, s[0:3], 0 offset:444
	buffer_load_dword v15, off, s[0:3], 0 offset:432
	v_mul_f32_e32 v3, v116, v3
	v_fma_f32 v3, v115, v191, -v3
	v_mul_f32_e32 v4, v118, v4
	v_add_f32_e32 v3, 0, v3
	v_fma_f32 v4, v117, v14, -v4
	v_add_f32_e32 v3, v3, v4
	v_mul_f32_e32 v4, v120, v5
	v_fma_f32 v4, v119, v13, -v4
	v_add_f32_e32 v3, v3, v4
	v_mul_f32_e32 v4, v122, v6
	v_fma_f32 v4, v121, v195, -v4
	s_waitcnt vmcnt(48) lgkmcnt(1)
	v_mul_f32_e32 v148, v139, v208
	v_add_f32_e32 v3, v3, v4
	v_mul_f32_e32 v4, v124, v7
	v_fmac_f32_e32 v148, v140, v206
	v_fma_f32 v4, v123, v194, -v4
	v_add_f32_e32 v147, v147, v148
	v_mul_f32_e32 v148, v141, v203
	v_add_f32_e32 v3, v3, v4
	v_mul_f32_e32 v4, v126, v8
	v_fmac_f32_e32 v148, v142, v202
	v_fma_f32 v4, v125, v193, -v4
	v_add_f32_e32 v16, v147, v148
	s_waitcnt lgkmcnt(0)
	v_mul_f32_e32 v147, v143, v205
	v_add_f32_e32 v3, v3, v4
	v_mul_f32_e32 v4, v128, v9
	v_fmac_f32_e32 v147, v144, v204
	v_fma_f32 v4, v127, v192, -v4
	v_add_f32_e32 v16, v16, v147
	ds_read_b128 v[147:150], v114 offset:720
	v_add_f32_e32 v3, v3, v4
	v_mul_f32_e32 v4, v130, v10
	v_fma_f32 v4, v129, v199, -v4
	s_waitcnt vmcnt(44)
	v_mul_f32_e32 v151, v145, v212
	v_add_f32_e32 v3, v3, v4
	v_mul_f32_e32 v4, v132, v11
	v_fmac_f32_e32 v151, v146, v211
	v_fma_f32 v4, v131, v198, -v4
	v_add_f32_e32 v16, v16, v151
	ds_read_b128 v[151:154], v114 offset:736
	v_add_f32_e32 v3, v3, v4
	v_mul_f32_e32 v4, v134, v12
	s_waitcnt vmcnt(42) lgkmcnt(1)
	v_mul_f32_e32 v155, v147, v214
	v_fma_f32 v4, v133, v197, -v4
	v_fmac_f32_e32 v155, v148, v213
	v_add_f32_e32 v3, v3, v4
	v_mul_f32_e32 v4, v136, v200
	v_add_f32_e32 v16, v16, v155
	s_waitcnt vmcnt(40)
	v_mul_f32_e32 v155, v149, v216
	v_fma_f32 v4, v135, v196, -v4
	v_fmac_f32_e32 v155, v150, v215
	v_add_f32_e32 v3, v3, v4
	v_mul_f32_e32 v4, v138, v201
	v_add_f32_e32 v16, v16, v155
	s_waitcnt vmcnt(38) lgkmcnt(0)
	v_mul_f32_e32 v155, v151, v218
	v_fma_f32 v4, v137, v207, -v4
	v_fmac_f32_e32 v155, v152, v217
	v_add_f32_e32 v3, v3, v4
	v_mul_f32_e32 v4, v140, v208
	v_add_f32_e32 v16, v16, v155
	ds_read_b128 v[155:158], v114 offset:752
	v_fma_f32 v4, v139, v206, -v4
	v_add_f32_e32 v3, v3, v4
	v_mul_f32_e32 v4, v142, v203
	s_waitcnt vmcnt(36)
	v_mul_f32_e32 v159, v153, v220
	v_fma_f32 v4, v141, v202, -v4
	v_fmac_f32_e32 v159, v154, v219
	v_add_f32_e32 v3, v3, v4
	v_mul_f32_e32 v4, v144, v205
	v_add_f32_e32 v16, v16, v159
	ds_read_b128 v[159:162], v114 offset:768
	v_fma_f32 v4, v143, v204, -v4
	s_waitcnt vmcnt(34) lgkmcnt(1)
	v_mul_f32_e32 v163, v155, v222
	v_add_f32_e32 v3, v3, v4
	v_mul_f32_e32 v4, v146, v212
	v_fmac_f32_e32 v163, v156, v221
	v_fma_f32 v4, v145, v211, -v4
	v_add_f32_e32 v16, v16, v163
	s_waitcnt vmcnt(32)
	v_mul_f32_e32 v163, v157, v224
	v_add_f32_e32 v3, v3, v4
	v_mul_f32_e32 v4, v148, v214
	v_fmac_f32_e32 v163, v158, v223
	v_fma_f32 v4, v147, v213, -v4
	v_add_f32_e32 v16, v16, v163
	s_waitcnt vmcnt(30) lgkmcnt(0)
	v_mul_f32_e32 v163, v159, v226
	v_add_f32_e32 v3, v3, v4
	v_mul_f32_e32 v4, v150, v216
	v_fmac_f32_e32 v163, v160, v225
	v_fma_f32 v4, v149, v215, -v4
	v_add_f32_e32 v16, v16, v163
	ds_read_b128 v[163:166], v114 offset:784
	v_add_f32_e32 v3, v3, v4
	v_mul_f32_e32 v4, v152, v218
	v_fma_f32 v4, v151, v217, -v4
	s_waitcnt vmcnt(28)
	v_mul_f32_e32 v167, v161, v228
	v_add_f32_e32 v3, v3, v4
	v_mul_f32_e32 v4, v154, v220
	v_fmac_f32_e32 v167, v162, v227
	v_fma_f32 v4, v153, v219, -v4
	v_add_f32_e32 v16, v16, v167
	ds_read_b128 v[167:170], v114 offset:800
	v_add_f32_e32 v3, v3, v4
	v_mul_f32_e32 v4, v156, v222
	s_waitcnt vmcnt(26) lgkmcnt(1)
	v_mul_f32_e32 v171, v163, v230
	v_fma_f32 v4, v155, v221, -v4
	v_fmac_f32_e32 v171, v164, v229
	v_add_f32_e32 v3, v3, v4
	v_mul_f32_e32 v4, v158, v224
	v_add_f32_e32 v16, v16, v171
	s_waitcnt vmcnt(25)
	v_mul_f32_e32 v171, v165, v231
	v_fma_f32 v4, v157, v223, -v4
	s_waitcnt vmcnt(22)
	v_fmac_f32_e32 v171, v166, v234
	v_add_f32_e32 v3, v3, v4
	v_mul_f32_e32 v4, v160, v226
	v_add_f32_e32 v16, v16, v171
	s_waitcnt lgkmcnt(0)
	v_mul_f32_e32 v171, v167, v233
	v_fma_f32 v4, v159, v225, -v4
	v_fmac_f32_e32 v171, v168, v232
	v_add_f32_e32 v3, v3, v4
	v_mul_f32_e32 v4, v162, v228
	v_add_f32_e32 v16, v16, v171
	ds_read_b128 v[171:174], v114 offset:816
	v_fma_f32 v4, v161, v227, -v4
	v_add_f32_e32 v3, v3, v4
	v_mul_f32_e32 v4, v164, v230
	s_waitcnt vmcnt(20)
	v_mul_f32_e32 v175, v169, v236
	v_fma_f32 v4, v163, v229, -v4
	v_fmac_f32_e32 v175, v170, v235
	v_add_f32_e32 v3, v3, v4
	v_mul_f32_e32 v4, v166, v231
	v_add_f32_e32 v16, v16, v175
	ds_read_b128 v[175:178], v114 offset:832
	v_fma_f32 v4, v165, v234, -v4
	s_waitcnt vmcnt(18) lgkmcnt(1)
	v_mul_f32_e32 v179, v171, v238
	v_add_f32_e32 v3, v3, v4
	v_mul_f32_e32 v4, v168, v233
	v_fmac_f32_e32 v179, v172, v237
	v_fma_f32 v4, v167, v232, -v4
	v_add_f32_e32 v16, v16, v179
	s_waitcnt vmcnt(17)
	v_mul_f32_e32 v179, v173, v239
	v_add_f32_e32 v3, v3, v4
	v_mul_f32_e32 v4, v170, v236
	s_waitcnt vmcnt(14)
	v_fmac_f32_e32 v179, v174, v242
	v_fma_f32 v4, v169, v235, -v4
	v_add_f32_e32 v16, v16, v179
	s_waitcnt lgkmcnt(0)
	v_mul_f32_e32 v179, v175, v241
	v_add_f32_e32 v3, v3, v4
	v_mul_f32_e32 v4, v172, v238
	v_fmac_f32_e32 v179, v176, v240
	v_fma_f32 v4, v171, v237, -v4
	v_add_f32_e32 v16, v16, v179
	ds_read_b128 v[179:182], v114 offset:848
	v_add_f32_e32 v3, v3, v4
	v_mul_f32_e32 v4, v174, v239
	v_fma_f32 v4, v173, v242, -v4
	v_add_f32_e32 v3, v3, v4
	v_mul_f32_e32 v4, v176, v241
	s_waitcnt vmcnt(12)
	v_mul_f32_e32 v183, v177, v244
	v_fma_f32 v4, v175, v240, -v4
	v_fmac_f32_e32 v183, v178, v243
	v_add_f32_e32 v3, v3, v4
	v_mul_f32_e32 v4, v178, v244
	v_add_f32_e32 v16, v16, v183
	ds_read_b128 v[183:186], v114 offset:864
	s_waitcnt vmcnt(10) lgkmcnt(1)
	v_mul_f32_e32 v187, v179, v246
	v_fma_f32 v4, v177, v243, -v4
	v_fmac_f32_e32 v187, v180, v245
	v_add_f32_e32 v3, v3, v4
	v_mul_f32_e32 v4, v180, v246
	v_add_f32_e32 v16, v16, v187
	s_waitcnt vmcnt(9)
	v_mul_f32_e32 v187, v181, v247
	v_fma_f32 v4, v179, v245, -v4
	s_waitcnt vmcnt(6)
	v_fmac_f32_e32 v187, v182, v250
	v_add_f32_e32 v3, v3, v4
	v_mul_f32_e32 v4, v182, v247
	v_add_f32_e32 v16, v16, v187
	ds_read_b128 v[187:190], v114 offset:880
	v_fma_f32 v4, v181, v250, -v4
	v_add_f32_e32 v3, v3, v4
	s_waitcnt lgkmcnt(1)
	v_mul_f32_e32 v4, v184, v249
	v_mul_f32_e32 v17, v183, v249
	v_fma_f32 v4, v183, v248, -v4
	v_fmac_f32_e32 v17, v184, v248
	v_add_f32_e32 v3, v3, v4
	s_waitcnt vmcnt(4)
	v_mul_f32_e32 v4, v186, v252
	v_add_f32_e32 v16, v16, v17
	v_mul_f32_e32 v17, v185, v252
	v_fma_f32 v4, v185, v251, -v4
	v_fmac_f32_e32 v17, v186, v251
	v_add_f32_e32 v3, v3, v4
	s_waitcnt vmcnt(3) lgkmcnt(0)
	v_mul_f32_e32 v4, v188, v253
	v_add_f32_e32 v16, v16, v17
	v_mul_f32_e32 v17, v187, v253
	s_waitcnt vmcnt(0)
	v_fma_f32 v4, v187, v15, -v4
	v_fmac_f32_e32 v17, v188, v15
	v_add_f32_e32 v3, v3, v4
	v_mul_f32_e32 v4, v190, v255
	v_add_f32_e32 v16, v16, v17
	v_mul_f32_e32 v17, v189, v255
	v_fma_f32 v4, v189, v254, -v4
	v_fmac_f32_e32 v17, v190, v254
	v_add_f32_e32 v3, v3, v4
	v_add_f32_e32 v16, v16, v17
	v_sub_f32_e32 v3, v209, v3
	v_sub_f32_e32 v4, v210, v16
	buffer_store_dword v3, off, s[0:3], 0 offset:136
	buffer_store_dword v4, off, s[0:3], 0 offset:140
	s_and_saveexec_b64 s[4:5], vcc
	s_cbranch_execz .LBB119_317
; %bb.316:
	buffer_load_dword v3, off, s[0:3], 0 offset:128
	buffer_load_dword v4, off, s[0:3], 0 offset:132
	v_mov_b32_e32 v5, 0
	buffer_store_dword v5, off, s[0:3], 0 offset:128
	buffer_store_dword v5, off, s[0:3], 0 offset:132
	s_waitcnt vmcnt(2)
	ds_write_b64 v113, v[3:4]
.LBB119_317:
	s_or_b64 exec, exec, s[4:5]
	s_waitcnt lgkmcnt(0)
	; wave barrier
	buffer_load_dword v5, off, s[0:3], 0 offset:140
	buffer_load_dword v6, off, s[0:3], 0 offset:148
	;; [unrolled: 1-line block ×50, first 2 shown]
	v_mov_b32_e32 v114, 0
	ds_read2_b64 v[115:118], v114 offset0:73 offset1:74
	ds_read2_b64 v[119:122], v114 offset0:75 offset1:76
	;; [unrolled: 1-line block ×6, first 2 shown]
	buffer_load_dword v227, off, s[0:3], 0 offset:328
	buffer_load_dword v228, off, s[0:3], 0 offset:332
	;; [unrolled: 1-line block ×8, first 2 shown]
	v_cmp_lt_u32_e32 vcc, 15, v0
	s_waitcnt vmcnt(57) lgkmcnt(5)
	v_mul_f32_e32 v3, v115, v5
	s_waitcnt vmcnt(56)
	v_mul_f32_e32 v4, v117, v6
	s_waitcnt vmcnt(55) lgkmcnt(4)
	v_mul_f32_e32 v139, v119, v7
	s_waitcnt vmcnt(54)
	v_mul_f32_e32 v140, v121, v8
	;; [unrolled: 4-line block ×5, first 2 shown]
	v_mul_f32_e32 v5, v116, v5
	s_waitcnt vmcnt(46)
	v_fmac_f32_e32 v139, v120, v16
	s_waitcnt vmcnt(45)
	v_fmac_f32_e32 v4, v118, v17
	;; [unrolled: 2-line block ×3, first 2 shown]
	v_add_f32_e32 v3, 0, v3
	v_add_f32_e32 v3, v3, v4
	;; [unrolled: 1-line block ×3, first 2 shown]
	s_waitcnt vmcnt(40)
	v_fmac_f32_e32 v140, v122, v194
	v_fmac_f32_e32 v141, v124, v193
	v_add_f32_e32 v3, v3, v140
	v_fmac_f32_e32 v142, v126, v192
	v_add_f32_e32 v3, v3, v141
	;; [unrolled: 2-line block ×3, first 2 shown]
	s_waitcnt vmcnt(36)
	v_fmac_f32_e32 v144, v130, v198
	v_add_f32_e32 v3, v3, v143
	ds_read2_b64 v[139:142], v114 offset0:85 offset1:86
	buffer_load_dword v235, off, s[0:3], 0 offset:360
	buffer_load_dword v236, off, s[0:3], 0 offset:364
	;; [unrolled: 1-line block ×6, first 2 shown]
	v_fmac_f32_e32 v145, v132, v197
	v_add_f32_e32 v3, v3, v144
	v_fmac_f32_e32 v146, v134, v196
	v_add_f32_e32 v3, v3, v145
	v_add_f32_e32 v3, v3, v146
	ds_read2_b64 v[143:146], v114 offset0:87 offset1:88
	buffer_load_dword v241, off, s[0:3], 0 offset:384
	buffer_load_dword v242, off, s[0:3], 0 offset:388
	;; [unrolled: 1-line block ×16, first 2 shown]
	v_fma_f32 v5, v115, v18, -v5
	v_mul_f32_e32 v6, v118, v6
	v_add_f32_e32 v5, 0, v5
	v_fma_f32 v6, v117, v17, -v6
	v_add_f32_e32 v5, v5, v6
	v_mul_f32_e32 v6, v120, v7
	v_fma_f32 v6, v119, v16, -v6
	v_add_f32_e32 v5, v5, v6
	v_mul_f32_e32 v6, v122, v8
	;; [unrolled: 3-line block ×7, first 2 shown]
	v_fma_f32 v6, v131, v197, -v6
	s_waitcnt lgkmcnt(2)
	v_mul_f32_e32 v147, v135, v15
	v_add_f32_e32 v5, v5, v6
	v_mul_f32_e32 v6, v134, v14
	v_fmac_f32_e32 v147, v136, v195
	s_waitcnt vmcnt(57)
	v_mul_f32_e32 v4, v137, v199
	v_fma_f32 v6, v133, v196, -v6
	v_add_f32_e32 v3, v3, v147
	s_waitcnt vmcnt(50)
	v_fmac_f32_e32 v4, v138, v206
	v_add_f32_e32 v5, v5, v6
	v_mul_f32_e32 v6, v136, v15
	v_add_f32_e32 v3, v3, v4
	s_waitcnt lgkmcnt(1)
	v_mul_f32_e32 v4, v139, v201
	v_fma_f32 v6, v135, v195, -v6
	v_fmac_f32_e32 v4, v140, v200
	v_add_f32_e32 v5, v5, v6
	v_mul_f32_e32 v6, v138, v199
	v_add_f32_e32 v3, v3, v4
	v_mul_f32_e32 v4, v141, v203
	v_fma_f32 v6, v137, v206, -v6
	v_fmac_f32_e32 v4, v142, v202
	ds_read2_b64 v[147:150], v114 offset0:89 offset1:90
	ds_read2_b64 v[151:154], v114 offset0:91 offset1:92
	v_add_f32_e32 v5, v5, v6
	v_mul_f32_e32 v6, v140, v201
	v_add_f32_e32 v3, v3, v4
	s_waitcnt lgkmcnt(2)
	v_mul_f32_e32 v4, v143, v205
	v_fma_f32 v6, v139, v200, -v6
	v_fmac_f32_e32 v4, v144, v204
	v_add_f32_e32 v5, v5, v6
	v_mul_f32_e32 v6, v142, v203
	v_add_f32_e32 v3, v3, v4
	s_waitcnt vmcnt(46)
	v_mul_f32_e32 v4, v145, v210
	v_fma_f32 v6, v141, v202, -v6
	v_fmac_f32_e32 v4, v146, v209
	v_add_f32_e32 v5, v5, v6
	v_mul_f32_e32 v6, v144, v205
	v_add_f32_e32 v3, v3, v4
	s_waitcnt vmcnt(44) lgkmcnt(1)
	v_mul_f32_e32 v4, v147, v212
	v_fma_f32 v6, v143, v204, -v6
	v_fmac_f32_e32 v4, v148, v211
	v_add_f32_e32 v5, v5, v6
	v_mul_f32_e32 v6, v146, v210
	v_add_f32_e32 v3, v3, v4
	s_waitcnt vmcnt(42)
	v_mul_f32_e32 v4, v149, v214
	v_fma_f32 v6, v145, v209, -v6
	v_fmac_f32_e32 v4, v150, v213
	ds_read2_b64 v[155:158], v114 offset0:93 offset1:94
	ds_read2_b64 v[159:162], v114 offset0:95 offset1:96
	v_add_f32_e32 v5, v5, v6
	v_mul_f32_e32 v6, v148, v212
	v_add_f32_e32 v3, v3, v4
	s_waitcnt vmcnt(40) lgkmcnt(2)
	v_mul_f32_e32 v4, v151, v216
	v_fma_f32 v6, v147, v211, -v6
	v_fmac_f32_e32 v4, v152, v215
	v_add_f32_e32 v5, v5, v6
	v_mul_f32_e32 v6, v150, v214
	v_add_f32_e32 v3, v3, v4
	s_waitcnt vmcnt(38)
	v_mul_f32_e32 v4, v153, v218
	v_fma_f32 v6, v149, v213, -v6
	v_fmac_f32_e32 v4, v154, v217
	v_add_f32_e32 v5, v5, v6
	v_mul_f32_e32 v6, v152, v216
	v_add_f32_e32 v3, v3, v4
	s_waitcnt vmcnt(36) lgkmcnt(1)
	v_mul_f32_e32 v4, v155, v220
	v_fma_f32 v6, v151, v215, -v6
	v_fmac_f32_e32 v4, v156, v219
	v_add_f32_e32 v5, v5, v6
	v_mul_f32_e32 v6, v154, v218
	v_add_f32_e32 v3, v3, v4
	s_waitcnt vmcnt(34)
	v_mul_f32_e32 v4, v157, v222
	v_fma_f32 v6, v153, v217, -v6
	v_fmac_f32_e32 v4, v158, v221
	ds_read2_b64 v[163:166], v114 offset0:97 offset1:98
	ds_read2_b64 v[167:170], v114 offset0:99 offset1:100
	v_add_f32_e32 v5, v5, v6
	v_mul_f32_e32 v6, v156, v220
	v_add_f32_e32 v3, v3, v4
	s_waitcnt vmcnt(32) lgkmcnt(2)
	v_mul_f32_e32 v4, v159, v224
	v_fma_f32 v6, v155, v219, -v6
	v_fmac_f32_e32 v4, v160, v223
	v_add_f32_e32 v5, v5, v6
	v_mul_f32_e32 v6, v158, v222
	v_add_f32_e32 v3, v3, v4
	s_waitcnt vmcnt(30)
	v_mul_f32_e32 v4, v161, v226
	v_fma_f32 v6, v157, v221, -v6
	v_fmac_f32_e32 v4, v162, v225
	v_add_f32_e32 v5, v5, v6
	v_mul_f32_e32 v6, v160, v224
	v_add_f32_e32 v3, v3, v4
	s_waitcnt vmcnt(28) lgkmcnt(1)
	v_mul_f32_e32 v4, v163, v228
	v_fma_f32 v6, v159, v223, -v6
	v_fmac_f32_e32 v4, v164, v227
	v_add_f32_e32 v5, v5, v6
	v_mul_f32_e32 v6, v162, v226
	v_add_f32_e32 v3, v3, v4
	s_waitcnt vmcnt(27)
	v_mul_f32_e32 v4, v165, v229
	v_fma_f32 v6, v161, v225, -v6
	s_waitcnt vmcnt(24)
	v_fmac_f32_e32 v4, v166, v232
	ds_read2_b64 v[171:174], v114 offset0:101 offset1:102
	ds_read2_b64 v[175:178], v114 offset0:103 offset1:104
	v_add_f32_e32 v5, v5, v6
	v_mul_f32_e32 v6, v164, v228
	v_add_f32_e32 v3, v3, v4
	s_waitcnt lgkmcnt(2)
	v_mul_f32_e32 v4, v167, v231
	v_fma_f32 v6, v163, v227, -v6
	v_fmac_f32_e32 v4, v168, v230
	v_add_f32_e32 v5, v5, v6
	v_mul_f32_e32 v6, v166, v229
	v_add_f32_e32 v3, v3, v4
	s_waitcnt vmcnt(22)
	v_mul_f32_e32 v4, v169, v234
	v_fma_f32 v6, v165, v232, -v6
	v_fmac_f32_e32 v4, v170, v233
	v_add_f32_e32 v5, v5, v6
	v_mul_f32_e32 v6, v168, v231
	v_add_f32_e32 v3, v3, v4
	s_waitcnt vmcnt(20) lgkmcnt(1)
	v_mul_f32_e32 v4, v171, v236
	v_fma_f32 v6, v167, v230, -v6
	v_fmac_f32_e32 v4, v172, v235
	v_add_f32_e32 v5, v5, v6
	v_mul_f32_e32 v6, v170, v234
	v_add_f32_e32 v3, v3, v4
	s_waitcnt vmcnt(19)
	v_mul_f32_e32 v4, v173, v237
	v_fma_f32 v6, v169, v233, -v6
	s_waitcnt vmcnt(16)
	v_fmac_f32_e32 v4, v174, v240
	ds_read2_b64 v[179:182], v114 offset0:105 offset1:106
	ds_read2_b64 v[183:186], v114 offset0:107 offset1:108
	v_add_f32_e32 v5, v5, v6
	v_mul_f32_e32 v6, v172, v236
	v_add_f32_e32 v3, v3, v4
	s_waitcnt lgkmcnt(2)
	v_mul_f32_e32 v4, v175, v239
	v_fma_f32 v6, v171, v235, -v6
	v_fmac_f32_e32 v4, v176, v238
	v_add_f32_e32 v5, v5, v6
	v_mul_f32_e32 v6, v174, v237
	v_add_f32_e32 v3, v3, v4
	s_waitcnt vmcnt(14)
	v_mul_f32_e32 v4, v177, v242
	v_fma_f32 v6, v173, v240, -v6
	v_fmac_f32_e32 v4, v178, v241
	v_add_f32_e32 v5, v5, v6
	v_mul_f32_e32 v6, v176, v239
	v_add_f32_e32 v3, v3, v4
	s_waitcnt vmcnt(12) lgkmcnt(1)
	v_mul_f32_e32 v4, v179, v244
	v_fma_f32 v6, v175, v238, -v6
	v_fmac_f32_e32 v4, v180, v243
	v_add_f32_e32 v5, v5, v6
	v_mul_f32_e32 v6, v178, v242
	v_add_f32_e32 v3, v3, v4
	s_waitcnt vmcnt(11)
	v_mul_f32_e32 v4, v181, v245
	v_fma_f32 v6, v177, v241, -v6
	s_waitcnt vmcnt(8)
	v_fmac_f32_e32 v4, v182, v248
	v_add_f32_e32 v5, v5, v6
	v_mul_f32_e32 v6, v180, v244
	v_add_f32_e32 v3, v3, v4
	s_waitcnt lgkmcnt(0)
	v_mul_f32_e32 v4, v183, v247
	ds_read2_b64 v[187:190], v114 offset0:109 offset1:110
	v_fma_f32 v6, v179, v243, -v6
	v_fmac_f32_e32 v4, v184, v246
	v_add_f32_e32 v5, v5, v6
	v_mul_f32_e32 v6, v182, v245
	v_add_f32_e32 v3, v3, v4
	s_waitcnt vmcnt(6)
	v_mul_f32_e32 v4, v185, v250
	v_fma_f32 v6, v181, v248, -v6
	v_fmac_f32_e32 v4, v186, v249
	v_add_f32_e32 v5, v5, v6
	v_mul_f32_e32 v6, v184, v247
	v_add_f32_e32 v20, v3, v4
	ds_read_b64 v[3:4], v114 offset:888
	v_fma_f32 v6, v183, v246, -v6
	s_waitcnt vmcnt(4) lgkmcnt(1)
	v_mul_f32_e32 v21, v187, v252
	v_add_f32_e32 v5, v5, v6
	v_mul_f32_e32 v6, v186, v250
	v_fmac_f32_e32 v21, v188, v251
	v_fma_f32 v6, v185, v249, -v6
	v_add_f32_e32 v20, v20, v21
	s_waitcnt vmcnt(3)
	v_mul_f32_e32 v21, v189, v253
	v_add_f32_e32 v5, v5, v6
	v_mul_f32_e32 v6, v188, v252
	s_waitcnt vmcnt(0)
	v_fmac_f32_e32 v21, v190, v19
	v_fma_f32 v6, v187, v251, -v6
	v_add_f32_e32 v20, v20, v21
	s_waitcnt lgkmcnt(0)
	v_mul_f32_e32 v21, v3, v255
	v_add_f32_e32 v5, v5, v6
	v_mul_f32_e32 v6, v190, v253
	v_fmac_f32_e32 v21, v4, v254
	v_fma_f32 v6, v189, v19, -v6
	v_mul_f32_e32 v4, v4, v255
	v_add_f32_e32 v5, v5, v6
	v_fma_f32 v3, v3, v254, -v4
	v_add_f32_e32 v3, v5, v3
	v_add_f32_e32 v20, v20, v21
	v_sub_f32_e32 v3, v207, v3
	v_sub_f32_e32 v4, v208, v20
	buffer_store_dword v3, off, s[0:3], 0 offset:128
	buffer_store_dword v4, off, s[0:3], 0 offset:132
	s_and_saveexec_b64 s[4:5], vcc
	s_cbranch_execz .LBB119_319
; %bb.318:
	buffer_load_dword v3, off, s[0:3], 0 offset:120
	buffer_load_dword v4, off, s[0:3], 0 offset:124
	s_waitcnt vmcnt(0)
	ds_write_b64 v113, v[3:4]
	buffer_store_dword v114, off, s[0:3], 0 offset:120
	buffer_store_dword v114, off, s[0:3], 0 offset:124
.LBB119_319:
	s_or_b64 exec, exec, s[4:5]
	s_waitcnt lgkmcnt(0)
	; wave barrier
	buffer_load_dword v3, off, s[0:3], 0 offset:132
	buffer_load_dword v4, off, s[0:3], 0 offset:140
	;; [unrolled: 1-line block ×32, first 2 shown]
	ds_read_b128 v[115:118], v114 offset:576
	ds_read_b128 v[119:122], v114 offset:592
	;; [unrolled: 1-line block ×6, first 2 shown]
	buffer_load_dword v207, off, s[0:3], 0 offset:248
	buffer_load_dword v208, off, s[0:3], 0 offset:252
	;; [unrolled: 1-line block ×26, first 2 shown]
	v_cmp_lt_u32_e32 vcc, 14, v0
	s_waitcnt vmcnt(57) lgkmcnt(5)
	v_mul_f32_e32 v139, v115, v3
	s_waitcnt vmcnt(56)
	v_mul_f32_e32 v140, v117, v4
	s_waitcnt vmcnt(55) lgkmcnt(4)
	v_mul_f32_e32 v141, v119, v5
	s_waitcnt vmcnt(54)
	v_mul_f32_e32 v142, v121, v6
	;; [unrolled: 4-line block ×5, first 2 shown]
	s_waitcnt vmcnt(47) lgkmcnt(0)
	v_mul_f32_e32 v149, v135, v13
	s_waitcnt vmcnt(46)
	v_fmac_f32_e32 v141, v120, v14
	s_waitcnt vmcnt(45)
	v_fmac_f32_e32 v140, v118, v15
	;; [unrolled: 2-line block ×3, first 2 shown]
	v_add_f32_e32 v139, 0, v139
	v_add_f32_e32 v139, v139, v140
	;; [unrolled: 1-line block ×3, first 2 shown]
	s_waitcnt vmcnt(40)
	v_fmac_f32_e32 v142, v122, v20
	v_fmac_f32_e32 v143, v124, v19
	v_add_f32_e32 v139, v139, v142
	v_fmac_f32_e32 v144, v126, v18
	v_add_f32_e32 v139, v139, v143
	;; [unrolled: 2-line block ×3, first 2 shown]
	s_waitcnt vmcnt(36)
	v_fmac_f32_e32 v146, v130, v196
	v_add_f32_e32 v139, v139, v145
	v_fmac_f32_e32 v147, v132, v195
	v_add_f32_e32 v139, v139, v146
	;; [unrolled: 2-line block ×4, first 2 shown]
	v_add_f32_e32 v143, v139, v149
	ds_read_b128 v[139:142], v114 offset:672
	buffer_load_dword v233, off, s[0:3], 0 offset:352
	buffer_load_dword v234, off, s[0:3], 0 offset:356
	;; [unrolled: 1-line block ×6, first 2 shown]
	s_waitcnt vmcnt(41)
	v_mul_f32_e32 v144, v137, v197
	s_waitcnt vmcnt(35)
	v_fmac_f32_e32 v144, v138, v203
	v_add_f32_e32 v147, v143, v144
	ds_read_b128 v[143:146], v114 offset:688
	buffer_load_dword v239, off, s[0:3], 0 offset:376
	buffer_load_dword v240, off, s[0:3], 0 offset:380
	buffer_load_dword v241, off, s[0:3], 0 offset:384
	buffer_load_dword v242, off, s[0:3], 0 offset:388
	buffer_load_dword v243, off, s[0:3], 0 offset:396
	buffer_load_dword v244, off, s[0:3], 0 offset:400
	buffer_load_dword v245, off, s[0:3], 0 offset:404
	buffer_load_dword v246, off, s[0:3], 0 offset:392
	buffer_load_dword v247, off, s[0:3], 0 offset:408
	buffer_load_dword v248, off, s[0:3], 0 offset:412
	s_waitcnt vmcnt(44) lgkmcnt(1)
	v_mul_f32_e32 v148, v139, v204
	v_fmac_f32_e32 v148, v140, v202
	v_add_f32_e32 v147, v147, v148
	v_mul_f32_e32 v148, v141, v199
	v_fmac_f32_e32 v148, v142, v198
	v_add_f32_e32 v147, v147, v148
	s_waitcnt lgkmcnt(0)
	v_mul_f32_e32 v148, v143, v201
	buffer_load_dword v249, off, s[0:3], 0 offset:416
	buffer_load_dword v250, off, s[0:3], 0 offset:420
	;; [unrolled: 1-line block ×6, first 2 shown]
	v_fmac_f32_e32 v148, v144, v200
	s_waitcnt vmcnt(46)
	v_mul_f32_e32 v152, v145, v208
	v_add_f32_e32 v151, v147, v148
	v_fmac_f32_e32 v152, v146, v207
	ds_read_b128 v[147:150], v114 offset:704
	v_add_f32_e32 v155, v151, v152
	ds_read_b128 v[151:154], v114 offset:720
	buffer_load_dword v255, off, s[0:3], 0 offset:440
	buffer_load_dword v23, off, s[0:3], 0 offset:444
	v_mul_f32_e32 v3, v116, v3
	v_fma_f32 v3, v115, v16, -v3
	v_mul_f32_e32 v4, v118, v4
	v_add_f32_e32 v3, 0, v3
	v_fma_f32 v4, v117, v15, -v4
	v_add_f32_e32 v3, v3, v4
	v_mul_f32_e32 v4, v120, v5
	v_fma_f32 v4, v119, v14, -v4
	v_add_f32_e32 v3, v3, v4
	v_mul_f32_e32 v4, v122, v6
	;; [unrolled: 3-line block ×7, first 2 shown]
	s_waitcnt vmcnt(46) lgkmcnt(1)
	v_mul_f32_e32 v24, v147, v210
	v_fma_f32 v4, v131, v195, -v4
	v_fmac_f32_e32 v24, v148, v209
	v_add_f32_e32 v3, v3, v4
	v_mul_f32_e32 v4, v134, v12
	v_add_f32_e32 v24, v155, v24
	s_waitcnt vmcnt(44)
	v_mul_f32_e32 v155, v149, v212
	v_fma_f32 v4, v133, v22, -v4
	v_fmac_f32_e32 v155, v150, v211
	v_add_f32_e32 v3, v3, v4
	v_mul_f32_e32 v4, v136, v13
	v_add_f32_e32 v24, v24, v155
	s_waitcnt vmcnt(42) lgkmcnt(0)
	v_mul_f32_e32 v155, v151, v214
	v_fma_f32 v4, v135, v21, -v4
	v_fmac_f32_e32 v155, v152, v213
	v_add_f32_e32 v3, v3, v4
	v_mul_f32_e32 v4, v138, v197
	v_add_f32_e32 v24, v24, v155
	ds_read_b128 v[155:158], v114 offset:736
	v_fma_f32 v4, v137, v203, -v4
	v_add_f32_e32 v3, v3, v4
	v_mul_f32_e32 v4, v140, v204
	s_waitcnt vmcnt(40)
	v_mul_f32_e32 v159, v153, v216
	v_fma_f32 v4, v139, v202, -v4
	v_fmac_f32_e32 v159, v154, v215
	v_add_f32_e32 v3, v3, v4
	v_mul_f32_e32 v4, v142, v199
	v_add_f32_e32 v24, v24, v159
	ds_read_b128 v[159:162], v114 offset:752
	v_fma_f32 v4, v141, v198, -v4
	s_waitcnt vmcnt(38) lgkmcnt(1)
	v_mul_f32_e32 v163, v155, v218
	v_add_f32_e32 v3, v3, v4
	v_mul_f32_e32 v4, v144, v201
	v_fmac_f32_e32 v163, v156, v217
	v_fma_f32 v4, v143, v200, -v4
	v_add_f32_e32 v24, v24, v163
	s_waitcnt vmcnt(36)
	v_mul_f32_e32 v163, v157, v220
	v_add_f32_e32 v3, v3, v4
	v_mul_f32_e32 v4, v146, v208
	v_fmac_f32_e32 v163, v158, v219
	v_fma_f32 v4, v145, v207, -v4
	v_add_f32_e32 v24, v24, v163
	s_waitcnt vmcnt(34) lgkmcnt(0)
	v_mul_f32_e32 v163, v159, v222
	v_add_f32_e32 v3, v3, v4
	v_mul_f32_e32 v4, v148, v210
	v_fmac_f32_e32 v163, v160, v221
	v_fma_f32 v4, v147, v209, -v4
	v_add_f32_e32 v24, v24, v163
	ds_read_b128 v[163:166], v114 offset:768
	v_add_f32_e32 v3, v3, v4
	v_mul_f32_e32 v4, v150, v212
	v_fma_f32 v4, v149, v211, -v4
	s_waitcnt vmcnt(32)
	v_mul_f32_e32 v167, v161, v224
	v_add_f32_e32 v3, v3, v4
	v_mul_f32_e32 v4, v152, v214
	v_fmac_f32_e32 v167, v162, v223
	v_fma_f32 v4, v151, v213, -v4
	v_add_f32_e32 v24, v24, v167
	ds_read_b128 v[167:170], v114 offset:784
	v_add_f32_e32 v3, v3, v4
	v_mul_f32_e32 v4, v154, v216
	s_waitcnt vmcnt(30) lgkmcnt(1)
	v_mul_f32_e32 v171, v163, v226
	v_fma_f32 v4, v153, v215, -v4
	v_fmac_f32_e32 v171, v164, v225
	v_add_f32_e32 v3, v3, v4
	v_mul_f32_e32 v4, v156, v218
	v_add_f32_e32 v24, v24, v171
	s_waitcnt vmcnt(29)
	v_mul_f32_e32 v171, v165, v227
	v_fma_f32 v4, v155, v217, -v4
	s_waitcnt vmcnt(26)
	v_fmac_f32_e32 v171, v166, v230
	v_add_f32_e32 v3, v3, v4
	v_mul_f32_e32 v4, v158, v220
	v_add_f32_e32 v24, v24, v171
	s_waitcnt lgkmcnt(0)
	v_mul_f32_e32 v171, v167, v229
	v_fma_f32 v4, v157, v219, -v4
	v_fmac_f32_e32 v171, v168, v228
	v_add_f32_e32 v3, v3, v4
	v_mul_f32_e32 v4, v160, v222
	v_add_f32_e32 v24, v24, v171
	ds_read_b128 v[171:174], v114 offset:800
	v_fma_f32 v4, v159, v221, -v4
	v_add_f32_e32 v3, v3, v4
	v_mul_f32_e32 v4, v162, v224
	s_waitcnt vmcnt(24)
	v_mul_f32_e32 v175, v169, v232
	v_fma_f32 v4, v161, v223, -v4
	v_fmac_f32_e32 v175, v170, v231
	v_add_f32_e32 v3, v3, v4
	v_mul_f32_e32 v4, v164, v226
	v_add_f32_e32 v24, v24, v175
	ds_read_b128 v[175:178], v114 offset:816
	v_fma_f32 v4, v163, v225, -v4
	s_waitcnt vmcnt(22) lgkmcnt(1)
	v_mul_f32_e32 v179, v171, v234
	v_add_f32_e32 v3, v3, v4
	v_mul_f32_e32 v4, v166, v227
	v_fmac_f32_e32 v179, v172, v233
	v_fma_f32 v4, v165, v230, -v4
	v_add_f32_e32 v24, v24, v179
	s_waitcnt vmcnt(21)
	v_mul_f32_e32 v179, v173, v235
	v_add_f32_e32 v3, v3, v4
	v_mul_f32_e32 v4, v168, v229
	s_waitcnt vmcnt(18)
	v_fmac_f32_e32 v179, v174, v238
	v_fma_f32 v4, v167, v228, -v4
	v_add_f32_e32 v24, v24, v179
	s_waitcnt lgkmcnt(0)
	v_mul_f32_e32 v179, v175, v237
	v_add_f32_e32 v3, v3, v4
	v_mul_f32_e32 v4, v170, v232
	v_fmac_f32_e32 v179, v176, v236
	v_fma_f32 v4, v169, v231, -v4
	v_add_f32_e32 v24, v24, v179
	ds_read_b128 v[179:182], v114 offset:832
	v_add_f32_e32 v3, v3, v4
	v_mul_f32_e32 v4, v172, v234
	v_fma_f32 v4, v171, v233, -v4
	s_waitcnt vmcnt(16)
	v_mul_f32_e32 v183, v177, v240
	v_add_f32_e32 v3, v3, v4
	v_mul_f32_e32 v4, v174, v235
	v_fmac_f32_e32 v183, v178, v239
	v_fma_f32 v4, v173, v238, -v4
	v_add_f32_e32 v24, v24, v183
	ds_read_b128 v[183:186], v114 offset:848
	v_add_f32_e32 v3, v3, v4
	v_mul_f32_e32 v4, v176, v237
	s_waitcnt vmcnt(14) lgkmcnt(1)
	v_mul_f32_e32 v187, v179, v242
	v_fma_f32 v4, v175, v236, -v4
	v_fmac_f32_e32 v187, v180, v241
	v_add_f32_e32 v3, v3, v4
	v_mul_f32_e32 v4, v178, v240
	v_add_f32_e32 v24, v24, v187
	s_waitcnt vmcnt(13)
	v_mul_f32_e32 v187, v181, v243
	v_fma_f32 v4, v177, v239, -v4
	s_waitcnt vmcnt(10)
	v_fmac_f32_e32 v187, v182, v246
	v_add_f32_e32 v3, v3, v4
	v_mul_f32_e32 v4, v180, v242
	v_add_f32_e32 v24, v24, v187
	s_waitcnt lgkmcnt(0)
	v_mul_f32_e32 v187, v183, v245
	v_fma_f32 v4, v179, v241, -v4
	v_fmac_f32_e32 v187, v184, v244
	v_add_f32_e32 v3, v3, v4
	v_mul_f32_e32 v4, v182, v243
	v_add_f32_e32 v24, v24, v187
	ds_read_b128 v[187:190], v114 offset:864
	v_fma_f32 v4, v181, v246, -v4
	v_add_f32_e32 v3, v3, v4
	v_mul_f32_e32 v4, v184, v245
	s_waitcnt vmcnt(8)
	v_mul_f32_e32 v191, v185, v248
	v_fma_f32 v4, v183, v244, -v4
	v_fmac_f32_e32 v191, v186, v247
	v_add_f32_e32 v3, v3, v4
	v_mul_f32_e32 v4, v186, v248
	v_add_f32_e32 v24, v24, v191
	ds_read_b128 v[191:194], v114 offset:880
	v_fma_f32 v4, v185, v247, -v4
	v_add_f32_e32 v3, v3, v4
	s_waitcnt vmcnt(6) lgkmcnt(1)
	v_mul_f32_e32 v4, v188, v250
	v_mul_f32_e32 v114, v187, v250
	v_fma_f32 v4, v187, v249, -v4
	v_fmac_f32_e32 v114, v188, v249
	v_add_f32_e32 v3, v3, v4
	s_waitcnt vmcnt(5)
	v_mul_f32_e32 v4, v190, v251
	v_add_f32_e32 v24, v24, v114
	v_mul_f32_e32 v114, v189, v251
	s_waitcnt vmcnt(2)
	v_fma_f32 v4, v189, v254, -v4
	v_fmac_f32_e32 v114, v190, v254
	v_add_f32_e32 v3, v3, v4
	s_waitcnt lgkmcnt(0)
	v_mul_f32_e32 v4, v192, v253
	v_add_f32_e32 v24, v24, v114
	v_mul_f32_e32 v114, v191, v253
	v_fma_f32 v4, v191, v252, -v4
	v_fmac_f32_e32 v114, v192, v252
	v_add_f32_e32 v3, v3, v4
	s_waitcnt vmcnt(0)
	v_mul_f32_e32 v4, v194, v23
	v_add_f32_e32 v24, v24, v114
	v_mul_f32_e32 v114, v193, v23
	v_fma_f32 v4, v193, v255, -v4
	v_fmac_f32_e32 v114, v194, v255
	v_add_f32_e32 v3, v3, v4
	v_add_f32_e32 v24, v24, v114
	v_sub_f32_e32 v3, v205, v3
	v_sub_f32_e32 v4, v206, v24
	buffer_store_dword v3, off, s[0:3], 0 offset:120
	buffer_store_dword v4, off, s[0:3], 0 offset:124
	s_and_saveexec_b64 s[4:5], vcc
	s_cbranch_execz .LBB119_321
; %bb.320:
	buffer_load_dword v3, off, s[0:3], 0 offset:112
	buffer_load_dword v4, off, s[0:3], 0 offset:116
	v_mov_b32_e32 v5, 0
	buffer_store_dword v5, off, s[0:3], 0 offset:112
	buffer_store_dword v5, off, s[0:3], 0 offset:116
	s_waitcnt vmcnt(2)
	ds_write_b64 v113, v[3:4]
.LBB119_321:
	s_or_b64 exec, exec, s[4:5]
	s_waitcnt lgkmcnt(0)
	; wave barrier
	buffer_load_dword v123, off, s[0:3], 0 offset:124
	buffer_load_dword v122, off, s[0:3], 0 offset:132
	;; [unrolled: 1-line block ×32, first 2 shown]
	v_mov_b32_e32 v114, 0
	buffer_load_dword v207, off, s[0:3], 0 offset:240
	buffer_load_dword v208, off, s[0:3], 0 offset:244
	;; [unrolled: 1-line block ×18, first 2 shown]
	ds_read2_b64 v[124:127], v114 offset0:71 offset1:72
	ds_read2_b64 v[128:131], v114 offset0:73 offset1:74
	;; [unrolled: 1-line block ×6, first 2 shown]
	buffer_load_dword v225, off, s[0:3], 0 offset:312
	buffer_load_dword v226, off, s[0:3], 0 offset:316
	;; [unrolled: 1-line block ×6, first 2 shown]
	v_cmp_lt_u32_e32 vcc, 13, v0
	s_waitcnt vmcnt(55) lgkmcnt(5)
	v_mul_f32_e32 v3, v124, v123
	s_waitcnt vmcnt(54)
	v_mul_f32_e32 v4, v126, v122
	s_waitcnt vmcnt(53) lgkmcnt(4)
	v_mul_f32_e32 v148, v128, v121
	s_waitcnt vmcnt(52)
	v_mul_f32_e32 v149, v130, v120
	;; [unrolled: 4-line block ×5, first 2 shown]
	s_waitcnt vmcnt(45) lgkmcnt(0)
	v_mul_f32_e32 v156, v144, v8
	s_waitcnt vmcnt(44)
	v_fmac_f32_e32 v148, v129, v9
	s_waitcnt vmcnt(43)
	v_fmac_f32_e32 v4, v127, v10
	;; [unrolled: 2-line block ×3, first 2 shown]
	v_add_f32_e32 v3, 0, v3
	v_add_f32_e32 v3, v3, v4
	;; [unrolled: 1-line block ×3, first 2 shown]
	s_waitcnt vmcnt(38)
	v_fmac_f32_e32 v149, v131, v15
	v_fmac_f32_e32 v150, v133, v14
	v_add_f32_e32 v3, v3, v149
	v_fmac_f32_e32 v151, v135, v13
	v_add_f32_e32 v3, v3, v150
	v_add_f32_e32 v3, v3, v151
	ds_read2_b64 v[148:151], v114 offset0:83 offset1:84
	buffer_load_dword v231, off, s[0:3], 0 offset:336
	buffer_load_dword v232, off, s[0:3], 0 offset:340
	v_fmac_f32_e32 v152, v137, v12
	s_waitcnt vmcnt(36)
	v_fmac_f32_e32 v153, v139, v19
	v_add_f32_e32 v3, v3, v152
	v_fmac_f32_e32 v154, v141, v18
	v_add_f32_e32 v3, v3, v153
	;; [unrolled: 2-line block ×3, first 2 shown]
	v_add_f32_e32 v3, v3, v155
	ds_read2_b64 v[152:155], v114 offset0:85 offset1:86
	buffer_load_dword v233, off, s[0:3], 0 offset:344
	buffer_load_dword v234, off, s[0:3], 0 offset:348
	;; [unrolled: 1-line block ×16, first 2 shown]
	v_fmac_f32_e32 v156, v145, v16
	v_add_f32_e32 v3, v3, v156
	ds_read2_b64 v[156:159], v114 offset0:87 offset1:88
	buffer_load_dword v249, off, s[0:3], 0 offset:408
	buffer_load_dword v250, off, s[0:3], 0 offset:412
	;; [unrolled: 1-line block ×6, first 2 shown]
	ds_read2_b64 v[160:163], v114 offset0:89 offset1:90
	buffer_load_dword v255, off, s[0:3], 0 offset:436
	buffer_load_dword v25, off, s[0:3], 0 offset:440
	;; [unrolled: 1-line block ×4, first 2 shown]
	s_waitcnt vmcnt(61)
	v_mul_f32_e32 v4, v146, v20
	s_waitcnt vmcnt(55)
	v_fmac_f32_e32 v4, v147, v205
	v_add_f32_e32 v3, v3, v4
	s_waitcnt vmcnt(54) lgkmcnt(3)
	v_mul_f32_e32 v4, v148, v206
	v_fmac_f32_e32 v4, v149, v204
	v_add_f32_e32 v3, v3, v4
	v_mul_f32_e32 v4, v150, v22
	v_fmac_f32_e32 v4, v151, v21
	v_add_f32_e32 v3, v3, v4
	s_waitcnt lgkmcnt(2)
	v_mul_f32_e32 v4, v152, v24
	v_fmac_f32_e32 v4, v153, v23
	v_add_f32_e32 v3, v3, v4
	s_waitcnt vmcnt(50)
	v_mul_f32_e32 v4, v154, v208
	v_fmac_f32_e32 v4, v155, v207
	v_add_f32_e32 v3, v3, v4
	s_waitcnt vmcnt(48) lgkmcnt(1)
	v_mul_f32_e32 v4, v156, v210
	v_fmac_f32_e32 v4, v157, v209
	v_add_f32_e32 v3, v3, v4
	s_waitcnt vmcnt(46)
	v_mul_f32_e32 v4, v158, v212
	v_fmac_f32_e32 v4, v159, v211
	ds_read2_b64 v[164:167], v114 offset0:91 offset1:92
	ds_read2_b64 v[168:171], v114 offset0:93 offset1:94
	v_add_f32_e32 v3, v3, v4
	s_waitcnt vmcnt(44) lgkmcnt(2)
	v_mul_f32_e32 v4, v160, v214
	v_fmac_f32_e32 v4, v161, v213
	v_add_f32_e32 v3, v3, v4
	s_waitcnt vmcnt(42)
	v_mul_f32_e32 v4, v162, v216
	v_fmac_f32_e32 v4, v163, v215
	v_add_f32_e32 v3, v3, v4
	s_waitcnt vmcnt(40) lgkmcnt(1)
	v_mul_f32_e32 v4, v164, v218
	v_fmac_f32_e32 v4, v165, v217
	v_add_f32_e32 v3, v3, v4
	s_waitcnt vmcnt(38)
	v_mul_f32_e32 v4, v166, v220
	v_fmac_f32_e32 v4, v167, v219
	ds_read2_b64 v[172:175], v114 offset0:95 offset1:96
	ds_read2_b64 v[176:179], v114 offset0:97 offset1:98
	v_add_f32_e32 v3, v3, v4
	s_waitcnt vmcnt(36) lgkmcnt(2)
	v_mul_f32_e32 v4, v168, v222
	v_fmac_f32_e32 v4, v169, v221
	v_add_f32_e32 v3, v3, v4
	s_waitcnt vmcnt(34)
	v_mul_f32_e32 v4, v170, v224
	v_fmac_f32_e32 v4, v171, v223
	v_add_f32_e32 v3, v3, v4
	s_waitcnt vmcnt(32) lgkmcnt(1)
	v_mul_f32_e32 v4, v172, v226
	v_fmac_f32_e32 v4, v173, v225
	v_add_f32_e32 v3, v3, v4
	s_waitcnt vmcnt(31)
	v_mul_f32_e32 v4, v174, v227
	s_waitcnt vmcnt(28)
	v_fmac_f32_e32 v4, v175, v230
	ds_read2_b64 v[180:183], v114 offset0:99 offset1:100
	ds_read2_b64 v[184:187], v114 offset0:101 offset1:102
	v_add_f32_e32 v3, v3, v4
	s_waitcnt lgkmcnt(2)
	v_mul_f32_e32 v4, v176, v229
	v_fmac_f32_e32 v4, v177, v228
	v_add_f32_e32 v3, v3, v4
	ds_read2_b64 v[188:191], v114 offset0:103 offset1:104
	ds_read2_b64 v[192:195], v114 offset0:105 offset1:106
	;; [unrolled: 1-line block ×4, first 2 shown]
	v_mul_f32_e32 v5, v139, v5
	v_fma_f32 v5, v138, v19, -v5
	s_waitcnt vmcnt(26)
	v_mul_f32_e32 v4, v178, v232
	v_fmac_f32_e32 v4, v179, v231
	v_add_f32_e32 v3, v3, v4
	v_mul_f32_e32 v6, v141, v6
	v_fma_f32 v6, v140, v18, -v6
	s_waitcnt vmcnt(24) lgkmcnt(5)
	v_mul_f32_e32 v4, v180, v234
	v_fmac_f32_e32 v4, v181, v233
	v_add_f32_e32 v3, v3, v4
	s_waitcnt vmcnt(23)
	v_mul_f32_e32 v4, v182, v235
	s_waitcnt vmcnt(20)
	v_fmac_f32_e32 v4, v183, v238
	v_add_f32_e32 v3, v3, v4
	s_waitcnt lgkmcnt(4)
	v_mul_f32_e32 v4, v184, v237
	v_fmac_f32_e32 v4, v185, v236
	v_add_f32_e32 v3, v3, v4
	s_waitcnt vmcnt(18)
	v_mul_f32_e32 v4, v186, v240
	v_fmac_f32_e32 v4, v187, v239
	v_add_f32_e32 v3, v3, v4
	s_waitcnt vmcnt(16) lgkmcnt(3)
	v_mul_f32_e32 v4, v188, v242
	v_fmac_f32_e32 v4, v189, v241
	v_add_f32_e32 v3, v3, v4
	s_waitcnt vmcnt(15)
	v_mul_f32_e32 v4, v190, v243
	s_waitcnt vmcnt(12)
	v_fmac_f32_e32 v4, v191, v246
	v_add_f32_e32 v3, v3, v4
	s_waitcnt lgkmcnt(2)
	v_mul_f32_e32 v4, v192, v245
	v_fmac_f32_e32 v4, v193, v244
	v_add_f32_e32 v3, v3, v4
	s_waitcnt vmcnt(10)
	v_mul_f32_e32 v4, v194, v248
	v_fmac_f32_e32 v4, v195, v247
	v_add_f32_e32 v3, v3, v4
	s_waitcnt vmcnt(8) lgkmcnt(1)
	v_mul_f32_e32 v4, v196, v250
	v_fmac_f32_e32 v4, v197, v249
	v_add_f32_e32 v3, v3, v4
	s_waitcnt vmcnt(7)
	v_mul_f32_e32 v4, v198, v251
	s_waitcnt vmcnt(4)
	v_fmac_f32_e32 v4, v199, v254
	v_add_f32_e32 v28, v3, v4
	ds_read_b64 v[3:4], v114 offset:888
	s_waitcnt lgkmcnt(1)
	v_mul_f32_e32 v29, v200, v253
	v_fmac_f32_e32 v29, v201, v252
	v_add_f32_e32 v28, v28, v29
	s_waitcnt vmcnt(3)
	v_mul_f32_e32 v29, v202, v255
	s_waitcnt vmcnt(0)
	v_fmac_f32_e32 v29, v203, v27
	v_add_f32_e32 v28, v28, v29
	s_waitcnt lgkmcnt(0)
	v_mul_f32_e32 v29, v3, v26
	v_fmac_f32_e32 v29, v4, v25
	v_add_f32_e32 v28, v28, v29
	v_mul_f32_e32 v29, v125, v123
	v_fma_f32 v11, v124, v11, -v29
	v_mul_f32_e32 v29, v127, v122
	v_add_f32_e32 v11, 0, v11
	v_fma_f32 v10, v126, v10, -v29
	v_add_f32_e32 v10, v11, v10
	v_mul_f32_e32 v11, v129, v121
	v_fma_f32 v9, v128, v9, -v11
	v_add_f32_e32 v9, v10, v9
	v_mul_f32_e32 v10, v131, v120
	;; [unrolled: 3-line block ×5, first 2 shown]
	v_fma_f32 v10, v136, v12, -v10
	v_add_f32_e32 v9, v9, v10
	v_add_f32_e32 v5, v9, v5
	;; [unrolled: 1-line block ×3, first 2 shown]
	v_mul_f32_e32 v6, v143, v7
	v_fma_f32 v6, v142, v17, -v6
	v_add_f32_e32 v5, v5, v6
	v_mul_f32_e32 v6, v145, v8
	v_fma_f32 v6, v144, v16, -v6
	v_add_f32_e32 v5, v5, v6
	;; [unrolled: 3-line block ×30, first 2 shown]
	v_mul_f32_e32 v6, v203, v255
	v_fma_f32 v6, v202, v27, -v6
	v_mul_f32_e32 v4, v4, v26
	v_add_f32_e32 v5, v5, v6
	v_fma_f32 v3, v3, v25, -v4
	v_add_f32_e32 v3, v5, v3
	v_sub_f32_e32 v3, v117, v3
	v_sub_f32_e32 v4, v118, v28
	buffer_store_dword v3, off, s[0:3], 0 offset:112
	buffer_store_dword v4, off, s[0:3], 0 offset:116
	s_and_saveexec_b64 s[4:5], vcc
	s_cbranch_execz .LBB119_323
; %bb.322:
	buffer_load_dword v3, off, s[0:3], 0 offset:104
	buffer_load_dword v4, off, s[0:3], 0 offset:108
	s_waitcnt vmcnt(0)
	ds_write_b64 v113, v[3:4]
	buffer_store_dword v114, off, s[0:3], 0 offset:104
	buffer_store_dword v114, off, s[0:3], 0 offset:108
.LBB119_323:
	s_or_b64 exec, exec, s[4:5]
	s_waitcnt lgkmcnt(0)
	; wave barrier
	buffer_load_dword v3, off, s[0:3], 0 offset:116
	buffer_load_dword v4, off, s[0:3], 0 offset:124
	buffer_load_dword v5, off, s[0:3], 0 offset:132
	buffer_load_dword v6, off, s[0:3], 0 offset:140
	buffer_load_dword v7, off, s[0:3], 0 offset:148
	buffer_load_dword v8, off, s[0:3], 0 offset:156
	buffer_load_dword v9, off, s[0:3], 0 offset:164
	buffer_load_dword v10, off, s[0:3], 0 offset:172
	buffer_load_dword v11, off, s[0:3], 0 offset:180
	buffer_load_dword v12, off, s[0:3], 0 offset:188
	buffer_load_dword v13, off, s[0:3], 0 offset:196
	buffer_load_dword v14, off, s[0:3], 0 offset:204
	buffer_load_dword v15, off, s[0:3], 0 offset:128
	buffer_load_dword v16, off, s[0:3], 0 offset:120
	buffer_load_dword v17, off, s[0:3], 0 offset:112
	buffer_load_dword v18, off, s[0:3], 0 offset:160
	buffer_load_dword v19, off, s[0:3], 0 offset:152
	buffer_load_dword v20, off, s[0:3], 0 offset:144
	buffer_load_dword v21, off, s[0:3], 0 offset:136
	buffer_load_dword v22, off, s[0:3], 0 offset:192
	buffer_load_dword v23, off, s[0:3], 0 offset:184
	buffer_load_dword v24, off, s[0:3], 0 offset:176
	buffer_load_dword v25, off, s[0:3], 0 offset:168
	buffer_load_dword v26, off, s[0:3], 0 offset:216
	buffer_load_dword v27, off, s[0:3], 0 offset:220
	buffer_load_dword v28, off, s[0:3], 0 offset:224
	buffer_load_dword v29, off, s[0:3], 0 offset:228
	buffer_load_dword v30, off, s[0:3], 0 offset:208
	buffer_load_dword v199, off, s[0:3], 0 offset:200
	buffer_load_dword v200, off, s[0:3], 0 offset:212
	buffer_load_dword v201, off, s[0:3], 0 offset:104
	buffer_load_dword v202, off, s[0:3], 0 offset:108
	ds_read_b128 v[115:118], v114 offset:560
	ds_read_b128 v[119:122], v114 offset:576
	ds_read_b128 v[123:126], v114 offset:592
	ds_read_b128 v[127:130], v114 offset:608
	ds_read_b128 v[131:134], v114 offset:624
	ds_read_b128 v[135:138], v114 offset:640
	buffer_load_dword v203, off, s[0:3], 0 offset:232
	buffer_load_dword v204, off, s[0:3], 0 offset:236
	;; [unrolled: 1-line block ×18, first 2 shown]
	v_cmp_lt_u32_e32 vcc, 12, v0
	s_waitcnt vmcnt(49) lgkmcnt(5)
	v_mul_f32_e32 v139, v115, v3
	s_waitcnt vmcnt(48)
	v_mul_f32_e32 v140, v117, v4
	s_waitcnt vmcnt(47) lgkmcnt(4)
	v_mul_f32_e32 v141, v119, v5
	s_waitcnt vmcnt(46)
	v_mul_f32_e32 v142, v121, v6
	;; [unrolled: 4-line block ×6, first 2 shown]
	s_waitcnt vmcnt(37)
	v_fmac_f32_e32 v141, v120, v15
	s_waitcnt vmcnt(36)
	v_fmac_f32_e32 v140, v118, v16
	;; [unrolled: 2-line block ×3, first 2 shown]
	v_add_f32_e32 v139, 0, v139
	v_add_f32_e32 v139, v139, v140
	;; [unrolled: 1-line block ×3, first 2 shown]
	s_waitcnt vmcnt(31)
	v_fmac_f32_e32 v142, v122, v21
	v_fmac_f32_e32 v143, v124, v20
	v_add_f32_e32 v139, v139, v142
	v_fmac_f32_e32 v144, v126, v19
	v_add_f32_e32 v139, v139, v143
	;; [unrolled: 2-line block ×3, first 2 shown]
	s_waitcnt vmcnt(27)
	v_fmac_f32_e32 v146, v130, v25
	v_add_f32_e32 v139, v139, v145
	v_fmac_f32_e32 v147, v132, v24
	v_add_f32_e32 v139, v139, v146
	;; [unrolled: 2-line block ×3, first 2 shown]
	v_add_f32_e32 v143, v139, v148
	ds_read_b128 v[139:142], v114 offset:656
	buffer_load_dword v221, off, s[0:3], 0 offset:304
	buffer_load_dword v222, off, s[0:3], 0 offset:308
	buffer_load_dword v223, off, s[0:3], 0 offset:316
	buffer_load_dword v224, off, s[0:3], 0 offset:320
	buffer_load_dword v225, off, s[0:3], 0 offset:324
	buffer_load_dword v226, off, s[0:3], 0 offset:312
	v_fmac_f32_e32 v149, v136, v22
	s_waitcnt vmcnt(27)
	v_fmac_f32_e32 v150, v138, v199
	v_add_f32_e32 v143, v143, v149
	v_add_f32_e32 v147, v143, v150
	ds_read_b128 v[143:146], v114 offset:672
	buffer_load_dword v227, off, s[0:3], 0 offset:328
	buffer_load_dword v228, off, s[0:3], 0 offset:332
	;; [unrolled: 1-line block ×10, first 2 shown]
	s_waitcnt vmcnt(36) lgkmcnt(1)
	v_mul_f32_e32 v148, v139, v200
	buffer_load_dword v237, off, s[0:3], 0 offset:368
	buffer_load_dword v238, off, s[0:3], 0 offset:372
	;; [unrolled: 1-line block ×6, first 2 shown]
	v_fmac_f32_e32 v148, v140, v30
	v_add_f32_e32 v147, v147, v148
	v_mul_f32_e32 v148, v141, v27
	v_fmac_f32_e32 v148, v142, v26
	v_add_f32_e32 v147, v147, v148
	s_waitcnt lgkmcnt(0)
	v_mul_f32_e32 v148, v143, v29
	v_fmac_f32_e32 v148, v144, v28
	v_add_f32_e32 v151, v147, v148
	ds_read_b128 v[147:150], v114 offset:688
	buffer_load_dword v243, off, s[0:3], 0 offset:392
	buffer_load_dword v244, off, s[0:3], 0 offset:396
	s_waitcnt vmcnt(40)
	v_mul_f32_e32 v152, v145, v204
	v_fmac_f32_e32 v152, v146, v203
	v_add_f32_e32 v155, v151, v152
	ds_read_b128 v[151:154], v114 offset:704
	buffer_load_dword v245, off, s[0:3], 0 offset:400
	buffer_load_dword v246, off, s[0:3], 0 offset:404
	;; [unrolled: 1-line block ×12, first 2 shown]
	v_mul_f32_e32 v3, v116, v3
	v_fma_f32 v3, v115, v17, -v3
	v_mul_f32_e32 v4, v118, v4
	v_add_f32_e32 v3, 0, v3
	v_fma_f32 v4, v117, v16, -v4
	v_add_f32_e32 v3, v3, v4
	v_mul_f32_e32 v4, v120, v5
	v_fma_f32 v4, v119, v15, -v4
	v_add_f32_e32 v3, v3, v4
	v_mul_f32_e32 v4, v122, v6
	;; [unrolled: 3-line block ×6, first 2 shown]
	v_fma_f32 v4, v129, v25, -v4
	s_waitcnt vmcnt(50) lgkmcnt(1)
	v_mul_f32_e32 v156, v147, v206
	v_add_f32_e32 v3, v3, v4
	v_mul_f32_e32 v4, v132, v11
	v_fmac_f32_e32 v156, v148, v205
	v_fma_f32 v4, v131, v24, -v4
	v_add_f32_e32 v155, v155, v156
	s_waitcnt vmcnt(48)
	v_mul_f32_e32 v156, v149, v208
	v_add_f32_e32 v3, v3, v4
	v_mul_f32_e32 v4, v134, v12
	v_fmac_f32_e32 v156, v150, v207
	v_fma_f32 v4, v133, v23, -v4
	v_add_f32_e32 v32, v155, v156
	s_waitcnt vmcnt(46) lgkmcnt(0)
	v_mul_f32_e32 v155, v151, v210
	v_add_f32_e32 v3, v3, v4
	v_mul_f32_e32 v4, v136, v13
	v_fmac_f32_e32 v155, v152, v209
	v_fma_f32 v4, v135, v22, -v4
	v_add_f32_e32 v32, v32, v155
	ds_read_b128 v[155:158], v114 offset:720
	v_add_f32_e32 v3, v3, v4
	v_mul_f32_e32 v4, v138, v14
	v_fma_f32 v4, v137, v199, -v4
	s_waitcnt vmcnt(44)
	v_mul_f32_e32 v159, v153, v212
	v_add_f32_e32 v3, v3, v4
	v_mul_f32_e32 v4, v140, v200
	v_fmac_f32_e32 v159, v154, v211
	v_fma_f32 v4, v139, v30, -v4
	v_add_f32_e32 v32, v32, v159
	ds_read_b128 v[159:162], v114 offset:736
	v_add_f32_e32 v3, v3, v4
	v_mul_f32_e32 v4, v142, v27
	s_waitcnt vmcnt(42) lgkmcnt(1)
	v_mul_f32_e32 v163, v155, v214
	v_fma_f32 v4, v141, v26, -v4
	v_fmac_f32_e32 v163, v156, v213
	v_add_f32_e32 v3, v3, v4
	v_mul_f32_e32 v4, v144, v29
	v_add_f32_e32 v32, v32, v163
	s_waitcnt vmcnt(40)
	v_mul_f32_e32 v163, v157, v216
	v_fma_f32 v4, v143, v28, -v4
	v_fmac_f32_e32 v163, v158, v215
	v_add_f32_e32 v3, v3, v4
	v_mul_f32_e32 v4, v146, v204
	v_add_f32_e32 v32, v32, v163
	s_waitcnt vmcnt(38) lgkmcnt(0)
	v_mul_f32_e32 v163, v159, v218
	v_fma_f32 v4, v145, v203, -v4
	v_fmac_f32_e32 v163, v160, v217
	v_add_f32_e32 v3, v3, v4
	v_mul_f32_e32 v4, v148, v206
	v_add_f32_e32 v32, v32, v163
	ds_read_b128 v[163:166], v114 offset:752
	v_fma_f32 v4, v147, v205, -v4
	v_add_f32_e32 v3, v3, v4
	v_mul_f32_e32 v4, v150, v208
	s_waitcnt vmcnt(36)
	v_mul_f32_e32 v167, v161, v220
	v_fma_f32 v4, v149, v207, -v4
	v_fmac_f32_e32 v167, v162, v219
	v_add_f32_e32 v3, v3, v4
	v_mul_f32_e32 v4, v152, v210
	v_add_f32_e32 v32, v32, v167
	ds_read_b128 v[167:170], v114 offset:768
	v_fma_f32 v4, v151, v209, -v4
	s_waitcnt vmcnt(34) lgkmcnt(1)
	v_mul_f32_e32 v171, v163, v222
	v_add_f32_e32 v3, v3, v4
	v_mul_f32_e32 v4, v154, v212
	v_fmac_f32_e32 v171, v164, v221
	v_fma_f32 v4, v153, v211, -v4
	v_add_f32_e32 v32, v32, v171
	s_waitcnt vmcnt(33)
	v_mul_f32_e32 v171, v165, v223
	v_add_f32_e32 v3, v3, v4
	v_mul_f32_e32 v4, v156, v214
	s_waitcnt vmcnt(30)
	v_fmac_f32_e32 v171, v166, v226
	v_fma_f32 v4, v155, v213, -v4
	v_add_f32_e32 v32, v32, v171
	s_waitcnt lgkmcnt(0)
	v_mul_f32_e32 v171, v167, v225
	v_add_f32_e32 v3, v3, v4
	v_mul_f32_e32 v4, v158, v216
	v_fmac_f32_e32 v171, v168, v224
	v_fma_f32 v4, v157, v215, -v4
	v_add_f32_e32 v32, v32, v171
	ds_read_b128 v[171:174], v114 offset:784
	v_add_f32_e32 v3, v3, v4
	v_mul_f32_e32 v4, v160, v218
	v_fma_f32 v4, v159, v217, -v4
	s_waitcnt vmcnt(28)
	v_mul_f32_e32 v175, v169, v228
	v_add_f32_e32 v3, v3, v4
	v_mul_f32_e32 v4, v162, v220
	v_fmac_f32_e32 v175, v170, v227
	v_fma_f32 v4, v161, v219, -v4
	v_add_f32_e32 v32, v32, v175
	ds_read_b128 v[175:178], v114 offset:800
	v_add_f32_e32 v3, v3, v4
	v_mul_f32_e32 v4, v164, v222
	s_waitcnt vmcnt(26) lgkmcnt(1)
	v_mul_f32_e32 v179, v171, v230
	v_fma_f32 v4, v163, v221, -v4
	v_fmac_f32_e32 v179, v172, v229
	v_add_f32_e32 v3, v3, v4
	v_mul_f32_e32 v4, v166, v223
	v_add_f32_e32 v32, v32, v179
	s_waitcnt vmcnt(25)
	v_mul_f32_e32 v179, v173, v231
	v_fma_f32 v4, v165, v226, -v4
	s_waitcnt vmcnt(22)
	v_fmac_f32_e32 v179, v174, v234
	v_add_f32_e32 v3, v3, v4
	v_mul_f32_e32 v4, v168, v225
	v_add_f32_e32 v32, v32, v179
	s_waitcnt lgkmcnt(0)
	v_mul_f32_e32 v179, v175, v233
	v_fma_f32 v4, v167, v224, -v4
	v_fmac_f32_e32 v179, v176, v232
	v_add_f32_e32 v3, v3, v4
	v_mul_f32_e32 v4, v170, v228
	v_add_f32_e32 v32, v32, v179
	ds_read_b128 v[179:182], v114 offset:816
	v_fma_f32 v4, v169, v227, -v4
	v_add_f32_e32 v3, v3, v4
	v_mul_f32_e32 v4, v172, v230
	s_waitcnt vmcnt(20)
	v_mul_f32_e32 v183, v177, v236
	v_fma_f32 v4, v171, v229, -v4
	v_fmac_f32_e32 v183, v178, v235
	v_add_f32_e32 v3, v3, v4
	v_mul_f32_e32 v4, v174, v231
	v_add_f32_e32 v32, v32, v183
	ds_read_b128 v[183:186], v114 offset:832
	v_fma_f32 v4, v173, v234, -v4
	s_waitcnt vmcnt(18) lgkmcnt(1)
	v_mul_f32_e32 v187, v179, v238
	v_add_f32_e32 v3, v3, v4
	v_mul_f32_e32 v4, v176, v233
	v_fmac_f32_e32 v187, v180, v237
	v_fma_f32 v4, v175, v232, -v4
	v_add_f32_e32 v32, v32, v187
	s_waitcnt vmcnt(17)
	v_mul_f32_e32 v187, v181, v239
	v_add_f32_e32 v3, v3, v4
	v_mul_f32_e32 v4, v178, v236
	s_waitcnt vmcnt(14)
	v_fmac_f32_e32 v187, v182, v242
	v_fma_f32 v4, v177, v235, -v4
	v_add_f32_e32 v32, v32, v187
	s_waitcnt lgkmcnt(0)
	v_mul_f32_e32 v187, v183, v241
	v_add_f32_e32 v3, v3, v4
	v_mul_f32_e32 v4, v180, v238
	v_fmac_f32_e32 v187, v184, v240
	v_fma_f32 v4, v179, v237, -v4
	v_add_f32_e32 v32, v32, v187
	ds_read_b128 v[187:190], v114 offset:848
	v_add_f32_e32 v3, v3, v4
	v_mul_f32_e32 v4, v182, v239
	v_fma_f32 v4, v181, v242, -v4
	v_add_f32_e32 v3, v3, v4
	v_mul_f32_e32 v4, v184, v241
	s_waitcnt vmcnt(12)
	v_mul_f32_e32 v191, v185, v244
	v_fma_f32 v4, v183, v240, -v4
	v_fmac_f32_e32 v191, v186, v243
	v_add_f32_e32 v3, v3, v4
	v_mul_f32_e32 v4, v186, v244
	v_add_f32_e32 v32, v32, v191
	ds_read_b128 v[191:194], v114 offset:864
	s_waitcnt vmcnt(10) lgkmcnt(1)
	v_mul_f32_e32 v195, v187, v246
	v_fma_f32 v4, v185, v243, -v4
	v_fmac_f32_e32 v195, v188, v245
	v_add_f32_e32 v3, v3, v4
	v_mul_f32_e32 v4, v188, v246
	v_add_f32_e32 v32, v32, v195
	s_waitcnt vmcnt(9)
	v_mul_f32_e32 v195, v189, v247
	v_fma_f32 v4, v187, v245, -v4
	s_waitcnt vmcnt(6)
	v_fmac_f32_e32 v195, v190, v250
	v_add_f32_e32 v3, v3, v4
	v_mul_f32_e32 v4, v190, v247
	v_add_f32_e32 v32, v32, v195
	ds_read_b128 v[195:198], v114 offset:880
	v_fma_f32 v4, v189, v250, -v4
	v_add_f32_e32 v3, v3, v4
	s_waitcnt lgkmcnt(1)
	v_mul_f32_e32 v4, v192, v249
	v_mul_f32_e32 v33, v191, v249
	v_fma_f32 v4, v191, v248, -v4
	v_fmac_f32_e32 v33, v192, v248
	v_add_f32_e32 v3, v3, v4
	s_waitcnt vmcnt(4)
	v_mul_f32_e32 v4, v194, v252
	v_add_f32_e32 v32, v32, v33
	v_mul_f32_e32 v33, v193, v252
	v_fma_f32 v4, v193, v251, -v4
	v_fmac_f32_e32 v33, v194, v251
	v_add_f32_e32 v3, v3, v4
	s_waitcnt vmcnt(3) lgkmcnt(0)
	v_mul_f32_e32 v4, v196, v253
	v_add_f32_e32 v32, v32, v33
	v_mul_f32_e32 v33, v195, v253
	s_waitcnt vmcnt(0)
	v_fma_f32 v4, v195, v31, -v4
	v_fmac_f32_e32 v33, v196, v31
	v_add_f32_e32 v3, v3, v4
	v_mul_f32_e32 v4, v198, v255
	v_add_f32_e32 v32, v32, v33
	v_mul_f32_e32 v33, v197, v255
	v_fma_f32 v4, v197, v254, -v4
	v_fmac_f32_e32 v33, v198, v254
	v_add_f32_e32 v3, v3, v4
	v_add_f32_e32 v32, v32, v33
	v_sub_f32_e32 v3, v201, v3
	v_sub_f32_e32 v4, v202, v32
	buffer_store_dword v3, off, s[0:3], 0 offset:104
	buffer_store_dword v4, off, s[0:3], 0 offset:108
	s_and_saveexec_b64 s[4:5], vcc
	s_cbranch_execz .LBB119_325
; %bb.324:
	buffer_load_dword v3, off, s[0:3], 0 offset:96
	buffer_load_dword v4, off, s[0:3], 0 offset:100
	v_mov_b32_e32 v5, 0
	buffer_store_dword v5, off, s[0:3], 0 offset:96
	buffer_store_dword v5, off, s[0:3], 0 offset:100
	s_waitcnt vmcnt(2)
	ds_write_b64 v113, v[3:4]
.LBB119_325:
	s_or_b64 exec, exec, s[4:5]
	s_waitcnt lgkmcnt(0)
	; wave barrier
	buffer_load_dword v123, off, s[0:3], 0 offset:108
	buffer_load_dword v122, off, s[0:3], 0 offset:116
	buffer_load_dword v121, off, s[0:3], 0 offset:124
	buffer_load_dword v120, off, s[0:3], 0 offset:132
	buffer_load_dword v119, off, s[0:3], 0 offset:140
	buffer_load_dword v118, off, s[0:3], 0 offset:148
	buffer_load_dword v117, off, s[0:3], 0 offset:156
	buffer_load_dword v124, off, s[0:3], 0 offset:164
	buffer_load_dword v125, off, s[0:3], 0 offset:172
	buffer_load_dword v126, off, s[0:3], 0 offset:180
	buffer_load_dword v127, off, s[0:3], 0 offset:188
	buffer_load_dword v128, off, s[0:3], 0 offset:196
	buffer_load_dword v5, off, s[0:3], 0 offset:120
	buffer_load_dword v6, off, s[0:3], 0 offset:112
	buffer_load_dword v7, off, s[0:3], 0 offset:104
	buffer_load_dword v8, off, s[0:3], 0 offset:152
	buffer_load_dword v9, off, s[0:3], 0 offset:144
	buffer_load_dword v10, off, s[0:3], 0 offset:136
	buffer_load_dword v11, off, s[0:3], 0 offset:128
	buffer_load_dword v12, off, s[0:3], 0 offset:184
	buffer_load_dword v13, off, s[0:3], 0 offset:176
	buffer_load_dword v14, off, s[0:3], 0 offset:168
	buffer_load_dword v15, off, s[0:3], 0 offset:160
	buffer_load_dword v16, off, s[0:3], 0 offset:216
	buffer_load_dword v17, off, s[0:3], 0 offset:220
	buffer_load_dword v18, off, s[0:3], 0 offset:208
	buffer_load_dword v19, off, s[0:3], 0 offset:200
	buffer_load_dword v20, off, s[0:3], 0 offset:192
	buffer_load_dword v21, off, s[0:3], 0 offset:204
	buffer_load_dword v22, off, s[0:3], 0 offset:212
	buffer_load_dword v115, off, s[0:3], 0 offset:96
	buffer_load_dword v116, off, s[0:3], 0 offset:100
	v_mov_b32_e32 v114, 0
	buffer_load_dword v23, off, s[0:3], 0 offset:224
	buffer_load_dword v24, off, s[0:3], 0 offset:228
	;; [unrolled: 1-line block ×16, first 2 shown]
	ds_read2_b64 v[129:132], v114 offset0:69 offset1:70
	ds_read2_b64 v[133:136], v114 offset0:71 offset1:72
	ds_read2_b64 v[137:140], v114 offset0:73 offset1:74
	ds_read2_b64 v[141:144], v114 offset0:75 offset1:76
	ds_read2_b64 v[145:148], v114 offset0:77 offset1:78
	ds_read2_b64 v[149:152], v114 offset0:79 offset1:80
	buffer_load_dword v217, off, s[0:3], 0 offset:288
	buffer_load_dword v218, off, s[0:3], 0 offset:292
	v_cmp_lt_u32_e32 vcc, 11, v0
	s_waitcnt vmcnt(49) lgkmcnt(5)
	v_mul_f32_e32 v3, v129, v123
	s_waitcnt vmcnt(48)
	v_mul_f32_e32 v4, v131, v122
	s_waitcnt vmcnt(47) lgkmcnt(4)
	v_mul_f32_e32 v153, v133, v121
	s_waitcnt vmcnt(46)
	v_mul_f32_e32 v154, v135, v120
	;; [unrolled: 4-line block ×6, first 2 shown]
	s_waitcnt vmcnt(37)
	v_fmac_f32_e32 v153, v134, v5
	s_waitcnt vmcnt(36)
	v_fmac_f32_e32 v4, v132, v6
	;; [unrolled: 2-line block ×3, first 2 shown]
	v_add_f32_e32 v3, 0, v3
	v_add_f32_e32 v3, v3, v4
	;; [unrolled: 1-line block ×3, first 2 shown]
	s_waitcnt vmcnt(31)
	v_fmac_f32_e32 v154, v136, v11
	v_fmac_f32_e32 v155, v138, v10
	v_add_f32_e32 v3, v3, v154
	v_fmac_f32_e32 v156, v140, v9
	v_add_f32_e32 v3, v3, v155
	;; [unrolled: 2-line block ×3, first 2 shown]
	s_waitcnt vmcnt(27)
	v_fmac_f32_e32 v158, v144, v15
	v_add_f32_e32 v3, v3, v157
	ds_read2_b64 v[153:156], v114 offset0:81 offset1:82
	buffer_load_dword v219, off, s[0:3], 0 offset:296
	buffer_load_dword v220, off, s[0:3], 0 offset:300
	;; [unrolled: 1-line block ×6, first 2 shown]
	v_fmac_f32_e32 v159, v146, v14
	v_add_f32_e32 v3, v3, v158
	v_fmac_f32_e32 v160, v148, v13
	v_add_f32_e32 v3, v3, v159
	v_add_f32_e32 v3, v3, v160
	ds_read2_b64 v[157:160], v114 offset0:83 offset1:84
	buffer_load_dword v225, off, s[0:3], 0 offset:320
	buffer_load_dword v226, off, s[0:3], 0 offset:324
	;; [unrolled: 1-line block ×10, first 2 shown]
	v_fmac_f32_e32 v161, v150, v12
	s_waitcnt vmcnt(38)
	v_fmac_f32_e32 v162, v152, v20
	v_add_f32_e32 v3, v3, v161
	v_add_f32_e32 v3, v3, v162
	ds_read2_b64 v[161:164], v114 offset0:85 offset1:86
	buffer_load_dword v235, off, s[0:3], 0 offset:360
	buffer_load_dword v236, off, s[0:3], 0 offset:364
	;; [unrolled: 1-line block ×6, first 2 shown]
	ds_read2_b64 v[165:168], v114 offset0:87 offset1:88
	buffer_load_dword v241, off, s[0:3], 0 offset:384
	buffer_load_dword v242, off, s[0:3], 0 offset:388
	;; [unrolled: 1-line block ×16, first 2 shown]
	s_waitcnt vmcnt(59) lgkmcnt(3)
	v_mul_f32_e32 v4, v153, v21
	v_fmac_f32_e32 v4, v154, v19
	v_add_f32_e32 v3, v3, v4
	s_waitcnt vmcnt(58)
	v_mul_f32_e32 v4, v155, v22
	v_fmac_f32_e32 v4, v156, v18
	v_add_f32_e32 v3, v3, v4
	s_waitcnt lgkmcnt(2)
	v_mul_f32_e32 v4, v157, v17
	v_fmac_f32_e32 v4, v158, v16
	v_add_f32_e32 v3, v3, v4
	s_waitcnt vmcnt(54)
	v_mul_f32_e32 v4, v159, v24
	v_fmac_f32_e32 v4, v160, v23
	v_add_f32_e32 v3, v3, v4
	s_waitcnt vmcnt(52) lgkmcnt(1)
	v_mul_f32_e32 v4, v161, v26
	v_fmac_f32_e32 v4, v162, v25
	v_add_f32_e32 v3, v3, v4
	s_waitcnt vmcnt(50)
	v_mul_f32_e32 v4, v163, v28
	v_fmac_f32_e32 v4, v164, v27
	ds_read2_b64 v[169:172], v114 offset0:89 offset1:90
	ds_read2_b64 v[173:176], v114 offset0:91 offset1:92
	v_add_f32_e32 v3, v3, v4
	s_waitcnt vmcnt(48) lgkmcnt(2)
	v_mul_f32_e32 v4, v165, v30
	v_fmac_f32_e32 v4, v166, v29
	v_add_f32_e32 v3, v3, v4
	s_waitcnt vmcnt(46)
	v_mul_f32_e32 v4, v167, v32
	v_fmac_f32_e32 v4, v168, v31
	v_add_f32_e32 v3, v3, v4
	s_waitcnt vmcnt(44) lgkmcnt(1)
	v_mul_f32_e32 v4, v169, v34
	v_fmac_f32_e32 v4, v170, v33
	v_add_f32_e32 v3, v3, v4
	s_waitcnt vmcnt(42)
	v_mul_f32_e32 v4, v171, v214
	v_fmac_f32_e32 v4, v172, v213
	ds_read2_b64 v[177:180], v114 offset0:93 offset1:94
	ds_read2_b64 v[181:184], v114 offset0:95 offset1:96
	v_add_f32_e32 v3, v3, v4
	s_waitcnt vmcnt(40) lgkmcnt(2)
	v_mul_f32_e32 v4, v173, v216
	v_fmac_f32_e32 v4, v174, v215
	v_add_f32_e32 v3, v3, v4
	s_waitcnt vmcnt(38)
	v_mul_f32_e32 v4, v175, v218
	v_fmac_f32_e32 v4, v176, v217
	v_add_f32_e32 v3, v3, v4
	ds_read2_b64 v[185:188], v114 offset0:97 offset1:98
	ds_read2_b64 v[189:192], v114 offset0:99 offset1:100
	;; [unrolled: 1-line block ×7, first 2 shown]
	s_waitcnt vmcnt(36) lgkmcnt(8)
	v_mul_f32_e32 v4, v177, v220
	v_fmac_f32_e32 v4, v178, v219
	v_add_f32_e32 v3, v3, v4
	s_waitcnt vmcnt(35)
	v_mul_f32_e32 v4, v179, v221
	s_waitcnt vmcnt(32)
	v_fmac_f32_e32 v4, v180, v224
	v_add_f32_e32 v3, v3, v4
	s_waitcnt lgkmcnt(7)
	v_mul_f32_e32 v4, v181, v223
	v_fmac_f32_e32 v4, v182, v222
	v_add_f32_e32 v3, v3, v4
	s_waitcnt vmcnt(30)
	v_mul_f32_e32 v4, v183, v226
	v_fmac_f32_e32 v4, v184, v225
	v_add_f32_e32 v3, v3, v4
	s_waitcnt vmcnt(28) lgkmcnt(6)
	v_mul_f32_e32 v4, v185, v228
	v_fmac_f32_e32 v4, v186, v227
	v_add_f32_e32 v3, v3, v4
	s_waitcnt vmcnt(27)
	v_mul_f32_e32 v4, v187, v229
	s_waitcnt vmcnt(24)
	v_fmac_f32_e32 v4, v188, v232
	v_add_f32_e32 v3, v3, v4
	s_waitcnt lgkmcnt(5)
	v_mul_f32_e32 v4, v189, v231
	v_fmac_f32_e32 v4, v190, v230
	v_add_f32_e32 v3, v3, v4
	s_waitcnt vmcnt(22)
	v_mul_f32_e32 v4, v191, v234
	v_fmac_f32_e32 v4, v192, v233
	v_add_f32_e32 v3, v3, v4
	;; [unrolled: 17-line block ×4, first 2 shown]
	ds_read_b64 v[3:4], v114 offset:888
	s_waitcnt vmcnt(4) lgkmcnt(1)
	v_mul_f32_e32 v37, v209, v252
	v_fmac_f32_e32 v37, v210, v251
	v_add_f32_e32 v36, v36, v37
	s_waitcnt vmcnt(3)
	v_mul_f32_e32 v37, v211, v253
	s_waitcnt vmcnt(0)
	v_fmac_f32_e32 v37, v212, v35
	v_add_f32_e32 v36, v36, v37
	s_waitcnt lgkmcnt(0)
	v_mul_f32_e32 v37, v3, v255
	v_fmac_f32_e32 v37, v4, v254
	v_add_f32_e32 v36, v36, v37
	v_mul_f32_e32 v37, v130, v123
	v_fma_f32 v7, v129, v7, -v37
	v_mul_f32_e32 v37, v132, v122
	v_add_f32_e32 v7, 0, v7
	v_fma_f32 v6, v131, v6, -v37
	v_add_f32_e32 v6, v7, v6
	v_mul_f32_e32 v7, v134, v121
	v_fma_f32 v5, v133, v5, -v7
	v_add_f32_e32 v5, v6, v5
	v_mul_f32_e32 v6, v136, v120
	;; [unrolled: 3-line block ×40, first 2 shown]
	v_fma_f32 v6, v211, v35, -v6
	v_mul_f32_e32 v4, v4, v255
	v_add_f32_e32 v5, v5, v6
	v_fma_f32 v3, v3, v254, -v4
	v_add_f32_e32 v3, v5, v3
	v_sub_f32_e32 v3, v115, v3
	v_sub_f32_e32 v4, v116, v36
	buffer_store_dword v3, off, s[0:3], 0 offset:96
	buffer_store_dword v4, off, s[0:3], 0 offset:100
	s_and_saveexec_b64 s[4:5], vcc
	s_cbranch_execz .LBB119_327
; %bb.326:
	buffer_load_dword v3, off, s[0:3], 0 offset:88
	buffer_load_dword v4, off, s[0:3], 0 offset:92
	s_waitcnt vmcnt(0)
	ds_write_b64 v113, v[3:4]
	buffer_store_dword v114, off, s[0:3], 0 offset:88
	buffer_store_dword v114, off, s[0:3], 0 offset:92
.LBB119_327:
	s_or_b64 exec, exec, s[4:5]
	s_waitcnt lgkmcnt(0)
	; wave barrier
	buffer_load_dword v123, off, s[0:3], 0 offset:100
	buffer_load_dword v122, off, s[0:3], 0 offset:108
	;; [unrolled: 1-line block ×32, first 2 shown]
	ds_read_b128 v[129:132], v114 offset:544
	ds_read_b128 v[133:136], v114 offset:560
	ds_read_b128 v[137:140], v114 offset:576
	ds_read_b128 v[141:144], v114 offset:592
	buffer_load_dword v21, off, s[0:3], 0 offset:216
	buffer_load_dword v22, off, s[0:3], 0 offset:220
	ds_read_b128 v[145:148], v114 offset:608
	ds_read_b128 v[149:152], v114 offset:624
	;; [unrolled: 1-line block ×3, first 2 shown]
	buffer_load_dword v23, off, s[0:3], 0 offset:224
	buffer_load_dword v24, off, s[0:3], 0 offset:228
	;; [unrolled: 1-line block ×14, first 2 shown]
	v_cmp_lt_u32_e32 vcc, 10, v0
	s_waitcnt vmcnt(47) lgkmcnt(6)
	v_mul_f32_e32 v37, v129, v123
	s_waitcnt vmcnt(46)
	v_mul_f32_e32 v38, v131, v122
	s_waitcnt vmcnt(45) lgkmcnt(5)
	v_mul_f32_e32 v157, v133, v121
	s_waitcnt vmcnt(44)
	v_mul_f32_e32 v158, v135, v120
	;; [unrolled: 4-line block ×6, first 2 shown]
	s_waitcnt vmcnt(35)
	v_fmac_f32_e32 v157, v134, v3
	s_waitcnt vmcnt(34)
	v_fmac_f32_e32 v38, v132, v4
	;; [unrolled: 2-line block ×3, first 2 shown]
	v_add_f32_e32 v37, 0, v37
	v_add_f32_e32 v37, v37, v38
	buffer_load_dword v38, off, s[0:3], 0 offset:280
	buffer_load_dword v217, off, s[0:3], 0 offset:284
	s_waitcnt vmcnt(31)
	v_fmac_f32_e32 v158, v136, v9
	v_add_f32_e32 v37, v37, v157
	v_fmac_f32_e32 v159, v138, v8
	v_add_f32_e32 v37, v37, v158
	;; [unrolled: 2-line block ×3, first 2 shown]
	v_add_f32_e32 v37, v37, v160
	ds_read_b128 v[157:160], v114 offset:656
	buffer_load_dword v218, off, s[0:3], 0 offset:288
	buffer_load_dword v219, off, s[0:3], 0 offset:292
	;; [unrolled: 1-line block ×8, first 2 shown]
	v_fmac_f32_e32 v161, v142, v6
	buffer_load_dword v226, off, s[0:3], 0 offset:320
	buffer_load_dword v227, off, s[0:3], 0 offset:324
	;; [unrolled: 1-line block ×6, first 2 shown]
	s_waitcnt vmcnt(41)
	v_fmac_f32_e32 v162, v144, v13
	v_add_f32_e32 v37, v37, v161
	v_fmac_f32_e32 v163, v146, v12
	v_add_f32_e32 v37, v37, v162
	;; [unrolled: 2-line block ×4, first 2 shown]
	s_waitcnt vmcnt(37)
	v_fmac_f32_e32 v166, v152, v17
	v_add_f32_e32 v37, v37, v165
	s_waitcnt vmcnt(36) lgkmcnt(1)
	v_mul_f32_e32 v161, v153, v18
	buffer_load_dword v232, off, s[0:3], 0 offset:344
	buffer_load_dword v233, off, s[0:3], 0 offset:348
	v_add_f32_e32 v37, v37, v166
	v_fmac_f32_e32 v161, v154, v16
	v_add_f32_e32 v37, v37, v161
	s_waitcnt vmcnt(37)
	v_mul_f32_e32 v161, v155, v19
	v_fmac_f32_e32 v161, v156, v15
	v_add_f32_e32 v37, v37, v161
	s_waitcnt vmcnt(36) lgkmcnt(0)
	v_mul_f32_e32 v161, v157, v20
	v_fmac_f32_e32 v161, v158, v14
	v_add_f32_e32 v37, v37, v161
	ds_read_b128 v[161:164], v114 offset:672
	buffer_load_dword v234, off, s[0:3], 0 offset:352
	buffer_load_dword v235, off, s[0:3], 0 offset:356
	buffer_load_dword v236, off, s[0:3], 0 offset:364
	buffer_load_dword v237, off, s[0:3], 0 offset:368
	buffer_load_dword v238, off, s[0:3], 0 offset:372
	buffer_load_dword v239, off, s[0:3], 0 offset:360
	s_waitcnt vmcnt(38)
	v_mul_f32_e32 v165, v159, v22
	v_fmac_f32_e32 v165, v160, v21
	v_add_f32_e32 v37, v37, v165
	ds_read_b128 v[165:168], v114 offset:688
	buffer_load_dword v240, off, s[0:3], 0 offset:376
	buffer_load_dword v241, off, s[0:3], 0 offset:380
	;; [unrolled: 1-line block ×10, first 2 shown]
	s_waitcnt vmcnt(46) lgkmcnt(1)
	v_mul_f32_e32 v169, v161, v24
	v_fmac_f32_e32 v169, v162, v23
	v_add_f32_e32 v37, v37, v169
	s_waitcnt vmcnt(44)
	v_mul_f32_e32 v169, v163, v26
	v_fmac_f32_e32 v169, v164, v25
	v_add_f32_e32 v37, v37, v169
	s_waitcnt vmcnt(42) lgkmcnt(0)
	v_mul_f32_e32 v169, v165, v28
	buffer_load_dword v250, off, s[0:3], 0 offset:416
	buffer_load_dword v251, off, s[0:3], 0 offset:420
	;; [unrolled: 1-line block ×6, first 2 shown]
	v_fmac_f32_e32 v169, v166, v27
	s_waitcnt vmcnt(46)
	v_mul_f32_e32 v173, v167, v30
	v_add_f32_e32 v37, v37, v169
	v_fmac_f32_e32 v173, v168, v29
	ds_read_b128 v[169:172], v114 offset:704
	v_add_f32_e32 v37, v37, v173
	ds_read_b128 v[173:176], v114 offset:720
	buffer_load_dword v39, off, s[0:3], 0 offset:440
	buffer_load_dword v40, off, s[0:3], 0 offset:444
	s_waitcnt vmcnt(46) lgkmcnt(1)
	v_mul_f32_e32 v177, v169, v32
	v_fmac_f32_e32 v177, v170, v31
	v_add_f32_e32 v37, v37, v177
	s_waitcnt vmcnt(44)
	v_mul_f32_e32 v177, v171, v34
	v_fmac_f32_e32 v177, v172, v33
	v_add_f32_e32 v37, v37, v177
	s_waitcnt vmcnt(42) lgkmcnt(0)
	v_mul_f32_e32 v177, v173, v36
	v_fmac_f32_e32 v177, v174, v35
	v_add_f32_e32 v37, v37, v177
	ds_read_b128 v[177:180], v114 offset:736
	s_waitcnt vmcnt(40)
	v_mul_f32_e32 v181, v175, v217
	v_fmac_f32_e32 v181, v176, v38
	v_add_f32_e32 v37, v37, v181
	ds_read_b128 v[181:184], v114 offset:752
	s_waitcnt vmcnt(38) lgkmcnt(1)
	v_mul_f32_e32 v185, v177, v219
	v_fmac_f32_e32 v185, v178, v218
	v_add_f32_e32 v37, v37, v185
	s_waitcnt vmcnt(37)
	v_mul_f32_e32 v185, v179, v220
	s_waitcnt vmcnt(34)
	v_fmac_f32_e32 v185, v180, v223
	v_add_f32_e32 v37, v37, v185
	s_waitcnt lgkmcnt(0)
	v_mul_f32_e32 v185, v181, v222
	v_fmac_f32_e32 v185, v182, v221
	v_add_f32_e32 v37, v37, v185
	ds_read_b128 v[185:188], v114 offset:768
	s_waitcnt vmcnt(32)
	v_mul_f32_e32 v189, v183, v225
	v_fmac_f32_e32 v189, v184, v224
	v_add_f32_e32 v37, v37, v189
	ds_read_b128 v[189:192], v114 offset:784
	s_waitcnt vmcnt(30) lgkmcnt(1)
	v_mul_f32_e32 v193, v185, v227
	v_fmac_f32_e32 v193, v186, v226
	v_add_f32_e32 v37, v37, v193
	s_waitcnt vmcnt(29)
	v_mul_f32_e32 v193, v187, v228
	s_waitcnt vmcnt(26)
	v_fmac_f32_e32 v193, v188, v231
	v_add_f32_e32 v37, v37, v193
	s_waitcnt lgkmcnt(0)
	;; [unrolled: 19-line block ×5, first 2 shown]
	v_mul_f32_e32 v114, v213, v254
	v_fmac_f32_e32 v114, v214, v253
	v_add_f32_e32 v37, v37, v114
	s_waitcnt vmcnt(0)
	v_mul_f32_e32 v114, v215, v40
	v_fmac_f32_e32 v114, v216, v39
	v_add_f32_e32 v37, v37, v114
	v_mul_f32_e32 v114, v130, v123
	v_fma_f32 v5, v129, v5, -v114
	v_mul_f32_e32 v114, v132, v122
	v_add_f32_e32 v5, 0, v5
	v_fma_f32 v4, v131, v4, -v114
	v_add_f32_e32 v4, v5, v4
	v_mul_f32_e32 v5, v134, v121
	v_fma_f32 v3, v133, v3, -v5
	v_add_f32_e32 v3, v4, v3
	v_mul_f32_e32 v4, v136, v120
	;; [unrolled: 3-line block ×42, first 2 shown]
	v_fma_f32 v4, v215, v39, -v4
	v_add_f32_e32 v3, v3, v4
	v_sub_f32_e32 v3, v115, v3
	v_sub_f32_e32 v4, v116, v37
	buffer_store_dword v3, off, s[0:3], 0 offset:88
	buffer_store_dword v4, off, s[0:3], 0 offset:92
	s_and_saveexec_b64 s[4:5], vcc
	s_cbranch_execz .LBB119_329
; %bb.328:
	buffer_load_dword v3, off, s[0:3], 0 offset:80
	buffer_load_dword v4, off, s[0:3], 0 offset:84
	v_mov_b32_e32 v5, 0
	buffer_store_dword v5, off, s[0:3], 0 offset:80
	buffer_store_dword v5, off, s[0:3], 0 offset:84
	s_waitcnt vmcnt(2)
	ds_write_b64 v113, v[3:4]
.LBB119_329:
	s_or_b64 exec, exec, s[4:5]
	s_waitcnt lgkmcnt(0)
	; wave barrier
	buffer_load_dword v5, off, s[0:3], 0 offset:92
	buffer_load_dword v6, off, s[0:3], 0 offset:100
	;; [unrolled: 1-line block ×32, first 2 shown]
	v_mov_b32_e32 v114, 0
	buffer_load_dword v35, off, s[0:3], 0 offset:208
	buffer_load_dword v36, off, s[0:3], 0 offset:212
	buffer_load_dword v37, off, s[0:3], 0 offset:216
	buffer_load_dword v38, off, s[0:3], 0 offset:220
	buffer_load_dword v39, off, s[0:3], 0 offset:224
	buffer_load_dword v40, off, s[0:3], 0 offset:228
	buffer_load_dword v205, off, s[0:3], 0 offset:232
	buffer_load_dword v206, off, s[0:3], 0 offset:236
	buffer_load_dword v207, off, s[0:3], 0 offset:240
	buffer_load_dword v208, off, s[0:3], 0 offset:244
	buffer_load_dword v209, off, s[0:3], 0 offset:248
	buffer_load_dword v210, off, s[0:3], 0 offset:252
	buffer_load_dword v211, off, s[0:3], 0 offset:256
	buffer_load_dword v212, off, s[0:3], 0 offset:260
	buffer_load_dword v213, off, s[0:3], 0 offset:264
	buffer_load_dword v214, off, s[0:3], 0 offset:268
	ds_read2_b64 v[117:120], v114 offset0:67 offset1:68
	ds_read2_b64 v[121:124], v114 offset0:69 offset1:70
	;; [unrolled: 1-line block ×7, first 2 shown]
	v_cmp_lt_u32_e32 vcc, 9, v0
	s_waitcnt vmcnt(47) lgkmcnt(6)
	v_mul_f32_e32 v3, v117, v5
	s_waitcnt vmcnt(46)
	v_mul_f32_e32 v4, v119, v6
	s_waitcnt vmcnt(45) lgkmcnt(5)
	v_mul_f32_e32 v145, v121, v7
	s_waitcnt vmcnt(44)
	v_mul_f32_e32 v146, v123, v8
	;; [unrolled: 4-line block ×6, first 2 shown]
	s_waitcnt vmcnt(35)
	v_fmac_f32_e32 v145, v122, v17
	s_waitcnt vmcnt(34)
	v_fmac_f32_e32 v4, v120, v18
	;; [unrolled: 2-line block ×3, first 2 shown]
	v_add_f32_e32 v3, 0, v3
	v_add_f32_e32 v3, v3, v4
	;; [unrolled: 1-line block ×3, first 2 shown]
	s_waitcnt vmcnt(29)
	v_fmac_f32_e32 v146, v124, v23
	v_fmac_f32_e32 v147, v126, v22
	v_add_f32_e32 v3, v3, v146
	v_fmac_f32_e32 v148, v128, v21
	v_add_f32_e32 v3, v3, v147
	v_add_f32_e32 v3, v3, v148
	ds_read2_b64 v[145:148], v114 offset0:81 offset1:82
	buffer_load_dword v215, off, s[0:3], 0 offset:272
	buffer_load_dword v216, off, s[0:3], 0 offset:276
	;; [unrolled: 1-line block ×10, first 2 shown]
	v_fmac_f32_e32 v149, v130, v20
	s_waitcnt vmcnt(35)
	v_fmac_f32_e32 v150, v132, v27
	v_add_f32_e32 v3, v3, v149
	buffer_load_dword v225, off, s[0:3], 0 offset:312
	buffer_load_dword v226, off, s[0:3], 0 offset:316
	;; [unrolled: 1-line block ×6, first 2 shown]
	v_fmac_f32_e32 v151, v134, v26
	v_add_f32_e32 v3, v3, v150
	v_fmac_f32_e32 v152, v136, v25
	v_add_f32_e32 v3, v3, v151
	v_add_f32_e32 v3, v3, v152
	ds_read2_b64 v[149:152], v114 offset0:83 offset1:84
	buffer_load_dword v231, off, s[0:3], 0 offset:336
	buffer_load_dword v232, off, s[0:3], 0 offset:340
	v_fmac_f32_e32 v153, v138, v24
	s_waitcnt vmcnt(39)
	v_fmac_f32_e32 v154, v140, v31
	v_add_f32_e32 v3, v3, v153
	v_add_f32_e32 v3, v3, v154
	ds_read2_b64 v[153:156], v114 offset0:85 offset1:86
	buffer_load_dword v233, off, s[0:3], 0 offset:344
	buffer_load_dword v234, off, s[0:3], 0 offset:348
	;; [unrolled: 1-line block ×16, first 2 shown]
	ds_read2_b64 v[157:160], v114 offset0:87 offset1:88
	buffer_load_dword v249, off, s[0:3], 0 offset:408
	buffer_load_dword v250, off, s[0:3], 0 offset:412
	;; [unrolled: 1-line block ×6, first 2 shown]
	v_mul_f32_e32 v5, v118, v5
	v_fma_f32 v5, v117, v19, -v5
	v_mul_f32_e32 v6, v120, v6
	v_add_f32_e32 v5, 0, v5
	v_fma_f32 v6, v119, v18, -v6
	v_add_f32_e32 v5, v5, v6
	v_mul_f32_e32 v6, v122, v7
	ds_read2_b64 v[161:164], v114 offset0:89 offset1:90
	buffer_load_dword v255, off, s[0:3], 0 offset:436
	buffer_load_dword v41, off, s[0:3], 0 offset:440
	;; [unrolled: 1-line block ×4, first 2 shown]
	v_fma_f32 v6, v121, v17, -v6
	v_add_f32_e32 v5, v5, v6
	v_mul_f32_e32 v6, v124, v8
	v_fma_f32 v6, v123, v23, -v6
	v_add_f32_e32 v5, v5, v6
	v_mul_f32_e32 v6, v126, v9
	;; [unrolled: 3-line block ×8, first 2 shown]
	s_waitcnt vmcnt(62) lgkmcnt(5)
	v_mul_f32_e32 v4, v141, v32
	v_fma_f32 v6, v137, v24, -v6
	v_fmac_f32_e32 v4, v142, v30
	v_add_f32_e32 v5, v5, v6
	v_mul_f32_e32 v6, v140, v16
	v_add_f32_e32 v3, v3, v4
	v_mul_f32_e32 v4, v143, v33
	v_fma_f32 v6, v139, v31, -v6
	v_fmac_f32_e32 v4, v144, v29
	v_add_f32_e32 v5, v5, v6
	v_mul_f32_e32 v6, v142, v32
	v_add_f32_e32 v3, v3, v4
	s_waitcnt lgkmcnt(4)
	v_mul_f32_e32 v4, v145, v34
	v_fma_f32 v6, v141, v30, -v6
	v_fmac_f32_e32 v4, v146, v28
	v_add_f32_e32 v5, v5, v6
	v_mul_f32_e32 v6, v144, v33
	v_add_f32_e32 v3, v3, v4
	s_waitcnt vmcnt(58)
	v_mul_f32_e32 v4, v147, v36
	v_fma_f32 v6, v143, v29, -v6
	v_fmac_f32_e32 v4, v148, v35
	v_add_f32_e32 v5, v5, v6
	v_mul_f32_e32 v6, v146, v34
	v_add_f32_e32 v3, v3, v4
	s_waitcnt vmcnt(56) lgkmcnt(3)
	v_mul_f32_e32 v4, v149, v38
	v_fma_f32 v6, v145, v28, -v6
	v_fmac_f32_e32 v4, v150, v37
	v_add_f32_e32 v5, v5, v6
	v_mul_f32_e32 v6, v148, v36
	v_add_f32_e32 v3, v3, v4
	s_waitcnt vmcnt(54)
	v_mul_f32_e32 v4, v151, v40
	v_fma_f32 v6, v147, v35, -v6
	v_fmac_f32_e32 v4, v152, v39
	v_add_f32_e32 v5, v5, v6
	v_mul_f32_e32 v6, v150, v38
	v_add_f32_e32 v3, v3, v4
	s_waitcnt vmcnt(52) lgkmcnt(2)
	v_mul_f32_e32 v4, v153, v206
	v_fma_f32 v6, v149, v37, -v6
	v_fmac_f32_e32 v4, v154, v205
	v_add_f32_e32 v5, v5, v6
	v_mul_f32_e32 v6, v152, v40
	v_add_f32_e32 v3, v3, v4
	s_waitcnt vmcnt(50)
	v_mul_f32_e32 v4, v155, v208
	v_fma_f32 v6, v151, v39, -v6
	v_fmac_f32_e32 v4, v156, v207
	v_add_f32_e32 v5, v5, v6
	v_mul_f32_e32 v6, v154, v206
	v_add_f32_e32 v3, v3, v4
	s_waitcnt vmcnt(48) lgkmcnt(1)
	v_mul_f32_e32 v4, v157, v210
	v_fma_f32 v6, v153, v205, -v6
	v_fmac_f32_e32 v4, v158, v209
	v_add_f32_e32 v5, v5, v6
	v_mul_f32_e32 v6, v156, v208
	v_add_f32_e32 v3, v3, v4
	s_waitcnt vmcnt(46)
	v_mul_f32_e32 v4, v159, v212
	v_fma_f32 v6, v155, v207, -v6
	v_fmac_f32_e32 v4, v160, v211
	ds_read2_b64 v[165:168], v114 offset0:91 offset1:92
	ds_read2_b64 v[169:172], v114 offset0:93 offset1:94
	v_add_f32_e32 v5, v5, v6
	v_mul_f32_e32 v6, v158, v210
	v_add_f32_e32 v3, v3, v4
	s_waitcnt vmcnt(44) lgkmcnt(2)
	v_mul_f32_e32 v4, v161, v214
	v_fma_f32 v6, v157, v209, -v6
	v_fmac_f32_e32 v4, v162, v213
	v_add_f32_e32 v5, v5, v6
	v_mul_f32_e32 v6, v160, v212
	v_add_f32_e32 v3, v3, v4
	s_waitcnt vmcnt(42)
	v_mul_f32_e32 v4, v163, v216
	v_fma_f32 v6, v159, v211, -v6
	v_fmac_f32_e32 v4, v164, v215
	v_add_f32_e32 v5, v5, v6
	v_mul_f32_e32 v6, v162, v214
	v_add_f32_e32 v3, v3, v4
	s_waitcnt vmcnt(40) lgkmcnt(1)
	v_mul_f32_e32 v4, v165, v218
	v_fma_f32 v6, v161, v213, -v6
	v_fmac_f32_e32 v4, v166, v217
	v_add_f32_e32 v5, v5, v6
	v_mul_f32_e32 v6, v164, v216
	v_add_f32_e32 v3, v3, v4
	s_waitcnt vmcnt(39)
	v_mul_f32_e32 v4, v167, v219
	v_fma_f32 v6, v163, v215, -v6
	s_waitcnt vmcnt(36)
	v_fmac_f32_e32 v4, v168, v222
	ds_read2_b64 v[173:176], v114 offset0:95 offset1:96
	ds_read2_b64 v[177:180], v114 offset0:97 offset1:98
	v_add_f32_e32 v5, v5, v6
	v_mul_f32_e32 v6, v166, v218
	v_add_f32_e32 v3, v3, v4
	s_waitcnt lgkmcnt(2)
	v_mul_f32_e32 v4, v169, v221
	v_fma_f32 v6, v165, v217, -v6
	v_fmac_f32_e32 v4, v170, v220
	v_add_f32_e32 v5, v5, v6
	v_mul_f32_e32 v6, v168, v219
	v_add_f32_e32 v3, v3, v4
	s_waitcnt vmcnt(34)
	v_mul_f32_e32 v4, v171, v224
	v_fma_f32 v6, v167, v222, -v6
	v_fmac_f32_e32 v4, v172, v223
	v_add_f32_e32 v5, v5, v6
	v_mul_f32_e32 v6, v170, v221
	v_add_f32_e32 v3, v3, v4
	s_waitcnt vmcnt(32) lgkmcnt(1)
	v_mul_f32_e32 v4, v173, v226
	v_fma_f32 v6, v169, v220, -v6
	v_fmac_f32_e32 v4, v174, v225
	v_add_f32_e32 v5, v5, v6
	v_mul_f32_e32 v6, v172, v224
	v_add_f32_e32 v3, v3, v4
	s_waitcnt vmcnt(31)
	v_mul_f32_e32 v4, v175, v227
	v_fma_f32 v6, v171, v223, -v6
	s_waitcnt vmcnt(28)
	v_fmac_f32_e32 v4, v176, v230
	ds_read2_b64 v[181:184], v114 offset0:99 offset1:100
	ds_read2_b64 v[185:188], v114 offset0:101 offset1:102
	v_add_f32_e32 v5, v5, v6
	v_mul_f32_e32 v6, v174, v226
	v_add_f32_e32 v3, v3, v4
	s_waitcnt lgkmcnt(2)
	;; [unrolled: 31-line block ×4, first 2 shown]
	v_mul_f32_e32 v4, v193, v245
	v_fma_f32 v6, v189, v241, -v6
	v_fmac_f32_e32 v4, v194, v244
	v_add_f32_e32 v5, v5, v6
	v_mul_f32_e32 v6, v192, v243
	v_add_f32_e32 v3, v3, v4
	s_waitcnt vmcnt(10)
	v_mul_f32_e32 v4, v195, v248
	v_fma_f32 v6, v191, v246, -v6
	v_fmac_f32_e32 v4, v196, v247
	v_add_f32_e32 v5, v5, v6
	v_mul_f32_e32 v6, v194, v245
	v_add_f32_e32 v3, v3, v4
	s_waitcnt vmcnt(8) lgkmcnt(1)
	v_mul_f32_e32 v4, v197, v250
	v_fma_f32 v6, v193, v244, -v6
	v_fmac_f32_e32 v4, v198, v249
	v_add_f32_e32 v5, v5, v6
	v_mul_f32_e32 v6, v196, v248
	v_add_f32_e32 v3, v3, v4
	s_waitcnt vmcnt(7)
	v_mul_f32_e32 v4, v199, v251
	v_fma_f32 v6, v195, v247, -v6
	s_waitcnt vmcnt(4)
	v_fmac_f32_e32 v4, v200, v254
	v_add_f32_e32 v5, v5, v6
	v_mul_f32_e32 v6, v198, v250
	v_add_f32_e32 v44, v3, v4
	ds_read_b64 v[3:4], v114 offset:888
	v_fma_f32 v6, v197, v249, -v6
	s_waitcnt lgkmcnt(1)
	v_mul_f32_e32 v45, v201, v253
	v_add_f32_e32 v5, v5, v6
	v_mul_f32_e32 v6, v200, v251
	v_fmac_f32_e32 v45, v202, v252
	v_fma_f32 v6, v199, v254, -v6
	v_add_f32_e32 v44, v44, v45
	s_waitcnt vmcnt(3)
	v_mul_f32_e32 v45, v203, v255
	v_add_f32_e32 v5, v5, v6
	v_mul_f32_e32 v6, v202, v253
	s_waitcnt vmcnt(0)
	v_fmac_f32_e32 v45, v204, v43
	v_fma_f32 v6, v201, v252, -v6
	v_add_f32_e32 v44, v44, v45
	s_waitcnt lgkmcnt(0)
	v_mul_f32_e32 v45, v3, v42
	v_add_f32_e32 v5, v5, v6
	v_mul_f32_e32 v6, v204, v255
	v_fmac_f32_e32 v45, v4, v41
	v_fma_f32 v6, v203, v43, -v6
	v_mul_f32_e32 v4, v4, v42
	v_add_f32_e32 v5, v5, v6
	v_fma_f32 v3, v3, v41, -v4
	v_add_f32_e32 v3, v5, v3
	v_add_f32_e32 v44, v44, v45
	v_sub_f32_e32 v3, v115, v3
	v_sub_f32_e32 v4, v116, v44
	buffer_store_dword v3, off, s[0:3], 0 offset:80
	buffer_store_dword v4, off, s[0:3], 0 offset:84
	s_and_saveexec_b64 s[4:5], vcc
	s_cbranch_execz .LBB119_331
; %bb.330:
	buffer_load_dword v3, off, s[0:3], 0 offset:72
	buffer_load_dword v4, off, s[0:3], 0 offset:76
	s_waitcnt vmcnt(0)
	ds_write_b64 v113, v[3:4]
	buffer_store_dword v114, off, s[0:3], 0 offset:72
	buffer_store_dword v114, off, s[0:3], 0 offset:76
.LBB119_331:
	s_or_b64 exec, exec, s[4:5]
	s_waitcnt lgkmcnt(0)
	; wave barrier
	buffer_load_dword v123, off, s[0:3], 0 offset:84
	buffer_load_dword v122, off, s[0:3], 0 offset:92
	;; [unrolled: 1-line block ×33, first 2 shown]
	ds_read_b128 v[124:127], v114 offset:528
	ds_read_b128 v[128:131], v114 offset:544
	;; [unrolled: 1-line block ×6, first 2 shown]
	buffer_load_dword v27, off, s[0:3], 0 offset:200
	buffer_load_dword v28, off, s[0:3], 0 offset:212
	;; [unrolled: 1-line block ×7, first 2 shown]
	ds_read_b128 v[148:151], v114 offset:624
	ds_read_b128 v[152:155], v114 offset:640
	buffer_load_dword v34, off, s[0:3], 0 offset:232
	buffer_load_dword v35, off, s[0:3], 0 offset:236
	;; [unrolled: 1-line block ×8, first 2 shown]
	v_cmp_lt_u32_e32 vcc, 8, v0
	s_waitcnt vmcnt(47) lgkmcnt(7)
	v_mul_f32_e32 v42, v124, v123
	s_waitcnt vmcnt(46)
	v_mul_f32_e32 v43, v126, v122
	s_waitcnt vmcnt(45) lgkmcnt(6)
	v_mul_f32_e32 v44, v128, v121
	s_waitcnt vmcnt(44)
	v_mul_f32_e32 v45, v130, v120
	s_waitcnt vmcnt(43) lgkmcnt(5)
	v_mul_f32_e32 v46, v132, v119
	s_waitcnt vmcnt(42)
	v_mul_f32_e32 v156, v134, v118
	s_waitcnt vmcnt(41) lgkmcnt(4)
	v_mul_f32_e32 v157, v136, v117
	s_waitcnt vmcnt(40)
	v_mul_f32_e32 v158, v138, v3
	s_waitcnt vmcnt(39) lgkmcnt(3)
	v_mul_f32_e32 v159, v140, v4
	s_waitcnt vmcnt(38)
	v_mul_f32_e32 v160, v142, v5
	s_waitcnt vmcnt(37) lgkmcnt(2)
	v_mul_f32_e32 v161, v144, v6
	s_waitcnt vmcnt(36)
	v_mul_f32_e32 v162, v146, v7
	s_waitcnt vmcnt(35)
	v_fmac_f32_e32 v44, v129, v8
	s_waitcnt vmcnt(34)
	v_fmac_f32_e32 v43, v127, v9
	;; [unrolled: 2-line block ×3, first 2 shown]
	v_add_f32_e32 v42, 0, v42
	v_add_f32_e32 v42, v42, v43
	;; [unrolled: 1-line block ×3, first 2 shown]
	s_waitcnt vmcnt(29)
	v_fmac_f32_e32 v45, v131, v14
	v_fmac_f32_e32 v46, v133, v13
	v_add_f32_e32 v42, v42, v45
	v_fmac_f32_e32 v156, v135, v12
	v_add_f32_e32 v42, v42, v46
	;; [unrolled: 2-line block ×3, first 2 shown]
	s_waitcnt vmcnt(25)
	v_fmac_f32_e32 v158, v139, v18
	v_add_f32_e32 v42, v42, v157
	v_fmac_f32_e32 v159, v141, v17
	v_add_f32_e32 v42, v42, v158
	v_fmac_f32_e32 v160, v143, v16
	v_add_f32_e32 v42, v42, v159
	v_fmac_f32_e32 v161, v145, v15
	v_add_f32_e32 v42, v42, v160
	s_waitcnt vmcnt(21)
	v_fmac_f32_e32 v162, v147, v22
	v_add_f32_e32 v42, v42, v161
	s_waitcnt vmcnt(20) lgkmcnt(1)
	v_mul_f32_e32 v43, v148, v23
	v_add_f32_e32 v42, v42, v162
	v_fmac_f32_e32 v43, v149, v21
	v_add_f32_e32 v42, v42, v43
	buffer_load_dword v43, off, s[0:3], 0 offset:264
	buffer_load_dword v44, off, s[0:3], 0 offset:268
	;; [unrolled: 1-line block ×8, first 2 shown]
	s_waitcnt vmcnt(27)
	v_mul_f32_e32 v45, v150, v24
	v_fmac_f32_e32 v45, v151, v20
	v_add_f32_e32 v42, v42, v45
	s_waitcnt vmcnt(26) lgkmcnt(0)
	v_mul_f32_e32 v45, v152, v25
	v_fmac_f32_e32 v45, v153, v19
	v_add_f32_e32 v42, v42, v45
	buffer_load_dword v45, off, s[0:3], 0 offset:296
	buffer_load_dword v221, off, s[0:3], 0 offset:300
	ds_read_b128 v[156:159], v114 offset:656
	buffer_load_dword v222, off, s[0:3], 0 offset:304
	buffer_load_dword v223, off, s[0:3], 0 offset:308
	;; [unrolled: 1-line block ×6, first 2 shown]
	s_waitcnt vmcnt(33)
	v_mul_f32_e32 v160, v154, v26
	s_waitcnt vmcnt(30)
	v_fmac_f32_e32 v160, v155, v27
	v_add_f32_e32 v42, v42, v160
	ds_read_b128 v[160:163], v114 offset:672
	buffer_load_dword v228, off, s[0:3], 0 offset:328
	buffer_load_dword v229, off, s[0:3], 0 offset:332
	buffer_load_dword v230, off, s[0:3], 0 offset:336
	buffer_load_dword v231, off, s[0:3], 0 offset:340
	buffer_load_dword v232, off, s[0:3], 0 offset:348
	buffer_load_dword v233, off, s[0:3], 0 offset:352
	buffer_load_dword v234, off, s[0:3], 0 offset:356
	buffer_load_dword v235, off, s[0:3], 0 offset:344
	buffer_load_dword v236, off, s[0:3], 0 offset:360
	buffer_load_dword v237, off, s[0:3], 0 offset:364
	s_waitcnt vmcnt(39) lgkmcnt(1)
	v_mul_f32_e32 v164, v156, v28
	buffer_load_dword v238, off, s[0:3], 0 offset:368
	buffer_load_dword v239, off, s[0:3], 0 offset:372
	;; [unrolled: 1-line block ×6, first 2 shown]
	s_waitcnt vmcnt(40)
	v_fmac_f32_e32 v164, v157, v33
	v_add_f32_e32 v42, v42, v164
	v_mul_f32_e32 v164, v158, v30
	v_fmac_f32_e32 v164, v159, v29
	v_add_f32_e32 v42, v42, v164
	s_waitcnt lgkmcnt(0)
	v_mul_f32_e32 v164, v160, v32
	v_fmac_f32_e32 v164, v161, v31
	v_add_f32_e32 v42, v42, v164
	ds_read_b128 v[164:167], v114 offset:688
	buffer_load_dword v244, off, s[0:3], 0 offset:392
	buffer_load_dword v245, off, s[0:3], 0 offset:396
	s_waitcnt vmcnt(40)
	v_mul_f32_e32 v168, v162, v35
	v_fmac_f32_e32 v168, v163, v34
	v_add_f32_e32 v42, v42, v168
	ds_read_b128 v[168:171], v114 offset:704
	buffer_load_dword v246, off, s[0:3], 0 offset:400
	buffer_load_dword v247, off, s[0:3], 0 offset:404
	buffer_load_dword v248, off, s[0:3], 0 offset:412
	buffer_load_dword v249, off, s[0:3], 0 offset:416
	buffer_load_dword v250, off, s[0:3], 0 offset:420
	buffer_load_dword v251, off, s[0:3], 0 offset:408
	buffer_load_dword v252, off, s[0:3], 0 offset:424
	buffer_load_dword v253, off, s[0:3], 0 offset:428
	buffer_load_dword v254, off, s[0:3], 0 offset:436
	buffer_load_dword v255, off, s[0:3], 0 offset:440
	buffer_load_dword v47, off, s[0:3], 0 offset:444
	buffer_load_dword v48, off, s[0:3], 0 offset:432
	s_waitcnt vmcnt(50) lgkmcnt(1)
	v_mul_f32_e32 v172, v164, v37
	v_fmac_f32_e32 v172, v165, v36
	v_add_f32_e32 v42, v42, v172
	s_waitcnt vmcnt(48)
	v_mul_f32_e32 v172, v166, v39
	v_fmac_f32_e32 v172, v167, v38
	v_add_f32_e32 v42, v42, v172
	s_waitcnt vmcnt(46) lgkmcnt(0)
	v_mul_f32_e32 v172, v168, v41
	v_fmac_f32_e32 v172, v169, v40
	v_add_f32_e32 v42, v42, v172
	ds_read_b128 v[172:175], v114 offset:720
	v_mul_f32_e32 v3, v139, v3
	v_fma_f32 v3, v138, v18, -v3
	v_mul_f32_e32 v4, v141, v4
	v_fma_f32 v4, v140, v17, -v4
	s_waitcnt vmcnt(44)
	v_mul_f32_e32 v176, v170, v44
	v_fmac_f32_e32 v176, v171, v43
	v_add_f32_e32 v42, v42, v176
	ds_read_b128 v[176:179], v114 offset:736
	s_waitcnt vmcnt(42) lgkmcnt(1)
	v_mul_f32_e32 v180, v172, v216
	v_fmac_f32_e32 v180, v173, v46
	v_add_f32_e32 v42, v42, v180
	s_waitcnt vmcnt(41)
	v_mul_f32_e32 v180, v174, v217
	s_waitcnt vmcnt(38)
	v_fmac_f32_e32 v180, v175, v220
	v_add_f32_e32 v42, v42, v180
	s_waitcnt lgkmcnt(0)
	v_mul_f32_e32 v180, v176, v219
	v_fmac_f32_e32 v180, v177, v218
	v_add_f32_e32 v42, v42, v180
	ds_read_b128 v[180:183], v114 offset:752
	s_waitcnt vmcnt(36)
	v_mul_f32_e32 v184, v178, v221
	v_fmac_f32_e32 v184, v179, v45
	v_add_f32_e32 v42, v42, v184
	ds_read_b128 v[184:187], v114 offset:768
	s_waitcnt vmcnt(34) lgkmcnt(1)
	v_mul_f32_e32 v188, v180, v223
	v_fmac_f32_e32 v188, v181, v222
	v_add_f32_e32 v42, v42, v188
	s_waitcnt vmcnt(33)
	v_mul_f32_e32 v188, v182, v224
	s_waitcnt vmcnt(30)
	v_fmac_f32_e32 v188, v183, v227
	v_add_f32_e32 v42, v42, v188
	s_waitcnt lgkmcnt(0)
	v_mul_f32_e32 v188, v184, v226
	v_fmac_f32_e32 v188, v185, v225
	v_add_f32_e32 v42, v42, v188
	ds_read_b128 v[188:191], v114 offset:784
	;; [unrolled: 19-line block ×4, first 2 shown]
	s_waitcnt vmcnt(12)
	v_mul_f32_e32 v208, v202, v245
	v_fmac_f32_e32 v208, v203, v244
	v_add_f32_e32 v42, v42, v208
	ds_read_b128 v[208:211], v114 offset:864
	s_waitcnt vmcnt(10) lgkmcnt(1)
	v_mul_f32_e32 v212, v204, v247
	v_fmac_f32_e32 v212, v205, v246
	v_add_f32_e32 v42, v42, v212
	s_waitcnt vmcnt(9)
	v_mul_f32_e32 v212, v206, v248
	s_waitcnt vmcnt(6)
	v_fmac_f32_e32 v212, v207, v251
	v_add_f32_e32 v42, v42, v212
	ds_read_b128 v[212:215], v114 offset:880
	s_waitcnt lgkmcnt(1)
	v_mul_f32_e32 v49, v208, v250
	v_fmac_f32_e32 v49, v209, v249
	v_add_f32_e32 v42, v42, v49
	s_waitcnt vmcnt(4)
	v_mul_f32_e32 v49, v210, v253
	v_fmac_f32_e32 v49, v211, v252
	v_add_f32_e32 v42, v42, v49
	s_waitcnt vmcnt(3) lgkmcnt(0)
	v_mul_f32_e32 v49, v212, v254
	s_waitcnt vmcnt(0)
	v_fmac_f32_e32 v49, v213, v48
	v_add_f32_e32 v42, v42, v49
	v_mul_f32_e32 v49, v214, v47
	v_fmac_f32_e32 v49, v215, v255
	v_add_f32_e32 v42, v42, v49
	v_mul_f32_e32 v49, v125, v123
	v_fma_f32 v10, v124, v10, -v49
	v_mul_f32_e32 v49, v127, v122
	v_add_f32_e32 v10, 0, v10
	v_fma_f32 v9, v126, v9, -v49
	v_add_f32_e32 v9, v10, v9
	v_mul_f32_e32 v10, v129, v121
	v_fma_f32 v8, v128, v8, -v10
	v_add_f32_e32 v8, v9, v8
	v_mul_f32_e32 v9, v131, v120
	;; [unrolled: 3-line block ×5, first 2 shown]
	v_fma_f32 v9, v136, v11, -v9
	v_add_f32_e32 v8, v8, v9
	v_add_f32_e32 v3, v8, v3
	;; [unrolled: 1-line block ×3, first 2 shown]
	v_mul_f32_e32 v4, v143, v5
	v_fma_f32 v4, v142, v16, -v4
	v_add_f32_e32 v3, v3, v4
	v_mul_f32_e32 v4, v145, v6
	v_fma_f32 v4, v144, v15, -v4
	v_add_f32_e32 v3, v3, v4
	;; [unrolled: 3-line block ×37, first 2 shown]
	v_sub_f32_e32 v3, v115, v3
	v_sub_f32_e32 v4, v116, v42
	buffer_store_dword v3, off, s[0:3], 0 offset:72
	buffer_store_dword v4, off, s[0:3], 0 offset:76
	s_and_saveexec_b64 s[4:5], vcc
	s_cbranch_execz .LBB119_333
; %bb.332:
	buffer_load_dword v3, off, s[0:3], 0 offset:64
	buffer_load_dword v4, off, s[0:3], 0 offset:68
	v_mov_b32_e32 v5, 0
	buffer_store_dword v5, off, s[0:3], 0 offset:64
	buffer_store_dword v5, off, s[0:3], 0 offset:68
	s_waitcnt vmcnt(2)
	ds_write_b64 v113, v[3:4]
.LBB119_333:
	s_or_b64 exec, exec, s[4:5]
	s_waitcnt lgkmcnt(0)
	; wave barrier
	buffer_load_dword v121, off, s[0:3], 0 offset:76
	buffer_load_dword v120, off, s[0:3], 0 offset:84
	;; [unrolled: 1-line block ×40, first 2 shown]
	v_mov_b32_e32 v114, 0
	buffer_load_dword v36, off, s[0:3], 0 offset:224
	buffer_load_dword v37, off, s[0:3], 0 offset:228
	;; [unrolled: 1-line block ×8, first 2 shown]
	ds_read2_b64 v[124:127], v114 offset0:65 offset1:66
	ds_read2_b64 v[128:131], v114 offset0:67 offset1:68
	;; [unrolled: 1-line block ×7, first 2 shown]
	v_cmp_lt_u32_e32 vcc, 7, v0
	s_waitcnt vmcnt(47) lgkmcnt(6)
	v_mul_f32_e32 v3, v124, v121
	s_waitcnt vmcnt(46)
	v_mul_f32_e32 v4, v126, v120
	s_waitcnt vmcnt(45) lgkmcnt(5)
	v_mul_f32_e32 v44, v128, v119
	s_waitcnt vmcnt(44)
	v_mul_f32_e32 v45, v130, v118
	;; [unrolled: 4-line block ×6, first 2 shown]
	s_waitcnt vmcnt(35)
	v_fmac_f32_e32 v44, v129, v10
	s_waitcnt vmcnt(34)
	v_fmac_f32_e32 v4, v127, v11
	;; [unrolled: 2-line block ×3, first 2 shown]
	v_add_f32_e32 v3, 0, v3
	v_add_f32_e32 v3, v3, v4
	;; [unrolled: 1-line block ×3, first 2 shown]
	s_waitcnt vmcnt(29)
	v_fmac_f32_e32 v45, v131, v16
	v_fmac_f32_e32 v46, v133, v15
	v_add_f32_e32 v3, v3, v45
	v_fmac_f32_e32 v47, v135, v14
	v_add_f32_e32 v3, v3, v46
	;; [unrolled: 2-line block ×3, first 2 shown]
	s_waitcnt vmcnt(25)
	v_fmac_f32_e32 v49, v139, v20
	v_add_f32_e32 v3, v3, v48
	v_fmac_f32_e32 v50, v141, v19
	v_add_f32_e32 v3, v3, v49
	;; [unrolled: 2-line block ×4, first 2 shown]
	s_waitcnt vmcnt(21)
	v_fmac_f32_e32 v154, v147, v24
	v_add_f32_e32 v3, v3, v153
	v_add_f32_e32 v3, v3, v154
	ds_read2_b64 v[152:155], v114 offset0:79 offset1:80
	buffer_load_dword v44, off, s[0:3], 0 offset:256
	buffer_load_dword v45, off, s[0:3], 0 offset:260
	;; [unrolled: 1-line block ×10, first 2 shown]
	ds_read2_b64 v[156:159], v114 offset0:81 offset1:82
	buffer_load_dword v219, off, s[0:3], 0 offset:296
	buffer_load_dword v220, off, s[0:3], 0 offset:300
	;; [unrolled: 1-line block ×6, first 2 shown]
	ds_read2_b64 v[160:163], v114 offset0:83 offset1:84
	buffer_load_dword v225, off, s[0:3], 0 offset:320
	buffer_load_dword v226, off, s[0:3], 0 offset:324
	;; [unrolled: 1-line block ×10, first 2 shown]
	ds_read2_b64 v[164:167], v114 offset0:85 offset1:86
	buffer_load_dword v235, off, s[0:3], 0 offset:360
	buffer_load_dword v236, off, s[0:3], 0 offset:364
	;; [unrolled: 1-line block ×6, first 2 shown]
	ds_read2_b64 v[168:171], v114 offset0:87 offset1:88
	buffer_load_dword v241, off, s[0:3], 0 offset:384
	buffer_load_dword v242, off, s[0:3], 0 offset:388
	;; [unrolled: 1-line block ×16, first 2 shown]
	s_waitcnt vmcnt(62) lgkmcnt(5)
	v_mul_f32_e32 v4, v148, v25
	v_fmac_f32_e32 v4, v149, v23
	v_add_f32_e32 v3, v3, v4
	v_mul_f32_e32 v4, v150, v26
	v_fmac_f32_e32 v4, v151, v22
	v_add_f32_e32 v3, v3, v4
	s_waitcnt lgkmcnt(4)
	v_mul_f32_e32 v4, v152, v27
	v_fmac_f32_e32 v4, v153, v21
	v_add_f32_e32 v3, v3, v4
	v_mul_f32_e32 v4, v154, v28
	s_waitcnt vmcnt(58)
	v_fmac_f32_e32 v4, v155, v35
	v_add_f32_e32 v3, v3, v4
	s_waitcnt lgkmcnt(3)
	v_mul_f32_e32 v4, v156, v30
	v_fmac_f32_e32 v4, v157, v29
	v_add_f32_e32 v3, v3, v4
	v_mul_f32_e32 v4, v158, v32
	v_fmac_f32_e32 v4, v159, v31
	v_add_f32_e32 v3, v3, v4
	s_waitcnt lgkmcnt(2)
	v_mul_f32_e32 v4, v160, v34
	v_fmac_f32_e32 v4, v161, v33
	v_add_f32_e32 v3, v3, v4
	s_waitcnt vmcnt(54)
	v_mul_f32_e32 v4, v162, v37
	v_fmac_f32_e32 v4, v163, v36
	v_add_f32_e32 v3, v3, v4
	s_waitcnt vmcnt(52) lgkmcnt(1)
	v_mul_f32_e32 v4, v164, v39
	v_fmac_f32_e32 v4, v165, v38
	v_add_f32_e32 v3, v3, v4
	s_waitcnt vmcnt(50)
	v_mul_f32_e32 v4, v166, v41
	v_fmac_f32_e32 v4, v167, v40
	ds_read2_b64 v[172:175], v114 offset0:89 offset1:90
	ds_read2_b64 v[176:179], v114 offset0:91 offset1:92
	v_add_f32_e32 v3, v3, v4
	s_waitcnt vmcnt(48) lgkmcnt(2)
	v_mul_f32_e32 v4, v168, v43
	v_fmac_f32_e32 v4, v169, v42
	v_add_f32_e32 v3, v3, v4
	ds_read2_b64 v[180:183], v114 offset0:93 offset1:94
	ds_read2_b64 v[184:187], v114 offset0:95 offset1:96
	;; [unrolled: 1-line block ×9, first 2 shown]
	v_mul_f32_e32 v5, v139, v5
	v_fma_f32 v5, v138, v20, -v5
	v_mul_f32_e32 v6, v141, v6
	v_fma_f32 v6, v140, v19, -v6
	s_waitcnt vmcnt(46)
	v_mul_f32_e32 v4, v170, v45
	v_fmac_f32_e32 v4, v171, v44
	v_add_f32_e32 v3, v3, v4
	s_waitcnt vmcnt(44) lgkmcnt(10)
	v_mul_f32_e32 v4, v172, v47
	v_fmac_f32_e32 v4, v173, v46
	v_add_f32_e32 v3, v3, v4
	s_waitcnt vmcnt(43)
	v_mul_f32_e32 v4, v174, v48
	s_waitcnt vmcnt(40)
	v_fmac_f32_e32 v4, v175, v216
	v_add_f32_e32 v3, v3, v4
	s_waitcnt lgkmcnt(9)
	v_mul_f32_e32 v4, v176, v50
	v_fmac_f32_e32 v4, v177, v49
	v_add_f32_e32 v3, v3, v4
	s_waitcnt vmcnt(38)
	v_mul_f32_e32 v4, v178, v218
	v_fmac_f32_e32 v4, v179, v217
	v_add_f32_e32 v3, v3, v4
	s_waitcnt vmcnt(36) lgkmcnt(8)
	v_mul_f32_e32 v4, v180, v220
	v_fmac_f32_e32 v4, v181, v219
	v_add_f32_e32 v3, v3, v4
	s_waitcnt vmcnt(35)
	v_mul_f32_e32 v4, v182, v221
	s_waitcnt vmcnt(32)
	v_fmac_f32_e32 v4, v183, v224
	v_add_f32_e32 v3, v3, v4
	s_waitcnt lgkmcnt(7)
	v_mul_f32_e32 v4, v184, v223
	v_fmac_f32_e32 v4, v185, v222
	v_add_f32_e32 v3, v3, v4
	;; [unrolled: 17-line block ×5, first 2 shown]
	s_waitcnt vmcnt(6)
	v_mul_f32_e32 v4, v210, v250
	v_fmac_f32_e32 v4, v211, v249
	v_add_f32_e32 v52, v3, v4
	ds_read_b64 v[3:4], v114 offset:888
	s_waitcnt vmcnt(4) lgkmcnt(1)
	v_mul_f32_e32 v53, v212, v252
	v_fmac_f32_e32 v53, v213, v251
	v_add_f32_e32 v52, v52, v53
	s_waitcnt vmcnt(3)
	v_mul_f32_e32 v53, v214, v253
	s_waitcnt vmcnt(0)
	v_fmac_f32_e32 v53, v215, v51
	v_add_f32_e32 v52, v52, v53
	s_waitcnt lgkmcnt(0)
	v_mul_f32_e32 v53, v3, v255
	v_fmac_f32_e32 v53, v4, v254
	v_add_f32_e32 v52, v52, v53
	v_mul_f32_e32 v53, v125, v121
	v_fma_f32 v12, v124, v12, -v53
	v_mul_f32_e32 v53, v127, v120
	v_add_f32_e32 v12, 0, v12
	v_fma_f32 v11, v126, v11, -v53
	v_add_f32_e32 v11, v12, v11
	v_mul_f32_e32 v12, v129, v119
	v_fma_f32 v10, v128, v10, -v12
	v_add_f32_e32 v10, v11, v10
	v_mul_f32_e32 v11, v131, v118
	;; [unrolled: 3-line block ×5, first 2 shown]
	v_fma_f32 v11, v136, v13, -v11
	v_add_f32_e32 v10, v10, v11
	v_add_f32_e32 v5, v10, v5
	;; [unrolled: 1-line block ×3, first 2 shown]
	v_mul_f32_e32 v6, v143, v7
	v_fma_f32 v6, v142, v18, -v6
	v_add_f32_e32 v5, v5, v6
	v_mul_f32_e32 v6, v145, v8
	v_fma_f32 v6, v144, v17, -v6
	v_add_f32_e32 v5, v5, v6
	;; [unrolled: 3-line block ×36, first 2 shown]
	v_mul_f32_e32 v6, v215, v253
	v_fma_f32 v6, v214, v51, -v6
	v_mul_f32_e32 v4, v4, v255
	v_add_f32_e32 v5, v5, v6
	v_fma_f32 v3, v3, v254, -v4
	v_add_f32_e32 v3, v5, v3
	v_sub_f32_e32 v3, v122, v3
	v_sub_f32_e32 v4, v123, v52
	buffer_store_dword v3, off, s[0:3], 0 offset:64
	buffer_store_dword v4, off, s[0:3], 0 offset:68
	s_and_saveexec_b64 s[4:5], vcc
	s_cbranch_execz .LBB119_335
; %bb.334:
	buffer_load_dword v3, off, s[0:3], 0 offset:56
	buffer_load_dword v4, off, s[0:3], 0 offset:60
	s_waitcnt vmcnt(0)
	ds_write_b64 v113, v[3:4]
	buffer_store_dword v114, off, s[0:3], 0 offset:56
	buffer_store_dword v114, off, s[0:3], 0 offset:60
.LBB119_335:
	s_or_b64 exec, exec, s[4:5]
	s_waitcnt lgkmcnt(0)
	; wave barrier
	buffer_load_dword v121, off, s[0:3], 0 offset:68
	buffer_load_dword v120, off, s[0:3], 0 offset:76
	buffer_load_dword v119, off, s[0:3], 0 offset:84
	buffer_load_dword v118, off, s[0:3], 0 offset:92
	buffer_load_dword v117, off, s[0:3], 0 offset:100
	buffer_load_dword v116, off, s[0:3], 0 offset:108
	buffer_load_dword v115, off, s[0:3], 0 offset:116
	buffer_load_dword v124, off, s[0:3], 0 offset:124
	buffer_load_dword v125, off, s[0:3], 0 offset:132
	buffer_load_dword v126, off, s[0:3], 0 offset:140
	buffer_load_dword v127, off, s[0:3], 0 offset:148
	buffer_load_dword v128, off, s[0:3], 0 offset:156
	buffer_load_dword v134, off, s[0:3], 0 offset:80
	buffer_load_dword v137, off, s[0:3], 0 offset:72
	buffer_load_dword v140, off, s[0:3], 0 offset:64
	buffer_load_dword v131, off, s[0:3], 0 offset:112
	buffer_load_dword v133, off, s[0:3], 0 offset:104
	buffer_load_dword v136, off, s[0:3], 0 offset:96
	buffer_load_dword v139, off, s[0:3], 0 offset:88
	buffer_load_dword v129, off, s[0:3], 0 offset:144
	buffer_load_dword v130, off, s[0:3], 0 offset:136
	buffer_load_dword v132, off, s[0:3], 0 offset:128
	buffer_load_dword v135, off, s[0:3], 0 offset:120
	buffer_load_dword v138, off, s[0:3], 0 offset:176
	buffer_load_dword v141, off, s[0:3], 0 offset:168
	buffer_load_dword v143, off, s[0:3], 0 offset:160
	buffer_load_dword v147, off, s[0:3], 0 offset:152
	buffer_load_dword v146, off, s[0:3], 0 offset:164
	buffer_load_dword v144, off, s[0:3], 0 offset:172
	buffer_load_dword v142, off, s[0:3], 0 offset:180
	buffer_load_dword v145, off, s[0:3], 0 offset:188
	buffer_load_dword v148, off, s[0:3], 0 offset:192
	buffer_load_dword v149, off, s[0:3], 0 offset:196
	buffer_load_dword v150, off, s[0:3], 0 offset:200
	buffer_load_dword v151, off, s[0:3], 0 offset:204
	buffer_load_dword v3, off, s[0:3], 0 offset:208
	buffer_load_dword v4, off, s[0:3], 0 offset:212
	buffer_load_dword v5, off, s[0:3], 0 offset:184
	buffer_load_dword v122, off, s[0:3], 0 offset:56
	buffer_load_dword v123, off, s[0:3], 0 offset:60
	ds_read_b128 v[152:155], v114 offset:512
	ds_read_b128 v[156:159], v114 offset:528
	;; [unrolled: 1-line block ×7, first 2 shown]
	buffer_load_dword v6, off, s[0:3], 0 offset:216
	buffer_load_dword v7, off, s[0:3], 0 offset:220
	;; [unrolled: 1-line block ×8, first 2 shown]
	v_cmp_lt_u32_e32 vcc, 6, v0
	s_waitcnt vmcnt(47) lgkmcnt(6)
	v_mul_f32_e32 v14, v152, v121
	s_waitcnt vmcnt(46)
	v_mul_f32_e32 v15, v154, v120
	s_waitcnt vmcnt(45) lgkmcnt(5)
	v_mul_f32_e32 v16, v156, v119
	s_waitcnt vmcnt(44)
	v_mul_f32_e32 v17, v158, v118
	;; [unrolled: 4-line block ×6, first 2 shown]
	s_waitcnt vmcnt(35)
	v_fmac_f32_e32 v16, v157, v134
	s_waitcnt vmcnt(34)
	v_fmac_f32_e32 v15, v155, v137
	;; [unrolled: 2-line block ×3, first 2 shown]
	v_add_f32_e32 v14, 0, v14
	v_add_f32_e32 v14, v14, v15
	;; [unrolled: 1-line block ×3, first 2 shown]
	buffer_load_dword v15, off, s[0:3], 0 offset:248
	buffer_load_dword v16, off, s[0:3], 0 offset:252
	s_waitcnt vmcnt(31)
	v_fmac_f32_e32 v17, v159, v139
	v_fmac_f32_e32 v18, v161, v136
	v_add_f32_e32 v14, v14, v17
	v_fmac_f32_e32 v19, v163, v133
	v_add_f32_e32 v14, v14, v18
	;; [unrolled: 2-line block ×3, first 2 shown]
	s_waitcnt vmcnt(27)
	v_fmac_f32_e32 v21, v167, v135
	v_add_f32_e32 v14, v14, v20
	v_fmac_f32_e32 v22, v169, v132
	v_add_f32_e32 v14, v14, v21
	;; [unrolled: 2-line block ×4, first 2 shown]
	ds_read_b128 v[180:183], v114 offset:624
	s_waitcnt vmcnt(23)
	v_fmac_f32_e32 v25, v175, v147
	v_add_f32_e32 v14, v14, v24
	s_waitcnt vmcnt(22) lgkmcnt(1)
	v_mul_f32_e32 v17, v176, v146
	v_add_f32_e32 v14, v14, v25
	v_fmac_f32_e32 v17, v177, v143
	v_add_f32_e32 v14, v14, v17
	s_waitcnt vmcnt(21)
	v_mul_f32_e32 v17, v178, v144
	v_fmac_f32_e32 v17, v179, v141
	v_add_f32_e32 v14, v14, v17
	s_waitcnt vmcnt(20) lgkmcnt(0)
	v_mul_f32_e32 v17, v180, v142
	v_fmac_f32_e32 v17, v181, v138
	v_add_f32_e32 v14, v14, v17
	buffer_load_dword v17, off, s[0:3], 0 offset:256
	buffer_load_dword v18, off, s[0:3], 0 offset:260
	;; [unrolled: 1-line block ×6, first 2 shown]
	s_waitcnt vmcnt(25)
	v_mul_f32_e32 v23, v182, v145
	s_waitcnt vmcnt(18)
	v_fmac_f32_e32 v23, v183, v5
	ds_read_b128 v[184:187], v114 offset:640
	v_add_f32_e32 v14, v14, v23
	buffer_load_dword v23, off, s[0:3], 0 offset:280
	buffer_load_dword v24, off, s[0:3], 0 offset:284
	ds_read_b128 v[188:191], v114 offset:656
	buffer_load_dword v26, off, s[0:3], 0 offset:288
	buffer_load_dword v27, off, s[0:3], 0 offset:292
	;; [unrolled: 1-line block ×14, first 2 shown]
	s_waitcnt lgkmcnt(1)
	v_mul_f32_e32 v25, v184, v149
	v_fmac_f32_e32 v25, v185, v148
	v_add_f32_e32 v14, v14, v25
	v_mul_f32_e32 v25, v186, v151
	buffer_load_dword v40, off, s[0:3], 0 offset:344
	buffer_load_dword v41, off, s[0:3], 0 offset:348
	v_fmac_f32_e32 v25, v187, v150
	v_add_f32_e32 v14, v14, v25
	s_waitcnt lgkmcnt(0)
	v_mul_f32_e32 v25, v188, v4
	v_fmac_f32_e32 v25, v189, v3
	v_add_f32_e32 v14, v14, v25
	s_waitcnt vmcnt(32)
	v_mul_f32_e32 v25, v190, v7
	ds_read_b128 v[192:195], v114 offset:672
	v_fmac_f32_e32 v25, v191, v6
	v_add_f32_e32 v14, v14, v25
	buffer_load_dword v25, off, s[0:3], 0 offset:352
	buffer_load_dword v42, off, s[0:3], 0 offset:356
	;; [unrolled: 1-line block ×6, first 2 shown]
	ds_read_b128 v[196:199], v114 offset:688
	s_waitcnt vmcnt(36) lgkmcnt(1)
	v_mul_f32_e32 v47, v192, v9
	v_fmac_f32_e32 v47, v193, v8
	v_add_f32_e32 v14, v14, v47
	buffer_load_dword v47, off, s[0:3], 0 offset:376
	buffer_load_dword v48, off, s[0:3], 0 offset:380
	;; [unrolled: 1-line block ×8, first 2 shown]
	s_waitcnt vmcnt(42)
	v_mul_f32_e32 v49, v194, v11
	v_fmac_f32_e32 v49, v195, v10
	v_add_f32_e32 v14, v14, v49
	s_waitcnt vmcnt(40) lgkmcnt(0)
	v_mul_f32_e32 v49, v196, v13
	v_fmac_f32_e32 v49, v197, v12
	v_add_f32_e32 v14, v14, v49
	buffer_load_dword v49, off, s[0:3], 0 offset:408
	buffer_load_dword v249, off, s[0:3], 0 offset:412
	;; [unrolled: 1-line block ×8, first 2 shown]
	ds_read_b128 v[200:203], v114 offset:704
	v_mul_f32_e32 v120, v155, v120
	v_fma_f32 v120, v154, v137, -v120
	v_mul_f32_e32 v119, v157, v119
	v_fma_f32 v119, v156, v134, -v119
	;; [unrolled: 2-line block ×5, first 2 shown]
	v_mul_f32_e32 v115, v165, v115
	s_waitcnt vmcnt(46)
	v_mul_f32_e32 v204, v198, v16
	v_fmac_f32_e32 v204, v199, v15
	v_add_f32_e32 v14, v14, v204
	ds_read_b128 v[204:207], v114 offset:720
	buffer_load_dword v55, off, s[0:3], 0 offset:440
	buffer_load_dword v56, off, s[0:3], 0 offset:444
	v_fma_f32 v115, v164, v131, -v115
	v_mul_f32_e32 v4, v189, v4
	v_fma_f32 v3, v188, v3, -v4
	v_mul_f32_e32 v4, v191, v7
	v_fma_f32 v4, v190, v6, -v4
	s_waitcnt vmcnt(46) lgkmcnt(1)
	v_mul_f32_e32 v208, v200, v18
	v_fmac_f32_e32 v208, v201, v17
	v_add_f32_e32 v14, v14, v208
	s_waitcnt vmcnt(45)
	v_mul_f32_e32 v208, v202, v19
	s_waitcnt vmcnt(42)
	v_fmac_f32_e32 v208, v203, v22
	v_add_f32_e32 v14, v14, v208
	s_waitcnt lgkmcnt(0)
	v_mul_f32_e32 v208, v204, v21
	v_fmac_f32_e32 v208, v205, v20
	v_add_f32_e32 v14, v14, v208
	ds_read_b128 v[208:211], v114 offset:736
	s_waitcnt vmcnt(40)
	v_mul_f32_e32 v212, v206, v24
	v_fmac_f32_e32 v212, v207, v23
	v_add_f32_e32 v14, v14, v212
	ds_read_b128 v[212:215], v114 offset:752
	s_waitcnt vmcnt(38) lgkmcnt(1)
	v_mul_f32_e32 v216, v208, v27
	v_fmac_f32_e32 v216, v209, v26
	v_add_f32_e32 v14, v14, v216
	s_waitcnt vmcnt(37)
	v_mul_f32_e32 v216, v210, v28
	s_waitcnt vmcnt(34)
	v_fmac_f32_e32 v216, v211, v31
	v_add_f32_e32 v14, v14, v216
	s_waitcnt lgkmcnt(0)
	v_mul_f32_e32 v216, v212, v30
	v_fmac_f32_e32 v216, v213, v29
	v_add_f32_e32 v14, v14, v216
	ds_read_b128 v[216:219], v114 offset:768
	s_waitcnt vmcnt(32)
	v_mul_f32_e32 v220, v214, v33
	v_fmac_f32_e32 v220, v215, v32
	v_add_f32_e32 v14, v14, v220
	ds_read_b128 v[220:223], v114 offset:784
	;; [unrolled: 19-line block ×5, first 2 shown]
	s_waitcnt vmcnt(6) lgkmcnt(1)
	v_mul_f32_e32 v114, v240, v251
	v_fmac_f32_e32 v114, v241, v250
	v_add_f32_e32 v14, v14, v114
	s_waitcnt vmcnt(5)
	v_mul_f32_e32 v114, v242, v252
	s_waitcnt vmcnt(2)
	v_fmac_f32_e32 v114, v243, v255
	v_add_f32_e32 v14, v14, v114
	s_waitcnt lgkmcnt(0)
	v_mul_f32_e32 v114, v244, v254
	v_fmac_f32_e32 v114, v245, v253
	v_add_f32_e32 v14, v14, v114
	s_waitcnt vmcnt(0)
	v_mul_f32_e32 v114, v246, v56
	v_fmac_f32_e32 v114, v247, v55
	v_add_f32_e32 v14, v14, v114
	v_mul_f32_e32 v114, v153, v121
	v_fma_f32 v114, v152, v140, -v114
	v_add_f32_e32 v114, 0, v114
	v_add_f32_e32 v114, v114, v120
	;; [unrolled: 1-line block ×7, first 2 shown]
	v_mul_f32_e32 v115, v167, v124
	v_fma_f32 v115, v166, v135, -v115
	v_add_f32_e32 v114, v114, v115
	v_mul_f32_e32 v115, v169, v125
	v_fma_f32 v115, v168, v132, -v115
	v_add_f32_e32 v114, v114, v115
	;; [unrolled: 3-line block ×11, first 2 shown]
	v_add_f32_e32 v3, v5, v3
	v_add_f32_e32 v3, v3, v4
	v_mul_f32_e32 v4, v193, v9
	v_fma_f32 v4, v192, v8, -v4
	v_add_f32_e32 v3, v3, v4
	v_mul_f32_e32 v4, v195, v11
	v_fma_f32 v4, v194, v10, -v4
	;; [unrolled: 3-line block ×28, first 2 shown]
	v_add_f32_e32 v3, v3, v4
	v_sub_f32_e32 v3, v122, v3
	v_sub_f32_e32 v4, v123, v14
	buffer_store_dword v3, off, s[0:3], 0 offset:56
	buffer_store_dword v4, off, s[0:3], 0 offset:60
	s_and_saveexec_b64 s[4:5], vcc
	s_cbranch_execz .LBB119_337
; %bb.336:
	buffer_load_dword v3, off, s[0:3], 0 offset:48
	buffer_load_dword v4, off, s[0:3], 0 offset:52
	v_mov_b32_e32 v5, 0
	buffer_store_dword v5, off, s[0:3], 0 offset:48
	buffer_store_dword v5, off, s[0:3], 0 offset:52
	s_waitcnt vmcnt(2)
	ds_write_b64 v113, v[3:4]
.LBB119_337:
	s_or_b64 exec, exec, s[4:5]
	s_waitcnt lgkmcnt(0)
	; wave barrier
	buffer_load_dword v121, off, s[0:3], 0 offset:60
	buffer_load_dword v120, off, s[0:3], 0 offset:68
	;; [unrolled: 1-line block ×40, first 2 shown]
	v_mov_b32_e32 v114, 0
	buffer_load_dword v32, off, s[0:3], 0 offset:208
	buffer_load_dword v33, off, s[0:3], 0 offset:212
	;; [unrolled: 1-line block ×10, first 2 shown]
	ds_read2_b64 v[128:131], v114 offset0:63 offset1:64
	ds_read2_b64 v[132:135], v114 offset0:65 offset1:66
	;; [unrolled: 1-line block ×8, first 2 shown]
	v_cmp_lt_u32_e32 vcc, 5, v0
	s_waitcnt vmcnt(49) lgkmcnt(7)
	v_mul_f32_e32 v3, v128, v121
	s_waitcnt vmcnt(48)
	v_mul_f32_e32 v4, v130, v120
	s_waitcnt vmcnt(47) lgkmcnt(6)
	v_mul_f32_e32 v42, v132, v119
	s_waitcnt vmcnt(46)
	v_mul_f32_e32 v43, v134, v118
	;; [unrolled: 4-line block ×5, first 2 shown]
	s_waitcnt vmcnt(39) lgkmcnt(2)
	v_mul_f32_e32 v50, v148, v127
	s_waitcnt vmcnt(38)
	v_fmac_f32_e32 v42, v133, v5
	s_waitcnt vmcnt(37)
	v_fmac_f32_e32 v4, v131, v6
	;; [unrolled: 2-line block ×3, first 2 shown]
	v_add_f32_e32 v3, 0, v3
	v_add_f32_e32 v3, v3, v4
	;; [unrolled: 1-line block ×3, first 2 shown]
	s_waitcnt vmcnt(32)
	v_fmac_f32_e32 v43, v135, v11
	v_fmac_f32_e32 v44, v137, v10
	v_add_f32_e32 v3, v3, v43
	v_fmac_f32_e32 v45, v139, v9
	v_add_f32_e32 v3, v3, v44
	buffer_load_dword v42, off, s[0:3], 0 offset:248
	buffer_load_dword v43, off, s[0:3], 0 offset:252
	v_fmac_f32_e32 v46, v141, v8
	v_add_f32_e32 v3, v3, v45
	s_waitcnt vmcnt(30)
	v_fmac_f32_e32 v47, v143, v15
	v_add_f32_e32 v3, v3, v46
	v_add_f32_e32 v3, v3, v47
	ds_read2_b64 v[160:163], v114 offset0:79 offset1:80
	buffer_load_dword v44, off, s[0:3], 0 offset:260
	buffer_load_dword v45, off, s[0:3], 0 offset:264
	;; [unrolled: 1-line block ×4, first 2 shown]
	v_fmac_f32_e32 v48, v145, v14
	v_fmac_f32_e32 v49, v147, v13
	v_add_f32_e32 v3, v3, v48
	v_add_f32_e32 v3, v3, v49
	ds_read2_b64 v[164:167], v114 offset0:81 offset1:82
	buffer_load_dword v48, off, s[0:3], 0 offset:272
	buffer_load_dword v49, off, s[0:3], 0 offset:276
	v_fmac_f32_e32 v50, v149, v12
	v_add_f32_e32 v3, v3, v50
	buffer_load_dword v50, off, s[0:3], 0 offset:280
	buffer_load_dword v51, off, s[0:3], 0 offset:284
	;; [unrolled: 1-line block ×14, first 2 shown]
	ds_read2_b64 v[168:171], v114 offset0:83 offset1:84
	buffer_load_dword v231, off, s[0:3], 0 offset:336
	buffer_load_dword v232, off, s[0:3], 0 offset:340
	ds_read2_b64 v[172:175], v114 offset0:85 offset1:86
	buffer_load_dword v233, off, s[0:3], 0 offset:344
	buffer_load_dword v234, off, s[0:3], 0 offset:348
	buffer_load_dword v235, off, s[0:3], 0 offset:356
	buffer_load_dword v236, off, s[0:3], 0 offset:360
	buffer_load_dword v237, off, s[0:3], 0 offset:364
	buffer_load_dword v238, off, s[0:3], 0 offset:352
	buffer_load_dword v239, off, s[0:3], 0 offset:368
	buffer_load_dword v240, off, s[0:3], 0 offset:372
	buffer_load_dword v241, off, s[0:3], 0 offset:376
	buffer_load_dword v242, off, s[0:3], 0 offset:380
	buffer_load_dword v243, off, s[0:3], 0 offset:388
	buffer_load_dword v244, off, s[0:3], 0 offset:392
	buffer_load_dword v245, off, s[0:3], 0 offset:396
	buffer_load_dword v246, off, s[0:3], 0 offset:384
	buffer_load_dword v247, off, s[0:3], 0 offset:400
	buffer_load_dword v248, off, s[0:3], 0 offset:404
	ds_read2_b64 v[176:179], v114 offset0:87 offset1:88
	buffer_load_dword v249, off, s[0:3], 0 offset:408
	buffer_load_dword v250, off, s[0:3], 0 offset:412
	;; [unrolled: 1-line block ×6, first 2 shown]
	ds_read2_b64 v[180:183], v114 offset0:89 offset1:90
	buffer_load_dword v255, off, s[0:3], 0 offset:436
	buffer_load_dword v57, off, s[0:3], 0 offset:440
	;; [unrolled: 1-line block ×4, first 2 shown]
	s_waitcnt vmcnt(62)
	v_mul_f32_e32 v4, v150, v16
	v_fmac_f32_e32 v4, v151, v20
	v_add_f32_e32 v3, v3, v4
	s_waitcnt lgkmcnt(7)
	v_mul_f32_e32 v4, v152, v21
	v_fmac_f32_e32 v4, v153, v19
	v_add_f32_e32 v3, v3, v4
	v_mul_f32_e32 v4, v154, v22
	v_fmac_f32_e32 v4, v155, v18
	v_add_f32_e32 v3, v3, v4
	s_waitcnt lgkmcnt(6)
	v_mul_f32_e32 v4, v156, v23
	v_fmac_f32_e32 v4, v157, v17
	v_add_f32_e32 v3, v3, v4
	;; [unrolled: 7-line block ×4, first 2 shown]
	s_waitcnt vmcnt(58)
	v_mul_f32_e32 v4, v166, v33
	v_fmac_f32_e32 v4, v167, v32
	v_add_f32_e32 v3, v3, v4
	s_waitcnt vmcnt(56) lgkmcnt(3)
	v_mul_f32_e32 v4, v168, v35
	v_fmac_f32_e32 v4, v169, v34
	v_add_f32_e32 v3, v3, v4
	s_waitcnt vmcnt(54)
	v_mul_f32_e32 v4, v170, v37
	v_fmac_f32_e32 v4, v171, v36
	v_add_f32_e32 v3, v3, v4
	s_waitcnt vmcnt(52) lgkmcnt(2)
	v_mul_f32_e32 v4, v172, v39
	v_fmac_f32_e32 v4, v173, v38
	v_add_f32_e32 v3, v3, v4
	s_waitcnt vmcnt(50)
	v_mul_f32_e32 v4, v174, v41
	v_fmac_f32_e32 v4, v175, v40
	v_add_f32_e32 v3, v3, v4
	ds_read2_b64 v[184:187], v114 offset0:91 offset1:92
	ds_read2_b64 v[188:191], v114 offset0:93 offset1:94
	;; [unrolled: 1-line block ×10, first 2 shown]
	s_waitcnt vmcnt(48) lgkmcnt(11)
	v_mul_f32_e32 v4, v176, v43
	v_fmac_f32_e32 v4, v177, v42
	v_add_f32_e32 v3, v3, v4
	s_waitcnt vmcnt(47)
	v_mul_f32_e32 v4, v178, v44
	s_waitcnt vmcnt(44)
	v_fmac_f32_e32 v4, v179, v47
	v_add_f32_e32 v3, v3, v4
	s_waitcnt lgkmcnt(10)
	v_mul_f32_e32 v4, v180, v46
	v_fmac_f32_e32 v4, v181, v45
	v_add_f32_e32 v3, v3, v4
	s_waitcnt vmcnt(42)
	v_mul_f32_e32 v4, v182, v49
	v_fmac_f32_e32 v4, v183, v48
	v_add_f32_e32 v3, v3, v4
	s_waitcnt vmcnt(40) lgkmcnt(9)
	v_mul_f32_e32 v4, v184, v51
	v_fmac_f32_e32 v4, v185, v50
	v_add_f32_e32 v3, v3, v4
	s_waitcnt vmcnt(39)
	v_mul_f32_e32 v4, v186, v52
	s_waitcnt vmcnt(36)
	v_fmac_f32_e32 v4, v187, v55
	v_add_f32_e32 v3, v3, v4
	s_waitcnt lgkmcnt(8)
	v_mul_f32_e32 v4, v188, v54
	v_fmac_f32_e32 v4, v189, v53
	v_add_f32_e32 v3, v3, v4
	s_waitcnt vmcnt(34)
	v_mul_f32_e32 v4, v190, v224
	v_fmac_f32_e32 v4, v191, v56
	v_add_f32_e32 v3, v3, v4
	;; [unrolled: 17-line block ×5, first 2 shown]
	s_waitcnt vmcnt(8) lgkmcnt(1)
	v_mul_f32_e32 v4, v216, v250
	v_fmac_f32_e32 v4, v217, v249
	v_add_f32_e32 v3, v3, v4
	s_waitcnt vmcnt(7)
	v_mul_f32_e32 v4, v218, v251
	s_waitcnt vmcnt(4)
	v_fmac_f32_e32 v4, v219, v254
	v_add_f32_e32 v60, v3, v4
	ds_read_b64 v[3:4], v114 offset:888
	s_waitcnt lgkmcnt(1)
	v_mul_f32_e32 v61, v220, v253
	v_fmac_f32_e32 v61, v221, v252
	v_add_f32_e32 v60, v60, v61
	s_waitcnt vmcnt(3)
	v_mul_f32_e32 v61, v222, v255
	s_waitcnt vmcnt(0)
	v_fmac_f32_e32 v61, v223, v59
	v_add_f32_e32 v60, v60, v61
	s_waitcnt lgkmcnt(0)
	v_mul_f32_e32 v61, v3, v58
	v_fmac_f32_e32 v61, v4, v57
	v_add_f32_e32 v60, v60, v61
	v_mul_f32_e32 v61, v129, v121
	v_fma_f32 v7, v128, v7, -v61
	v_mul_f32_e32 v61, v131, v120
	v_add_f32_e32 v7, 0, v7
	v_fma_f32 v6, v130, v6, -v61
	v_add_f32_e32 v6, v7, v6
	v_mul_f32_e32 v7, v133, v119
	v_fma_f32 v5, v132, v5, -v7
	v_add_f32_e32 v5, v6, v5
	v_mul_f32_e32 v6, v135, v118
	v_fma_f32 v6, v134, v11, -v6
	v_add_f32_e32 v5, v5, v6
	v_mul_f32_e32 v6, v137, v117
	v_fma_f32 v6, v136, v10, -v6
	v_add_f32_e32 v5, v5, v6
	v_mul_f32_e32 v6, v139, v116
	v_fma_f32 v6, v138, v9, -v6
	v_add_f32_e32 v5, v5, v6
	v_mul_f32_e32 v6, v141, v115
	v_fma_f32 v6, v140, v8, -v6
	v_add_f32_e32 v5, v5, v6
	v_mul_f32_e32 v6, v143, v124
	v_fma_f32 v6, v142, v15, -v6
	v_add_f32_e32 v5, v5, v6
	v_mul_f32_e32 v6, v145, v125
	v_fma_f32 v6, v144, v14, -v6
	v_add_f32_e32 v5, v5, v6
	v_mul_f32_e32 v6, v147, v126
	v_fma_f32 v6, v146, v13, -v6
	v_add_f32_e32 v5, v5, v6
	v_mul_f32_e32 v6, v149, v127
	v_fma_f32 v6, v148, v12, -v6
	v_add_f32_e32 v5, v5, v6
	v_mul_f32_e32 v6, v151, v16
	v_fma_f32 v6, v150, v20, -v6
	v_add_f32_e32 v5, v5, v6
	v_mul_f32_e32 v6, v153, v21
	v_fma_f32 v6, v152, v19, -v6
	v_add_f32_e32 v5, v5, v6
	v_mul_f32_e32 v6, v155, v22
	v_fma_f32 v6, v154, v18, -v6
	v_add_f32_e32 v5, v5, v6
	v_mul_f32_e32 v6, v157, v23
	v_fma_f32 v6, v156, v17, -v6
	v_add_f32_e32 v5, v5, v6
	v_mul_f32_e32 v6, v159, v24
	v_fma_f32 v6, v158, v30, -v6
	v_add_f32_e32 v5, v5, v6
	v_mul_f32_e32 v6, v161, v31
	v_fma_f32 v6, v160, v29, -v6
	v_add_f32_e32 v5, v5, v6
	v_mul_f32_e32 v6, v163, v26
	v_fma_f32 v6, v162, v25, -v6
	v_add_f32_e32 v5, v5, v6
	v_mul_f32_e32 v6, v165, v28
	v_fma_f32 v6, v164, v27, -v6
	v_add_f32_e32 v5, v5, v6
	v_mul_f32_e32 v6, v167, v33
	v_fma_f32 v6, v166, v32, -v6
	v_add_f32_e32 v5, v5, v6
	v_mul_f32_e32 v6, v169, v35
	v_fma_f32 v6, v168, v34, -v6
	v_add_f32_e32 v5, v5, v6
	v_mul_f32_e32 v6, v171, v37
	v_fma_f32 v6, v170, v36, -v6
	v_add_f32_e32 v5, v5, v6
	v_mul_f32_e32 v6, v173, v39
	v_fma_f32 v6, v172, v38, -v6
	v_add_f32_e32 v5, v5, v6
	v_mul_f32_e32 v6, v175, v41
	v_fma_f32 v6, v174, v40, -v6
	v_add_f32_e32 v5, v5, v6
	v_mul_f32_e32 v6, v177, v43
	v_fma_f32 v6, v176, v42, -v6
	v_add_f32_e32 v5, v5, v6
	v_mul_f32_e32 v6, v179, v44
	v_fma_f32 v6, v178, v47, -v6
	v_add_f32_e32 v5, v5, v6
	v_mul_f32_e32 v6, v181, v46
	v_fma_f32 v6, v180, v45, -v6
	v_add_f32_e32 v5, v5, v6
	v_mul_f32_e32 v6, v183, v49
	v_fma_f32 v6, v182, v48, -v6
	v_add_f32_e32 v5, v5, v6
	v_mul_f32_e32 v6, v185, v51
	v_fma_f32 v6, v184, v50, -v6
	v_add_f32_e32 v5, v5, v6
	v_mul_f32_e32 v6, v187, v52
	v_fma_f32 v6, v186, v55, -v6
	v_add_f32_e32 v5, v5, v6
	v_mul_f32_e32 v6, v189, v54
	v_fma_f32 v6, v188, v53, -v6
	v_add_f32_e32 v5, v5, v6
	v_mul_f32_e32 v6, v191, v224
	v_fma_f32 v6, v190, v56, -v6
	v_add_f32_e32 v5, v5, v6
	v_mul_f32_e32 v6, v193, v226
	v_fma_f32 v6, v192, v225, -v6
	v_add_f32_e32 v5, v5, v6
	v_mul_f32_e32 v6, v195, v227
	v_fma_f32 v6, v194, v230, -v6
	v_add_f32_e32 v5, v5, v6
	v_mul_f32_e32 v6, v197, v229
	v_fma_f32 v6, v196, v228, -v6
	v_add_f32_e32 v5, v5, v6
	v_mul_f32_e32 v6, v199, v232
	v_fma_f32 v6, v198, v231, -v6
	v_add_f32_e32 v5, v5, v6
	v_mul_f32_e32 v6, v201, v234
	v_fma_f32 v6, v200, v233, -v6
	v_add_f32_e32 v5, v5, v6
	v_mul_f32_e32 v6, v203, v235
	v_fma_f32 v6, v202, v238, -v6
	v_add_f32_e32 v5, v5, v6
	v_mul_f32_e32 v6, v205, v237
	v_fma_f32 v6, v204, v236, -v6
	v_add_f32_e32 v5, v5, v6
	v_mul_f32_e32 v6, v207, v240
	v_fma_f32 v6, v206, v239, -v6
	v_add_f32_e32 v5, v5, v6
	v_mul_f32_e32 v6, v209, v242
	v_fma_f32 v6, v208, v241, -v6
	v_add_f32_e32 v5, v5, v6
	v_mul_f32_e32 v6, v211, v243
	v_fma_f32 v6, v210, v246, -v6
	v_add_f32_e32 v5, v5, v6
	v_mul_f32_e32 v6, v213, v245
	v_fma_f32 v6, v212, v244, -v6
	v_add_f32_e32 v5, v5, v6
	v_mul_f32_e32 v6, v215, v248
	v_fma_f32 v6, v214, v247, -v6
	v_add_f32_e32 v5, v5, v6
	v_mul_f32_e32 v6, v217, v250
	v_fma_f32 v6, v216, v249, -v6
	v_add_f32_e32 v5, v5, v6
	v_mul_f32_e32 v6, v219, v251
	v_fma_f32 v6, v218, v254, -v6
	v_add_f32_e32 v5, v5, v6
	v_mul_f32_e32 v6, v221, v253
	v_fma_f32 v6, v220, v252, -v6
	v_add_f32_e32 v5, v5, v6
	v_mul_f32_e32 v6, v223, v255
	v_fma_f32 v6, v222, v59, -v6
	v_mul_f32_e32 v4, v4, v58
	v_add_f32_e32 v5, v5, v6
	v_fma_f32 v3, v3, v57, -v4
	v_add_f32_e32 v3, v5, v3
	v_sub_f32_e32 v3, v122, v3
	v_sub_f32_e32 v4, v123, v60
	buffer_store_dword v3, off, s[0:3], 0 offset:48
	buffer_store_dword v4, off, s[0:3], 0 offset:52
	s_and_saveexec_b64 s[4:5], vcc
	s_cbranch_execz .LBB119_339
; %bb.338:
	buffer_load_dword v3, off, s[0:3], 0 offset:40
	buffer_load_dword v4, off, s[0:3], 0 offset:44
	s_waitcnt vmcnt(0)
	ds_write_b64 v113, v[3:4]
	buffer_store_dword v114, off, s[0:3], 0 offset:40
	buffer_store_dword v114, off, s[0:3], 0 offset:44
.LBB119_339:
	s_or_b64 exec, exec, s[4:5]
	s_waitcnt lgkmcnt(0)
	; wave barrier
	buffer_load_dword v121, off, s[0:3], 0 offset:52
	buffer_load_dword v120, off, s[0:3], 0 offset:60
	buffer_load_dword v119, off, s[0:3], 0 offset:68
	buffer_load_dword v118, off, s[0:3], 0 offset:76
	buffer_load_dword v117, off, s[0:3], 0 offset:84
	buffer_load_dword v116, off, s[0:3], 0 offset:92
	buffer_load_dword v115, off, s[0:3], 0 offset:100
	buffer_load_dword v124, off, s[0:3], 0 offset:108
	buffer_load_dword v125, off, s[0:3], 0 offset:116
	buffer_load_dword v126, off, s[0:3], 0 offset:124
	buffer_load_dword v127, off, s[0:3], 0 offset:132
	buffer_load_dword v128, off, s[0:3], 0 offset:140
	buffer_load_dword v3, off, s[0:3], 0 offset:64
	buffer_load_dword v4, off, s[0:3], 0 offset:56
	buffer_load_dword v5, off, s[0:3], 0 offset:48
	buffer_load_dword v6, off, s[0:3], 0 offset:96
	buffer_load_dword v7, off, s[0:3], 0 offset:88
	buffer_load_dword v8, off, s[0:3], 0 offset:80
	buffer_load_dword v9, off, s[0:3], 0 offset:72
	buffer_load_dword v10, off, s[0:3], 0 offset:128
	buffer_load_dword v11, off, s[0:3], 0 offset:120
	buffer_load_dword v12, off, s[0:3], 0 offset:112
	buffer_load_dword v13, off, s[0:3], 0 offset:104
	buffer_load_dword v14, off, s[0:3], 0 offset:160
	buffer_load_dword v15, off, s[0:3], 0 offset:152
	buffer_load_dword v16, off, s[0:3], 0 offset:144
	buffer_load_dword v17, off, s[0:3], 0 offset:136
	buffer_load_dword v18, off, s[0:3], 0 offset:148
	buffer_load_dword v19, off, s[0:3], 0 offset:156
	buffer_load_dword v20, off, s[0:3], 0 offset:164
	buffer_load_dword v21, off, s[0:3], 0 offset:172
	buffer_load_dword v22, off, s[0:3], 0 offset:184
	buffer_load_dword v23, off, s[0:3], 0 offset:188
	buffer_load_dword v24, off, s[0:3], 0 offset:192
	buffer_load_dword v25, off, s[0:3], 0 offset:196
	buffer_load_dword v26, off, s[0:3], 0 offset:176
	buffer_load_dword v27, off, s[0:3], 0 offset:168
	buffer_load_dword v28, off, s[0:3], 0 offset:180
	buffer_load_dword v122, off, s[0:3], 0 offset:40
	buffer_load_dword v123, off, s[0:3], 0 offset:44
	ds_read_b128 v[129:132], v114 offset:496
	ds_read_b128 v[133:136], v114 offset:512
	;; [unrolled: 1-line block ×7, first 2 shown]
	buffer_load_dword v29, off, s[0:3], 0 offset:200
	buffer_load_dword v30, off, s[0:3], 0 offset:204
	;; [unrolled: 1-line block ×10, first 2 shown]
	ds_read_b128 v[157:160], v114 offset:608
	v_cmp_lt_u32_e32 vcc, 4, v0
	s_waitcnt vmcnt(49) lgkmcnt(7)
	v_mul_f32_e32 v39, v129, v121
	s_waitcnt vmcnt(48)
	v_mul_f32_e32 v40, v131, v120
	s_waitcnt vmcnt(47) lgkmcnt(6)
	v_mul_f32_e32 v41, v133, v119
	s_waitcnt vmcnt(46)
	v_mul_f32_e32 v42, v135, v118
	;; [unrolled: 4-line block ×6, first 2 shown]
	s_waitcnt vmcnt(37)
	v_fmac_f32_e32 v41, v134, v3
	s_waitcnt vmcnt(36)
	v_fmac_f32_e32 v40, v132, v4
	;; [unrolled: 2-line block ×3, first 2 shown]
	v_add_f32_e32 v39, 0, v39
	v_add_f32_e32 v39, v39, v40
	;; [unrolled: 1-line block ×3, first 2 shown]
	s_waitcnt vmcnt(31)
	v_fmac_f32_e32 v42, v136, v9
	v_fmac_f32_e32 v43, v138, v8
	v_add_f32_e32 v39, v39, v42
	v_fmac_f32_e32 v44, v140, v7
	v_add_f32_e32 v39, v39, v43
	v_fmac_f32_e32 v45, v142, v6
	v_add_f32_e32 v39, v39, v44
	s_waitcnt vmcnt(27)
	v_fmac_f32_e32 v46, v144, v13
	v_add_f32_e32 v39, v39, v45
	v_fmac_f32_e32 v47, v146, v12
	v_add_f32_e32 v39, v39, v46
	;; [unrolled: 2-line block ×4, first 2 shown]
	v_add_f32_e32 v39, v39, v49
	s_waitcnt vmcnt(23)
	v_fmac_f32_e32 v50, v152, v17
	s_waitcnt vmcnt(22) lgkmcnt(1)
	v_mul_f32_e32 v40, v153, v18
	v_add_f32_e32 v39, v39, v50
	v_fmac_f32_e32 v40, v154, v16
	buffer_load_dword v41, off, s[0:3], 0 offset:244
	v_add_f32_e32 v39, v39, v40
	s_waitcnt vmcnt(22)
	v_mul_f32_e32 v40, v155, v19
	v_fmac_f32_e32 v40, v156, v15
	buffer_load_dword v42, off, s[0:3], 0 offset:240
	buffer_load_dword v43, off, s[0:3], 0 offset:248
	;; [unrolled: 1-line block ×3, first 2 shown]
	ds_read_b128 v[161:164], v114 offset:624
	v_add_f32_e32 v39, v39, v40
	s_waitcnt vmcnt(24) lgkmcnt(1)
	v_mul_f32_e32 v40, v157, v20
	v_fmac_f32_e32 v40, v158, v14
	v_add_f32_e32 v39, v39, v40
	s_waitcnt vmcnt(23)
	v_mul_f32_e32 v40, v159, v21
	buffer_load_dword v45, off, s[0:3], 0 offset:256
	buffer_load_dword v46, off, s[0:3], 0 offset:260
	s_waitcnt vmcnt(19)
	v_fmac_f32_e32 v40, v160, v27
	v_add_f32_e32 v39, v39, v40
	s_waitcnt vmcnt(18) lgkmcnt(0)
	v_mul_f32_e32 v40, v161, v28
	v_fmac_f32_e32 v40, v162, v26
	ds_read_b128 v[165:168], v114 offset:640
	v_add_f32_e32 v39, v39, v40
	buffer_load_dword v40, off, s[0:3], 0 offset:264
	buffer_load_dword v47, off, s[0:3], 0 offset:268
	;; [unrolled: 1-line block ×8, first 2 shown]
	v_mul_f32_e32 v48, v163, v23
	v_fmac_f32_e32 v48, v164, v22
	v_add_f32_e32 v39, v39, v48
	s_waitcnt lgkmcnt(0)
	v_mul_f32_e32 v48, v165, v25
	v_fmac_f32_e32 v48, v166, v24
	v_add_f32_e32 v39, v39, v48
	buffer_load_dword v48, off, s[0:3], 0 offset:296
	buffer_load_dword v55, off, s[0:3], 0 offset:300
	ds_read_b128 v[169:172], v114 offset:656
	buffer_load_dword v57, off, s[0:3], 0 offset:304
	buffer_load_dword v58, off, s[0:3], 0 offset:308
	;; [unrolled: 1-line block ×6, first 2 shown]
	ds_read_b128 v[173:176], v114 offset:672
	buffer_load_dword v229, off, s[0:3], 0 offset:328
	buffer_load_dword v230, off, s[0:3], 0 offset:332
	s_waitcnt vmcnt(32)
	v_mul_f32_e32 v56, v167, v30
	v_fmac_f32_e32 v56, v168, v29
	v_add_f32_e32 v39, v39, v56
	s_waitcnt vmcnt(30) lgkmcnt(1)
	v_mul_f32_e32 v56, v169, v32
	v_fmac_f32_e32 v56, v170, v31
	v_add_f32_e32 v39, v39, v56
	buffer_load_dword v56, off, s[0:3], 0 offset:336
	buffer_load_dword v231, off, s[0:3], 0 offset:340
	;; [unrolled: 1-line block ×14, first 2 shown]
	s_waitcnt vmcnt(42)
	v_mul_f32_e32 v177, v171, v34
	v_fmac_f32_e32 v177, v172, v33
	v_add_f32_e32 v39, v39, v177
	s_waitcnt vmcnt(40) lgkmcnt(0)
	v_mul_f32_e32 v177, v173, v36
	v_fmac_f32_e32 v177, v174, v35
	v_add_f32_e32 v39, v39, v177
	ds_read_b128 v[177:180], v114 offset:688
	buffer_load_dword v244, off, s[0:3], 0 offset:392
	buffer_load_dword v245, off, s[0:3], 0 offset:396
	s_waitcnt vmcnt(40)
	v_mul_f32_e32 v181, v175, v38
	v_fmac_f32_e32 v181, v176, v37
	v_add_f32_e32 v39, v39, v181
	ds_read_b128 v[181:184], v114 offset:704
	buffer_load_dword v246, off, s[0:3], 0 offset:400
	buffer_load_dword v247, off, s[0:3], 0 offset:404
	;; [unrolled: 1-line block ×12, first 2 shown]
	s_waitcnt vmcnt(51) lgkmcnt(1)
	v_mul_f32_e32 v185, v177, v41
	s_waitcnt vmcnt(50)
	v_fmac_f32_e32 v185, v178, v42
	v_add_f32_e32 v39, v39, v185
	s_waitcnt vmcnt(48)
	v_mul_f32_e32 v185, v179, v44
	v_fmac_f32_e32 v185, v180, v43
	v_add_f32_e32 v39, v39, v185
	s_waitcnt vmcnt(46) lgkmcnt(0)
	v_mul_f32_e32 v185, v181, v46
	v_fmac_f32_e32 v185, v182, v45
	v_add_f32_e32 v39, v39, v185
	ds_read_b128 v[185:188], v114 offset:720
	s_waitcnt vmcnt(44)
	v_mul_f32_e32 v189, v183, v47
	v_fmac_f32_e32 v189, v184, v40
	v_add_f32_e32 v39, v39, v189
	ds_read_b128 v[189:192], v114 offset:736
	s_waitcnt vmcnt(42) lgkmcnt(1)
	v_mul_f32_e32 v193, v185, v50
	v_fmac_f32_e32 v193, v186, v49
	v_add_f32_e32 v39, v39, v193
	s_waitcnt vmcnt(41)
	v_mul_f32_e32 v193, v187, v51
	s_waitcnt vmcnt(38)
	v_fmac_f32_e32 v193, v188, v54
	v_add_f32_e32 v39, v39, v193
	s_waitcnt lgkmcnt(0)
	v_mul_f32_e32 v193, v189, v53
	v_fmac_f32_e32 v193, v190, v52
	v_add_f32_e32 v39, v39, v193
	ds_read_b128 v[193:196], v114 offset:752
	s_waitcnt vmcnt(36)
	v_mul_f32_e32 v197, v191, v55
	v_fmac_f32_e32 v197, v192, v48
	v_add_f32_e32 v39, v39, v197
	ds_read_b128 v[197:200], v114 offset:768
	s_waitcnt vmcnt(34) lgkmcnt(1)
	v_mul_f32_e32 v201, v193, v58
	v_fmac_f32_e32 v201, v194, v57
	v_add_f32_e32 v39, v39, v201
	s_waitcnt vmcnt(33)
	v_mul_f32_e32 v201, v195, v59
	s_waitcnt vmcnt(30)
	v_fmac_f32_e32 v201, v196, v62
	v_add_f32_e32 v39, v39, v201
	s_waitcnt lgkmcnt(0)
	;; [unrolled: 19-line block ×4, first 2 shown]
	v_mul_f32_e32 v217, v213, v242
	v_fmac_f32_e32 v217, v214, v241
	v_add_f32_e32 v39, v39, v217
	ds_read_b128 v[217:220], v114 offset:848
	s_waitcnt vmcnt(12)
	v_mul_f32_e32 v221, v215, v245
	v_fmac_f32_e32 v221, v216, v244
	v_add_f32_e32 v39, v39, v221
	ds_read_b128 v[221:224], v114 offset:864
	s_waitcnt vmcnt(10) lgkmcnt(1)
	v_mul_f32_e32 v225, v217, v247
	v_fmac_f32_e32 v225, v218, v246
	v_add_f32_e32 v39, v39, v225
	s_waitcnt vmcnt(9)
	v_mul_f32_e32 v225, v219, v248
	s_waitcnt vmcnt(6)
	v_fmac_f32_e32 v225, v220, v251
	v_add_f32_e32 v39, v39, v225
	ds_read_b128 v[225:228], v114 offset:880
	s_waitcnt lgkmcnt(1)
	v_mul_f32_e32 v65, v221, v250
	v_fmac_f32_e32 v65, v222, v249
	v_add_f32_e32 v39, v39, v65
	s_waitcnt vmcnt(4)
	v_mul_f32_e32 v65, v223, v253
	v_fmac_f32_e32 v65, v224, v252
	v_add_f32_e32 v39, v39, v65
	s_waitcnt vmcnt(3) lgkmcnt(0)
	v_mul_f32_e32 v65, v225, v254
	s_waitcnt vmcnt(0)
	v_fmac_f32_e32 v65, v226, v64
	v_add_f32_e32 v39, v39, v65
	v_mul_f32_e32 v65, v227, v63
	v_fmac_f32_e32 v65, v228, v255
	v_add_f32_e32 v39, v39, v65
	v_mul_f32_e32 v65, v130, v121
	v_fma_f32 v5, v129, v5, -v65
	v_mul_f32_e32 v65, v132, v120
	v_add_f32_e32 v5, 0, v5
	v_fma_f32 v4, v131, v4, -v65
	v_add_f32_e32 v4, v5, v4
	v_mul_f32_e32 v5, v134, v119
	v_fma_f32 v3, v133, v3, -v5
	v_add_f32_e32 v3, v4, v3
	v_mul_f32_e32 v4, v136, v118
	;; [unrolled: 3-line block ×48, first 2 shown]
	v_fma_f32 v4, v227, v255, -v4
	v_add_f32_e32 v3, v3, v4
	v_sub_f32_e32 v3, v122, v3
	v_sub_f32_e32 v4, v123, v39
	buffer_store_dword v3, off, s[0:3], 0 offset:40
	buffer_store_dword v4, off, s[0:3], 0 offset:44
	s_and_saveexec_b64 s[4:5], vcc
	s_cbranch_execz .LBB119_341
; %bb.340:
	buffer_load_dword v3, off, s[0:3], 0 offset:32
	buffer_load_dword v4, off, s[0:3], 0 offset:36
	v_mov_b32_e32 v5, 0
	buffer_store_dword v5, off, s[0:3], 0 offset:32
	buffer_store_dword v5, off, s[0:3], 0 offset:36
	s_waitcnt vmcnt(2)
	ds_write_b64 v113, v[3:4]
.LBB119_341:
	s_or_b64 exec, exec, s[4:5]
	s_waitcnt lgkmcnt(0)
	; wave barrier
	buffer_load_dword v123, off, s[0:3], 0 offset:44
	buffer_load_dword v122, off, s[0:3], 0 offset:52
	;; [unrolled: 1-line block ×40, first 2 shown]
	v_mov_b32_e32 v114, 0
	buffer_load_dword v30, off, s[0:3], 0 offset:192
	buffer_load_dword v31, off, s[0:3], 0 offset:196
	;; [unrolled: 1-line block ×10, first 2 shown]
	ds_read2_b64 v[130:133], v114 offset0:61 offset1:62
	ds_read2_b64 v[134:137], v114 offset0:63 offset1:64
	;; [unrolled: 1-line block ×7, first 2 shown]
	v_cmp_lt_u32_e32 vcc, 3, v0
	s_waitcnt vmcnt(49) lgkmcnt(6)
	v_mul_f32_e32 v3, v130, v123
	s_waitcnt vmcnt(48)
	v_mul_f32_e32 v4, v132, v122
	s_waitcnt vmcnt(47) lgkmcnt(5)
	v_mul_f32_e32 v40, v134, v119
	s_waitcnt vmcnt(46)
	v_mul_f32_e32 v41, v136, v118
	;; [unrolled: 4-line block ×6, first 2 shown]
	s_waitcnt vmcnt(37)
	v_fmac_f32_e32 v40, v135, v5
	s_waitcnt vmcnt(36)
	v_fmac_f32_e32 v4, v133, v6
	;; [unrolled: 2-line block ×3, first 2 shown]
	v_add_f32_e32 v3, 0, v3
	v_add_f32_e32 v3, v3, v4
	;; [unrolled: 1-line block ×3, first 2 shown]
	s_waitcnt vmcnt(31)
	v_fmac_f32_e32 v41, v137, v11
	v_fmac_f32_e32 v42, v139, v10
	v_add_f32_e32 v3, v3, v41
	buffer_load_dword v40, off, s[0:3], 0 offset:232
	buffer_load_dword v41, off, s[0:3], 0 offset:236
	v_fmac_f32_e32 v43, v141, v9
	v_add_f32_e32 v3, v3, v42
	v_fmac_f32_e32 v44, v143, v8
	v_add_f32_e32 v3, v3, v43
	s_waitcnt vmcnt(29)
	v_fmac_f32_e32 v45, v145, v14
	v_add_f32_e32 v3, v3, v44
	v_fmac_f32_e32 v46, v147, v13
	v_add_f32_e32 v3, v3, v45
	ds_read2_b64 v[158:161], v114 offset0:75 offset1:76
	buffer_load_dword v42, off, s[0:3], 0 offset:244
	buffer_load_dword v43, off, s[0:3], 0 offset:240
	;; [unrolled: 1-line block ×4, first 2 shown]
	v_fmac_f32_e32 v47, v149, v12
	v_add_f32_e32 v3, v3, v46
	v_add_f32_e32 v3, v3, v47
	ds_read2_b64 v[162:165], v114 offset0:77 offset1:78
	ds_read2_b64 v[166:169], v114 offset0:79 offset1:80
	buffer_load_dword v46, off, s[0:3], 0 offset:256
	buffer_load_dword v47, off, s[0:3], 0 offset:260
	v_fmac_f32_e32 v48, v151, v129
	v_add_f32_e32 v3, v3, v48
	s_waitcnt vmcnt(31)
	v_fmac_f32_e32 v49, v153, v18
	v_add_f32_e32 v3, v3, v49
	buffer_load_dword v48, off, s[0:3], 0 offset:264
	buffer_load_dword v49, off, s[0:3], 0 offset:268
	;; [unrolled: 1-line block ×8, first 2 shown]
	ds_read2_b64 v[170:173], v114 offset0:81 offset1:82
	buffer_load_dword v56, off, s[0:3], 0 offset:296
	buffer_load_dword v57, off, s[0:3], 0 offset:300
	;; [unrolled: 1-line block ×6, first 2 shown]
	ds_read2_b64 v[174:177], v114 offset0:83 offset1:84
	buffer_load_dword v62, off, s[0:3], 0 offset:320
	buffer_load_dword v63, off, s[0:3], 0 offset:324
	;; [unrolled: 1-line block ×10, first 2 shown]
	ds_read2_b64 v[178:181], v114 offset0:85 offset1:86
	buffer_load_dword v235, off, s[0:3], 0 offset:360
	buffer_load_dword v236, off, s[0:3], 0 offset:364
	buffer_load_dword v237, off, s[0:3], 0 offset:372
	buffer_load_dword v238, off, s[0:3], 0 offset:376
	buffer_load_dword v239, off, s[0:3], 0 offset:380
	buffer_load_dword v240, off, s[0:3], 0 offset:368
	ds_read2_b64 v[182:185], v114 offset0:87 offset1:88
	buffer_load_dword v241, off, s[0:3], 0 offset:384
	buffer_load_dword v242, off, s[0:3], 0 offset:388
	;; [unrolled: 1-line block ×16, first 2 shown]
	s_waitcnt vmcnt(62) lgkmcnt(7)
	v_mul_f32_e32 v4, v154, v19
	v_fmac_f32_e32 v4, v155, v17
	v_add_f32_e32 v3, v3, v4
	v_mul_f32_e32 v4, v156, v20
	v_fmac_f32_e32 v4, v157, v16
	v_add_f32_e32 v3, v3, v4
	s_waitcnt lgkmcnt(6)
	v_mul_f32_e32 v4, v158, v21
	v_fmac_f32_e32 v4, v159, v15
	v_add_f32_e32 v3, v3, v4
	v_mul_f32_e32 v4, v160, v22
	v_fmac_f32_e32 v4, v161, v29
	v_add_f32_e32 v3, v3, v4
	s_waitcnt lgkmcnt(5)
	;; [unrolled: 7-line block ×3, first 2 shown]
	v_mul_f32_e32 v4, v166, v28
	v_fmac_f32_e32 v4, v167, v27
	v_add_f32_e32 v3, v3, v4
	v_mul_f32_e32 v4, v168, v31
	v_fmac_f32_e32 v4, v169, v30
	v_add_f32_e32 v3, v3, v4
	s_waitcnt vmcnt(60) lgkmcnt(3)
	v_mul_f32_e32 v4, v170, v33
	v_fmac_f32_e32 v4, v171, v32
	v_add_f32_e32 v3, v3, v4
	s_waitcnt vmcnt(58)
	v_mul_f32_e32 v4, v172, v35
	v_fmac_f32_e32 v4, v173, v34
	v_add_f32_e32 v3, v3, v4
	s_waitcnt vmcnt(56) lgkmcnt(2)
	v_mul_f32_e32 v4, v174, v37
	v_fmac_f32_e32 v4, v175, v36
	v_add_f32_e32 v3, v3, v4
	s_waitcnt vmcnt(54)
	v_mul_f32_e32 v4, v176, v39
	v_fmac_f32_e32 v4, v177, v38
	v_add_f32_e32 v3, v3, v4
	ds_read2_b64 v[186:189], v114 offset0:89 offset1:90
	ds_read2_b64 v[190:193], v114 offset0:91 offset1:92
	;; [unrolled: 1-line block ×8, first 2 shown]
	s_waitcnt vmcnt(52) lgkmcnt(9)
	v_mul_f32_e32 v4, v178, v41
	v_fmac_f32_e32 v4, v179, v40
	v_add_f32_e32 v3, v3, v4
	ds_read2_b64 v[218:221], v114 offset0:105 offset1:106
	ds_read2_b64 v[222:225], v114 offset0:107 offset1:108
	;; [unrolled: 1-line block ×3, first 2 shown]
	s_waitcnt vmcnt(51)
	v_mul_f32_e32 v4, v180, v42
	s_waitcnt vmcnt(50)
	v_fmac_f32_e32 v4, v181, v43
	v_add_f32_e32 v3, v3, v4
	s_waitcnt vmcnt(48) lgkmcnt(11)
	v_mul_f32_e32 v4, v182, v45
	v_fmac_f32_e32 v4, v183, v44
	v_add_f32_e32 v3, v3, v4
	s_waitcnt vmcnt(46)
	v_mul_f32_e32 v4, v184, v47
	v_fmac_f32_e32 v4, v185, v46
	v_add_f32_e32 v3, v3, v4
	s_waitcnt vmcnt(44) lgkmcnt(10)
	v_mul_f32_e32 v4, v186, v49
	v_fmac_f32_e32 v4, v187, v48
	v_add_f32_e32 v3, v3, v4
	s_waitcnt vmcnt(43)
	v_mul_f32_e32 v4, v188, v50
	s_waitcnt vmcnt(40)
	v_fmac_f32_e32 v4, v189, v53
	v_add_f32_e32 v3, v3, v4
	s_waitcnt lgkmcnt(9)
	v_mul_f32_e32 v4, v190, v52
	v_fmac_f32_e32 v4, v191, v51
	v_add_f32_e32 v3, v3, v4
	s_waitcnt vmcnt(38)
	v_mul_f32_e32 v4, v192, v55
	v_fmac_f32_e32 v4, v193, v54
	v_add_f32_e32 v3, v3, v4
	s_waitcnt vmcnt(36) lgkmcnt(8)
	v_mul_f32_e32 v4, v194, v57
	v_fmac_f32_e32 v4, v195, v56
	v_add_f32_e32 v3, v3, v4
	s_waitcnt vmcnt(35)
	v_mul_f32_e32 v4, v196, v58
	s_waitcnt vmcnt(32)
	v_fmac_f32_e32 v4, v197, v61
	v_add_f32_e32 v3, v3, v4
	s_waitcnt lgkmcnt(7)
	;; [unrolled: 17-line block ×5, first 2 shown]
	v_mul_f32_e32 v4, v222, v247
	v_fmac_f32_e32 v4, v223, v246
	v_add_f32_e32 v3, v3, v4
	s_waitcnt vmcnt(6)
	v_mul_f32_e32 v4, v224, v250
	v_fmac_f32_e32 v4, v225, v249
	v_add_f32_e32 v68, v3, v4
	ds_read_b64 v[3:4], v114 offset:888
	s_waitcnt vmcnt(4) lgkmcnt(1)
	v_mul_f32_e32 v69, v226, v252
	v_fmac_f32_e32 v69, v227, v251
	v_add_f32_e32 v68, v68, v69
	s_waitcnt vmcnt(3)
	v_mul_f32_e32 v69, v228, v253
	s_waitcnt vmcnt(0)
	v_fmac_f32_e32 v69, v229, v67
	v_add_f32_e32 v68, v68, v69
	s_waitcnt lgkmcnt(0)
	v_mul_f32_e32 v69, v3, v255
	v_fmac_f32_e32 v69, v4, v254
	v_add_f32_e32 v68, v68, v69
	v_mul_f32_e32 v69, v131, v123
	v_fma_f32 v7, v130, v7, -v69
	v_mul_f32_e32 v69, v133, v122
	v_add_f32_e32 v7, 0, v7
	v_fma_f32 v6, v132, v6, -v69
	v_add_f32_e32 v6, v7, v6
	v_mul_f32_e32 v7, v135, v119
	v_fma_f32 v5, v134, v5, -v7
	v_add_f32_e32 v5, v6, v5
	v_mul_f32_e32 v6, v137, v118
	;; [unrolled: 3-line block ×48, first 2 shown]
	v_fma_f32 v6, v228, v67, -v6
	v_mul_f32_e32 v4, v4, v255
	v_add_f32_e32 v5, v5, v6
	v_fma_f32 v3, v3, v254, -v4
	v_add_f32_e32 v3, v5, v3
	v_sub_f32_e32 v3, v120, v3
	v_sub_f32_e32 v4, v121, v68
	buffer_store_dword v3, off, s[0:3], 0 offset:32
	buffer_store_dword v4, off, s[0:3], 0 offset:36
	s_and_saveexec_b64 s[4:5], vcc
	s_cbranch_execz .LBB119_343
; %bb.342:
	buffer_load_dword v3, off, s[0:3], 0 offset:24
	buffer_load_dword v4, off, s[0:3], 0 offset:28
	s_waitcnt vmcnt(0)
	ds_write_b64 v113, v[3:4]
	buffer_store_dword v114, off, s[0:3], 0 offset:24
	buffer_store_dword v114, off, s[0:3], 0 offset:28
.LBB119_343:
	s_or_b64 exec, exec, s[4:5]
	s_waitcnt lgkmcnt(0)
	; wave barrier
	buffer_load_dword v123, off, s[0:3], 0 offset:36
	buffer_load_dword v120, off, s[0:3], 0 offset:44
	;; [unrolled: 1-line block ×40, first 2 shown]
	ds_read_b128 v[138:141], v114 offset:480
	ds_read_b128 v[142:145], v114 offset:496
	;; [unrolled: 1-line block ×6, first 2 shown]
	buffer_load_dword v20, off, s[0:3], 0 offset:184
	buffer_load_dword v21, off, s[0:3], 0 offset:188
	buffer_load_dword v22, off, s[0:3], 0 offset:192
	buffer_load_dword v23, off, s[0:3], 0 offset:196
	buffer_load_dword v24, off, s[0:3], 0 offset:200
	buffer_load_dword v25, off, s[0:3], 0 offset:204
	buffer_load_dword v26, off, s[0:3], 0 offset:208
	buffer_load_dword v27, off, s[0:3], 0 offset:212
	buffer_load_dword v28, off, s[0:3], 0 offset:216
	buffer_load_dword v29, off, s[0:3], 0 offset:220
	buffer_load_dword v30, off, s[0:3], 0 offset:224
	buffer_load_dword v31, off, s[0:3], 0 offset:228
	ds_read_b128 v[162:165], v114 offset:576
	ds_read_b128 v[166:169], v114 offset:592
	v_cmp_lt_u32_e32 vcc, 2, v0
	s_waitcnt vmcnt(51) lgkmcnt(7)
	v_mul_f32_e32 v32, v138, v123
	s_waitcnt vmcnt(50)
	v_mul_f32_e32 v33, v140, v120
	s_waitcnt vmcnt(49) lgkmcnt(6)
	v_mul_f32_e32 v34, v142, v119
	s_waitcnt vmcnt(48)
	v_mul_f32_e32 v35, v144, v118
	;; [unrolled: 4-line block ×5, first 2 shown]
	s_waitcnt vmcnt(41) lgkmcnt(2)
	v_mul_f32_e32 v42, v158, v127
	s_waitcnt vmcnt(40)
	v_fmac_f32_e32 v34, v143, v134
	s_waitcnt vmcnt(39)
	v_fmac_f32_e32 v33, v141, v137
	;; [unrolled: 2-line block ×3, first 2 shown]
	v_add_f32_e32 v32, 0, v32
	v_add_f32_e32 v32, v32, v33
	;; [unrolled: 1-line block ×3, first 2 shown]
	s_waitcnt vmcnt(34)
	v_fmac_f32_e32 v35, v145, v4
	v_fmac_f32_e32 v36, v147, v136
	v_add_f32_e32 v32, v32, v35
	v_fmac_f32_e32 v37, v149, v133
	v_add_f32_e32 v32, v32, v36
	buffer_load_dword v34, off, s[0:3], 0 offset:232
	buffer_load_dword v35, off, s[0:3], 0 offset:236
	v_fmac_f32_e32 v38, v151, v130
	v_add_f32_e32 v32, v32, v37
	s_waitcnt vmcnt(32)
	v_fmac_f32_e32 v39, v153, v135
	v_add_f32_e32 v32, v32, v38
	buffer_load_dword v36, off, s[0:3], 0 offset:240
	buffer_load_dword v37, off, s[0:3], 0 offset:244
	v_add_f32_e32 v32, v32, v39
	ds_read_b128 v[170:173], v114 offset:608
	buffer_load_dword v38, off, s[0:3], 0 offset:248
	buffer_load_dword v39, off, s[0:3], 0 offset:252
	v_fmac_f32_e32 v40, v155, v132
	v_fmac_f32_e32 v41, v157, v129
	v_add_f32_e32 v32, v32, v40
	v_fmac_f32_e32 v42, v159, v128
	v_add_f32_e32 v32, v32, v41
	s_waitcnt vmcnt(35)
	v_mul_f32_e32 v33, v160, v131
	v_add_f32_e32 v32, v32, v42
	s_waitcnt vmcnt(31)
	v_fmac_f32_e32 v33, v161, v8
	v_add_f32_e32 v32, v32, v33
	s_waitcnt vmcnt(30) lgkmcnt(2)
	v_mul_f32_e32 v33, v162, v9
	v_fmac_f32_e32 v33, v163, v7
	v_add_f32_e32 v32, v32, v33
	s_waitcnt vmcnt(29)
	v_mul_f32_e32 v33, v164, v10
	v_fmac_f32_e32 v33, v165, v6
	v_add_f32_e32 v32, v32, v33
	s_waitcnt vmcnt(28) lgkmcnt(1)
	v_mul_f32_e32 v33, v166, v11
	v_fmac_f32_e32 v33, v167, v5
	v_add_f32_e32 v32, v32, v33
	s_waitcnt vmcnt(27)
	v_mul_f32_e32 v33, v168, v12
	s_waitcnt vmcnt(21)
	v_fmac_f32_e32 v33, v169, v18
	ds_read_b128 v[174:177], v114 offset:624
	v_add_f32_e32 v32, v32, v33
	s_waitcnt vmcnt(20) lgkmcnt(1)
	v_mul_f32_e32 v33, v170, v19
	v_fmac_f32_e32 v33, v171, v17
	v_add_f32_e32 v32, v32, v33
	v_mul_f32_e32 v33, v172, v14
	v_fmac_f32_e32 v33, v173, v13
	v_add_f32_e32 v32, v32, v33
	s_waitcnt lgkmcnt(0)
	v_mul_f32_e32 v33, v174, v16
	v_fmac_f32_e32 v33, v175, v15
	v_add_f32_e32 v32, v32, v33
	buffer_load_dword v33, off, s[0:3], 0 offset:256
	buffer_load_dword v40, off, s[0:3], 0 offset:260
	;; [unrolled: 1-line block ×6, first 2 shown]
	s_waitcnt vmcnt(22)
	v_mul_f32_e32 v45, v176, v21
	v_fmac_f32_e32 v45, v177, v20
	ds_read_b128 v[178:181], v114 offset:640
	v_add_f32_e32 v32, v32, v45
	buffer_load_dword v45, off, s[0:3], 0 offset:280
	buffer_load_dword v46, off, s[0:3], 0 offset:284
	ds_read_b128 v[182:185], v114 offset:656
	buffer_load_dword v48, off, s[0:3], 0 offset:288
	buffer_load_dword v49, off, s[0:3], 0 offset:292
	;; [unrolled: 1-line block ×14, first 2 shown]
	s_waitcnt vmcnt(36) lgkmcnt(1)
	v_mul_f32_e32 v47, v178, v23
	v_fmac_f32_e32 v47, v179, v22
	v_add_f32_e32 v32, v32, v47
	s_waitcnt vmcnt(34)
	v_mul_f32_e32 v47, v180, v25
	buffer_load_dword v62, off, s[0:3], 0 offset:344
	buffer_load_dword v63, off, s[0:3], 0 offset:348
	v_fmac_f32_e32 v47, v181, v24
	v_add_f32_e32 v32, v32, v47
	s_waitcnt vmcnt(34) lgkmcnt(0)
	v_mul_f32_e32 v47, v182, v27
	v_fmac_f32_e32 v47, v183, v26
	v_add_f32_e32 v32, v32, v47
	s_waitcnt vmcnt(32)
	v_mul_f32_e32 v47, v184, v29
	ds_read_b128 v[186:189], v114 offset:672
	v_fmac_f32_e32 v47, v185, v28
	v_add_f32_e32 v32, v32, v47
	buffer_load_dword v47, off, s[0:3], 0 offset:352
	buffer_load_dword v64, off, s[0:3], 0 offset:356
	;; [unrolled: 1-line block ×6, first 2 shown]
	ds_read_b128 v[190:193], v114 offset:688
	s_waitcnt vmcnt(36) lgkmcnt(1)
	v_mul_f32_e32 v69, v186, v31
	v_fmac_f32_e32 v69, v187, v30
	v_add_f32_e32 v32, v32, v69
	buffer_load_dword v69, off, s[0:3], 0 offset:376
	buffer_load_dword v70, off, s[0:3], 0 offset:380
	;; [unrolled: 1-line block ×16, first 2 shown]
	s_waitcnt vmcnt(50)
	v_mul_f32_e32 v194, v188, v35
	v_fmac_f32_e32 v194, v189, v34
	v_add_f32_e32 v32, v32, v194
	s_waitcnt vmcnt(48) lgkmcnt(0)
	v_mul_f32_e32 v194, v190, v37
	v_fmac_f32_e32 v194, v191, v36
	v_add_f32_e32 v32, v32, v194
	s_waitcnt vmcnt(46)
	v_mul_f32_e32 v198, v192, v39
	v_fmac_f32_e32 v198, v193, v38
	ds_read_b128 v[194:197], v114 offset:704
	v_add_f32_e32 v32, v32, v198
	ds_read_b128 v[198:201], v114 offset:720
	buffer_load_dword v71, off, s[0:3], 0 offset:440
	buffer_load_dword v72, off, s[0:3], 0 offset:444
	s_waitcnt vmcnt(46) lgkmcnt(1)
	v_mul_f32_e32 v202, v194, v40
	v_fmac_f32_e32 v202, v195, v33
	v_add_f32_e32 v32, v32, v202
	s_waitcnt vmcnt(45)
	v_mul_f32_e32 v202, v196, v41
	s_waitcnt vmcnt(42)
	v_fmac_f32_e32 v202, v197, v44
	v_add_f32_e32 v32, v32, v202
	s_waitcnt lgkmcnt(0)
	v_mul_f32_e32 v202, v198, v43
	v_fmac_f32_e32 v202, v199, v42
	v_add_f32_e32 v32, v32, v202
	ds_read_b128 v[202:205], v114 offset:736
	s_waitcnt vmcnt(40)
	v_mul_f32_e32 v206, v200, v46
	v_fmac_f32_e32 v206, v201, v45
	v_add_f32_e32 v32, v32, v206
	ds_read_b128 v[206:209], v114 offset:752
	s_waitcnt vmcnt(38) lgkmcnt(1)
	v_mul_f32_e32 v210, v202, v49
	v_fmac_f32_e32 v210, v203, v48
	v_add_f32_e32 v32, v32, v210
	s_waitcnt vmcnt(37)
	v_mul_f32_e32 v210, v204, v50
	s_waitcnt vmcnt(34)
	v_fmac_f32_e32 v210, v205, v53
	v_add_f32_e32 v32, v32, v210
	s_waitcnt lgkmcnt(0)
	v_mul_f32_e32 v210, v206, v52
	v_fmac_f32_e32 v210, v207, v51
	v_add_f32_e32 v32, v32, v210
	ds_read_b128 v[210:213], v114 offset:768
	s_waitcnt vmcnt(32)
	v_mul_f32_e32 v214, v208, v55
	v_fmac_f32_e32 v214, v209, v54
	v_add_f32_e32 v32, v32, v214
	ds_read_b128 v[214:217], v114 offset:784
	;; [unrolled: 19-line block ×5, first 2 shown]
	s_waitcnt vmcnt(6) lgkmcnt(1)
	v_mul_f32_e32 v114, v234, v251
	v_fmac_f32_e32 v114, v235, v250
	v_add_f32_e32 v32, v32, v114
	s_waitcnt vmcnt(5)
	v_mul_f32_e32 v114, v236, v252
	s_waitcnt vmcnt(2)
	v_fmac_f32_e32 v114, v237, v255
	v_add_f32_e32 v32, v32, v114
	s_waitcnt lgkmcnt(0)
	v_mul_f32_e32 v114, v238, v254
	v_fmac_f32_e32 v114, v239, v253
	v_add_f32_e32 v32, v32, v114
	s_waitcnt vmcnt(0)
	v_mul_f32_e32 v114, v240, v72
	v_fmac_f32_e32 v114, v241, v71
	v_add_f32_e32 v32, v32, v114
	v_mul_f32_e32 v114, v139, v123
	v_fma_f32 v3, v138, v3, -v114
	v_mul_f32_e32 v114, v141, v120
	v_add_f32_e32 v3, 0, v3
	v_fma_f32 v114, v140, v137, -v114
	v_add_f32_e32 v3, v3, v114
	v_mul_f32_e32 v114, v143, v119
	v_fma_f32 v114, v142, v134, -v114
	v_add_f32_e32 v3, v3, v114
	v_mul_f32_e32 v114, v145, v118
	;; [unrolled: 3-line block ×50, first 2 shown]
	v_fma_f32 v4, v240, v71, -v4
	v_add_f32_e32 v3, v3, v4
	v_sub_f32_e32 v3, v121, v3
	v_sub_f32_e32 v4, v122, v32
	buffer_store_dword v3, off, s[0:3], 0 offset:24
	buffer_store_dword v4, off, s[0:3], 0 offset:28
	s_and_saveexec_b64 s[4:5], vcc
	s_cbranch_execz .LBB119_345
; %bb.344:
	buffer_load_dword v3, off, s[0:3], 0 offset:16
	buffer_load_dword v4, off, s[0:3], 0 offset:20
	v_mov_b32_e32 v5, 0
	buffer_store_dword v5, off, s[0:3], 0 offset:16
	buffer_store_dword v5, off, s[0:3], 0 offset:20
	s_waitcnt vmcnt(2)
	ds_write_b64 v113, v[3:4]
.LBB119_345:
	s_or_b64 exec, exec, s[4:5]
	s_waitcnt lgkmcnt(0)
	; wave barrier
	buffer_load_dword v123, off, s[0:3], 0 offset:28
	buffer_load_dword v122, off, s[0:3], 0 offset:36
	;; [unrolled: 1-line block ×40, first 2 shown]
	v_mov_b32_e32 v114, 0
	buffer_load_dword v9, off, s[0:3], 0 offset:176
	buffer_load_dword v10, off, s[0:3], 0 offset:180
	;; [unrolled: 1-line block ×11, first 2 shown]
	ds_read2_b64 v[151:154], v114 offset0:59 offset1:60
	ds_read2_b64 v[155:158], v114 offset0:61 offset1:62
	ds_read2_b64 v[159:162], v114 offset0:63 offset1:64
	ds_read2_b64 v[163:166], v114 offset0:65 offset1:66
	ds_read2_b64 v[167:170], v114 offset0:67 offset1:68
	ds_read2_b64 v[171:174], v114 offset0:69 offset1:70
	ds_read2_b64 v[175:178], v114 offset0:71 offset1:72
	ds_read2_b64 v[179:182], v114 offset0:73 offset1:74
	v_cmp_lt_u32_e32 vcc, 1, v0
	s_waitcnt vmcnt(50) lgkmcnt(7)
	v_mul_f32_e32 v3, v151, v123
	s_waitcnt vmcnt(49)
	v_mul_f32_e32 v4, v153, v122
	s_waitcnt vmcnt(48) lgkmcnt(6)
	v_mul_f32_e32 v20, v155, v121
	s_waitcnt vmcnt(47)
	v_mul_f32_e32 v21, v157, v120
	;; [unrolled: 4-line block ×5, first 2 shown]
	s_waitcnt vmcnt(40) lgkmcnt(2)
	v_mul_f32_e32 v28, v171, v127
	s_waitcnt vmcnt(39)
	v_fmac_f32_e32 v20, v156, v134
	s_waitcnt vmcnt(38)
	v_fmac_f32_e32 v4, v154, v137
	;; [unrolled: 2-line block ×3, first 2 shown]
	v_add_f32_e32 v3, 0, v3
	v_add_f32_e32 v3, v3, v4
	v_add_f32_e32 v3, v3, v20
	s_waitcnt vmcnt(33)
	v_fmac_f32_e32 v21, v158, v138
	v_fmac_f32_e32 v22, v160, v136
	v_add_f32_e32 v3, v3, v21
	v_fmac_f32_e32 v23, v162, v133
	v_add_f32_e32 v3, v3, v22
	buffer_load_dword v20, off, s[0:3], 0 offset:216
	buffer_load_dword v21, off, s[0:3], 0 offset:224
	;; [unrolled: 1-line block ×3, first 2 shown]
	v_fmac_f32_e32 v24, v164, v130
	v_add_f32_e32 v3, v3, v23
	s_waitcnt vmcnt(32)
	v_fmac_f32_e32 v25, v166, v135
	v_add_f32_e32 v3, v3, v24
	buffer_load_dword v23, off, s[0:3], 0 offset:232
	buffer_load_dword v24, off, s[0:3], 0 offset:236
	v_fmac_f32_e32 v26, v168, v132
	v_add_f32_e32 v3, v3, v25
	v_fmac_f32_e32 v27, v170, v129
	v_add_f32_e32 v3, v3, v26
	ds_read2_b64 v[183:186], v114 offset0:75 offset1:76
	buffer_load_dword v25, off, s[0:3], 0 offset:240
	buffer_load_dword v26, off, s[0:3], 0 offset:244
	v_fmac_f32_e32 v28, v172, v128
	v_add_f32_e32 v3, v3, v27
	v_add_f32_e32 v3, v3, v28
	ds_read2_b64 v[187:190], v114 offset0:77 offset1:78
	buffer_load_dword v27, off, s[0:3], 0 offset:248
	buffer_load_dword v28, off, s[0:3], 0 offset:252
	ds_read2_b64 v[191:194], v114 offset0:79 offset1:80
	buffer_load_dword v29, off, s[0:3], 0 offset:260
	buffer_load_dword v30, off, s[0:3], 0 offset:264
	;; [unrolled: 1-line block ×4, first 2 shown]
	ds_read2_b64 v[195:198], v114 offset0:81 offset1:82
	buffer_load_dword v33, off, s[0:3], 0 offset:272
	buffer_load_dword v34, off, s[0:3], 0 offset:276
	;; [unrolled: 1-line block ×16, first 2 shown]
	ds_read2_b64 v[199:202], v114 offset0:83 offset1:84
	buffer_load_dword v49, off, s[0:3], 0 offset:336
	buffer_load_dword v50, off, s[0:3], 0 offset:340
	ds_read2_b64 v[203:206], v114 offset0:85 offset1:86
	buffer_load_dword v51, off, s[0:3], 0 offset:344
	buffer_load_dword v52, off, s[0:3], 0 offset:348
	;; [unrolled: 1-line block ×16, first 2 shown]
	ds_read2_b64 v[207:210], v114 offset0:87 offset1:88
	buffer_load_dword v67, off, s[0:3], 0 offset:408
	buffer_load_dword v68, off, s[0:3], 0 offset:412
	;; [unrolled: 1-line block ×6, first 2 shown]
	s_waitcnt vmcnt(62)
	v_mul_f32_e32 v4, v173, v131
	v_fmac_f32_e32 v4, v174, v146
	v_add_f32_e32 v3, v3, v4
	s_waitcnt lgkmcnt(8)
	v_mul_f32_e32 v4, v175, v145
	ds_read2_b64 v[211:214], v114 offset0:89 offset1:90
	buffer_load_dword v255, off, s[0:3], 0 offset:436
	buffer_load_dword v73, off, s[0:3], 0 offset:440
	buffer_load_dword v74, off, s[0:3], 0 offset:444
	buffer_load_dword v75, off, s[0:3], 0 offset:432
	v_fmac_f32_e32 v4, v176, v143
	v_add_f32_e32 v3, v3, v4
	v_mul_f32_e32 v4, v177, v144
	v_fmac_f32_e32 v4, v178, v141
	v_add_f32_e32 v3, v3, v4
	s_waitcnt lgkmcnt(8)
	v_mul_f32_e32 v4, v179, v142
	v_fmac_f32_e32 v4, v180, v140
	v_add_f32_e32 v3, v3, v4
	v_mul_f32_e32 v4, v181, v147
	v_fmac_f32_e32 v4, v182, v8
	v_add_f32_e32 v3, v3, v4
	s_waitcnt lgkmcnt(7)
	v_mul_f32_e32 v4, v183, v149
	;; [unrolled: 7-line block ×3, first 2 shown]
	v_fmac_f32_e32 v4, v188, v6
	v_add_f32_e32 v3, v3, v4
	v_mul_f32_e32 v4, v189, v10
	v_fmac_f32_e32 v4, v190, v9
	v_add_f32_e32 v3, v3, v4
	s_waitcnt vmcnt(62) lgkmcnt(5)
	v_mul_f32_e32 v4, v191, v12
	v_fmac_f32_e32 v4, v192, v11
	v_add_f32_e32 v3, v3, v4
	v_mul_f32_e32 v4, v193, v14
	v_fmac_f32_e32 v4, v194, v13
	v_add_f32_e32 v3, v3, v4
	s_waitcnt vmcnt(60) lgkmcnt(4)
	v_mul_f32_e32 v4, v195, v16
	v_fmac_f32_e32 v4, v196, v15
	v_add_f32_e32 v3, v3, v4
	s_waitcnt vmcnt(58)
	v_mul_f32_e32 v4, v197, v18
	v_fmac_f32_e32 v4, v198, v17
	v_add_f32_e32 v3, v3, v4
	s_waitcnt vmcnt(57) lgkmcnt(3)
	v_mul_f32_e32 v4, v199, v19
	ds_read2_b64 v[215:218], v114 offset0:91 offset1:92
	ds_read2_b64 v[219:222], v114 offset0:93 offset1:94
	;; [unrolled: 1-line block ×4, first 2 shown]
	s_waitcnt vmcnt(56)
	v_fmac_f32_e32 v4, v200, v20
	v_add_f32_e32 v3, v3, v4
	s_waitcnt vmcnt(54)
	v_mul_f32_e32 v4, v201, v22
	v_fmac_f32_e32 v4, v202, v21
	v_add_f32_e32 v3, v3, v4
	ds_read2_b64 v[231:234], v114 offset0:99 offset1:100
	ds_read2_b64 v[235:238], v114 offset0:101 offset1:102
	s_waitcnt vmcnt(52) lgkmcnt(8)
	v_mul_f32_e32 v4, v203, v24
	v_fmac_f32_e32 v4, v204, v23
	v_add_f32_e32 v3, v3, v4
	ds_read2_b64 v[239:242], v114 offset0:103 offset1:104
	ds_read2_b64 v[243:246], v114 offset0:105 offset1:106
	s_waitcnt vmcnt(50)
	v_mul_f32_e32 v4, v205, v26
	v_fmac_f32_e32 v4, v206, v25
	v_add_f32_e32 v3, v3, v4
	ds_read2_b64 v[247:250], v114 offset0:107 offset1:108
	ds_read2_b64 v[251:254], v114 offset0:109 offset1:110
	s_waitcnt vmcnt(48) lgkmcnt(11)
	v_mul_f32_e32 v4, v207, v28
	v_fmac_f32_e32 v4, v208, v27
	v_add_f32_e32 v3, v3, v4
	s_waitcnt vmcnt(47)
	v_mul_f32_e32 v4, v209, v29
	s_waitcnt vmcnt(44)
	v_fmac_f32_e32 v4, v210, v32
	v_add_f32_e32 v3, v3, v4
	s_waitcnt lgkmcnt(10)
	v_mul_f32_e32 v4, v211, v31
	v_fmac_f32_e32 v4, v212, v30
	v_add_f32_e32 v3, v3, v4
	s_waitcnt vmcnt(42)
	v_mul_f32_e32 v4, v213, v34
	v_fmac_f32_e32 v4, v214, v33
	v_add_f32_e32 v3, v3, v4
	s_waitcnt vmcnt(40) lgkmcnt(9)
	v_mul_f32_e32 v4, v215, v36
	v_fmac_f32_e32 v4, v216, v35
	v_add_f32_e32 v3, v3, v4
	s_waitcnt vmcnt(39)
	v_mul_f32_e32 v4, v217, v37
	s_waitcnt vmcnt(36)
	v_fmac_f32_e32 v4, v218, v40
	v_add_f32_e32 v3, v3, v4
	s_waitcnt lgkmcnt(8)
	v_mul_f32_e32 v4, v219, v39
	v_fmac_f32_e32 v4, v220, v38
	v_add_f32_e32 v3, v3, v4
	s_waitcnt vmcnt(34)
	v_mul_f32_e32 v4, v221, v42
	v_fmac_f32_e32 v4, v222, v41
	v_add_f32_e32 v3, v3, v4
	;; [unrolled: 17-line block ×5, first 2 shown]
	s_waitcnt vmcnt(8) lgkmcnt(1)
	v_mul_f32_e32 v4, v247, v68
	v_fmac_f32_e32 v4, v248, v67
	v_add_f32_e32 v3, v3, v4
	s_waitcnt vmcnt(7)
	v_mul_f32_e32 v4, v249, v69
	s_waitcnt vmcnt(4)
	v_fmac_f32_e32 v4, v250, v72
	v_add_f32_e32 v76, v3, v4
	ds_read_b64 v[3:4], v114 offset:888
	s_waitcnt lgkmcnt(1)
	v_mul_f32_e32 v77, v251, v71
	v_fmac_f32_e32 v77, v252, v70
	v_add_f32_e32 v76, v76, v77
	s_waitcnt vmcnt(3)
	v_mul_f32_e32 v77, v253, v255
	s_waitcnt vmcnt(0)
	v_fmac_f32_e32 v77, v254, v75
	v_add_f32_e32 v76, v76, v77
	s_waitcnt lgkmcnt(0)
	v_mul_f32_e32 v77, v3, v74
	v_fmac_f32_e32 v77, v4, v73
	v_add_f32_e32 v76, v76, v77
	v_mul_f32_e32 v77, v152, v123
	v_fma_f32 v77, v151, v139, -v77
	v_mul_f32_e32 v78, v154, v122
	v_add_f32_e32 v77, 0, v77
	v_fma_f32 v78, v153, v137, -v78
	v_add_f32_e32 v77, v77, v78
	v_mul_f32_e32 v78, v156, v121
	v_fma_f32 v78, v155, v134, -v78
	v_add_f32_e32 v77, v77, v78
	v_mul_f32_e32 v78, v158, v120
	;; [unrolled: 3-line block ×15, first 2 shown]
	v_fma_f32 v77, v183, v148, -v77
	v_mul_f32_e32 v5, v186, v5
	v_add_f32_e32 v8, v8, v77
	v_fma_f32 v5, v185, v150, -v5
	v_mul_f32_e32 v7, v188, v7
	v_add_f32_e32 v5, v8, v5
	v_fma_f32 v6, v187, v6, -v7
	v_add_f32_e32 v5, v5, v6
	v_mul_f32_e32 v6, v190, v10
	v_fma_f32 v6, v189, v9, -v6
	v_add_f32_e32 v5, v5, v6
	v_mul_f32_e32 v6, v192, v12
	;; [unrolled: 3-line block ×33, first 2 shown]
	v_fma_f32 v6, v253, v75, -v6
	v_mul_f32_e32 v4, v4, v74
	v_add_f32_e32 v5, v5, v6
	v_fma_f32 v3, v3, v73, -v4
	v_add_f32_e32 v3, v5, v3
	v_sub_f32_e32 v3, v115, v3
	v_sub_f32_e32 v4, v116, v76
	buffer_store_dword v3, off, s[0:3], 0 offset:16
	buffer_store_dword v4, off, s[0:3], 0 offset:20
	s_and_saveexec_b64 s[4:5], vcc
	s_cbranch_execz .LBB119_347
; %bb.346:
	buffer_load_dword v3, off, s[0:3], 0 offset:8
	buffer_load_dword v4, off, s[0:3], 0 offset:12
	s_waitcnt vmcnt(0)
	ds_write_b64 v113, v[3:4]
	buffer_store_dword v114, off, s[0:3], 0 offset:8
	buffer_store_dword v114, off, s[0:3], 0 offset:12
.LBB119_347:
	s_or_b64 exec, exec, s[4:5]
	s_waitcnt lgkmcnt(0)
	; wave barrier
	buffer_load_dword v123, off, s[0:3], 0 offset:20
	buffer_load_dword v122, off, s[0:3], 0 offset:28
	;; [unrolled: 1-line block ×40, first 2 shown]
	ds_read_b128 v[148:151], v114 offset:464
	ds_read_b128 v[152:155], v114 offset:480
	;; [unrolled: 1-line block ×6, first 2 shown]
	buffer_load_dword v10, off, s[0:3], 0 offset:168
	buffer_load_dword v11, off, s[0:3], 0 offset:172
	;; [unrolled: 1-line block ×12, first 2 shown]
	ds_read_b128 v[172:175], v114 offset:560
	ds_read_b128 v[176:179], v114 offset:576
	v_cmp_ne_u32_e32 vcc, 0, v0
	s_waitcnt vmcnt(51) lgkmcnt(7)
	v_mul_f32_e32 v22, v148, v123
	s_waitcnt vmcnt(50)
	v_mul_f32_e32 v23, v150, v122
	s_waitcnt vmcnt(49) lgkmcnt(6)
	v_mul_f32_e32 v24, v152, v121
	s_waitcnt vmcnt(48)
	v_mul_f32_e32 v25, v154, v120
	;; [unrolled: 4-line block ×5, first 2 shown]
	s_waitcnt vmcnt(41) lgkmcnt(2)
	v_mul_f32_e32 v32, v168, v127
	s_waitcnt vmcnt(40)
	v_fmac_f32_e32 v24, v153, v134
	s_waitcnt vmcnt(39)
	v_fmac_f32_e32 v23, v151, v137
	;; [unrolled: 2-line block ×3, first 2 shown]
	v_add_f32_e32 v22, 0, v22
	v_add_f32_e32 v22, v22, v23
	;; [unrolled: 1-line block ×3, first 2 shown]
	s_waitcnt vmcnt(34)
	v_fmac_f32_e32 v25, v155, v138
	v_fmac_f32_e32 v26, v157, v136
	v_add_f32_e32 v22, v22, v25
	v_fmac_f32_e32 v27, v159, v133
	v_add_f32_e32 v22, v22, v26
	;; [unrolled: 2-line block ×3, first 2 shown]
	s_waitcnt vmcnt(30)
	v_fmac_f32_e32 v29, v163, v135
	v_add_f32_e32 v22, v22, v28
	v_fmac_f32_e32 v30, v165, v132
	v_add_f32_e32 v22, v22, v29
	;; [unrolled: 2-line block ×4, first 2 shown]
	s_waitcnt vmcnt(29)
	v_mul_f32_e32 v23, v170, v131
	v_add_f32_e32 v22, v22, v32
	s_waitcnt vmcnt(25)
	v_fmac_f32_e32 v23, v171, v146
	v_add_f32_e32 v22, v22, v23
	s_waitcnt vmcnt(24) lgkmcnt(1)
	v_mul_f32_e32 v23, v172, v145
	buffer_load_dword v24, off, s[0:3], 0 offset:220
	buffer_load_dword v25, off, s[0:3], 0 offset:216
	;; [unrolled: 1-line block ×4, first 2 shown]
	v_fmac_f32_e32 v23, v173, v143
	v_add_f32_e32 v22, v22, v23
	s_waitcnt vmcnt(27)
	v_mul_f32_e32 v23, v174, v144
	v_fmac_f32_e32 v23, v175, v141
	v_add_f32_e32 v22, v22, v23
	buffer_load_dword v23, off, s[0:3], 0 offset:232
	buffer_load_dword v28, off, s[0:3], 0 offset:236
	ds_read_b128 v[180:183], v114 offset:592
	ds_read_b128 v[184:187], v114 offset:608
	s_waitcnt vmcnt(28) lgkmcnt(2)
	v_mul_f32_e32 v29, v176, v142
	v_fmac_f32_e32 v29, v177, v140
	v_add_f32_e32 v22, v22, v29
	s_waitcnt vmcnt(27)
	v_mul_f32_e32 v29, v178, v147
	s_waitcnt vmcnt(21)
	v_fmac_f32_e32 v29, v179, v8
	v_add_f32_e32 v22, v22, v29
	s_waitcnt vmcnt(20) lgkmcnt(1)
	v_mul_f32_e32 v29, v180, v9
	v_fmac_f32_e32 v29, v181, v7
	v_add_f32_e32 v22, v22, v29
	v_mul_f32_e32 v29, v182, v4
	buffer_load_dword v30, off, s[0:3], 0 offset:244
	v_fmac_f32_e32 v29, v183, v3
	buffer_load_dword v31, off, s[0:3], 0 offset:240
	buffer_load_dword v32, off, s[0:3], 0 offset:248
	;; [unrolled: 1-line block ×3, first 2 shown]
	ds_read_b128 v[188:191], v114 offset:624
	v_add_f32_e32 v22, v22, v29
	s_waitcnt lgkmcnt(1)
	v_mul_f32_e32 v29, v184, v6
	v_fmac_f32_e32 v29, v185, v5
	v_add_f32_e32 v22, v22, v29
	s_waitcnt vmcnt(20)
	v_mul_f32_e32 v29, v186, v11
	v_fmac_f32_e32 v29, v187, v10
	buffer_load_dword v34, off, s[0:3], 0 offset:256
	buffer_load_dword v35, off, s[0:3], 0 offset:260
	v_add_f32_e32 v22, v22, v29
	s_waitcnt vmcnt(20) lgkmcnt(0)
	v_mul_f32_e32 v29, v188, v13
	v_fmac_f32_e32 v29, v189, v12
	ds_read_b128 v[192:195], v114 offset:640
	v_add_f32_e32 v22, v22, v29
	buffer_load_dword v29, off, s[0:3], 0 offset:264
	buffer_load_dword v36, off, s[0:3], 0 offset:268
	s_waitcnt vmcnt(20)
	v_mul_f32_e32 v37, v190, v15
	v_fmac_f32_e32 v37, v191, v14
	buffer_load_dword v38, off, s[0:3], 0 offset:272
	buffer_load_dword v39, off, s[0:3], 0 offset:276
	;; [unrolled: 1-line block ×6, first 2 shown]
	v_add_f32_e32 v22, v22, v37
	s_waitcnt vmcnt(24) lgkmcnt(0)
	v_mul_f32_e32 v37, v192, v17
	v_fmac_f32_e32 v37, v193, v16
	v_add_f32_e32 v22, v22, v37
	buffer_load_dword v37, off, s[0:3], 0 offset:296
	buffer_load_dword v44, off, s[0:3], 0 offset:300
	ds_read_b128 v[196:199], v114 offset:656
	buffer_load_dword v46, off, s[0:3], 0 offset:304
	buffer_load_dword v47, off, s[0:3], 0 offset:308
	;; [unrolled: 1-line block ×6, first 2 shown]
	ds_read_b128 v[200:203], v114 offset:672
	buffer_load_dword v52, off, s[0:3], 0 offset:328
	buffer_load_dword v53, off, s[0:3], 0 offset:332
	s_waitcnt vmcnt(32)
	v_mul_f32_e32 v45, v194, v19
	v_fmac_f32_e32 v45, v195, v18
	v_add_f32_e32 v22, v22, v45
	s_waitcnt vmcnt(30) lgkmcnt(1)
	v_mul_f32_e32 v45, v196, v21
	v_fmac_f32_e32 v45, v197, v20
	v_add_f32_e32 v22, v22, v45
	buffer_load_dword v45, off, s[0:3], 0 offset:336
	buffer_load_dword v54, off, s[0:3], 0 offset:340
	;; [unrolled: 1-line block ×8, first 2 shown]
	v_mul_f32_e32 v82, v151, v122
	v_fma_f32 v82, v150, v137, -v82
	v_mul_f32_e32 v9, v181, v9
	v_fma_f32 v7, v180, v7, -v9
	;; [unrolled: 2-line block ×4, first 2 shown]
	s_waitcnt vmcnt(37)
	v_mul_f32_e32 v59, v198, v24
	s_waitcnt vmcnt(36)
	v_fmac_f32_e32 v59, v199, v25
	v_add_f32_e32 v22, v22, v59
	s_waitcnt vmcnt(34) lgkmcnt(0)
	v_mul_f32_e32 v59, v200, v27
	v_fmac_f32_e32 v59, v201, v26
	v_add_f32_e32 v22, v22, v59
	buffer_load_dword v59, off, s[0:3], 0 offset:368
	buffer_load_dword v62, off, s[0:3], 0 offset:372
	;; [unrolled: 1-line block ×6, first 2 shown]
	ds_read_b128 v[204:207], v114 offset:688
	s_waitcnt vmcnt(38)
	v_mul_f32_e32 v67, v202, v28
	v_fmac_f32_e32 v67, v203, v23
	v_add_f32_e32 v22, v22, v67
	buffer_load_dword v67, off, s[0:3], 0 offset:392
	buffer_load_dword v68, off, s[0:3], 0 offset:396
	ds_read_b128 v[208:211], v114 offset:704
	buffer_load_dword v70, off, s[0:3], 0 offset:400
	buffer_load_dword v71, off, s[0:3], 0 offset:404
	;; [unrolled: 1-line block ×12, first 2 shown]
	ds_read_b128 v[212:215], v114 offset:720
	ds_read_b128 v[216:219], v114 offset:736
	;; [unrolled: 1-line block ×6, first 2 shown]
	s_waitcnt vmcnt(51) lgkmcnt(7)
	v_mul_f32_e32 v69, v204, v30
	s_waitcnt vmcnt(50)
	v_fmac_f32_e32 v69, v205, v31
	v_add_f32_e32 v22, v22, v69
	s_waitcnt vmcnt(48)
	v_mul_f32_e32 v69, v206, v33
	v_fmac_f32_e32 v69, v207, v32
	v_add_f32_e32 v22, v22, v69
	ds_read_b128 v[236:239], v114 offset:816
	ds_read_b128 v[240:243], v114 offset:832
	;; [unrolled: 1-line block ×4, first 2 shown]
	s_waitcnt vmcnt(46) lgkmcnt(10)
	v_mul_f32_e32 v69, v208, v35
	v_fmac_f32_e32 v69, v209, v34
	v_add_f32_e32 v22, v22, v69
	ds_read_b128 v[252:255], v114 offset:880
	s_waitcnt vmcnt(44)
	v_mul_f32_e32 v69, v210, v36
	v_fmac_f32_e32 v69, v211, v29
	v_add_f32_e32 v22, v22, v69
	s_waitcnt vmcnt(42) lgkmcnt(10)
	v_mul_f32_e32 v69, v212, v39
	v_fmac_f32_e32 v69, v213, v38
	v_add_f32_e32 v22, v22, v69
	s_waitcnt vmcnt(41)
	v_mul_f32_e32 v69, v214, v40
	s_waitcnt vmcnt(38)
	v_fmac_f32_e32 v69, v215, v43
	v_add_f32_e32 v22, v22, v69
	s_waitcnt lgkmcnt(9)
	v_mul_f32_e32 v69, v216, v42
	v_fmac_f32_e32 v69, v217, v41
	v_add_f32_e32 v22, v22, v69
	s_waitcnt vmcnt(36)
	v_mul_f32_e32 v69, v218, v44
	v_fmac_f32_e32 v69, v219, v37
	v_add_f32_e32 v22, v22, v69
	s_waitcnt vmcnt(34) lgkmcnt(8)
	v_mul_f32_e32 v69, v220, v47
	v_fmac_f32_e32 v69, v221, v46
	v_add_f32_e32 v22, v22, v69
	s_waitcnt vmcnt(33)
	v_mul_f32_e32 v69, v222, v48
	s_waitcnt vmcnt(30)
	v_fmac_f32_e32 v69, v223, v51
	v_add_f32_e32 v22, v22, v69
	s_waitcnt lgkmcnt(7)
	v_mul_f32_e32 v69, v224, v50
	v_fmac_f32_e32 v69, v225, v49
	v_add_f32_e32 v22, v22, v69
	;; [unrolled: 17-line block ×5, first 2 shown]
	s_waitcnt vmcnt(4)
	v_mul_f32_e32 v69, v250, v77
	v_fmac_f32_e32 v69, v251, v76
	v_add_f32_e32 v22, v22, v69
	s_waitcnt vmcnt(3) lgkmcnt(0)
	v_mul_f32_e32 v69, v252, v78
	s_waitcnt vmcnt(0)
	v_fmac_f32_e32 v69, v253, v81
	v_add_f32_e32 v22, v22, v69
	v_mul_f32_e32 v69, v254, v80
	v_fmac_f32_e32 v69, v255, v79
	v_add_f32_e32 v22, v22, v69
	v_mul_f32_e32 v69, v149, v123
	v_fma_f32 v69, v148, v139, -v69
	v_add_f32_e32 v69, 0, v69
	v_add_f32_e32 v69, v69, v82
	v_mul_f32_e32 v82, v153, v121
	v_fma_f32 v82, v152, v134, -v82
	v_add_f32_e32 v69, v69, v82
	v_mul_f32_e32 v82, v155, v120
	v_fma_f32 v82, v154, v138, -v82
	;; [unrolled: 3-line block ×14, first 2 shown]
	v_add_f32_e32 v8, v69, v8
	v_add_f32_e32 v7, v8, v7
	;; [unrolled: 1-line block ×4, first 2 shown]
	v_mul_f32_e32 v4, v187, v11
	v_fma_f32 v4, v186, v10, -v4
	v_add_f32_e32 v3, v3, v4
	v_mul_f32_e32 v4, v189, v13
	v_fma_f32 v4, v188, v12, -v4
	v_add_f32_e32 v3, v3, v4
	;; [unrolled: 3-line block ×35, first 2 shown]
	v_sub_f32_e32 v3, v117, v3
	v_sub_f32_e32 v4, v118, v22
	buffer_store_dword v3, off, s[0:3], 0 offset:8
	buffer_store_dword v4, off, s[0:3], 0 offset:12
	s_and_saveexec_b64 s[4:5], vcc
	s_cbranch_execz .LBB119_349
; %bb.348:
	buffer_load_dword v3, off, s[0:3], 0
	buffer_load_dword v4, off, s[0:3], 0 offset:4
	v_mov_b32_e32 v0, 0
	buffer_store_dword v0, off, s[0:3], 0
	buffer_store_dword v0, off, s[0:3], 0 offset:4
	s_waitcnt vmcnt(2)
	ds_write_b64 v113, v[3:4]
.LBB119_349:
	s_or_b64 exec, exec, s[4:5]
	s_waitcnt lgkmcnt(0)
	; wave barrier
	buffer_load_dword v121, off, s[0:3], 0 offset:12
	buffer_load_dword v120, off, s[0:3], 0 offset:20
	;; [unrolled: 1-line block ×38, first 2 shown]
	buffer_load_dword v113, off, s[0:3], 0
	buffer_load_dword v114, off, s[0:3], 0 offset:4
	v_mov_b32_e32 v0, 0
	buffer_load_dword v10, off, s[0:3], 0 offset:160
	buffer_load_dword v11, off, s[0:3], 0 offset:164
	;; [unrolled: 1-line block ×12, first 2 shown]
	ds_read2_b64 v[152:155], v0 offset0:57 offset1:58
	ds_read2_b64 v[156:159], v0 offset0:59 offset1:60
	;; [unrolled: 1-line block ×6, first 2 shown]
	s_and_b64 vcc, exec, s[14:15]
	s_waitcnt vmcnt(51) lgkmcnt(5)
	v_mul_f32_e32 v3, v152, v121
	s_waitcnt vmcnt(50)
	v_mul_f32_e32 v4, v154, v120
	s_waitcnt vmcnt(49) lgkmcnt(4)
	v_mul_f32_e32 v5, v156, v119
	s_waitcnt vmcnt(48)
	v_mul_f32_e32 v6, v158, v118
	s_waitcnt vmcnt(47) lgkmcnt(3)
	v_mul_f32_e32 v7, v160, v117
	s_waitcnt vmcnt(46)
	v_mul_f32_e32 v8, v162, v116
	s_waitcnt vmcnt(45) lgkmcnt(2)
	v_mul_f32_e32 v22, v164, v115
	s_waitcnt vmcnt(44)
	v_mul_f32_e32 v23, v166, v122
	s_waitcnt vmcnt(43) lgkmcnt(1)
	v_mul_f32_e32 v24, v168, v123
	s_waitcnt vmcnt(42)
	v_mul_f32_e32 v25, v170, v124
	s_waitcnt vmcnt(41) lgkmcnt(0)
	v_mul_f32_e32 v26, v172, v125
	s_waitcnt vmcnt(40)
	v_fmac_f32_e32 v5, v157, v132
	s_waitcnt vmcnt(39)
	v_fmac_f32_e32 v4, v155, v135
	;; [unrolled: 2-line block ×3, first 2 shown]
	v_add_f32_e32 v3, 0, v3
	v_add_f32_e32 v3, v3, v4
	;; [unrolled: 1-line block ×3, first 2 shown]
	s_waitcnt vmcnt(34)
	v_fmac_f32_e32 v6, v159, v136
	v_fmac_f32_e32 v7, v161, v134
	v_add_f32_e32 v3, v3, v6
	v_fmac_f32_e32 v8, v163, v131
	v_add_f32_e32 v3, v3, v7
	;; [unrolled: 2-line block ×3, first 2 shown]
	s_waitcnt vmcnt(30)
	v_fmac_f32_e32 v23, v167, v133
	v_add_f32_e32 v3, v3, v22
	v_fmac_f32_e32 v24, v169, v130
	v_add_f32_e32 v3, v3, v23
	buffer_load_dword v22, off, s[0:3], 0 offset:208
	buffer_load_dword v23, off, s[0:3], 0 offset:212
	v_fmac_f32_e32 v25, v171, v127
	v_add_f32_e32 v3, v3, v24
	v_add_f32_e32 v3, v3, v25
	ds_read2_b64 v[176:179], v0 offset0:69 offset1:70
	buffer_load_dword v24, off, s[0:3], 0 offset:216
	buffer_load_dword v25, off, s[0:3], 0 offset:220
	v_fmac_f32_e32 v26, v173, v126
	v_add_f32_e32 v3, v3, v26
	ds_read2_b64 v[180:183], v0 offset0:71 offset1:72
	buffer_load_dword v26, off, s[0:3], 0 offset:224
	buffer_load_dword v27, off, s[0:3], 0 offset:228
	ds_read2_b64 v[184:187], v0 offset0:73 offset1:74
	buffer_load_dword v28, off, s[0:3], 0 offset:232
	buffer_load_dword v29, off, s[0:3], 0 offset:236
	;; [unrolled: 3-line block ×3, first 2 shown]
	buffer_load_dword v32, off, s[0:3], 0 offset:248
	buffer_load_dword v33, off, s[0:3], 0 offset:252
	ds_read2_b64 v[192:195], v0 offset0:77 offset1:78
	ds_read2_b64 v[196:199], v0 offset0:79 offset1:80
	buffer_load_dword v34, off, s[0:3], 0 offset:256
	buffer_load_dword v35, off, s[0:3], 0 offset:260
	;; [unrolled: 1-line block ×10, first 2 shown]
	ds_read2_b64 v[200:203], v0 offset0:81 offset1:82
	buffer_load_dword v44, off, s[0:3], 0 offset:296
	buffer_load_dword v45, off, s[0:3], 0 offset:300
	;; [unrolled: 1-line block ×6, first 2 shown]
	ds_read2_b64 v[204:207], v0 offset0:83 offset1:84
	buffer_load_dword v50, off, s[0:3], 0 offset:320
	buffer_load_dword v51, off, s[0:3], 0 offset:324
	;; [unrolled: 1-line block ×10, first 2 shown]
	ds_read2_b64 v[208:211], v0 offset0:85 offset1:86
	buffer_load_dword v60, off, s[0:3], 0 offset:360
	buffer_load_dword v61, off, s[0:3], 0 offset:364
	;; [unrolled: 1-line block ×6, first 2 shown]
	ds_read2_b64 v[212:215], v0 offset0:87 offset1:88
	buffer_load_dword v66, off, s[0:3], 0 offset:384
	buffer_load_dword v67, off, s[0:3], 0 offset:388
	;; [unrolled: 1-line block ×8, first 2 shown]
	s_waitcnt vmcnt(62)
	v_mul_f32_e32 v4, v174, v129
	v_fmac_f32_e32 v4, v175, v145
	v_add_f32_e32 v3, v3, v4
	s_waitcnt lgkmcnt(9)
	v_mul_f32_e32 v4, v176, v143
	buffer_load_dword v74, off, s[0:3], 0 offset:416
	buffer_load_dword v75, off, s[0:3], 0 offset:420
	v_fmac_f32_e32 v4, v177, v141
	v_add_f32_e32 v3, v3, v4
	v_mul_f32_e32 v4, v178, v142
	v_fmac_f32_e32 v4, v179, v140
	v_add_f32_e32 v3, v3, v4
	s_waitcnt lgkmcnt(8)
	v_mul_f32_e32 v4, v180, v139
	v_fmac_f32_e32 v4, v181, v138
	v_add_f32_e32 v3, v3, v4
	v_mul_f32_e32 v4, v182, v144
	buffer_load_dword v76, off, s[0:3], 0 offset:424
	buffer_load_dword v77, off, s[0:3], 0 offset:428
	;; [unrolled: 1-line block ×6, first 2 shown]
	v_fmac_f32_e32 v4, v183, v9
	v_add_f32_e32 v3, v3, v4
	s_waitcnt lgkmcnt(7)
	v_mul_f32_e32 v4, v184, v147
	v_fmac_f32_e32 v4, v185, v146
	v_add_f32_e32 v3, v3, v4
	v_mul_f32_e32 v4, v186, v149
	v_fmac_f32_e32 v4, v187, v148
	v_add_f32_e32 v3, v3, v4
	s_waitcnt lgkmcnt(6)
	v_mul_f32_e32 v4, v188, v151
	v_fmac_f32_e32 v4, v189, v150
	v_add_f32_e32 v3, v3, v4
	v_mul_f32_e32 v4, v190, v11
	v_fmac_f32_e32 v4, v191, v10
	v_add_f32_e32 v3, v3, v4
	s_waitcnt vmcnt(62) lgkmcnt(5)
	v_mul_f32_e32 v4, v192, v13
	v_fmac_f32_e32 v4, v193, v12
	v_add_f32_e32 v3, v3, v4
	v_mul_f32_e32 v4, v194, v15
	v_fmac_f32_e32 v4, v195, v14
	v_add_f32_e32 v3, v3, v4
	s_waitcnt lgkmcnt(4)
	v_mul_f32_e32 v4, v196, v17
	v_fmac_f32_e32 v4, v197, v16
	v_add_f32_e32 v3, v3, v4
	v_mul_f32_e32 v4, v198, v19
	v_fmac_f32_e32 v4, v199, v18
	v_add_f32_e32 v3, v3, v4
	s_waitcnt vmcnt(60) lgkmcnt(3)
	v_mul_f32_e32 v4, v200, v21
	v_fmac_f32_e32 v4, v201, v20
	v_add_f32_e32 v3, v3, v4
	ds_read2_b64 v[216:219], v0 offset0:89 offset1:90
	ds_read2_b64 v[220:223], v0 offset0:91 offset1:92
	;; [unrolled: 1-line block ×6, first 2 shown]
	s_waitcnt vmcnt(58)
	v_mul_f32_e32 v4, v202, v23
	v_fmac_f32_e32 v4, v203, v22
	v_add_f32_e32 v3, v3, v4
	ds_read2_b64 v[240:243], v0 offset0:101 offset1:102
	ds_read2_b64 v[244:247], v0 offset0:103 offset1:104
	s_waitcnt vmcnt(56) lgkmcnt(10)
	v_mul_f32_e32 v4, v204, v25
	v_fmac_f32_e32 v4, v205, v24
	v_add_f32_e32 v3, v3, v4
	ds_read2_b64 v[248:251], v0 offset0:105 offset1:106
	ds_read2_b64 v[252:255], v0 offset0:107 offset1:108
	s_waitcnt vmcnt(54)
	v_mul_f32_e32 v4, v206, v27
	v_fmac_f32_e32 v4, v207, v26
	v_add_f32_e32 v3, v3, v4
	s_waitcnt vmcnt(52) lgkmcnt(11)
	v_mul_f32_e32 v4, v208, v29
	v_fmac_f32_e32 v4, v209, v28
	v_add_f32_e32 v3, v3, v4
	s_waitcnt vmcnt(51)
	v_mul_f32_e32 v4, v210, v30
	s_waitcnt vmcnt(50)
	v_fmac_f32_e32 v4, v211, v31
	v_add_f32_e32 v3, v3, v4
	s_waitcnt vmcnt(48) lgkmcnt(10)
	v_mul_f32_e32 v4, v212, v33
	v_fmac_f32_e32 v4, v213, v32
	v_add_f32_e32 v3, v3, v4
	s_waitcnt vmcnt(46)
	v_mul_f32_e32 v4, v214, v35
	v_fmac_f32_e32 v4, v215, v34
	v_add_f32_e32 v3, v3, v4
	s_waitcnt vmcnt(44) lgkmcnt(9)
	v_mul_f32_e32 v4, v216, v37
	v_fmac_f32_e32 v4, v217, v36
	v_add_f32_e32 v3, v3, v4
	s_waitcnt vmcnt(43)
	v_mul_f32_e32 v4, v218, v38
	s_waitcnt vmcnt(40)
	v_fmac_f32_e32 v4, v219, v41
	v_add_f32_e32 v3, v3, v4
	s_waitcnt lgkmcnt(8)
	v_mul_f32_e32 v4, v220, v40
	v_fmac_f32_e32 v4, v221, v39
	v_add_f32_e32 v3, v3, v4
	s_waitcnt vmcnt(38)
	v_mul_f32_e32 v4, v222, v43
	v_fmac_f32_e32 v4, v223, v42
	v_add_f32_e32 v3, v3, v4
	s_waitcnt vmcnt(36) lgkmcnt(7)
	v_mul_f32_e32 v4, v224, v45
	v_fmac_f32_e32 v4, v225, v44
	v_add_f32_e32 v3, v3, v4
	s_waitcnt vmcnt(35)
	v_mul_f32_e32 v4, v226, v46
	s_waitcnt vmcnt(32)
	v_fmac_f32_e32 v4, v227, v49
	v_add_f32_e32 v3, v3, v4
	s_waitcnt lgkmcnt(6)
	;; [unrolled: 17-line block ×5, first 2 shown]
	v_mul_f32_e32 v4, v252, v72
	v_fmac_f32_e32 v4, v253, v71
	v_add_f32_e32 v7, v3, v4
	ds_read2_b64 v[3:6], v0 offset0:109 offset1:110
	s_waitcnt vmcnt(6)
	v_mul_f32_e32 v8, v254, v75
	v_fmac_f32_e32 v8, v255, v74
	v_add_f32_e32 v82, v7, v8
	ds_read_b64 v[7:8], v0 offset:888
	s_waitcnt vmcnt(4) lgkmcnt(1)
	v_mul_f32_e32 v83, v3, v77
	v_fmac_f32_e32 v83, v4, v76
	v_add_f32_e32 v82, v82, v83
	s_waitcnt vmcnt(3)
	v_mul_f32_e32 v83, v5, v78
	s_waitcnt vmcnt(0)
	v_fmac_f32_e32 v83, v6, v81
	v_add_f32_e32 v82, v82, v83
	s_waitcnt lgkmcnt(0)
	v_mul_f32_e32 v83, v7, v80
	v_fmac_f32_e32 v83, v8, v79
	v_add_f32_e32 v82, v82, v83
	v_mul_f32_e32 v83, v153, v121
	v_fma_f32 v83, v152, v137, -v83
	v_mul_f32_e32 v84, v155, v120
	v_add_f32_e32 v83, 0, v83
	v_fma_f32 v84, v154, v135, -v84
	v_add_f32_e32 v83, v83, v84
	v_mul_f32_e32 v84, v157, v119
	v_fma_f32 v84, v156, v132, -v84
	v_add_f32_e32 v83, v83, v84
	v_mul_f32_e32 v84, v159, v118
	;; [unrolled: 3-line block ×17, first 2 shown]
	v_fma_f32 v83, v188, v150, -v83
	v_mul_f32_e32 v11, v191, v11
	v_add_f32_e32 v9, v9, v83
	v_fma_f32 v10, v190, v10, -v11
	v_add_f32_e32 v9, v9, v10
	v_mul_f32_e32 v10, v193, v13
	v_fma_f32 v10, v192, v12, -v10
	v_add_f32_e32 v9, v9, v10
	v_mul_f32_e32 v10, v195, v15
	v_fma_f32 v10, v194, v14, -v10
	v_add_f32_e32 v9, v9, v10
	v_mul_f32_e32 v10, v197, v17
	v_fma_f32 v10, v196, v16, -v10
	v_add_f32_e32 v9, v9, v10
	v_mul_f32_e32 v10, v199, v19
	v_fma_f32 v10, v198, v18, -v10
	v_add_f32_e32 v9, v9, v10
	v_mul_f32_e32 v10, v201, v21
	v_fma_f32 v10, v200, v20, -v10
	v_add_f32_e32 v9, v9, v10
	v_mul_f32_e32 v10, v203, v23
	v_fma_f32 v10, v202, v22, -v10
	v_add_f32_e32 v9, v9, v10
	v_mul_f32_e32 v10, v205, v25
	v_fma_f32 v10, v204, v24, -v10
	v_add_f32_e32 v9, v9, v10
	v_mul_f32_e32 v10, v207, v27
	v_fma_f32 v10, v206, v26, -v10
	v_add_f32_e32 v9, v9, v10
	v_mul_f32_e32 v10, v209, v29
	v_fma_f32 v10, v208, v28, -v10
	v_add_f32_e32 v9, v9, v10
	v_mul_f32_e32 v10, v211, v30
	v_fma_f32 v10, v210, v31, -v10
	v_add_f32_e32 v9, v9, v10
	v_mul_f32_e32 v10, v213, v33
	v_fma_f32 v10, v212, v32, -v10
	v_add_f32_e32 v9, v9, v10
	v_mul_f32_e32 v10, v215, v35
	v_fma_f32 v10, v214, v34, -v10
	v_add_f32_e32 v9, v9, v10
	v_mul_f32_e32 v10, v217, v37
	v_fma_f32 v10, v216, v36, -v10
	v_add_f32_e32 v9, v9, v10
	v_mul_f32_e32 v10, v219, v38
	v_fma_f32 v10, v218, v41, -v10
	v_add_f32_e32 v9, v9, v10
	v_mul_f32_e32 v10, v221, v40
	v_fma_f32 v10, v220, v39, -v10
	v_add_f32_e32 v9, v9, v10
	v_mul_f32_e32 v10, v223, v43
	v_fma_f32 v10, v222, v42, -v10
	v_add_f32_e32 v9, v9, v10
	v_mul_f32_e32 v10, v225, v45
	v_fma_f32 v10, v224, v44, -v10
	v_add_f32_e32 v9, v9, v10
	v_mul_f32_e32 v10, v227, v46
	v_fma_f32 v10, v226, v49, -v10
	v_add_f32_e32 v9, v9, v10
	v_mul_f32_e32 v10, v229, v48
	v_fma_f32 v10, v228, v47, -v10
	v_add_f32_e32 v9, v9, v10
	v_mul_f32_e32 v10, v231, v51
	v_fma_f32 v10, v230, v50, -v10
	v_add_f32_e32 v9, v9, v10
	v_mul_f32_e32 v10, v233, v53
	v_fma_f32 v10, v232, v52, -v10
	v_add_f32_e32 v9, v9, v10
	v_mul_f32_e32 v10, v235, v54
	v_fma_f32 v10, v234, v57, -v10
	v_add_f32_e32 v9, v9, v10
	v_mul_f32_e32 v10, v237, v56
	v_fma_f32 v10, v236, v55, -v10
	v_add_f32_e32 v9, v9, v10
	v_mul_f32_e32 v10, v239, v59
	v_fma_f32 v10, v238, v58, -v10
	v_add_f32_e32 v9, v9, v10
	v_mul_f32_e32 v10, v241, v61
	v_fma_f32 v10, v240, v60, -v10
	v_add_f32_e32 v9, v9, v10
	v_mul_f32_e32 v10, v243, v62
	v_fma_f32 v10, v242, v65, -v10
	v_add_f32_e32 v9, v9, v10
	v_mul_f32_e32 v10, v245, v64
	v_fma_f32 v10, v244, v63, -v10
	v_add_f32_e32 v9, v9, v10
	v_mul_f32_e32 v10, v247, v67
	v_fma_f32 v10, v246, v66, -v10
	v_add_f32_e32 v9, v9, v10
	v_mul_f32_e32 v10, v249, v69
	v_fma_f32 v10, v248, v68, -v10
	v_add_f32_e32 v9, v9, v10
	v_mul_f32_e32 v10, v251, v70
	v_fma_f32 v10, v250, v73, -v10
	v_add_f32_e32 v9, v9, v10
	v_mul_f32_e32 v10, v253, v72
	v_fma_f32 v10, v252, v71, -v10
	v_add_f32_e32 v9, v9, v10
	v_mul_f32_e32 v10, v255, v75
	v_fma_f32 v10, v254, v74, -v10
	v_mul_f32_e32 v4, v4, v77
	v_add_f32_e32 v9, v9, v10
	v_fma_f32 v3, v3, v76, -v4
	v_mul_f32_e32 v4, v6, v78
	v_add_f32_e32 v3, v9, v3
	v_fma_f32 v4, v5, v81, -v4
	v_add_f32_e32 v3, v3, v4
	v_mul_f32_e32 v4, v8, v80
	v_fma_f32 v4, v7, v79, -v4
	v_add_f32_e32 v3, v3, v4
	v_sub_f32_e32 v3, v113, v3
	v_sub_f32_e32 v4, v114, v82
	buffer_store_dword v3, off, s[0:3], 0
	buffer_store_dword v4, off, s[0:3], 0 offset:4
	s_cbranch_vccz .LBB119_460
; %bb.350:
	global_load_dword v0, v0, s[12:13] offset:216
	s_waitcnt vmcnt(0)
	v_add_u32_e32 v0, -1, v0
	v_cmp_ne_u32_e32 vcc, 54, v0
	s_cbranch_vccz .LBB119_352
; %bb.351:
	v_lshlrev_b32_e32 v0, 3, v0
	buffer_load_dword v3, v0, s[0:3], 0 offen
	buffer_load_dword v4, v0, s[0:3], 0 offen offset:4
	buffer_load_dword v5, off, s[0:3], 0 offset:436
	buffer_load_dword v6, off, s[0:3], 0 offset:432
	s_waitcnt vmcnt(3)
	buffer_store_dword v3, off, s[0:3], 0 offset:432
	s_waitcnt vmcnt(3)
	buffer_store_dword v4, off, s[0:3], 0 offset:436
	s_waitcnt vmcnt(3)
	buffer_store_dword v5, v0, s[0:3], 0 offen offset:4
	s_waitcnt vmcnt(3)
	buffer_store_dword v6, v0, s[0:3], 0 offen
.LBB119_352:
	v_mov_b32_e32 v0, 0
	global_load_dword v3, v0, s[12:13] offset:212
	s_waitcnt vmcnt(0)
	v_add_u32_e32 v113, -1, v3
	v_cmp_eq_u32_e32 vcc, 53, v113
	s_cbranch_vccnz .LBB119_354
; %bb.353:
	v_lshlrev_b32_e32 v3, 3, v113
	buffer_load_dword v4, v3, s[0:3], 0 offen
	buffer_load_dword v5, v3, s[0:3], 0 offen offset:4
	buffer_load_dword v6, off, s[0:3], 0 offset:424
	buffer_load_dword v7, off, s[0:3], 0 offset:428
	s_waitcnt vmcnt(3)
	buffer_store_dword v4, off, s[0:3], 0 offset:424
	s_waitcnt vmcnt(3)
	buffer_store_dword v5, off, s[0:3], 0 offset:428
	s_waitcnt vmcnt(3)
	buffer_store_dword v6, v3, s[0:3], 0 offen
	s_waitcnt vmcnt(3)
	buffer_store_dword v7, v3, s[0:3], 0 offen offset:4
.LBB119_354:
	global_load_dword v0, v0, s[12:13] offset:208
	s_waitcnt vmcnt(0)
	v_add_u32_e32 v0, -1, v0
	v_cmp_eq_u32_e32 vcc, 52, v0
	s_cbranch_vccnz .LBB119_356
; %bb.355:
	v_lshlrev_b32_e32 v0, 3, v0
	buffer_load_dword v3, v0, s[0:3], 0 offen
	buffer_load_dword v4, v0, s[0:3], 0 offen offset:4
	buffer_load_dword v5, off, s[0:3], 0 offset:420
	buffer_load_dword v6, off, s[0:3], 0 offset:416
	s_waitcnt vmcnt(3)
	buffer_store_dword v3, off, s[0:3], 0 offset:416
	s_waitcnt vmcnt(3)
	buffer_store_dword v4, off, s[0:3], 0 offset:420
	s_waitcnt vmcnt(3)
	buffer_store_dword v5, v0, s[0:3], 0 offen offset:4
	s_waitcnt vmcnt(3)
	buffer_store_dword v6, v0, s[0:3], 0 offen
.LBB119_356:
	v_mov_b32_e32 v0, 0
	global_load_dword v3, v0, s[12:13] offset:204
	s_waitcnt vmcnt(0)
	v_add_u32_e32 v113, -1, v3
	v_cmp_eq_u32_e32 vcc, 51, v113
	s_cbranch_vccnz .LBB119_358
; %bb.357:
	v_lshlrev_b32_e32 v3, 3, v113
	buffer_load_dword v4, v3, s[0:3], 0 offen
	buffer_load_dword v5, v3, s[0:3], 0 offen offset:4
	buffer_load_dword v6, off, s[0:3], 0 offset:408
	buffer_load_dword v7, off, s[0:3], 0 offset:412
	s_waitcnt vmcnt(3)
	buffer_store_dword v4, off, s[0:3], 0 offset:408
	s_waitcnt vmcnt(3)
	buffer_store_dword v5, off, s[0:3], 0 offset:412
	s_waitcnt vmcnt(3)
	buffer_store_dword v6, v3, s[0:3], 0 offen
	s_waitcnt vmcnt(3)
	buffer_store_dword v7, v3, s[0:3], 0 offen offset:4
.LBB119_358:
	global_load_dword v0, v0, s[12:13] offset:200
	s_waitcnt vmcnt(0)
	v_add_u32_e32 v0, -1, v0
	v_cmp_eq_u32_e32 vcc, 50, v0
	s_cbranch_vccnz .LBB119_360
; %bb.359:
	v_lshlrev_b32_e32 v0, 3, v0
	buffer_load_dword v3, v0, s[0:3], 0 offen
	buffer_load_dword v4, v0, s[0:3], 0 offen offset:4
	buffer_load_dword v5, off, s[0:3], 0 offset:404
	buffer_load_dword v6, off, s[0:3], 0 offset:400
	s_waitcnt vmcnt(3)
	buffer_store_dword v3, off, s[0:3], 0 offset:400
	s_waitcnt vmcnt(3)
	buffer_store_dword v4, off, s[0:3], 0 offset:404
	s_waitcnt vmcnt(3)
	buffer_store_dword v5, v0, s[0:3], 0 offen offset:4
	s_waitcnt vmcnt(3)
	buffer_store_dword v6, v0, s[0:3], 0 offen
.LBB119_360:
	v_mov_b32_e32 v0, 0
	global_load_dword v3, v0, s[12:13] offset:196
	s_waitcnt vmcnt(0)
	v_add_u32_e32 v113, -1, v3
	v_cmp_eq_u32_e32 vcc, 49, v113
	s_cbranch_vccnz .LBB119_362
; %bb.361:
	v_lshlrev_b32_e32 v3, 3, v113
	buffer_load_dword v4, v3, s[0:3], 0 offen
	buffer_load_dword v5, v3, s[0:3], 0 offen offset:4
	buffer_load_dword v6, off, s[0:3], 0 offset:392
	buffer_load_dword v7, off, s[0:3], 0 offset:396
	s_waitcnt vmcnt(3)
	buffer_store_dword v4, off, s[0:3], 0 offset:392
	s_waitcnt vmcnt(3)
	buffer_store_dword v5, off, s[0:3], 0 offset:396
	s_waitcnt vmcnt(3)
	buffer_store_dword v6, v3, s[0:3], 0 offen
	s_waitcnt vmcnt(3)
	buffer_store_dword v7, v3, s[0:3], 0 offen offset:4
.LBB119_362:
	global_load_dword v0, v0, s[12:13] offset:192
	s_waitcnt vmcnt(0)
	v_add_u32_e32 v0, -1, v0
	v_cmp_eq_u32_e32 vcc, 48, v0
	s_cbranch_vccnz .LBB119_364
; %bb.363:
	v_lshlrev_b32_e32 v0, 3, v0
	buffer_load_dword v3, v0, s[0:3], 0 offen
	buffer_load_dword v4, v0, s[0:3], 0 offen offset:4
	buffer_load_dword v5, off, s[0:3], 0 offset:388
	buffer_load_dword v6, off, s[0:3], 0 offset:384
	s_waitcnt vmcnt(3)
	buffer_store_dword v3, off, s[0:3], 0 offset:384
	s_waitcnt vmcnt(3)
	buffer_store_dword v4, off, s[0:3], 0 offset:388
	s_waitcnt vmcnt(3)
	buffer_store_dword v5, v0, s[0:3], 0 offen offset:4
	s_waitcnt vmcnt(3)
	buffer_store_dword v6, v0, s[0:3], 0 offen
.LBB119_364:
	v_mov_b32_e32 v0, 0
	global_load_dword v3, v0, s[12:13] offset:188
	s_waitcnt vmcnt(0)
	v_add_u32_e32 v113, -1, v3
	v_cmp_eq_u32_e32 vcc, 47, v113
	s_cbranch_vccnz .LBB119_366
; %bb.365:
	v_lshlrev_b32_e32 v3, 3, v113
	buffer_load_dword v4, v3, s[0:3], 0 offen
	buffer_load_dword v5, v3, s[0:3], 0 offen offset:4
	buffer_load_dword v6, off, s[0:3], 0 offset:376
	buffer_load_dword v7, off, s[0:3], 0 offset:380
	s_waitcnt vmcnt(3)
	buffer_store_dword v4, off, s[0:3], 0 offset:376
	s_waitcnt vmcnt(3)
	buffer_store_dword v5, off, s[0:3], 0 offset:380
	s_waitcnt vmcnt(3)
	buffer_store_dword v6, v3, s[0:3], 0 offen
	s_waitcnt vmcnt(3)
	buffer_store_dword v7, v3, s[0:3], 0 offen offset:4
.LBB119_366:
	global_load_dword v0, v0, s[12:13] offset:184
	s_waitcnt vmcnt(0)
	v_add_u32_e32 v0, -1, v0
	v_cmp_eq_u32_e32 vcc, 46, v0
	s_cbranch_vccnz .LBB119_368
; %bb.367:
	v_lshlrev_b32_e32 v0, 3, v0
	buffer_load_dword v3, v0, s[0:3], 0 offen
	buffer_load_dword v4, v0, s[0:3], 0 offen offset:4
	buffer_load_dword v5, off, s[0:3], 0 offset:372
	buffer_load_dword v6, off, s[0:3], 0 offset:368
	s_waitcnt vmcnt(3)
	buffer_store_dword v3, off, s[0:3], 0 offset:368
	s_waitcnt vmcnt(3)
	buffer_store_dword v4, off, s[0:3], 0 offset:372
	s_waitcnt vmcnt(3)
	buffer_store_dword v5, v0, s[0:3], 0 offen offset:4
	s_waitcnt vmcnt(3)
	buffer_store_dword v6, v0, s[0:3], 0 offen
.LBB119_368:
	v_mov_b32_e32 v0, 0
	global_load_dword v3, v0, s[12:13] offset:180
	s_waitcnt vmcnt(0)
	v_add_u32_e32 v113, -1, v3
	v_cmp_eq_u32_e32 vcc, 45, v113
	s_cbranch_vccnz .LBB119_370
; %bb.369:
	v_lshlrev_b32_e32 v3, 3, v113
	buffer_load_dword v4, v3, s[0:3], 0 offen
	buffer_load_dword v5, v3, s[0:3], 0 offen offset:4
	buffer_load_dword v6, off, s[0:3], 0 offset:360
	buffer_load_dword v7, off, s[0:3], 0 offset:364
	s_waitcnt vmcnt(3)
	buffer_store_dword v4, off, s[0:3], 0 offset:360
	s_waitcnt vmcnt(3)
	buffer_store_dword v5, off, s[0:3], 0 offset:364
	s_waitcnt vmcnt(3)
	buffer_store_dword v6, v3, s[0:3], 0 offen
	s_waitcnt vmcnt(3)
	buffer_store_dword v7, v3, s[0:3], 0 offen offset:4
.LBB119_370:
	global_load_dword v0, v0, s[12:13] offset:176
	s_waitcnt vmcnt(0)
	v_add_u32_e32 v0, -1, v0
	v_cmp_eq_u32_e32 vcc, 44, v0
	s_cbranch_vccnz .LBB119_372
; %bb.371:
	v_lshlrev_b32_e32 v0, 3, v0
	buffer_load_dword v3, v0, s[0:3], 0 offen
	buffer_load_dword v4, v0, s[0:3], 0 offen offset:4
	buffer_load_dword v5, off, s[0:3], 0 offset:356
	buffer_load_dword v6, off, s[0:3], 0 offset:352
	s_waitcnt vmcnt(3)
	buffer_store_dword v3, off, s[0:3], 0 offset:352
	s_waitcnt vmcnt(3)
	buffer_store_dword v4, off, s[0:3], 0 offset:356
	s_waitcnt vmcnt(3)
	buffer_store_dword v5, v0, s[0:3], 0 offen offset:4
	s_waitcnt vmcnt(3)
	buffer_store_dword v6, v0, s[0:3], 0 offen
.LBB119_372:
	v_mov_b32_e32 v0, 0
	global_load_dword v3, v0, s[12:13] offset:172
	s_waitcnt vmcnt(0)
	v_add_u32_e32 v113, -1, v3
	v_cmp_eq_u32_e32 vcc, 43, v113
	s_cbranch_vccnz .LBB119_374
; %bb.373:
	v_lshlrev_b32_e32 v3, 3, v113
	buffer_load_dword v4, v3, s[0:3], 0 offen
	buffer_load_dword v5, v3, s[0:3], 0 offen offset:4
	buffer_load_dword v6, off, s[0:3], 0 offset:344
	buffer_load_dword v7, off, s[0:3], 0 offset:348
	s_waitcnt vmcnt(3)
	buffer_store_dword v4, off, s[0:3], 0 offset:344
	s_waitcnt vmcnt(3)
	buffer_store_dword v5, off, s[0:3], 0 offset:348
	s_waitcnt vmcnt(3)
	buffer_store_dword v6, v3, s[0:3], 0 offen
	s_waitcnt vmcnt(3)
	buffer_store_dword v7, v3, s[0:3], 0 offen offset:4
.LBB119_374:
	global_load_dword v0, v0, s[12:13] offset:168
	s_waitcnt vmcnt(0)
	v_add_u32_e32 v0, -1, v0
	v_cmp_eq_u32_e32 vcc, 42, v0
	s_cbranch_vccnz .LBB119_376
; %bb.375:
	v_lshlrev_b32_e32 v0, 3, v0
	buffer_load_dword v3, v0, s[0:3], 0 offen
	buffer_load_dword v4, v0, s[0:3], 0 offen offset:4
	buffer_load_dword v5, off, s[0:3], 0 offset:340
	buffer_load_dword v6, off, s[0:3], 0 offset:336
	s_waitcnt vmcnt(3)
	buffer_store_dword v3, off, s[0:3], 0 offset:336
	s_waitcnt vmcnt(3)
	buffer_store_dword v4, off, s[0:3], 0 offset:340
	s_waitcnt vmcnt(3)
	buffer_store_dword v5, v0, s[0:3], 0 offen offset:4
	s_waitcnt vmcnt(3)
	buffer_store_dword v6, v0, s[0:3], 0 offen
.LBB119_376:
	v_mov_b32_e32 v0, 0
	global_load_dword v3, v0, s[12:13] offset:164
	s_waitcnt vmcnt(0)
	v_add_u32_e32 v113, -1, v3
	v_cmp_eq_u32_e32 vcc, 41, v113
	s_cbranch_vccnz .LBB119_378
; %bb.377:
	v_lshlrev_b32_e32 v3, 3, v113
	buffer_load_dword v4, v3, s[0:3], 0 offen
	buffer_load_dword v5, v3, s[0:3], 0 offen offset:4
	buffer_load_dword v6, off, s[0:3], 0 offset:328
	buffer_load_dword v7, off, s[0:3], 0 offset:332
	s_waitcnt vmcnt(3)
	buffer_store_dword v4, off, s[0:3], 0 offset:328
	s_waitcnt vmcnt(3)
	buffer_store_dword v5, off, s[0:3], 0 offset:332
	s_waitcnt vmcnt(3)
	buffer_store_dword v6, v3, s[0:3], 0 offen
	s_waitcnt vmcnt(3)
	buffer_store_dword v7, v3, s[0:3], 0 offen offset:4
.LBB119_378:
	global_load_dword v0, v0, s[12:13] offset:160
	s_waitcnt vmcnt(0)
	v_add_u32_e32 v0, -1, v0
	v_cmp_eq_u32_e32 vcc, 40, v0
	s_cbranch_vccnz .LBB119_380
; %bb.379:
	v_lshlrev_b32_e32 v0, 3, v0
	buffer_load_dword v3, v0, s[0:3], 0 offen
	buffer_load_dword v4, v0, s[0:3], 0 offen offset:4
	buffer_load_dword v5, off, s[0:3], 0 offset:324
	buffer_load_dword v6, off, s[0:3], 0 offset:320
	s_waitcnt vmcnt(3)
	buffer_store_dword v3, off, s[0:3], 0 offset:320
	s_waitcnt vmcnt(3)
	buffer_store_dword v4, off, s[0:3], 0 offset:324
	s_waitcnt vmcnt(3)
	buffer_store_dword v5, v0, s[0:3], 0 offen offset:4
	s_waitcnt vmcnt(3)
	buffer_store_dword v6, v0, s[0:3], 0 offen
.LBB119_380:
	v_mov_b32_e32 v0, 0
	global_load_dword v3, v0, s[12:13] offset:156
	s_waitcnt vmcnt(0)
	v_add_u32_e32 v113, -1, v3
	v_cmp_eq_u32_e32 vcc, 39, v113
	s_cbranch_vccnz .LBB119_382
; %bb.381:
	v_lshlrev_b32_e32 v3, 3, v113
	buffer_load_dword v4, v3, s[0:3], 0 offen
	buffer_load_dword v5, v3, s[0:3], 0 offen offset:4
	buffer_load_dword v6, off, s[0:3], 0 offset:312
	buffer_load_dword v7, off, s[0:3], 0 offset:316
	s_waitcnt vmcnt(3)
	buffer_store_dword v4, off, s[0:3], 0 offset:312
	s_waitcnt vmcnt(3)
	buffer_store_dword v5, off, s[0:3], 0 offset:316
	s_waitcnt vmcnt(3)
	buffer_store_dword v6, v3, s[0:3], 0 offen
	s_waitcnt vmcnt(3)
	buffer_store_dword v7, v3, s[0:3], 0 offen offset:4
.LBB119_382:
	global_load_dword v0, v0, s[12:13] offset:152
	s_waitcnt vmcnt(0)
	v_add_u32_e32 v0, -1, v0
	v_cmp_eq_u32_e32 vcc, 38, v0
	s_cbranch_vccnz .LBB119_384
; %bb.383:
	v_lshlrev_b32_e32 v0, 3, v0
	buffer_load_dword v3, v0, s[0:3], 0 offen
	buffer_load_dword v4, v0, s[0:3], 0 offen offset:4
	buffer_load_dword v5, off, s[0:3], 0 offset:308
	buffer_load_dword v6, off, s[0:3], 0 offset:304
	s_waitcnt vmcnt(3)
	buffer_store_dword v3, off, s[0:3], 0 offset:304
	s_waitcnt vmcnt(3)
	buffer_store_dword v4, off, s[0:3], 0 offset:308
	s_waitcnt vmcnt(3)
	buffer_store_dword v5, v0, s[0:3], 0 offen offset:4
	s_waitcnt vmcnt(3)
	buffer_store_dword v6, v0, s[0:3], 0 offen
.LBB119_384:
	v_mov_b32_e32 v0, 0
	global_load_dword v3, v0, s[12:13] offset:148
	s_waitcnt vmcnt(0)
	v_add_u32_e32 v113, -1, v3
	v_cmp_eq_u32_e32 vcc, 37, v113
	s_cbranch_vccnz .LBB119_386
; %bb.385:
	v_lshlrev_b32_e32 v3, 3, v113
	buffer_load_dword v4, v3, s[0:3], 0 offen
	buffer_load_dword v5, v3, s[0:3], 0 offen offset:4
	buffer_load_dword v6, off, s[0:3], 0 offset:296
	buffer_load_dword v7, off, s[0:3], 0 offset:300
	s_waitcnt vmcnt(3)
	buffer_store_dword v4, off, s[0:3], 0 offset:296
	s_waitcnt vmcnt(3)
	buffer_store_dword v5, off, s[0:3], 0 offset:300
	s_waitcnt vmcnt(3)
	buffer_store_dword v6, v3, s[0:3], 0 offen
	s_waitcnt vmcnt(3)
	buffer_store_dword v7, v3, s[0:3], 0 offen offset:4
.LBB119_386:
	global_load_dword v0, v0, s[12:13] offset:144
	s_waitcnt vmcnt(0)
	v_add_u32_e32 v0, -1, v0
	v_cmp_eq_u32_e32 vcc, 36, v0
	s_cbranch_vccnz .LBB119_388
; %bb.387:
	v_lshlrev_b32_e32 v0, 3, v0
	buffer_load_dword v3, v0, s[0:3], 0 offen
	buffer_load_dword v4, v0, s[0:3], 0 offen offset:4
	buffer_load_dword v5, off, s[0:3], 0 offset:292
	buffer_load_dword v6, off, s[0:3], 0 offset:288
	s_waitcnt vmcnt(3)
	buffer_store_dword v3, off, s[0:3], 0 offset:288
	s_waitcnt vmcnt(3)
	buffer_store_dword v4, off, s[0:3], 0 offset:292
	s_waitcnt vmcnt(3)
	buffer_store_dword v5, v0, s[0:3], 0 offen offset:4
	s_waitcnt vmcnt(3)
	buffer_store_dword v6, v0, s[0:3], 0 offen
.LBB119_388:
	v_mov_b32_e32 v0, 0
	global_load_dword v3, v0, s[12:13] offset:140
	s_waitcnt vmcnt(0)
	v_add_u32_e32 v113, -1, v3
	v_cmp_eq_u32_e32 vcc, 35, v113
	s_cbranch_vccnz .LBB119_390
; %bb.389:
	v_lshlrev_b32_e32 v3, 3, v113
	buffer_load_dword v4, v3, s[0:3], 0 offen
	buffer_load_dword v5, v3, s[0:3], 0 offen offset:4
	buffer_load_dword v6, off, s[0:3], 0 offset:280
	buffer_load_dword v7, off, s[0:3], 0 offset:284
	s_waitcnt vmcnt(3)
	buffer_store_dword v4, off, s[0:3], 0 offset:280
	s_waitcnt vmcnt(3)
	buffer_store_dword v5, off, s[0:3], 0 offset:284
	s_waitcnt vmcnt(3)
	buffer_store_dword v6, v3, s[0:3], 0 offen
	s_waitcnt vmcnt(3)
	buffer_store_dword v7, v3, s[0:3], 0 offen offset:4
.LBB119_390:
	global_load_dword v0, v0, s[12:13] offset:136
	s_waitcnt vmcnt(0)
	v_add_u32_e32 v0, -1, v0
	v_cmp_eq_u32_e32 vcc, 34, v0
	s_cbranch_vccnz .LBB119_392
; %bb.391:
	v_lshlrev_b32_e32 v0, 3, v0
	buffer_load_dword v3, v0, s[0:3], 0 offen
	buffer_load_dword v4, v0, s[0:3], 0 offen offset:4
	buffer_load_dword v5, off, s[0:3], 0 offset:276
	buffer_load_dword v6, off, s[0:3], 0 offset:272
	s_waitcnt vmcnt(3)
	buffer_store_dword v3, off, s[0:3], 0 offset:272
	s_waitcnt vmcnt(3)
	buffer_store_dword v4, off, s[0:3], 0 offset:276
	s_waitcnt vmcnt(3)
	buffer_store_dword v5, v0, s[0:3], 0 offen offset:4
	s_waitcnt vmcnt(3)
	buffer_store_dword v6, v0, s[0:3], 0 offen
.LBB119_392:
	v_mov_b32_e32 v0, 0
	global_load_dword v3, v0, s[12:13] offset:132
	s_waitcnt vmcnt(0)
	v_add_u32_e32 v113, -1, v3
	v_cmp_eq_u32_e32 vcc, 33, v113
	s_cbranch_vccnz .LBB119_394
; %bb.393:
	v_lshlrev_b32_e32 v3, 3, v113
	buffer_load_dword v4, v3, s[0:3], 0 offen
	buffer_load_dword v5, v3, s[0:3], 0 offen offset:4
	buffer_load_dword v6, off, s[0:3], 0 offset:264
	buffer_load_dword v7, off, s[0:3], 0 offset:268
	s_waitcnt vmcnt(3)
	buffer_store_dword v4, off, s[0:3], 0 offset:264
	s_waitcnt vmcnt(3)
	buffer_store_dword v5, off, s[0:3], 0 offset:268
	s_waitcnt vmcnt(3)
	buffer_store_dword v6, v3, s[0:3], 0 offen
	s_waitcnt vmcnt(3)
	buffer_store_dword v7, v3, s[0:3], 0 offen offset:4
.LBB119_394:
	global_load_dword v0, v0, s[12:13] offset:128
	s_waitcnt vmcnt(0)
	v_add_u32_e32 v0, -1, v0
	v_cmp_eq_u32_e32 vcc, 32, v0
	s_cbranch_vccnz .LBB119_396
; %bb.395:
	v_lshlrev_b32_e32 v0, 3, v0
	buffer_load_dword v3, v0, s[0:3], 0 offen
	buffer_load_dword v4, v0, s[0:3], 0 offen offset:4
	buffer_load_dword v5, off, s[0:3], 0 offset:260
	buffer_load_dword v6, off, s[0:3], 0 offset:256
	s_waitcnt vmcnt(3)
	buffer_store_dword v3, off, s[0:3], 0 offset:256
	s_waitcnt vmcnt(3)
	buffer_store_dword v4, off, s[0:3], 0 offset:260
	s_waitcnt vmcnt(3)
	buffer_store_dword v5, v0, s[0:3], 0 offen offset:4
	s_waitcnt vmcnt(3)
	buffer_store_dword v6, v0, s[0:3], 0 offen
.LBB119_396:
	v_mov_b32_e32 v0, 0
	global_load_dword v3, v0, s[12:13] offset:124
	s_waitcnt vmcnt(0)
	v_add_u32_e32 v113, -1, v3
	v_cmp_eq_u32_e32 vcc, 31, v113
	s_cbranch_vccnz .LBB119_398
; %bb.397:
	v_lshlrev_b32_e32 v3, 3, v113
	buffer_load_dword v4, v3, s[0:3], 0 offen
	buffer_load_dword v5, v3, s[0:3], 0 offen offset:4
	buffer_load_dword v6, off, s[0:3], 0 offset:248
	buffer_load_dword v7, off, s[0:3], 0 offset:252
	s_waitcnt vmcnt(3)
	buffer_store_dword v4, off, s[0:3], 0 offset:248
	s_waitcnt vmcnt(3)
	buffer_store_dword v5, off, s[0:3], 0 offset:252
	s_waitcnt vmcnt(3)
	buffer_store_dword v6, v3, s[0:3], 0 offen
	s_waitcnt vmcnt(3)
	buffer_store_dword v7, v3, s[0:3], 0 offen offset:4
.LBB119_398:
	global_load_dword v0, v0, s[12:13] offset:120
	s_waitcnt vmcnt(0)
	v_add_u32_e32 v0, -1, v0
	v_cmp_eq_u32_e32 vcc, 30, v0
	s_cbranch_vccnz .LBB119_400
; %bb.399:
	v_lshlrev_b32_e32 v0, 3, v0
	buffer_load_dword v3, v0, s[0:3], 0 offen
	buffer_load_dword v4, v0, s[0:3], 0 offen offset:4
	buffer_load_dword v5, off, s[0:3], 0 offset:244
	buffer_load_dword v6, off, s[0:3], 0 offset:240
	s_waitcnt vmcnt(3)
	buffer_store_dword v3, off, s[0:3], 0 offset:240
	s_waitcnt vmcnt(3)
	buffer_store_dword v4, off, s[0:3], 0 offset:244
	s_waitcnt vmcnt(3)
	buffer_store_dword v5, v0, s[0:3], 0 offen offset:4
	s_waitcnt vmcnt(3)
	buffer_store_dword v6, v0, s[0:3], 0 offen
.LBB119_400:
	v_mov_b32_e32 v0, 0
	global_load_dword v3, v0, s[12:13] offset:116
	s_waitcnt vmcnt(0)
	v_add_u32_e32 v113, -1, v3
	v_cmp_eq_u32_e32 vcc, 29, v113
	s_cbranch_vccnz .LBB119_402
; %bb.401:
	v_lshlrev_b32_e32 v3, 3, v113
	buffer_load_dword v4, v3, s[0:3], 0 offen
	buffer_load_dword v5, v3, s[0:3], 0 offen offset:4
	buffer_load_dword v6, off, s[0:3], 0 offset:232
	buffer_load_dword v7, off, s[0:3], 0 offset:236
	s_waitcnt vmcnt(3)
	buffer_store_dword v4, off, s[0:3], 0 offset:232
	s_waitcnt vmcnt(3)
	buffer_store_dword v5, off, s[0:3], 0 offset:236
	s_waitcnt vmcnt(3)
	buffer_store_dword v6, v3, s[0:3], 0 offen
	s_waitcnt vmcnt(3)
	buffer_store_dword v7, v3, s[0:3], 0 offen offset:4
.LBB119_402:
	global_load_dword v0, v0, s[12:13] offset:112
	s_waitcnt vmcnt(0)
	v_add_u32_e32 v0, -1, v0
	v_cmp_eq_u32_e32 vcc, 28, v0
	s_cbranch_vccnz .LBB119_404
; %bb.403:
	v_lshlrev_b32_e32 v0, 3, v0
	buffer_load_dword v3, v0, s[0:3], 0 offen
	buffer_load_dword v4, v0, s[0:3], 0 offen offset:4
	buffer_load_dword v5, off, s[0:3], 0 offset:228
	buffer_load_dword v6, off, s[0:3], 0 offset:224
	s_waitcnt vmcnt(3)
	buffer_store_dword v3, off, s[0:3], 0 offset:224
	s_waitcnt vmcnt(3)
	buffer_store_dword v4, off, s[0:3], 0 offset:228
	s_waitcnt vmcnt(3)
	buffer_store_dword v5, v0, s[0:3], 0 offen offset:4
	s_waitcnt vmcnt(3)
	buffer_store_dword v6, v0, s[0:3], 0 offen
.LBB119_404:
	v_mov_b32_e32 v0, 0
	global_load_dword v3, v0, s[12:13] offset:108
	s_waitcnt vmcnt(0)
	v_add_u32_e32 v113, -1, v3
	v_cmp_eq_u32_e32 vcc, 27, v113
	s_cbranch_vccnz .LBB119_406
; %bb.405:
	v_lshlrev_b32_e32 v3, 3, v113
	buffer_load_dword v4, v3, s[0:3], 0 offen
	buffer_load_dword v5, v3, s[0:3], 0 offen offset:4
	buffer_load_dword v6, off, s[0:3], 0 offset:216
	buffer_load_dword v7, off, s[0:3], 0 offset:220
	s_waitcnt vmcnt(3)
	buffer_store_dword v4, off, s[0:3], 0 offset:216
	s_waitcnt vmcnt(3)
	buffer_store_dword v5, off, s[0:3], 0 offset:220
	s_waitcnt vmcnt(3)
	buffer_store_dword v6, v3, s[0:3], 0 offen
	s_waitcnt vmcnt(3)
	buffer_store_dword v7, v3, s[0:3], 0 offen offset:4
.LBB119_406:
	global_load_dword v0, v0, s[12:13] offset:104
	s_waitcnt vmcnt(0)
	v_add_u32_e32 v0, -1, v0
	v_cmp_eq_u32_e32 vcc, 26, v0
	s_cbranch_vccnz .LBB119_408
; %bb.407:
	v_lshlrev_b32_e32 v0, 3, v0
	buffer_load_dword v3, v0, s[0:3], 0 offen
	buffer_load_dword v4, v0, s[0:3], 0 offen offset:4
	buffer_load_dword v5, off, s[0:3], 0 offset:212
	buffer_load_dword v6, off, s[0:3], 0 offset:208
	s_waitcnt vmcnt(3)
	buffer_store_dword v3, off, s[0:3], 0 offset:208
	s_waitcnt vmcnt(3)
	buffer_store_dword v4, off, s[0:3], 0 offset:212
	s_waitcnt vmcnt(3)
	buffer_store_dword v5, v0, s[0:3], 0 offen offset:4
	s_waitcnt vmcnt(3)
	buffer_store_dword v6, v0, s[0:3], 0 offen
.LBB119_408:
	v_mov_b32_e32 v0, 0
	global_load_dword v3, v0, s[12:13] offset:100
	s_waitcnt vmcnt(0)
	v_add_u32_e32 v113, -1, v3
	v_cmp_eq_u32_e32 vcc, 25, v113
	s_cbranch_vccnz .LBB119_410
; %bb.409:
	v_lshlrev_b32_e32 v3, 3, v113
	buffer_load_dword v4, v3, s[0:3], 0 offen
	buffer_load_dword v5, v3, s[0:3], 0 offen offset:4
	buffer_load_dword v6, off, s[0:3], 0 offset:200
	buffer_load_dword v7, off, s[0:3], 0 offset:204
	s_waitcnt vmcnt(3)
	buffer_store_dword v4, off, s[0:3], 0 offset:200
	s_waitcnt vmcnt(3)
	buffer_store_dword v5, off, s[0:3], 0 offset:204
	s_waitcnt vmcnt(3)
	buffer_store_dword v6, v3, s[0:3], 0 offen
	s_waitcnt vmcnt(3)
	buffer_store_dword v7, v3, s[0:3], 0 offen offset:4
.LBB119_410:
	global_load_dword v0, v0, s[12:13] offset:96
	s_waitcnt vmcnt(0)
	v_add_u32_e32 v0, -1, v0
	v_cmp_eq_u32_e32 vcc, 24, v0
	s_cbranch_vccnz .LBB119_412
; %bb.411:
	v_lshlrev_b32_e32 v0, 3, v0
	buffer_load_dword v3, v0, s[0:3], 0 offen
	buffer_load_dword v4, v0, s[0:3], 0 offen offset:4
	buffer_load_dword v5, off, s[0:3], 0 offset:196
	buffer_load_dword v6, off, s[0:3], 0 offset:192
	s_waitcnt vmcnt(3)
	buffer_store_dword v3, off, s[0:3], 0 offset:192
	s_waitcnt vmcnt(3)
	buffer_store_dword v4, off, s[0:3], 0 offset:196
	s_waitcnt vmcnt(3)
	buffer_store_dword v5, v0, s[0:3], 0 offen offset:4
	s_waitcnt vmcnt(3)
	buffer_store_dword v6, v0, s[0:3], 0 offen
.LBB119_412:
	v_mov_b32_e32 v0, 0
	global_load_dword v3, v0, s[12:13] offset:92
	s_waitcnt vmcnt(0)
	v_add_u32_e32 v113, -1, v3
	v_cmp_eq_u32_e32 vcc, 23, v113
	s_cbranch_vccnz .LBB119_414
; %bb.413:
	v_lshlrev_b32_e32 v3, 3, v113
	buffer_load_dword v4, v3, s[0:3], 0 offen
	buffer_load_dword v5, v3, s[0:3], 0 offen offset:4
	buffer_load_dword v6, off, s[0:3], 0 offset:184
	buffer_load_dword v7, off, s[0:3], 0 offset:188
	s_waitcnt vmcnt(3)
	buffer_store_dword v4, off, s[0:3], 0 offset:184
	s_waitcnt vmcnt(3)
	buffer_store_dword v5, off, s[0:3], 0 offset:188
	s_waitcnt vmcnt(3)
	buffer_store_dword v6, v3, s[0:3], 0 offen
	s_waitcnt vmcnt(3)
	buffer_store_dword v7, v3, s[0:3], 0 offen offset:4
.LBB119_414:
	global_load_dword v0, v0, s[12:13] offset:88
	s_waitcnt vmcnt(0)
	v_add_u32_e32 v0, -1, v0
	v_cmp_eq_u32_e32 vcc, 22, v0
	s_cbranch_vccnz .LBB119_416
; %bb.415:
	v_lshlrev_b32_e32 v0, 3, v0
	buffer_load_dword v3, v0, s[0:3], 0 offen
	buffer_load_dword v4, v0, s[0:3], 0 offen offset:4
	buffer_load_dword v5, off, s[0:3], 0 offset:180
	buffer_load_dword v6, off, s[0:3], 0 offset:176
	s_waitcnt vmcnt(3)
	buffer_store_dword v3, off, s[0:3], 0 offset:176
	s_waitcnt vmcnt(3)
	buffer_store_dword v4, off, s[0:3], 0 offset:180
	s_waitcnt vmcnt(3)
	buffer_store_dword v5, v0, s[0:3], 0 offen offset:4
	s_waitcnt vmcnt(3)
	buffer_store_dword v6, v0, s[0:3], 0 offen
.LBB119_416:
	v_mov_b32_e32 v0, 0
	global_load_dword v3, v0, s[12:13] offset:84
	s_waitcnt vmcnt(0)
	v_add_u32_e32 v113, -1, v3
	v_cmp_eq_u32_e32 vcc, 21, v113
	s_cbranch_vccnz .LBB119_418
; %bb.417:
	v_lshlrev_b32_e32 v3, 3, v113
	buffer_load_dword v4, v3, s[0:3], 0 offen
	buffer_load_dword v5, v3, s[0:3], 0 offen offset:4
	buffer_load_dword v6, off, s[0:3], 0 offset:168
	buffer_load_dword v7, off, s[0:3], 0 offset:172
	s_waitcnt vmcnt(3)
	buffer_store_dword v4, off, s[0:3], 0 offset:168
	s_waitcnt vmcnt(3)
	buffer_store_dword v5, off, s[0:3], 0 offset:172
	s_waitcnt vmcnt(3)
	buffer_store_dword v6, v3, s[0:3], 0 offen
	s_waitcnt vmcnt(3)
	buffer_store_dword v7, v3, s[0:3], 0 offen offset:4
.LBB119_418:
	global_load_dword v0, v0, s[12:13] offset:80
	s_waitcnt vmcnt(0)
	v_add_u32_e32 v0, -1, v0
	v_cmp_eq_u32_e32 vcc, 20, v0
	s_cbranch_vccnz .LBB119_420
; %bb.419:
	v_lshlrev_b32_e32 v0, 3, v0
	buffer_load_dword v3, v0, s[0:3], 0 offen
	buffer_load_dword v4, v0, s[0:3], 0 offen offset:4
	buffer_load_dword v5, off, s[0:3], 0 offset:164
	buffer_load_dword v6, off, s[0:3], 0 offset:160
	s_waitcnt vmcnt(3)
	buffer_store_dword v3, off, s[0:3], 0 offset:160
	s_waitcnt vmcnt(3)
	buffer_store_dword v4, off, s[0:3], 0 offset:164
	s_waitcnt vmcnt(3)
	buffer_store_dword v5, v0, s[0:3], 0 offen offset:4
	s_waitcnt vmcnt(3)
	buffer_store_dword v6, v0, s[0:3], 0 offen
.LBB119_420:
	v_mov_b32_e32 v0, 0
	global_load_dword v3, v0, s[12:13] offset:76
	s_waitcnt vmcnt(0)
	v_add_u32_e32 v113, -1, v3
	v_cmp_eq_u32_e32 vcc, 19, v113
	s_cbranch_vccnz .LBB119_422
; %bb.421:
	v_lshlrev_b32_e32 v3, 3, v113
	buffer_load_dword v4, v3, s[0:3], 0 offen
	buffer_load_dword v5, v3, s[0:3], 0 offen offset:4
	buffer_load_dword v6, off, s[0:3], 0 offset:152
	buffer_load_dword v7, off, s[0:3], 0 offset:156
	s_waitcnt vmcnt(3)
	buffer_store_dword v4, off, s[0:3], 0 offset:152
	s_waitcnt vmcnt(3)
	buffer_store_dword v5, off, s[0:3], 0 offset:156
	s_waitcnt vmcnt(3)
	buffer_store_dword v6, v3, s[0:3], 0 offen
	s_waitcnt vmcnt(3)
	buffer_store_dword v7, v3, s[0:3], 0 offen offset:4
.LBB119_422:
	global_load_dword v0, v0, s[12:13] offset:72
	s_waitcnt vmcnt(0)
	v_add_u32_e32 v0, -1, v0
	v_cmp_eq_u32_e32 vcc, 18, v0
	s_cbranch_vccnz .LBB119_424
; %bb.423:
	v_lshlrev_b32_e32 v0, 3, v0
	buffer_load_dword v3, v0, s[0:3], 0 offen
	buffer_load_dword v4, v0, s[0:3], 0 offen offset:4
	buffer_load_dword v5, off, s[0:3], 0 offset:148
	buffer_load_dword v6, off, s[0:3], 0 offset:144
	s_waitcnt vmcnt(3)
	buffer_store_dword v3, off, s[0:3], 0 offset:144
	s_waitcnt vmcnt(3)
	buffer_store_dword v4, off, s[0:3], 0 offset:148
	s_waitcnt vmcnt(3)
	buffer_store_dword v5, v0, s[0:3], 0 offen offset:4
	s_waitcnt vmcnt(3)
	buffer_store_dword v6, v0, s[0:3], 0 offen
.LBB119_424:
	v_mov_b32_e32 v0, 0
	global_load_dword v3, v0, s[12:13] offset:68
	s_waitcnt vmcnt(0)
	v_add_u32_e32 v113, -1, v3
	v_cmp_eq_u32_e32 vcc, 17, v113
	s_cbranch_vccnz .LBB119_426
; %bb.425:
	v_lshlrev_b32_e32 v3, 3, v113
	buffer_load_dword v4, v3, s[0:3], 0 offen
	buffer_load_dword v5, v3, s[0:3], 0 offen offset:4
	buffer_load_dword v6, off, s[0:3], 0 offset:136
	buffer_load_dword v7, off, s[0:3], 0 offset:140
	s_waitcnt vmcnt(3)
	buffer_store_dword v4, off, s[0:3], 0 offset:136
	s_waitcnt vmcnt(3)
	buffer_store_dword v5, off, s[0:3], 0 offset:140
	s_waitcnt vmcnt(3)
	buffer_store_dword v6, v3, s[0:3], 0 offen
	s_waitcnt vmcnt(3)
	buffer_store_dword v7, v3, s[0:3], 0 offen offset:4
.LBB119_426:
	global_load_dword v0, v0, s[12:13] offset:64
	s_waitcnt vmcnt(0)
	v_add_u32_e32 v0, -1, v0
	v_cmp_eq_u32_e32 vcc, 16, v0
	s_cbranch_vccnz .LBB119_428
; %bb.427:
	v_lshlrev_b32_e32 v0, 3, v0
	buffer_load_dword v3, v0, s[0:3], 0 offen
	buffer_load_dword v4, v0, s[0:3], 0 offen offset:4
	buffer_load_dword v5, off, s[0:3], 0 offset:132
	buffer_load_dword v6, off, s[0:3], 0 offset:128
	s_waitcnt vmcnt(3)
	buffer_store_dword v3, off, s[0:3], 0 offset:128
	s_waitcnt vmcnt(3)
	buffer_store_dword v4, off, s[0:3], 0 offset:132
	s_waitcnt vmcnt(3)
	buffer_store_dword v5, v0, s[0:3], 0 offen offset:4
	s_waitcnt vmcnt(3)
	buffer_store_dword v6, v0, s[0:3], 0 offen
.LBB119_428:
	v_mov_b32_e32 v0, 0
	global_load_dword v3, v0, s[12:13] offset:60
	s_waitcnt vmcnt(0)
	v_add_u32_e32 v113, -1, v3
	v_cmp_eq_u32_e32 vcc, 15, v113
	s_cbranch_vccnz .LBB119_430
; %bb.429:
	v_lshlrev_b32_e32 v3, 3, v113
	buffer_load_dword v4, v3, s[0:3], 0 offen
	buffer_load_dword v5, v3, s[0:3], 0 offen offset:4
	buffer_load_dword v6, off, s[0:3], 0 offset:120
	buffer_load_dword v7, off, s[0:3], 0 offset:124
	s_waitcnt vmcnt(3)
	buffer_store_dword v4, off, s[0:3], 0 offset:120
	s_waitcnt vmcnt(3)
	buffer_store_dword v5, off, s[0:3], 0 offset:124
	s_waitcnt vmcnt(3)
	buffer_store_dword v6, v3, s[0:3], 0 offen
	s_waitcnt vmcnt(3)
	buffer_store_dword v7, v3, s[0:3], 0 offen offset:4
.LBB119_430:
	global_load_dword v0, v0, s[12:13] offset:56
	s_waitcnt vmcnt(0)
	v_add_u32_e32 v0, -1, v0
	v_cmp_eq_u32_e32 vcc, 14, v0
	s_cbranch_vccnz .LBB119_432
; %bb.431:
	v_lshlrev_b32_e32 v0, 3, v0
	buffer_load_dword v3, v0, s[0:3], 0 offen
	buffer_load_dword v4, v0, s[0:3], 0 offen offset:4
	buffer_load_dword v5, off, s[0:3], 0 offset:116
	buffer_load_dword v6, off, s[0:3], 0 offset:112
	s_waitcnt vmcnt(3)
	buffer_store_dword v3, off, s[0:3], 0 offset:112
	s_waitcnt vmcnt(3)
	buffer_store_dword v4, off, s[0:3], 0 offset:116
	s_waitcnt vmcnt(3)
	buffer_store_dword v5, v0, s[0:3], 0 offen offset:4
	s_waitcnt vmcnt(3)
	buffer_store_dword v6, v0, s[0:3], 0 offen
.LBB119_432:
	v_mov_b32_e32 v0, 0
	global_load_dword v3, v0, s[12:13] offset:52
	s_waitcnt vmcnt(0)
	v_add_u32_e32 v113, -1, v3
	v_cmp_eq_u32_e32 vcc, 13, v113
	s_cbranch_vccnz .LBB119_434
; %bb.433:
	v_lshlrev_b32_e32 v3, 3, v113
	buffer_load_dword v4, v3, s[0:3], 0 offen
	buffer_load_dword v5, v3, s[0:3], 0 offen offset:4
	buffer_load_dword v6, off, s[0:3], 0 offset:104
	buffer_load_dword v7, off, s[0:3], 0 offset:108
	s_waitcnt vmcnt(3)
	buffer_store_dword v4, off, s[0:3], 0 offset:104
	s_waitcnt vmcnt(3)
	buffer_store_dword v5, off, s[0:3], 0 offset:108
	s_waitcnt vmcnt(3)
	buffer_store_dword v6, v3, s[0:3], 0 offen
	s_waitcnt vmcnt(3)
	buffer_store_dword v7, v3, s[0:3], 0 offen offset:4
.LBB119_434:
	global_load_dword v0, v0, s[12:13] offset:48
	s_waitcnt vmcnt(0)
	v_add_u32_e32 v0, -1, v0
	v_cmp_eq_u32_e32 vcc, 12, v0
	s_cbranch_vccnz .LBB119_436
; %bb.435:
	v_lshlrev_b32_e32 v0, 3, v0
	buffer_load_dword v3, v0, s[0:3], 0 offen
	buffer_load_dword v4, v0, s[0:3], 0 offen offset:4
	buffer_load_dword v5, off, s[0:3], 0 offset:100
	buffer_load_dword v6, off, s[0:3], 0 offset:96
	s_waitcnt vmcnt(3)
	buffer_store_dword v3, off, s[0:3], 0 offset:96
	s_waitcnt vmcnt(3)
	buffer_store_dword v4, off, s[0:3], 0 offset:100
	s_waitcnt vmcnt(3)
	buffer_store_dword v5, v0, s[0:3], 0 offen offset:4
	s_waitcnt vmcnt(3)
	buffer_store_dword v6, v0, s[0:3], 0 offen
.LBB119_436:
	v_mov_b32_e32 v0, 0
	global_load_dword v3, v0, s[12:13] offset:44
	s_waitcnt vmcnt(0)
	v_add_u32_e32 v113, -1, v3
	v_cmp_eq_u32_e32 vcc, 11, v113
	s_cbranch_vccnz .LBB119_438
; %bb.437:
	v_lshlrev_b32_e32 v3, 3, v113
	buffer_load_dword v4, v3, s[0:3], 0 offen
	buffer_load_dword v5, v3, s[0:3], 0 offen offset:4
	buffer_load_dword v6, off, s[0:3], 0 offset:88
	buffer_load_dword v7, off, s[0:3], 0 offset:92
	s_waitcnt vmcnt(3)
	buffer_store_dword v4, off, s[0:3], 0 offset:88
	s_waitcnt vmcnt(3)
	buffer_store_dword v5, off, s[0:3], 0 offset:92
	s_waitcnt vmcnt(3)
	buffer_store_dword v6, v3, s[0:3], 0 offen
	s_waitcnt vmcnt(3)
	buffer_store_dword v7, v3, s[0:3], 0 offen offset:4
.LBB119_438:
	global_load_dword v0, v0, s[12:13] offset:40
	s_waitcnt vmcnt(0)
	v_add_u32_e32 v0, -1, v0
	v_cmp_eq_u32_e32 vcc, 10, v0
	s_cbranch_vccnz .LBB119_440
; %bb.439:
	v_lshlrev_b32_e32 v0, 3, v0
	buffer_load_dword v3, v0, s[0:3], 0 offen
	buffer_load_dword v4, v0, s[0:3], 0 offen offset:4
	buffer_load_dword v5, off, s[0:3], 0 offset:84
	buffer_load_dword v6, off, s[0:3], 0 offset:80
	s_waitcnt vmcnt(3)
	buffer_store_dword v3, off, s[0:3], 0 offset:80
	s_waitcnt vmcnt(3)
	buffer_store_dword v4, off, s[0:3], 0 offset:84
	s_waitcnt vmcnt(3)
	buffer_store_dword v5, v0, s[0:3], 0 offen offset:4
	s_waitcnt vmcnt(3)
	buffer_store_dword v6, v0, s[0:3], 0 offen
.LBB119_440:
	v_mov_b32_e32 v0, 0
	global_load_dword v3, v0, s[12:13] offset:36
	s_waitcnt vmcnt(0)
	v_add_u32_e32 v113, -1, v3
	v_cmp_eq_u32_e32 vcc, 9, v113
	s_cbranch_vccnz .LBB119_442
; %bb.441:
	v_lshlrev_b32_e32 v3, 3, v113
	buffer_load_dword v4, v3, s[0:3], 0 offen
	buffer_load_dword v5, v3, s[0:3], 0 offen offset:4
	buffer_load_dword v6, off, s[0:3], 0 offset:72
	buffer_load_dword v7, off, s[0:3], 0 offset:76
	s_waitcnt vmcnt(3)
	buffer_store_dword v4, off, s[0:3], 0 offset:72
	s_waitcnt vmcnt(3)
	buffer_store_dword v5, off, s[0:3], 0 offset:76
	s_waitcnt vmcnt(3)
	buffer_store_dword v6, v3, s[0:3], 0 offen
	s_waitcnt vmcnt(3)
	buffer_store_dword v7, v3, s[0:3], 0 offen offset:4
.LBB119_442:
	global_load_dword v0, v0, s[12:13] offset:32
	s_waitcnt vmcnt(0)
	v_add_u32_e32 v0, -1, v0
	v_cmp_eq_u32_e32 vcc, 8, v0
	s_cbranch_vccnz .LBB119_444
; %bb.443:
	v_lshlrev_b32_e32 v0, 3, v0
	buffer_load_dword v3, v0, s[0:3], 0 offen
	buffer_load_dword v4, v0, s[0:3], 0 offen offset:4
	buffer_load_dword v5, off, s[0:3], 0 offset:68
	buffer_load_dword v6, off, s[0:3], 0 offset:64
	s_waitcnt vmcnt(3)
	buffer_store_dword v3, off, s[0:3], 0 offset:64
	s_waitcnt vmcnt(3)
	buffer_store_dword v4, off, s[0:3], 0 offset:68
	s_waitcnt vmcnt(3)
	buffer_store_dword v5, v0, s[0:3], 0 offen offset:4
	s_waitcnt vmcnt(3)
	buffer_store_dword v6, v0, s[0:3], 0 offen
.LBB119_444:
	v_mov_b32_e32 v0, 0
	global_load_dword v3, v0, s[12:13] offset:28
	s_waitcnt vmcnt(0)
	v_add_u32_e32 v113, -1, v3
	v_cmp_eq_u32_e32 vcc, 7, v113
	s_cbranch_vccnz .LBB119_446
; %bb.445:
	v_lshlrev_b32_e32 v3, 3, v113
	buffer_load_dword v4, v3, s[0:3], 0 offen
	buffer_load_dword v5, v3, s[0:3], 0 offen offset:4
	buffer_load_dword v6, off, s[0:3], 0 offset:56
	buffer_load_dword v7, off, s[0:3], 0 offset:60
	s_waitcnt vmcnt(3)
	buffer_store_dword v4, off, s[0:3], 0 offset:56
	s_waitcnt vmcnt(3)
	buffer_store_dword v5, off, s[0:3], 0 offset:60
	s_waitcnt vmcnt(3)
	buffer_store_dword v6, v3, s[0:3], 0 offen
	s_waitcnt vmcnt(3)
	buffer_store_dword v7, v3, s[0:3], 0 offen offset:4
.LBB119_446:
	global_load_dword v0, v0, s[12:13] offset:24
	s_waitcnt vmcnt(0)
	v_add_u32_e32 v0, -1, v0
	v_cmp_eq_u32_e32 vcc, 6, v0
	s_cbranch_vccnz .LBB119_448
; %bb.447:
	v_lshlrev_b32_e32 v0, 3, v0
	buffer_load_dword v3, v0, s[0:3], 0 offen
	buffer_load_dword v4, v0, s[0:3], 0 offen offset:4
	buffer_load_dword v5, off, s[0:3], 0 offset:52
	buffer_load_dword v6, off, s[0:3], 0 offset:48
	s_waitcnt vmcnt(3)
	buffer_store_dword v3, off, s[0:3], 0 offset:48
	s_waitcnt vmcnt(3)
	buffer_store_dword v4, off, s[0:3], 0 offset:52
	s_waitcnt vmcnt(3)
	buffer_store_dword v5, v0, s[0:3], 0 offen offset:4
	s_waitcnt vmcnt(3)
	buffer_store_dword v6, v0, s[0:3], 0 offen
.LBB119_448:
	v_mov_b32_e32 v0, 0
	global_load_dword v3, v0, s[12:13] offset:20
	s_waitcnt vmcnt(0)
	v_add_u32_e32 v113, -1, v3
	v_cmp_eq_u32_e32 vcc, 5, v113
	s_cbranch_vccnz .LBB119_450
; %bb.449:
	v_lshlrev_b32_e32 v3, 3, v113
	buffer_load_dword v4, v3, s[0:3], 0 offen
	buffer_load_dword v5, v3, s[0:3], 0 offen offset:4
	buffer_load_dword v6, off, s[0:3], 0 offset:40
	buffer_load_dword v7, off, s[0:3], 0 offset:44
	s_waitcnt vmcnt(3)
	buffer_store_dword v4, off, s[0:3], 0 offset:40
	s_waitcnt vmcnt(3)
	buffer_store_dword v5, off, s[0:3], 0 offset:44
	s_waitcnt vmcnt(3)
	buffer_store_dword v6, v3, s[0:3], 0 offen
	s_waitcnt vmcnt(3)
	buffer_store_dword v7, v3, s[0:3], 0 offen offset:4
.LBB119_450:
	global_load_dword v0, v0, s[12:13] offset:16
	s_waitcnt vmcnt(0)
	v_add_u32_e32 v0, -1, v0
	v_cmp_eq_u32_e32 vcc, 4, v0
	s_cbranch_vccnz .LBB119_452
; %bb.451:
	v_lshlrev_b32_e32 v0, 3, v0
	buffer_load_dword v3, v0, s[0:3], 0 offen
	buffer_load_dword v4, v0, s[0:3], 0 offen offset:4
	buffer_load_dword v5, off, s[0:3], 0 offset:36
	buffer_load_dword v6, off, s[0:3], 0 offset:32
	s_waitcnt vmcnt(3)
	buffer_store_dword v3, off, s[0:3], 0 offset:32
	s_waitcnt vmcnt(3)
	buffer_store_dword v4, off, s[0:3], 0 offset:36
	s_waitcnt vmcnt(3)
	buffer_store_dword v5, v0, s[0:3], 0 offen offset:4
	s_waitcnt vmcnt(3)
	buffer_store_dword v6, v0, s[0:3], 0 offen
.LBB119_452:
	v_mov_b32_e32 v0, 0
	global_load_dword v3, v0, s[12:13] offset:12
	s_waitcnt vmcnt(0)
	v_add_u32_e32 v113, -1, v3
	v_cmp_eq_u32_e32 vcc, 3, v113
	s_cbranch_vccnz .LBB119_454
; %bb.453:
	v_lshlrev_b32_e32 v3, 3, v113
	buffer_load_dword v4, v3, s[0:3], 0 offen
	buffer_load_dword v5, v3, s[0:3], 0 offen offset:4
	buffer_load_dword v6, off, s[0:3], 0 offset:24
	buffer_load_dword v7, off, s[0:3], 0 offset:28
	s_waitcnt vmcnt(3)
	buffer_store_dword v4, off, s[0:3], 0 offset:24
	s_waitcnt vmcnt(3)
	buffer_store_dword v5, off, s[0:3], 0 offset:28
	s_waitcnt vmcnt(3)
	buffer_store_dword v6, v3, s[0:3], 0 offen
	s_waitcnt vmcnt(3)
	buffer_store_dword v7, v3, s[0:3], 0 offen offset:4
.LBB119_454:
	global_load_dword v0, v0, s[12:13] offset:8
	s_waitcnt vmcnt(0)
	v_add_u32_e32 v0, -1, v0
	v_cmp_eq_u32_e32 vcc, 2, v0
	s_cbranch_vccnz .LBB119_456
; %bb.455:
	v_lshlrev_b32_e32 v0, 3, v0
	buffer_load_dword v3, v0, s[0:3], 0 offen
	buffer_load_dword v4, v0, s[0:3], 0 offen offset:4
	buffer_load_dword v5, off, s[0:3], 0 offset:20
	buffer_load_dword v6, off, s[0:3], 0 offset:16
	s_waitcnt vmcnt(3)
	buffer_store_dword v3, off, s[0:3], 0 offset:16
	s_waitcnt vmcnt(3)
	buffer_store_dword v4, off, s[0:3], 0 offset:20
	s_waitcnt vmcnt(3)
	buffer_store_dword v5, v0, s[0:3], 0 offen offset:4
	s_waitcnt vmcnt(3)
	buffer_store_dword v6, v0, s[0:3], 0 offen
.LBB119_456:
	v_mov_b32_e32 v0, 0
	global_load_dword v3, v0, s[12:13] offset:4
	s_waitcnt vmcnt(0)
	v_add_u32_e32 v113, -1, v3
	v_cmp_eq_u32_e32 vcc, 1, v113
	s_cbranch_vccnz .LBB119_458
; %bb.457:
	v_lshlrev_b32_e32 v3, 3, v113
	buffer_load_dword v4, v3, s[0:3], 0 offen
	buffer_load_dword v5, v3, s[0:3], 0 offen offset:4
	buffer_load_dword v6, off, s[0:3], 0 offset:8
	buffer_load_dword v7, off, s[0:3], 0 offset:12
	s_waitcnt vmcnt(3)
	buffer_store_dword v4, off, s[0:3], 0 offset:8
	s_waitcnt vmcnt(3)
	buffer_store_dword v5, off, s[0:3], 0 offset:12
	s_waitcnt vmcnt(3)
	buffer_store_dword v6, v3, s[0:3], 0 offen
	s_waitcnt vmcnt(3)
	buffer_store_dword v7, v3, s[0:3], 0 offen offset:4
.LBB119_458:
	global_load_dword v0, v0, s[12:13]
	s_waitcnt vmcnt(0)
	v_add_u32_e32 v0, -1, v0
	v_cmp_eq_u32_e32 vcc, 0, v0
	s_cbranch_vccnz .LBB119_460
; %bb.459:
	v_lshlrev_b32_e32 v0, 3, v0
	buffer_load_dword v3, v0, s[0:3], 0 offen
	buffer_load_dword v4, v0, s[0:3], 0 offen offset:4
	buffer_load_dword v5, off, s[0:3], 0 offset:4
	buffer_load_dword v6, off, s[0:3], 0
	s_waitcnt vmcnt(3)
	buffer_store_dword v3, off, s[0:3], 0
	s_waitcnt vmcnt(3)
	buffer_store_dword v4, off, s[0:3], 0 offset:4
	s_waitcnt vmcnt(3)
	buffer_store_dword v5, v0, s[0:3], 0 offen offset:4
	s_waitcnt vmcnt(3)
	buffer_store_dword v6, v0, s[0:3], 0 offen
.LBB119_460:
	buffer_load_dword v3, off, s[0:3], 0
	buffer_load_dword v4, off, s[0:3], 0 offset:4
	s_waitcnt vmcnt(0)
	flat_store_dwordx2 v[1:2], v[3:4]
	buffer_load_dword v0, off, s[0:3], 0 offset:8
	s_nop 0
	buffer_load_dword v1, off, s[0:3], 0 offset:12
	buffer_load_dword v2, off, s[0:3], 0 offset:448 ; 4-byte Folded Reload
	buffer_load_dword v3, off, s[0:3], 0 offset:452 ; 4-byte Folded Reload
	s_waitcnt vmcnt(0)
	flat_store_dwordx2 v[2:3], v[0:1]
	buffer_load_dword v0, off, s[0:3], 0 offset:16
	s_nop 0
	buffer_load_dword v1, off, s[0:3], 0 offset:20
	buffer_load_dword v2, off, s[0:3], 0 offset:456 ; 4-byte Folded Reload
	buffer_load_dword v3, off, s[0:3], 0 offset:460 ; 4-byte Folded Reload
	;; [unrolled: 7-line block ×41, first 2 shown]
	s_waitcnt vmcnt(0)
	flat_store_dwordx2 v[2:3], v[0:1]
	buffer_load_dword v0, off, s[0:3], 0 offset:336
	s_nop 0
	buffer_load_dword v1, off, s[0:3], 0 offset:340
	s_waitcnt vmcnt(0)
	flat_store_dwordx2 v[85:86], v[0:1]
	buffer_load_dword v0, off, s[0:3], 0 offset:344
	s_nop 0
	buffer_load_dword v1, off, s[0:3], 0 offset:348
	;; [unrolled: 5-line block ×14, first 2 shown]
	s_waitcnt vmcnt(0)
	flat_store_dwordx2 v[111:112], v[0:1]
	s_endpgm
	.section	.rodata,"a",@progbits
	.p2align	6, 0x0
	.amdhsa_kernel _ZN9rocsolver6v33100L18getri_kernel_smallILi56E19rocblas_complex_numIfEPKPS3_EEvT1_iilPiilS8_bb
		.amdhsa_group_segment_fixed_size 900
		.amdhsa_private_segment_fixed_size 784
		.amdhsa_kernarg_size 60
		.amdhsa_user_sgpr_count 6
		.amdhsa_user_sgpr_private_segment_buffer 1
		.amdhsa_user_sgpr_dispatch_ptr 0
		.amdhsa_user_sgpr_queue_ptr 0
		.amdhsa_user_sgpr_kernarg_segment_ptr 1
		.amdhsa_user_sgpr_dispatch_id 0
		.amdhsa_user_sgpr_flat_scratch_init 0
		.amdhsa_user_sgpr_private_segment_size 0
		.amdhsa_uses_dynamic_stack 0
		.amdhsa_system_sgpr_private_segment_wavefront_offset 1
		.amdhsa_system_sgpr_workgroup_id_x 1
		.amdhsa_system_sgpr_workgroup_id_y 0
		.amdhsa_system_sgpr_workgroup_id_z 0
		.amdhsa_system_sgpr_workgroup_info 0
		.amdhsa_system_vgpr_workitem_id 0
		.amdhsa_next_free_vgpr 256
		.amdhsa_next_free_sgpr 21
		.amdhsa_reserve_vcc 1
		.amdhsa_reserve_flat_scratch 0
		.amdhsa_float_round_mode_32 0
		.amdhsa_float_round_mode_16_64 0
		.amdhsa_float_denorm_mode_32 3
		.amdhsa_float_denorm_mode_16_64 3
		.amdhsa_dx10_clamp 1
		.amdhsa_ieee_mode 1
		.amdhsa_fp16_overflow 0
		.amdhsa_exception_fp_ieee_invalid_op 0
		.amdhsa_exception_fp_denorm_src 0
		.amdhsa_exception_fp_ieee_div_zero 0
		.amdhsa_exception_fp_ieee_overflow 0
		.amdhsa_exception_fp_ieee_underflow 0
		.amdhsa_exception_fp_ieee_inexact 0
		.amdhsa_exception_int_div_zero 0
	.end_amdhsa_kernel
	.section	.text._ZN9rocsolver6v33100L18getri_kernel_smallILi56E19rocblas_complex_numIfEPKPS3_EEvT1_iilPiilS8_bb,"axG",@progbits,_ZN9rocsolver6v33100L18getri_kernel_smallILi56E19rocblas_complex_numIfEPKPS3_EEvT1_iilPiilS8_bb,comdat
.Lfunc_end119:
	.size	_ZN9rocsolver6v33100L18getri_kernel_smallILi56E19rocblas_complex_numIfEPKPS3_EEvT1_iilPiilS8_bb, .Lfunc_end119-_ZN9rocsolver6v33100L18getri_kernel_smallILi56E19rocblas_complex_numIfEPKPS3_EEvT1_iilPiilS8_bb
                                        ; -- End function
	.set _ZN9rocsolver6v33100L18getri_kernel_smallILi56E19rocblas_complex_numIfEPKPS3_EEvT1_iilPiilS8_bb.num_vgpr, 256
	.set _ZN9rocsolver6v33100L18getri_kernel_smallILi56E19rocblas_complex_numIfEPKPS3_EEvT1_iilPiilS8_bb.num_agpr, 0
	.set _ZN9rocsolver6v33100L18getri_kernel_smallILi56E19rocblas_complex_numIfEPKPS3_EEvT1_iilPiilS8_bb.numbered_sgpr, 21
	.set _ZN9rocsolver6v33100L18getri_kernel_smallILi56E19rocblas_complex_numIfEPKPS3_EEvT1_iilPiilS8_bb.num_named_barrier, 0
	.set _ZN9rocsolver6v33100L18getri_kernel_smallILi56E19rocblas_complex_numIfEPKPS3_EEvT1_iilPiilS8_bb.private_seg_size, 784
	.set _ZN9rocsolver6v33100L18getri_kernel_smallILi56E19rocblas_complex_numIfEPKPS3_EEvT1_iilPiilS8_bb.uses_vcc, 1
	.set _ZN9rocsolver6v33100L18getri_kernel_smallILi56E19rocblas_complex_numIfEPKPS3_EEvT1_iilPiilS8_bb.uses_flat_scratch, 0
	.set _ZN9rocsolver6v33100L18getri_kernel_smallILi56E19rocblas_complex_numIfEPKPS3_EEvT1_iilPiilS8_bb.has_dyn_sized_stack, 0
	.set _ZN9rocsolver6v33100L18getri_kernel_smallILi56E19rocblas_complex_numIfEPKPS3_EEvT1_iilPiilS8_bb.has_recursion, 0
	.set _ZN9rocsolver6v33100L18getri_kernel_smallILi56E19rocblas_complex_numIfEPKPS3_EEvT1_iilPiilS8_bb.has_indirect_call, 0
	.section	.AMDGPU.csdata,"",@progbits
; Kernel info:
; codeLenInByte = 113976
; TotalNumSgprs: 25
; NumVgprs: 256
; ScratchSize: 784
; MemoryBound: 0
; FloatMode: 240
; IeeeMode: 1
; LDSByteSize: 900 bytes/workgroup (compile time only)
; SGPRBlocks: 3
; VGPRBlocks: 63
; NumSGPRsForWavesPerEU: 25
; NumVGPRsForWavesPerEU: 256
; Occupancy: 1
; WaveLimiterHint : 1
; COMPUTE_PGM_RSRC2:SCRATCH_EN: 1
; COMPUTE_PGM_RSRC2:USER_SGPR: 6
; COMPUTE_PGM_RSRC2:TRAP_HANDLER: 0
; COMPUTE_PGM_RSRC2:TGID_X_EN: 1
; COMPUTE_PGM_RSRC2:TGID_Y_EN: 0
; COMPUTE_PGM_RSRC2:TGID_Z_EN: 0
; COMPUTE_PGM_RSRC2:TIDIG_COMP_CNT: 0
	.section	.text._ZN9rocsolver6v33100L18getri_kernel_smallILi57E19rocblas_complex_numIfEPKPS3_EEvT1_iilPiilS8_bb,"axG",@progbits,_ZN9rocsolver6v33100L18getri_kernel_smallILi57E19rocblas_complex_numIfEPKPS3_EEvT1_iilPiilS8_bb,comdat
	.globl	_ZN9rocsolver6v33100L18getri_kernel_smallILi57E19rocblas_complex_numIfEPKPS3_EEvT1_iilPiilS8_bb ; -- Begin function _ZN9rocsolver6v33100L18getri_kernel_smallILi57E19rocblas_complex_numIfEPKPS3_EEvT1_iilPiilS8_bb
	.p2align	8
	.type	_ZN9rocsolver6v33100L18getri_kernel_smallILi57E19rocblas_complex_numIfEPKPS3_EEvT1_iilPiilS8_bb,@function
_ZN9rocsolver6v33100L18getri_kernel_smallILi57E19rocblas_complex_numIfEPKPS3_EEvT1_iilPiilS8_bb: ; @_ZN9rocsolver6v33100L18getri_kernel_smallILi57E19rocblas_complex_numIfEPKPS3_EEvT1_iilPiilS8_bb
; %bb.0:
	s_add_u32 s0, s0, s7
	s_addc_u32 s1, s1, 0
	v_cmp_gt_u32_e32 vcc, 57, v0
	s_and_saveexec_b64 s[8:9], vcc
	s_cbranch_execz .LBB120_242
; %bb.1:
	s_load_dword s18, s[4:5], 0x38
	s_load_dwordx2 s[12:13], s[4:5], 0x0
	s_load_dwordx4 s[8:11], s[4:5], 0x28
	s_waitcnt lgkmcnt(0)
	s_bitcmp1_b32 s18, 8
	s_cselect_b64 s[14:15], -1, 0
	s_ashr_i32 s7, s6, 31
	s_lshl_b64 s[16:17], s[6:7], 3
	s_add_u32 s12, s12, s16
	s_addc_u32 s13, s13, s17
	s_load_dwordx2 s[16:17], s[12:13], 0x0
	s_bfe_u32 s12, s18, 0x10008
	s_cmp_eq_u32 s12, 0
                                        ; implicit-def: $sgpr12_sgpr13
	s_cbranch_scc1 .LBB120_3
; %bb.2:
	s_load_dword s12, s[4:5], 0x20
	s_load_dwordx2 s[18:19], s[4:5], 0x18
	s_mul_i32 s13, s8, s7
	s_mul_hi_u32 s20, s8, s6
	s_add_i32 s20, s20, s13
	s_mul_i32 s9, s9, s6
	s_add_i32 s9, s20, s9
	s_mul_i32 s8, s8, s6
	s_waitcnt lgkmcnt(0)
	s_ashr_i32 s13, s12, 31
	s_lshl_b64 s[8:9], s[8:9], 2
	s_add_u32 s18, s18, s8
	s_addc_u32 s19, s19, s9
	s_lshl_b64 s[8:9], s[12:13], 2
	s_add_u32 s12, s18, s8
	s_addc_u32 s13, s19, s9
.LBB120_3:
	s_load_dwordx2 s[8:9], s[4:5], 0x8
	s_load_dword s18, s[4:5], 0x38
	v_lshlrev_b32_e32 v117, 3, v0
	s_waitcnt lgkmcnt(0)
	s_ashr_i32 s5, s8, 31
	s_mov_b32 s4, s8
	s_lshl_b64 s[4:5], s[4:5], 3
	s_add_u32 s4, s16, s4
	s_addc_u32 s5, s17, s5
	v_mov_b32_e32 v2, s5
	v_add_co_u32_e32 v1, vcc, s4, v117
	v_addc_co_u32_e32 v2, vcc, 0, v2, vcc
	flat_load_dwordx2 v[3:4], v[1:2]
	s_mov_b32 s16, s9
	s_ashr_i32 s17, s9, 31
	s_lshl_b64 s[16:17], s[16:17], 3
	v_mov_b32_e32 v5, s17
	v_add_co_u32_e32 v6, vcc, s16, v1
	v_addc_co_u32_e32 v7, vcc, v2, v5, vcc
	s_add_i32 s8, s9, s9
	v_add_u32_e32 v5, s8, v0
	v_mov_b32_e32 v8, s5
	s_bitcmp0_b32 s18, 0
	s_waitcnt vmcnt(0) lgkmcnt(0)
	buffer_store_dword v4, off, s[0:3], 0 offset:4
	buffer_store_dword v3, off, s[0:3], 0
	buffer_store_dword v6, off, s[0:3], 0 offset:456 ; 4-byte Folded Spill
	s_nop 0
	buffer_store_dword v7, off, s[0:3], 0 offset:460 ; 4-byte Folded Spill
	flat_load_dwordx2 v[3:4], v[6:7]
	v_ashrrev_i32_e32 v6, 31, v5
	v_lshlrev_b64 v[6:7], 3, v[5:6]
	v_add_u32_e32 v5, s9, v5
	v_add_co_u32_e32 v6, vcc, s4, v6
	v_addc_co_u32_e32 v7, vcc, v8, v7, vcc
	s_waitcnt vmcnt(0) lgkmcnt(0)
	buffer_store_dword v4, off, s[0:3], 0 offset:12
	buffer_store_dword v3, off, s[0:3], 0 offset:8
	buffer_store_dword v6, off, s[0:3], 0 offset:464 ; 4-byte Folded Spill
	s_nop 0
	buffer_store_dword v7, off, s[0:3], 0 offset:468 ; 4-byte Folded Spill
	flat_load_dwordx2 v[3:4], v[6:7]
	v_ashrrev_i32_e32 v6, 31, v5
	v_lshlrev_b64 v[6:7], 3, v[5:6]
	v_add_u32_e32 v5, s9, v5
	v_add_co_u32_e32 v6, vcc, s4, v6
	v_addc_co_u32_e32 v7, vcc, v8, v7, vcc
	s_waitcnt vmcnt(0) lgkmcnt(0)
	buffer_store_dword v4, off, s[0:3], 0 offset:20
	buffer_store_dword v3, off, s[0:3], 0 offset:16
	;; [unrolled: 12-line block ×42, first 2 shown]
	buffer_store_dword v6, off, s[0:3], 0 offset:792 ; 4-byte Folded Spill
	s_nop 0
	buffer_store_dword v7, off, s[0:3], 0 offset:796 ; 4-byte Folded Spill
	flat_load_dwordx2 v[3:4], v[6:7]
	v_ashrrev_i32_e32 v6, 31, v5
	v_lshlrev_b64 v[6:7], 3, v[5:6]
	v_add_u32_e32 v5, s9, v5
	v_add_co_u32_e32 v89, vcc, s4, v6
	v_addc_co_u32_e32 v90, vcc, v8, v7, vcc
	v_ashrrev_i32_e32 v6, 31, v5
	v_lshlrev_b64 v[6:7], 3, v[5:6]
	v_add_u32_e32 v5, s9, v5
	v_add_co_u32_e32 v91, vcc, s4, v6
	v_addc_co_u32_e32 v92, vcc, v8, v7, vcc
	;; [unrolled: 5-line block ×10, first 2 shown]
	v_ashrrev_i32_e32 v6, 31, v5
	v_lshlrev_b64 v[6:7], 3, v[5:6]
	v_add_u32_e32 v5, s9, v5
	v_add_co_u32_e32 v109, vcc, s4, v6
	s_waitcnt vmcnt(0) lgkmcnt(0)
	buffer_store_dword v4, off, s[0:3], 0 offset:348
	buffer_store_dword v3, off, s[0:3], 0 offset:344
	flat_load_dwordx2 v[3:4], v[89:90]
	v_addc_co_u32_e32 v110, vcc, v8, v7, vcc
	v_ashrrev_i32_e32 v6, 31, v5
	v_lshlrev_b64 v[6:7], 3, v[5:6]
	v_add_u32_e32 v5, s9, v5
	v_add_co_u32_e32 v111, vcc, s4, v6
	v_addc_co_u32_e32 v112, vcc, v8, v7, vcc
	v_ashrrev_i32_e32 v6, 31, v5
	v_lshlrev_b64 v[5:6], 3, v[5:6]
	v_mov_b32_e32 v7, s5
	v_add_co_u32_e32 v113, vcc, s4, v5
	v_addc_co_u32_e32 v114, vcc, v7, v6, vcc
	s_mov_b64 s[8:9], -1
	s_waitcnt vmcnt(0) lgkmcnt(0)
	buffer_store_dword v4, off, s[0:3], 0 offset:356
	buffer_store_dword v3, off, s[0:3], 0 offset:352
	flat_load_dwordx2 v[3:4], v[91:92]
	s_waitcnt vmcnt(0) lgkmcnt(0)
	buffer_store_dword v4, off, s[0:3], 0 offset:364
	buffer_store_dword v3, off, s[0:3], 0 offset:360
	flat_load_dwordx2 v[3:4], v[93:94]
	;; [unrolled: 4-line block ×12, first 2 shown]
	s_waitcnt vmcnt(0) lgkmcnt(0)
	buffer_store_dword v4, off, s[0:3], 0 offset:452
	buffer_store_dword v3, off, s[0:3], 0 offset:448
	s_cbranch_scc1 .LBB120_240
; %bb.4:
	v_cmp_eq_u32_e64 s[4:5], 0, v0
	s_and_saveexec_b64 s[8:9], s[4:5]
; %bb.5:
	v_mov_b32_e32 v3, 0
	ds_write_b32 v3, v3 offset:456
; %bb.6:
	s_or_b64 exec, exec, s[8:9]
	v_mov_b32_e32 v3, 0
	v_lshl_add_u32 v119, v0, 3, v3
	s_waitcnt lgkmcnt(0)
	; wave barrier
	buffer_load_dword v3, v119, s[0:3], 0 offen
	buffer_load_dword v4, v119, s[0:3], 0 offen offset:4
	s_waitcnt vmcnt(1)
	v_cmp_eq_f32_e32 vcc, 0, v3
	s_waitcnt vmcnt(0)
	v_cmp_eq_f32_e64 s[8:9], 0, v4
	s_and_b64 s[8:9], vcc, s[8:9]
	s_and_saveexec_b64 s[16:17], s[8:9]
	s_cbranch_execz .LBB120_10
; %bb.7:
	v_mov_b32_e32 v115, 0
	ds_read_b32 v3, v115 offset:456
	v_add_u32_e32 v116, 1, v0
	s_waitcnt lgkmcnt(0)
	v_readfirstlane_b32 s8, v3
	s_cmp_eq_u32 s8, 0
	s_cselect_b64 s[18:19], -1, 0
	v_cmp_gt_i32_e32 vcc, s8, v116
	s_or_b64 s[18:19], s[18:19], vcc
	s_and_b64 exec, exec, s[18:19]
	s_cbranch_execz .LBB120_10
; %bb.8:
	s_mov_b64 s[18:19], 0
	v_mov_b32_e32 v118, s8
.LBB120_9:                              ; =>This Inner Loop Header: Depth=1
	ds_cmpst_rtn_b32 v118, v115, v118, v116 offset:456
	s_waitcnt lgkmcnt(0)
	v_cmp_ne_u32_e32 vcc, 0, v118
	v_cmp_le_i32_e64 s[8:9], v118, v116
	s_and_b64 s[8:9], vcc, s[8:9]
	s_and_b64 s[8:9], exec, s[8:9]
	s_or_b64 s[18:19], s[8:9], s[18:19]
	s_andn2_b64 exec, exec, s[18:19]
	s_cbranch_execnz .LBB120_9
.LBB120_10:
	s_or_b64 exec, exec, s[16:17]
	v_mov_b32_e32 v116, 0
	; wave barrier
	ds_read_b32 v115, v116 offset:456
	s_and_saveexec_b64 s[8:9], s[4:5]
	s_cbranch_execz .LBB120_12
; %bb.11:
	s_lshl_b64 s[16:17], s[6:7], 2
	s_add_u32 s16, s10, s16
	s_addc_u32 s17, s11, s17
	s_waitcnt lgkmcnt(0)
	global_store_dword v116, v115, s[16:17]
.LBB120_12:
	s_or_b64 exec, exec, s[8:9]
	s_waitcnt lgkmcnt(0)
	v_cmp_ne_u32_e32 vcc, 0, v115
	s_mov_b64 s[8:9], 0
	s_cbranch_vccnz .LBB120_240
; %bb.13:
	buffer_load_dword v116, v119, s[0:3], 0 offen
	buffer_load_dword v118, v119, s[0:3], 0 offen offset:4
                                        ; implicit-def: $vgpr121
                                        ; implicit-def: $vgpr120
                                        ; implicit-def: $vgpr115
	s_waitcnt vmcnt(0)
	v_cmp_ngt_f32_e64 s[8:9], |v116|, |v118|
	s_and_saveexec_b64 s[16:17], s[8:9]
	s_xor_b64 s[8:9], exec, s[16:17]
	s_cbranch_execz .LBB120_15
; %bb.14:
	v_div_scale_f32 v3, s[16:17], v118, v118, v116
	v_div_scale_f32 v4, vcc, v116, v118, v116
	v_rcp_f32_e32 v5, v3
	v_fma_f32 v6, -v3, v5, 1.0
	v_fmac_f32_e32 v5, v6, v5
	v_mul_f32_e32 v6, v4, v5
	v_fma_f32 v7, -v3, v6, v4
	v_fmac_f32_e32 v6, v7, v5
	v_fma_f32 v3, -v3, v6, v4
	v_div_fmas_f32 v3, v3, v5, v6
	v_div_fixup_f32 v3, v3, v118, v116
	v_fmac_f32_e32 v118, v116, v3
	v_div_scale_f32 v4, s[16:17], v118, v118, 1.0
	v_div_scale_f32 v5, vcc, 1.0, v118, 1.0
                                        ; implicit-def: $vgpr116
	v_rcp_f32_e32 v6, v4
	v_fma_f32 v7, -v4, v6, 1.0
	v_fmac_f32_e32 v6, v7, v6
	v_mul_f32_e32 v7, v5, v6
	v_fma_f32 v8, -v4, v7, v5
	v_fmac_f32_e32 v7, v8, v6
	v_fma_f32 v4, -v4, v7, v5
	v_div_fmas_f32 v4, v4, v6, v7
	v_div_fixup_f32 v4, v4, v118, 1.0
	v_mul_f32_e32 v121, v3, v4
	v_xor_b32_e32 v120, 0x80000000, v4
	v_xor_b32_e32 v115, 0x80000000, v121
                                        ; implicit-def: $vgpr118
.LBB120_15:
	s_andn2_saveexec_b64 s[8:9], s[8:9]
	s_cbranch_execz .LBB120_17
; %bb.16:
	v_div_scale_f32 v3, s[16:17], v116, v116, v118
	v_div_scale_f32 v4, vcc, v118, v116, v118
	v_rcp_f32_e32 v5, v3
	v_fma_f32 v6, -v3, v5, 1.0
	v_fmac_f32_e32 v5, v6, v5
	v_mul_f32_e32 v6, v4, v5
	v_fma_f32 v7, -v3, v6, v4
	v_fmac_f32_e32 v6, v7, v5
	v_fma_f32 v3, -v3, v6, v4
	v_div_fmas_f32 v3, v3, v5, v6
	v_div_fixup_f32 v3, v3, v116, v118
	v_fmac_f32_e32 v116, v118, v3
	v_div_scale_f32 v4, s[16:17], v116, v116, 1.0
	v_div_scale_f32 v5, vcc, 1.0, v116, 1.0
	v_rcp_f32_e32 v6, v4
	v_fma_f32 v7, -v4, v6, 1.0
	v_fmac_f32_e32 v6, v7, v6
	v_mul_f32_e32 v7, v5, v6
	v_fma_f32 v8, -v4, v7, v5
	v_fmac_f32_e32 v7, v8, v6
	v_fma_f32 v4, -v4, v7, v5
	v_div_fmas_f32 v4, v4, v6, v7
	v_div_fixup_f32 v121, v4, v116, 1.0
	v_xor_b32_e32 v115, 0x80000000, v121
	v_mul_f32_e64 v120, v3, -v121
.LBB120_17:
	s_or_b64 exec, exec, s[8:9]
	buffer_store_dword v121, v119, s[0:3], 0 offen
	buffer_store_dword v120, v119, s[0:3], 0 offen offset:4
	buffer_load_dword v4, off, s[0:3], 0 offset:12
	buffer_load_dword v3, off, s[0:3], 0 offset:8
	v_xor_b32_e32 v116, 0x80000000, v120
	v_add_u32_e32 v118, 0x1d0, v117
	s_waitcnt vmcnt(0)
	ds_write2_b64 v117, v[115:116], v[3:4] offset1:58
	s_waitcnt lgkmcnt(0)
	; wave barrier
	s_and_saveexec_b64 s[8:9], s[4:5]
	s_cbranch_execz .LBB120_19
; %bb.18:
	buffer_load_dword v7, v119, s[0:3], 0 offen offset:4
	buffer_load_dword v8, v119, s[0:3], 0 offen
	ds_read_b64 v[3:4], v118
	v_mov_b32_e32 v5, 0
	ds_read_b64 v[5:6], v5 offset:8
	s_waitcnt vmcnt(1) lgkmcnt(1)
	v_mul_f32_e32 v9, v4, v7
	v_mul_f32_e32 v7, v3, v7
	s_waitcnt vmcnt(0)
	v_fmac_f32_e32 v7, v4, v8
	v_fma_f32 v3, v3, v8, -v9
	v_add_f32_e32 v4, 0, v7
	v_add_f32_e32 v3, 0, v3
	s_waitcnt lgkmcnt(0)
	v_mul_f32_e32 v7, v4, v6
	v_mul_f32_e32 v6, v3, v6
	v_fma_f32 v3, v3, v5, -v7
	v_fmac_f32_e32 v6, v4, v5
	buffer_store_dword v3, off, s[0:3], 0 offset:8
	buffer_store_dword v6, off, s[0:3], 0 offset:12
.LBB120_19:
	s_or_b64 exec, exec, s[8:9]
	; wave barrier
	buffer_load_dword v3, off, s[0:3], 0 offset:16
	buffer_load_dword v4, off, s[0:3], 0 offset:20
	v_cmp_gt_u32_e32 vcc, 2, v0
	s_waitcnt vmcnt(0)
	ds_write_b64 v118, v[3:4]
	s_waitcnt lgkmcnt(0)
	; wave barrier
	s_and_saveexec_b64 s[8:9], vcc
	s_cbranch_execz .LBB120_23
; %bb.20:
	buffer_load_dword v5, v119, s[0:3], 0 offen offset:4
	buffer_load_dword v6, v119, s[0:3], 0 offen
	ds_read_b64 v[3:4], v118
	s_waitcnt vmcnt(1) lgkmcnt(0)
	v_mul_f32_e32 v7, v4, v5
	v_mul_f32_e32 v5, v3, v5
	s_waitcnt vmcnt(0)
	v_fma_f32 v3, v3, v6, -v7
	v_fmac_f32_e32 v5, v4, v6
	v_add_f32_e32 v116, 0, v3
	v_add_f32_e32 v115, 0, v5
	s_and_saveexec_b64 s[16:17], s[4:5]
	s_cbranch_execz .LBB120_22
; %bb.21:
	buffer_load_dword v5, off, s[0:3], 0 offset:12
	buffer_load_dword v6, off, s[0:3], 0 offset:8
	v_mov_b32_e32 v3, 0
	ds_read_b64 v[3:4], v3 offset:472
	s_waitcnt vmcnt(1) lgkmcnt(0)
	v_mul_f32_e32 v7, v3, v5
	v_mul_f32_e32 v5, v4, v5
	s_waitcnt vmcnt(0)
	v_fmac_f32_e32 v7, v4, v6
	v_fma_f32 v3, v3, v6, -v5
	v_add_f32_e32 v115, v115, v7
	v_add_f32_e32 v116, v116, v3
.LBB120_22:
	s_or_b64 exec, exec, s[16:17]
	v_mov_b32_e32 v3, 0
	ds_read_b64 v[3:4], v3 offset:16
	s_waitcnt lgkmcnt(0)
	v_mul_f32_e32 v5, v115, v4
	v_mul_f32_e32 v4, v116, v4
	v_fma_f32 v5, v116, v3, -v5
	v_fmac_f32_e32 v4, v115, v3
	buffer_store_dword v5, off, s[0:3], 0 offset:16
	buffer_store_dword v4, off, s[0:3], 0 offset:20
.LBB120_23:
	s_or_b64 exec, exec, s[8:9]
	; wave barrier
	buffer_load_dword v3, off, s[0:3], 0 offset:24
	buffer_load_dword v4, off, s[0:3], 0 offset:28
	v_cmp_gt_u32_e32 vcc, 3, v0
	v_add_u32_e32 v115, -1, v0
	s_waitcnt vmcnt(0)
	ds_write_b64 v118, v[3:4]
	s_waitcnt lgkmcnt(0)
	; wave barrier
	s_and_saveexec_b64 s[4:5], vcc
	s_cbranch_execz .LBB120_27
; %bb.24:
	v_add_u32_e32 v119, -1, v0
	v_add_u32_e32 v120, 0x1d0, v117
	v_mov_b32_e32 v121, v117
	v_mov_b32_e32 v116, 0
	s_mov_b64 s[8:9], 0
	v_mov_b32_e32 v122, 0
.LBB120_25:                             ; =>This Inner Loop Header: Depth=1
	buffer_load_dword v5, v121, s[0:3], 0 offen offset:4
	buffer_load_dword v6, v121, s[0:3], 0 offen
	ds_read_b64 v[3:4], v120
	v_add_u32_e32 v119, 1, v119
	v_cmp_lt_u32_e32 vcc, 1, v119
	v_add_u32_e32 v120, 8, v120
	v_add_u32_e32 v121, 8, v121
	s_or_b64 s[8:9], vcc, s[8:9]
	s_waitcnt vmcnt(1) lgkmcnt(0)
	v_mul_f32_e32 v7, v4, v5
	v_mul_f32_e32 v5, v3, v5
	s_waitcnt vmcnt(0)
	v_fma_f32 v3, v3, v6, -v7
	v_fmac_f32_e32 v5, v4, v6
	v_add_f32_e32 v122, v122, v3
	v_add_f32_e32 v116, v116, v5
	s_andn2_b64 exec, exec, s[8:9]
	s_cbranch_execnz .LBB120_25
; %bb.26:
	s_or_b64 exec, exec, s[8:9]
	v_mov_b32_e32 v3, 0
	ds_read_b64 v[3:4], v3 offset:24
	s_waitcnt lgkmcnt(0)
	v_mul_f32_e32 v5, v116, v4
	v_mul_f32_e32 v4, v122, v4
	v_fma_f32 v5, v122, v3, -v5
	v_fmac_f32_e32 v4, v116, v3
	buffer_store_dword v5, off, s[0:3], 0 offset:24
	buffer_store_dword v4, off, s[0:3], 0 offset:28
.LBB120_27:
	s_or_b64 exec, exec, s[4:5]
	; wave barrier
	buffer_load_dword v3, off, s[0:3], 0 offset:32
	buffer_load_dword v4, off, s[0:3], 0 offset:36
	v_cmp_gt_u32_e32 vcc, 4, v0
	s_waitcnt vmcnt(0)
	ds_write_b64 v118, v[3:4]
	s_waitcnt lgkmcnt(0)
	; wave barrier
	s_and_saveexec_b64 s[4:5], vcc
	s_cbranch_execz .LBB120_31
; %bb.28:
	v_add_u32_e32 v119, -1, v0
	v_add_u32_e32 v120, 0x1d0, v117
	v_mov_b32_e32 v121, v117
	v_mov_b32_e32 v116, 0
	s_mov_b64 s[8:9], 0
	v_mov_b32_e32 v122, 0
.LBB120_29:                             ; =>This Inner Loop Header: Depth=1
	buffer_load_dword v5, v121, s[0:3], 0 offen offset:4
	buffer_load_dword v6, v121, s[0:3], 0 offen
	ds_read_b64 v[3:4], v120
	v_add_u32_e32 v119, 1, v119
	v_cmp_lt_u32_e32 vcc, 2, v119
	v_add_u32_e32 v120, 8, v120
	v_add_u32_e32 v121, 8, v121
	s_or_b64 s[8:9], vcc, s[8:9]
	s_waitcnt vmcnt(1) lgkmcnt(0)
	v_mul_f32_e32 v7, v4, v5
	v_mul_f32_e32 v5, v3, v5
	s_waitcnt vmcnt(0)
	v_fma_f32 v3, v3, v6, -v7
	v_fmac_f32_e32 v5, v4, v6
	v_add_f32_e32 v122, v122, v3
	v_add_f32_e32 v116, v116, v5
	s_andn2_b64 exec, exec, s[8:9]
	s_cbranch_execnz .LBB120_29
; %bb.30:
	s_or_b64 exec, exec, s[8:9]
	v_mov_b32_e32 v3, 0
	ds_read_b64 v[3:4], v3 offset:32
	s_waitcnt lgkmcnt(0)
	v_mul_f32_e32 v5, v116, v4
	v_mul_f32_e32 v4, v122, v4
	v_fma_f32 v5, v122, v3, -v5
	v_fmac_f32_e32 v4, v116, v3
	buffer_store_dword v5, off, s[0:3], 0 offset:32
	buffer_store_dword v4, off, s[0:3], 0 offset:36
.LBB120_31:
	s_or_b64 exec, exec, s[4:5]
	; wave barrier
	buffer_load_dword v3, off, s[0:3], 0 offset:40
	buffer_load_dword v4, off, s[0:3], 0 offset:44
	v_cmp_gt_u32_e32 vcc, 5, v0
	;; [unrolled: 49-line block ×19, first 2 shown]
	s_waitcnt vmcnt(0)
	ds_write_b64 v118, v[3:4]
	s_waitcnt lgkmcnt(0)
	; wave barrier
	s_and_saveexec_b64 s[4:5], vcc
	s_cbranch_execz .LBB120_103
; %bb.100:
	v_add_u32_e32 v119, -1, v0
	v_add_u32_e32 v120, 0x1d0, v117
	v_mov_b32_e32 v121, v117
	v_mov_b32_e32 v116, 0
	s_mov_b64 s[8:9], 0
	v_mov_b32_e32 v122, 0
.LBB120_101:                            ; =>This Inner Loop Header: Depth=1
	buffer_load_dword v5, v121, s[0:3], 0 offen offset:4
	buffer_load_dword v6, v121, s[0:3], 0 offen
	ds_read_b64 v[3:4], v120
	v_add_u32_e32 v119, 1, v119
	v_cmp_lt_u32_e32 vcc, 20, v119
	v_add_u32_e32 v120, 8, v120
	v_add_u32_e32 v121, 8, v121
	s_or_b64 s[8:9], vcc, s[8:9]
	s_waitcnt vmcnt(1) lgkmcnt(0)
	v_mul_f32_e32 v7, v4, v5
	v_mul_f32_e32 v5, v3, v5
	s_waitcnt vmcnt(0)
	v_fma_f32 v3, v3, v6, -v7
	v_fmac_f32_e32 v5, v4, v6
	v_add_f32_e32 v122, v122, v3
	v_add_f32_e32 v116, v116, v5
	s_andn2_b64 exec, exec, s[8:9]
	s_cbranch_execnz .LBB120_101
; %bb.102:
	s_or_b64 exec, exec, s[8:9]
	v_mov_b32_e32 v3, 0
	ds_read_b64 v[3:4], v3 offset:176
	s_waitcnt lgkmcnt(0)
	v_mul_f32_e32 v5, v116, v4
	v_mul_f32_e32 v4, v122, v4
	v_fma_f32 v5, v122, v3, -v5
	v_fmac_f32_e32 v4, v116, v3
	buffer_store_dword v5, off, s[0:3], 0 offset:176
	buffer_store_dword v4, off, s[0:3], 0 offset:180
.LBB120_103:
	s_or_b64 exec, exec, s[4:5]
	; wave barrier
	buffer_load_dword v3, off, s[0:3], 0 offset:184
	buffer_load_dword v4, off, s[0:3], 0 offset:188
	v_cmp_gt_u32_e32 vcc, 23, v0
	s_waitcnt vmcnt(0)
	ds_write_b64 v118, v[3:4]
	s_waitcnt lgkmcnt(0)
	; wave barrier
	s_and_saveexec_b64 s[4:5], vcc
	s_cbranch_execz .LBB120_107
; %bb.104:
	v_add_u32_e32 v119, -1, v0
	v_add_u32_e32 v120, 0x1d0, v117
	v_mov_b32_e32 v121, v117
	v_mov_b32_e32 v116, 0
	s_mov_b64 s[8:9], 0
	v_mov_b32_e32 v122, 0
.LBB120_105:                            ; =>This Inner Loop Header: Depth=1
	buffer_load_dword v5, v121, s[0:3], 0 offen offset:4
	buffer_load_dword v6, v121, s[0:3], 0 offen
	ds_read_b64 v[3:4], v120
	v_add_u32_e32 v119, 1, v119
	v_cmp_lt_u32_e32 vcc, 21, v119
	v_add_u32_e32 v120, 8, v120
	v_add_u32_e32 v121, 8, v121
	s_or_b64 s[8:9], vcc, s[8:9]
	s_waitcnt vmcnt(1) lgkmcnt(0)
	v_mul_f32_e32 v7, v4, v5
	v_mul_f32_e32 v5, v3, v5
	s_waitcnt vmcnt(0)
	v_fma_f32 v3, v3, v6, -v7
	v_fmac_f32_e32 v5, v4, v6
	v_add_f32_e32 v122, v122, v3
	v_add_f32_e32 v116, v116, v5
	s_andn2_b64 exec, exec, s[8:9]
	s_cbranch_execnz .LBB120_105
; %bb.106:
	s_or_b64 exec, exec, s[8:9]
	v_mov_b32_e32 v3, 0
	ds_read_b64 v[3:4], v3 offset:184
	s_waitcnt lgkmcnt(0)
	v_mul_f32_e32 v5, v116, v4
	v_mul_f32_e32 v4, v122, v4
	v_fma_f32 v5, v122, v3, -v5
	v_fmac_f32_e32 v4, v116, v3
	buffer_store_dword v5, off, s[0:3], 0 offset:184
	buffer_store_dword v4, off, s[0:3], 0 offset:188
.LBB120_107:
	s_or_b64 exec, exec, s[4:5]
	; wave barrier
	buffer_load_dword v3, off, s[0:3], 0 offset:192
	buffer_load_dword v4, off, s[0:3], 0 offset:196
	v_cmp_gt_u32_e32 vcc, 24, v0
	;; [unrolled: 49-line block ×33, first 2 shown]
	s_waitcnt vmcnt(0)
	ds_write_b64 v118, v[3:4]
	s_waitcnt lgkmcnt(0)
	; wave barrier
	s_and_saveexec_b64 s[4:5], vcc
	s_cbranch_execz .LBB120_235
; %bb.232:
	v_add_u32_e32 v119, -1, v0
	v_add_u32_e32 v120, 0x1d0, v117
	v_mov_b32_e32 v121, v117
	v_mov_b32_e32 v116, 0
	s_mov_b64 s[8:9], 0
	v_mov_b32_e32 v122, 0
.LBB120_233:                            ; =>This Inner Loop Header: Depth=1
	buffer_load_dword v5, v121, s[0:3], 0 offen offset:4
	buffer_load_dword v6, v121, s[0:3], 0 offen
	ds_read_b64 v[3:4], v120
	v_add_u32_e32 v119, 1, v119
	v_cmp_lt_u32_e32 vcc, 53, v119
	v_add_u32_e32 v120, 8, v120
	v_add_u32_e32 v121, 8, v121
	s_or_b64 s[8:9], vcc, s[8:9]
	s_waitcnt vmcnt(1) lgkmcnt(0)
	v_mul_f32_e32 v7, v4, v5
	v_mul_f32_e32 v5, v3, v5
	s_waitcnt vmcnt(0)
	v_fma_f32 v3, v3, v6, -v7
	v_fmac_f32_e32 v5, v4, v6
	v_add_f32_e32 v122, v122, v3
	v_add_f32_e32 v116, v116, v5
	s_andn2_b64 exec, exec, s[8:9]
	s_cbranch_execnz .LBB120_233
; %bb.234:
	s_or_b64 exec, exec, s[8:9]
	v_mov_b32_e32 v3, 0
	ds_read_b64 v[3:4], v3 offset:440
	s_waitcnt lgkmcnt(0)
	v_mul_f32_e32 v5, v116, v4
	v_mul_f32_e32 v4, v122, v4
	v_fma_f32 v5, v122, v3, -v5
	v_fmac_f32_e32 v4, v116, v3
	buffer_store_dword v5, off, s[0:3], 0 offset:440
	buffer_store_dword v4, off, s[0:3], 0 offset:444
.LBB120_235:
	s_or_b64 exec, exec, s[4:5]
	; wave barrier
	buffer_load_dword v3, off, s[0:3], 0 offset:448
	buffer_load_dword v4, off, s[0:3], 0 offset:452
	v_cmp_ne_u32_e32 vcc, 56, v0
	s_waitcnt vmcnt(0)
	ds_write_b64 v118, v[3:4]
	s_waitcnt lgkmcnt(0)
	; wave barrier
	s_and_saveexec_b64 s[4:5], vcc
	s_cbranch_execz .LBB120_239
; %bb.236:
	v_add_u32_e32 v118, 0x1d0, v117
	v_mov_b32_e32 v116, 0
	s_mov_b64 s[8:9], 0
	v_mov_b32_e32 v119, 0
.LBB120_237:                            ; =>This Inner Loop Header: Depth=1
	buffer_load_dword v5, v117, s[0:3], 0 offen offset:4
	buffer_load_dword v6, v117, s[0:3], 0 offen
	ds_read_b64 v[3:4], v118
	v_add_u32_e32 v115, 1, v115
	v_cmp_lt_u32_e32 vcc, 54, v115
	v_add_u32_e32 v118, 8, v118
	v_add_u32_e32 v117, 8, v117
	s_or_b64 s[8:9], vcc, s[8:9]
	s_waitcnt vmcnt(1) lgkmcnt(0)
	v_mul_f32_e32 v7, v4, v5
	v_mul_f32_e32 v5, v3, v5
	s_waitcnt vmcnt(0)
	v_fma_f32 v3, v3, v6, -v7
	v_fmac_f32_e32 v5, v4, v6
	v_add_f32_e32 v119, v119, v3
	v_add_f32_e32 v116, v116, v5
	s_andn2_b64 exec, exec, s[8:9]
	s_cbranch_execnz .LBB120_237
; %bb.238:
	s_or_b64 exec, exec, s[8:9]
	v_mov_b32_e32 v3, 0
	ds_read_b64 v[3:4], v3 offset:448
	s_waitcnt lgkmcnt(0)
	v_mul_f32_e32 v5, v116, v4
	v_mul_f32_e32 v4, v119, v4
	v_fma_f32 v5, v119, v3, -v5
	v_fmac_f32_e32 v4, v116, v3
	buffer_store_dword v5, off, s[0:3], 0 offset:448
	buffer_store_dword v4, off, s[0:3], 0 offset:452
.LBB120_239:
	s_or_b64 exec, exec, s[4:5]
	s_mov_b64 s[8:9], -1
	; wave barrier
.LBB120_240:
	s_and_b64 vcc, exec, s[8:9]
	s_cbranch_vccz .LBB120_242
; %bb.241:
	s_lshl_b64 s[4:5], s[6:7], 2
	s_add_u32 s4, s10, s4
	s_addc_u32 s5, s11, s5
	v_mov_b32_e32 v3, 0
	global_load_dword v3, v3, s[4:5]
	s_waitcnt vmcnt(0)
	v_cmp_ne_u32_e32 vcc, 0, v3
	s_cbranch_vccz .LBB120_243
.LBB120_242:
	s_endpgm
.LBB120_243:
	v_mov_b32_e32 v3, 0x1d0
	v_lshl_add_u32 v115, v0, 3, v3
	v_cmp_eq_u32_e32 vcc, 56, v0
	s_and_saveexec_b64 s[4:5], vcc
	s_cbranch_execz .LBB120_245
; %bb.244:
	buffer_load_dword v3, off, s[0:3], 0 offset:440
	buffer_load_dword v4, off, s[0:3], 0 offset:444
	v_mov_b32_e32 v5, 0
	buffer_store_dword v5, off, s[0:3], 0 offset:440
	buffer_store_dword v5, off, s[0:3], 0 offset:444
	s_waitcnt vmcnt(2)
	ds_write_b64 v115, v[3:4]
.LBB120_245:
	s_or_b64 exec, exec, s[4:5]
	s_waitcnt lgkmcnt(0)
	; wave barrier
	buffer_load_dword v5, off, s[0:3], 0 offset:452
	buffer_load_dword v6, off, s[0:3], 0 offset:448
	;; [unrolled: 1-line block ×4, first 2 shown]
	v_mov_b32_e32 v116, 0
	ds_read_b64 v[3:4], v116 offset:912
	v_cmp_lt_u32_e32 vcc, 54, v0
	s_waitcnt vmcnt(3) lgkmcnt(0)
	v_mul_f32_e32 v9, v3, v5
	v_mul_f32_e32 v5, v4, v5
	s_waitcnt vmcnt(2)
	v_fma_f32 v3, v3, v6, -v5
	v_fmac_f32_e32 v9, v4, v6
	v_add_f32_e32 v3, 0, v3
	v_add_f32_e32 v4, 0, v9
	s_waitcnt vmcnt(1)
	v_sub_f32_e32 v3, v7, v3
	s_waitcnt vmcnt(0)
	v_sub_f32_e32 v4, v8, v4
	buffer_store_dword v3, off, s[0:3], 0 offset:440
	buffer_store_dword v4, off, s[0:3], 0 offset:444
	s_and_saveexec_b64 s[4:5], vcc
	s_cbranch_execz .LBB120_247
; %bb.246:
	buffer_load_dword v3, off, s[0:3], 0 offset:432
	buffer_load_dword v4, off, s[0:3], 0 offset:436
	s_waitcnt vmcnt(0)
	ds_write_b64 v115, v[3:4]
	buffer_store_dword v116, off, s[0:3], 0 offset:432
	buffer_store_dword v116, off, s[0:3], 0 offset:436
.LBB120_247:
	s_or_b64 exec, exec, s[4:5]
	s_waitcnt lgkmcnt(0)
	; wave barrier
	buffer_load_dword v3, off, s[0:3], 0 offset:444
	buffer_load_dword v4, off, s[0:3], 0 offset:452
	;; [unrolled: 1-line block ×6, first 2 shown]
	ds_read2_b64 v[116:119], v116 offset0:113 offset1:114
	v_cmp_lt_u32_e32 vcc, 53, v0
	s_waitcnt vmcnt(5) lgkmcnt(0)
	v_mul_f32_e32 v9, v116, v3
	v_mul_f32_e32 v3, v117, v3
	s_waitcnt vmcnt(4)
	v_mul_f32_e32 v10, v118, v4
	v_mul_f32_e32 v4, v119, v4
	s_waitcnt vmcnt(3)
	v_fma_f32 v3, v116, v5, -v3
	v_fmac_f32_e32 v9, v117, v5
	s_waitcnt vmcnt(2)
	v_fma_f32 v4, v118, v6, -v4
	v_add_f32_e32 v3, 0, v3
	v_fmac_f32_e32 v10, v119, v6
	v_add_f32_e32 v5, 0, v9
	v_add_f32_e32 v3, v3, v4
	;; [unrolled: 1-line block ×3, first 2 shown]
	s_waitcnt vmcnt(1)
	v_sub_f32_e32 v3, v7, v3
	s_waitcnt vmcnt(0)
	v_sub_f32_e32 v4, v8, v5
	buffer_store_dword v3, off, s[0:3], 0 offset:432
	buffer_store_dword v4, off, s[0:3], 0 offset:436
	s_and_saveexec_b64 s[4:5], vcc
	s_cbranch_execz .LBB120_249
; %bb.248:
	buffer_load_dword v3, off, s[0:3], 0 offset:424
	buffer_load_dword v4, off, s[0:3], 0 offset:428
	v_mov_b32_e32 v5, 0
	buffer_store_dword v5, off, s[0:3], 0 offset:424
	buffer_store_dword v5, off, s[0:3], 0 offset:428
	s_waitcnt vmcnt(2)
	ds_write_b64 v115, v[3:4]
.LBB120_249:
	s_or_b64 exec, exec, s[4:5]
	s_waitcnt lgkmcnt(0)
	; wave barrier
	buffer_load_dword v5, off, s[0:3], 0 offset:436
	buffer_load_dword v6, off, s[0:3], 0 offset:444
	;; [unrolled: 1-line block ×8, first 2 shown]
	v_mov_b32_e32 v116, 0
	ds_read_b128 v[117:120], v116 offset:896
	ds_read_b64 v[3:4], v116 offset:912
	v_cmp_lt_u32_e32 vcc, 52, v0
	s_waitcnt vmcnt(7) lgkmcnt(1)
	v_mul_f32_e32 v13, v117, v5
	v_mul_f32_e32 v5, v118, v5
	s_waitcnt vmcnt(5) lgkmcnt(0)
	v_mul_f32_e32 v121, v3, v7
	v_mul_f32_e32 v14, v119, v6
	;; [unrolled: 1-line block ×4, first 2 shown]
	s_waitcnt vmcnt(2)
	v_fmac_f32_e32 v121, v4, v10
	v_fma_f32 v4, v117, v8, -v5
	v_fmac_f32_e32 v13, v118, v8
	v_fma_f32 v5, v119, v9, -v6
	v_add_f32_e32 v4, 0, v4
	v_fmac_f32_e32 v14, v120, v9
	v_fma_f32 v3, v3, v10, -v7
	v_add_f32_e32 v6, 0, v13
	v_add_f32_e32 v4, v4, v5
	;; [unrolled: 1-line block ×5, first 2 shown]
	s_waitcnt vmcnt(1)
	v_sub_f32_e32 v3, v11, v3
	s_waitcnt vmcnt(0)
	v_sub_f32_e32 v4, v12, v5
	buffer_store_dword v3, off, s[0:3], 0 offset:424
	buffer_store_dword v4, off, s[0:3], 0 offset:428
	s_and_saveexec_b64 s[4:5], vcc
	s_cbranch_execz .LBB120_251
; %bb.250:
	buffer_load_dword v3, off, s[0:3], 0 offset:416
	buffer_load_dword v4, off, s[0:3], 0 offset:420
	s_waitcnt vmcnt(0)
	ds_write_b64 v115, v[3:4]
	buffer_store_dword v116, off, s[0:3], 0 offset:416
	buffer_store_dword v116, off, s[0:3], 0 offset:420
.LBB120_251:
	s_or_b64 exec, exec, s[4:5]
	s_waitcnt lgkmcnt(0)
	; wave barrier
	buffer_load_dword v3, off, s[0:3], 0 offset:428
	buffer_load_dword v4, off, s[0:3], 0 offset:436
	;; [unrolled: 1-line block ×10, first 2 shown]
	ds_read2_b64 v[117:120], v116 offset0:111 offset1:112
	ds_read2_b64 v[121:124], v116 offset0:113 offset1:114
	v_cmp_lt_u32_e32 vcc, 51, v0
	s_waitcnt vmcnt(9) lgkmcnt(1)
	v_mul_f32_e32 v13, v117, v3
	v_mul_f32_e32 v3, v118, v3
	s_waitcnt vmcnt(8)
	v_mul_f32_e32 v14, v119, v4
	v_mul_f32_e32 v4, v120, v4
	s_waitcnt vmcnt(5)
	v_fma_f32 v3, v117, v7, -v3
	s_waitcnt lgkmcnt(0)
	v_mul_f32_e32 v116, v121, v5
	v_mul_f32_e32 v5, v122, v5
	v_fmac_f32_e32 v13, v118, v7
	s_waitcnt vmcnt(4)
	v_fma_f32 v4, v119, v8, -v4
	v_add_f32_e32 v3, 0, v3
	v_mul_f32_e32 v125, v123, v6
	v_mul_f32_e32 v6, v124, v6
	v_fmac_f32_e32 v14, v120, v8
	s_waitcnt vmcnt(3)
	v_fma_f32 v5, v121, v9, -v5
	v_add_f32_e32 v7, 0, v13
	v_add_f32_e32 v3, v3, v4
	v_fmac_f32_e32 v116, v122, v9
	s_waitcnt vmcnt(2)
	v_fma_f32 v6, v123, v10, -v6
	v_add_f32_e32 v7, v7, v14
	v_add_f32_e32 v3, v3, v5
	v_fmac_f32_e32 v125, v124, v10
	v_add_f32_e32 v4, v7, v116
	v_add_f32_e32 v3, v3, v6
	v_add_f32_e32 v4, v4, v125
	s_waitcnt vmcnt(1)
	v_sub_f32_e32 v3, v11, v3
	s_waitcnt vmcnt(0)
	v_sub_f32_e32 v4, v12, v4
	buffer_store_dword v3, off, s[0:3], 0 offset:416
	buffer_store_dword v4, off, s[0:3], 0 offset:420
	s_and_saveexec_b64 s[4:5], vcc
	s_cbranch_execz .LBB120_253
; %bb.252:
	buffer_load_dword v3, off, s[0:3], 0 offset:408
	buffer_load_dword v4, off, s[0:3], 0 offset:412
	v_mov_b32_e32 v5, 0
	buffer_store_dword v5, off, s[0:3], 0 offset:408
	buffer_store_dword v5, off, s[0:3], 0 offset:412
	s_waitcnt vmcnt(2)
	ds_write_b64 v115, v[3:4]
.LBB120_253:
	s_or_b64 exec, exec, s[4:5]
	s_waitcnt lgkmcnt(0)
	; wave barrier
	buffer_load_dword v5, off, s[0:3], 0 offset:420
	buffer_load_dword v6, off, s[0:3], 0 offset:428
	;; [unrolled: 1-line block ×12, first 2 shown]
	v_mov_b32_e32 v116, 0
	ds_read_b128 v[117:120], v116 offset:880
	ds_read_b128 v[121:124], v116 offset:896
	ds_read_b64 v[3:4], v116 offset:912
	v_cmp_lt_u32_e32 vcc, 50, v0
	s_waitcnt vmcnt(11) lgkmcnt(2)
	v_mul_f32_e32 v127, v117, v5
	v_mul_f32_e32 v5, v118, v5
	s_waitcnt vmcnt(10)
	v_mul_f32_e32 v128, v119, v6
	v_mul_f32_e32 v6, v120, v6
	s_waitcnt vmcnt(7) lgkmcnt(0)
	v_mul_f32_e32 v131, v3, v9
	v_mul_f32_e32 v9, v4, v9
	v_mul_f32_e32 v129, v121, v7
	v_mul_f32_e32 v130, v123, v8
	v_mul_f32_e32 v7, v122, v7
	s_waitcnt vmcnt(2)
	v_fmac_f32_e32 v131, v4, v14
	v_fma_f32 v4, v117, v10, -v5
	v_mul_f32_e32 v8, v124, v8
	v_fmac_f32_e32 v127, v118, v10
	v_fma_f32 v5, v119, v11, -v6
	v_add_f32_e32 v4, 0, v4
	v_fmac_f32_e32 v128, v120, v11
	v_fma_f32 v6, v121, v12, -v7
	v_fma_f32 v7, v123, v13, -v8
	v_add_f32_e32 v8, 0, v127
	v_add_f32_e32 v4, v4, v5
	v_fmac_f32_e32 v129, v122, v12
	v_add_f32_e32 v8, v8, v128
	v_add_f32_e32 v4, v4, v6
	v_fmac_f32_e32 v130, v124, v13
	v_fma_f32 v3, v3, v14, -v9
	v_add_f32_e32 v5, v8, v129
	v_add_f32_e32 v4, v4, v7
	;; [unrolled: 1-line block ×5, first 2 shown]
	s_waitcnt vmcnt(1)
	v_sub_f32_e32 v3, v125, v3
	s_waitcnt vmcnt(0)
	v_sub_f32_e32 v4, v126, v5
	buffer_store_dword v3, off, s[0:3], 0 offset:408
	buffer_store_dword v4, off, s[0:3], 0 offset:412
	s_and_saveexec_b64 s[4:5], vcc
	s_cbranch_execz .LBB120_255
; %bb.254:
	buffer_load_dword v3, off, s[0:3], 0 offset:400
	buffer_load_dword v4, off, s[0:3], 0 offset:404
	s_waitcnt vmcnt(0)
	ds_write_b64 v115, v[3:4]
	buffer_store_dword v116, off, s[0:3], 0 offset:400
	buffer_store_dword v116, off, s[0:3], 0 offset:404
.LBB120_255:
	s_or_b64 exec, exec, s[4:5]
	s_waitcnt lgkmcnt(0)
	; wave barrier
	buffer_load_dword v3, off, s[0:3], 0 offset:412
	buffer_load_dword v4, off, s[0:3], 0 offset:420
	;; [unrolled: 1-line block ×14, first 2 shown]
	ds_read2_b64 v[117:120], v116 offset0:109 offset1:110
	ds_read2_b64 v[121:124], v116 offset0:111 offset1:112
	;; [unrolled: 1-line block ×3, first 2 shown]
	v_cmp_lt_u32_e32 vcc, 49, v0
	s_waitcnt vmcnt(13) lgkmcnt(2)
	v_mul_f32_e32 v116, v117, v3
	v_mul_f32_e32 v3, v118, v3
	s_waitcnt vmcnt(12)
	v_mul_f32_e32 v131, v119, v4
	v_mul_f32_e32 v4, v120, v4
	s_waitcnt vmcnt(11) lgkmcnt(1)
	v_mul_f32_e32 v132, v121, v5
	v_mul_f32_e32 v5, v122, v5
	s_waitcnt vmcnt(7)
	v_fma_f32 v3, v117, v9, -v3
	v_fmac_f32_e32 v116, v118, v9
	s_waitcnt vmcnt(6)
	v_fma_f32 v4, v119, v10, -v4
	v_add_f32_e32 v3, 0, v3
	v_mul_f32_e32 v133, v123, v6
	v_mul_f32_e32 v6, v124, v6
	v_fmac_f32_e32 v131, v120, v10
	s_waitcnt vmcnt(5)
	v_fma_f32 v5, v121, v11, -v5
	v_add_f32_e32 v9, 0, v116
	v_add_f32_e32 v3, v3, v4
	s_waitcnt lgkmcnt(0)
	v_mul_f32_e32 v134, v125, v7
	v_mul_f32_e32 v7, v126, v7
	v_fmac_f32_e32 v132, v122, v11
	s_waitcnt vmcnt(4)
	v_fma_f32 v6, v123, v12, -v6
	v_add_f32_e32 v9, v9, v131
	v_add_f32_e32 v3, v3, v5
	v_mul_f32_e32 v135, v127, v8
	v_mul_f32_e32 v8, v128, v8
	v_fmac_f32_e32 v133, v124, v12
	s_waitcnt vmcnt(3)
	v_fma_f32 v7, v125, v13, -v7
	v_add_f32_e32 v4, v9, v132
	v_add_f32_e32 v3, v3, v6
	v_fmac_f32_e32 v134, v126, v13
	s_waitcnt vmcnt(2)
	v_fma_f32 v8, v127, v14, -v8
	v_add_f32_e32 v4, v4, v133
	v_add_f32_e32 v3, v3, v7
	v_fmac_f32_e32 v135, v128, v14
	v_add_f32_e32 v4, v4, v134
	v_add_f32_e32 v3, v3, v8
	;; [unrolled: 1-line block ×3, first 2 shown]
	s_waitcnt vmcnt(1)
	v_sub_f32_e32 v3, v129, v3
	s_waitcnt vmcnt(0)
	v_sub_f32_e32 v4, v130, v4
	buffer_store_dword v3, off, s[0:3], 0 offset:400
	buffer_store_dword v4, off, s[0:3], 0 offset:404
	s_and_saveexec_b64 s[4:5], vcc
	s_cbranch_execz .LBB120_257
; %bb.256:
	buffer_load_dword v3, off, s[0:3], 0 offset:392
	buffer_load_dword v4, off, s[0:3], 0 offset:396
	v_mov_b32_e32 v5, 0
	buffer_store_dword v5, off, s[0:3], 0 offset:392
	buffer_store_dword v5, off, s[0:3], 0 offset:396
	s_waitcnt vmcnt(2)
	ds_write_b64 v115, v[3:4]
.LBB120_257:
	s_or_b64 exec, exec, s[4:5]
	s_waitcnt lgkmcnt(0)
	; wave barrier
	buffer_load_dword v5, off, s[0:3], 0 offset:404
	buffer_load_dword v6, off, s[0:3], 0 offset:412
	buffer_load_dword v7, off, s[0:3], 0 offset:420
	buffer_load_dword v8, off, s[0:3], 0 offset:428
	buffer_load_dword v9, off, s[0:3], 0 offset:436
	buffer_load_dword v10, off, s[0:3], 0 offset:444
	buffer_load_dword v11, off, s[0:3], 0 offset:452
	buffer_load_dword v12, off, s[0:3], 0 offset:400
	buffer_load_dword v13, off, s[0:3], 0 offset:408
	buffer_load_dword v14, off, s[0:3], 0 offset:416
	buffer_load_dword v129, off, s[0:3], 0 offset:424
	buffer_load_dword v130, off, s[0:3], 0 offset:432
	buffer_load_dword v131, off, s[0:3], 0 offset:440
	buffer_load_dword v132, off, s[0:3], 0 offset:448
	buffer_load_dword v133, off, s[0:3], 0 offset:392
	buffer_load_dword v134, off, s[0:3], 0 offset:396
	v_mov_b32_e32 v116, 0
	ds_read_b128 v[117:120], v116 offset:864
	ds_read_b128 v[121:124], v116 offset:880
	ds_read_b128 v[125:128], v116 offset:896
	ds_read_b64 v[3:4], v116 offset:912
	v_cmp_lt_u32_e32 vcc, 48, v0
	s_waitcnt vmcnt(15) lgkmcnt(3)
	v_mul_f32_e32 v135, v117, v5
	v_mul_f32_e32 v5, v118, v5
	s_waitcnt vmcnt(14)
	v_mul_f32_e32 v136, v119, v6
	v_mul_f32_e32 v6, v120, v6
	s_waitcnt vmcnt(13) lgkmcnt(2)
	v_mul_f32_e32 v137, v121, v7
	s_waitcnt vmcnt(12)
	v_mul_f32_e32 v138, v123, v8
	s_waitcnt vmcnt(9) lgkmcnt(0)
	v_mul_f32_e32 v141, v3, v11
	v_mul_f32_e32 v11, v4, v11
	;; [unrolled: 1-line block ×7, first 2 shown]
	s_waitcnt vmcnt(2)
	v_fmac_f32_e32 v141, v4, v132
	v_fma_f32 v4, v117, v12, -v5
	v_mul_f32_e32 v10, v128, v10
	v_fmac_f32_e32 v135, v118, v12
	v_fma_f32 v5, v119, v13, -v6
	v_add_f32_e32 v4, 0, v4
	v_fmac_f32_e32 v136, v120, v13
	v_fma_f32 v6, v121, v14, -v7
	v_fma_f32 v7, v123, v129, -v8
	;; [unrolled: 1-line block ×4, first 2 shown]
	v_add_f32_e32 v10, 0, v135
	v_add_f32_e32 v4, v4, v5
	v_fmac_f32_e32 v137, v122, v14
	v_add_f32_e32 v10, v10, v136
	v_add_f32_e32 v4, v4, v6
	v_fmac_f32_e32 v138, v124, v129
	;; [unrolled: 3-line block ×4, first 2 shown]
	v_fma_f32 v3, v3, v132, -v11
	v_add_f32_e32 v5, v5, v139
	v_add_f32_e32 v4, v4, v9
	;; [unrolled: 1-line block ×5, first 2 shown]
	s_waitcnt vmcnt(1)
	v_sub_f32_e32 v3, v133, v3
	s_waitcnt vmcnt(0)
	v_sub_f32_e32 v4, v134, v5
	buffer_store_dword v3, off, s[0:3], 0 offset:392
	buffer_store_dword v4, off, s[0:3], 0 offset:396
	s_and_saveexec_b64 s[4:5], vcc
	s_cbranch_execz .LBB120_259
; %bb.258:
	buffer_load_dword v3, off, s[0:3], 0 offset:384
	buffer_load_dword v4, off, s[0:3], 0 offset:388
	s_waitcnt vmcnt(0)
	ds_write_b64 v115, v[3:4]
	buffer_store_dword v116, off, s[0:3], 0 offset:384
	buffer_store_dword v116, off, s[0:3], 0 offset:388
.LBB120_259:
	s_or_b64 exec, exec, s[4:5]
	s_waitcnt lgkmcnt(0)
	; wave barrier
	buffer_load_dword v3, off, s[0:3], 0 offset:396
	buffer_load_dword v4, off, s[0:3], 0 offset:404
	;; [unrolled: 1-line block ×18, first 2 shown]
	ds_read2_b64 v[117:120], v116 offset0:107 offset1:108
	ds_read2_b64 v[121:124], v116 offset0:109 offset1:110
	;; [unrolled: 1-line block ×4, first 2 shown]
	v_cmp_lt_u32_e32 vcc, 47, v0
	s_waitcnt vmcnt(17) lgkmcnt(3)
	v_mul_f32_e32 v116, v117, v3
	v_mul_f32_e32 v3, v118, v3
	s_waitcnt vmcnt(16)
	v_mul_f32_e32 v139, v119, v4
	v_mul_f32_e32 v4, v120, v4
	s_waitcnt vmcnt(15) lgkmcnt(2)
	v_mul_f32_e32 v140, v121, v5
	v_mul_f32_e32 v5, v122, v5
	s_waitcnt vmcnt(14)
	v_mul_f32_e32 v141, v123, v6
	v_mul_f32_e32 v6, v124, v6
	s_waitcnt vmcnt(9)
	v_fma_f32 v3, v117, v11, -v3
	v_fmac_f32_e32 v116, v118, v11
	s_waitcnt vmcnt(8)
	v_fma_f32 v4, v119, v12, -v4
	v_add_f32_e32 v3, 0, v3
	v_fmac_f32_e32 v139, v120, v12
	s_waitcnt vmcnt(7)
	v_fma_f32 v5, v121, v13, -v5
	v_add_f32_e32 v11, 0, v116
	v_add_f32_e32 v3, v3, v4
	s_waitcnt lgkmcnt(1)
	v_mul_f32_e32 v142, v125, v7
	v_mul_f32_e32 v7, v126, v7
	v_fmac_f32_e32 v140, v122, v13
	s_waitcnt vmcnt(6)
	v_fma_f32 v6, v123, v14, -v6
	v_add_f32_e32 v11, v11, v139
	v_add_f32_e32 v3, v3, v5
	v_mul_f32_e32 v143, v127, v8
	v_mul_f32_e32 v8, v128, v8
	v_fmac_f32_e32 v141, v124, v14
	s_waitcnt vmcnt(5)
	v_fma_f32 v7, v125, v133, -v7
	v_add_f32_e32 v4, v11, v140
	v_add_f32_e32 v3, v3, v6
	s_waitcnt lgkmcnt(0)
	v_mul_f32_e32 v144, v129, v9
	v_mul_f32_e32 v9, v130, v9
	v_fmac_f32_e32 v142, v126, v133
	s_waitcnt vmcnt(4)
	v_fma_f32 v8, v127, v134, -v8
	v_add_f32_e32 v4, v4, v141
	v_add_f32_e32 v3, v3, v7
	v_mul_f32_e32 v145, v131, v10
	v_mul_f32_e32 v10, v132, v10
	v_fmac_f32_e32 v143, v128, v134
	s_waitcnt vmcnt(3)
	v_fma_f32 v9, v129, v135, -v9
	v_add_f32_e32 v4, v4, v142
	v_add_f32_e32 v3, v3, v8
	v_fmac_f32_e32 v144, v130, v135
	s_waitcnt vmcnt(2)
	v_fma_f32 v10, v131, v136, -v10
	v_add_f32_e32 v4, v4, v143
	v_add_f32_e32 v3, v3, v9
	v_fmac_f32_e32 v145, v132, v136
	v_add_f32_e32 v4, v4, v144
	v_add_f32_e32 v3, v3, v10
	;; [unrolled: 1-line block ×3, first 2 shown]
	s_waitcnt vmcnt(1)
	v_sub_f32_e32 v3, v137, v3
	s_waitcnt vmcnt(0)
	v_sub_f32_e32 v4, v138, v4
	buffer_store_dword v3, off, s[0:3], 0 offset:384
	buffer_store_dword v4, off, s[0:3], 0 offset:388
	s_and_saveexec_b64 s[4:5], vcc
	s_cbranch_execz .LBB120_261
; %bb.260:
	buffer_load_dword v3, off, s[0:3], 0 offset:376
	buffer_load_dword v4, off, s[0:3], 0 offset:380
	v_mov_b32_e32 v5, 0
	buffer_store_dword v5, off, s[0:3], 0 offset:376
	buffer_store_dword v5, off, s[0:3], 0 offset:380
	s_waitcnt vmcnt(2)
	ds_write_b64 v115, v[3:4]
.LBB120_261:
	s_or_b64 exec, exec, s[4:5]
	s_waitcnt lgkmcnt(0)
	; wave barrier
	buffer_load_dword v5, off, s[0:3], 0 offset:388
	buffer_load_dword v6, off, s[0:3], 0 offset:396
	;; [unrolled: 1-line block ×20, first 2 shown]
	v_mov_b32_e32 v116, 0
	ds_read_b128 v[117:120], v116 offset:848
	ds_read_b128 v[121:124], v116 offset:864
	;; [unrolled: 1-line block ×4, first 2 shown]
	ds_read_b64 v[3:4], v116 offset:912
	v_cmp_lt_u32_e32 vcc, 46, v0
	s_waitcnt vmcnt(19) lgkmcnt(4)
	v_mul_f32_e32 v143, v117, v5
	v_mul_f32_e32 v5, v118, v5
	s_waitcnt vmcnt(18)
	v_mul_f32_e32 v144, v119, v6
	v_mul_f32_e32 v6, v120, v6
	s_waitcnt vmcnt(17) lgkmcnt(3)
	v_mul_f32_e32 v145, v121, v7
	s_waitcnt vmcnt(16)
	v_mul_f32_e32 v146, v123, v8
	s_waitcnt vmcnt(15) lgkmcnt(2)
	v_mul_f32_e32 v147, v125, v9
	s_waitcnt vmcnt(14)
	v_mul_f32_e32 v148, v127, v10
	s_waitcnt vmcnt(11) lgkmcnt(0)
	v_mul_f32_e32 v151, v3, v13
	v_mul_f32_e32 v13, v4, v13
	;; [unrolled: 1-line block ×9, first 2 shown]
	s_waitcnt vmcnt(2)
	v_fmac_f32_e32 v151, v4, v140
	v_fma_f32 v4, v117, v14, -v5
	v_mul_f32_e32 v12, v132, v12
	v_fmac_f32_e32 v143, v118, v14
	v_fma_f32 v5, v119, v133, -v6
	v_add_f32_e32 v4, 0, v4
	v_fmac_f32_e32 v144, v120, v133
	v_fma_f32 v6, v121, v134, -v7
	v_fma_f32 v7, v123, v135, -v8
	;; [unrolled: 1-line block ×6, first 2 shown]
	v_add_f32_e32 v12, 0, v143
	v_add_f32_e32 v4, v4, v5
	v_fmac_f32_e32 v145, v122, v134
	v_add_f32_e32 v12, v12, v144
	v_add_f32_e32 v4, v4, v6
	v_fmac_f32_e32 v146, v124, v135
	;; [unrolled: 3-line block ×6, first 2 shown]
	v_fma_f32 v3, v3, v140, -v13
	v_add_f32_e32 v5, v5, v149
	v_add_f32_e32 v4, v4, v11
	;; [unrolled: 1-line block ×5, first 2 shown]
	s_waitcnt vmcnt(1)
	v_sub_f32_e32 v3, v141, v3
	s_waitcnt vmcnt(0)
	v_sub_f32_e32 v4, v142, v5
	buffer_store_dword v3, off, s[0:3], 0 offset:376
	buffer_store_dword v4, off, s[0:3], 0 offset:380
	s_and_saveexec_b64 s[4:5], vcc
	s_cbranch_execz .LBB120_263
; %bb.262:
	buffer_load_dword v3, off, s[0:3], 0 offset:368
	buffer_load_dword v4, off, s[0:3], 0 offset:372
	s_waitcnt vmcnt(0)
	ds_write_b64 v115, v[3:4]
	buffer_store_dword v116, off, s[0:3], 0 offset:368
	buffer_store_dword v116, off, s[0:3], 0 offset:372
.LBB120_263:
	s_or_b64 exec, exec, s[4:5]
	s_waitcnt lgkmcnt(0)
	; wave barrier
	buffer_load_dword v3, off, s[0:3], 0 offset:380
	buffer_load_dword v4, off, s[0:3], 0 offset:388
	;; [unrolled: 1-line block ×22, first 2 shown]
	ds_read2_b64 v[117:120], v116 offset0:105 offset1:106
	ds_read2_b64 v[121:124], v116 offset0:107 offset1:108
	;; [unrolled: 1-line block ×5, first 2 shown]
	v_cmp_lt_u32_e32 vcc, 45, v0
	s_waitcnt vmcnt(21) lgkmcnt(4)
	v_mul_f32_e32 v116, v117, v3
	v_mul_f32_e32 v3, v118, v3
	s_waitcnt vmcnt(20)
	v_mul_f32_e32 v147, v119, v4
	v_mul_f32_e32 v4, v120, v4
	s_waitcnt vmcnt(19) lgkmcnt(3)
	v_mul_f32_e32 v148, v121, v5
	v_mul_f32_e32 v5, v122, v5
	s_waitcnt vmcnt(18)
	v_mul_f32_e32 v149, v123, v6
	v_mul_f32_e32 v6, v124, v6
	s_waitcnt vmcnt(17) lgkmcnt(2)
	v_mul_f32_e32 v150, v125, v7
	v_mul_f32_e32 v7, v126, v7
	s_waitcnt vmcnt(11)
	v_fma_f32 v3, v117, v13, -v3
	v_fmac_f32_e32 v116, v118, v13
	s_waitcnt vmcnt(10)
	v_fma_f32 v4, v119, v14, -v4
	v_add_f32_e32 v3, 0, v3
	v_fmac_f32_e32 v147, v120, v14
	s_waitcnt vmcnt(9)
	v_fma_f32 v5, v121, v137, -v5
	v_add_f32_e32 v13, 0, v116
	v_add_f32_e32 v3, v3, v4
	v_fmac_f32_e32 v148, v122, v137
	s_waitcnt vmcnt(8)
	v_fma_f32 v6, v123, v138, -v6
	v_add_f32_e32 v13, v13, v147
	v_add_f32_e32 v3, v3, v5
	v_mul_f32_e32 v151, v127, v8
	v_mul_f32_e32 v8, v128, v8
	v_fmac_f32_e32 v149, v124, v138
	s_waitcnt vmcnt(7)
	v_fma_f32 v7, v125, v139, -v7
	v_add_f32_e32 v4, v13, v148
	v_add_f32_e32 v3, v3, v6
	s_waitcnt lgkmcnt(1)
	v_mul_f32_e32 v152, v129, v9
	v_mul_f32_e32 v9, v130, v9
	v_fmac_f32_e32 v150, v126, v139
	s_waitcnt vmcnt(6)
	v_fma_f32 v8, v127, v140, -v8
	v_add_f32_e32 v4, v4, v149
	v_add_f32_e32 v3, v3, v7
	v_mul_f32_e32 v153, v131, v10
	v_mul_f32_e32 v10, v132, v10
	v_fmac_f32_e32 v151, v128, v140
	s_waitcnt vmcnt(5)
	v_fma_f32 v9, v129, v141, -v9
	v_add_f32_e32 v4, v4, v150
	v_add_f32_e32 v3, v3, v8
	s_waitcnt lgkmcnt(0)
	v_mul_f32_e32 v154, v133, v11
	v_mul_f32_e32 v11, v134, v11
	v_fmac_f32_e32 v152, v130, v141
	s_waitcnt vmcnt(4)
	v_fma_f32 v10, v131, v142, -v10
	v_add_f32_e32 v4, v4, v151
	v_add_f32_e32 v3, v3, v9
	v_mul_f32_e32 v155, v135, v12
	v_mul_f32_e32 v12, v136, v12
	v_fmac_f32_e32 v153, v132, v142
	s_waitcnt vmcnt(3)
	v_fma_f32 v11, v133, v143, -v11
	v_add_f32_e32 v4, v4, v152
	v_add_f32_e32 v3, v3, v10
	v_fmac_f32_e32 v154, v134, v143
	s_waitcnt vmcnt(2)
	v_fma_f32 v12, v135, v144, -v12
	v_add_f32_e32 v4, v4, v153
	v_add_f32_e32 v3, v3, v11
	v_fmac_f32_e32 v155, v136, v144
	v_add_f32_e32 v4, v4, v154
	v_add_f32_e32 v3, v3, v12
	;; [unrolled: 1-line block ×3, first 2 shown]
	s_waitcnt vmcnt(1)
	v_sub_f32_e32 v3, v145, v3
	s_waitcnt vmcnt(0)
	v_sub_f32_e32 v4, v146, v4
	buffer_store_dword v3, off, s[0:3], 0 offset:368
	buffer_store_dword v4, off, s[0:3], 0 offset:372
	s_and_saveexec_b64 s[4:5], vcc
	s_cbranch_execz .LBB120_265
; %bb.264:
	buffer_load_dword v3, off, s[0:3], 0 offset:360
	buffer_load_dword v4, off, s[0:3], 0 offset:364
	v_mov_b32_e32 v5, 0
	buffer_store_dword v5, off, s[0:3], 0 offset:360
	buffer_store_dword v5, off, s[0:3], 0 offset:364
	s_waitcnt vmcnt(2)
	ds_write_b64 v115, v[3:4]
.LBB120_265:
	s_or_b64 exec, exec, s[4:5]
	s_waitcnt lgkmcnt(0)
	; wave barrier
	buffer_load_dword v5, off, s[0:3], 0 offset:372
	buffer_load_dword v6, off, s[0:3], 0 offset:380
	;; [unrolled: 1-line block ×24, first 2 shown]
	v_mov_b32_e32 v116, 0
	ds_read_b128 v[117:120], v116 offset:832
	ds_read_b128 v[121:124], v116 offset:848
	;; [unrolled: 1-line block ×5, first 2 shown]
	ds_read_b64 v[3:4], v116 offset:912
	v_cmp_lt_u32_e32 vcc, 44, v0
	s_waitcnt vmcnt(23) lgkmcnt(5)
	v_mul_f32_e32 v151, v117, v5
	v_mul_f32_e32 v5, v118, v5
	s_waitcnt vmcnt(22)
	v_mul_f32_e32 v152, v119, v6
	v_mul_f32_e32 v6, v120, v6
	s_waitcnt vmcnt(21) lgkmcnt(4)
	v_mul_f32_e32 v153, v121, v7
	v_mul_f32_e32 v7, v122, v7
	s_waitcnt vmcnt(20)
	v_mul_f32_e32 v154, v123, v8
	v_mul_f32_e32 v8, v124, v8
	s_waitcnt vmcnt(19) lgkmcnt(3)
	v_mul_f32_e32 v155, v125, v9
	v_mul_f32_e32 v9, v126, v9
	s_waitcnt vmcnt(18)
	v_mul_f32_e32 v156, v127, v10
	s_waitcnt vmcnt(12)
	v_fma_f32 v5, v117, v138, -v5
	v_fmac_f32_e32 v151, v118, v138
	s_waitcnt vmcnt(11)
	v_fma_f32 v6, v119, v139, -v6
	v_add_f32_e32 v5, 0, v5
	v_fmac_f32_e32 v152, v120, v139
	s_waitcnt vmcnt(10)
	v_fma_f32 v7, v121, v140, -v7
	v_add_f32_e32 v117, 0, v151
	v_add_f32_e32 v5, v5, v6
	v_fmac_f32_e32 v153, v122, v140
	s_waitcnt vmcnt(9)
	v_fma_f32 v8, v123, v141, -v8
	v_add_f32_e32 v117, v117, v152
	v_add_f32_e32 v5, v5, v7
	v_mul_f32_e32 v10, v128, v10
	v_fmac_f32_e32 v154, v124, v141
	s_waitcnt vmcnt(8)
	v_fma_f32 v9, v125, v142, -v9
	v_add_f32_e32 v6, v117, v153
	v_add_f32_e32 v5, v5, v8
	s_waitcnt lgkmcnt(2)
	v_mul_f32_e32 v157, v129, v11
	v_mul_f32_e32 v11, v130, v11
	v_fmac_f32_e32 v155, v126, v142
	s_waitcnt vmcnt(7)
	v_fma_f32 v10, v127, v143, -v10
	v_add_f32_e32 v6, v6, v154
	v_add_f32_e32 v5, v5, v9
	v_mul_f32_e32 v158, v131, v12
	v_mul_f32_e32 v12, v132, v12
	v_fmac_f32_e32 v156, v128, v143
	s_waitcnt vmcnt(6)
	v_fma_f32 v11, v129, v144, -v11
	v_add_f32_e32 v6, v6, v155
	v_add_f32_e32 v5, v5, v10
	s_waitcnt lgkmcnt(1)
	v_mul_f32_e32 v159, v133, v13
	v_mul_f32_e32 v13, v134, v13
	v_fmac_f32_e32 v157, v130, v144
	s_waitcnt vmcnt(5)
	v_fma_f32 v12, v131, v145, -v12
	v_add_f32_e32 v6, v6, v156
	v_add_f32_e32 v5, v5, v11
	s_waitcnt lgkmcnt(0)
	v_mul_f32_e32 v161, v3, v137
	v_fmac_f32_e32 v158, v132, v145
	s_waitcnt vmcnt(4)
	v_fma_f32 v13, v133, v146, -v13
	v_add_f32_e32 v6, v6, v157
	v_add_f32_e32 v5, v5, v12
	v_mul_f32_e32 v7, v136, v14
	v_mul_f32_e32 v160, v135, v14
	v_fmac_f32_e32 v159, v134, v146
	s_waitcnt vmcnt(2)
	v_fmac_f32_e32 v161, v4, v148
	v_add_f32_e32 v6, v6, v158
	v_add_f32_e32 v5, v5, v13
	v_fma_f32 v7, v135, v147, -v7
	v_mul_f32_e32 v4, v4, v137
	v_fmac_f32_e32 v160, v136, v147
	v_add_f32_e32 v6, v6, v159
	v_add_f32_e32 v5, v5, v7
	v_fma_f32 v3, v3, v148, -v4
	v_add_f32_e32 v6, v6, v160
	v_add_f32_e32 v3, v5, v3
	;; [unrolled: 1-line block ×3, first 2 shown]
	s_waitcnt vmcnt(1)
	v_sub_f32_e32 v3, v149, v3
	s_waitcnt vmcnt(0)
	v_sub_f32_e32 v4, v150, v6
	buffer_store_dword v3, off, s[0:3], 0 offset:360
	buffer_store_dword v4, off, s[0:3], 0 offset:364
	s_and_saveexec_b64 s[4:5], vcc
	s_cbranch_execz .LBB120_267
; %bb.266:
	buffer_load_dword v3, off, s[0:3], 0 offset:352
	buffer_load_dword v4, off, s[0:3], 0 offset:356
	s_waitcnt vmcnt(0)
	ds_write_b64 v115, v[3:4]
	buffer_store_dword v116, off, s[0:3], 0 offset:352
	buffer_store_dword v116, off, s[0:3], 0 offset:356
.LBB120_267:
	s_or_b64 exec, exec, s[4:5]
	s_waitcnt lgkmcnt(0)
	; wave barrier
	buffer_load_dword v3, off, s[0:3], 0 offset:364
	buffer_load_dword v4, off, s[0:3], 0 offset:372
	;; [unrolled: 1-line block ×26, first 2 shown]
	ds_read2_b64 v[117:120], v116 offset0:103 offset1:104
	ds_read2_b64 v[121:124], v116 offset0:105 offset1:106
	ds_read2_b64 v[125:128], v116 offset0:107 offset1:108
	ds_read2_b64 v[129:132], v116 offset0:109 offset1:110
	ds_read2_b64 v[133:136], v116 offset0:111 offset1:112
	ds_read2_b64 v[137:140], v116 offset0:113 offset1:114
	v_cmp_lt_u32_e32 vcc, 43, v0
	s_waitcnt vmcnt(25) lgkmcnt(5)
	v_mul_f32_e32 v116, v117, v3
	v_mul_f32_e32 v3, v118, v3
	s_waitcnt vmcnt(24)
	v_mul_f32_e32 v155, v119, v4
	v_mul_f32_e32 v4, v120, v4
	s_waitcnt vmcnt(23) lgkmcnt(4)
	v_mul_f32_e32 v156, v121, v5
	v_mul_f32_e32 v5, v122, v5
	s_waitcnt vmcnt(22)
	v_mul_f32_e32 v157, v123, v6
	v_mul_f32_e32 v6, v124, v6
	s_waitcnt vmcnt(21) lgkmcnt(3)
	v_mul_f32_e32 v158, v125, v7
	v_mul_f32_e32 v7, v126, v7
	s_waitcnt vmcnt(20)
	v_mul_f32_e32 v159, v127, v8
	v_mul_f32_e32 v8, v128, v8
	s_waitcnt vmcnt(13)
	v_fma_f32 v3, v117, v141, -v3
	s_waitcnt vmcnt(12)
	v_fma_f32 v4, v119, v142, -v4
	v_add_f32_e32 v3, 0, v3
	s_waitcnt vmcnt(11)
	v_fma_f32 v5, v121, v143, -v5
	v_add_f32_e32 v3, v3, v4
	;; [unrolled: 3-line block ×3, first 2 shown]
	v_fmac_f32_e32 v116, v118, v141
	s_waitcnt vmcnt(9)
	v_fma_f32 v7, v125, v145, -v7
	v_add_f32_e32 v3, v3, v6
	s_waitcnt lgkmcnt(2)
	v_mul_f32_e32 v160, v129, v9
	v_mul_f32_e32 v9, v130, v9
	v_fmac_f32_e32 v155, v120, v142
	s_waitcnt vmcnt(8)
	v_fma_f32 v8, v127, v146, -v8
	v_add_f32_e32 v116, 0, v116
	v_add_f32_e32 v3, v3, v7
	v_mul_f32_e32 v161, v131, v10
	v_mul_f32_e32 v10, v132, v10
	v_fmac_f32_e32 v156, v122, v143
	s_waitcnt vmcnt(7)
	v_fma_f32 v9, v129, v147, -v9
	v_add_f32_e32 v116, v116, v155
	v_add_f32_e32 v3, v3, v8
	v_fmac_f32_e32 v157, v124, v144
	s_waitcnt vmcnt(6)
	v_fma_f32 v10, v131, v148, -v10
	v_add_f32_e32 v4, v116, v156
	v_add_f32_e32 v3, v3, v9
	s_waitcnt lgkmcnt(1)
	v_mul_f32_e32 v5, v134, v11
	v_fmac_f32_e32 v158, v126, v145
	v_add_f32_e32 v4, v4, v157
	v_add_f32_e32 v3, v3, v10
	s_waitcnt vmcnt(5)
	v_fma_f32 v5, v133, v149, -v5
	v_fmac_f32_e32 v159, v128, v146
	v_add_f32_e32 v4, v4, v158
	v_add_f32_e32 v3, v3, v5
	v_mul_f32_e32 v5, v136, v12
	v_fmac_f32_e32 v160, v130, v147
	v_add_f32_e32 v4, v4, v159
	s_waitcnt vmcnt(4)
	v_fma_f32 v5, v135, v150, -v5
	v_mul_f32_e32 v162, v133, v11
	v_fmac_f32_e32 v161, v132, v148
	v_add_f32_e32 v4, v4, v160
	v_add_f32_e32 v3, v3, v5
	s_waitcnt lgkmcnt(0)
	v_mul_f32_e32 v5, v138, v13
	v_mul_f32_e32 v163, v135, v12
	v_fmac_f32_e32 v162, v134, v149
	v_add_f32_e32 v4, v4, v161
	s_waitcnt vmcnt(3)
	v_fma_f32 v5, v137, v151, -v5
	v_mul_f32_e32 v164, v137, v13
	v_fmac_f32_e32 v163, v136, v150
	v_add_f32_e32 v4, v4, v162
	v_add_f32_e32 v3, v3, v5
	v_mul_f32_e32 v5, v140, v14
	v_mul_f32_e32 v165, v139, v14
	v_fmac_f32_e32 v164, v138, v151
	v_add_f32_e32 v4, v4, v163
	s_waitcnt vmcnt(2)
	v_fma_f32 v5, v139, v152, -v5
	v_fmac_f32_e32 v165, v140, v152
	v_add_f32_e32 v4, v4, v164
	v_add_f32_e32 v3, v3, v5
	;; [unrolled: 1-line block ×3, first 2 shown]
	s_waitcnt vmcnt(1)
	v_sub_f32_e32 v3, v153, v3
	s_waitcnt vmcnt(0)
	v_sub_f32_e32 v4, v154, v4
	buffer_store_dword v3, off, s[0:3], 0 offset:352
	buffer_store_dword v4, off, s[0:3], 0 offset:356
	s_and_saveexec_b64 s[4:5], vcc
	s_cbranch_execz .LBB120_269
; %bb.268:
	buffer_load_dword v3, off, s[0:3], 0 offset:344
	buffer_load_dword v4, off, s[0:3], 0 offset:348
	v_mov_b32_e32 v5, 0
	buffer_store_dword v5, off, s[0:3], 0 offset:344
	buffer_store_dword v5, off, s[0:3], 0 offset:348
	s_waitcnt vmcnt(2)
	ds_write_b64 v115, v[3:4]
.LBB120_269:
	s_or_b64 exec, exec, s[4:5]
	s_waitcnt lgkmcnt(0)
	; wave barrier
	buffer_load_dword v5, off, s[0:3], 0 offset:356
	buffer_load_dword v6, off, s[0:3], 0 offset:364
	;; [unrolled: 1-line block ×28, first 2 shown]
	v_mov_b32_e32 v116, 0
	ds_read_b128 v[117:120], v116 offset:816
	ds_read_b128 v[121:124], v116 offset:832
	ds_read_b128 v[125:128], v116 offset:848
	ds_read_b128 v[129:132], v116 offset:864
	ds_read_b128 v[133:136], v116 offset:880
	ds_read_b128 v[137:140], v116 offset:896
	ds_read_b64 v[3:4], v116 offset:912
	v_cmp_lt_u32_e32 vcc, 42, v0
	s_waitcnt vmcnt(27) lgkmcnt(6)
	v_mul_f32_e32 v159, v117, v5
	v_mul_f32_e32 v5, v118, v5
	s_waitcnt vmcnt(26)
	v_mul_f32_e32 v160, v119, v6
	v_mul_f32_e32 v6, v120, v6
	s_waitcnt vmcnt(25) lgkmcnt(5)
	v_mul_f32_e32 v161, v121, v7
	v_mul_f32_e32 v7, v122, v7
	s_waitcnt vmcnt(24)
	v_mul_f32_e32 v162, v123, v8
	v_mul_f32_e32 v8, v124, v8
	;; [unrolled: 6-line block ×3, first 2 shown]
	s_waitcnt vmcnt(21) lgkmcnt(3)
	v_mul_f32_e32 v165, v129, v11
	s_waitcnt vmcnt(14)
	v_fma_f32 v5, v117, v144, -v5
	s_waitcnt vmcnt(13)
	v_fma_f32 v6, v119, v145, -v6
	v_add_f32_e32 v5, 0, v5
	s_waitcnt vmcnt(12)
	v_fma_f32 v7, v121, v146, -v7
	v_add_f32_e32 v5, v5, v6
	;; [unrolled: 3-line block ×5, first 2 shown]
	v_mul_f32_e32 v7, v130, v11
	v_fmac_f32_e32 v159, v118, v144
	v_add_f32_e32 v5, v5, v10
	s_waitcnt vmcnt(8)
	v_fma_f32 v7, v129, v150, -v7
	v_fmac_f32_e32 v160, v120, v145
	v_add_f32_e32 v117, 0, v159
	v_add_f32_e32 v5, v5, v7
	v_mul_f32_e32 v7, v132, v12
	v_fmac_f32_e32 v161, v122, v146
	v_add_f32_e32 v117, v117, v160
	s_waitcnt vmcnt(7)
	v_fma_f32 v7, v131, v151, -v7
	v_fmac_f32_e32 v162, v124, v147
	v_add_f32_e32 v6, v117, v161
	v_add_f32_e32 v5, v5, v7
	s_waitcnt lgkmcnt(2)
	v_mul_f32_e32 v7, v134, v13
	v_fmac_f32_e32 v163, v126, v148
	v_add_f32_e32 v6, v6, v162
	s_waitcnt vmcnt(6)
	v_fma_f32 v7, v133, v152, -v7
	v_fmac_f32_e32 v164, v128, v149
	v_add_f32_e32 v6, v6, v163
	v_add_f32_e32 v5, v5, v7
	v_mul_f32_e32 v7, v136, v14
	v_mul_f32_e32 v166, v131, v12
	v_fmac_f32_e32 v165, v130, v150
	v_add_f32_e32 v6, v6, v164
	s_waitcnt vmcnt(5)
	v_fma_f32 v7, v135, v153, -v7
	v_mul_f32_e32 v167, v133, v13
	v_fmac_f32_e32 v166, v132, v151
	v_add_f32_e32 v6, v6, v165
	v_add_f32_e32 v5, v5, v7
	s_waitcnt lgkmcnt(1)
	v_mul_f32_e32 v7, v138, v141
	v_mul_f32_e32 v168, v135, v14
	v_fmac_f32_e32 v167, v134, v152
	v_add_f32_e32 v6, v6, v166
	s_waitcnt vmcnt(4)
	v_fma_f32 v7, v137, v154, -v7
	v_mul_f32_e32 v169, v137, v141
	s_waitcnt lgkmcnt(0)
	v_mul_f32_e32 v171, v3, v143
	v_fmac_f32_e32 v168, v136, v153
	v_add_f32_e32 v6, v6, v167
	v_add_f32_e32 v5, v5, v7
	v_mul_f32_e32 v7, v140, v142
	v_mul_f32_e32 v170, v139, v142
	v_fmac_f32_e32 v169, v138, v154
	s_waitcnt vmcnt(2)
	v_fmac_f32_e32 v171, v4, v156
	v_add_f32_e32 v6, v6, v168
	v_fma_f32 v7, v139, v155, -v7
	v_mul_f32_e32 v4, v4, v143
	v_fmac_f32_e32 v170, v140, v155
	v_add_f32_e32 v6, v6, v169
	v_add_f32_e32 v5, v5, v7
	v_fma_f32 v3, v3, v156, -v4
	v_add_f32_e32 v6, v6, v170
	v_add_f32_e32 v3, v5, v3
	;; [unrolled: 1-line block ×3, first 2 shown]
	s_waitcnt vmcnt(1)
	v_sub_f32_e32 v3, v157, v3
	s_waitcnt vmcnt(0)
	v_sub_f32_e32 v4, v158, v6
	buffer_store_dword v3, off, s[0:3], 0 offset:344
	buffer_store_dword v4, off, s[0:3], 0 offset:348
	s_and_saveexec_b64 s[4:5], vcc
	s_cbranch_execz .LBB120_271
; %bb.270:
	buffer_load_dword v3, off, s[0:3], 0 offset:336
	buffer_load_dword v4, off, s[0:3], 0 offset:340
	s_waitcnt vmcnt(0)
	ds_write_b64 v115, v[3:4]
	buffer_store_dword v116, off, s[0:3], 0 offset:336
	buffer_store_dword v116, off, s[0:3], 0 offset:340
.LBB120_271:
	s_or_b64 exec, exec, s[4:5]
	s_waitcnt lgkmcnt(0)
	; wave barrier
	buffer_load_dword v3, off, s[0:3], 0 offset:348
	buffer_load_dword v4, off, s[0:3], 0 offset:356
	buffer_load_dword v5, off, s[0:3], 0 offset:364
	buffer_load_dword v6, off, s[0:3], 0 offset:372
	buffer_load_dword v7, off, s[0:3], 0 offset:380
	buffer_load_dword v8, off, s[0:3], 0 offset:388
	buffer_load_dword v9, off, s[0:3], 0 offset:396
	buffer_load_dword v10, off, s[0:3], 0 offset:404
	buffer_load_dword v11, off, s[0:3], 0 offset:412
	buffer_load_dword v12, off, s[0:3], 0 offset:420
	buffer_load_dword v13, off, s[0:3], 0 offset:428
	buffer_load_dword v14, off, s[0:3], 0 offset:436
	buffer_load_dword v145, off, s[0:3], 0 offset:444
	buffer_load_dword v146, off, s[0:3], 0 offset:452
	buffer_load_dword v147, off, s[0:3], 0 offset:344
	buffer_load_dword v148, off, s[0:3], 0 offset:352
	buffer_load_dword v149, off, s[0:3], 0 offset:360
	buffer_load_dword v150, off, s[0:3], 0 offset:368
	buffer_load_dword v151, off, s[0:3], 0 offset:376
	buffer_load_dword v152, off, s[0:3], 0 offset:384
	buffer_load_dword v153, off, s[0:3], 0 offset:392
	buffer_load_dword v154, off, s[0:3], 0 offset:400
	buffer_load_dword v155, off, s[0:3], 0 offset:408
	buffer_load_dword v156, off, s[0:3], 0 offset:416
	buffer_load_dword v157, off, s[0:3], 0 offset:424
	buffer_load_dword v158, off, s[0:3], 0 offset:432
	buffer_load_dword v159, off, s[0:3], 0 offset:440
	buffer_load_dword v160, off, s[0:3], 0 offset:448
	buffer_load_dword v161, off, s[0:3], 0 offset:336
	buffer_load_dword v162, off, s[0:3], 0 offset:340
	ds_read2_b64 v[117:120], v116 offset0:101 offset1:102
	ds_read2_b64 v[121:124], v116 offset0:103 offset1:104
	ds_read2_b64 v[125:128], v116 offset0:105 offset1:106
	ds_read2_b64 v[129:132], v116 offset0:107 offset1:108
	ds_read2_b64 v[133:136], v116 offset0:109 offset1:110
	ds_read2_b64 v[137:140], v116 offset0:111 offset1:112
	ds_read2_b64 v[141:144], v116 offset0:113 offset1:114
	v_cmp_lt_u32_e32 vcc, 41, v0
	s_waitcnt vmcnt(29) lgkmcnt(6)
	v_mul_f32_e32 v116, v117, v3
	v_mul_f32_e32 v3, v118, v3
	s_waitcnt vmcnt(28)
	v_mul_f32_e32 v163, v119, v4
	v_mul_f32_e32 v4, v120, v4
	s_waitcnt vmcnt(27) lgkmcnt(5)
	v_mul_f32_e32 v164, v121, v5
	v_mul_f32_e32 v5, v122, v5
	s_waitcnt vmcnt(26)
	v_mul_f32_e32 v165, v123, v6
	v_mul_f32_e32 v6, v124, v6
	s_waitcnt vmcnt(25) lgkmcnt(4)
	v_mul_f32_e32 v166, v125, v7
	v_mul_f32_e32 v7, v126, v7
	s_waitcnt vmcnt(24)
	v_mul_f32_e32 v167, v127, v8
	s_waitcnt vmcnt(23) lgkmcnt(3)
	v_mul_f32_e32 v168, v129, v9
	s_waitcnt vmcnt(22)
	v_mul_f32_e32 v169, v131, v10
	s_waitcnt vmcnt(21) lgkmcnt(2)
	v_mul_f32_e32 v170, v133, v11
	s_waitcnt vmcnt(15)
	v_fma_f32 v3, v117, v147, -v3
	s_waitcnt vmcnt(14)
	v_fma_f32 v4, v119, v148, -v4
	v_add_f32_e32 v3, 0, v3
	s_waitcnt vmcnt(13)
	v_fma_f32 v5, v121, v149, -v5
	v_add_f32_e32 v3, v3, v4
	;; [unrolled: 3-line block ×4, first 2 shown]
	v_mul_f32_e32 v5, v128, v8
	v_add_f32_e32 v3, v3, v7
	s_waitcnt vmcnt(10)
	v_fma_f32 v5, v127, v152, -v5
	v_add_f32_e32 v3, v3, v5
	v_mul_f32_e32 v5, v130, v9
	s_waitcnt vmcnt(9)
	v_fma_f32 v5, v129, v153, -v5
	v_add_f32_e32 v3, v3, v5
	v_mul_f32_e32 v5, v132, v10
	v_fmac_f32_e32 v116, v118, v147
	s_waitcnt vmcnt(8)
	v_fma_f32 v5, v131, v154, -v5
	v_fmac_f32_e32 v163, v120, v148
	v_add_f32_e32 v116, 0, v116
	v_add_f32_e32 v3, v3, v5
	v_mul_f32_e32 v5, v134, v11
	v_fmac_f32_e32 v164, v122, v149
	v_add_f32_e32 v116, v116, v163
	s_waitcnt vmcnt(7)
	v_fma_f32 v5, v133, v155, -v5
	v_fmac_f32_e32 v165, v124, v150
	v_add_f32_e32 v4, v116, v164
	v_add_f32_e32 v3, v3, v5
	v_mul_f32_e32 v5, v136, v12
	v_fmac_f32_e32 v166, v126, v151
	v_add_f32_e32 v4, v4, v165
	s_waitcnt vmcnt(6)
	v_fma_f32 v5, v135, v156, -v5
	v_fmac_f32_e32 v167, v128, v152
	v_add_f32_e32 v4, v4, v166
	v_add_f32_e32 v3, v3, v5
	s_waitcnt lgkmcnt(1)
	v_mul_f32_e32 v5, v138, v13
	v_fmac_f32_e32 v168, v130, v153
	v_add_f32_e32 v4, v4, v167
	s_waitcnt vmcnt(5)
	v_fma_f32 v5, v137, v157, -v5
	v_fmac_f32_e32 v169, v132, v154
	v_add_f32_e32 v4, v4, v168
	v_add_f32_e32 v3, v3, v5
	v_mul_f32_e32 v5, v140, v14
	v_mul_f32_e32 v171, v135, v12
	v_fmac_f32_e32 v170, v134, v155
	v_add_f32_e32 v4, v4, v169
	s_waitcnt vmcnt(4)
	v_fma_f32 v5, v139, v158, -v5
	v_mul_f32_e32 v172, v137, v13
	v_fmac_f32_e32 v171, v136, v156
	v_add_f32_e32 v4, v4, v170
	v_add_f32_e32 v3, v3, v5
	s_waitcnt lgkmcnt(0)
	v_mul_f32_e32 v5, v142, v145
	v_mul_f32_e32 v173, v139, v14
	v_fmac_f32_e32 v172, v138, v157
	v_add_f32_e32 v4, v4, v171
	s_waitcnt vmcnt(3)
	v_fma_f32 v5, v141, v159, -v5
	v_mul_f32_e32 v174, v141, v145
	v_fmac_f32_e32 v173, v140, v158
	v_add_f32_e32 v4, v4, v172
	v_add_f32_e32 v3, v3, v5
	v_mul_f32_e32 v5, v144, v146
	v_mul_f32_e32 v175, v143, v146
	v_fmac_f32_e32 v174, v142, v159
	v_add_f32_e32 v4, v4, v173
	s_waitcnt vmcnt(2)
	v_fma_f32 v5, v143, v160, -v5
	v_fmac_f32_e32 v175, v144, v160
	v_add_f32_e32 v4, v4, v174
	v_add_f32_e32 v3, v3, v5
	;; [unrolled: 1-line block ×3, first 2 shown]
	s_waitcnt vmcnt(1)
	v_sub_f32_e32 v3, v161, v3
	s_waitcnt vmcnt(0)
	v_sub_f32_e32 v4, v162, v4
	buffer_store_dword v3, off, s[0:3], 0 offset:336
	buffer_store_dword v4, off, s[0:3], 0 offset:340
	s_and_saveexec_b64 s[4:5], vcc
	s_cbranch_execz .LBB120_273
; %bb.272:
	buffer_load_dword v3, off, s[0:3], 0 offset:328
	buffer_load_dword v4, off, s[0:3], 0 offset:332
	v_mov_b32_e32 v5, 0
	buffer_store_dword v5, off, s[0:3], 0 offset:328
	buffer_store_dword v5, off, s[0:3], 0 offset:332
	s_waitcnt vmcnt(2)
	ds_write_b64 v115, v[3:4]
.LBB120_273:
	s_or_b64 exec, exec, s[4:5]
	s_waitcnt lgkmcnt(0)
	; wave barrier
	buffer_load_dword v5, off, s[0:3], 0 offset:340
	buffer_load_dword v6, off, s[0:3], 0 offset:348
	;; [unrolled: 1-line block ×32, first 2 shown]
	v_mov_b32_e32 v116, 0
	ds_read_b128 v[117:120], v116 offset:800
	ds_read_b128 v[121:124], v116 offset:816
	;; [unrolled: 1-line block ×7, first 2 shown]
	ds_read_b64 v[3:4], v116 offset:912
	v_cmp_lt_u32_e32 vcc, 40, v0
	s_waitcnt vmcnt(31) lgkmcnt(7)
	v_mul_f32_e32 v167, v117, v5
	v_mul_f32_e32 v5, v118, v5
	s_waitcnt vmcnt(30)
	v_mul_f32_e32 v168, v119, v6
	v_mul_f32_e32 v6, v120, v6
	s_waitcnt vmcnt(29) lgkmcnt(6)
	v_mul_f32_e32 v169, v121, v7
	v_mul_f32_e32 v7, v122, v7
	s_waitcnt vmcnt(28)
	v_mul_f32_e32 v170, v123, v8
	s_waitcnt vmcnt(27) lgkmcnt(5)
	v_mul_f32_e32 v171, v125, v9
	s_waitcnt vmcnt(26)
	v_mul_f32_e32 v172, v127, v10
	s_waitcnt vmcnt(25) lgkmcnt(4)
	;; [unrolled: 4-line block ×4, first 2 shown]
	v_mul_f32_e32 v177, v137, v145
	s_waitcnt vmcnt(20)
	v_mul_f32_e32 v178, v139, v146
	s_waitcnt vmcnt(16)
	v_fma_f32 v5, v117, v150, -v5
	s_waitcnt vmcnt(15)
	v_fma_f32 v6, v119, v151, -v6
	v_add_f32_e32 v5, 0, v5
	s_waitcnt vmcnt(14)
	v_fma_f32 v7, v121, v152, -v7
	v_add_f32_e32 v5, v5, v6
	v_add_f32_e32 v5, v5, v7
	v_mul_f32_e32 v7, v124, v8
	s_waitcnt vmcnt(13)
	v_fma_f32 v7, v123, v153, -v7
	v_add_f32_e32 v5, v5, v7
	v_mul_f32_e32 v7, v126, v9
	s_waitcnt vmcnt(12)
	v_fma_f32 v7, v125, v154, -v7
	v_add_f32_e32 v5, v5, v7
	v_mul_f32_e32 v7, v128, v10
	s_waitcnt vmcnt(11)
	v_fma_f32 v7, v127, v155, -v7
	v_add_f32_e32 v5, v5, v7
	v_mul_f32_e32 v7, v130, v11
	s_waitcnt vmcnt(10)
	v_fma_f32 v7, v129, v156, -v7
	v_add_f32_e32 v5, v5, v7
	v_mul_f32_e32 v7, v132, v12
	v_fmac_f32_e32 v167, v118, v150
	s_waitcnt vmcnt(9)
	v_fma_f32 v7, v131, v157, -v7
	v_fmac_f32_e32 v168, v120, v151
	v_add_f32_e32 v117, 0, v167
	v_add_f32_e32 v5, v5, v7
	v_mul_f32_e32 v7, v134, v13
	v_fmac_f32_e32 v169, v122, v152
	v_add_f32_e32 v117, v117, v168
	s_waitcnt vmcnt(8)
	v_fma_f32 v7, v133, v158, -v7
	v_fmac_f32_e32 v170, v124, v153
	v_add_f32_e32 v6, v117, v169
	v_add_f32_e32 v5, v5, v7
	v_mul_f32_e32 v7, v136, v14
	v_fmac_f32_e32 v171, v126, v154
	v_add_f32_e32 v6, v6, v170
	;; [unrolled: 8-line block ×4, first 2 shown]
	s_waitcnt vmcnt(5)
	v_fma_f32 v7, v139, v161, -v7
	v_fmac_f32_e32 v176, v136, v159
	v_add_f32_e32 v6, v6, v175
	v_add_f32_e32 v5, v5, v7
	s_waitcnt lgkmcnt(1)
	v_mul_f32_e32 v7, v142, v147
	v_fmac_f32_e32 v177, v138, v160
	v_add_f32_e32 v6, v6, v176
	s_waitcnt vmcnt(4)
	v_fma_f32 v7, v141, v162, -v7
	v_mul_f32_e32 v179, v141, v147
	s_waitcnt lgkmcnt(0)
	v_mul_f32_e32 v181, v3, v149
	v_fmac_f32_e32 v178, v140, v161
	v_add_f32_e32 v6, v6, v177
	v_add_f32_e32 v5, v5, v7
	v_mul_f32_e32 v7, v144, v148
	v_mul_f32_e32 v180, v143, v148
	v_fmac_f32_e32 v179, v142, v162
	s_waitcnt vmcnt(2)
	v_fmac_f32_e32 v181, v4, v164
	v_add_f32_e32 v6, v6, v178
	v_fma_f32 v7, v143, v163, -v7
	v_mul_f32_e32 v4, v4, v149
	v_fmac_f32_e32 v180, v144, v163
	v_add_f32_e32 v6, v6, v179
	v_add_f32_e32 v5, v5, v7
	v_fma_f32 v3, v3, v164, -v4
	v_add_f32_e32 v6, v6, v180
	v_add_f32_e32 v3, v5, v3
	;; [unrolled: 1-line block ×3, first 2 shown]
	s_waitcnt vmcnt(1)
	v_sub_f32_e32 v3, v165, v3
	s_waitcnt vmcnt(0)
	v_sub_f32_e32 v4, v166, v6
	buffer_store_dword v3, off, s[0:3], 0 offset:328
	buffer_store_dword v4, off, s[0:3], 0 offset:332
	s_and_saveexec_b64 s[4:5], vcc
	s_cbranch_execz .LBB120_275
; %bb.274:
	buffer_load_dword v3, off, s[0:3], 0 offset:320
	buffer_load_dword v4, off, s[0:3], 0 offset:324
	s_waitcnt vmcnt(0)
	ds_write_b64 v115, v[3:4]
	buffer_store_dword v116, off, s[0:3], 0 offset:320
	buffer_store_dword v116, off, s[0:3], 0 offset:324
.LBB120_275:
	s_or_b64 exec, exec, s[4:5]
	s_waitcnt lgkmcnt(0)
	; wave barrier
	buffer_load_dword v3, off, s[0:3], 0 offset:332
	buffer_load_dword v4, off, s[0:3], 0 offset:340
	;; [unrolled: 1-line block ×34, first 2 shown]
	ds_read2_b64 v[117:120], v116 offset0:99 offset1:100
	ds_read2_b64 v[121:124], v116 offset0:101 offset1:102
	ds_read2_b64 v[125:128], v116 offset0:103 offset1:104
	ds_read2_b64 v[129:132], v116 offset0:105 offset1:106
	ds_read2_b64 v[133:136], v116 offset0:107 offset1:108
	ds_read2_b64 v[137:140], v116 offset0:109 offset1:110
	ds_read2_b64 v[141:144], v116 offset0:111 offset1:112
	ds_read2_b64 v[145:148], v116 offset0:113 offset1:114
	v_cmp_lt_u32_e32 vcc, 39, v0
	s_waitcnt vmcnt(33) lgkmcnt(7)
	v_mul_f32_e32 v116, v117, v3
	v_mul_f32_e32 v3, v118, v3
	s_waitcnt vmcnt(32)
	v_mul_f32_e32 v171, v119, v4
	v_mul_f32_e32 v4, v120, v4
	s_waitcnt vmcnt(31) lgkmcnt(6)
	v_mul_f32_e32 v172, v121, v5
	v_mul_f32_e32 v5, v122, v5
	s_waitcnt vmcnt(30)
	v_mul_f32_e32 v173, v123, v6
	s_waitcnt vmcnt(29) lgkmcnt(5)
	v_mul_f32_e32 v174, v125, v7
	s_waitcnt vmcnt(28)
	v_mul_f32_e32 v175, v127, v8
	s_waitcnt vmcnt(27) lgkmcnt(4)
	;; [unrolled: 4-line block ×5, first 2 shown]
	v_mul_f32_e32 v182, v141, v149
	s_waitcnt vmcnt(17)
	v_fma_f32 v3, v117, v153, -v3
	s_waitcnt vmcnt(16)
	v_fma_f32 v4, v119, v154, -v4
	v_add_f32_e32 v3, 0, v3
	v_add_f32_e32 v3, v3, v4
	s_waitcnt vmcnt(15)
	v_fma_f32 v5, v121, v155, -v5
	v_add_f32_e32 v3, v3, v5
	v_mul_f32_e32 v5, v124, v6
	s_waitcnt vmcnt(14)
	v_fma_f32 v5, v123, v156, -v5
	v_add_f32_e32 v3, v3, v5
	v_mul_f32_e32 v5, v126, v7
	;; [unrolled: 4-line block ×6, first 2 shown]
	v_fmac_f32_e32 v116, v118, v153
	s_waitcnt vmcnt(9)
	v_fma_f32 v5, v133, v161, -v5
	v_fmac_f32_e32 v171, v120, v154
	v_add_f32_e32 v116, 0, v116
	v_add_f32_e32 v3, v3, v5
	v_mul_f32_e32 v5, v136, v12
	v_fmac_f32_e32 v172, v122, v155
	v_add_f32_e32 v116, v116, v171
	s_waitcnt vmcnt(8)
	v_fma_f32 v5, v135, v162, -v5
	v_fmac_f32_e32 v173, v124, v156
	v_add_f32_e32 v4, v116, v172
	v_add_f32_e32 v3, v3, v5
	v_mul_f32_e32 v5, v138, v13
	v_fmac_f32_e32 v174, v126, v157
	v_add_f32_e32 v4, v4, v173
	;; [unrolled: 8-line block ×5, first 2 shown]
	s_waitcnt vmcnt(4)
	v_fma_f32 v5, v143, v166, -v5
	v_fmac_f32_e32 v181, v140, v164
	v_add_f32_e32 v4, v4, v180
	v_add_f32_e32 v3, v3, v5
	s_waitcnt lgkmcnt(0)
	v_mul_f32_e32 v5, v146, v151
	v_mul_f32_e32 v183, v143, v150
	v_fmac_f32_e32 v182, v142, v165
	v_add_f32_e32 v4, v4, v181
	s_waitcnt vmcnt(3)
	v_fma_f32 v5, v145, v167, -v5
	v_mul_f32_e32 v184, v145, v151
	v_fmac_f32_e32 v183, v144, v166
	v_add_f32_e32 v4, v4, v182
	v_add_f32_e32 v3, v3, v5
	v_mul_f32_e32 v5, v148, v152
	v_mul_f32_e32 v185, v147, v152
	v_fmac_f32_e32 v184, v146, v167
	v_add_f32_e32 v4, v4, v183
	s_waitcnt vmcnt(2)
	v_fma_f32 v5, v147, v168, -v5
	v_fmac_f32_e32 v185, v148, v168
	v_add_f32_e32 v4, v4, v184
	v_add_f32_e32 v3, v3, v5
	;; [unrolled: 1-line block ×3, first 2 shown]
	s_waitcnt vmcnt(1)
	v_sub_f32_e32 v3, v169, v3
	s_waitcnt vmcnt(0)
	v_sub_f32_e32 v4, v170, v4
	buffer_store_dword v3, off, s[0:3], 0 offset:320
	buffer_store_dword v4, off, s[0:3], 0 offset:324
	s_and_saveexec_b64 s[4:5], vcc
	s_cbranch_execz .LBB120_277
; %bb.276:
	buffer_load_dword v3, off, s[0:3], 0 offset:312
	buffer_load_dword v4, off, s[0:3], 0 offset:316
	v_mov_b32_e32 v5, 0
	buffer_store_dword v5, off, s[0:3], 0 offset:312
	buffer_store_dword v5, off, s[0:3], 0 offset:316
	s_waitcnt vmcnt(2)
	ds_write_b64 v115, v[3:4]
.LBB120_277:
	s_or_b64 exec, exec, s[4:5]
	s_waitcnt lgkmcnt(0)
	; wave barrier
	buffer_load_dword v5, off, s[0:3], 0 offset:324
	buffer_load_dword v6, off, s[0:3], 0 offset:332
	;; [unrolled: 1-line block ×36, first 2 shown]
	v_mov_b32_e32 v116, 0
	ds_read_b128 v[117:120], v116 offset:784
	ds_read_b128 v[121:124], v116 offset:800
	;; [unrolled: 1-line block ×8, first 2 shown]
	ds_read_b64 v[3:4], v116 offset:912
	v_cmp_lt_u32_e32 vcc, 38, v0
	s_waitcnt vmcnt(35) lgkmcnt(8)
	v_mul_f32_e32 v175, v117, v5
	v_mul_f32_e32 v5, v118, v5
	s_waitcnt vmcnt(34)
	v_mul_f32_e32 v176, v119, v6
	v_mul_f32_e32 v6, v120, v6
	s_waitcnt vmcnt(33) lgkmcnt(7)
	v_mul_f32_e32 v177, v121, v7
	s_waitcnt vmcnt(32)
	v_mul_f32_e32 v178, v123, v8
	s_waitcnt vmcnt(31) lgkmcnt(6)
	v_mul_f32_e32 v179, v125, v9
	s_waitcnt vmcnt(30)
	;; [unrolled: 4-line block ×7, first 2 shown]
	v_fma_f32 v5, v117, v156, -v5
	v_add_f32_e32 v5, 0, v5
	s_waitcnt vmcnt(17)
	v_fma_f32 v6, v119, v157, -v6
	v_add_f32_e32 v5, v5, v6
	v_mul_f32_e32 v6, v122, v7
	s_waitcnt vmcnt(16)
	v_fma_f32 v6, v121, v158, -v6
	v_add_f32_e32 v5, v5, v6
	v_mul_f32_e32 v6, v124, v8
	;; [unrolled: 4-line block ×7, first 2 shown]
	v_fmac_f32_e32 v175, v118, v156
	s_waitcnt vmcnt(10)
	v_fma_f32 v6, v133, v164, -v6
	v_fmac_f32_e32 v176, v120, v157
	v_add_f32_e32 v175, 0, v175
	v_add_f32_e32 v5, v5, v6
	v_mul_f32_e32 v6, v136, v14
	v_fmac_f32_e32 v177, v122, v158
	v_add_f32_e32 v175, v175, v176
	s_waitcnt vmcnt(9)
	v_fma_f32 v6, v135, v165, -v6
	v_fmac_f32_e32 v178, v124, v159
	v_add_f32_e32 v175, v175, v177
	v_add_f32_e32 v5, v5, v6
	v_mul_f32_e32 v6, v138, v149
	v_fmac_f32_e32 v179, v126, v160
	v_add_f32_e32 v175, v175, v178
	s_waitcnt vmcnt(8)
	v_fma_f32 v6, v137, v166, -v6
	v_fmac_f32_e32 v180, v128, v161
	v_add_f32_e32 v175, v175, v179
	v_add_f32_e32 v5, v5, v6
	v_mul_f32_e32 v6, v140, v150
	v_fmac_f32_e32 v181, v130, v162
	v_add_f32_e32 v175, v175, v180
	s_waitcnt vmcnt(7)
	v_fma_f32 v6, v139, v167, -v6
	v_fmac_f32_e32 v182, v132, v163
	v_add_f32_e32 v175, v175, v181
	v_add_f32_e32 v5, v5, v6
	v_mul_f32_e32 v6, v142, v151
	v_fmac_f32_e32 v183, v134, v164
	v_add_f32_e32 v175, v175, v182
	s_waitcnt vmcnt(6)
	v_fma_f32 v6, v141, v168, -v6
	v_fmac_f32_e32 v184, v136, v165
	v_add_f32_e32 v175, v175, v183
	v_add_f32_e32 v5, v5, v6
	v_mul_f32_e32 v6, v144, v152
	v_fmac_f32_e32 v185, v138, v166
	v_add_f32_e32 v175, v175, v184
	s_waitcnt vmcnt(5)
	v_fma_f32 v6, v143, v169, -v6
	v_fmac_f32_e32 v186, v140, v167
	v_add_f32_e32 v175, v175, v185
	v_add_f32_e32 v5, v5, v6
	v_mul_f32_e32 v6, v146, v153
	v_fmac_f32_e32 v187, v142, v168
	v_add_f32_e32 v175, v175, v186
	s_waitcnt vmcnt(4)
	v_fma_f32 v6, v145, v170, -v6
	s_waitcnt lgkmcnt(0)
	v_mul_f32_e32 v191, v3, v155
	v_fmac_f32_e32 v188, v144, v169
	v_add_f32_e32 v175, v175, v187
	v_add_f32_e32 v5, v5, v6
	v_mul_f32_e32 v6, v148, v154
	v_mul_f32_e32 v190, v147, v154
	v_fmac_f32_e32 v189, v146, v170
	s_waitcnt vmcnt(2)
	v_fmac_f32_e32 v191, v4, v172
	v_add_f32_e32 v175, v175, v188
	v_fma_f32 v6, v147, v171, -v6
	v_mul_f32_e32 v4, v4, v155
	v_fmac_f32_e32 v190, v148, v171
	v_add_f32_e32 v175, v175, v189
	v_add_f32_e32 v5, v5, v6
	v_fma_f32 v3, v3, v172, -v4
	v_add_f32_e32 v175, v175, v190
	v_add_f32_e32 v3, v5, v3
	;; [unrolled: 1-line block ×3, first 2 shown]
	s_waitcnt vmcnt(1)
	v_sub_f32_e32 v3, v173, v3
	s_waitcnt vmcnt(0)
	v_sub_f32_e32 v4, v174, v175
	buffer_store_dword v3, off, s[0:3], 0 offset:312
	buffer_store_dword v4, off, s[0:3], 0 offset:316
	s_and_saveexec_b64 s[4:5], vcc
	s_cbranch_execz .LBB120_279
; %bb.278:
	buffer_load_dword v3, off, s[0:3], 0 offset:304
	buffer_load_dword v4, off, s[0:3], 0 offset:308
	s_waitcnt vmcnt(0)
	ds_write_b64 v115, v[3:4]
	buffer_store_dword v116, off, s[0:3], 0 offset:304
	buffer_store_dword v116, off, s[0:3], 0 offset:308
.LBB120_279:
	s_or_b64 exec, exec, s[4:5]
	s_waitcnt lgkmcnt(0)
	; wave barrier
	buffer_load_dword v3, off, s[0:3], 0 offset:316
	buffer_load_dword v4, off, s[0:3], 0 offset:324
	;; [unrolled: 1-line block ×38, first 2 shown]
	ds_read2_b64 v[117:120], v116 offset0:97 offset1:98
	ds_read2_b64 v[121:124], v116 offset0:99 offset1:100
	;; [unrolled: 1-line block ×9, first 2 shown]
	v_cmp_lt_u32_e32 vcc, 37, v0
	s_waitcnt vmcnt(37) lgkmcnt(8)
	v_mul_f32_e32 v116, v117, v3
	v_mul_f32_e32 v3, v118, v3
	s_waitcnt vmcnt(36)
	v_mul_f32_e32 v179, v119, v4
	v_mul_f32_e32 v4, v120, v4
	s_waitcnt vmcnt(35) lgkmcnt(7)
	v_mul_f32_e32 v180, v121, v5
	s_waitcnt vmcnt(34)
	v_mul_f32_e32 v181, v123, v6
	s_waitcnt vmcnt(33) lgkmcnt(6)
	v_mul_f32_e32 v182, v125, v7
	s_waitcnt vmcnt(32)
	;; [unrolled: 4-line block ×7, first 2 shown]
	v_fma_f32 v3, v117, v158, -v3
	v_add_f32_e32 v3, 0, v3
	s_waitcnt vmcnt(19)
	v_fma_f32 v4, v119, v159, -v4
	v_add_f32_e32 v3, v3, v4
	v_mul_f32_e32 v4, v122, v5
	s_waitcnt vmcnt(18)
	v_fma_f32 v4, v121, v160, -v4
	v_add_f32_e32 v3, v3, v4
	v_mul_f32_e32 v4, v124, v6
	;; [unrolled: 4-line block ×8, first 2 shown]
	v_fmac_f32_e32 v116, v118, v158
	s_waitcnt vmcnt(11)
	v_fma_f32 v4, v135, v167, -v4
	v_fmac_f32_e32 v179, v120, v159
	v_add_f32_e32 v116, 0, v116
	v_add_f32_e32 v3, v3, v4
	v_mul_f32_e32 v4, v138, v13
	v_fmac_f32_e32 v180, v122, v160
	v_add_f32_e32 v116, v116, v179
	s_waitcnt vmcnt(10)
	v_fma_f32 v4, v137, v168, -v4
	v_fmac_f32_e32 v181, v124, v161
	v_add_f32_e32 v116, v116, v180
	v_add_f32_e32 v3, v3, v4
	v_mul_f32_e32 v4, v140, v14
	v_fmac_f32_e32 v182, v126, v162
	v_add_f32_e32 v116, v116, v181
	s_waitcnt vmcnt(9)
	v_fma_f32 v4, v139, v169, -v4
	v_fmac_f32_e32 v183, v128, v163
	v_add_f32_e32 v116, v116, v182
	v_add_f32_e32 v3, v3, v4
	v_mul_f32_e32 v4, v142, v153
	v_fmac_f32_e32 v184, v130, v164
	v_add_f32_e32 v116, v116, v183
	s_waitcnt vmcnt(8)
	v_fma_f32 v4, v141, v170, -v4
	v_fmac_f32_e32 v185, v132, v165
	v_add_f32_e32 v116, v116, v184
	v_add_f32_e32 v3, v3, v4
	v_mul_f32_e32 v4, v144, v154
	v_fmac_f32_e32 v186, v134, v166
	v_add_f32_e32 v116, v116, v185
	s_waitcnt vmcnt(7)
	v_fma_f32 v4, v143, v171, -v4
	v_fmac_f32_e32 v187, v136, v167
	v_add_f32_e32 v116, v116, v186
	v_add_f32_e32 v3, v3, v4
	v_mul_f32_e32 v4, v146, v155
	v_fmac_f32_e32 v188, v138, v168
	v_add_f32_e32 v116, v116, v187
	s_waitcnt vmcnt(6)
	v_fma_f32 v4, v145, v172, -v4
	v_fmac_f32_e32 v189, v140, v169
	v_add_f32_e32 v116, v116, v188
	v_add_f32_e32 v3, v3, v4
	v_mul_f32_e32 v4, v148, v156
	v_fmac_f32_e32 v190, v142, v170
	v_add_f32_e32 v116, v116, v189
	s_waitcnt vmcnt(5)
	v_fma_f32 v4, v147, v173, -v4
	v_fmac_f32_e32 v191, v144, v171
	v_add_f32_e32 v116, v116, v190
	v_add_f32_e32 v3, v3, v4
	s_waitcnt lgkmcnt(0)
	v_mul_f32_e32 v4, v150, v157
	v_mul_f32_e32 v193, v147, v156
	v_fmac_f32_e32 v192, v146, v172
	v_add_f32_e32 v116, v116, v191
	s_waitcnt vmcnt(4)
	v_fma_f32 v4, v149, v174, -v4
	v_mul_f32_e32 v194, v149, v157
	v_fmac_f32_e32 v193, v148, v173
	v_add_f32_e32 v116, v116, v192
	v_add_f32_e32 v3, v3, v4
	s_waitcnt vmcnt(3)
	v_mul_f32_e32 v4, v152, v175
	v_add_f32_e32 v116, v116, v193
	v_fmac_f32_e32 v194, v150, v174
	v_mul_f32_e32 v179, v151, v175
	s_waitcnt vmcnt(2)
	v_fma_f32 v4, v151, v176, -v4
	v_add_f32_e32 v116, v116, v194
	v_fmac_f32_e32 v179, v152, v176
	v_add_f32_e32 v3, v3, v4
	v_add_f32_e32 v116, v116, v179
	s_waitcnt vmcnt(1)
	v_sub_f32_e32 v3, v177, v3
	s_waitcnt vmcnt(0)
	v_sub_f32_e32 v4, v178, v116
	buffer_store_dword v3, off, s[0:3], 0 offset:304
	buffer_store_dword v4, off, s[0:3], 0 offset:308
	s_and_saveexec_b64 s[4:5], vcc
	s_cbranch_execz .LBB120_281
; %bb.280:
	buffer_load_dword v3, off, s[0:3], 0 offset:296
	buffer_load_dword v4, off, s[0:3], 0 offset:300
	v_mov_b32_e32 v5, 0
	buffer_store_dword v5, off, s[0:3], 0 offset:296
	buffer_store_dword v5, off, s[0:3], 0 offset:300
	s_waitcnt vmcnt(2)
	ds_write_b64 v115, v[3:4]
.LBB120_281:
	s_or_b64 exec, exec, s[4:5]
	s_waitcnt lgkmcnt(0)
	; wave barrier
	buffer_load_dword v5, off, s[0:3], 0 offset:308
	buffer_load_dword v6, off, s[0:3], 0 offset:316
	;; [unrolled: 1-line block ×40, first 2 shown]
	v_mov_b32_e32 v116, 0
	ds_read_b128 v[117:120], v116 offset:768
	ds_read_b128 v[121:124], v116 offset:784
	;; [unrolled: 1-line block ×9, first 2 shown]
	v_cmp_lt_u32_e32 vcc, 36, v0
	s_waitcnt vmcnt(39) lgkmcnt(8)
	v_mul_f32_e32 v3, v117, v5
	v_mul_f32_e32 v5, v118, v5
	s_waitcnt vmcnt(38)
	v_mul_f32_e32 v4, v119, v6
	v_mul_f32_e32 v6, v120, v6
	s_waitcnt vmcnt(37) lgkmcnt(7)
	v_mul_f32_e32 v183, v121, v7
	s_waitcnt vmcnt(36)
	v_mul_f32_e32 v184, v123, v8
	s_waitcnt vmcnt(35) lgkmcnt(6)
	v_mul_f32_e32 v185, v125, v9
	s_waitcnt vmcnt(34)
	;; [unrolled: 4-line block ×6, first 2 shown]
	v_fma_f32 v5, v117, v158, -v5
	v_add_f32_e32 v5, 0, v5
	s_waitcnt vmcnt(23)
	v_fma_f32 v6, v119, v159, -v6
	v_add_f32_e32 v5, v5, v6
	v_mul_f32_e32 v6, v122, v7
	s_waitcnt vmcnt(22)
	v_fma_f32 v6, v121, v160, -v6
	v_add_f32_e32 v5, v5, v6
	v_mul_f32_e32 v6, v124, v8
	;; [unrolled: 4-line block ×5, first 2 shown]
	v_fmac_f32_e32 v3, v118, v158
	s_waitcnt vmcnt(18)
	v_fma_f32 v6, v129, v164, -v6
	v_fmac_f32_e32 v4, v120, v159
	v_add_f32_e32 v3, 0, v3
	v_add_f32_e32 v5, v5, v6
	v_mul_f32_e32 v6, v132, v12
	v_fmac_f32_e32 v183, v122, v160
	v_add_f32_e32 v3, v3, v4
	s_waitcnt vmcnt(17)
	v_fma_f32 v6, v131, v165, -v6
	v_fmac_f32_e32 v184, v124, v161
	v_add_f32_e32 v3, v3, v183
	v_add_f32_e32 v5, v5, v6
	v_mul_f32_e32 v6, v134, v13
	v_fmac_f32_e32 v185, v126, v162
	v_add_f32_e32 v3, v3, v184
	;; [unrolled: 8-line block ×5, first 2 shown]
	s_waitcnt vmcnt(13)
	v_fma_f32 v6, v139, v169, -v6
	v_fmac_f32_e32 v192, v140, v169
	v_add_f32_e32 v3, v3, v191
	v_add_f32_e32 v5, v5, v6
	v_mul_f32_e32 v6, v142, v155
	v_mul_f32_e32 v194, v143, v156
	s_waitcnt vmcnt(12)
	v_fmac_f32_e32 v193, v142, v170
	v_add_f32_e32 v3, v3, v192
	v_fma_f32 v6, v141, v170, -v6
	s_waitcnt lgkmcnt(1)
	v_mul_f32_e32 v195, v145, v157
	s_waitcnt vmcnt(11)
	v_fmac_f32_e32 v194, v144, v171
	v_add_f32_e32 v3, v3, v193
	v_add_f32_e32 v5, v5, v6
	v_mul_f32_e32 v6, v144, v156
	s_waitcnt vmcnt(10)
	v_fmac_f32_e32 v195, v146, v172
	v_add_f32_e32 v3, v3, v194
	s_waitcnt vmcnt(9)
	v_mul_f32_e32 v4, v147, v173
	v_fma_f32 v6, v143, v171, -v6
	v_add_f32_e32 v3, v3, v195
	s_waitcnt vmcnt(8)
	v_fmac_f32_e32 v4, v148, v174
	v_add_f32_e32 v5, v5, v6
	v_mul_f32_e32 v6, v146, v157
	v_add_f32_e32 v183, v3, v4
	ds_read_b64 v[3:4], v116 offset:912
	v_fma_f32 v6, v145, v172, -v6
	s_waitcnt vmcnt(7) lgkmcnt(1)
	v_mul_f32_e32 v184, v149, v175
	v_add_f32_e32 v5, v5, v6
	v_mul_f32_e32 v6, v148, v173
	s_waitcnt vmcnt(6)
	v_fmac_f32_e32 v184, v150, v176
	v_fma_f32 v6, v147, v174, -v6
	v_add_f32_e32 v183, v183, v184
	s_waitcnt vmcnt(5)
	v_mul_f32_e32 v184, v151, v177
	v_add_f32_e32 v5, v5, v6
	v_mul_f32_e32 v6, v150, v175
	s_waitcnt vmcnt(4)
	v_fmac_f32_e32 v184, v152, v178
	v_fma_f32 v6, v149, v176, -v6
	v_add_f32_e32 v183, v183, v184
	s_waitcnt vmcnt(3) lgkmcnt(0)
	v_mul_f32_e32 v184, v3, v179
	v_add_f32_e32 v5, v5, v6
	v_mul_f32_e32 v6, v152, v177
	s_waitcnt vmcnt(2)
	v_fmac_f32_e32 v184, v4, v180
	v_fma_f32 v6, v151, v178, -v6
	v_mul_f32_e32 v4, v4, v179
	v_add_f32_e32 v5, v5, v6
	v_fma_f32 v3, v3, v180, -v4
	v_add_f32_e32 v3, v5, v3
	v_add_f32_e32 v183, v183, v184
	s_waitcnt vmcnt(1)
	v_sub_f32_e32 v3, v181, v3
	s_waitcnt vmcnt(0)
	v_sub_f32_e32 v4, v182, v183
	buffer_store_dword v3, off, s[0:3], 0 offset:296
	buffer_store_dword v4, off, s[0:3], 0 offset:300
	s_and_saveexec_b64 s[4:5], vcc
	s_cbranch_execz .LBB120_283
; %bb.282:
	buffer_load_dword v3, off, s[0:3], 0 offset:288
	buffer_load_dword v4, off, s[0:3], 0 offset:292
	s_waitcnt vmcnt(0)
	ds_write_b64 v115, v[3:4]
	buffer_store_dword v116, off, s[0:3], 0 offset:288
	buffer_store_dword v116, off, s[0:3], 0 offset:292
.LBB120_283:
	s_or_b64 exec, exec, s[4:5]
	s_waitcnt lgkmcnt(0)
	; wave barrier
	buffer_load_dword v3, off, s[0:3], 0 offset:300
	buffer_load_dword v4, off, s[0:3], 0 offset:308
	;; [unrolled: 1-line block ×42, first 2 shown]
	ds_read2_b64 v[117:120], v116 offset0:95 offset1:96
	ds_read2_b64 v[121:124], v116 offset0:97 offset1:98
	;; [unrolled: 1-line block ×8, first 2 shown]
	v_cmp_lt_u32_e32 vcc, 35, v0
	s_waitcnt vmcnt(41) lgkmcnt(7)
	v_mul_f32_e32 v149, v117, v3
	v_mul_f32_e32 v3, v118, v3
	s_waitcnt vmcnt(40)
	v_mul_f32_e32 v150, v119, v4
	v_mul_f32_e32 v4, v120, v4
	s_waitcnt vmcnt(39) lgkmcnt(6)
	v_mul_f32_e32 v151, v121, v5
	s_waitcnt vmcnt(38)
	v_mul_f32_e32 v152, v123, v6
	s_waitcnt vmcnt(37) lgkmcnt(5)
	v_mul_f32_e32 v153, v125, v7
	s_waitcnt vmcnt(36)
	;; [unrolled: 4-line block ×6, first 2 shown]
	v_fma_f32 v3, v117, v160, -v3
	v_add_f32_e32 v3, 0, v3
	s_waitcnt vmcnt(25)
	v_fma_f32 v4, v119, v161, -v4
	v_add_f32_e32 v3, v3, v4
	v_mul_f32_e32 v4, v122, v5
	s_waitcnt vmcnt(24)
	v_fma_f32 v4, v121, v162, -v4
	v_add_f32_e32 v3, v3, v4
	v_mul_f32_e32 v4, v124, v6
	;; [unrolled: 4-line block ×4, first 2 shown]
	s_waitcnt vmcnt(21)
	v_fma_f32 v4, v127, v165, -v4
	v_fmac_f32_e32 v149, v118, v160
	v_add_f32_e32 v3, v3, v4
	v_mul_f32_e32 v4, v130, v9
	v_fmac_f32_e32 v150, v120, v161
	v_add_f32_e32 v149, 0, v149
	s_waitcnt vmcnt(20)
	v_fma_f32 v4, v129, v166, -v4
	v_fmac_f32_e32 v151, v122, v162
	v_add_f32_e32 v149, v149, v150
	v_add_f32_e32 v3, v3, v4
	v_mul_f32_e32 v4, v132, v10
	v_fmac_f32_e32 v152, v124, v163
	v_add_f32_e32 v149, v149, v151
	s_waitcnt vmcnt(19)
	v_fma_f32 v4, v131, v167, -v4
	v_fmac_f32_e32 v153, v126, v164
	v_add_f32_e32 v149, v149, v152
	;; [unrolled: 8-line block ×5, first 2 shown]
	v_add_f32_e32 v3, v3, v4
	v_mul_f32_e32 v4, v140, v14
	s_waitcnt vmcnt(15)
	v_fmac_f32_e32 v190, v140, v171
	v_add_f32_e32 v149, v149, v189
	v_fma_f32 v4, v139, v171, -v4
	v_mul_f32_e32 v192, v143, v158
	s_waitcnt vmcnt(14)
	v_fmac_f32_e32 v191, v142, v172
	v_add_f32_e32 v149, v149, v190
	v_add_f32_e32 v3, v3, v4
	v_mul_f32_e32 v4, v142, v157
	s_waitcnt lgkmcnt(0)
	v_mul_f32_e32 v193, v145, v159
	s_waitcnt vmcnt(13)
	v_fmac_f32_e32 v192, v144, v173
	v_add_f32_e32 v149, v149, v191
	v_fma_f32 v4, v141, v172, -v4
	s_waitcnt vmcnt(12)
	v_fmac_f32_e32 v193, v146, v174
	v_add_f32_e32 v149, v149, v192
	v_add_f32_e32 v3, v3, v4
	v_mul_f32_e32 v4, v144, v158
	v_add_f32_e32 v153, v149, v193
	ds_read2_b64 v[149:152], v116 offset0:111 offset1:112
	v_fma_f32 v4, v143, v173, -v4
	v_add_f32_e32 v3, v3, v4
	v_mul_f32_e32 v4, v146, v159
	s_waitcnt vmcnt(11)
	v_mul_f32_e32 v154, v147, v175
	v_fma_f32 v4, v145, v174, -v4
	s_waitcnt vmcnt(10)
	v_fmac_f32_e32 v154, v148, v176
	v_add_f32_e32 v3, v3, v4
	v_mul_f32_e32 v4, v148, v175
	v_add_f32_e32 v187, v153, v154
	ds_read2_b64 v[153:156], v116 offset0:113 offset1:114
	v_fma_f32 v4, v147, v176, -v4
	v_add_f32_e32 v3, v3, v4
	s_waitcnt vmcnt(9) lgkmcnt(1)
	v_mul_f32_e32 v4, v150, v177
	v_mul_f32_e32 v116, v149, v177
	s_waitcnt vmcnt(8)
	v_fma_f32 v4, v149, v178, -v4
	v_fmac_f32_e32 v116, v150, v178
	v_add_f32_e32 v3, v3, v4
	s_waitcnt vmcnt(7)
	v_mul_f32_e32 v4, v152, v179
	v_add_f32_e32 v116, v187, v116
	v_mul_f32_e32 v187, v151, v179
	s_waitcnt vmcnt(6)
	v_fma_f32 v4, v151, v180, -v4
	v_fmac_f32_e32 v187, v152, v180
	v_add_f32_e32 v3, v3, v4
	s_waitcnt vmcnt(5) lgkmcnt(0)
	v_mul_f32_e32 v4, v154, v181
	v_add_f32_e32 v116, v116, v187
	v_mul_f32_e32 v187, v153, v181
	s_waitcnt vmcnt(4)
	v_fma_f32 v4, v153, v182, -v4
	v_fmac_f32_e32 v187, v154, v182
	v_add_f32_e32 v3, v3, v4
	s_waitcnt vmcnt(3)
	v_mul_f32_e32 v4, v156, v183
	v_add_f32_e32 v116, v116, v187
	v_mul_f32_e32 v187, v155, v183
	s_waitcnt vmcnt(2)
	v_fma_f32 v4, v155, v184, -v4
	v_fmac_f32_e32 v187, v156, v184
	v_add_f32_e32 v3, v3, v4
	v_add_f32_e32 v116, v116, v187
	s_waitcnt vmcnt(1)
	v_sub_f32_e32 v3, v185, v3
	s_waitcnt vmcnt(0)
	v_sub_f32_e32 v4, v186, v116
	buffer_store_dword v3, off, s[0:3], 0 offset:288
	buffer_store_dword v4, off, s[0:3], 0 offset:292
	s_and_saveexec_b64 s[4:5], vcc
	s_cbranch_execz .LBB120_285
; %bb.284:
	buffer_load_dword v3, off, s[0:3], 0 offset:280
	buffer_load_dword v4, off, s[0:3], 0 offset:284
	v_mov_b32_e32 v5, 0
	buffer_store_dword v5, off, s[0:3], 0 offset:280
	buffer_store_dword v5, off, s[0:3], 0 offset:284
	s_waitcnt vmcnt(2)
	ds_write_b64 v115, v[3:4]
.LBB120_285:
	s_or_b64 exec, exec, s[4:5]
	s_waitcnt lgkmcnt(0)
	; wave barrier
	buffer_load_dword v5, off, s[0:3], 0 offset:292
	buffer_load_dword v6, off, s[0:3], 0 offset:300
	;; [unrolled: 1-line block ×44, first 2 shown]
	v_mov_b32_e32 v116, 0
	ds_read_b128 v[117:120], v116 offset:752
	ds_read_b128 v[121:124], v116 offset:768
	;; [unrolled: 1-line block ×8, first 2 shown]
	v_cmp_lt_u32_e32 vcc, 34, v0
	s_waitcnt vmcnt(43) lgkmcnt(7)
	v_mul_f32_e32 v3, v117, v5
	v_mul_f32_e32 v5, v118, v5
	s_waitcnt vmcnt(42)
	v_mul_f32_e32 v4, v119, v6
	v_mul_f32_e32 v6, v120, v6
	s_waitcnt vmcnt(41) lgkmcnt(6)
	v_mul_f32_e32 v149, v121, v7
	s_waitcnt vmcnt(40)
	v_mul_f32_e32 v150, v123, v8
	s_waitcnt vmcnt(39) lgkmcnt(5)
	v_mul_f32_e32 v151, v125, v9
	s_waitcnt vmcnt(38)
	;; [unrolled: 4-line block ×5, first 2 shown]
	v_mul_f32_e32 v192, v139, v158
	s_waitcnt vmcnt(29)
	v_fma_f32 v5, v117, v161, -v5
	v_add_f32_e32 v5, 0, v5
	s_waitcnt vmcnt(28)
	v_fma_f32 v6, v119, v162, -v6
	v_add_f32_e32 v5, v5, v6
	v_mul_f32_e32 v6, v122, v7
	s_waitcnt vmcnt(27)
	v_fma_f32 v6, v121, v163, -v6
	v_add_f32_e32 v5, v5, v6
	v_mul_f32_e32 v6, v124, v8
	;; [unrolled: 4-line block ×4, first 2 shown]
	s_waitcnt vmcnt(24)
	v_fma_f32 v6, v127, v166, -v6
	v_fmac_f32_e32 v3, v118, v161
	v_add_f32_e32 v5, v5, v6
	v_mul_f32_e32 v6, v130, v11
	v_fmac_f32_e32 v4, v120, v162
	v_add_f32_e32 v3, 0, v3
	s_waitcnt vmcnt(23)
	v_fma_f32 v6, v129, v167, -v6
	v_fmac_f32_e32 v149, v122, v163
	v_add_f32_e32 v3, v3, v4
	v_add_f32_e32 v5, v5, v6
	v_mul_f32_e32 v6, v132, v12
	v_fmac_f32_e32 v150, v124, v164
	v_add_f32_e32 v3, v3, v149
	s_waitcnt vmcnt(22)
	v_fma_f32 v6, v131, v168, -v6
	v_fmac_f32_e32 v151, v126, v165
	v_add_f32_e32 v3, v3, v150
	v_add_f32_e32 v5, v5, v6
	v_mul_f32_e32 v6, v134, v13
	v_fmac_f32_e32 v152, v128, v166
	v_add_f32_e32 v3, v3, v151
	s_waitcnt vmcnt(21)
	v_fma_f32 v6, v133, v169, -v6
	v_fmac_f32_e32 v153, v130, v167
	v_add_f32_e32 v3, v3, v152
	v_add_f32_e32 v5, v5, v6
	v_mul_f32_e32 v6, v136, v14
	v_fmac_f32_e32 v154, v132, v168
	v_add_f32_e32 v3, v3, v153
	s_waitcnt vmcnt(20)
	v_fma_f32 v6, v135, v170, -v6
	v_fmac_f32_e32 v155, v134, v169
	v_add_f32_e32 v3, v3, v154
	v_add_f32_e32 v5, v5, v6
	v_mul_f32_e32 v6, v138, v157
	v_fmac_f32_e32 v156, v136, v170
	v_add_f32_e32 v3, v3, v155
	s_waitcnt vmcnt(19)
	v_fma_f32 v6, v137, v171, -v6
	v_fmac_f32_e32 v191, v138, v171
	v_add_f32_e32 v3, v3, v156
	v_add_f32_e32 v5, v5, v6
	v_mul_f32_e32 v6, v140, v158
	s_waitcnt lgkmcnt(1)
	v_mul_f32_e32 v193, v141, v159
	s_waitcnt vmcnt(18)
	v_fmac_f32_e32 v192, v140, v172
	v_add_f32_e32 v3, v3, v191
	v_fma_f32 v6, v139, v172, -v6
	v_mul_f32_e32 v194, v143, v160
	s_waitcnt vmcnt(17)
	v_fmac_f32_e32 v193, v142, v173
	v_add_f32_e32 v3, v3, v192
	ds_read_b128 v[149:152], v116 offset:880
	ds_read_b128 v[153:156], v116 offset:896
	v_add_f32_e32 v5, v5, v6
	v_mul_f32_e32 v6, v142, v159
	v_add_f32_e32 v3, v3, v193
	s_waitcnt vmcnt(16)
	v_fmac_f32_e32 v194, v144, v174
	s_waitcnt vmcnt(15) lgkmcnt(2)
	v_mul_f32_e32 v4, v145, v175
	v_fma_f32 v6, v141, v173, -v6
	v_add_f32_e32 v3, v3, v194
	s_waitcnt vmcnt(14)
	v_fmac_f32_e32 v4, v146, v176
	v_add_f32_e32 v5, v5, v6
	v_mul_f32_e32 v6, v144, v160
	v_add_f32_e32 v3, v3, v4
	s_waitcnt vmcnt(13)
	v_mul_f32_e32 v4, v147, v177
	v_fma_f32 v6, v143, v174, -v6
	s_waitcnt vmcnt(12)
	v_fmac_f32_e32 v4, v148, v178
	v_add_f32_e32 v5, v5, v6
	v_mul_f32_e32 v6, v146, v175
	v_add_f32_e32 v3, v3, v4
	s_waitcnt vmcnt(11) lgkmcnt(1)
	v_mul_f32_e32 v4, v149, v179
	v_fma_f32 v6, v145, v176, -v6
	s_waitcnt vmcnt(10)
	v_fmac_f32_e32 v4, v150, v180
	v_add_f32_e32 v5, v5, v6
	v_mul_f32_e32 v6, v148, v177
	v_add_f32_e32 v3, v3, v4
	s_waitcnt vmcnt(9)
	v_mul_f32_e32 v4, v151, v181
	v_fma_f32 v6, v147, v178, -v6
	s_waitcnt vmcnt(8)
	v_fmac_f32_e32 v4, v152, v182
	v_add_f32_e32 v5, v5, v6
	v_mul_f32_e32 v6, v150, v179
	v_add_f32_e32 v191, v3, v4
	ds_read_b64 v[3:4], v116 offset:912
	v_fma_f32 v6, v149, v180, -v6
	s_waitcnt vmcnt(7) lgkmcnt(1)
	v_mul_f32_e32 v192, v153, v183
	v_add_f32_e32 v5, v5, v6
	v_mul_f32_e32 v6, v152, v181
	s_waitcnt vmcnt(6)
	v_fmac_f32_e32 v192, v154, v184
	v_fma_f32 v6, v151, v182, -v6
	v_add_f32_e32 v191, v191, v192
	s_waitcnt vmcnt(5)
	v_mul_f32_e32 v192, v155, v185
	v_add_f32_e32 v5, v5, v6
	v_mul_f32_e32 v6, v154, v183
	s_waitcnt vmcnt(4)
	v_fmac_f32_e32 v192, v156, v186
	v_fma_f32 v6, v153, v184, -v6
	v_add_f32_e32 v191, v191, v192
	s_waitcnt vmcnt(3) lgkmcnt(0)
	v_mul_f32_e32 v192, v3, v187
	v_add_f32_e32 v5, v5, v6
	v_mul_f32_e32 v6, v156, v185
	s_waitcnt vmcnt(2)
	v_fmac_f32_e32 v192, v4, v188
	v_fma_f32 v6, v155, v186, -v6
	v_mul_f32_e32 v4, v4, v187
	v_add_f32_e32 v5, v5, v6
	v_fma_f32 v3, v3, v188, -v4
	v_add_f32_e32 v3, v5, v3
	v_add_f32_e32 v191, v191, v192
	s_waitcnt vmcnt(1)
	v_sub_f32_e32 v3, v189, v3
	s_waitcnt vmcnt(0)
	v_sub_f32_e32 v4, v190, v191
	buffer_store_dword v3, off, s[0:3], 0 offset:280
	buffer_store_dword v4, off, s[0:3], 0 offset:284
	s_and_saveexec_b64 s[4:5], vcc
	s_cbranch_execz .LBB120_287
; %bb.286:
	buffer_load_dword v3, off, s[0:3], 0 offset:272
	buffer_load_dword v4, off, s[0:3], 0 offset:276
	s_waitcnt vmcnt(0)
	ds_write_b64 v115, v[3:4]
	buffer_store_dword v116, off, s[0:3], 0 offset:272
	buffer_store_dword v116, off, s[0:3], 0 offset:276
.LBB120_287:
	s_or_b64 exec, exec, s[4:5]
	s_waitcnt lgkmcnt(0)
	; wave barrier
	buffer_load_dword v3, off, s[0:3], 0 offset:284
	buffer_load_dword v4, off, s[0:3], 0 offset:292
	;; [unrolled: 1-line block ×46, first 2 shown]
	ds_read2_b64 v[117:120], v116 offset0:93 offset1:94
	ds_read2_b64 v[121:124], v116 offset0:95 offset1:96
	;; [unrolled: 1-line block ×8, first 2 shown]
	v_cmp_lt_u32_e32 vcc, 33, v0
	s_waitcnt vmcnt(45) lgkmcnt(7)
	v_mul_f32_e32 v149, v117, v3
	v_mul_f32_e32 v3, v118, v3
	s_waitcnt vmcnt(44)
	v_mul_f32_e32 v150, v119, v4
	v_mul_f32_e32 v4, v120, v4
	s_waitcnt vmcnt(43) lgkmcnt(6)
	v_mul_f32_e32 v151, v121, v5
	s_waitcnt vmcnt(42)
	v_mul_f32_e32 v152, v123, v6
	s_waitcnt vmcnt(41) lgkmcnt(5)
	v_mul_f32_e32 v153, v125, v7
	s_waitcnt vmcnt(40)
	;; [unrolled: 4-line block ×5, first 2 shown]
	v_fma_f32 v3, v117, v162, -v3
	v_add_f32_e32 v3, 0, v3
	s_waitcnt vmcnt(31)
	v_fma_f32 v4, v119, v163, -v4
	v_add_f32_e32 v3, v3, v4
	v_mul_f32_e32 v4, v122, v5
	s_waitcnt vmcnt(30)
	v_fma_f32 v4, v121, v164, -v4
	v_add_f32_e32 v3, v3, v4
	v_mul_f32_e32 v4, v124, v6
	;; [unrolled: 4-line block ×3, first 2 shown]
	s_waitcnt vmcnt(28)
	v_fma_f32 v4, v125, v166, -v4
	v_fmac_f32_e32 v149, v118, v162
	v_add_f32_e32 v3, v3, v4
	v_mul_f32_e32 v4, v128, v8
	v_fmac_f32_e32 v150, v120, v163
	v_add_f32_e32 v149, 0, v149
	s_waitcnt vmcnt(27)
	v_fma_f32 v4, v127, v167, -v4
	v_fmac_f32_e32 v151, v122, v164
	v_add_f32_e32 v149, v149, v150
	v_add_f32_e32 v3, v3, v4
	v_mul_f32_e32 v4, v130, v9
	v_fmac_f32_e32 v152, v124, v165
	v_add_f32_e32 v149, v149, v151
	s_waitcnt vmcnt(26)
	v_fma_f32 v4, v129, v168, -v4
	v_fmac_f32_e32 v153, v126, v166
	v_add_f32_e32 v149, v149, v152
	;; [unrolled: 8-line block ×4, first 2 shown]
	v_add_f32_e32 v3, v3, v4
	v_mul_f32_e32 v4, v136, v12
	s_waitcnt vmcnt(23)
	v_fmac_f32_e32 v158, v136, v171
	v_add_f32_e32 v149, v149, v157
	v_fma_f32 v4, v135, v171, -v4
	v_mul_f32_e32 v160, v139, v14
	s_waitcnt vmcnt(22)
	v_fmac_f32_e32 v159, v138, v172
	v_add_f32_e32 v149, v149, v158
	v_add_f32_e32 v3, v3, v4
	v_mul_f32_e32 v4, v138, v13
	s_waitcnt lgkmcnt(1)
	v_mul_f32_e32 v195, v141, v161
	s_waitcnt vmcnt(21)
	v_fmac_f32_e32 v160, v140, v173
	v_add_f32_e32 v149, v149, v159
	v_fma_f32 v4, v137, v172, -v4
	s_waitcnt vmcnt(20)
	v_fmac_f32_e32 v195, v142, v174
	v_add_f32_e32 v149, v149, v160
	s_waitcnt vmcnt(19)
	v_mul_f32_e32 v150, v143, v175
	v_add_f32_e32 v3, v3, v4
	v_mul_f32_e32 v4, v140, v14
	v_add_f32_e32 v149, v149, v195
	s_waitcnt vmcnt(18)
	v_fmac_f32_e32 v150, v144, v176
	v_fma_f32 v4, v139, v173, -v4
	v_add_f32_e32 v149, v149, v150
	s_waitcnt vmcnt(17) lgkmcnt(0)
	v_mul_f32_e32 v150, v145, v177
	v_add_f32_e32 v3, v3, v4
	v_mul_f32_e32 v4, v142, v161
	s_waitcnt vmcnt(16)
	v_fmac_f32_e32 v150, v146, v178
	v_fma_f32 v4, v141, v174, -v4
	v_add_f32_e32 v153, v149, v150
	ds_read2_b64 v[149:152], v116 offset0:109 offset1:110
	v_add_f32_e32 v3, v3, v4
	v_mul_f32_e32 v4, v144, v175
	v_fma_f32 v4, v143, v176, -v4
	v_add_f32_e32 v3, v3, v4
	v_mul_f32_e32 v4, v146, v177
	s_waitcnt vmcnt(15)
	v_mul_f32_e32 v154, v147, v179
	v_fma_f32 v4, v145, v178, -v4
	s_waitcnt vmcnt(14)
	v_fmac_f32_e32 v154, v148, v180
	v_add_f32_e32 v3, v3, v4
	v_mul_f32_e32 v4, v148, v179
	v_add_f32_e32 v157, v153, v154
	ds_read2_b64 v[153:156], v116 offset0:111 offset1:112
	s_waitcnt vmcnt(13) lgkmcnt(1)
	v_mul_f32_e32 v158, v149, v181
	v_fma_f32 v4, v147, v180, -v4
	s_waitcnt vmcnt(12)
	v_fmac_f32_e32 v158, v150, v182
	v_add_f32_e32 v3, v3, v4
	v_mul_f32_e32 v4, v150, v181
	v_add_f32_e32 v157, v157, v158
	s_waitcnt vmcnt(11)
	v_mul_f32_e32 v158, v151, v183
	v_fma_f32 v4, v149, v182, -v4
	s_waitcnt vmcnt(10)
	v_fmac_f32_e32 v158, v152, v184
	v_add_f32_e32 v3, v3, v4
	v_mul_f32_e32 v4, v152, v183
	v_add_f32_e32 v195, v157, v158
	ds_read2_b64 v[157:160], v116 offset0:113 offset1:114
	v_fma_f32 v4, v151, v184, -v4
	v_add_f32_e32 v3, v3, v4
	s_waitcnt vmcnt(9) lgkmcnt(1)
	v_mul_f32_e32 v4, v154, v185
	v_mul_f32_e32 v196, v153, v185
	s_waitcnt vmcnt(8)
	v_fma_f32 v4, v153, v186, -v4
	v_fmac_f32_e32 v196, v154, v186
	v_add_f32_e32 v3, v3, v4
	s_waitcnt vmcnt(7)
	v_mul_f32_e32 v4, v156, v187
	v_add_f32_e32 v116, v195, v196
	v_mul_f32_e32 v195, v155, v187
	s_waitcnt vmcnt(6)
	v_fma_f32 v4, v155, v188, -v4
	v_fmac_f32_e32 v195, v156, v188
	v_add_f32_e32 v3, v3, v4
	s_waitcnt vmcnt(5) lgkmcnt(0)
	v_mul_f32_e32 v4, v158, v189
	v_add_f32_e32 v116, v116, v195
	v_mul_f32_e32 v195, v157, v189
	s_waitcnt vmcnt(4)
	v_fma_f32 v4, v157, v190, -v4
	v_fmac_f32_e32 v195, v158, v190
	v_add_f32_e32 v3, v3, v4
	s_waitcnt vmcnt(3)
	v_mul_f32_e32 v4, v160, v191
	v_add_f32_e32 v116, v116, v195
	v_mul_f32_e32 v195, v159, v191
	s_waitcnt vmcnt(2)
	v_fma_f32 v4, v159, v192, -v4
	v_fmac_f32_e32 v195, v160, v192
	v_add_f32_e32 v3, v3, v4
	v_add_f32_e32 v116, v116, v195
	s_waitcnt vmcnt(1)
	v_sub_f32_e32 v3, v193, v3
	s_waitcnt vmcnt(0)
	v_sub_f32_e32 v4, v194, v116
	buffer_store_dword v3, off, s[0:3], 0 offset:272
	buffer_store_dword v4, off, s[0:3], 0 offset:276
	s_and_saveexec_b64 s[4:5], vcc
	s_cbranch_execz .LBB120_289
; %bb.288:
	buffer_load_dword v3, off, s[0:3], 0 offset:264
	buffer_load_dword v4, off, s[0:3], 0 offset:268
	v_mov_b32_e32 v5, 0
	buffer_store_dword v5, off, s[0:3], 0 offset:264
	buffer_store_dword v5, off, s[0:3], 0 offset:268
	s_waitcnt vmcnt(2)
	ds_write_b64 v115, v[3:4]
.LBB120_289:
	s_or_b64 exec, exec, s[4:5]
	s_waitcnt lgkmcnt(0)
	; wave barrier
	buffer_load_dword v5, off, s[0:3], 0 offset:276
	buffer_load_dword v6, off, s[0:3], 0 offset:284
	;; [unrolled: 1-line block ×48, first 2 shown]
	v_mov_b32_e32 v116, 0
	ds_read_b128 v[117:120], v116 offset:736
	ds_read_b128 v[121:124], v116 offset:752
	;; [unrolled: 1-line block ×7, first 2 shown]
	v_cmp_lt_u32_e32 vcc, 32, v0
	ds_read_b128 v[157:160], v116 offset:896
	s_waitcnt vmcnt(47) lgkmcnt(7)
	v_mul_f32_e32 v3, v117, v5
	v_mul_f32_e32 v5, v118, v5
	s_waitcnt vmcnt(46)
	v_mul_f32_e32 v4, v119, v6
	v_mul_f32_e32 v6, v120, v6
	s_waitcnt vmcnt(45) lgkmcnt(6)
	v_mul_f32_e32 v145, v121, v7
	s_waitcnt vmcnt(44)
	v_mul_f32_e32 v146, v123, v8
	s_waitcnt vmcnt(43) lgkmcnt(5)
	v_mul_f32_e32 v147, v125, v9
	s_waitcnt vmcnt(42)
	;; [unrolled: 4-line block ×4, first 2 shown]
	v_mul_f32_e32 v152, v135, v14
	s_waitcnt vmcnt(35)
	v_fma_f32 v5, v117, v163, -v5
	v_add_f32_e32 v5, 0, v5
	s_waitcnt vmcnt(34)
	v_fma_f32 v6, v119, v164, -v6
	v_add_f32_e32 v5, v5, v6
	v_mul_f32_e32 v6, v122, v7
	s_waitcnt vmcnt(33)
	v_fma_f32 v6, v121, v165, -v6
	v_add_f32_e32 v5, v5, v6
	v_mul_f32_e32 v6, v124, v8
	;; [unrolled: 4-line block ×3, first 2 shown]
	s_waitcnt vmcnt(31)
	v_fma_f32 v6, v125, v167, -v6
	v_fmac_f32_e32 v3, v118, v163
	v_add_f32_e32 v5, v5, v6
	v_mul_f32_e32 v6, v128, v10
	v_fmac_f32_e32 v4, v120, v164
	v_add_f32_e32 v3, 0, v3
	s_waitcnt vmcnt(30)
	v_fma_f32 v6, v127, v168, -v6
	v_fmac_f32_e32 v145, v122, v165
	v_add_f32_e32 v3, v3, v4
	v_add_f32_e32 v5, v5, v6
	v_mul_f32_e32 v6, v130, v11
	v_fmac_f32_e32 v146, v124, v166
	v_add_f32_e32 v3, v3, v145
	s_waitcnt vmcnt(29)
	v_fma_f32 v6, v129, v169, -v6
	v_fmac_f32_e32 v147, v126, v167
	v_add_f32_e32 v3, v3, v146
	;; [unrolled: 8-line block ×4, first 2 shown]
	v_add_f32_e32 v5, v5, v6
	v_mul_f32_e32 v6, v136, v14
	s_waitcnt lgkmcnt(2)
	v_mul_f32_e32 v153, v137, v161
	s_waitcnt vmcnt(26)
	v_fmac_f32_e32 v152, v136, v172
	v_add_f32_e32 v3, v3, v151
	v_fma_f32 v6, v135, v172, -v6
	v_mul_f32_e32 v154, v139, v162
	s_waitcnt vmcnt(25)
	v_fmac_f32_e32 v153, v138, v173
	v_add_f32_e32 v3, v3, v152
	ds_read_b128 v[145:148], v116 offset:848
	ds_read_b128 v[149:152], v116 offset:864
	v_add_f32_e32 v5, v5, v6
	v_mul_f32_e32 v6, v138, v161
	s_waitcnt vmcnt(24)
	v_fmac_f32_e32 v154, v140, v174
	v_add_f32_e32 v3, v3, v153
	s_waitcnt vmcnt(23) lgkmcnt(3)
	v_mul_f32_e32 v4, v141, v175
	v_fma_f32 v6, v137, v173, -v6
	v_add_f32_e32 v3, v3, v154
	s_waitcnt vmcnt(22)
	v_fmac_f32_e32 v4, v142, v176
	v_add_f32_e32 v5, v5, v6
	v_mul_f32_e32 v6, v140, v162
	v_add_f32_e32 v3, v3, v4
	s_waitcnt vmcnt(21)
	v_mul_f32_e32 v4, v143, v177
	v_fma_f32 v6, v139, v174, -v6
	s_waitcnt vmcnt(20)
	v_fmac_f32_e32 v4, v144, v178
	v_add_f32_e32 v5, v5, v6
	v_mul_f32_e32 v6, v142, v175
	v_add_f32_e32 v3, v3, v4
	s_waitcnt vmcnt(19) lgkmcnt(1)
	v_mul_f32_e32 v4, v145, v179
	v_fma_f32 v6, v141, v176, -v6
	s_waitcnt vmcnt(18)
	v_fmac_f32_e32 v4, v146, v180
	v_add_f32_e32 v5, v5, v6
	v_mul_f32_e32 v6, v144, v177
	v_add_f32_e32 v3, v3, v4
	s_waitcnt vmcnt(17)
	v_mul_f32_e32 v4, v147, v181
	v_fma_f32 v6, v143, v178, -v6
	s_waitcnt vmcnt(16)
	v_fmac_f32_e32 v4, v148, v182
	ds_read_b128 v[153:156], v116 offset:880
	v_add_f32_e32 v5, v5, v6
	v_mul_f32_e32 v6, v146, v179
	v_add_f32_e32 v3, v3, v4
	s_waitcnt vmcnt(15) lgkmcnt(1)
	v_mul_f32_e32 v4, v149, v183
	v_fma_f32 v6, v145, v180, -v6
	s_waitcnt vmcnt(14)
	v_fmac_f32_e32 v4, v150, v184
	v_add_f32_e32 v5, v5, v6
	v_mul_f32_e32 v6, v148, v181
	v_add_f32_e32 v3, v3, v4
	s_waitcnt vmcnt(13)
	v_mul_f32_e32 v4, v151, v185
	v_fma_f32 v6, v147, v182, -v6
	s_waitcnt vmcnt(12)
	v_fmac_f32_e32 v4, v152, v186
	v_add_f32_e32 v5, v5, v6
	v_mul_f32_e32 v6, v150, v183
	v_add_f32_e32 v3, v3, v4
	s_waitcnt vmcnt(11) lgkmcnt(0)
	v_mul_f32_e32 v4, v153, v187
	v_fma_f32 v6, v149, v184, -v6
	s_waitcnt vmcnt(10)
	v_fmac_f32_e32 v4, v154, v188
	v_add_f32_e32 v5, v5, v6
	v_mul_f32_e32 v6, v152, v185
	v_add_f32_e32 v3, v3, v4
	s_waitcnt vmcnt(9)
	v_mul_f32_e32 v4, v155, v189
	v_fma_f32 v6, v151, v186, -v6
	s_waitcnt vmcnt(8)
	v_fmac_f32_e32 v4, v156, v190
	v_add_f32_e32 v5, v5, v6
	v_mul_f32_e32 v6, v154, v187
	v_add_f32_e32 v199, v3, v4
	ds_read_b64 v[3:4], v116 offset:912
	v_fma_f32 v6, v153, v188, -v6
	s_waitcnt vmcnt(6)
	v_mul_f32_e32 v200, v157, v192
	v_add_f32_e32 v5, v5, v6
	v_mul_f32_e32 v6, v156, v189
	v_fmac_f32_e32 v200, v158, v191
	v_fma_f32 v6, v155, v190, -v6
	v_add_f32_e32 v199, v199, v200
	s_waitcnt vmcnt(3)
	v_mul_f32_e32 v200, v159, v195
	v_add_f32_e32 v5, v5, v6
	v_mul_f32_e32 v6, v158, v192
	s_waitcnt vmcnt(2)
	v_fmac_f32_e32 v200, v160, v196
	v_fma_f32 v6, v157, v191, -v6
	v_add_f32_e32 v199, v199, v200
	s_waitcnt vmcnt(0) lgkmcnt(0)
	v_mul_f32_e32 v200, v3, v198
	v_add_f32_e32 v5, v5, v6
	v_mul_f32_e32 v6, v160, v195
	v_fmac_f32_e32 v200, v4, v197
	v_fma_f32 v6, v159, v196, -v6
	v_mul_f32_e32 v4, v4, v198
	v_add_f32_e32 v5, v5, v6
	v_fma_f32 v3, v3, v197, -v4
	v_add_f32_e32 v3, v5, v3
	v_add_f32_e32 v199, v199, v200
	v_sub_f32_e32 v3, v193, v3
	v_sub_f32_e32 v4, v194, v199
	buffer_store_dword v3, off, s[0:3], 0 offset:264
	buffer_store_dword v4, off, s[0:3], 0 offset:268
	s_and_saveexec_b64 s[4:5], vcc
	s_cbranch_execz .LBB120_291
; %bb.290:
	buffer_load_dword v3, off, s[0:3], 0 offset:256
	buffer_load_dword v4, off, s[0:3], 0 offset:260
	s_waitcnt vmcnt(0)
	ds_write_b64 v115, v[3:4]
	buffer_store_dword v116, off, s[0:3], 0 offset:256
	buffer_store_dword v116, off, s[0:3], 0 offset:260
.LBB120_291:
	s_or_b64 exec, exec, s[4:5]
	s_waitcnt lgkmcnt(0)
	; wave barrier
	buffer_load_dword v3, off, s[0:3], 0 offset:268
	buffer_load_dword v4, off, s[0:3], 0 offset:276
	;; [unrolled: 1-line block ×48, first 2 shown]
	ds_read2_b64 v[117:120], v116 offset0:91 offset1:92
	ds_read2_b64 v[121:124], v116 offset0:93 offset1:94
	buffer_load_dword v201, off, s[0:3], 0 offset:448
	buffer_load_dword v202, off, s[0:3], 0 offset:452
	ds_read2_b64 v[125:128], v116 offset0:95 offset1:96
	ds_read2_b64 v[129:132], v116 offset0:97 offset1:98
	;; [unrolled: 1-line block ×5, first 2 shown]
	v_cmp_lt_u32_e32 vcc, 31, v0
	s_waitcnt vmcnt(49) lgkmcnt(6)
	v_mul_f32_e32 v145, v117, v3
	v_mul_f32_e32 v3, v118, v3
	s_waitcnt vmcnt(48)
	v_mul_f32_e32 v146, v119, v4
	v_mul_f32_e32 v4, v120, v4
	s_waitcnt vmcnt(47) lgkmcnt(5)
	v_mul_f32_e32 v147, v121, v5
	s_waitcnt vmcnt(46)
	v_mul_f32_e32 v148, v123, v6
	s_waitcnt vmcnt(45) lgkmcnt(4)
	v_mul_f32_e32 v149, v125, v7
	s_waitcnt vmcnt(44)
	;; [unrolled: 4-line block ×4, first 2 shown]
	v_mul_f32_e32 v154, v135, v12
	s_waitcnt vmcnt(37)
	v_fma_f32 v3, v117, v165, -v3
	v_add_f32_e32 v3, 0, v3
	s_waitcnt vmcnt(36)
	v_fma_f32 v4, v119, v166, -v4
	v_add_f32_e32 v3, v3, v4
	v_mul_f32_e32 v4, v122, v5
	v_fmac_f32_e32 v145, v118, v165
	s_waitcnt vmcnt(35)
	v_fma_f32 v4, v121, v167, -v4
	v_fmac_f32_e32 v146, v120, v166
	v_add_f32_e32 v145, 0, v145
	v_add_f32_e32 v3, v3, v4
	v_mul_f32_e32 v4, v124, v6
	v_fmac_f32_e32 v147, v122, v167
	v_add_f32_e32 v145, v145, v146
	s_waitcnt vmcnt(34)
	v_fma_f32 v4, v123, v168, -v4
	v_fmac_f32_e32 v148, v124, v168
	v_add_f32_e32 v145, v145, v147
	v_add_f32_e32 v3, v3, v4
	v_mul_f32_e32 v4, v126, v7
	s_waitcnt vmcnt(33)
	v_fmac_f32_e32 v149, v126, v169
	v_add_f32_e32 v145, v145, v148
	v_fma_f32 v4, v125, v169, -v4
	s_waitcnt vmcnt(32)
	v_fmac_f32_e32 v150, v128, v170
	v_add_f32_e32 v145, v145, v149
	v_add_f32_e32 v3, v3, v4
	v_mul_f32_e32 v4, v128, v8
	s_waitcnt vmcnt(31)
	v_fmac_f32_e32 v151, v130, v171
	v_add_f32_e32 v145, v145, v150
	v_fma_f32 v4, v127, v170, -v4
	s_waitcnt vmcnt(30)
	v_fmac_f32_e32 v152, v132, v172
	v_add_f32_e32 v145, v145, v151
	v_add_f32_e32 v3, v3, v4
	v_mul_f32_e32 v4, v130, v9
	s_waitcnt vmcnt(29)
	v_fmac_f32_e32 v153, v134, v173
	v_add_f32_e32 v145, v145, v152
	v_fma_f32 v4, v129, v171, -v4
	s_waitcnt lgkmcnt(1)
	v_mul_f32_e32 v155, v137, v13
	s_waitcnt vmcnt(28)
	v_fmac_f32_e32 v154, v136, v174
	v_add_f32_e32 v145, v145, v153
	v_add_f32_e32 v3, v3, v4
	v_mul_f32_e32 v4, v132, v10
	v_mul_f32_e32 v156, v139, v14
	s_waitcnt vmcnt(27)
	v_fmac_f32_e32 v155, v138, v175
	v_add_f32_e32 v145, v145, v154
	v_fma_f32 v4, v131, v172, -v4
	v_add_f32_e32 v145, v145, v155
	s_waitcnt vmcnt(26)
	v_fmac_f32_e32 v156, v140, v176
	v_add_f32_e32 v3, v3, v4
	v_mul_f32_e32 v4, v134, v11
	v_add_f32_e32 v149, v145, v156
	ds_read2_b64 v[145:148], v116 offset0:105 offset1:106
	v_fma_f32 v4, v133, v173, -v4
	s_waitcnt vmcnt(25) lgkmcnt(1)
	v_mul_f32_e32 v150, v141, v177
	v_add_f32_e32 v3, v3, v4
	v_mul_f32_e32 v4, v136, v12
	s_waitcnt vmcnt(24)
	v_fmac_f32_e32 v150, v142, v178
	v_fma_f32 v4, v135, v174, -v4
	v_add_f32_e32 v149, v149, v150
	s_waitcnt vmcnt(23)
	v_mul_f32_e32 v150, v143, v179
	v_add_f32_e32 v3, v3, v4
	v_mul_f32_e32 v4, v138, v13
	s_waitcnt vmcnt(22)
	v_fmac_f32_e32 v150, v144, v180
	v_fma_f32 v4, v137, v175, -v4
	v_add_f32_e32 v149, v149, v150
	s_waitcnt vmcnt(21) lgkmcnt(0)
	v_mul_f32_e32 v150, v145, v181
	v_add_f32_e32 v3, v3, v4
	v_mul_f32_e32 v4, v140, v14
	s_waitcnt vmcnt(20)
	v_fmac_f32_e32 v150, v146, v182
	v_fma_f32 v4, v139, v176, -v4
	v_add_f32_e32 v153, v149, v150
	ds_read2_b64 v[149:152], v116 offset0:107 offset1:108
	v_add_f32_e32 v3, v3, v4
	v_mul_f32_e32 v4, v142, v177
	v_fma_f32 v4, v141, v178, -v4
	s_waitcnt vmcnt(19)
	v_mul_f32_e32 v154, v147, v183
	v_add_f32_e32 v3, v3, v4
	v_mul_f32_e32 v4, v144, v179
	s_waitcnt vmcnt(18)
	v_fmac_f32_e32 v154, v148, v184
	v_fma_f32 v4, v143, v180, -v4
	v_add_f32_e32 v157, v153, v154
	ds_read2_b64 v[153:156], v116 offset0:109 offset1:110
	v_add_f32_e32 v3, v3, v4
	v_mul_f32_e32 v4, v146, v181
	s_waitcnt vmcnt(17) lgkmcnt(1)
	v_mul_f32_e32 v158, v149, v185
	v_fma_f32 v4, v145, v182, -v4
	s_waitcnt vmcnt(16)
	v_fmac_f32_e32 v158, v150, v186
	v_add_f32_e32 v3, v3, v4
	v_mul_f32_e32 v4, v148, v183
	v_add_f32_e32 v157, v157, v158
	s_waitcnt vmcnt(15)
	v_mul_f32_e32 v158, v151, v187
	v_fma_f32 v4, v147, v184, -v4
	s_waitcnt vmcnt(14)
	v_fmac_f32_e32 v158, v152, v188
	v_add_f32_e32 v3, v3, v4
	v_mul_f32_e32 v4, v150, v185
	v_add_f32_e32 v157, v157, v158
	s_waitcnt vmcnt(13) lgkmcnt(0)
	v_mul_f32_e32 v158, v153, v189
	v_fma_f32 v4, v149, v186, -v4
	s_waitcnt vmcnt(12)
	v_fmac_f32_e32 v158, v154, v190
	v_add_f32_e32 v3, v3, v4
	v_mul_f32_e32 v4, v152, v187
	v_add_f32_e32 v161, v157, v158
	ds_read2_b64 v[157:160], v116 offset0:111 offset1:112
	v_fma_f32 v4, v151, v188, -v4
	v_add_f32_e32 v3, v3, v4
	v_mul_f32_e32 v4, v154, v189
	s_waitcnt vmcnt(11)
	v_mul_f32_e32 v162, v155, v191
	v_fma_f32 v4, v153, v190, -v4
	s_waitcnt vmcnt(10)
	v_fmac_f32_e32 v162, v156, v192
	v_add_f32_e32 v3, v3, v4
	v_mul_f32_e32 v4, v156, v191
	v_add_f32_e32 v203, v161, v162
	ds_read2_b64 v[161:164], v116 offset0:113 offset1:114
	v_fma_f32 v4, v155, v192, -v4
	v_add_f32_e32 v3, v3, v4
	s_waitcnt vmcnt(7) lgkmcnt(1)
	v_mul_f32_e32 v4, v158, v195
	v_mul_f32_e32 v116, v157, v195
	s_waitcnt vmcnt(6)
	v_fma_f32 v4, v157, v196, -v4
	v_fmac_f32_e32 v116, v158, v196
	v_add_f32_e32 v3, v3, v4
	s_waitcnt vmcnt(4)
	v_mul_f32_e32 v4, v160, v198
	v_add_f32_e32 v116, v203, v116
	v_mul_f32_e32 v203, v159, v198
	v_fma_f32 v4, v159, v197, -v4
	v_fmac_f32_e32 v203, v160, v197
	v_add_f32_e32 v3, v3, v4
	s_waitcnt vmcnt(2) lgkmcnt(0)
	v_mul_f32_e32 v4, v162, v200
	v_add_f32_e32 v116, v116, v203
	v_mul_f32_e32 v203, v161, v200
	v_fma_f32 v4, v161, v199, -v4
	v_fmac_f32_e32 v203, v162, v199
	v_add_f32_e32 v3, v3, v4
	s_waitcnt vmcnt(0)
	v_mul_f32_e32 v4, v164, v202
	v_add_f32_e32 v116, v116, v203
	v_mul_f32_e32 v203, v163, v202
	v_fma_f32 v4, v163, v201, -v4
	v_fmac_f32_e32 v203, v164, v201
	v_add_f32_e32 v3, v3, v4
	v_add_f32_e32 v116, v116, v203
	v_sub_f32_e32 v3, v193, v3
	v_sub_f32_e32 v4, v194, v116
	buffer_store_dword v3, off, s[0:3], 0 offset:256
	buffer_store_dword v4, off, s[0:3], 0 offset:260
	s_and_saveexec_b64 s[4:5], vcc
	s_cbranch_execz .LBB120_293
; %bb.292:
	buffer_load_dword v3, off, s[0:3], 0 offset:248
	buffer_load_dword v4, off, s[0:3], 0 offset:252
	v_mov_b32_e32 v5, 0
	buffer_store_dword v5, off, s[0:3], 0 offset:248
	buffer_store_dword v5, off, s[0:3], 0 offset:252
	s_waitcnt vmcnt(2)
	ds_write_b64 v115, v[3:4]
.LBB120_293:
	s_or_b64 exec, exec, s[4:5]
	s_waitcnt lgkmcnt(0)
	; wave barrier
	buffer_load_dword v5, off, s[0:3], 0 offset:260
	buffer_load_dword v6, off, s[0:3], 0 offset:268
	;; [unrolled: 1-line block ×52, first 2 shown]
	v_mov_b32_e32 v116, 0
	ds_read_b128 v[117:120], v116 offset:720
	ds_read_b128 v[121:124], v116 offset:736
	ds_read_b128 v[125:128], v116 offset:752
	ds_read_b128 v[129:132], v116 offset:768
	ds_read_b128 v[133:136], v116 offset:784
	ds_read_b128 v[137:140], v116 offset:800
	ds_read_b128 v[157:160], v116 offset:880
	ds_read_b128 v[161:164], v116 offset:896
	v_cmp_lt_u32_e32 vcc, 30, v0
	ds_read_b128 v[153:156], v116 offset:864
	s_waitcnt vmcnt(51) lgkmcnt(8)
	v_mul_f32_e32 v3, v117, v5
	v_mul_f32_e32 v5, v118, v5
	s_waitcnt vmcnt(50)
	v_mul_f32_e32 v4, v119, v6
	v_mul_f32_e32 v6, v120, v6
	s_waitcnt vmcnt(49) lgkmcnt(7)
	v_mul_f32_e32 v141, v121, v7
	s_waitcnt vmcnt(48)
	v_mul_f32_e32 v142, v123, v8
	s_waitcnt vmcnt(47) lgkmcnt(6)
	v_mul_f32_e32 v143, v125, v9
	s_waitcnt vmcnt(46)
	;; [unrolled: 4-line block ×4, first 2 shown]
	v_fma_f32 v5, v117, v166, -v5
	v_add_f32_e32 v5, 0, v5
	s_waitcnt vmcnt(39)
	v_fma_f32 v6, v119, v167, -v6
	v_add_f32_e32 v5, v5, v6
	v_mul_f32_e32 v6, v122, v7
	s_waitcnt vmcnt(38)
	v_fma_f32 v6, v121, v168, -v6
	v_add_f32_e32 v5, v5, v6
	v_mul_f32_e32 v6, v124, v8
	;; [unrolled: 4-line block ×3, first 2 shown]
	v_fmac_f32_e32 v3, v118, v166
	s_waitcnt vmcnt(36)
	v_fma_f32 v6, v125, v170, -v6
	v_fmac_f32_e32 v4, v120, v167
	v_add_f32_e32 v3, 0, v3
	v_add_f32_e32 v5, v5, v6
	v_mul_f32_e32 v6, v128, v10
	v_fmac_f32_e32 v141, v122, v168
	v_add_f32_e32 v3, v3, v4
	s_waitcnt vmcnt(35)
	v_fma_f32 v6, v127, v171, -v6
	v_fmac_f32_e32 v142, v124, v169
	v_add_f32_e32 v3, v3, v141
	v_add_f32_e32 v5, v5, v6
	v_mul_f32_e32 v6, v130, v11
	v_fmac_f32_e32 v143, v126, v170
	v_add_f32_e32 v3, v3, v142
	s_waitcnt vmcnt(34)
	v_fma_f32 v6, v129, v172, -v6
	v_fmac_f32_e32 v144, v128, v171
	v_add_f32_e32 v3, v3, v143
	v_add_f32_e32 v5, v5, v6
	v_mul_f32_e32 v6, v132, v12
	v_fmac_f32_e32 v145, v130, v172
	v_add_f32_e32 v3, v3, v144
	s_waitcnt vmcnt(33)
	v_fma_f32 v6, v131, v173, -v6
	v_fmac_f32_e32 v146, v132, v173
	v_add_f32_e32 v3, v3, v145
	ds_read_b128 v[141:144], v116 offset:816
	v_add_f32_e32 v5, v5, v6
	v_mul_f32_e32 v6, v134, v13
	v_mul_f32_e32 v148, v135, v14
	s_waitcnt vmcnt(32)
	v_fmac_f32_e32 v147, v134, v174
	v_add_f32_e32 v3, v3, v146
	v_fma_f32 v6, v133, v174, -v6
	s_waitcnt lgkmcnt(4)
	v_mul_f32_e32 v149, v137, v165
	s_waitcnt vmcnt(31)
	v_fmac_f32_e32 v148, v136, v175
	v_add_f32_e32 v3, v3, v147
	v_add_f32_e32 v5, v5, v6
	v_mul_f32_e32 v6, v136, v14
	v_add_f32_e32 v3, v3, v148
	s_waitcnt vmcnt(30)
	v_fmac_f32_e32 v149, v138, v176
	s_waitcnt vmcnt(29)
	v_mul_f32_e32 v4, v139, v177
	v_fma_f32 v6, v135, v175, -v6
	v_add_f32_e32 v3, v3, v149
	s_waitcnt vmcnt(28)
	v_fmac_f32_e32 v4, v140, v178
	ds_read_b128 v[145:148], v116 offset:832
	v_add_f32_e32 v5, v5, v6
	v_mul_f32_e32 v6, v138, v165
	v_add_f32_e32 v3, v3, v4
	s_waitcnt vmcnt(27) lgkmcnt(1)
	v_mul_f32_e32 v4, v141, v179
	v_fma_f32 v6, v137, v176, -v6
	s_waitcnt vmcnt(26)
	v_fmac_f32_e32 v4, v142, v180
	v_add_f32_e32 v5, v5, v6
	v_mul_f32_e32 v6, v140, v177
	v_add_f32_e32 v3, v3, v4
	s_waitcnt vmcnt(25)
	v_mul_f32_e32 v4, v143, v181
	v_fma_f32 v6, v139, v178, -v6
	s_waitcnt vmcnt(24)
	v_fmac_f32_e32 v4, v144, v182
	ds_read_b128 v[149:152], v116 offset:848
	v_add_f32_e32 v5, v5, v6
	v_mul_f32_e32 v6, v142, v179
	v_add_f32_e32 v3, v3, v4
	s_waitcnt vmcnt(23) lgkmcnt(1)
	v_mul_f32_e32 v4, v145, v183
	v_fma_f32 v6, v141, v180, -v6
	s_waitcnt vmcnt(22)
	v_fmac_f32_e32 v4, v146, v184
	v_add_f32_e32 v5, v5, v6
	v_mul_f32_e32 v6, v144, v181
	v_add_f32_e32 v3, v3, v4
	s_waitcnt vmcnt(21)
	v_mul_f32_e32 v4, v147, v185
	v_fma_f32 v6, v143, v182, -v6
	s_waitcnt vmcnt(20)
	v_fmac_f32_e32 v4, v148, v186
	v_add_f32_e32 v5, v5, v6
	v_mul_f32_e32 v6, v146, v183
	v_add_f32_e32 v3, v3, v4
	s_waitcnt vmcnt(19) lgkmcnt(0)
	v_mul_f32_e32 v4, v149, v187
	v_fma_f32 v6, v145, v184, -v6
	s_waitcnt vmcnt(18)
	v_fmac_f32_e32 v4, v150, v188
	v_add_f32_e32 v5, v5, v6
	v_mul_f32_e32 v6, v148, v185
	v_add_f32_e32 v3, v3, v4
	s_waitcnt vmcnt(17)
	v_mul_f32_e32 v4, v151, v189
	v_fma_f32 v6, v147, v186, -v6
	s_waitcnt vmcnt(16)
	v_fmac_f32_e32 v4, v152, v190
	v_add_f32_e32 v5, v5, v6
	v_mul_f32_e32 v6, v150, v187
	v_add_f32_e32 v3, v3, v4
	s_waitcnt vmcnt(14)
	v_mul_f32_e32 v4, v153, v192
	v_fma_f32 v6, v149, v188, -v6
	v_fmac_f32_e32 v4, v154, v191
	v_add_f32_e32 v5, v5, v6
	v_mul_f32_e32 v6, v152, v189
	v_add_f32_e32 v3, v3, v4
	s_waitcnt vmcnt(11)
	v_mul_f32_e32 v4, v155, v195
	v_fma_f32 v6, v151, v190, -v6
	s_waitcnt vmcnt(10)
	v_fmac_f32_e32 v4, v156, v196
	v_add_f32_e32 v5, v5, v6
	v_mul_f32_e32 v6, v154, v192
	v_add_f32_e32 v3, v3, v4
	s_waitcnt vmcnt(8)
	v_mul_f32_e32 v4, v157, v198
	v_fma_f32 v6, v153, v191, -v6
	v_fmac_f32_e32 v4, v158, v197
	v_add_f32_e32 v5, v5, v6
	v_mul_f32_e32 v6, v156, v195
	v_add_f32_e32 v3, v3, v4
	s_waitcnt vmcnt(6)
	v_mul_f32_e32 v4, v159, v200
	v_fma_f32 v6, v155, v196, -v6
	v_fmac_f32_e32 v4, v160, v199
	v_add_f32_e32 v5, v5, v6
	v_mul_f32_e32 v6, v158, v198
	v_add_f32_e32 v207, v3, v4
	ds_read_b64 v[3:4], v116 offset:912
	v_fma_f32 v6, v157, v197, -v6
	s_waitcnt vmcnt(4)
	v_mul_f32_e32 v208, v161, v202
	v_add_f32_e32 v5, v5, v6
	v_mul_f32_e32 v6, v160, v200
	v_fmac_f32_e32 v208, v162, v201
	v_fma_f32 v6, v159, v199, -v6
	v_add_f32_e32 v207, v207, v208
	s_waitcnt vmcnt(2)
	v_mul_f32_e32 v208, v163, v204
	v_add_f32_e32 v5, v5, v6
	v_mul_f32_e32 v6, v162, v202
	v_fmac_f32_e32 v208, v164, v203
	v_fma_f32 v6, v161, v201, -v6
	v_add_f32_e32 v207, v207, v208
	s_waitcnt vmcnt(0) lgkmcnt(0)
	v_mul_f32_e32 v208, v3, v206
	v_add_f32_e32 v5, v5, v6
	v_mul_f32_e32 v6, v164, v204
	v_fmac_f32_e32 v208, v4, v205
	v_fma_f32 v6, v163, v203, -v6
	v_mul_f32_e32 v4, v4, v206
	v_add_f32_e32 v5, v5, v6
	v_fma_f32 v3, v3, v205, -v4
	v_add_f32_e32 v3, v5, v3
	v_add_f32_e32 v207, v207, v208
	v_sub_f32_e32 v3, v193, v3
	v_sub_f32_e32 v4, v194, v207
	buffer_store_dword v3, off, s[0:3], 0 offset:248
	buffer_store_dword v4, off, s[0:3], 0 offset:252
	s_and_saveexec_b64 s[4:5], vcc
	s_cbranch_execz .LBB120_295
; %bb.294:
	buffer_load_dword v3, off, s[0:3], 0 offset:240
	buffer_load_dword v4, off, s[0:3], 0 offset:244
	s_waitcnt vmcnt(0)
	ds_write_b64 v115, v[3:4]
	buffer_store_dword v116, off, s[0:3], 0 offset:240
	buffer_store_dword v116, off, s[0:3], 0 offset:244
.LBB120_295:
	s_or_b64 exec, exec, s[4:5]
	s_waitcnt lgkmcnt(0)
	; wave barrier
	buffer_load_dword v3, off, s[0:3], 0 offset:252
	buffer_load_dword v4, off, s[0:3], 0 offset:260
	;; [unrolled: 1-line block ×42, first 2 shown]
	ds_read2_b64 v[117:120], v116 offset0:89 offset1:90
	ds_read2_b64 v[121:124], v116 offset0:91 offset1:92
	;; [unrolled: 1-line block ×4, first 2 shown]
	buffer_load_dword v199, off, s[0:3], 0 offset:412
	buffer_load_dword v200, off, s[0:3], 0 offset:408
	;; [unrolled: 1-line block ×6, first 2 shown]
	ds_read2_b64 v[133:136], v116 offset0:97 offset1:98
	ds_read2_b64 v[137:140], v116 offset0:99 offset1:100
	buffer_load_dword v205, off, s[0:3], 0 offset:432
	buffer_load_dword v206, off, s[0:3], 0 offset:436
	;; [unrolled: 1-line block ×6, first 2 shown]
	v_cmp_lt_u32_e32 vcc, 29, v0
	s_waitcnt vmcnt(53) lgkmcnt(5)
	v_mul_f32_e32 v141, v117, v3
	s_waitcnt vmcnt(52)
	v_mul_f32_e32 v142, v119, v4
	v_mul_f32_e32 v3, v118, v3
	s_waitcnt vmcnt(51) lgkmcnt(4)
	v_mul_f32_e32 v143, v121, v5
	v_mul_f32_e32 v4, v120, v4
	s_waitcnt vmcnt(50)
	v_mul_f32_e32 v144, v123, v6
	s_waitcnt vmcnt(49) lgkmcnt(3)
	v_mul_f32_e32 v145, v125, v7
	s_waitcnt vmcnt(48)
	v_mul_f32_e32 v146, v127, v8
	s_waitcnt vmcnt(47) lgkmcnt(2)
	v_mul_f32_e32 v147, v129, v9
	s_waitcnt vmcnt(46)
	v_mul_f32_e32 v148, v131, v10
	s_waitcnt vmcnt(43)
	v_fmac_f32_e32 v141, v118, v13
	s_waitcnt vmcnt(42)
	v_fmac_f32_e32 v142, v120, v14
	v_add_f32_e32 v141, 0, v141
	v_fma_f32 v3, v117, v13, -v3
	s_waitcnt vmcnt(41)
	v_fmac_f32_e32 v143, v122, v169
	v_add_f32_e32 v141, v141, v142
	v_add_f32_e32 v3, 0, v3
	v_fma_f32 v4, v119, v14, -v4
	s_waitcnt vmcnt(40)
	v_fmac_f32_e32 v144, v124, v170
	v_add_f32_e32 v141, v141, v143
	v_add_f32_e32 v3, v3, v4
	v_mul_f32_e32 v4, v122, v5
	s_waitcnt vmcnt(39)
	v_fmac_f32_e32 v145, v126, v171
	v_add_f32_e32 v141, v141, v144
	v_fma_f32 v4, v121, v169, -v4
	s_waitcnt vmcnt(38)
	v_fmac_f32_e32 v146, v128, v172
	v_add_f32_e32 v141, v141, v145
	v_add_f32_e32 v3, v3, v4
	v_mul_f32_e32 v4, v124, v6
	s_waitcnt vmcnt(37)
	v_fmac_f32_e32 v147, v130, v173
	v_add_f32_e32 v141, v141, v146
	v_fma_f32 v4, v123, v170, -v4
	s_waitcnt lgkmcnt(1)
	v_mul_f32_e32 v149, v133, v11
	s_waitcnt vmcnt(36)
	v_fmac_f32_e32 v148, v132, v174
	v_add_f32_e32 v141, v141, v147
	v_add_f32_e32 v3, v3, v4
	v_mul_f32_e32 v4, v126, v7
	v_mul_f32_e32 v150, v135, v12
	s_waitcnt vmcnt(35)
	v_fmac_f32_e32 v149, v134, v175
	v_add_f32_e32 v141, v141, v148
	v_fma_f32 v4, v125, v171, -v4
	s_waitcnt vmcnt(34)
	v_fmac_f32_e32 v150, v136, v176
	v_add_f32_e32 v141, v141, v149
	s_waitcnt vmcnt(33) lgkmcnt(0)
	v_mul_f32_e32 v142, v137, v177
	v_add_f32_e32 v3, v3, v4
	v_mul_f32_e32 v4, v128, v8
	v_add_f32_e32 v141, v141, v150
	s_waitcnt vmcnt(32)
	v_fmac_f32_e32 v142, v138, v178
	v_fma_f32 v4, v127, v172, -v4
	v_add_f32_e32 v145, v141, v142
	ds_read2_b64 v[141:144], v116 offset0:101 offset1:102
	v_add_f32_e32 v3, v3, v4
	v_mul_f32_e32 v4, v130, v9
	v_fma_f32 v4, v129, v173, -v4
	s_waitcnt vmcnt(31)
	v_mul_f32_e32 v146, v139, v179
	v_add_f32_e32 v3, v3, v4
	v_mul_f32_e32 v4, v132, v10
	s_waitcnt vmcnt(30)
	v_fmac_f32_e32 v146, v140, v180
	v_fma_f32 v4, v131, v174, -v4
	v_add_f32_e32 v149, v145, v146
	ds_read2_b64 v[145:148], v116 offset0:103 offset1:104
	v_add_f32_e32 v3, v3, v4
	v_mul_f32_e32 v4, v134, v11
	s_waitcnt vmcnt(29) lgkmcnt(1)
	v_mul_f32_e32 v150, v141, v181
	v_fma_f32 v4, v133, v175, -v4
	s_waitcnt vmcnt(28)
	v_fmac_f32_e32 v150, v142, v182
	v_add_f32_e32 v3, v3, v4
	v_mul_f32_e32 v4, v136, v12
	v_add_f32_e32 v149, v149, v150
	s_waitcnt vmcnt(27)
	v_mul_f32_e32 v150, v143, v183
	v_fma_f32 v4, v135, v176, -v4
	s_waitcnt vmcnt(26)
	v_fmac_f32_e32 v150, v144, v184
	v_add_f32_e32 v3, v3, v4
	v_mul_f32_e32 v4, v138, v177
	v_add_f32_e32 v149, v149, v150
	s_waitcnt vmcnt(25) lgkmcnt(0)
	v_mul_f32_e32 v150, v145, v185
	v_fma_f32 v4, v137, v178, -v4
	s_waitcnt vmcnt(24)
	v_fmac_f32_e32 v150, v146, v186
	v_add_f32_e32 v3, v3, v4
	v_mul_f32_e32 v4, v140, v179
	v_add_f32_e32 v153, v149, v150
	ds_read2_b64 v[149:152], v116 offset0:105 offset1:106
	v_fma_f32 v4, v139, v180, -v4
	v_add_f32_e32 v3, v3, v4
	v_mul_f32_e32 v4, v142, v181
	s_waitcnt vmcnt(23)
	v_mul_f32_e32 v154, v147, v187
	v_fma_f32 v4, v141, v182, -v4
	s_waitcnt vmcnt(22)
	v_fmac_f32_e32 v154, v148, v188
	v_add_f32_e32 v3, v3, v4
	v_mul_f32_e32 v4, v144, v183
	v_add_f32_e32 v157, v153, v154
	ds_read2_b64 v[153:156], v116 offset0:107 offset1:108
	v_fma_f32 v4, v143, v184, -v4
	s_waitcnt vmcnt(21) lgkmcnt(1)
	v_mul_f32_e32 v158, v149, v189
	v_add_f32_e32 v3, v3, v4
	v_mul_f32_e32 v4, v146, v185
	s_waitcnt vmcnt(20)
	v_fmac_f32_e32 v158, v150, v190
	v_fma_f32 v4, v145, v186, -v4
	v_add_f32_e32 v157, v157, v158
	s_waitcnt vmcnt(18)
	v_mul_f32_e32 v158, v151, v192
	v_add_f32_e32 v3, v3, v4
	v_mul_f32_e32 v4, v148, v187
	v_fmac_f32_e32 v158, v152, v191
	v_fma_f32 v4, v147, v188, -v4
	v_add_f32_e32 v157, v157, v158
	s_waitcnt vmcnt(15) lgkmcnt(0)
	v_mul_f32_e32 v158, v153, v195
	v_add_f32_e32 v3, v3, v4
	v_mul_f32_e32 v4, v150, v189
	s_waitcnt vmcnt(14)
	v_fmac_f32_e32 v158, v154, v196
	v_fma_f32 v4, v149, v190, -v4
	v_add_f32_e32 v161, v157, v158
	ds_read2_b64 v[157:160], v116 offset0:109 offset1:110
	v_add_f32_e32 v3, v3, v4
	v_mul_f32_e32 v4, v152, v192
	v_fma_f32 v4, v151, v191, -v4
	v_add_f32_e32 v3, v3, v4
	v_mul_f32_e32 v4, v154, v195
	s_waitcnt vmcnt(12)
	v_mul_f32_e32 v162, v155, v198
	v_fma_f32 v4, v153, v196, -v4
	v_fmac_f32_e32 v162, v156, v197
	v_add_f32_e32 v3, v3, v4
	v_mul_f32_e32 v4, v156, v198
	v_add_f32_e32 v165, v161, v162
	ds_read2_b64 v[161:164], v116 offset0:111 offset1:112
	s_waitcnt vmcnt(11) lgkmcnt(1)
	v_mul_f32_e32 v166, v157, v199
	v_fma_f32 v4, v155, v197, -v4
	s_waitcnt vmcnt(10)
	v_fmac_f32_e32 v166, v158, v200
	v_add_f32_e32 v3, v3, v4
	v_mul_f32_e32 v4, v158, v199
	v_add_f32_e32 v165, v165, v166
	s_waitcnt vmcnt(8)
	v_mul_f32_e32 v166, v159, v202
	v_fma_f32 v4, v157, v200, -v4
	v_fmac_f32_e32 v166, v160, v201
	v_add_f32_e32 v3, v3, v4
	v_mul_f32_e32 v4, v160, v202
	v_add_f32_e32 v211, v165, v166
	ds_read2_b64 v[165:168], v116 offset0:113 offset1:114
	v_fma_f32 v4, v159, v201, -v4
	v_add_f32_e32 v3, v3, v4
	s_waitcnt vmcnt(6) lgkmcnt(1)
	v_mul_f32_e32 v4, v162, v204
	v_mul_f32_e32 v212, v161, v204
	v_fma_f32 v4, v161, v203, -v4
	v_fmac_f32_e32 v212, v162, v203
	v_add_f32_e32 v3, v3, v4
	s_waitcnt vmcnt(4)
	v_mul_f32_e32 v4, v164, v206
	v_add_f32_e32 v116, v211, v212
	v_mul_f32_e32 v211, v163, v206
	v_fma_f32 v4, v163, v205, -v4
	v_fmac_f32_e32 v211, v164, v205
	v_add_f32_e32 v3, v3, v4
	s_waitcnt vmcnt(2) lgkmcnt(0)
	v_mul_f32_e32 v4, v166, v208
	v_add_f32_e32 v116, v116, v211
	v_mul_f32_e32 v211, v165, v208
	v_fma_f32 v4, v165, v207, -v4
	v_fmac_f32_e32 v211, v166, v207
	v_add_f32_e32 v3, v3, v4
	s_waitcnt vmcnt(0)
	v_mul_f32_e32 v4, v168, v210
	v_add_f32_e32 v116, v116, v211
	v_mul_f32_e32 v211, v167, v210
	v_fma_f32 v4, v167, v209, -v4
	v_fmac_f32_e32 v211, v168, v209
	v_add_f32_e32 v3, v3, v4
	v_add_f32_e32 v116, v116, v211
	v_sub_f32_e32 v3, v193, v3
	v_sub_f32_e32 v4, v194, v116
	buffer_store_dword v3, off, s[0:3], 0 offset:240
	buffer_store_dword v4, off, s[0:3], 0 offset:244
	s_and_saveexec_b64 s[4:5], vcc
	s_cbranch_execz .LBB120_297
; %bb.296:
	buffer_load_dword v3, off, s[0:3], 0 offset:232
	buffer_load_dword v4, off, s[0:3], 0 offset:236
	v_mov_b32_e32 v5, 0
	buffer_store_dword v5, off, s[0:3], 0 offset:232
	buffer_store_dword v5, off, s[0:3], 0 offset:236
	s_waitcnt vmcnt(2)
	ds_write_b64 v115, v[3:4]
.LBB120_297:
	s_or_b64 exec, exec, s[4:5]
	s_waitcnt lgkmcnt(0)
	; wave barrier
	buffer_load_dword v5, off, s[0:3], 0 offset:244
	buffer_load_dword v6, off, s[0:3], 0 offset:252
	;; [unrolled: 1-line block ×56, first 2 shown]
	v_mov_b32_e32 v116, 0
	ds_read_b128 v[117:120], v116 offset:704
	ds_read_b128 v[121:124], v116 offset:720
	;; [unrolled: 1-line block ×11, first 2 shown]
	v_cmp_lt_u32_e32 vcc, 28, v0
	s_waitcnt vmcnt(55) lgkmcnt(10)
	v_mul_f32_e32 v3, v117, v5
	v_mul_f32_e32 v5, v118, v5
	s_waitcnt vmcnt(54)
	v_mul_f32_e32 v4, v119, v6
	v_mul_f32_e32 v6, v120, v6
	s_waitcnt vmcnt(53) lgkmcnt(9)
	v_mul_f32_e32 v141, v121, v7
	s_waitcnt vmcnt(52)
	v_mul_f32_e32 v142, v123, v8
	s_waitcnt vmcnt(51) lgkmcnt(8)
	v_mul_f32_e32 v143, v125, v9
	s_waitcnt vmcnt(50)
	;; [unrolled: 4-line block ×3, first 2 shown]
	v_fma_f32 v5, v117, v14, -v5
	v_add_f32_e32 v5, 0, v5
	s_waitcnt vmcnt(45)
	v_fma_f32 v6, v119, v169, -v6
	v_add_f32_e32 v5, v5, v6
	v_mul_f32_e32 v6, v122, v7
	s_waitcnt vmcnt(44)
	v_fma_f32 v6, v121, v170, -v6
	v_add_f32_e32 v5, v5, v6
	v_mul_f32_e32 v6, v124, v8
	v_fmac_f32_e32 v3, v118, v14
	s_waitcnt vmcnt(43)
	v_fma_f32 v6, v123, v171, -v6
	v_fmac_f32_e32 v4, v120, v169
	v_add_f32_e32 v3, 0, v3
	v_add_f32_e32 v5, v5, v6
	v_mul_f32_e32 v6, v126, v9
	v_fmac_f32_e32 v141, v122, v170
	v_add_f32_e32 v3, v3, v4
	s_waitcnt vmcnt(42)
	v_fma_f32 v6, v125, v172, -v6
	v_fmac_f32_e32 v142, v124, v171
	v_add_f32_e32 v3, v3, v141
	v_add_f32_e32 v5, v5, v6
	v_mul_f32_e32 v6, v128, v10
	v_fmac_f32_e32 v143, v126, v172
	v_add_f32_e32 v3, v3, v142
	s_waitcnt vmcnt(41)
	v_fma_f32 v6, v127, v173, -v6
	v_fmac_f32_e32 v144, v128, v173
	v_add_f32_e32 v3, v3, v143
	v_add_f32_e32 v5, v5, v6
	v_mul_f32_e32 v6, v130, v11
	v_mul_f32_e32 v146, v131, v12
	s_waitcnt vmcnt(40)
	v_fmac_f32_e32 v145, v130, v174
	v_add_f32_e32 v3, v3, v144
	v_fma_f32 v6, v129, v174, -v6
	s_waitcnt lgkmcnt(6)
	v_mul_f32_e32 v147, v133, v13
	s_waitcnt vmcnt(39)
	v_fmac_f32_e32 v146, v132, v175
	v_add_f32_e32 v3, v3, v145
	v_add_f32_e32 v5, v5, v6
	v_mul_f32_e32 v6, v132, v12
	v_add_f32_e32 v3, v3, v146
	s_waitcnt vmcnt(38)
	v_fmac_f32_e32 v147, v134, v176
	s_waitcnt vmcnt(37)
	v_mul_f32_e32 v4, v135, v177
	v_fma_f32 v6, v131, v175, -v6
	v_add_f32_e32 v3, v3, v147
	s_waitcnt vmcnt(36)
	v_fmac_f32_e32 v4, v136, v178
	ds_read_b128 v[141:144], v116 offset:800
	ds_read_b128 v[145:148], v116 offset:816
	v_add_f32_e32 v5, v5, v6
	v_mul_f32_e32 v6, v134, v13
	v_add_f32_e32 v3, v3, v4
	s_waitcnt vmcnt(35) lgkmcnt(7)
	v_mul_f32_e32 v4, v137, v179
	v_fma_f32 v6, v133, v176, -v6
	s_waitcnt vmcnt(34)
	v_fmac_f32_e32 v4, v138, v180
	v_add_f32_e32 v5, v5, v6
	v_mul_f32_e32 v6, v136, v177
	v_add_f32_e32 v3, v3, v4
	s_waitcnt vmcnt(33)
	v_mul_f32_e32 v4, v139, v181
	v_fma_f32 v6, v135, v178, -v6
	s_waitcnt vmcnt(32)
	v_fmac_f32_e32 v4, v140, v182
	v_add_f32_e32 v5, v5, v6
	v_mul_f32_e32 v6, v138, v179
	v_add_f32_e32 v3, v3, v4
	s_waitcnt vmcnt(31) lgkmcnt(1)
	v_mul_f32_e32 v4, v141, v183
	v_fma_f32 v6, v137, v180, -v6
	s_waitcnt vmcnt(30)
	v_fmac_f32_e32 v4, v142, v184
	v_add_f32_e32 v5, v5, v6
	v_mul_f32_e32 v6, v140, v181
	v_add_f32_e32 v3, v3, v4
	s_waitcnt vmcnt(29)
	v_mul_f32_e32 v4, v143, v185
	v_fma_f32 v6, v139, v182, -v6
	s_waitcnt vmcnt(28)
	v_fmac_f32_e32 v4, v144, v186
	v_add_f32_e32 v5, v5, v6
	v_mul_f32_e32 v6, v142, v183
	v_add_f32_e32 v3, v3, v4
	s_waitcnt vmcnt(27) lgkmcnt(0)
	v_mul_f32_e32 v4, v145, v187
	v_fma_f32 v6, v141, v184, -v6
	s_waitcnt vmcnt(26)
	v_fmac_f32_e32 v4, v146, v188
	v_add_f32_e32 v5, v5, v6
	v_mul_f32_e32 v6, v144, v185
	v_add_f32_e32 v3, v3, v4
	s_waitcnt vmcnt(24)
	v_mul_f32_e32 v4, v147, v190
	v_fma_f32 v6, v143, v186, -v6
	v_fmac_f32_e32 v4, v148, v189
	v_add_f32_e32 v5, v5, v6
	v_mul_f32_e32 v6, v146, v187
	v_add_f32_e32 v3, v3, v4
	s_waitcnt vmcnt(21)
	v_mul_f32_e32 v4, v149, v193
	v_fma_f32 v6, v145, v188, -v6
	s_waitcnt vmcnt(20)
	v_fmac_f32_e32 v4, v150, v194
	v_add_f32_e32 v5, v5, v6
	v_mul_f32_e32 v6, v148, v190
	v_add_f32_e32 v3, v3, v4
	s_waitcnt vmcnt(18)
	v_mul_f32_e32 v4, v151, v196
	v_fma_f32 v6, v147, v189, -v6
	v_fmac_f32_e32 v4, v152, v195
	v_add_f32_e32 v5, v5, v6
	v_mul_f32_e32 v6, v150, v193
	v_add_f32_e32 v3, v3, v4
	s_waitcnt vmcnt(16)
	v_mul_f32_e32 v4, v153, v198
	v_fma_f32 v6, v149, v194, -v6
	;; [unrolled: 7-line block ×7, first 2 shown]
	v_fmac_f32_e32 v4, v164, v207
	v_add_f32_e32 v5, v5, v6
	v_mul_f32_e32 v6, v162, v206
	v_add_f32_e32 v215, v3, v4
	ds_read_b64 v[3:4], v116 offset:912
	v_fma_f32 v6, v161, v205, -v6
	s_waitcnt vmcnt(4)
	v_mul_f32_e32 v216, v165, v210
	v_add_f32_e32 v5, v5, v6
	v_mul_f32_e32 v6, v164, v208
	v_fmac_f32_e32 v216, v166, v209
	v_fma_f32 v6, v163, v207, -v6
	v_add_f32_e32 v215, v215, v216
	s_waitcnt vmcnt(2)
	v_mul_f32_e32 v216, v167, v212
	v_add_f32_e32 v5, v5, v6
	v_mul_f32_e32 v6, v166, v210
	v_fmac_f32_e32 v216, v168, v211
	v_fma_f32 v6, v165, v209, -v6
	v_add_f32_e32 v215, v215, v216
	s_waitcnt vmcnt(0) lgkmcnt(0)
	v_mul_f32_e32 v216, v3, v214
	v_add_f32_e32 v5, v5, v6
	v_mul_f32_e32 v6, v168, v212
	v_fmac_f32_e32 v216, v4, v213
	v_fma_f32 v6, v167, v211, -v6
	v_mul_f32_e32 v4, v4, v214
	v_add_f32_e32 v5, v5, v6
	v_fma_f32 v3, v3, v213, -v4
	v_add_f32_e32 v3, v5, v3
	v_add_f32_e32 v215, v215, v216
	v_sub_f32_e32 v3, v191, v3
	v_sub_f32_e32 v4, v192, v215
	buffer_store_dword v3, off, s[0:3], 0 offset:232
	buffer_store_dword v4, off, s[0:3], 0 offset:236
	s_and_saveexec_b64 s[4:5], vcc
	s_cbranch_execz .LBB120_299
; %bb.298:
	buffer_load_dword v3, off, s[0:3], 0 offset:224
	buffer_load_dword v4, off, s[0:3], 0 offset:228
	s_waitcnt vmcnt(0)
	ds_write_b64 v115, v[3:4]
	buffer_store_dword v116, off, s[0:3], 0 offset:224
	buffer_store_dword v116, off, s[0:3], 0 offset:228
.LBB120_299:
	s_or_b64 exec, exec, s[4:5]
	s_waitcnt lgkmcnt(0)
	; wave barrier
	buffer_load_dword v3, off, s[0:3], 0 offset:236
	buffer_load_dword v4, off, s[0:3], 0 offset:244
	;; [unrolled: 1-line block ×34, first 2 shown]
	ds_read2_b64 v[117:120], v116 offset0:87 offset1:88
	ds_read2_b64 v[121:124], v116 offset0:89 offset1:90
	buffer_load_dword v195, off, s[0:3], 0 offset:364
	buffer_load_dword v196, off, s[0:3], 0 offset:360
	;; [unrolled: 1-line block ×6, first 2 shown]
	ds_read2_b64 v[125:128], v116 offset0:91 offset1:92
	ds_read2_b64 v[129:132], v116 offset0:93 offset1:94
	;; [unrolled: 1-line block ×4, first 2 shown]
	buffer_load_dword v201, off, s[0:3], 0 offset:388
	buffer_load_dword v202, off, s[0:3], 0 offset:384
	;; [unrolled: 1-line block ×18, first 2 shown]
	v_cmp_lt_u32_e32 vcc, 27, v0
	s_waitcnt vmcnt(57) lgkmcnt(5)
	v_mul_f32_e32 v141, v117, v3
	s_waitcnt vmcnt(56)
	v_mul_f32_e32 v142, v119, v4
	s_waitcnt vmcnt(55) lgkmcnt(4)
	v_mul_f32_e32 v143, v121, v5
	s_waitcnt vmcnt(54)
	v_mul_f32_e32 v144, v123, v6
	;; [unrolled: 4-line block ×3, first 2 shown]
	v_mul_f32_e32 v3, v118, v3
	s_waitcnt vmcnt(51) lgkmcnt(2)
	v_mul_f32_e32 v147, v129, v9
	s_waitcnt vmcnt(49)
	v_fmac_f32_e32 v141, v118, v11
	s_waitcnt vmcnt(48)
	v_fmac_f32_e32 v142, v120, v12
	v_add_f32_e32 v141, 0, v141
	s_waitcnt vmcnt(47)
	v_fmac_f32_e32 v143, v122, v13
	v_add_f32_e32 v141, v141, v142
	;; [unrolled: 3-line block ×5, first 2 shown]
	v_fma_f32 v3, v117, v11, -v3
	v_mul_f32_e32 v4, v120, v4
	v_mul_f32_e32 v148, v131, v10
	s_waitcnt vmcnt(43)
	v_fmac_f32_e32 v147, v130, v175
	v_add_f32_e32 v141, v141, v146
	v_add_f32_e32 v3, 0, v3
	v_fma_f32 v4, v119, v12, -v4
	s_waitcnt vmcnt(42)
	v_fmac_f32_e32 v148, v132, v176
	v_add_f32_e32 v141, v141, v147
	s_waitcnt vmcnt(41) lgkmcnt(1)
	v_mul_f32_e32 v142, v133, v177
	v_add_f32_e32 v3, v3, v4
	v_mul_f32_e32 v4, v122, v5
	v_add_f32_e32 v141, v141, v148
	s_waitcnt vmcnt(40)
	v_fmac_f32_e32 v142, v134, v178
	v_fma_f32 v4, v121, v13, -v4
	v_add_f32_e32 v141, v141, v142
	s_waitcnt vmcnt(39)
	v_mul_f32_e32 v142, v135, v179
	v_add_f32_e32 v3, v3, v4
	v_mul_f32_e32 v4, v124, v6
	s_waitcnt vmcnt(38)
	v_fmac_f32_e32 v142, v136, v180
	v_fma_f32 v4, v123, v14, -v4
	v_add_f32_e32 v141, v141, v142
	s_waitcnt vmcnt(37) lgkmcnt(0)
	v_mul_f32_e32 v142, v137, v181
	v_add_f32_e32 v3, v3, v4
	v_mul_f32_e32 v4, v126, v7
	s_waitcnt vmcnt(36)
	v_fmac_f32_e32 v142, v138, v182
	v_fma_f32 v4, v125, v173, -v4
	v_add_f32_e32 v145, v141, v142
	ds_read2_b64 v[141:144], v116 offset0:99 offset1:100
	v_add_f32_e32 v3, v3, v4
	v_mul_f32_e32 v4, v128, v8
	v_fma_f32 v4, v127, v174, -v4
	s_waitcnt vmcnt(35)
	v_mul_f32_e32 v146, v139, v183
	v_add_f32_e32 v3, v3, v4
	v_mul_f32_e32 v4, v130, v9
	s_waitcnt vmcnt(34)
	v_fmac_f32_e32 v146, v140, v184
	v_fma_f32 v4, v129, v175, -v4
	v_add_f32_e32 v149, v145, v146
	ds_read2_b64 v[145:148], v116 offset0:101 offset1:102
	v_add_f32_e32 v3, v3, v4
	v_mul_f32_e32 v4, v132, v10
	s_waitcnt vmcnt(33) lgkmcnt(1)
	v_mul_f32_e32 v150, v141, v185
	v_fma_f32 v4, v131, v176, -v4
	s_waitcnt vmcnt(32)
	v_fmac_f32_e32 v150, v142, v186
	v_add_f32_e32 v3, v3, v4
	v_mul_f32_e32 v4, v134, v177
	v_add_f32_e32 v149, v149, v150
	s_waitcnt vmcnt(31)
	v_mul_f32_e32 v150, v143, v187
	v_fma_f32 v4, v133, v178, -v4
	s_waitcnt vmcnt(30)
	v_fmac_f32_e32 v150, v144, v188
	v_add_f32_e32 v3, v3, v4
	v_mul_f32_e32 v4, v136, v179
	v_add_f32_e32 v149, v149, v150
	s_waitcnt vmcnt(29) lgkmcnt(0)
	v_mul_f32_e32 v150, v145, v189
	v_fma_f32 v4, v135, v180, -v4
	s_waitcnt vmcnt(28)
	v_fmac_f32_e32 v150, v146, v190
	v_add_f32_e32 v3, v3, v4
	v_mul_f32_e32 v4, v138, v181
	v_add_f32_e32 v153, v149, v150
	ds_read2_b64 v[149:152], v116 offset0:103 offset1:104
	v_fma_f32 v4, v137, v182, -v4
	v_add_f32_e32 v3, v3, v4
	v_mul_f32_e32 v4, v140, v183
	s_waitcnt vmcnt(25)
	v_mul_f32_e32 v154, v147, v193
	v_fma_f32 v4, v139, v184, -v4
	s_waitcnt vmcnt(24)
	v_fmac_f32_e32 v154, v148, v194
	v_add_f32_e32 v3, v3, v4
	v_mul_f32_e32 v4, v142, v185
	v_add_f32_e32 v157, v153, v154
	ds_read2_b64 v[153:156], v116 offset0:105 offset1:106
	v_fma_f32 v4, v141, v186, -v4
	s_waitcnt vmcnt(23) lgkmcnt(1)
	v_mul_f32_e32 v158, v149, v195
	v_add_f32_e32 v3, v3, v4
	v_mul_f32_e32 v4, v144, v187
	s_waitcnt vmcnt(22)
	v_fmac_f32_e32 v158, v150, v196
	v_fma_f32 v4, v143, v188, -v4
	v_add_f32_e32 v157, v157, v158
	s_waitcnt vmcnt(20)
	v_mul_f32_e32 v158, v151, v198
	v_add_f32_e32 v3, v3, v4
	v_mul_f32_e32 v4, v146, v189
	v_fmac_f32_e32 v158, v152, v197
	v_fma_f32 v4, v145, v190, -v4
	v_add_f32_e32 v157, v157, v158
	s_waitcnt vmcnt(18) lgkmcnt(0)
	v_mul_f32_e32 v158, v153, v200
	v_add_f32_e32 v3, v3, v4
	v_mul_f32_e32 v4, v148, v193
	v_fmac_f32_e32 v158, v154, v199
	v_fma_f32 v4, v147, v194, -v4
	v_add_f32_e32 v161, v157, v158
	ds_read2_b64 v[157:160], v116 offset0:107 offset1:108
	v_add_f32_e32 v3, v3, v4
	v_mul_f32_e32 v4, v150, v195
	v_fma_f32 v4, v149, v196, -v4
	s_waitcnt vmcnt(17)
	v_mul_f32_e32 v162, v155, v201
	v_add_f32_e32 v3, v3, v4
	v_mul_f32_e32 v4, v152, v198
	s_waitcnt vmcnt(16)
	v_fmac_f32_e32 v162, v156, v202
	v_fma_f32 v4, v151, v197, -v4
	v_add_f32_e32 v165, v161, v162
	ds_read2_b64 v[161:164], v116 offset0:109 offset1:110
	v_add_f32_e32 v3, v3, v4
	v_mul_f32_e32 v4, v154, v200
	s_waitcnt vmcnt(14) lgkmcnt(1)
	v_mul_f32_e32 v166, v157, v204
	v_fma_f32 v4, v153, v199, -v4
	v_fmac_f32_e32 v166, v158, v203
	v_add_f32_e32 v3, v3, v4
	v_mul_f32_e32 v4, v156, v201
	v_add_f32_e32 v165, v165, v166
	s_waitcnt vmcnt(12)
	v_mul_f32_e32 v166, v159, v206
	v_fma_f32 v4, v155, v202, -v4
	v_fmac_f32_e32 v166, v160, v205
	v_add_f32_e32 v3, v3, v4
	v_mul_f32_e32 v4, v158, v204
	v_add_f32_e32 v165, v165, v166
	s_waitcnt vmcnt(10) lgkmcnt(0)
	v_mul_f32_e32 v166, v161, v208
	v_fma_f32 v4, v157, v203, -v4
	v_fmac_f32_e32 v166, v162, v207
	v_add_f32_e32 v3, v3, v4
	v_mul_f32_e32 v4, v160, v206
	v_add_f32_e32 v169, v165, v166
	ds_read2_b64 v[165:168], v116 offset0:111 offset1:112
	v_fma_f32 v4, v159, v205, -v4
	v_add_f32_e32 v3, v3, v4
	v_mul_f32_e32 v4, v162, v208
	s_waitcnt vmcnt(8)
	v_mul_f32_e32 v170, v163, v210
	v_fma_f32 v4, v161, v207, -v4
	v_fmac_f32_e32 v170, v164, v209
	v_add_f32_e32 v3, v3, v4
	v_mul_f32_e32 v4, v164, v210
	v_add_f32_e32 v219, v169, v170
	ds_read2_b64 v[169:172], v116 offset0:113 offset1:114
	v_fma_f32 v4, v163, v209, -v4
	v_add_f32_e32 v3, v3, v4
	s_waitcnt vmcnt(6) lgkmcnt(1)
	v_mul_f32_e32 v4, v166, v212
	v_mul_f32_e32 v116, v165, v212
	v_fma_f32 v4, v165, v211, -v4
	v_fmac_f32_e32 v116, v166, v211
	v_add_f32_e32 v3, v3, v4
	s_waitcnt vmcnt(4)
	v_mul_f32_e32 v4, v168, v214
	v_add_f32_e32 v116, v219, v116
	v_mul_f32_e32 v219, v167, v214
	v_fma_f32 v4, v167, v213, -v4
	v_fmac_f32_e32 v219, v168, v213
	v_add_f32_e32 v3, v3, v4
	s_waitcnt vmcnt(2) lgkmcnt(0)
	v_mul_f32_e32 v4, v170, v216
	v_add_f32_e32 v116, v116, v219
	v_mul_f32_e32 v219, v169, v216
	v_fma_f32 v4, v169, v215, -v4
	v_fmac_f32_e32 v219, v170, v215
	v_add_f32_e32 v3, v3, v4
	s_waitcnt vmcnt(0)
	v_mul_f32_e32 v4, v172, v218
	v_add_f32_e32 v116, v116, v219
	v_mul_f32_e32 v219, v171, v218
	v_fma_f32 v4, v171, v217, -v4
	v_fmac_f32_e32 v219, v172, v217
	v_add_f32_e32 v3, v3, v4
	v_add_f32_e32 v116, v116, v219
	v_sub_f32_e32 v3, v191, v3
	v_sub_f32_e32 v4, v192, v116
	buffer_store_dword v3, off, s[0:3], 0 offset:224
	buffer_store_dword v4, off, s[0:3], 0 offset:228
	s_and_saveexec_b64 s[4:5], vcc
	s_cbranch_execz .LBB120_301
; %bb.300:
	buffer_load_dword v3, off, s[0:3], 0 offset:216
	buffer_load_dword v4, off, s[0:3], 0 offset:220
	v_mov_b32_e32 v5, 0
	buffer_store_dword v5, off, s[0:3], 0 offset:216
	buffer_store_dword v5, off, s[0:3], 0 offset:220
	s_waitcnt vmcnt(2)
	ds_write_b64 v115, v[3:4]
.LBB120_301:
	s_or_b64 exec, exec, s[4:5]
	s_waitcnt lgkmcnt(0)
	; wave barrier
	buffer_load_dword v5, off, s[0:3], 0 offset:228
	buffer_load_dword v6, off, s[0:3], 0 offset:236
	;; [unrolled: 1-line block ×60, first 2 shown]
	v_mov_b32_e32 v116, 0
	ds_read_b128 v[117:120], v116 offset:688
	ds_read_b128 v[121:124], v116 offset:704
	;; [unrolled: 1-line block ×12, first 2 shown]
	v_cmp_lt_u32_e32 vcc, 26, v0
	s_waitcnt vmcnt(59) lgkmcnt(11)
	v_mul_f32_e32 v3, v117, v5
	v_mul_f32_e32 v5, v118, v5
	s_waitcnt vmcnt(58)
	v_mul_f32_e32 v4, v119, v6
	v_mul_f32_e32 v6, v120, v6
	s_waitcnt vmcnt(57) lgkmcnt(10)
	v_mul_f32_e32 v137, v121, v7
	s_waitcnt vmcnt(56)
	v_mul_f32_e32 v138, v123, v8
	s_waitcnt vmcnt(55) lgkmcnt(9)
	v_mul_f32_e32 v139, v125, v9
	s_waitcnt vmcnt(52)
	v_fma_f32 v5, v117, v12, -v5
	v_add_f32_e32 v5, 0, v5
	s_waitcnt vmcnt(51)
	v_fma_f32 v6, v119, v13, -v6
	v_add_f32_e32 v5, v5, v6
	v_mul_f32_e32 v6, v122, v7
	v_fmac_f32_e32 v3, v118, v12
	s_waitcnt vmcnt(50)
	v_fma_f32 v6, v121, v14, -v6
	v_fmac_f32_e32 v4, v120, v13
	v_add_f32_e32 v3, 0, v3
	v_add_f32_e32 v5, v5, v6
	v_mul_f32_e32 v6, v124, v8
	v_fmac_f32_e32 v137, v122, v14
	v_add_f32_e32 v3, v3, v4
	s_waitcnt vmcnt(49)
	v_fma_f32 v6, v123, v173, -v6
	v_fmac_f32_e32 v138, v124, v173
	v_add_f32_e32 v3, v3, v137
	v_add_f32_e32 v5, v5, v6
	v_mul_f32_e32 v6, v126, v9
	v_mul_f32_e32 v140, v127, v10
	s_waitcnt vmcnt(48)
	v_fmac_f32_e32 v139, v126, v174
	v_add_f32_e32 v3, v3, v138
	v_fma_f32 v6, v125, v174, -v6
	s_waitcnt lgkmcnt(8)
	v_mul_f32_e32 v141, v129, v11
	s_waitcnt vmcnt(47)
	v_fmac_f32_e32 v140, v128, v175
	v_add_f32_e32 v3, v3, v139
	v_add_f32_e32 v5, v5, v6
	v_mul_f32_e32 v6, v128, v10
	s_waitcnt vmcnt(46)
	v_fmac_f32_e32 v141, v130, v176
	v_add_f32_e32 v3, v3, v140
	s_waitcnt vmcnt(45)
	v_mul_f32_e32 v4, v131, v177
	v_fma_f32 v6, v127, v175, -v6
	v_add_f32_e32 v3, v3, v141
	s_waitcnt vmcnt(44)
	v_fmac_f32_e32 v4, v132, v178
	ds_read_b128 v[137:140], v116 offset:768
	ds_read_b128 v[141:144], v116 offset:784
	v_add_f32_e32 v5, v5, v6
	v_mul_f32_e32 v6, v130, v11
	v_add_f32_e32 v3, v3, v4
	s_waitcnt vmcnt(43) lgkmcnt(9)
	v_mul_f32_e32 v4, v133, v179
	v_fma_f32 v6, v129, v176, -v6
	s_waitcnt vmcnt(42)
	v_fmac_f32_e32 v4, v134, v180
	v_add_f32_e32 v5, v5, v6
	v_mul_f32_e32 v6, v132, v177
	v_add_f32_e32 v3, v3, v4
	s_waitcnt vmcnt(41)
	v_mul_f32_e32 v4, v135, v181
	v_fma_f32 v6, v131, v178, -v6
	s_waitcnt vmcnt(40)
	v_fmac_f32_e32 v4, v136, v182
	v_add_f32_e32 v5, v5, v6
	v_mul_f32_e32 v6, v134, v179
	v_add_f32_e32 v3, v3, v4
	s_waitcnt vmcnt(39) lgkmcnt(1)
	v_mul_f32_e32 v4, v137, v183
	v_fma_f32 v6, v133, v180, -v6
	s_waitcnt vmcnt(38)
	v_fmac_f32_e32 v4, v138, v184
	v_add_f32_e32 v5, v5, v6
	v_mul_f32_e32 v6, v136, v181
	v_add_f32_e32 v3, v3, v4
	s_waitcnt vmcnt(37)
	v_mul_f32_e32 v4, v139, v185
	v_fma_f32 v6, v135, v182, -v6
	s_waitcnt vmcnt(36)
	v_fmac_f32_e32 v4, v140, v186
	v_add_f32_e32 v5, v5, v6
	v_mul_f32_e32 v6, v138, v183
	v_add_f32_e32 v3, v3, v4
	s_waitcnt vmcnt(34) lgkmcnt(0)
	v_mul_f32_e32 v4, v141, v188
	v_fma_f32 v6, v137, v184, -v6
	v_fmac_f32_e32 v4, v142, v187
	v_add_f32_e32 v5, v5, v6
	v_mul_f32_e32 v6, v140, v185
	v_add_f32_e32 v3, v3, v4
	s_waitcnt vmcnt(31)
	v_mul_f32_e32 v4, v143, v191
	v_fma_f32 v6, v139, v186, -v6
	s_waitcnt vmcnt(30)
	v_fmac_f32_e32 v4, v144, v192
	v_add_f32_e32 v5, v5, v6
	v_mul_f32_e32 v6, v142, v188
	v_add_f32_e32 v3, v3, v4
	s_waitcnt vmcnt(28)
	v_mul_f32_e32 v4, v145, v194
	v_fma_f32 v6, v141, v187, -v6
	v_fmac_f32_e32 v4, v146, v193
	v_add_f32_e32 v5, v5, v6
	v_mul_f32_e32 v6, v144, v191
	v_add_f32_e32 v3, v3, v4
	s_waitcnt vmcnt(26)
	v_mul_f32_e32 v4, v147, v196
	v_fma_f32 v6, v143, v192, -v6
	;; [unrolled: 7-line block ×12, first 2 shown]
	v_fmac_f32_e32 v4, v168, v215
	v_add_f32_e32 v5, v5, v6
	v_mul_f32_e32 v6, v166, v214
	v_add_f32_e32 v223, v3, v4
	ds_read_b64 v[3:4], v116 offset:912
	v_fma_f32 v6, v165, v213, -v6
	s_waitcnt vmcnt(4)
	v_mul_f32_e32 v224, v169, v218
	v_add_f32_e32 v5, v5, v6
	v_mul_f32_e32 v6, v168, v216
	v_fmac_f32_e32 v224, v170, v217
	v_fma_f32 v6, v167, v215, -v6
	v_add_f32_e32 v223, v223, v224
	s_waitcnt vmcnt(2)
	v_mul_f32_e32 v224, v171, v220
	v_add_f32_e32 v5, v5, v6
	v_mul_f32_e32 v6, v170, v218
	v_fmac_f32_e32 v224, v172, v219
	v_fma_f32 v6, v169, v217, -v6
	v_add_f32_e32 v223, v223, v224
	s_waitcnt vmcnt(0) lgkmcnt(0)
	v_mul_f32_e32 v224, v3, v222
	v_add_f32_e32 v5, v5, v6
	v_mul_f32_e32 v6, v172, v220
	v_fmac_f32_e32 v224, v4, v221
	v_fma_f32 v6, v171, v219, -v6
	v_mul_f32_e32 v4, v4, v222
	v_add_f32_e32 v5, v5, v6
	v_fma_f32 v3, v3, v221, -v4
	v_add_f32_e32 v3, v5, v3
	v_add_f32_e32 v223, v223, v224
	v_sub_f32_e32 v3, v189, v3
	v_sub_f32_e32 v4, v190, v223
	buffer_store_dword v3, off, s[0:3], 0 offset:216
	buffer_store_dword v4, off, s[0:3], 0 offset:220
	s_and_saveexec_b64 s[4:5], vcc
	s_cbranch_execz .LBB120_303
; %bb.302:
	buffer_load_dword v3, off, s[0:3], 0 offset:208
	buffer_load_dword v4, off, s[0:3], 0 offset:212
	s_waitcnt vmcnt(0)
	ds_write_b64 v115, v[3:4]
	buffer_store_dword v116, off, s[0:3], 0 offset:208
	buffer_store_dword v116, off, s[0:3], 0 offset:212
.LBB120_303:
	s_or_b64 exec, exec, s[4:5]
	s_waitcnt lgkmcnt(0)
	; wave barrier
	buffer_load_dword v3, off, s[0:3], 0 offset:220
	buffer_load_dword v4, off, s[0:3], 0 offset:228
	buffer_load_dword v5, off, s[0:3], 0 offset:236
	buffer_load_dword v6, off, s[0:3], 0 offset:244
	buffer_load_dword v7, off, s[0:3], 0 offset:252
	buffer_load_dword v8, off, s[0:3], 0 offset:260
	buffer_load_dword v9, off, s[0:3], 0 offset:268
	buffer_load_dword v10, off, s[0:3], 0 offset:216
	buffer_load_dword v11, off, s[0:3], 0 offset:224
	buffer_load_dword v12, off, s[0:3], 0 offset:232
	buffer_load_dword v13, off, s[0:3], 0 offset:240
	buffer_load_dword v14, off, s[0:3], 0 offset:248
	buffer_load_dword v177, off, s[0:3], 0 offset:256
	buffer_load_dword v178, off, s[0:3], 0 offset:264
	buffer_load_dword v179, off, s[0:3], 0 offset:276
	buffer_load_dword v180, off, s[0:3], 0 offset:272
	buffer_load_dword v181, off, s[0:3], 0 offset:284
	buffer_load_dword v182, off, s[0:3], 0 offset:280
	buffer_load_dword v183, off, s[0:3], 0 offset:292
	buffer_load_dword v184, off, s[0:3], 0 offset:288
	buffer_load_dword v185, off, s[0:3], 0 offset:300
	buffer_load_dword v186, off, s[0:3], 0 offset:296
	buffer_load_dword v187, off, s[0:3], 0 offset:308
	buffer_load_dword v188, off, s[0:3], 0 offset:304
	buffer_load_dword v189, off, s[0:3], 0 offset:208
	buffer_load_dword v190, off, s[0:3], 0 offset:212
	buffer_load_dword v191, off, s[0:3], 0 offset:316
	buffer_load_dword v192, off, s[0:3], 0 offset:312
	buffer_load_dword v193, off, s[0:3], 0 offset:320
	buffer_load_dword v194, off, s[0:3], 0 offset:324
	buffer_load_dword v195, off, s[0:3], 0 offset:328
	buffer_load_dword v196, off, s[0:3], 0 offset:332
	ds_read2_b64 v[117:120], v116 offset0:85 offset1:86
	ds_read2_b64 v[121:124], v116 offset0:87 offset1:88
	;; [unrolled: 1-line block ×4, first 2 shown]
	buffer_load_dword v197, off, s[0:3], 0 offset:340
	buffer_load_dword v198, off, s[0:3], 0 offset:336
	;; [unrolled: 1-line block ×30, first 2 shown]
	v_cmp_lt_u32_e32 vcc, 25, v0
	s_waitcnt vmcnt(61) lgkmcnt(3)
	v_mul_f32_e32 v133, v117, v3
	s_waitcnt vmcnt(60)
	v_mul_f32_e32 v134, v119, v4
	s_waitcnt vmcnt(59) lgkmcnt(2)
	v_mul_f32_e32 v135, v121, v5
	s_waitcnt vmcnt(58)
	v_mul_f32_e32 v136, v123, v6
	;; [unrolled: 4-line block ×3, first 2 shown]
	s_waitcnt vmcnt(55) lgkmcnt(0)
	v_mul_f32_e32 v139, v129, v9
	s_waitcnt vmcnt(54)
	v_fmac_f32_e32 v133, v118, v10
	s_waitcnt vmcnt(53)
	v_fmac_f32_e32 v134, v120, v11
	v_add_f32_e32 v133, 0, v133
	s_waitcnt vmcnt(52)
	v_fmac_f32_e32 v135, v122, v12
	v_add_f32_e32 v133, v133, v134
	;; [unrolled: 3-line block ×6, first 2 shown]
	v_add_f32_e32 v137, v133, v139
	ds_read2_b64 v[133:136], v116 offset0:93 offset1:94
	s_waitcnt vmcnt(47)
	v_mul_f32_e32 v138, v131, v179
	s_waitcnt vmcnt(46)
	v_fmac_f32_e32 v138, v132, v180
	v_mul_f32_e32 v3, v118, v3
	v_add_f32_e32 v141, v137, v138
	ds_read2_b64 v[137:140], v116 offset0:95 offset1:96
	v_fma_f32 v3, v117, v10, -v3
	v_mul_f32_e32 v4, v120, v4
	s_waitcnt vmcnt(45) lgkmcnt(1)
	v_mul_f32_e32 v142, v133, v181
	v_add_f32_e32 v3, 0, v3
	v_fma_f32 v4, v119, v11, -v4
	s_waitcnt vmcnt(44)
	v_fmac_f32_e32 v142, v134, v182
	v_add_f32_e32 v3, v3, v4
	v_mul_f32_e32 v4, v122, v5
	v_add_f32_e32 v141, v141, v142
	s_waitcnt vmcnt(43)
	v_mul_f32_e32 v142, v135, v183
	v_fma_f32 v4, v121, v12, -v4
	s_waitcnt vmcnt(42)
	v_fmac_f32_e32 v142, v136, v184
	v_add_f32_e32 v3, v3, v4
	v_mul_f32_e32 v4, v124, v6
	v_add_f32_e32 v141, v141, v142
	s_waitcnt vmcnt(41) lgkmcnt(0)
	v_mul_f32_e32 v142, v137, v185
	v_fma_f32 v4, v123, v13, -v4
	s_waitcnt vmcnt(40)
	v_fmac_f32_e32 v142, v138, v186
	v_add_f32_e32 v3, v3, v4
	v_mul_f32_e32 v4, v126, v7
	v_add_f32_e32 v145, v141, v142
	ds_read2_b64 v[141:144], v116 offset0:97 offset1:98
	v_fma_f32 v4, v125, v14, -v4
	v_add_f32_e32 v3, v3, v4
	v_mul_f32_e32 v4, v128, v8
	s_waitcnt vmcnt(39)
	v_mul_f32_e32 v146, v139, v187
	v_fma_f32 v4, v127, v177, -v4
	s_waitcnt vmcnt(38)
	v_fmac_f32_e32 v146, v140, v188
	v_add_f32_e32 v3, v3, v4
	v_mul_f32_e32 v4, v130, v9
	v_add_f32_e32 v149, v145, v146
	ds_read2_b64 v[145:148], v116 offset0:99 offset1:100
	v_fma_f32 v4, v129, v178, -v4
	s_waitcnt vmcnt(35) lgkmcnt(1)
	v_mul_f32_e32 v150, v141, v191
	v_add_f32_e32 v3, v3, v4
	v_mul_f32_e32 v4, v132, v179
	s_waitcnt vmcnt(34)
	v_fmac_f32_e32 v150, v142, v192
	v_fma_f32 v4, v131, v180, -v4
	v_add_f32_e32 v149, v149, v150
	s_waitcnt vmcnt(32)
	v_mul_f32_e32 v150, v143, v194
	v_add_f32_e32 v3, v3, v4
	v_mul_f32_e32 v4, v134, v181
	v_fmac_f32_e32 v150, v144, v193
	v_fma_f32 v4, v133, v182, -v4
	v_add_f32_e32 v149, v149, v150
	s_waitcnt vmcnt(30) lgkmcnt(0)
	v_mul_f32_e32 v150, v145, v196
	v_add_f32_e32 v3, v3, v4
	v_mul_f32_e32 v4, v136, v183
	v_fmac_f32_e32 v150, v146, v195
	v_fma_f32 v4, v135, v184, -v4
	v_add_f32_e32 v153, v149, v150
	ds_read2_b64 v[149:152], v116 offset0:101 offset1:102
	v_add_f32_e32 v3, v3, v4
	v_mul_f32_e32 v4, v138, v185
	v_fma_f32 v4, v137, v186, -v4
	s_waitcnt vmcnt(29)
	v_mul_f32_e32 v154, v147, v197
	v_add_f32_e32 v3, v3, v4
	v_mul_f32_e32 v4, v140, v187
	s_waitcnt vmcnt(28)
	v_fmac_f32_e32 v154, v148, v198
	v_fma_f32 v4, v139, v188, -v4
	v_add_f32_e32 v157, v153, v154
	ds_read2_b64 v[153:156], v116 offset0:103 offset1:104
	v_add_f32_e32 v3, v3, v4
	v_mul_f32_e32 v4, v142, v191
	s_waitcnt vmcnt(26) lgkmcnt(1)
	v_mul_f32_e32 v158, v149, v200
	v_fma_f32 v4, v141, v192, -v4
	v_fmac_f32_e32 v158, v150, v199
	v_add_f32_e32 v3, v3, v4
	v_mul_f32_e32 v4, v144, v194
	v_add_f32_e32 v157, v157, v158
	s_waitcnt vmcnt(24)
	v_mul_f32_e32 v158, v151, v202
	v_fma_f32 v4, v143, v193, -v4
	v_fmac_f32_e32 v158, v152, v201
	v_add_f32_e32 v3, v3, v4
	v_mul_f32_e32 v4, v146, v196
	v_add_f32_e32 v157, v157, v158
	s_waitcnt vmcnt(22) lgkmcnt(0)
	v_mul_f32_e32 v158, v153, v204
	v_fma_f32 v4, v145, v195, -v4
	v_fmac_f32_e32 v158, v154, v203
	v_add_f32_e32 v3, v3, v4
	v_mul_f32_e32 v4, v148, v197
	v_add_f32_e32 v161, v157, v158
	ds_read2_b64 v[157:160], v116 offset0:105 offset1:106
	v_fma_f32 v4, v147, v198, -v4
	v_add_f32_e32 v3, v3, v4
	v_mul_f32_e32 v4, v150, v200
	s_waitcnt vmcnt(20)
	v_mul_f32_e32 v162, v155, v206
	v_fma_f32 v4, v149, v199, -v4
	v_fmac_f32_e32 v162, v156, v205
	v_add_f32_e32 v3, v3, v4
	v_mul_f32_e32 v4, v152, v202
	v_add_f32_e32 v165, v161, v162
	ds_read2_b64 v[161:164], v116 offset0:107 offset1:108
	v_fma_f32 v4, v151, v201, -v4
	s_waitcnt vmcnt(18) lgkmcnt(1)
	v_mul_f32_e32 v166, v157, v208
	v_add_f32_e32 v3, v3, v4
	v_mul_f32_e32 v4, v154, v204
	v_fmac_f32_e32 v166, v158, v207
	v_fma_f32 v4, v153, v203, -v4
	v_add_f32_e32 v165, v165, v166
	s_waitcnt vmcnt(16)
	v_mul_f32_e32 v166, v159, v210
	v_add_f32_e32 v3, v3, v4
	v_mul_f32_e32 v4, v156, v206
	v_fmac_f32_e32 v166, v160, v209
	v_fma_f32 v4, v155, v205, -v4
	v_add_f32_e32 v165, v165, v166
	s_waitcnt vmcnt(14) lgkmcnt(0)
	v_mul_f32_e32 v166, v161, v212
	v_add_f32_e32 v3, v3, v4
	v_mul_f32_e32 v4, v158, v208
	v_fmac_f32_e32 v166, v162, v211
	v_fma_f32 v4, v157, v207, -v4
	v_add_f32_e32 v169, v165, v166
	ds_read2_b64 v[165:168], v116 offset0:109 offset1:110
	v_add_f32_e32 v3, v3, v4
	v_mul_f32_e32 v4, v160, v210
	v_fma_f32 v4, v159, v209, -v4
	v_add_f32_e32 v3, v3, v4
	v_mul_f32_e32 v4, v162, v212
	s_waitcnt vmcnt(12)
	v_mul_f32_e32 v170, v163, v214
	v_fma_f32 v4, v161, v211, -v4
	v_fmac_f32_e32 v170, v164, v213
	v_add_f32_e32 v3, v3, v4
	v_mul_f32_e32 v4, v164, v214
	v_add_f32_e32 v173, v169, v170
	ds_read2_b64 v[169:172], v116 offset0:111 offset1:112
	s_waitcnt vmcnt(10) lgkmcnt(1)
	v_mul_f32_e32 v174, v165, v216
	v_fma_f32 v4, v163, v213, -v4
	v_fmac_f32_e32 v174, v166, v215
	v_add_f32_e32 v3, v3, v4
	v_mul_f32_e32 v4, v166, v216
	v_add_f32_e32 v173, v173, v174
	s_waitcnt vmcnt(8)
	v_mul_f32_e32 v174, v167, v218
	v_fma_f32 v4, v165, v215, -v4
	v_fmac_f32_e32 v174, v168, v217
	v_add_f32_e32 v3, v3, v4
	v_mul_f32_e32 v4, v168, v218
	v_add_f32_e32 v227, v173, v174
	ds_read2_b64 v[173:176], v116 offset0:113 offset1:114
	v_fma_f32 v4, v167, v217, -v4
	v_add_f32_e32 v3, v3, v4
	s_waitcnt vmcnt(6) lgkmcnt(1)
	v_mul_f32_e32 v4, v170, v220
	v_mul_f32_e32 v228, v169, v220
	v_fma_f32 v4, v169, v219, -v4
	v_fmac_f32_e32 v228, v170, v219
	v_add_f32_e32 v3, v3, v4
	s_waitcnt vmcnt(4)
	v_mul_f32_e32 v4, v172, v222
	v_add_f32_e32 v116, v227, v228
	v_mul_f32_e32 v227, v171, v222
	v_fma_f32 v4, v171, v221, -v4
	v_fmac_f32_e32 v227, v172, v221
	v_add_f32_e32 v3, v3, v4
	s_waitcnt vmcnt(2) lgkmcnt(0)
	v_mul_f32_e32 v4, v174, v224
	v_add_f32_e32 v116, v116, v227
	v_mul_f32_e32 v227, v173, v224
	v_fma_f32 v4, v173, v223, -v4
	v_fmac_f32_e32 v227, v174, v223
	v_add_f32_e32 v3, v3, v4
	s_waitcnt vmcnt(0)
	v_mul_f32_e32 v4, v176, v226
	v_add_f32_e32 v116, v116, v227
	v_mul_f32_e32 v227, v175, v226
	v_fma_f32 v4, v175, v225, -v4
	v_fmac_f32_e32 v227, v176, v225
	v_add_f32_e32 v3, v3, v4
	v_add_f32_e32 v116, v116, v227
	v_sub_f32_e32 v3, v189, v3
	v_sub_f32_e32 v4, v190, v116
	buffer_store_dword v3, off, s[0:3], 0 offset:208
	buffer_store_dword v4, off, s[0:3], 0 offset:212
	s_and_saveexec_b64 s[4:5], vcc
	s_cbranch_execz .LBB120_305
; %bb.304:
	buffer_load_dword v3, off, s[0:3], 0 offset:200
	buffer_load_dword v4, off, s[0:3], 0 offset:204
	v_mov_b32_e32 v5, 0
	buffer_store_dword v5, off, s[0:3], 0 offset:200
	buffer_store_dword v5, off, s[0:3], 0 offset:204
	s_waitcnt vmcnt(2)
	ds_write_b64 v115, v[3:4]
.LBB120_305:
	s_or_b64 exec, exec, s[4:5]
	s_waitcnt lgkmcnt(0)
	; wave barrier
	buffer_load_dword v5, off, s[0:3], 0 offset:212
	buffer_load_dword v6, off, s[0:3], 0 offset:220
	;; [unrolled: 1-line block ×24, first 2 shown]
	v_mov_b32_e32 v116, 0
	buffer_load_dword v191, off, s[0:3], 0 offset:300
	buffer_load_dword v192, off, s[0:3], 0 offset:296
	;; [unrolled: 1-line block ×32, first 2 shown]
	ds_read_b128 v[117:120], v116 offset:672
	buffer_load_dword v223, off, s[0:3], 0 offset:424
	buffer_load_dword v224, off, s[0:3], 0 offset:428
	buffer_load_dword v225, off, s[0:3], 0 offset:432
	buffer_load_dword v226, off, s[0:3], 0 offset:436
	ds_read_b128 v[121:124], v116 offset:688
	ds_read_b128 v[125:128], v116 offset:704
	;; [unrolled: 1-line block ×3, first 2 shown]
	v_cmp_lt_u32_e32 vcc, 24, v0
	s_waitcnt vmcnt(59) lgkmcnt(3)
	v_mul_f32_e32 v3, v117, v5
	s_waitcnt vmcnt(58)
	v_mul_f32_e32 v4, v119, v6
	s_waitcnt vmcnt(57) lgkmcnt(2)
	v_mul_f32_e32 v133, v121, v7
	s_waitcnt vmcnt(56)
	v_mul_f32_e32 v134, v123, v8
	;; [unrolled: 4-line block ×3, first 2 shown]
	v_mul_f32_e32 v5, v118, v5
	v_mul_f32_e32 v6, v120, v6
	s_waitcnt vmcnt(51)
	v_fmac_f32_e32 v3, v118, v13
	s_waitcnt vmcnt(50)
	v_fmac_f32_e32 v4, v120, v14
	v_add_f32_e32 v3, 0, v3
	s_waitcnt vmcnt(49)
	v_fmac_f32_e32 v133, v122, v177
	v_add_f32_e32 v3, v3, v4
	;; [unrolled: 3-line block ×5, first 2 shown]
	v_add_f32_e32 v3, v3, v136
	ds_read_b128 v[133:136], v116 offset:736
	buffer_load_dword v227, off, s[0:3], 0 offset:444
	buffer_load_dword v228, off, s[0:3], 0 offset:440
	;; [unrolled: 1-line block ×4, first 2 shown]
	v_fma_f32 v5, v117, v13, -v5
	v_add_f32_e32 v5, 0, v5
	v_fma_f32 v6, v119, v14, -v6
	v_add_f32_e32 v5, v5, v6
	v_mul_f32_e32 v6, v122, v7
	v_fma_f32 v6, v121, v177, -v6
	v_add_f32_e32 v5, v5, v6
	v_mul_f32_e32 v6, v124, v8
	;; [unrolled: 3-line block ×3, first 2 shown]
	s_waitcnt lgkmcnt(1)
	v_mul_f32_e32 v137, v129, v11
	v_fma_f32 v6, v125, v179, -v6
	v_mul_f32_e32 v138, v131, v12
	s_waitcnt vmcnt(49)
	v_fmac_f32_e32 v137, v130, v181
	v_add_f32_e32 v5, v5, v6
	v_mul_f32_e32 v6, v128, v10
	v_add_f32_e32 v3, v3, v137
	s_waitcnt vmcnt(48)
	v_fmac_f32_e32 v138, v132, v182
	v_fma_f32 v6, v127, v180, -v6
	v_add_f32_e32 v3, v3, v138
	ds_read_b128 v[137:140], v116 offset:752
	ds_read_b128 v[141:144], v116 offset:768
	v_add_f32_e32 v5, v5, v6
	v_mul_f32_e32 v6, v130, v11
	s_waitcnt vmcnt(47) lgkmcnt(2)
	v_mul_f32_e32 v4, v133, v183
	v_fma_f32 v6, v129, v181, -v6
	s_waitcnt vmcnt(46)
	v_fmac_f32_e32 v4, v134, v184
	v_add_f32_e32 v5, v5, v6
	v_mul_f32_e32 v6, v132, v12
	v_add_f32_e32 v3, v3, v4
	s_waitcnt vmcnt(45)
	v_mul_f32_e32 v4, v135, v185
	v_fma_f32 v6, v131, v182, -v6
	s_waitcnt vmcnt(44)
	v_fmac_f32_e32 v4, v136, v186
	v_add_f32_e32 v5, v5, v6
	v_mul_f32_e32 v6, v134, v183
	v_add_f32_e32 v3, v3, v4
	s_waitcnt vmcnt(42) lgkmcnt(1)
	v_mul_f32_e32 v4, v137, v188
	v_fma_f32 v6, v133, v184, -v6
	v_fmac_f32_e32 v4, v138, v187
	v_add_f32_e32 v5, v5, v6
	v_mul_f32_e32 v6, v136, v185
	v_add_f32_e32 v3, v3, v4
	s_waitcnt vmcnt(39)
	v_mul_f32_e32 v4, v139, v191
	v_fma_f32 v6, v135, v186, -v6
	s_waitcnt vmcnt(38)
	v_fmac_f32_e32 v4, v140, v192
	ds_read_b128 v[145:148], v116 offset:784
	ds_read_b128 v[149:152], v116 offset:800
	v_add_f32_e32 v5, v5, v6
	v_mul_f32_e32 v6, v138, v188
	v_add_f32_e32 v3, v3, v4
	s_waitcnt vmcnt(36) lgkmcnt(2)
	v_mul_f32_e32 v4, v141, v194
	v_fma_f32 v6, v137, v187, -v6
	v_fmac_f32_e32 v4, v142, v193
	v_add_f32_e32 v5, v5, v6
	v_mul_f32_e32 v6, v140, v191
	v_add_f32_e32 v3, v3, v4
	s_waitcnt vmcnt(34)
	v_mul_f32_e32 v4, v143, v196
	v_fma_f32 v6, v139, v192, -v6
	v_fmac_f32_e32 v4, v144, v195
	v_add_f32_e32 v5, v5, v6
	v_mul_f32_e32 v6, v142, v194
	v_add_f32_e32 v3, v3, v4
	s_waitcnt vmcnt(32) lgkmcnt(1)
	v_mul_f32_e32 v4, v145, v198
	v_fma_f32 v6, v141, v193, -v6
	v_fmac_f32_e32 v4, v146, v197
	v_add_f32_e32 v5, v5, v6
	v_mul_f32_e32 v6, v144, v196
	v_add_f32_e32 v3, v3, v4
	s_waitcnt vmcnt(30)
	v_mul_f32_e32 v4, v147, v200
	v_fma_f32 v6, v143, v195, -v6
	v_fmac_f32_e32 v4, v148, v199
	ds_read_b128 v[153:156], v116 offset:816
	ds_read_b128 v[157:160], v116 offset:832
	v_add_f32_e32 v5, v5, v6
	v_mul_f32_e32 v6, v146, v198
	v_add_f32_e32 v3, v3, v4
	s_waitcnt vmcnt(28) lgkmcnt(2)
	v_mul_f32_e32 v4, v149, v202
	v_fma_f32 v6, v145, v197, -v6
	v_fmac_f32_e32 v4, v150, v201
	v_add_f32_e32 v5, v5, v6
	v_mul_f32_e32 v6, v148, v200
	v_add_f32_e32 v3, v3, v4
	s_waitcnt vmcnt(26)
	v_mul_f32_e32 v4, v151, v204
	v_fma_f32 v6, v147, v199, -v6
	v_fmac_f32_e32 v4, v152, v203
	v_add_f32_e32 v5, v5, v6
	v_mul_f32_e32 v6, v150, v202
	v_add_f32_e32 v3, v3, v4
	s_waitcnt vmcnt(24) lgkmcnt(1)
	v_mul_f32_e32 v4, v153, v206
	v_fma_f32 v6, v149, v201, -v6
	v_fmac_f32_e32 v4, v154, v205
	v_add_f32_e32 v5, v5, v6
	v_mul_f32_e32 v6, v152, v204
	v_add_f32_e32 v3, v3, v4
	s_waitcnt vmcnt(22)
	v_mul_f32_e32 v4, v155, v208
	v_fma_f32 v6, v151, v203, -v6
	v_fmac_f32_e32 v4, v156, v207
	ds_read_b128 v[161:164], v116 offset:848
	ds_read_b128 v[165:168], v116 offset:864
	v_add_f32_e32 v5, v5, v6
	v_mul_f32_e32 v6, v154, v206
	v_add_f32_e32 v3, v3, v4
	s_waitcnt vmcnt(20) lgkmcnt(2)
	v_mul_f32_e32 v4, v157, v210
	v_fma_f32 v6, v153, v205, -v6
	v_fmac_f32_e32 v4, v158, v209
	v_add_f32_e32 v5, v5, v6
	v_mul_f32_e32 v6, v156, v208
	v_add_f32_e32 v3, v3, v4
	s_waitcnt vmcnt(18)
	v_mul_f32_e32 v4, v159, v212
	v_fma_f32 v6, v155, v207, -v6
	v_fmac_f32_e32 v4, v160, v211
	v_add_f32_e32 v5, v5, v6
	v_mul_f32_e32 v6, v158, v210
	v_add_f32_e32 v3, v3, v4
	s_waitcnt vmcnt(16) lgkmcnt(1)
	v_mul_f32_e32 v4, v161, v214
	v_fma_f32 v6, v157, v209, -v6
	v_fmac_f32_e32 v4, v162, v213
	v_add_f32_e32 v5, v5, v6
	v_mul_f32_e32 v6, v160, v212
	v_add_f32_e32 v3, v3, v4
	s_waitcnt vmcnt(14)
	v_mul_f32_e32 v4, v163, v216
	v_fma_f32 v6, v159, v211, -v6
	v_fmac_f32_e32 v4, v164, v215
	ds_read_b128 v[169:172], v116 offset:880
	ds_read_b128 v[173:176], v116 offset:896
	v_add_f32_e32 v5, v5, v6
	v_mul_f32_e32 v6, v162, v214
	v_add_f32_e32 v3, v3, v4
	s_waitcnt vmcnt(12) lgkmcnt(2)
	v_mul_f32_e32 v4, v165, v218
	v_fma_f32 v6, v161, v213, -v6
	v_fmac_f32_e32 v4, v166, v217
	v_add_f32_e32 v5, v5, v6
	v_mul_f32_e32 v6, v164, v216
	v_add_f32_e32 v3, v3, v4
	s_waitcnt vmcnt(10)
	v_mul_f32_e32 v4, v167, v220
	v_fma_f32 v6, v163, v215, -v6
	v_fmac_f32_e32 v4, v168, v219
	v_add_f32_e32 v5, v5, v6
	v_mul_f32_e32 v6, v166, v218
	v_add_f32_e32 v3, v3, v4
	s_waitcnt vmcnt(8) lgkmcnt(1)
	v_mul_f32_e32 v4, v169, v222
	v_fma_f32 v6, v165, v217, -v6
	v_fmac_f32_e32 v4, v170, v221
	v_add_f32_e32 v5, v5, v6
	v_mul_f32_e32 v6, v168, v220
	v_add_f32_e32 v3, v3, v4
	s_waitcnt vmcnt(6)
	v_mul_f32_e32 v4, v171, v224
	v_fma_f32 v6, v167, v219, -v6
	v_fmac_f32_e32 v4, v172, v223
	v_add_f32_e32 v5, v5, v6
	v_mul_f32_e32 v6, v170, v222
	v_add_f32_e32 v231, v3, v4
	ds_read_b64 v[3:4], v116 offset:912
	v_fma_f32 v6, v169, v221, -v6
	s_waitcnt vmcnt(4) lgkmcnt(1)
	v_mul_f32_e32 v232, v173, v226
	v_add_f32_e32 v5, v5, v6
	v_mul_f32_e32 v6, v172, v224
	v_fmac_f32_e32 v232, v174, v225
	v_fma_f32 v6, v171, v223, -v6
	v_add_f32_e32 v231, v231, v232
	s_waitcnt vmcnt(3)
	v_mul_f32_e32 v232, v175, v227
	v_add_f32_e32 v5, v5, v6
	v_mul_f32_e32 v6, v174, v226
	s_waitcnt vmcnt(2)
	v_fmac_f32_e32 v232, v176, v228
	v_fma_f32 v6, v173, v225, -v6
	v_add_f32_e32 v231, v231, v232
	s_waitcnt vmcnt(0) lgkmcnt(0)
	v_mul_f32_e32 v232, v3, v230
	v_add_f32_e32 v5, v5, v6
	v_mul_f32_e32 v6, v176, v227
	v_fmac_f32_e32 v232, v4, v229
	v_fma_f32 v6, v175, v228, -v6
	v_mul_f32_e32 v4, v4, v230
	v_add_f32_e32 v5, v5, v6
	v_fma_f32 v3, v3, v229, -v4
	v_add_f32_e32 v3, v5, v3
	v_add_f32_e32 v231, v231, v232
	v_sub_f32_e32 v3, v189, v3
	v_sub_f32_e32 v4, v190, v231
	buffer_store_dword v3, off, s[0:3], 0 offset:200
	buffer_store_dword v4, off, s[0:3], 0 offset:204
	s_and_saveexec_b64 s[4:5], vcc
	s_cbranch_execz .LBB120_307
; %bb.306:
	buffer_load_dword v3, off, s[0:3], 0 offset:192
	buffer_load_dword v4, off, s[0:3], 0 offset:196
	s_waitcnt vmcnt(0)
	ds_write_b64 v115, v[3:4]
	buffer_store_dword v116, off, s[0:3], 0 offset:192
	buffer_store_dword v116, off, s[0:3], 0 offset:196
.LBB120_307:
	s_or_b64 exec, exec, s[4:5]
	s_waitcnt lgkmcnt(0)
	; wave barrier
	buffer_load_dword v3, off, s[0:3], 0 offset:204
	buffer_load_dword v4, off, s[0:3], 0 offset:212
	;; [unrolled: 1-line block ×26, first 2 shown]
	ds_read2_b64 v[117:120], v116 offset0:83 offset1:84
	ds_read2_b64 v[121:124], v116 offset0:85 offset1:86
	;; [unrolled: 1-line block ×4, first 2 shown]
	buffer_load_dword v195, off, s[0:3], 0 offset:300
	buffer_load_dword v196, off, s[0:3], 0 offset:296
	;; [unrolled: 1-line block ×34, first 2 shown]
	v_cmp_lt_u32_e32 vcc, 23, v0
	s_waitcnt vmcnt(59) lgkmcnt(3)
	v_mul_f32_e32 v133, v117, v3
	s_waitcnt vmcnt(58)
	v_mul_f32_e32 v134, v119, v4
	s_waitcnt vmcnt(57) lgkmcnt(2)
	v_mul_f32_e32 v135, v121, v5
	s_waitcnt vmcnt(56)
	v_mul_f32_e32 v136, v123, v6
	;; [unrolled: 4-line block ×4, first 2 shown]
	s_waitcnt vmcnt(51)
	v_fmac_f32_e32 v133, v118, v11
	s_waitcnt vmcnt(50)
	v_fmac_f32_e32 v134, v120, v12
	v_add_f32_e32 v133, 0, v133
	s_waitcnt vmcnt(49)
	v_fmac_f32_e32 v135, v122, v13
	v_add_f32_e32 v133, v133, v134
	;; [unrolled: 3-line block ×7, first 2 shown]
	v_add_f32_e32 v141, v133, v140
	ds_read2_b64 v[133:136], v116 offset0:91 offset1:92
	buffer_load_dword v229, off, s[0:3], 0 offset:436
	buffer_load_dword v230, off, s[0:3], 0 offset:432
	;; [unrolled: 1-line block ×4, first 2 shown]
	ds_read2_b64 v[137:140], v116 offset0:93 offset1:94
	buffer_load_dword v233, off, s[0:3], 0 offset:448
	buffer_load_dword v234, off, s[0:3], 0 offset:452
	v_mul_f32_e32 v3, v118, v3
	s_waitcnt vmcnt(49) lgkmcnt(1)
	v_mul_f32_e32 v142, v133, v185
	s_waitcnt vmcnt(48)
	v_fmac_f32_e32 v142, v134, v186
	v_fma_f32 v3, v117, v11, -v3
	v_mul_f32_e32 v4, v120, v4
	v_add_f32_e32 v141, v141, v142
	s_waitcnt vmcnt(46)
	v_mul_f32_e32 v142, v135, v188
	v_add_f32_e32 v3, 0, v3
	v_fma_f32 v4, v119, v12, -v4
	v_fmac_f32_e32 v142, v136, v187
	v_add_f32_e32 v3, v3, v4
	v_mul_f32_e32 v4, v122, v5
	v_add_f32_e32 v141, v141, v142
	s_waitcnt vmcnt(43) lgkmcnt(0)
	v_mul_f32_e32 v142, v137, v191
	v_fma_f32 v4, v121, v13, -v4
	s_waitcnt vmcnt(42)
	v_fmac_f32_e32 v142, v138, v192
	v_add_f32_e32 v3, v3, v4
	v_mul_f32_e32 v4, v124, v6
	v_add_f32_e32 v145, v141, v142
	ds_read2_b64 v[141:144], v116 offset0:95 offset1:96
	v_fma_f32 v4, v123, v14, -v4
	v_add_f32_e32 v3, v3, v4
	v_mul_f32_e32 v4, v126, v7
	s_waitcnt vmcnt(40)
	v_mul_f32_e32 v146, v139, v194
	v_fma_f32 v4, v125, v181, -v4
	v_fmac_f32_e32 v146, v140, v193
	v_add_f32_e32 v3, v3, v4
	v_mul_f32_e32 v4, v128, v8
	v_add_f32_e32 v149, v145, v146
	ds_read2_b64 v[145:148], v116 offset0:97 offset1:98
	v_fma_f32 v4, v127, v182, -v4
	s_waitcnt vmcnt(39) lgkmcnt(1)
	v_mul_f32_e32 v150, v141, v195
	v_add_f32_e32 v3, v3, v4
	v_mul_f32_e32 v4, v130, v9
	s_waitcnt vmcnt(38)
	v_fmac_f32_e32 v150, v142, v196
	v_fma_f32 v4, v129, v183, -v4
	v_add_f32_e32 v149, v149, v150
	s_waitcnt vmcnt(36)
	v_mul_f32_e32 v150, v143, v198
	v_add_f32_e32 v3, v3, v4
	v_mul_f32_e32 v4, v132, v10
	v_fmac_f32_e32 v150, v144, v197
	v_fma_f32 v4, v131, v184, -v4
	v_add_f32_e32 v149, v149, v150
	s_waitcnt vmcnt(34) lgkmcnt(0)
	v_mul_f32_e32 v150, v145, v200
	v_add_f32_e32 v3, v3, v4
	v_mul_f32_e32 v4, v134, v185
	v_fmac_f32_e32 v150, v146, v199
	v_fma_f32 v4, v133, v186, -v4
	v_add_f32_e32 v153, v149, v150
	ds_read2_b64 v[149:152], v116 offset0:99 offset1:100
	v_add_f32_e32 v3, v3, v4
	v_mul_f32_e32 v4, v136, v188
	v_fma_f32 v4, v135, v187, -v4
	s_waitcnt vmcnt(32)
	v_mul_f32_e32 v154, v147, v202
	v_add_f32_e32 v3, v3, v4
	v_mul_f32_e32 v4, v138, v191
	v_fmac_f32_e32 v154, v148, v201
	v_fma_f32 v4, v137, v192, -v4
	v_add_f32_e32 v157, v153, v154
	ds_read2_b64 v[153:156], v116 offset0:101 offset1:102
	v_add_f32_e32 v3, v3, v4
	v_mul_f32_e32 v4, v140, v194
	s_waitcnt vmcnt(30) lgkmcnt(1)
	v_mul_f32_e32 v158, v149, v204
	v_fma_f32 v4, v139, v193, -v4
	v_fmac_f32_e32 v158, v150, v203
	v_add_f32_e32 v3, v3, v4
	v_mul_f32_e32 v4, v142, v195
	v_add_f32_e32 v157, v157, v158
	s_waitcnt vmcnt(28)
	v_mul_f32_e32 v158, v151, v206
	v_fma_f32 v4, v141, v196, -v4
	v_fmac_f32_e32 v158, v152, v205
	v_add_f32_e32 v3, v3, v4
	v_mul_f32_e32 v4, v144, v198
	v_add_f32_e32 v157, v157, v158
	s_waitcnt vmcnt(26) lgkmcnt(0)
	v_mul_f32_e32 v158, v153, v208
	v_fma_f32 v4, v143, v197, -v4
	v_fmac_f32_e32 v158, v154, v207
	v_add_f32_e32 v3, v3, v4
	v_mul_f32_e32 v4, v146, v200
	v_add_f32_e32 v161, v157, v158
	ds_read2_b64 v[157:160], v116 offset0:103 offset1:104
	v_fma_f32 v4, v145, v199, -v4
	v_add_f32_e32 v3, v3, v4
	v_mul_f32_e32 v4, v148, v202
	s_waitcnt vmcnt(24)
	v_mul_f32_e32 v162, v155, v210
	v_fma_f32 v4, v147, v201, -v4
	v_fmac_f32_e32 v162, v156, v209
	v_add_f32_e32 v3, v3, v4
	v_mul_f32_e32 v4, v150, v204
	v_add_f32_e32 v165, v161, v162
	ds_read2_b64 v[161:164], v116 offset0:105 offset1:106
	v_fma_f32 v4, v149, v203, -v4
	s_waitcnt vmcnt(22) lgkmcnt(1)
	v_mul_f32_e32 v166, v157, v212
	v_add_f32_e32 v3, v3, v4
	v_mul_f32_e32 v4, v152, v206
	v_fmac_f32_e32 v166, v158, v211
	v_fma_f32 v4, v151, v205, -v4
	v_add_f32_e32 v165, v165, v166
	s_waitcnt vmcnt(20)
	v_mul_f32_e32 v166, v159, v214
	v_add_f32_e32 v3, v3, v4
	v_mul_f32_e32 v4, v154, v208
	v_fmac_f32_e32 v166, v160, v213
	v_fma_f32 v4, v153, v207, -v4
	v_add_f32_e32 v165, v165, v166
	s_waitcnt vmcnt(18) lgkmcnt(0)
	v_mul_f32_e32 v166, v161, v216
	v_add_f32_e32 v3, v3, v4
	v_mul_f32_e32 v4, v156, v210
	v_fmac_f32_e32 v166, v162, v215
	v_fma_f32 v4, v155, v209, -v4
	v_add_f32_e32 v169, v165, v166
	ds_read2_b64 v[165:168], v116 offset0:107 offset1:108
	v_add_f32_e32 v3, v3, v4
	v_mul_f32_e32 v4, v158, v212
	v_fma_f32 v4, v157, v211, -v4
	s_waitcnt vmcnt(16)
	v_mul_f32_e32 v170, v163, v218
	v_add_f32_e32 v3, v3, v4
	v_mul_f32_e32 v4, v160, v214
	v_fmac_f32_e32 v170, v164, v217
	v_fma_f32 v4, v159, v213, -v4
	v_add_f32_e32 v173, v169, v170
	ds_read2_b64 v[169:172], v116 offset0:109 offset1:110
	v_add_f32_e32 v3, v3, v4
	v_mul_f32_e32 v4, v162, v216
	s_waitcnt vmcnt(14) lgkmcnt(1)
	v_mul_f32_e32 v174, v165, v220
	v_fma_f32 v4, v161, v215, -v4
	v_fmac_f32_e32 v174, v166, v219
	v_add_f32_e32 v3, v3, v4
	v_mul_f32_e32 v4, v164, v218
	v_add_f32_e32 v173, v173, v174
	s_waitcnt vmcnt(12)
	v_mul_f32_e32 v174, v167, v222
	v_fma_f32 v4, v163, v217, -v4
	v_fmac_f32_e32 v174, v168, v221
	v_add_f32_e32 v3, v3, v4
	v_mul_f32_e32 v4, v166, v220
	v_add_f32_e32 v173, v173, v174
	s_waitcnt vmcnt(10) lgkmcnt(0)
	v_mul_f32_e32 v174, v169, v224
	v_fma_f32 v4, v165, v219, -v4
	v_fmac_f32_e32 v174, v170, v223
	v_add_f32_e32 v3, v3, v4
	v_mul_f32_e32 v4, v168, v222
	v_add_f32_e32 v177, v173, v174
	ds_read2_b64 v[173:176], v116 offset0:111 offset1:112
	v_fma_f32 v4, v167, v221, -v4
	v_add_f32_e32 v3, v3, v4
	v_mul_f32_e32 v4, v170, v224
	s_waitcnt vmcnt(8)
	v_mul_f32_e32 v178, v171, v226
	v_fma_f32 v4, v169, v223, -v4
	v_fmac_f32_e32 v178, v172, v225
	v_add_f32_e32 v3, v3, v4
	v_mul_f32_e32 v4, v172, v226
	v_add_f32_e32 v235, v177, v178
	ds_read2_b64 v[177:180], v116 offset0:113 offset1:114
	v_fma_f32 v4, v171, v225, -v4
	v_add_f32_e32 v3, v3, v4
	s_waitcnt vmcnt(6) lgkmcnt(1)
	v_mul_f32_e32 v4, v174, v228
	v_mul_f32_e32 v116, v173, v228
	v_fma_f32 v4, v173, v227, -v4
	v_fmac_f32_e32 v116, v174, v227
	v_add_f32_e32 v3, v3, v4
	s_waitcnt vmcnt(5)
	v_mul_f32_e32 v4, v176, v229
	v_add_f32_e32 v116, v235, v116
	v_mul_f32_e32 v235, v175, v229
	s_waitcnt vmcnt(4)
	v_fma_f32 v4, v175, v230, -v4
	v_fmac_f32_e32 v235, v176, v230
	v_add_f32_e32 v3, v3, v4
	s_waitcnt vmcnt(2) lgkmcnt(0)
	v_mul_f32_e32 v4, v178, v232
	v_add_f32_e32 v116, v116, v235
	v_mul_f32_e32 v235, v177, v232
	v_fma_f32 v4, v177, v231, -v4
	v_fmac_f32_e32 v235, v178, v231
	v_add_f32_e32 v3, v3, v4
	s_waitcnt vmcnt(0)
	v_mul_f32_e32 v4, v180, v234
	v_add_f32_e32 v116, v116, v235
	v_mul_f32_e32 v235, v179, v234
	v_fma_f32 v4, v179, v233, -v4
	v_fmac_f32_e32 v235, v180, v233
	v_add_f32_e32 v3, v3, v4
	v_add_f32_e32 v116, v116, v235
	v_sub_f32_e32 v3, v189, v3
	v_sub_f32_e32 v4, v190, v116
	buffer_store_dword v3, off, s[0:3], 0 offset:192
	buffer_store_dword v4, off, s[0:3], 0 offset:196
	s_and_saveexec_b64 s[4:5], vcc
	s_cbranch_execz .LBB120_309
; %bb.308:
	buffer_load_dword v3, off, s[0:3], 0 offset:184
	buffer_load_dword v4, off, s[0:3], 0 offset:188
	v_mov_b32_e32 v5, 0
	buffer_store_dword v5, off, s[0:3], 0 offset:184
	buffer_store_dword v5, off, s[0:3], 0 offset:188
	s_waitcnt vmcnt(2)
	ds_write_b64 v115, v[3:4]
.LBB120_309:
	s_or_b64 exec, exec, s[4:5]
	s_waitcnt lgkmcnt(0)
	; wave barrier
	buffer_load_dword v5, off, s[0:3], 0 offset:196
	buffer_load_dword v6, off, s[0:3], 0 offset:204
	;; [unrolled: 1-line block ×21, first 2 shown]
	v_mov_b32_e32 v116, 0
	buffer_load_dword v192, off, s[0:3], 0 offset:264
	buffer_load_dword v193, off, s[0:3], 0 offset:272
	;; [unrolled: 1-line block ×37, first 2 shown]
	ds_read_b128 v[117:120], v116 offset:656
	ds_read_b128 v[121:124], v116 offset:672
	;; [unrolled: 1-line block ×5, first 2 shown]
	buffer_load_dword v229, off, s[0:3], 0 offset:416
	buffer_load_dword v230, off, s[0:3], 0 offset:420
	v_cmp_lt_u32_e32 vcc, 22, v0
	s_waitcnt vmcnt(59) lgkmcnt(4)
	v_mul_f32_e32 v3, v117, v5
	s_waitcnt vmcnt(58)
	v_mul_f32_e32 v4, v119, v6
	s_waitcnt vmcnt(57) lgkmcnt(3)
	v_mul_f32_e32 v137, v121, v7
	s_waitcnt vmcnt(56)
	v_mul_f32_e32 v138, v123, v8
	;; [unrolled: 4-line block ×3, first 2 shown]
	v_mul_f32_e32 v5, v118, v5
	v_mul_f32_e32 v6, v120, v6
	s_waitcnt vmcnt(51)
	v_fmac_f32_e32 v3, v118, v13
	s_waitcnt vmcnt(50)
	v_fmac_f32_e32 v4, v120, v14
	v_add_f32_e32 v3, 0, v3
	s_waitcnt vmcnt(49)
	v_fmac_f32_e32 v137, v122, v181
	v_add_f32_e32 v3, v3, v4
	;; [unrolled: 3-line block ×5, first 2 shown]
	v_add_f32_e32 v3, v3, v140
	ds_read_b128 v[137:140], v116 offset:736
	buffer_load_dword v231, off, s[0:3], 0 offset:428
	buffer_load_dword v232, off, s[0:3], 0 offset:424
	buffer_load_dword v233, off, s[0:3], 0 offset:432
	buffer_load_dword v234, off, s[0:3], 0 offset:436
	buffer_load_dword v235, off, s[0:3], 0 offset:444
	buffer_load_dword v236, off, s[0:3], 0 offset:440
	buffer_load_dword v237, off, s[0:3], 0 offset:448
	buffer_load_dword v238, off, s[0:3], 0 offset:452
	v_fma_f32 v5, v117, v13, -v5
	v_add_f32_e32 v5, 0, v5
	v_fma_f32 v6, v119, v14, -v6
	v_add_f32_e32 v5, v5, v6
	v_mul_f32_e32 v6, v122, v7
	v_fma_f32 v6, v121, v181, -v6
	v_add_f32_e32 v5, v5, v6
	v_mul_f32_e32 v6, v124, v8
	;; [unrolled: 3-line block ×4, first 2 shown]
	s_waitcnt lgkmcnt(2)
	v_mul_f32_e32 v141, v129, v11
	v_fma_f32 v6, v127, v184, -v6
	v_mul_f32_e32 v142, v131, v12
	s_waitcnt vmcnt(53)
	v_fmac_f32_e32 v141, v130, v185
	v_add_f32_e32 v5, v5, v6
	v_mul_f32_e32 v6, v130, v11
	s_waitcnt vmcnt(52)
	v_fmac_f32_e32 v142, v132, v186
	v_add_f32_e32 v3, v3, v141
	s_waitcnt vmcnt(51) lgkmcnt(1)
	v_mul_f32_e32 v4, v133, v187
	v_fma_f32 v6, v129, v185, -v6
	v_add_f32_e32 v3, v3, v142
	s_waitcnt vmcnt(50)
	v_fmac_f32_e32 v4, v134, v188
	v_add_f32_e32 v5, v5, v6
	v_mul_f32_e32 v6, v132, v12
	v_add_f32_e32 v3, v3, v4
	s_waitcnt vmcnt(49)
	v_mul_f32_e32 v4, v135, v189
	v_fma_f32 v6, v131, v186, -v6
	s_waitcnt vmcnt(46)
	v_fmac_f32_e32 v4, v136, v192
	ds_read_b128 v[141:144], v116 offset:752
	ds_read_b128 v[145:148], v116 offset:768
	v_add_f32_e32 v5, v5, v6
	v_mul_f32_e32 v6, v134, v187
	v_add_f32_e32 v3, v3, v4
	s_waitcnt vmcnt(44) lgkmcnt(2)
	v_mul_f32_e32 v4, v137, v194
	v_fma_f32 v6, v133, v188, -v6
	v_fmac_f32_e32 v4, v138, v193
	v_add_f32_e32 v5, v5, v6
	v_mul_f32_e32 v6, v136, v189
	v_add_f32_e32 v3, v3, v4
	s_waitcnt vmcnt(42)
	v_mul_f32_e32 v4, v139, v196
	v_fma_f32 v6, v135, v192, -v6
	v_fmac_f32_e32 v4, v140, v195
	v_add_f32_e32 v5, v5, v6
	v_mul_f32_e32 v6, v138, v194
	v_add_f32_e32 v3, v3, v4
	s_waitcnt vmcnt(40) lgkmcnt(1)
	v_mul_f32_e32 v4, v141, v198
	v_fma_f32 v6, v137, v193, -v6
	v_fmac_f32_e32 v4, v142, v197
	v_add_f32_e32 v5, v5, v6
	v_mul_f32_e32 v6, v140, v196
	v_add_f32_e32 v3, v3, v4
	s_waitcnt vmcnt(38)
	v_mul_f32_e32 v4, v143, v200
	v_fma_f32 v6, v139, v195, -v6
	v_fmac_f32_e32 v4, v144, v199
	ds_read_b128 v[149:152], v116 offset:784
	ds_read_b128 v[153:156], v116 offset:800
	v_add_f32_e32 v5, v5, v6
	v_mul_f32_e32 v6, v142, v198
	v_add_f32_e32 v3, v3, v4
	s_waitcnt vmcnt(36) lgkmcnt(2)
	v_mul_f32_e32 v4, v145, v202
	v_fma_f32 v6, v141, v197, -v6
	v_fmac_f32_e32 v4, v146, v201
	v_add_f32_e32 v5, v5, v6
	v_mul_f32_e32 v6, v144, v200
	v_add_f32_e32 v3, v3, v4
	s_waitcnt vmcnt(34)
	v_mul_f32_e32 v4, v147, v204
	v_fma_f32 v6, v143, v199, -v6
	v_fmac_f32_e32 v4, v148, v203
	v_add_f32_e32 v5, v5, v6
	v_mul_f32_e32 v6, v146, v202
	v_add_f32_e32 v3, v3, v4
	s_waitcnt vmcnt(32) lgkmcnt(1)
	v_mul_f32_e32 v4, v149, v206
	v_fma_f32 v6, v145, v201, -v6
	v_fmac_f32_e32 v4, v150, v205
	v_add_f32_e32 v5, v5, v6
	v_mul_f32_e32 v6, v148, v204
	v_add_f32_e32 v3, v3, v4
	s_waitcnt vmcnt(30)
	v_mul_f32_e32 v4, v151, v208
	v_fma_f32 v6, v147, v203, -v6
	;; [unrolled: 30-line block ×5, first 2 shown]
	s_waitcnt vmcnt(6)
	v_fmac_f32_e32 v4, v176, v232
	v_add_f32_e32 v5, v5, v6
	v_mul_f32_e32 v6, v174, v230
	v_add_f32_e32 v239, v3, v4
	ds_read_b64 v[3:4], v116 offset:912
	v_fma_f32 v6, v173, v229, -v6
	s_waitcnt vmcnt(4) lgkmcnt(1)
	v_mul_f32_e32 v240, v177, v234
	v_add_f32_e32 v5, v5, v6
	v_mul_f32_e32 v6, v176, v231
	v_fmac_f32_e32 v240, v178, v233
	v_fma_f32 v6, v175, v232, -v6
	v_add_f32_e32 v239, v239, v240
	s_waitcnt vmcnt(3)
	v_mul_f32_e32 v240, v179, v235
	v_add_f32_e32 v5, v5, v6
	v_mul_f32_e32 v6, v178, v234
	s_waitcnt vmcnt(2)
	v_fmac_f32_e32 v240, v180, v236
	v_fma_f32 v6, v177, v233, -v6
	v_add_f32_e32 v239, v239, v240
	s_waitcnt vmcnt(0) lgkmcnt(0)
	v_mul_f32_e32 v240, v3, v238
	v_add_f32_e32 v5, v5, v6
	v_mul_f32_e32 v6, v180, v235
	v_fmac_f32_e32 v240, v4, v237
	v_fma_f32 v6, v179, v236, -v6
	v_mul_f32_e32 v4, v4, v238
	v_add_f32_e32 v5, v5, v6
	v_fma_f32 v3, v3, v237, -v4
	v_add_f32_e32 v3, v5, v3
	v_add_f32_e32 v239, v239, v240
	v_sub_f32_e32 v3, v190, v3
	v_sub_f32_e32 v4, v191, v239
	buffer_store_dword v3, off, s[0:3], 0 offset:184
	buffer_store_dword v4, off, s[0:3], 0 offset:188
	s_and_saveexec_b64 s[4:5], vcc
	s_cbranch_execz .LBB120_311
; %bb.310:
	buffer_load_dword v3, off, s[0:3], 0 offset:176
	buffer_load_dword v4, off, s[0:3], 0 offset:180
	s_waitcnt vmcnt(0)
	ds_write_b64 v115, v[3:4]
	buffer_store_dword v116, off, s[0:3], 0 offset:176
	buffer_store_dword v116, off, s[0:3], 0 offset:180
.LBB120_311:
	s_or_b64 exec, exec, s[4:5]
	s_waitcnt lgkmcnt(0)
	; wave barrier
	buffer_load_dword v3, off, s[0:3], 0 offset:188
	buffer_load_dword v4, off, s[0:3], 0 offset:196
	;; [unrolled: 1-line block ×32, first 2 shown]
	ds_read2_b64 v[117:120], v116 offset0:81 offset1:82
	ds_read2_b64 v[121:124], v116 offset0:83 offset1:84
	ds_read2_b64 v[125:128], v116 offset0:85 offset1:86
	ds_read2_b64 v[129:132], v116 offset0:87 offset1:88
	ds_read2_b64 v[133:136], v116 offset0:89 offset1:90
	ds_read2_b64 v[137:140], v116 offset0:91 offset1:92
	buffer_load_dword v205, off, s[0:3], 0 offset:304
	buffer_load_dword v206, off, s[0:3], 0 offset:308
	;; [unrolled: 1-line block ×38, first 2 shown]
	v_cmp_lt_u32_e32 vcc, 21, v0
	s_waitcnt vmcnt(62) lgkmcnt(5)
	v_mul_f32_e32 v141, v117, v3
	v_mul_f32_e32 v142, v119, v4
	s_waitcnt lgkmcnt(4)
	v_mul_f32_e32 v143, v121, v5
	v_mul_f32_e32 v144, v123, v6
	s_waitcnt lgkmcnt(3)
	;; [unrolled: 3-line block ×3, first 2 shown]
	v_mul_f32_e32 v147, v129, v9
	v_mul_f32_e32 v148, v131, v10
	s_waitcnt vmcnt(61)
	v_fmac_f32_e32 v143, v122, v11
	s_waitcnt vmcnt(60)
	v_fmac_f32_e32 v142, v120, v12
	;; [unrolled: 2-line block ×3, first 2 shown]
	v_add_f32_e32 v141, 0, v141
	v_add_f32_e32 v141, v141, v142
	;; [unrolled: 1-line block ×3, first 2 shown]
	s_waitcnt vmcnt(55)
	v_fmac_f32_e32 v144, v124, v187
	v_fmac_f32_e32 v145, v126, v186
	v_add_f32_e32 v141, v141, v144
	v_fmac_f32_e32 v146, v128, v185
	v_add_f32_e32 v141, v141, v145
	;; [unrolled: 2-line block ×3, first 2 shown]
	s_waitcnt vmcnt(51)
	v_fmac_f32_e32 v148, v132, v191
	v_add_f32_e32 v141, v141, v147
	s_waitcnt vmcnt(50) lgkmcnt(1)
	v_mul_f32_e32 v142, v133, v192
	v_add_f32_e32 v141, v141, v148
	v_fmac_f32_e32 v142, v134, v190
	v_mul_f32_e32 v3, v118, v3
	v_add_f32_e32 v141, v141, v142
	s_waitcnt vmcnt(49)
	v_mul_f32_e32 v142, v135, v193
	v_fma_f32 v3, v117, v13, -v3
	v_mul_f32_e32 v4, v120, v4
	v_fmac_f32_e32 v142, v136, v189
	v_add_f32_e32 v3, 0, v3
	v_fma_f32 v4, v119, v12, -v4
	v_add_f32_e32 v141, v141, v142
	s_waitcnt vmcnt(48) lgkmcnt(0)
	v_mul_f32_e32 v142, v137, v194
	v_add_f32_e32 v3, v3, v4
	v_mul_f32_e32 v4, v122, v5
	v_fmac_f32_e32 v142, v138, v188
	v_fma_f32 v4, v121, v11, -v4
	v_add_f32_e32 v145, v141, v142
	ds_read2_b64 v[141:144], v116 offset0:93 offset1:94
	v_add_f32_e32 v3, v3, v4
	v_mul_f32_e32 v4, v124, v6
	v_fma_f32 v4, v123, v187, -v4
	s_waitcnt vmcnt(45)
	v_mul_f32_e32 v146, v139, v197
	v_add_f32_e32 v3, v3, v4
	v_mul_f32_e32 v4, v126, v7
	s_waitcnt vmcnt(38)
	v_fmac_f32_e32 v146, v140, v204
	v_fma_f32 v4, v125, v186, -v4
	v_add_f32_e32 v149, v145, v146
	ds_read2_b64 v[145:148], v116 offset0:95 offset1:96
	v_add_f32_e32 v3, v3, v4
	v_mul_f32_e32 v4, v128, v8
	s_waitcnt lgkmcnt(1)
	v_mul_f32_e32 v150, v141, v199
	v_fma_f32 v4, v127, v185, -v4
	v_fmac_f32_e32 v150, v142, v198
	v_add_f32_e32 v3, v3, v4
	v_mul_f32_e32 v4, v130, v9
	v_add_f32_e32 v149, v149, v150
	v_mul_f32_e32 v150, v143, v201
	v_fma_f32 v4, v129, v14, -v4
	v_fmac_f32_e32 v150, v144, v200
	v_add_f32_e32 v3, v3, v4
	v_mul_f32_e32 v4, v132, v10
	v_add_f32_e32 v149, v149, v150
	s_waitcnt lgkmcnt(0)
	v_mul_f32_e32 v150, v145, v203
	v_fma_f32 v4, v131, v191, -v4
	v_fmac_f32_e32 v150, v146, v202
	v_add_f32_e32 v3, v3, v4
	v_mul_f32_e32 v4, v134, v192
	v_add_f32_e32 v153, v149, v150
	ds_read2_b64 v[149:152], v116 offset0:97 offset1:98
	v_fma_f32 v4, v133, v190, -v4
	v_add_f32_e32 v3, v3, v4
	v_mul_f32_e32 v4, v136, v193
	s_waitcnt vmcnt(36)
	v_mul_f32_e32 v154, v147, v206
	v_fma_f32 v4, v135, v189, -v4
	v_fmac_f32_e32 v154, v148, v205
	v_add_f32_e32 v3, v3, v4
	v_mul_f32_e32 v4, v138, v194
	v_add_f32_e32 v157, v153, v154
	ds_read2_b64 v[153:156], v116 offset0:99 offset1:100
	v_fma_f32 v4, v137, v188, -v4
	s_waitcnt vmcnt(34) lgkmcnt(1)
	v_mul_f32_e32 v158, v149, v208
	v_add_f32_e32 v3, v3, v4
	v_mul_f32_e32 v4, v140, v197
	v_fmac_f32_e32 v158, v150, v207
	v_fma_f32 v4, v139, v204, -v4
	v_add_f32_e32 v157, v157, v158
	s_waitcnt vmcnt(32)
	v_mul_f32_e32 v158, v151, v210
	v_add_f32_e32 v3, v3, v4
	v_mul_f32_e32 v4, v142, v199
	v_fmac_f32_e32 v158, v152, v209
	v_fma_f32 v4, v141, v198, -v4
	v_add_f32_e32 v157, v157, v158
	s_waitcnt vmcnt(30) lgkmcnt(0)
	v_mul_f32_e32 v158, v153, v212
	v_add_f32_e32 v3, v3, v4
	v_mul_f32_e32 v4, v144, v201
	v_fmac_f32_e32 v158, v154, v211
	v_fma_f32 v4, v143, v200, -v4
	v_add_f32_e32 v161, v157, v158
	ds_read2_b64 v[157:160], v116 offset0:101 offset1:102
	v_add_f32_e32 v3, v3, v4
	v_mul_f32_e32 v4, v146, v203
	v_fma_f32 v4, v145, v202, -v4
	s_waitcnt vmcnt(28)
	v_mul_f32_e32 v162, v155, v214
	v_add_f32_e32 v3, v3, v4
	v_mul_f32_e32 v4, v148, v206
	v_fmac_f32_e32 v162, v156, v213
	v_fma_f32 v4, v147, v205, -v4
	v_add_f32_e32 v165, v161, v162
	ds_read2_b64 v[161:164], v116 offset0:103 offset1:104
	v_add_f32_e32 v3, v3, v4
	v_mul_f32_e32 v4, v150, v208
	s_waitcnt vmcnt(26) lgkmcnt(1)
	v_mul_f32_e32 v166, v157, v216
	v_fma_f32 v4, v149, v207, -v4
	v_fmac_f32_e32 v166, v158, v215
	v_add_f32_e32 v3, v3, v4
	v_mul_f32_e32 v4, v152, v210
	v_add_f32_e32 v165, v165, v166
	s_waitcnt vmcnt(24)
	v_mul_f32_e32 v166, v159, v218
	v_fma_f32 v4, v151, v209, -v4
	v_fmac_f32_e32 v166, v160, v217
	v_add_f32_e32 v3, v3, v4
	v_mul_f32_e32 v4, v154, v212
	v_add_f32_e32 v165, v165, v166
	s_waitcnt vmcnt(22) lgkmcnt(0)
	v_mul_f32_e32 v166, v161, v220
	v_fma_f32 v4, v153, v211, -v4
	v_fmac_f32_e32 v166, v162, v219
	v_add_f32_e32 v3, v3, v4
	v_mul_f32_e32 v4, v156, v214
	v_add_f32_e32 v169, v165, v166
	ds_read2_b64 v[165:168], v116 offset0:105 offset1:106
	v_fma_f32 v4, v155, v213, -v4
	v_add_f32_e32 v3, v3, v4
	v_mul_f32_e32 v4, v158, v216
	s_waitcnt vmcnt(20)
	v_mul_f32_e32 v170, v163, v222
	v_fma_f32 v4, v157, v215, -v4
	v_fmac_f32_e32 v170, v164, v221
	v_add_f32_e32 v3, v3, v4
	v_mul_f32_e32 v4, v160, v218
	v_add_f32_e32 v173, v169, v170
	ds_read2_b64 v[169:172], v116 offset0:107 offset1:108
	v_fma_f32 v4, v159, v217, -v4
	s_waitcnt vmcnt(18) lgkmcnt(1)
	v_mul_f32_e32 v174, v165, v224
	v_add_f32_e32 v3, v3, v4
	v_mul_f32_e32 v4, v162, v220
	v_fmac_f32_e32 v174, v166, v223
	v_fma_f32 v4, v161, v219, -v4
	v_add_f32_e32 v173, v173, v174
	s_waitcnt vmcnt(16)
	v_mul_f32_e32 v174, v167, v226
	v_add_f32_e32 v3, v3, v4
	v_mul_f32_e32 v4, v164, v222
	v_fmac_f32_e32 v174, v168, v225
	v_fma_f32 v4, v163, v221, -v4
	v_add_f32_e32 v173, v173, v174
	s_waitcnt vmcnt(14) lgkmcnt(0)
	v_mul_f32_e32 v174, v169, v228
	v_add_f32_e32 v3, v3, v4
	v_mul_f32_e32 v4, v166, v224
	v_fmac_f32_e32 v174, v170, v227
	v_fma_f32 v4, v165, v223, -v4
	v_add_f32_e32 v177, v173, v174
	ds_read2_b64 v[173:176], v116 offset0:109 offset1:110
	v_add_f32_e32 v3, v3, v4
	v_mul_f32_e32 v4, v168, v226
	v_fma_f32 v4, v167, v225, -v4
	v_add_f32_e32 v3, v3, v4
	v_mul_f32_e32 v4, v170, v228
	s_waitcnt vmcnt(12)
	v_mul_f32_e32 v178, v171, v230
	v_fma_f32 v4, v169, v227, -v4
	v_fmac_f32_e32 v178, v172, v229
	v_add_f32_e32 v3, v3, v4
	v_mul_f32_e32 v4, v172, v230
	v_add_f32_e32 v181, v177, v178
	ds_read2_b64 v[177:180], v116 offset0:111 offset1:112
	s_waitcnt vmcnt(10) lgkmcnt(1)
	v_mul_f32_e32 v182, v173, v232
	v_fma_f32 v4, v171, v229, -v4
	v_fmac_f32_e32 v182, v174, v231
	v_add_f32_e32 v3, v3, v4
	v_mul_f32_e32 v4, v174, v232
	v_add_f32_e32 v181, v181, v182
	s_waitcnt vmcnt(9)
	v_mul_f32_e32 v182, v175, v233
	v_fma_f32 v4, v173, v231, -v4
	s_waitcnt vmcnt(6)
	v_fmac_f32_e32 v182, v176, v236
	v_add_f32_e32 v3, v3, v4
	v_mul_f32_e32 v4, v176, v233
	v_add_f32_e32 v243, v181, v182
	ds_read2_b64 v[181:184], v116 offset0:113 offset1:114
	v_fma_f32 v4, v175, v236, -v4
	v_add_f32_e32 v3, v3, v4
	s_waitcnt lgkmcnt(1)
	v_mul_f32_e32 v4, v178, v235
	v_mul_f32_e32 v244, v177, v235
	v_fma_f32 v4, v177, v234, -v4
	v_fmac_f32_e32 v244, v178, v234
	v_add_f32_e32 v3, v3, v4
	s_waitcnt vmcnt(4)
	v_mul_f32_e32 v4, v180, v238
	v_add_f32_e32 v116, v243, v244
	v_mul_f32_e32 v243, v179, v238
	v_fma_f32 v4, v179, v237, -v4
	v_fmac_f32_e32 v243, v180, v237
	v_add_f32_e32 v3, v3, v4
	s_waitcnt vmcnt(3) lgkmcnt(0)
	v_mul_f32_e32 v4, v182, v239
	v_add_f32_e32 v116, v116, v243
	v_mul_f32_e32 v243, v181, v239
	s_waitcnt vmcnt(0)
	v_fma_f32 v4, v181, v242, -v4
	v_fmac_f32_e32 v243, v182, v242
	v_add_f32_e32 v3, v3, v4
	v_mul_f32_e32 v4, v184, v241
	v_add_f32_e32 v116, v116, v243
	v_mul_f32_e32 v243, v183, v241
	v_fma_f32 v4, v183, v240, -v4
	v_fmac_f32_e32 v243, v184, v240
	v_add_f32_e32 v3, v3, v4
	v_add_f32_e32 v116, v116, v243
	v_sub_f32_e32 v3, v195, v3
	v_sub_f32_e32 v4, v196, v116
	buffer_store_dword v3, off, s[0:3], 0 offset:176
	buffer_store_dword v4, off, s[0:3], 0 offset:180
	s_and_saveexec_b64 s[4:5], vcc
	s_cbranch_execz .LBB120_313
; %bb.312:
	buffer_load_dword v3, off, s[0:3], 0 offset:168
	buffer_load_dword v4, off, s[0:3], 0 offset:172
	v_mov_b32_e32 v5, 0
	buffer_store_dword v5, off, s[0:3], 0 offset:168
	buffer_store_dword v5, off, s[0:3], 0 offset:172
	s_waitcnt vmcnt(2)
	ds_write_b64 v115, v[3:4]
.LBB120_313:
	s_or_b64 exec, exec, s[4:5]
	s_waitcnt lgkmcnt(0)
	; wave barrier
	buffer_load_dword v5, off, s[0:3], 0 offset:180
	buffer_load_dword v6, off, s[0:3], 0 offset:188
	;; [unrolled: 1-line block ×56, first 2 shown]
	v_mov_b32_e32 v116, 0
	ds_read_b128 v[117:120], v116 offset:640
	ds_read_b128 v[121:124], v116 offset:656
	;; [unrolled: 1-line block ×6, first 2 shown]
	buffer_load_dword v231, off, s[0:3], 0 offset:392
	buffer_load_dword v232, off, s[0:3], 0 offset:396
	;; [unrolled: 1-line block ×16, first 2 shown]
	ds_read_b128 v[149:152], v116 offset:768
	ds_read_b128 v[153:156], v116 offset:784
	;; [unrolled: 1-line block ×9, first 2 shown]
	v_cmp_lt_u32_e32 vcc, 20, v0
	s_waitcnt vmcnt(62) lgkmcnt(14)
	v_mul_f32_e32 v3, v117, v5
	v_mul_f32_e32 v5, v118, v5
	;; [unrolled: 1-line block ×4, first 2 shown]
	s_waitcnt lgkmcnt(13)
	v_mul_f32_e32 v141, v121, v7
	v_mul_f32_e32 v142, v123, v8
	s_waitcnt lgkmcnt(12)
	v_mul_f32_e32 v143, v125, v9
	v_mul_f32_e32 v144, v127, v10
	s_waitcnt lgkmcnt(11)
	v_mul_f32_e32 v145, v129, v11
	v_fmac_f32_e32 v141, v122, v14
	s_waitcnt vmcnt(61)
	v_fma_f32 v6, v119, v185, -v6
	s_waitcnt vmcnt(60)
	v_fma_f32 v5, v117, v186, -v5
	v_add_f32_e32 v5, 0, v5
	v_add_f32_e32 v5, v5, v6
	v_mul_f32_e32 v6, v122, v7
	v_fma_f32 v6, v121, v14, -v6
	v_add_f32_e32 v5, v5, v6
	v_mul_f32_e32 v6, v124, v8
	v_fmac_f32_e32 v3, v118, v186
	s_waitcnt vmcnt(56)
	v_fma_f32 v6, v123, v190, -v6
	v_fmac_f32_e32 v4, v120, v185
	v_add_f32_e32 v3, 0, v3
	v_add_f32_e32 v5, v5, v6
	v_mul_f32_e32 v6, v126, v9
	v_add_f32_e32 v3, v3, v4
	v_fma_f32 v6, v125, v189, -v6
	v_fmac_f32_e32 v142, v124, v190
	v_add_f32_e32 v3, v3, v141
	v_add_f32_e32 v5, v5, v6
	v_mul_f32_e32 v6, v128, v10
	v_fmac_f32_e32 v143, v126, v189
	v_add_f32_e32 v3, v3, v142
	v_fma_f32 v6, v127, v188, -v6
	v_fmac_f32_e32 v144, v128, v188
	v_add_f32_e32 v3, v3, v143
	v_add_f32_e32 v5, v5, v6
	v_mul_f32_e32 v6, v130, v11
	v_mul_f32_e32 v146, v131, v12
	v_fmac_f32_e32 v145, v130, v187
	v_add_f32_e32 v3, v3, v144
	v_fma_f32 v6, v129, v187, -v6
	s_waitcnt lgkmcnt(10)
	v_mul_f32_e32 v147, v133, v13
	s_waitcnt vmcnt(52)
	v_fmac_f32_e32 v146, v132, v194
	v_add_f32_e32 v3, v3, v145
	v_add_f32_e32 v5, v5, v6
	v_mul_f32_e32 v6, v132, v12
	v_add_f32_e32 v3, v3, v146
	v_fmac_f32_e32 v147, v134, v193
	s_waitcnt vmcnt(51)
	v_mul_f32_e32 v4, v135, v195
	v_fma_f32 v6, v131, v194, -v6
	v_add_f32_e32 v3, v3, v147
	v_fmac_f32_e32 v4, v136, v192
	ds_read_b128 v[141:144], v116 offset:736
	ds_read_b128 v[145:148], v116 offset:752
	v_add_f32_e32 v5, v5, v6
	v_mul_f32_e32 v6, v134, v13
	v_add_f32_e32 v3, v3, v4
	s_waitcnt vmcnt(50) lgkmcnt(11)
	v_mul_f32_e32 v4, v137, v196
	v_fma_f32 v6, v133, v193, -v6
	v_fmac_f32_e32 v4, v138, v191
	v_add_f32_e32 v5, v5, v6
	v_mul_f32_e32 v6, v136, v195
	v_add_f32_e32 v3, v3, v4
	s_waitcnt vmcnt(46)
	v_mul_f32_e32 v4, v139, v200
	v_fma_f32 v6, v135, v192, -v6
	v_fmac_f32_e32 v4, v140, v199
	v_add_f32_e32 v5, v5, v6
	v_mul_f32_e32 v6, v138, v196
	v_add_f32_e32 v3, v3, v4
	s_waitcnt vmcnt(44) lgkmcnt(1)
	v_mul_f32_e32 v4, v141, v202
	v_fma_f32 v6, v137, v191, -v6
	v_fmac_f32_e32 v4, v142, v201
	v_add_f32_e32 v5, v5, v6
	v_mul_f32_e32 v6, v140, v200
	v_add_f32_e32 v3, v3, v4
	s_waitcnt vmcnt(42)
	v_mul_f32_e32 v4, v143, v204
	v_fma_f32 v6, v139, v199, -v6
	v_fmac_f32_e32 v4, v144, v203
	;; [unrolled: 14-line block ×3, first 2 shown]
	v_add_f32_e32 v5, v5, v6
	v_mul_f32_e32 v6, v146, v206
	v_add_f32_e32 v3, v3, v4
	s_waitcnt vmcnt(36)
	v_mul_f32_e32 v4, v149, v210
	v_fma_f32 v6, v145, v205, -v6
	v_fmac_f32_e32 v4, v150, v209
	v_add_f32_e32 v5, v5, v6
	v_mul_f32_e32 v6, v148, v208
	v_add_f32_e32 v3, v3, v4
	s_waitcnt vmcnt(34)
	v_mul_f32_e32 v4, v151, v212
	v_fma_f32 v6, v147, v207, -v6
	v_fmac_f32_e32 v4, v152, v211
	;; [unrolled: 7-line block ×13, first 2 shown]
	v_add_f32_e32 v5, v5, v6
	v_mul_f32_e32 v6, v172, v232
	v_add_f32_e32 v3, v3, v4
	s_waitcnt vmcnt(11)
	v_mul_f32_e32 v4, v175, v235
	v_fma_f32 v6, v171, v231, -v6
	s_waitcnt vmcnt(8)
	v_fmac_f32_e32 v4, v176, v238
	v_add_f32_e32 v5, v5, v6
	v_mul_f32_e32 v6, v174, v234
	v_add_f32_e32 v3, v3, v4
	v_mul_f32_e32 v4, v177, v237
	v_fma_f32 v6, v173, v233, -v6
	v_fmac_f32_e32 v4, v178, v236
	v_add_f32_e32 v5, v5, v6
	v_mul_f32_e32 v6, v176, v235
	v_add_f32_e32 v3, v3, v4
	s_waitcnt vmcnt(6)
	v_mul_f32_e32 v4, v179, v240
	v_fma_f32 v6, v175, v238, -v6
	v_fmac_f32_e32 v4, v180, v239
	v_add_f32_e32 v5, v5, v6
	v_mul_f32_e32 v6, v178, v237
	v_add_f32_e32 v247, v3, v4
	ds_read_b64 v[3:4], v116 offset:912
	v_fma_f32 v6, v177, v236, -v6
	s_waitcnt vmcnt(4)
	v_mul_f32_e32 v248, v181, v242
	v_add_f32_e32 v5, v5, v6
	v_mul_f32_e32 v6, v180, v240
	v_fmac_f32_e32 v248, v182, v241
	v_fma_f32 v6, v179, v239, -v6
	v_add_f32_e32 v247, v247, v248
	s_waitcnt vmcnt(3)
	v_mul_f32_e32 v248, v183, v243
	v_add_f32_e32 v5, v5, v6
	v_mul_f32_e32 v6, v182, v242
	s_waitcnt vmcnt(0)
	v_fmac_f32_e32 v248, v184, v246
	v_fma_f32 v6, v181, v241, -v6
	v_add_f32_e32 v247, v247, v248
	s_waitcnt lgkmcnt(0)
	v_mul_f32_e32 v248, v3, v245
	v_add_f32_e32 v5, v5, v6
	v_mul_f32_e32 v6, v184, v243
	v_fmac_f32_e32 v248, v4, v244
	v_fma_f32 v6, v183, v246, -v6
	v_mul_f32_e32 v4, v4, v245
	v_add_f32_e32 v5, v5, v6
	v_fma_f32 v3, v3, v244, -v4
	v_add_f32_e32 v3, v5, v3
	v_add_f32_e32 v247, v247, v248
	v_sub_f32_e32 v3, v197, v3
	v_sub_f32_e32 v4, v198, v247
	buffer_store_dword v3, off, s[0:3], 0 offset:168
	buffer_store_dword v4, off, s[0:3], 0 offset:172
	s_and_saveexec_b64 s[4:5], vcc
	s_cbranch_execz .LBB120_315
; %bb.314:
	buffer_load_dword v3, off, s[0:3], 0 offset:160
	buffer_load_dword v4, off, s[0:3], 0 offset:164
	s_waitcnt vmcnt(0)
	ds_write_b64 v115, v[3:4]
	buffer_store_dword v116, off, s[0:3], 0 offset:160
	buffer_store_dword v116, off, s[0:3], 0 offset:164
.LBB120_315:
	s_or_b64 exec, exec, s[4:5]
	s_waitcnt lgkmcnt(0)
	; wave barrier
	buffer_load_dword v3, off, s[0:3], 0 offset:172
	buffer_load_dword v4, off, s[0:3], 0 offset:180
	;; [unrolled: 1-line block ×26, first 2 shown]
	ds_read2_b64 v[117:120], v116 offset0:79 offset1:80
	ds_read2_b64 v[121:124], v116 offset0:81 offset1:82
	;; [unrolled: 1-line block ×6, first 2 shown]
	buffer_load_dword v203, off, s[0:3], 0 offset:264
	buffer_load_dword v204, off, s[0:3], 0 offset:268
	;; [unrolled: 1-line block ×46, first 2 shown]
	v_cmp_lt_u32_e32 vcc, 19, v0
	s_waitcnt vmcnt(62) lgkmcnt(5)
	v_mul_f32_e32 v141, v117, v3
	v_mul_f32_e32 v142, v119, v4
	s_waitcnt lgkmcnt(4)
	v_mul_f32_e32 v143, v121, v5
	v_mul_f32_e32 v144, v123, v6
	s_waitcnt lgkmcnt(3)
	;; [unrolled: 3-line block ×4, first 2 shown]
	v_mul_f32_e32 v149, v133, v11
	v_fmac_f32_e32 v143, v122, v12
	s_waitcnt vmcnt(61)
	v_fmac_f32_e32 v142, v120, v13
	s_waitcnt vmcnt(60)
	v_fmac_f32_e32 v141, v118, v14
	v_add_f32_e32 v141, 0, v141
	v_add_f32_e32 v141, v141, v142
	;; [unrolled: 1-line block ×3, first 2 shown]
	s_waitcnt vmcnt(56)
	v_fmac_f32_e32 v144, v124, v192
	v_fmac_f32_e32 v145, v126, v191
	v_add_f32_e32 v141, v141, v144
	v_fmac_f32_e32 v146, v128, v190
	v_add_f32_e32 v141, v141, v145
	v_fmac_f32_e32 v147, v130, v189
	v_add_f32_e32 v141, v141, v146
	s_waitcnt vmcnt(52)
	v_fmac_f32_e32 v148, v132, v196
	v_add_f32_e32 v141, v141, v147
	v_fmac_f32_e32 v149, v134, v195
	v_add_f32_e32 v141, v141, v148
	s_waitcnt vmcnt(51)
	v_mul_f32_e32 v142, v135, v197
	v_add_f32_e32 v141, v141, v149
	v_fmac_f32_e32 v142, v136, v194
	v_add_f32_e32 v141, v141, v142
	s_waitcnt vmcnt(50) lgkmcnt(0)
	v_mul_f32_e32 v142, v137, v198
	v_fmac_f32_e32 v142, v138, v193
	s_waitcnt vmcnt(46)
	v_mul_f32_e32 v146, v139, v202
	v_add_f32_e32 v145, v141, v142
	v_fmac_f32_e32 v146, v140, v201
	ds_read2_b64 v[141:144], v116 offset0:91 offset1:92
	v_add_f32_e32 v149, v145, v146
	ds_read2_b64 v[145:148], v116 offset0:93 offset1:94
	buffer_load_dword v249, off, s[0:3], 0 offset:448
	buffer_load_dword v250, off, s[0:3], 0 offset:452
	v_mul_f32_e32 v3, v118, v3
	v_fma_f32 v3, v117, v14, -v3
	v_mul_f32_e32 v4, v120, v4
	v_add_f32_e32 v3, 0, v3
	v_fma_f32 v4, v119, v13, -v4
	v_add_f32_e32 v3, v3, v4
	v_mul_f32_e32 v4, v122, v5
	v_fma_f32 v4, v121, v12, -v4
	v_add_f32_e32 v3, v3, v4
	v_mul_f32_e32 v4, v124, v6
	;; [unrolled: 3-line block ×3, first 2 shown]
	s_waitcnt vmcnt(46) lgkmcnt(1)
	v_mul_f32_e32 v150, v141, v204
	v_fma_f32 v4, v125, v191, -v4
	v_fmac_f32_e32 v150, v142, v203
	v_add_f32_e32 v3, v3, v4
	v_mul_f32_e32 v4, v128, v8
	v_add_f32_e32 v149, v149, v150
	s_waitcnt vmcnt(44)
	v_mul_f32_e32 v150, v143, v206
	v_fma_f32 v4, v127, v190, -v4
	v_fmac_f32_e32 v150, v144, v205
	v_add_f32_e32 v3, v3, v4
	v_mul_f32_e32 v4, v130, v9
	v_add_f32_e32 v149, v149, v150
	s_waitcnt vmcnt(42) lgkmcnt(0)
	v_mul_f32_e32 v150, v145, v208
	v_fma_f32 v4, v129, v189, -v4
	v_fmac_f32_e32 v150, v146, v207
	v_add_f32_e32 v3, v3, v4
	v_mul_f32_e32 v4, v132, v10
	v_add_f32_e32 v153, v149, v150
	ds_read2_b64 v[149:152], v116 offset0:95 offset1:96
	v_fma_f32 v4, v131, v196, -v4
	v_add_f32_e32 v3, v3, v4
	v_mul_f32_e32 v4, v134, v11
	s_waitcnt vmcnt(40)
	v_mul_f32_e32 v154, v147, v210
	v_fma_f32 v4, v133, v195, -v4
	v_fmac_f32_e32 v154, v148, v209
	v_add_f32_e32 v3, v3, v4
	v_mul_f32_e32 v4, v136, v197
	v_add_f32_e32 v157, v153, v154
	ds_read2_b64 v[153:156], v116 offset0:97 offset1:98
	v_fma_f32 v4, v135, v194, -v4
	s_waitcnt vmcnt(38) lgkmcnt(1)
	v_mul_f32_e32 v158, v149, v212
	v_add_f32_e32 v3, v3, v4
	v_mul_f32_e32 v4, v138, v198
	v_fmac_f32_e32 v158, v150, v211
	v_fma_f32 v4, v137, v193, -v4
	v_add_f32_e32 v157, v157, v158
	s_waitcnt vmcnt(36)
	v_mul_f32_e32 v158, v151, v214
	v_add_f32_e32 v3, v3, v4
	v_mul_f32_e32 v4, v140, v202
	v_fmac_f32_e32 v158, v152, v213
	v_fma_f32 v4, v139, v201, -v4
	v_add_f32_e32 v157, v157, v158
	s_waitcnt vmcnt(34) lgkmcnt(0)
	v_mul_f32_e32 v158, v153, v216
	v_add_f32_e32 v3, v3, v4
	v_mul_f32_e32 v4, v142, v204
	v_fmac_f32_e32 v158, v154, v215
	v_fma_f32 v4, v141, v203, -v4
	v_add_f32_e32 v161, v157, v158
	ds_read2_b64 v[157:160], v116 offset0:99 offset1:100
	v_add_f32_e32 v3, v3, v4
	v_mul_f32_e32 v4, v144, v206
	v_fma_f32 v4, v143, v205, -v4
	s_waitcnt vmcnt(32)
	v_mul_f32_e32 v162, v155, v218
	v_add_f32_e32 v3, v3, v4
	v_mul_f32_e32 v4, v146, v208
	v_fmac_f32_e32 v162, v156, v217
	v_fma_f32 v4, v145, v207, -v4
	v_add_f32_e32 v165, v161, v162
	ds_read2_b64 v[161:164], v116 offset0:101 offset1:102
	v_add_f32_e32 v3, v3, v4
	v_mul_f32_e32 v4, v148, v210
	s_waitcnt vmcnt(30) lgkmcnt(1)
	v_mul_f32_e32 v166, v157, v220
	v_fma_f32 v4, v147, v209, -v4
	v_fmac_f32_e32 v166, v158, v219
	v_add_f32_e32 v3, v3, v4
	v_mul_f32_e32 v4, v150, v212
	v_add_f32_e32 v165, v165, v166
	s_waitcnt vmcnt(28)
	v_mul_f32_e32 v166, v159, v222
	v_fma_f32 v4, v149, v211, -v4
	v_fmac_f32_e32 v166, v160, v221
	v_add_f32_e32 v3, v3, v4
	v_mul_f32_e32 v4, v152, v214
	v_add_f32_e32 v165, v165, v166
	s_waitcnt vmcnt(26) lgkmcnt(0)
	v_mul_f32_e32 v166, v161, v224
	v_fma_f32 v4, v151, v213, -v4
	v_fmac_f32_e32 v166, v162, v223
	v_add_f32_e32 v3, v3, v4
	v_mul_f32_e32 v4, v154, v216
	v_add_f32_e32 v169, v165, v166
	ds_read2_b64 v[165:168], v116 offset0:103 offset1:104
	v_fma_f32 v4, v153, v215, -v4
	v_add_f32_e32 v3, v3, v4
	v_mul_f32_e32 v4, v156, v218
	s_waitcnt vmcnt(24)
	v_mul_f32_e32 v170, v163, v226
	v_fma_f32 v4, v155, v217, -v4
	v_fmac_f32_e32 v170, v164, v225
	v_add_f32_e32 v3, v3, v4
	v_mul_f32_e32 v4, v158, v220
	v_add_f32_e32 v173, v169, v170
	ds_read2_b64 v[169:172], v116 offset0:105 offset1:106
	v_fma_f32 v4, v157, v219, -v4
	s_waitcnt vmcnt(22) lgkmcnt(1)
	v_mul_f32_e32 v174, v165, v228
	v_add_f32_e32 v3, v3, v4
	v_mul_f32_e32 v4, v160, v222
	v_fmac_f32_e32 v174, v166, v227
	v_fma_f32 v4, v159, v221, -v4
	v_add_f32_e32 v173, v173, v174
	s_waitcnt vmcnt(20)
	v_mul_f32_e32 v174, v167, v230
	v_add_f32_e32 v3, v3, v4
	v_mul_f32_e32 v4, v162, v224
	v_fmac_f32_e32 v174, v168, v229
	v_fma_f32 v4, v161, v223, -v4
	v_add_f32_e32 v173, v173, v174
	s_waitcnt vmcnt(18) lgkmcnt(0)
	v_mul_f32_e32 v174, v169, v232
	v_add_f32_e32 v3, v3, v4
	v_mul_f32_e32 v4, v164, v226
	v_fmac_f32_e32 v174, v170, v231
	v_fma_f32 v4, v163, v225, -v4
	v_add_f32_e32 v177, v173, v174
	ds_read2_b64 v[173:176], v116 offset0:107 offset1:108
	v_add_f32_e32 v3, v3, v4
	v_mul_f32_e32 v4, v166, v228
	v_fma_f32 v4, v165, v227, -v4
	s_waitcnt vmcnt(16)
	v_mul_f32_e32 v178, v171, v234
	v_add_f32_e32 v3, v3, v4
	v_mul_f32_e32 v4, v168, v230
	v_fmac_f32_e32 v178, v172, v233
	v_fma_f32 v4, v167, v229, -v4
	v_add_f32_e32 v181, v177, v178
	ds_read2_b64 v[177:180], v116 offset0:109 offset1:110
	v_add_f32_e32 v3, v3, v4
	v_mul_f32_e32 v4, v170, v232
	s_waitcnt vmcnt(14) lgkmcnt(1)
	v_mul_f32_e32 v182, v173, v236
	v_fma_f32 v4, v169, v231, -v4
	v_fmac_f32_e32 v182, v174, v235
	v_add_f32_e32 v3, v3, v4
	v_mul_f32_e32 v4, v172, v234
	v_add_f32_e32 v181, v181, v182
	s_waitcnt vmcnt(13)
	v_mul_f32_e32 v182, v175, v237
	v_fma_f32 v4, v171, v233, -v4
	s_waitcnt vmcnt(10)
	v_fmac_f32_e32 v182, v176, v240
	v_add_f32_e32 v3, v3, v4
	v_mul_f32_e32 v4, v174, v236
	v_add_f32_e32 v181, v181, v182
	s_waitcnt lgkmcnt(0)
	v_mul_f32_e32 v182, v177, v239
	v_fma_f32 v4, v173, v235, -v4
	v_fmac_f32_e32 v182, v178, v238
	v_add_f32_e32 v3, v3, v4
	v_mul_f32_e32 v4, v176, v237
	v_add_f32_e32 v185, v181, v182
	ds_read2_b64 v[181:184], v116 offset0:111 offset1:112
	v_fma_f32 v4, v175, v240, -v4
	v_add_f32_e32 v3, v3, v4
	v_mul_f32_e32 v4, v178, v239
	s_waitcnt vmcnt(8)
	v_mul_f32_e32 v186, v179, v242
	v_fma_f32 v4, v177, v238, -v4
	v_fmac_f32_e32 v186, v180, v241
	v_add_f32_e32 v3, v3, v4
	v_mul_f32_e32 v4, v180, v242
	v_add_f32_e32 v251, v185, v186
	ds_read2_b64 v[185:188], v116 offset0:113 offset1:114
	v_fma_f32 v4, v179, v241, -v4
	v_add_f32_e32 v3, v3, v4
	s_waitcnt vmcnt(6) lgkmcnt(1)
	v_mul_f32_e32 v4, v182, v244
	v_mul_f32_e32 v116, v181, v244
	v_fma_f32 v4, v181, v243, -v4
	v_fmac_f32_e32 v116, v182, v243
	v_add_f32_e32 v3, v3, v4
	s_waitcnt vmcnt(5)
	v_mul_f32_e32 v4, v184, v245
	v_add_f32_e32 v116, v251, v116
	v_mul_f32_e32 v251, v183, v245
	s_waitcnt vmcnt(2)
	v_fma_f32 v4, v183, v248, -v4
	v_fmac_f32_e32 v251, v184, v248
	v_add_f32_e32 v3, v3, v4
	s_waitcnt lgkmcnt(0)
	v_mul_f32_e32 v4, v186, v247
	v_add_f32_e32 v116, v116, v251
	v_mul_f32_e32 v251, v185, v247
	v_fma_f32 v4, v185, v246, -v4
	v_fmac_f32_e32 v251, v186, v246
	v_add_f32_e32 v3, v3, v4
	s_waitcnt vmcnt(0)
	v_mul_f32_e32 v4, v188, v250
	v_add_f32_e32 v116, v116, v251
	v_mul_f32_e32 v251, v187, v250
	v_fma_f32 v4, v187, v249, -v4
	v_fmac_f32_e32 v251, v188, v249
	v_add_f32_e32 v3, v3, v4
	v_add_f32_e32 v116, v116, v251
	v_sub_f32_e32 v3, v199, v3
	v_sub_f32_e32 v4, v200, v116
	buffer_store_dword v3, off, s[0:3], 0 offset:160
	buffer_store_dword v4, off, s[0:3], 0 offset:164
	s_and_saveexec_b64 s[4:5], vcc
	s_cbranch_execz .LBB120_317
; %bb.316:
	buffer_load_dword v3, off, s[0:3], 0 offset:152
	buffer_load_dword v4, off, s[0:3], 0 offset:156
	v_mov_b32_e32 v5, 0
	buffer_store_dword v5, off, s[0:3], 0 offset:152
	buffer_store_dword v5, off, s[0:3], 0 offset:156
	s_waitcnt vmcnt(2)
	ds_write_b64 v115, v[3:4]
.LBB120_317:
	s_or_b64 exec, exec, s[4:5]
	s_waitcnt lgkmcnt(0)
	; wave barrier
	buffer_load_dword v5, off, s[0:3], 0 offset:164
	buffer_load_dword v6, off, s[0:3], 0 offset:172
	;; [unrolled: 1-line block ×50, first 2 shown]
	v_mov_b32_e32 v116, 0
	ds_read_b128 v[117:120], v116 offset:624
	ds_read_b128 v[121:124], v116 offset:640
	ds_read_b128 v[125:128], v116 offset:656
	ds_read_b128 v[129:132], v116 offset:672
	ds_read_b128 v[133:136], v116 offset:688
	ds_read_b128 v[137:140], v116 offset:704
	buffer_load_dword v229, off, s[0:3], 0 offset:352
	buffer_load_dword v230, off, s[0:3], 0 offset:356
	;; [unrolled: 1-line block ×16, first 2 shown]
	v_cmp_lt_u32_e32 vcc, 18, v0
	s_waitcnt vmcnt(62) lgkmcnt(5)
	v_mul_f32_e32 v3, v117, v5
	v_mul_f32_e32 v4, v119, v6
	s_waitcnt lgkmcnt(4)
	v_mul_f32_e32 v141, v121, v7
	v_mul_f32_e32 v142, v123, v8
	s_waitcnt vmcnt(61) lgkmcnt(3)
	v_mul_f32_e32 v143, v125, v9
	s_waitcnt vmcnt(60)
	v_mul_f32_e32 v144, v127, v10
	s_waitcnt vmcnt(59) lgkmcnt(2)
	v_mul_f32_e32 v145, v129, v11
	s_waitcnt vmcnt(58)
	;; [unrolled: 4-line block ×3, first 2 shown]
	v_fmac_f32_e32 v141, v122, v14
	s_waitcnt vmcnt(55)
	v_fmac_f32_e32 v4, v120, v189
	s_waitcnt vmcnt(54)
	v_fmac_f32_e32 v3, v118, v190
	v_add_f32_e32 v3, 0, v3
	v_add_f32_e32 v3, v3, v4
	;; [unrolled: 1-line block ×3, first 2 shown]
	s_waitcnt vmcnt(50)
	v_fmac_f32_e32 v142, v124, v194
	v_fmac_f32_e32 v143, v126, v193
	v_add_f32_e32 v3, v3, v142
	v_fmac_f32_e32 v144, v128, v192
	v_add_f32_e32 v3, v3, v143
	v_add_f32_e32 v3, v3, v144
	ds_read_b128 v[141:144], v116 offset:720
	buffer_load_dword v245, off, s[0:3], 0 offset:416
	buffer_load_dword v246, off, s[0:3], 0 offset:420
	buffer_load_dword v247, off, s[0:3], 0 offset:428
	buffer_load_dword v248, off, s[0:3], 0 offset:432
	buffer_load_dword v249, off, s[0:3], 0 offset:436
	buffer_load_dword v250, off, s[0:3], 0 offset:424
	v_fmac_f32_e32 v145, v130, v191
	s_waitcnt vmcnt(52)
	v_fmac_f32_e32 v146, v132, v198
	v_add_f32_e32 v3, v3, v145
	v_fmac_f32_e32 v147, v134, v197
	v_add_f32_e32 v3, v3, v146
	v_add_f32_e32 v3, v3, v147
	ds_read_b128 v[145:148], v116 offset:736
	buffer_load_dword v251, off, s[0:3], 0 offset:444
	buffer_load_dword v252, off, s[0:3], 0 offset:448
	;; [unrolled: 1-line block ×4, first 2 shown]
	v_mul_f32_e32 v5, v118, v5
	v_fma_f32 v5, v117, v190, -v5
	v_mul_f32_e32 v6, v120, v6
	v_add_f32_e32 v5, 0, v5
	v_fma_f32 v6, v119, v189, -v6
	v_add_f32_e32 v5, v5, v6
	v_mul_f32_e32 v6, v122, v7
	v_fma_f32 v6, v121, v14, -v6
	v_add_f32_e32 v5, v5, v6
	v_mul_f32_e32 v6, v124, v8
	;; [unrolled: 3-line block ×6, first 2 shown]
	s_waitcnt vmcnt(55)
	v_mul_f32_e32 v4, v135, v199
	v_fma_f32 v6, v131, v198, -v6
	v_fmac_f32_e32 v4, v136, v196
	v_add_f32_e32 v5, v5, v6
	v_mul_f32_e32 v6, v134, v13
	v_add_f32_e32 v3, v3, v4
	s_waitcnt vmcnt(54) lgkmcnt(2)
	v_mul_f32_e32 v4, v137, v200
	v_fma_f32 v6, v133, v197, -v6
	v_fmac_f32_e32 v4, v138, v195
	v_add_f32_e32 v5, v5, v6
	v_mul_f32_e32 v6, v136, v199
	v_add_f32_e32 v3, v3, v4
	s_waitcnt vmcnt(53)
	v_mul_f32_e32 v4, v139, v201
	v_fma_f32 v6, v135, v196, -v6
	s_waitcnt vmcnt(46)
	v_fmac_f32_e32 v4, v140, v208
	v_add_f32_e32 v5, v5, v6
	v_mul_f32_e32 v6, v138, v200
	v_add_f32_e32 v3, v3, v4
	s_waitcnt lgkmcnt(1)
	v_mul_f32_e32 v4, v141, v203
	v_fma_f32 v6, v137, v195, -v6
	v_fmac_f32_e32 v4, v142, v202
	v_add_f32_e32 v5, v5, v6
	v_mul_f32_e32 v6, v140, v201
	v_add_f32_e32 v3, v3, v4
	v_mul_f32_e32 v4, v143, v205
	v_fma_f32 v6, v139, v208, -v6
	v_fmac_f32_e32 v4, v144, v204
	ds_read_b128 v[149:152], v116 offset:752
	ds_read_b128 v[153:156], v116 offset:768
	v_add_f32_e32 v5, v5, v6
	v_mul_f32_e32 v6, v142, v203
	v_add_f32_e32 v3, v3, v4
	s_waitcnt lgkmcnt(2)
	v_mul_f32_e32 v4, v145, v207
	v_fma_f32 v6, v141, v202, -v6
	v_fmac_f32_e32 v4, v146, v206
	v_add_f32_e32 v5, v5, v6
	v_mul_f32_e32 v6, v144, v205
	v_add_f32_e32 v3, v3, v4
	s_waitcnt vmcnt(42)
	v_mul_f32_e32 v4, v147, v212
	v_fma_f32 v6, v143, v204, -v6
	v_fmac_f32_e32 v4, v148, v211
	v_add_f32_e32 v5, v5, v6
	v_mul_f32_e32 v6, v146, v207
	v_add_f32_e32 v3, v3, v4
	s_waitcnt vmcnt(40) lgkmcnt(1)
	v_mul_f32_e32 v4, v149, v214
	v_fma_f32 v6, v145, v206, -v6
	v_fmac_f32_e32 v4, v150, v213
	v_add_f32_e32 v5, v5, v6
	v_mul_f32_e32 v6, v148, v212
	v_add_f32_e32 v3, v3, v4
	s_waitcnt vmcnt(38)
	v_mul_f32_e32 v4, v151, v216
	v_fma_f32 v6, v147, v211, -v6
	v_fmac_f32_e32 v4, v152, v215
	ds_read_b128 v[157:160], v116 offset:784
	ds_read_b128 v[161:164], v116 offset:800
	v_add_f32_e32 v5, v5, v6
	v_mul_f32_e32 v6, v150, v214
	v_add_f32_e32 v3, v3, v4
	s_waitcnt vmcnt(36) lgkmcnt(2)
	v_mul_f32_e32 v4, v153, v218
	v_fma_f32 v6, v149, v213, -v6
	v_fmac_f32_e32 v4, v154, v217
	v_add_f32_e32 v5, v5, v6
	v_mul_f32_e32 v6, v152, v216
	v_add_f32_e32 v3, v3, v4
	s_waitcnt vmcnt(34)
	v_mul_f32_e32 v4, v155, v220
	v_fma_f32 v6, v151, v215, -v6
	v_fmac_f32_e32 v4, v156, v219
	v_add_f32_e32 v5, v5, v6
	v_mul_f32_e32 v6, v154, v218
	v_add_f32_e32 v3, v3, v4
	s_waitcnt vmcnt(32) lgkmcnt(1)
	v_mul_f32_e32 v4, v157, v222
	v_fma_f32 v6, v153, v217, -v6
	v_fmac_f32_e32 v4, v158, v221
	v_add_f32_e32 v5, v5, v6
	v_mul_f32_e32 v6, v156, v220
	v_add_f32_e32 v3, v3, v4
	s_waitcnt vmcnt(30)
	v_mul_f32_e32 v4, v159, v224
	v_fma_f32 v6, v155, v219, -v6
	v_fmac_f32_e32 v4, v160, v223
	ds_read_b128 v[165:168], v116 offset:816
	ds_read_b128 v[169:172], v116 offset:832
	v_add_f32_e32 v5, v5, v6
	v_mul_f32_e32 v6, v158, v222
	v_add_f32_e32 v3, v3, v4
	s_waitcnt vmcnt(28) lgkmcnt(2)
	v_mul_f32_e32 v4, v161, v226
	v_fma_f32 v6, v157, v221, -v6
	v_fmac_f32_e32 v4, v162, v225
	v_add_f32_e32 v5, v5, v6
	v_mul_f32_e32 v6, v160, v224
	v_add_f32_e32 v3, v3, v4
	s_waitcnt vmcnt(26)
	v_mul_f32_e32 v4, v163, v228
	v_fma_f32 v6, v159, v223, -v6
	v_fmac_f32_e32 v4, v164, v227
	v_add_f32_e32 v5, v5, v6
	v_mul_f32_e32 v6, v162, v226
	v_add_f32_e32 v3, v3, v4
	s_waitcnt vmcnt(24) lgkmcnt(1)
	v_mul_f32_e32 v4, v165, v230
	v_fma_f32 v6, v161, v225, -v6
	v_fmac_f32_e32 v4, v166, v229
	v_add_f32_e32 v5, v5, v6
	v_mul_f32_e32 v6, v164, v228
	v_add_f32_e32 v3, v3, v4
	s_waitcnt vmcnt(23)
	v_mul_f32_e32 v4, v167, v231
	v_fma_f32 v6, v163, v227, -v6
	s_waitcnt vmcnt(20)
	v_fmac_f32_e32 v4, v168, v234
	ds_read_b128 v[173:176], v116 offset:848
	ds_read_b128 v[177:180], v116 offset:864
	v_add_f32_e32 v5, v5, v6
	v_mul_f32_e32 v6, v166, v230
	v_add_f32_e32 v3, v3, v4
	s_waitcnt lgkmcnt(2)
	v_mul_f32_e32 v4, v169, v233
	v_fma_f32 v6, v165, v229, -v6
	v_fmac_f32_e32 v4, v170, v232
	v_add_f32_e32 v5, v5, v6
	v_mul_f32_e32 v6, v168, v231
	v_add_f32_e32 v3, v3, v4
	s_waitcnt vmcnt(18)
	v_mul_f32_e32 v4, v171, v236
	v_fma_f32 v6, v167, v234, -v6
	v_fmac_f32_e32 v4, v172, v235
	v_add_f32_e32 v5, v5, v6
	v_mul_f32_e32 v6, v170, v233
	v_add_f32_e32 v3, v3, v4
	s_waitcnt vmcnt(16) lgkmcnt(1)
	v_mul_f32_e32 v4, v173, v238
	v_fma_f32 v6, v169, v232, -v6
	v_fmac_f32_e32 v4, v174, v237
	v_add_f32_e32 v5, v5, v6
	v_mul_f32_e32 v6, v172, v236
	v_add_f32_e32 v3, v3, v4
	s_waitcnt vmcnt(15)
	v_mul_f32_e32 v4, v175, v239
	v_fma_f32 v6, v171, v235, -v6
	s_waitcnt vmcnt(12)
	v_fmac_f32_e32 v4, v176, v242
	ds_read_b128 v[181:184], v116 offset:880
	ds_read_b128 v[185:188], v116 offset:896
	v_add_f32_e32 v5, v5, v6
	v_mul_f32_e32 v6, v174, v238
	v_add_f32_e32 v3, v3, v4
	s_waitcnt lgkmcnt(2)
	v_mul_f32_e32 v4, v177, v241
	v_fma_f32 v6, v173, v237, -v6
	v_fmac_f32_e32 v4, v178, v240
	v_add_f32_e32 v5, v5, v6
	v_mul_f32_e32 v6, v176, v239
	v_add_f32_e32 v3, v3, v4
	s_waitcnt vmcnt(10)
	v_mul_f32_e32 v4, v179, v244
	v_fma_f32 v6, v175, v242, -v6
	v_fmac_f32_e32 v4, v180, v243
	v_add_f32_e32 v5, v5, v6
	v_mul_f32_e32 v6, v178, v241
	v_add_f32_e32 v3, v3, v4
	s_waitcnt vmcnt(8) lgkmcnt(1)
	v_mul_f32_e32 v4, v181, v246
	v_fma_f32 v6, v177, v240, -v6
	v_fmac_f32_e32 v4, v182, v245
	v_add_f32_e32 v5, v5, v6
	v_mul_f32_e32 v6, v180, v244
	v_add_f32_e32 v3, v3, v4
	s_waitcnt vmcnt(7)
	v_mul_f32_e32 v4, v183, v247
	v_fma_f32 v6, v179, v243, -v6
	s_waitcnt vmcnt(4)
	v_fmac_f32_e32 v4, v184, v250
	v_add_f32_e32 v5, v5, v6
	v_mul_f32_e32 v6, v182, v246
	v_add_f32_e32 v255, v3, v4
	ds_read_b64 v[3:4], v116 offset:912
	v_fma_f32 v6, v181, v245, -v6
	v_add_f32_e32 v5, v5, v6
	v_mul_f32_e32 v6, v184, v247
	s_waitcnt lgkmcnt(1)
	v_mul_f32_e32 v15, v185, v249
	v_fma_f32 v6, v183, v250, -v6
	v_fmac_f32_e32 v15, v186, v248
	s_waitcnt vmcnt(3)
	v_mul_f32_e32 v16, v187, v251
	v_add_f32_e32 v5, v5, v6
	v_mul_f32_e32 v6, v186, v249
	v_add_f32_e32 v15, v255, v15
	s_waitcnt vmcnt(0)
	v_fmac_f32_e32 v16, v188, v254
	v_fma_f32 v6, v185, v248, -v6
	v_add_f32_e32 v15, v15, v16
	s_waitcnt lgkmcnt(0)
	v_mul_f32_e32 v16, v3, v253
	v_add_f32_e32 v5, v5, v6
	v_mul_f32_e32 v6, v188, v251
	v_fmac_f32_e32 v16, v4, v252
	v_fma_f32 v6, v187, v254, -v6
	v_mul_f32_e32 v4, v4, v253
	v_add_f32_e32 v5, v5, v6
	v_fma_f32 v3, v3, v252, -v4
	v_add_f32_e32 v3, v5, v3
	v_add_f32_e32 v15, v15, v16
	v_sub_f32_e32 v3, v209, v3
	v_sub_f32_e32 v4, v210, v15
	buffer_store_dword v3, off, s[0:3], 0 offset:152
	buffer_store_dword v4, off, s[0:3], 0 offset:156
	s_and_saveexec_b64 s[4:5], vcc
	s_cbranch_execz .LBB120_319
; %bb.318:
	buffer_load_dword v3, off, s[0:3], 0 offset:144
	buffer_load_dword v4, off, s[0:3], 0 offset:148
	s_waitcnt vmcnt(0)
	ds_write_b64 v115, v[3:4]
	buffer_store_dword v116, off, s[0:3], 0 offset:144
	buffer_store_dword v116, off, s[0:3], 0 offset:148
.LBB120_319:
	s_or_b64 exec, exec, s[4:5]
	s_waitcnt lgkmcnt(0)
	; wave barrier
	buffer_load_dword v3, off, s[0:3], 0 offset:156
	buffer_load_dword v4, off, s[0:3], 0 offset:164
	;; [unrolled: 1-line block ×32, first 2 shown]
	ds_read2_b64 v[117:120], v116 offset0:77 offset1:78
	ds_read2_b64 v[121:124], v116 offset0:79 offset1:80
	;; [unrolled: 1-line block ×6, first 2 shown]
	buffer_load_dword v211, off, s[0:3], 0 offset:272
	buffer_load_dword v212, off, s[0:3], 0 offset:276
	;; [unrolled: 1-line block ×32, first 2 shown]
	v_cmp_lt_u32_e32 vcc, 17, v0
	s_waitcnt vmcnt(62) lgkmcnt(5)
	v_mul_f32_e32 v141, v117, v3
	v_mul_f32_e32 v142, v119, v4
	s_waitcnt vmcnt(61) lgkmcnt(4)
	v_mul_f32_e32 v143, v121, v5
	s_waitcnt vmcnt(60)
	v_mul_f32_e32 v144, v123, v6
	s_waitcnt vmcnt(59) lgkmcnt(3)
	v_mul_f32_e32 v145, v125, v7
	s_waitcnt vmcnt(58)
	;; [unrolled: 4-line block ×4, first 2 shown]
	v_mul_f32_e32 v150, v135, v12
	s_waitcnt vmcnt(53)
	v_fmac_f32_e32 v143, v122, v13
	s_waitcnt vmcnt(52)
	v_fmac_f32_e32 v142, v120, v14
	;; [unrolled: 2-line block ×3, first 2 shown]
	v_add_f32_e32 v141, 0, v141
	v_add_f32_e32 v141, v141, v142
	;; [unrolled: 1-line block ×3, first 2 shown]
	s_waitcnt vmcnt(47)
	v_fmac_f32_e32 v144, v124, v195
	v_fmac_f32_e32 v145, v126, v194
	v_add_f32_e32 v141, v141, v144
	v_fmac_f32_e32 v146, v128, v193
	v_add_f32_e32 v141, v141, v145
	;; [unrolled: 2-line block ×3, first 2 shown]
	s_waitcnt vmcnt(43)
	v_fmac_f32_e32 v148, v132, v199
	v_add_f32_e32 v141, v141, v147
	v_fmac_f32_e32 v149, v134, v198
	v_add_f32_e32 v141, v141, v148
	;; [unrolled: 2-line block ×3, first 2 shown]
	s_waitcnt vmcnt(42) lgkmcnt(0)
	v_mul_f32_e32 v142, v137, v200
	v_add_f32_e32 v141, v141, v150
	v_fmac_f32_e32 v142, v138, v196
	v_add_f32_e32 v145, v141, v142
	ds_read2_b64 v[141:144], v116 offset0:89 offset1:90
	buffer_load_dword v243, off, s[0:3], 0 offset:400
	buffer_load_dword v244, off, s[0:3], 0 offset:404
	s_waitcnt vmcnt(43)
	v_mul_f32_e32 v146, v139, v201
	s_waitcnt vmcnt(37)
	v_fmac_f32_e32 v146, v140, v207
	v_add_f32_e32 v149, v145, v146
	ds_read2_b64 v[145:148], v116 offset0:91 offset1:92
	buffer_load_dword v245, off, s[0:3], 0 offset:408
	buffer_load_dword v246, off, s[0:3], 0 offset:412
	;; [unrolled: 1-line block ×12, first 2 shown]
	v_mul_f32_e32 v3, v118, v3
	v_fma_f32 v3, v117, v15, -v3
	v_mul_f32_e32 v4, v120, v4
	v_add_f32_e32 v3, 0, v3
	v_fma_f32 v4, v119, v14, -v4
	v_add_f32_e32 v3, v3, v4
	v_mul_f32_e32 v4, v122, v5
	v_fma_f32 v4, v121, v13, -v4
	v_add_f32_e32 v3, v3, v4
	v_mul_f32_e32 v4, v124, v6
	v_fma_f32 v4, v123, v195, -v4
	s_waitcnt vmcnt(48) lgkmcnt(1)
	v_mul_f32_e32 v150, v141, v208
	v_add_f32_e32 v3, v3, v4
	v_mul_f32_e32 v4, v126, v7
	v_fmac_f32_e32 v150, v142, v206
	v_fma_f32 v4, v125, v194, -v4
	v_add_f32_e32 v149, v149, v150
	v_mul_f32_e32 v150, v143, v203
	v_add_f32_e32 v3, v3, v4
	v_mul_f32_e32 v4, v128, v8
	v_fmac_f32_e32 v150, v144, v202
	v_fma_f32 v4, v127, v193, -v4
	v_add_f32_e32 v18, v149, v150
	s_waitcnt lgkmcnt(0)
	v_mul_f32_e32 v149, v145, v205
	v_add_f32_e32 v3, v3, v4
	v_mul_f32_e32 v4, v130, v9
	v_fmac_f32_e32 v149, v146, v204
	v_fma_f32 v4, v129, v16, -v4
	v_add_f32_e32 v18, v18, v149
	ds_read2_b64 v[149:152], v116 offset0:93 offset1:94
	v_add_f32_e32 v3, v3, v4
	v_mul_f32_e32 v4, v132, v10
	v_fma_f32 v4, v131, v199, -v4
	s_waitcnt vmcnt(44)
	v_mul_f32_e32 v153, v147, v212
	v_add_f32_e32 v3, v3, v4
	v_mul_f32_e32 v4, v134, v11
	v_fmac_f32_e32 v153, v148, v211
	v_fma_f32 v4, v133, v198, -v4
	v_add_f32_e32 v18, v18, v153
	ds_read2_b64 v[153:156], v116 offset0:95 offset1:96
	v_add_f32_e32 v3, v3, v4
	v_mul_f32_e32 v4, v136, v12
	s_waitcnt vmcnt(42) lgkmcnt(1)
	v_mul_f32_e32 v157, v149, v214
	v_fma_f32 v4, v135, v197, -v4
	v_fmac_f32_e32 v157, v150, v213
	v_add_f32_e32 v3, v3, v4
	v_mul_f32_e32 v4, v138, v200
	v_add_f32_e32 v18, v18, v157
	s_waitcnt vmcnt(40)
	v_mul_f32_e32 v157, v151, v216
	v_fma_f32 v4, v137, v196, -v4
	v_fmac_f32_e32 v157, v152, v215
	v_add_f32_e32 v3, v3, v4
	v_mul_f32_e32 v4, v140, v201
	v_add_f32_e32 v18, v18, v157
	s_waitcnt vmcnt(38) lgkmcnt(0)
	v_mul_f32_e32 v157, v153, v218
	v_fma_f32 v4, v139, v207, -v4
	v_fmac_f32_e32 v157, v154, v217
	v_add_f32_e32 v3, v3, v4
	v_mul_f32_e32 v4, v142, v208
	v_add_f32_e32 v18, v18, v157
	ds_read2_b64 v[157:160], v116 offset0:97 offset1:98
	v_fma_f32 v4, v141, v206, -v4
	v_add_f32_e32 v3, v3, v4
	v_mul_f32_e32 v4, v144, v203
	s_waitcnt vmcnt(36)
	v_mul_f32_e32 v161, v155, v220
	v_fma_f32 v4, v143, v202, -v4
	v_fmac_f32_e32 v161, v156, v219
	v_add_f32_e32 v3, v3, v4
	v_mul_f32_e32 v4, v146, v205
	v_add_f32_e32 v18, v18, v161
	ds_read2_b64 v[161:164], v116 offset0:99 offset1:100
	v_fma_f32 v4, v145, v204, -v4
	s_waitcnt vmcnt(34) lgkmcnt(1)
	v_mul_f32_e32 v165, v157, v222
	v_add_f32_e32 v3, v3, v4
	v_mul_f32_e32 v4, v148, v212
	v_fmac_f32_e32 v165, v158, v221
	v_fma_f32 v4, v147, v211, -v4
	v_add_f32_e32 v18, v18, v165
	s_waitcnt vmcnt(32)
	v_mul_f32_e32 v165, v159, v224
	v_add_f32_e32 v3, v3, v4
	v_mul_f32_e32 v4, v150, v214
	v_fmac_f32_e32 v165, v160, v223
	v_fma_f32 v4, v149, v213, -v4
	v_add_f32_e32 v18, v18, v165
	s_waitcnt vmcnt(30) lgkmcnt(0)
	v_mul_f32_e32 v165, v161, v226
	v_add_f32_e32 v3, v3, v4
	v_mul_f32_e32 v4, v152, v216
	v_fmac_f32_e32 v165, v162, v225
	v_fma_f32 v4, v151, v215, -v4
	v_add_f32_e32 v18, v18, v165
	ds_read2_b64 v[165:168], v116 offset0:101 offset1:102
	v_add_f32_e32 v3, v3, v4
	v_mul_f32_e32 v4, v154, v218
	v_fma_f32 v4, v153, v217, -v4
	s_waitcnt vmcnt(28)
	v_mul_f32_e32 v169, v163, v228
	v_add_f32_e32 v3, v3, v4
	v_mul_f32_e32 v4, v156, v220
	v_fmac_f32_e32 v169, v164, v227
	v_fma_f32 v4, v155, v219, -v4
	v_add_f32_e32 v18, v18, v169
	ds_read2_b64 v[169:172], v116 offset0:103 offset1:104
	v_add_f32_e32 v3, v3, v4
	v_mul_f32_e32 v4, v158, v222
	s_waitcnt vmcnt(26) lgkmcnt(1)
	v_mul_f32_e32 v173, v165, v230
	v_fma_f32 v4, v157, v221, -v4
	v_fmac_f32_e32 v173, v166, v229
	v_add_f32_e32 v3, v3, v4
	v_mul_f32_e32 v4, v160, v224
	v_add_f32_e32 v18, v18, v173
	s_waitcnt vmcnt(25)
	v_mul_f32_e32 v173, v167, v231
	v_fma_f32 v4, v159, v223, -v4
	s_waitcnt vmcnt(22)
	v_fmac_f32_e32 v173, v168, v234
	v_add_f32_e32 v3, v3, v4
	v_mul_f32_e32 v4, v162, v226
	v_add_f32_e32 v18, v18, v173
	s_waitcnt lgkmcnt(0)
	v_mul_f32_e32 v173, v169, v233
	v_fma_f32 v4, v161, v225, -v4
	v_fmac_f32_e32 v173, v170, v232
	v_add_f32_e32 v3, v3, v4
	v_mul_f32_e32 v4, v164, v228
	v_add_f32_e32 v18, v18, v173
	ds_read2_b64 v[173:176], v116 offset0:105 offset1:106
	v_fma_f32 v4, v163, v227, -v4
	v_add_f32_e32 v3, v3, v4
	v_mul_f32_e32 v4, v166, v230
	s_waitcnt vmcnt(20)
	v_mul_f32_e32 v177, v171, v236
	v_fma_f32 v4, v165, v229, -v4
	v_fmac_f32_e32 v177, v172, v235
	v_add_f32_e32 v3, v3, v4
	v_mul_f32_e32 v4, v168, v231
	v_add_f32_e32 v18, v18, v177
	ds_read2_b64 v[177:180], v116 offset0:107 offset1:108
	v_fma_f32 v4, v167, v234, -v4
	s_waitcnt vmcnt(18) lgkmcnt(1)
	v_mul_f32_e32 v181, v173, v238
	v_add_f32_e32 v3, v3, v4
	v_mul_f32_e32 v4, v170, v233
	v_fmac_f32_e32 v181, v174, v237
	v_fma_f32 v4, v169, v232, -v4
	v_add_f32_e32 v18, v18, v181
	s_waitcnt vmcnt(17)
	v_mul_f32_e32 v181, v175, v239
	v_add_f32_e32 v3, v3, v4
	v_mul_f32_e32 v4, v172, v236
	s_waitcnt vmcnt(14)
	v_fmac_f32_e32 v181, v176, v242
	v_fma_f32 v4, v171, v235, -v4
	v_add_f32_e32 v18, v18, v181
	s_waitcnt lgkmcnt(0)
	v_mul_f32_e32 v181, v177, v241
	v_add_f32_e32 v3, v3, v4
	v_mul_f32_e32 v4, v174, v238
	v_fmac_f32_e32 v181, v178, v240
	v_fma_f32 v4, v173, v237, -v4
	v_add_f32_e32 v18, v18, v181
	ds_read2_b64 v[181:184], v116 offset0:109 offset1:110
	v_add_f32_e32 v3, v3, v4
	v_mul_f32_e32 v4, v176, v239
	v_fma_f32 v4, v175, v242, -v4
	v_add_f32_e32 v3, v3, v4
	v_mul_f32_e32 v4, v178, v241
	s_waitcnt vmcnt(12)
	v_mul_f32_e32 v185, v179, v244
	v_fma_f32 v4, v177, v240, -v4
	v_fmac_f32_e32 v185, v180, v243
	v_add_f32_e32 v3, v3, v4
	v_mul_f32_e32 v4, v180, v244
	v_add_f32_e32 v18, v18, v185
	ds_read2_b64 v[185:188], v116 offset0:111 offset1:112
	s_waitcnt vmcnt(10) lgkmcnt(1)
	v_mul_f32_e32 v189, v181, v246
	v_fma_f32 v4, v179, v243, -v4
	v_fmac_f32_e32 v189, v182, v245
	v_add_f32_e32 v3, v3, v4
	v_mul_f32_e32 v4, v182, v246
	v_add_f32_e32 v18, v18, v189
	s_waitcnt vmcnt(9)
	v_mul_f32_e32 v189, v183, v247
	v_fma_f32 v4, v181, v245, -v4
	s_waitcnt vmcnt(6)
	v_fmac_f32_e32 v189, v184, v250
	v_add_f32_e32 v3, v3, v4
	v_mul_f32_e32 v4, v184, v247
	v_add_f32_e32 v18, v18, v189
	ds_read2_b64 v[189:192], v116 offset0:113 offset1:114
	v_fma_f32 v4, v183, v250, -v4
	v_add_f32_e32 v3, v3, v4
	s_waitcnt lgkmcnt(1)
	v_mul_f32_e32 v4, v186, v249
	v_mul_f32_e32 v19, v185, v249
	v_fma_f32 v4, v185, v248, -v4
	v_fmac_f32_e32 v19, v186, v248
	v_add_f32_e32 v3, v3, v4
	s_waitcnt vmcnt(4)
	v_mul_f32_e32 v4, v188, v252
	v_add_f32_e32 v18, v18, v19
	v_mul_f32_e32 v19, v187, v252
	v_fma_f32 v4, v187, v251, -v4
	v_fmac_f32_e32 v19, v188, v251
	v_add_f32_e32 v3, v3, v4
	s_waitcnt vmcnt(3) lgkmcnt(0)
	v_mul_f32_e32 v4, v190, v253
	v_add_f32_e32 v18, v18, v19
	v_mul_f32_e32 v19, v189, v253
	s_waitcnt vmcnt(0)
	v_fma_f32 v4, v189, v17, -v4
	v_fmac_f32_e32 v19, v190, v17
	v_add_f32_e32 v3, v3, v4
	v_mul_f32_e32 v4, v192, v255
	v_add_f32_e32 v18, v18, v19
	v_mul_f32_e32 v19, v191, v255
	v_fma_f32 v4, v191, v254, -v4
	v_fmac_f32_e32 v19, v192, v254
	v_add_f32_e32 v3, v3, v4
	v_add_f32_e32 v18, v18, v19
	v_sub_f32_e32 v3, v209, v3
	v_sub_f32_e32 v4, v210, v18
	buffer_store_dword v3, off, s[0:3], 0 offset:144
	buffer_store_dword v4, off, s[0:3], 0 offset:148
	s_and_saveexec_b64 s[4:5], vcc
	s_cbranch_execz .LBB120_321
; %bb.320:
	buffer_load_dword v3, off, s[0:3], 0 offset:136
	buffer_load_dword v4, off, s[0:3], 0 offset:140
	v_mov_b32_e32 v5, 0
	buffer_store_dword v5, off, s[0:3], 0 offset:136
	buffer_store_dword v5, off, s[0:3], 0 offset:140
	s_waitcnt vmcnt(2)
	ds_write_b64 v115, v[3:4]
.LBB120_321:
	s_or_b64 exec, exec, s[4:5]
	s_waitcnt lgkmcnt(0)
	; wave barrier
	buffer_load_dword v5, off, s[0:3], 0 offset:148
	buffer_load_dword v6, off, s[0:3], 0 offset:156
	;; [unrolled: 1-line block ×50, first 2 shown]
	v_mov_b32_e32 v116, 0
	ds_read_b128 v[117:120], v116 offset:608
	ds_read_b128 v[121:124], v116 offset:624
	;; [unrolled: 1-line block ×6, first 2 shown]
	buffer_load_dword v227, off, s[0:3], 0 offset:336
	buffer_load_dword v228, off, s[0:3], 0 offset:340
	;; [unrolled: 1-line block ×8, first 2 shown]
	v_cmp_lt_u32_e32 vcc, 16, v0
	s_waitcnt vmcnt(57) lgkmcnt(5)
	v_mul_f32_e32 v3, v117, v5
	s_waitcnt vmcnt(56)
	v_mul_f32_e32 v4, v119, v6
	s_waitcnt vmcnt(55) lgkmcnt(4)
	v_mul_f32_e32 v141, v121, v7
	s_waitcnt vmcnt(54)
	v_mul_f32_e32 v142, v123, v8
	;; [unrolled: 4-line block ×5, first 2 shown]
	v_mul_f32_e32 v5, v118, v5
	s_waitcnt vmcnt(46)
	v_fmac_f32_e32 v141, v122, v16
	s_waitcnt vmcnt(45)
	v_fmac_f32_e32 v4, v120, v17
	;; [unrolled: 2-line block ×3, first 2 shown]
	v_add_f32_e32 v3, 0, v3
	v_add_f32_e32 v3, v3, v4
	;; [unrolled: 1-line block ×3, first 2 shown]
	s_waitcnt vmcnt(40)
	v_fmac_f32_e32 v142, v124, v194
	v_fmac_f32_e32 v143, v126, v193
	v_add_f32_e32 v3, v3, v142
	v_fmac_f32_e32 v144, v128, v20
	v_add_f32_e32 v3, v3, v143
	;; [unrolled: 2-line block ×3, first 2 shown]
	s_waitcnt vmcnt(36)
	v_fmac_f32_e32 v146, v132, v198
	v_add_f32_e32 v3, v3, v145
	ds_read_b128 v[141:144], v116 offset:704
	buffer_load_dword v235, off, s[0:3], 0 offset:368
	buffer_load_dword v236, off, s[0:3], 0 offset:372
	;; [unrolled: 1-line block ×6, first 2 shown]
	v_fmac_f32_e32 v147, v134, v197
	v_add_f32_e32 v3, v3, v146
	v_fmac_f32_e32 v148, v136, v196
	v_add_f32_e32 v3, v3, v147
	v_add_f32_e32 v3, v3, v148
	ds_read_b128 v[145:148], v116 offset:720
	buffer_load_dword v241, off, s[0:3], 0 offset:392
	buffer_load_dword v242, off, s[0:3], 0 offset:396
	;; [unrolled: 1-line block ×16, first 2 shown]
	v_fma_f32 v5, v117, v18, -v5
	v_mul_f32_e32 v6, v120, v6
	v_add_f32_e32 v5, 0, v5
	v_fma_f32 v6, v119, v17, -v6
	v_add_f32_e32 v5, v5, v6
	v_mul_f32_e32 v6, v122, v7
	v_fma_f32 v6, v121, v16, -v6
	v_add_f32_e32 v5, v5, v6
	v_mul_f32_e32 v6, v124, v8
	;; [unrolled: 3-line block ×7, first 2 shown]
	v_fma_f32 v6, v133, v197, -v6
	s_waitcnt lgkmcnt(2)
	v_mul_f32_e32 v149, v137, v15
	v_add_f32_e32 v5, v5, v6
	v_mul_f32_e32 v6, v136, v14
	v_fmac_f32_e32 v149, v138, v195
	s_waitcnt vmcnt(57)
	v_mul_f32_e32 v4, v139, v199
	v_fma_f32 v6, v135, v196, -v6
	v_add_f32_e32 v3, v3, v149
	s_waitcnt vmcnt(50)
	v_fmac_f32_e32 v4, v140, v206
	v_add_f32_e32 v5, v5, v6
	v_mul_f32_e32 v6, v138, v15
	v_add_f32_e32 v3, v3, v4
	s_waitcnt lgkmcnt(1)
	v_mul_f32_e32 v4, v141, v201
	v_fma_f32 v6, v137, v195, -v6
	v_fmac_f32_e32 v4, v142, v200
	v_add_f32_e32 v5, v5, v6
	v_mul_f32_e32 v6, v140, v199
	v_add_f32_e32 v3, v3, v4
	v_mul_f32_e32 v4, v143, v203
	v_fma_f32 v6, v139, v206, -v6
	v_fmac_f32_e32 v4, v144, v202
	ds_read_b128 v[149:152], v116 offset:736
	ds_read_b128 v[153:156], v116 offset:752
	v_add_f32_e32 v5, v5, v6
	v_mul_f32_e32 v6, v142, v201
	v_add_f32_e32 v3, v3, v4
	s_waitcnt lgkmcnt(2)
	v_mul_f32_e32 v4, v145, v205
	v_fma_f32 v6, v141, v200, -v6
	v_fmac_f32_e32 v4, v146, v204
	v_add_f32_e32 v5, v5, v6
	v_mul_f32_e32 v6, v144, v203
	v_add_f32_e32 v3, v3, v4
	s_waitcnt vmcnt(46)
	v_mul_f32_e32 v4, v147, v210
	v_fma_f32 v6, v143, v202, -v6
	v_fmac_f32_e32 v4, v148, v209
	v_add_f32_e32 v5, v5, v6
	v_mul_f32_e32 v6, v146, v205
	v_add_f32_e32 v3, v3, v4
	s_waitcnt vmcnt(44) lgkmcnt(1)
	v_mul_f32_e32 v4, v149, v212
	v_fma_f32 v6, v145, v204, -v6
	v_fmac_f32_e32 v4, v150, v211
	v_add_f32_e32 v5, v5, v6
	v_mul_f32_e32 v6, v148, v210
	v_add_f32_e32 v3, v3, v4
	s_waitcnt vmcnt(42)
	v_mul_f32_e32 v4, v151, v214
	v_fma_f32 v6, v147, v209, -v6
	v_fmac_f32_e32 v4, v152, v213
	ds_read_b128 v[157:160], v116 offset:768
	ds_read_b128 v[161:164], v116 offset:784
	v_add_f32_e32 v5, v5, v6
	v_mul_f32_e32 v6, v150, v212
	v_add_f32_e32 v3, v3, v4
	s_waitcnt vmcnt(40) lgkmcnt(2)
	v_mul_f32_e32 v4, v153, v216
	v_fma_f32 v6, v149, v211, -v6
	v_fmac_f32_e32 v4, v154, v215
	v_add_f32_e32 v5, v5, v6
	v_mul_f32_e32 v6, v152, v214
	v_add_f32_e32 v3, v3, v4
	s_waitcnt vmcnt(38)
	v_mul_f32_e32 v4, v155, v218
	v_fma_f32 v6, v151, v213, -v6
	v_fmac_f32_e32 v4, v156, v217
	v_add_f32_e32 v5, v5, v6
	v_mul_f32_e32 v6, v154, v216
	v_add_f32_e32 v3, v3, v4
	s_waitcnt vmcnt(36) lgkmcnt(1)
	v_mul_f32_e32 v4, v157, v220
	v_fma_f32 v6, v153, v215, -v6
	v_fmac_f32_e32 v4, v158, v219
	v_add_f32_e32 v5, v5, v6
	v_mul_f32_e32 v6, v156, v218
	v_add_f32_e32 v3, v3, v4
	s_waitcnt vmcnt(34)
	v_mul_f32_e32 v4, v159, v222
	v_fma_f32 v6, v155, v217, -v6
	v_fmac_f32_e32 v4, v160, v221
	ds_read_b128 v[165:168], v116 offset:800
	ds_read_b128 v[169:172], v116 offset:816
	v_add_f32_e32 v5, v5, v6
	v_mul_f32_e32 v6, v158, v220
	v_add_f32_e32 v3, v3, v4
	s_waitcnt vmcnt(32) lgkmcnt(2)
	v_mul_f32_e32 v4, v161, v224
	v_fma_f32 v6, v157, v219, -v6
	v_fmac_f32_e32 v4, v162, v223
	v_add_f32_e32 v5, v5, v6
	v_mul_f32_e32 v6, v160, v222
	v_add_f32_e32 v3, v3, v4
	s_waitcnt vmcnt(30)
	v_mul_f32_e32 v4, v163, v226
	v_fma_f32 v6, v159, v221, -v6
	v_fmac_f32_e32 v4, v164, v225
	v_add_f32_e32 v5, v5, v6
	v_mul_f32_e32 v6, v162, v224
	v_add_f32_e32 v3, v3, v4
	s_waitcnt vmcnt(28) lgkmcnt(1)
	v_mul_f32_e32 v4, v165, v228
	v_fma_f32 v6, v161, v223, -v6
	v_fmac_f32_e32 v4, v166, v227
	v_add_f32_e32 v5, v5, v6
	v_mul_f32_e32 v6, v164, v226
	v_add_f32_e32 v3, v3, v4
	s_waitcnt vmcnt(27)
	v_mul_f32_e32 v4, v167, v229
	v_fma_f32 v6, v163, v225, -v6
	s_waitcnt vmcnt(24)
	v_fmac_f32_e32 v4, v168, v232
	ds_read_b128 v[173:176], v116 offset:832
	ds_read_b128 v[177:180], v116 offset:848
	v_add_f32_e32 v5, v5, v6
	v_mul_f32_e32 v6, v166, v228
	v_add_f32_e32 v3, v3, v4
	s_waitcnt lgkmcnt(2)
	v_mul_f32_e32 v4, v169, v231
	v_fma_f32 v6, v165, v227, -v6
	v_fmac_f32_e32 v4, v170, v230
	v_add_f32_e32 v5, v5, v6
	v_mul_f32_e32 v6, v168, v229
	v_add_f32_e32 v3, v3, v4
	s_waitcnt vmcnt(22)
	v_mul_f32_e32 v4, v171, v234
	v_fma_f32 v6, v167, v232, -v6
	v_fmac_f32_e32 v4, v172, v233
	v_add_f32_e32 v5, v5, v6
	v_mul_f32_e32 v6, v170, v231
	v_add_f32_e32 v3, v3, v4
	s_waitcnt vmcnt(20) lgkmcnt(1)
	v_mul_f32_e32 v4, v173, v236
	v_fma_f32 v6, v169, v230, -v6
	v_fmac_f32_e32 v4, v174, v235
	v_add_f32_e32 v5, v5, v6
	v_mul_f32_e32 v6, v172, v234
	v_add_f32_e32 v3, v3, v4
	s_waitcnt vmcnt(19)
	v_mul_f32_e32 v4, v175, v237
	v_fma_f32 v6, v171, v233, -v6
	s_waitcnt vmcnt(16)
	v_fmac_f32_e32 v4, v176, v240
	ds_read_b128 v[181:184], v116 offset:864
	ds_read_b128 v[185:188], v116 offset:880
	v_add_f32_e32 v5, v5, v6
	v_mul_f32_e32 v6, v174, v236
	v_add_f32_e32 v3, v3, v4
	s_waitcnt lgkmcnt(2)
	v_mul_f32_e32 v4, v177, v239
	v_fma_f32 v6, v173, v235, -v6
	v_fmac_f32_e32 v4, v178, v238
	v_add_f32_e32 v5, v5, v6
	v_mul_f32_e32 v6, v176, v237
	v_add_f32_e32 v3, v3, v4
	s_waitcnt vmcnt(14)
	v_mul_f32_e32 v4, v179, v242
	v_fma_f32 v6, v175, v240, -v6
	v_fmac_f32_e32 v4, v180, v241
	v_add_f32_e32 v5, v5, v6
	v_mul_f32_e32 v6, v178, v239
	v_add_f32_e32 v3, v3, v4
	s_waitcnt vmcnt(12) lgkmcnt(1)
	v_mul_f32_e32 v4, v181, v244
	v_fma_f32 v6, v177, v238, -v6
	v_fmac_f32_e32 v4, v182, v243
	v_add_f32_e32 v5, v5, v6
	v_mul_f32_e32 v6, v180, v242
	v_add_f32_e32 v3, v3, v4
	s_waitcnt vmcnt(11)
	v_mul_f32_e32 v4, v183, v245
	v_fma_f32 v6, v179, v241, -v6
	s_waitcnt vmcnt(8)
	v_fmac_f32_e32 v4, v184, v248
	v_add_f32_e32 v5, v5, v6
	v_mul_f32_e32 v6, v182, v244
	v_add_f32_e32 v3, v3, v4
	s_waitcnt lgkmcnt(0)
	v_mul_f32_e32 v4, v185, v247
	ds_read_b128 v[189:192], v116 offset:896
	v_fma_f32 v6, v181, v243, -v6
	v_fmac_f32_e32 v4, v186, v246
	v_add_f32_e32 v5, v5, v6
	v_mul_f32_e32 v6, v184, v245
	v_add_f32_e32 v3, v3, v4
	s_waitcnt vmcnt(6)
	v_mul_f32_e32 v4, v187, v250
	v_fma_f32 v6, v183, v248, -v6
	v_fmac_f32_e32 v4, v188, v249
	v_add_f32_e32 v5, v5, v6
	v_mul_f32_e32 v6, v186, v247
	v_add_f32_e32 v22, v3, v4
	ds_read_b64 v[3:4], v116 offset:912
	v_fma_f32 v6, v185, v246, -v6
	s_waitcnt vmcnt(4) lgkmcnt(1)
	v_mul_f32_e32 v23, v189, v252
	v_add_f32_e32 v5, v5, v6
	v_mul_f32_e32 v6, v188, v250
	v_fmac_f32_e32 v23, v190, v251
	v_fma_f32 v6, v187, v249, -v6
	v_add_f32_e32 v22, v22, v23
	s_waitcnt vmcnt(3)
	v_mul_f32_e32 v23, v191, v253
	v_add_f32_e32 v5, v5, v6
	v_mul_f32_e32 v6, v190, v252
	s_waitcnt vmcnt(0)
	v_fmac_f32_e32 v23, v192, v21
	v_fma_f32 v6, v189, v251, -v6
	v_add_f32_e32 v22, v22, v23
	s_waitcnt lgkmcnt(0)
	v_mul_f32_e32 v23, v3, v255
	v_add_f32_e32 v5, v5, v6
	v_mul_f32_e32 v6, v192, v253
	v_fmac_f32_e32 v23, v4, v254
	v_fma_f32 v6, v191, v21, -v6
	v_mul_f32_e32 v4, v4, v255
	v_add_f32_e32 v5, v5, v6
	v_fma_f32 v3, v3, v254, -v4
	v_add_f32_e32 v3, v5, v3
	v_add_f32_e32 v22, v22, v23
	v_sub_f32_e32 v3, v207, v3
	v_sub_f32_e32 v4, v208, v22
	buffer_store_dword v3, off, s[0:3], 0 offset:136
	buffer_store_dword v4, off, s[0:3], 0 offset:140
	s_and_saveexec_b64 s[4:5], vcc
	s_cbranch_execz .LBB120_323
; %bb.322:
	buffer_load_dword v3, off, s[0:3], 0 offset:128
	buffer_load_dword v4, off, s[0:3], 0 offset:132
	s_waitcnt vmcnt(0)
	ds_write_b64 v115, v[3:4]
	buffer_store_dword v116, off, s[0:3], 0 offset:128
	buffer_store_dword v116, off, s[0:3], 0 offset:132
.LBB120_323:
	s_or_b64 exec, exec, s[4:5]
	s_waitcnt lgkmcnt(0)
	; wave barrier
	buffer_load_dword v3, off, s[0:3], 0 offset:140
	buffer_load_dword v4, off, s[0:3], 0 offset:148
	;; [unrolled: 1-line block ×32, first 2 shown]
	ds_read2_b64 v[117:120], v116 offset0:75 offset1:76
	ds_read2_b64 v[121:124], v116 offset0:77 offset1:78
	;; [unrolled: 1-line block ×6, first 2 shown]
	buffer_load_dword v207, off, s[0:3], 0 offset:256
	buffer_load_dword v208, off, s[0:3], 0 offset:260
	;; [unrolled: 1-line block ×26, first 2 shown]
	v_cmp_lt_u32_e32 vcc, 15, v0
	s_waitcnt vmcnt(57) lgkmcnt(5)
	v_mul_f32_e32 v141, v117, v3
	s_waitcnt vmcnt(56)
	v_mul_f32_e32 v142, v119, v4
	s_waitcnt vmcnt(55) lgkmcnt(4)
	v_mul_f32_e32 v143, v121, v5
	s_waitcnt vmcnt(54)
	v_mul_f32_e32 v144, v123, v6
	;; [unrolled: 4-line block ×5, first 2 shown]
	s_waitcnt vmcnt(47) lgkmcnt(0)
	v_mul_f32_e32 v151, v137, v13
	s_waitcnt vmcnt(46)
	v_fmac_f32_e32 v143, v122, v14
	s_waitcnt vmcnt(45)
	v_fmac_f32_e32 v142, v120, v15
	s_waitcnt vmcnt(44)
	v_fmac_f32_e32 v141, v118, v16
	v_add_f32_e32 v141, 0, v141
	v_add_f32_e32 v141, v141, v142
	;; [unrolled: 1-line block ×3, first 2 shown]
	s_waitcnt vmcnt(40)
	v_fmac_f32_e32 v144, v124, v20
	v_fmac_f32_e32 v145, v126, v19
	v_add_f32_e32 v141, v141, v144
	v_fmac_f32_e32 v146, v128, v18
	v_add_f32_e32 v141, v141, v145
	;; [unrolled: 2-line block ×3, first 2 shown]
	s_waitcnt vmcnt(36)
	v_fmac_f32_e32 v148, v132, v24
	v_add_f32_e32 v141, v141, v147
	v_fmac_f32_e32 v149, v134, v23
	v_add_f32_e32 v141, v141, v148
	;; [unrolled: 2-line block ×4, first 2 shown]
	v_add_f32_e32 v145, v141, v151
	ds_read2_b64 v[141:144], v116 offset0:87 offset1:88
	buffer_load_dword v233, off, s[0:3], 0 offset:360
	buffer_load_dword v234, off, s[0:3], 0 offset:364
	;; [unrolled: 1-line block ×6, first 2 shown]
	s_waitcnt vmcnt(41)
	v_mul_f32_e32 v146, v139, v197
	s_waitcnt vmcnt(35)
	v_fmac_f32_e32 v146, v140, v203
	v_add_f32_e32 v149, v145, v146
	ds_read2_b64 v[145:148], v116 offset0:89 offset1:90
	buffer_load_dword v239, off, s[0:3], 0 offset:384
	buffer_load_dword v240, off, s[0:3], 0 offset:388
	;; [unrolled: 1-line block ×10, first 2 shown]
	s_waitcnt vmcnt(44) lgkmcnt(1)
	v_mul_f32_e32 v150, v141, v204
	v_fmac_f32_e32 v150, v142, v202
	v_add_f32_e32 v149, v149, v150
	v_mul_f32_e32 v150, v143, v199
	v_fmac_f32_e32 v150, v144, v198
	v_add_f32_e32 v149, v149, v150
	s_waitcnt lgkmcnt(0)
	v_mul_f32_e32 v150, v145, v201
	buffer_load_dword v249, off, s[0:3], 0 offset:424
	buffer_load_dword v250, off, s[0:3], 0 offset:428
	;; [unrolled: 1-line block ×6, first 2 shown]
	v_fmac_f32_e32 v150, v146, v200
	s_waitcnt vmcnt(46)
	v_mul_f32_e32 v154, v147, v208
	v_add_f32_e32 v153, v149, v150
	v_fmac_f32_e32 v154, v148, v207
	ds_read2_b64 v[149:152], v116 offset0:91 offset1:92
	v_add_f32_e32 v157, v153, v154
	ds_read2_b64 v[153:156], v116 offset0:93 offset1:94
	buffer_load_dword v255, off, s[0:3], 0 offset:448
	buffer_load_dword v25, off, s[0:3], 0 offset:452
	v_mul_f32_e32 v3, v118, v3
	v_fma_f32 v3, v117, v16, -v3
	v_mul_f32_e32 v4, v120, v4
	v_add_f32_e32 v3, 0, v3
	v_fma_f32 v4, v119, v15, -v4
	v_add_f32_e32 v3, v3, v4
	v_mul_f32_e32 v4, v122, v5
	v_fma_f32 v4, v121, v14, -v4
	v_add_f32_e32 v3, v3, v4
	v_mul_f32_e32 v4, v124, v6
	;; [unrolled: 3-line block ×7, first 2 shown]
	s_waitcnt vmcnt(46) lgkmcnt(1)
	v_mul_f32_e32 v26, v149, v210
	v_fma_f32 v4, v133, v23, -v4
	v_fmac_f32_e32 v26, v150, v209
	v_add_f32_e32 v3, v3, v4
	v_mul_f32_e32 v4, v136, v12
	v_add_f32_e32 v26, v157, v26
	s_waitcnt vmcnt(44)
	v_mul_f32_e32 v157, v151, v212
	v_fma_f32 v4, v135, v22, -v4
	v_fmac_f32_e32 v157, v152, v211
	v_add_f32_e32 v3, v3, v4
	v_mul_f32_e32 v4, v138, v13
	v_add_f32_e32 v26, v26, v157
	s_waitcnt vmcnt(42) lgkmcnt(0)
	v_mul_f32_e32 v157, v153, v214
	v_fma_f32 v4, v137, v21, -v4
	v_fmac_f32_e32 v157, v154, v213
	v_add_f32_e32 v3, v3, v4
	v_mul_f32_e32 v4, v140, v197
	v_add_f32_e32 v26, v26, v157
	ds_read2_b64 v[157:160], v116 offset0:95 offset1:96
	v_fma_f32 v4, v139, v203, -v4
	v_add_f32_e32 v3, v3, v4
	v_mul_f32_e32 v4, v142, v204
	s_waitcnt vmcnt(40)
	v_mul_f32_e32 v161, v155, v216
	v_fma_f32 v4, v141, v202, -v4
	v_fmac_f32_e32 v161, v156, v215
	v_add_f32_e32 v3, v3, v4
	v_mul_f32_e32 v4, v144, v199
	v_add_f32_e32 v26, v26, v161
	ds_read2_b64 v[161:164], v116 offset0:97 offset1:98
	v_fma_f32 v4, v143, v198, -v4
	s_waitcnt vmcnt(38) lgkmcnt(1)
	v_mul_f32_e32 v165, v157, v218
	v_add_f32_e32 v3, v3, v4
	v_mul_f32_e32 v4, v146, v201
	v_fmac_f32_e32 v165, v158, v217
	v_fma_f32 v4, v145, v200, -v4
	v_add_f32_e32 v26, v26, v165
	s_waitcnt vmcnt(36)
	v_mul_f32_e32 v165, v159, v220
	v_add_f32_e32 v3, v3, v4
	v_mul_f32_e32 v4, v148, v208
	v_fmac_f32_e32 v165, v160, v219
	v_fma_f32 v4, v147, v207, -v4
	v_add_f32_e32 v26, v26, v165
	s_waitcnt vmcnt(34) lgkmcnt(0)
	v_mul_f32_e32 v165, v161, v222
	v_add_f32_e32 v3, v3, v4
	v_mul_f32_e32 v4, v150, v210
	v_fmac_f32_e32 v165, v162, v221
	v_fma_f32 v4, v149, v209, -v4
	v_add_f32_e32 v26, v26, v165
	ds_read2_b64 v[165:168], v116 offset0:99 offset1:100
	v_add_f32_e32 v3, v3, v4
	v_mul_f32_e32 v4, v152, v212
	v_fma_f32 v4, v151, v211, -v4
	s_waitcnt vmcnt(32)
	v_mul_f32_e32 v169, v163, v224
	v_add_f32_e32 v3, v3, v4
	v_mul_f32_e32 v4, v154, v214
	v_fmac_f32_e32 v169, v164, v223
	v_fma_f32 v4, v153, v213, -v4
	v_add_f32_e32 v26, v26, v169
	ds_read2_b64 v[169:172], v116 offset0:101 offset1:102
	v_add_f32_e32 v3, v3, v4
	v_mul_f32_e32 v4, v156, v216
	s_waitcnt vmcnt(30) lgkmcnt(1)
	v_mul_f32_e32 v173, v165, v226
	v_fma_f32 v4, v155, v215, -v4
	v_fmac_f32_e32 v173, v166, v225
	v_add_f32_e32 v3, v3, v4
	v_mul_f32_e32 v4, v158, v218
	v_add_f32_e32 v26, v26, v173
	s_waitcnt vmcnt(29)
	v_mul_f32_e32 v173, v167, v227
	v_fma_f32 v4, v157, v217, -v4
	s_waitcnt vmcnt(26)
	v_fmac_f32_e32 v173, v168, v230
	v_add_f32_e32 v3, v3, v4
	v_mul_f32_e32 v4, v160, v220
	v_add_f32_e32 v26, v26, v173
	s_waitcnt lgkmcnt(0)
	v_mul_f32_e32 v173, v169, v229
	v_fma_f32 v4, v159, v219, -v4
	v_fmac_f32_e32 v173, v170, v228
	v_add_f32_e32 v3, v3, v4
	v_mul_f32_e32 v4, v162, v222
	v_add_f32_e32 v26, v26, v173
	ds_read2_b64 v[173:176], v116 offset0:103 offset1:104
	v_fma_f32 v4, v161, v221, -v4
	v_add_f32_e32 v3, v3, v4
	v_mul_f32_e32 v4, v164, v224
	s_waitcnt vmcnt(24)
	v_mul_f32_e32 v177, v171, v232
	v_fma_f32 v4, v163, v223, -v4
	v_fmac_f32_e32 v177, v172, v231
	v_add_f32_e32 v3, v3, v4
	v_mul_f32_e32 v4, v166, v226
	v_add_f32_e32 v26, v26, v177
	ds_read2_b64 v[177:180], v116 offset0:105 offset1:106
	v_fma_f32 v4, v165, v225, -v4
	s_waitcnt vmcnt(22) lgkmcnt(1)
	v_mul_f32_e32 v181, v173, v234
	v_add_f32_e32 v3, v3, v4
	v_mul_f32_e32 v4, v168, v227
	v_fmac_f32_e32 v181, v174, v233
	v_fma_f32 v4, v167, v230, -v4
	v_add_f32_e32 v26, v26, v181
	s_waitcnt vmcnt(21)
	v_mul_f32_e32 v181, v175, v235
	v_add_f32_e32 v3, v3, v4
	v_mul_f32_e32 v4, v170, v229
	s_waitcnt vmcnt(18)
	v_fmac_f32_e32 v181, v176, v238
	v_fma_f32 v4, v169, v228, -v4
	v_add_f32_e32 v26, v26, v181
	s_waitcnt lgkmcnt(0)
	v_mul_f32_e32 v181, v177, v237
	v_add_f32_e32 v3, v3, v4
	v_mul_f32_e32 v4, v172, v232
	v_fmac_f32_e32 v181, v178, v236
	v_fma_f32 v4, v171, v231, -v4
	v_add_f32_e32 v26, v26, v181
	ds_read2_b64 v[181:184], v116 offset0:107 offset1:108
	v_add_f32_e32 v3, v3, v4
	v_mul_f32_e32 v4, v174, v234
	v_fma_f32 v4, v173, v233, -v4
	s_waitcnt vmcnt(16)
	v_mul_f32_e32 v185, v179, v240
	v_add_f32_e32 v3, v3, v4
	v_mul_f32_e32 v4, v176, v235
	v_fmac_f32_e32 v185, v180, v239
	v_fma_f32 v4, v175, v238, -v4
	v_add_f32_e32 v26, v26, v185
	ds_read2_b64 v[185:188], v116 offset0:109 offset1:110
	v_add_f32_e32 v3, v3, v4
	v_mul_f32_e32 v4, v178, v237
	s_waitcnt vmcnt(14) lgkmcnt(1)
	v_mul_f32_e32 v189, v181, v242
	v_fma_f32 v4, v177, v236, -v4
	v_fmac_f32_e32 v189, v182, v241
	v_add_f32_e32 v3, v3, v4
	v_mul_f32_e32 v4, v180, v240
	v_add_f32_e32 v26, v26, v189
	s_waitcnt vmcnt(13)
	v_mul_f32_e32 v189, v183, v243
	v_fma_f32 v4, v179, v239, -v4
	s_waitcnt vmcnt(10)
	v_fmac_f32_e32 v189, v184, v246
	v_add_f32_e32 v3, v3, v4
	v_mul_f32_e32 v4, v182, v242
	v_add_f32_e32 v26, v26, v189
	s_waitcnt lgkmcnt(0)
	v_mul_f32_e32 v189, v185, v245
	v_fma_f32 v4, v181, v241, -v4
	v_fmac_f32_e32 v189, v186, v244
	v_add_f32_e32 v3, v3, v4
	v_mul_f32_e32 v4, v184, v243
	v_add_f32_e32 v26, v26, v189
	ds_read2_b64 v[189:192], v116 offset0:111 offset1:112
	v_fma_f32 v4, v183, v246, -v4
	v_add_f32_e32 v3, v3, v4
	v_mul_f32_e32 v4, v186, v245
	s_waitcnt vmcnt(8)
	v_mul_f32_e32 v193, v187, v248
	v_fma_f32 v4, v185, v244, -v4
	v_fmac_f32_e32 v193, v188, v247
	v_add_f32_e32 v3, v3, v4
	v_mul_f32_e32 v4, v188, v248
	v_add_f32_e32 v26, v26, v193
	ds_read2_b64 v[193:196], v116 offset0:113 offset1:114
	v_fma_f32 v4, v187, v247, -v4
	v_add_f32_e32 v3, v3, v4
	s_waitcnt vmcnt(6) lgkmcnt(1)
	v_mul_f32_e32 v4, v190, v250
	v_mul_f32_e32 v116, v189, v250
	v_fma_f32 v4, v189, v249, -v4
	v_fmac_f32_e32 v116, v190, v249
	v_add_f32_e32 v3, v3, v4
	s_waitcnt vmcnt(5)
	v_mul_f32_e32 v4, v192, v251
	v_add_f32_e32 v26, v26, v116
	v_mul_f32_e32 v116, v191, v251
	s_waitcnt vmcnt(2)
	v_fma_f32 v4, v191, v254, -v4
	v_fmac_f32_e32 v116, v192, v254
	v_add_f32_e32 v3, v3, v4
	s_waitcnt lgkmcnt(0)
	v_mul_f32_e32 v4, v194, v253
	v_add_f32_e32 v26, v26, v116
	v_mul_f32_e32 v116, v193, v253
	v_fma_f32 v4, v193, v252, -v4
	v_fmac_f32_e32 v116, v194, v252
	v_add_f32_e32 v3, v3, v4
	s_waitcnt vmcnt(0)
	v_mul_f32_e32 v4, v196, v25
	v_add_f32_e32 v26, v26, v116
	v_mul_f32_e32 v116, v195, v25
	v_fma_f32 v4, v195, v255, -v4
	v_fmac_f32_e32 v116, v196, v255
	v_add_f32_e32 v3, v3, v4
	v_add_f32_e32 v26, v26, v116
	v_sub_f32_e32 v3, v205, v3
	v_sub_f32_e32 v4, v206, v26
	buffer_store_dword v3, off, s[0:3], 0 offset:128
	buffer_store_dword v4, off, s[0:3], 0 offset:132
	s_and_saveexec_b64 s[4:5], vcc
	s_cbranch_execz .LBB120_325
; %bb.324:
	buffer_load_dword v3, off, s[0:3], 0 offset:120
	buffer_load_dword v4, off, s[0:3], 0 offset:124
	v_mov_b32_e32 v5, 0
	buffer_store_dword v5, off, s[0:3], 0 offset:120
	buffer_store_dword v5, off, s[0:3], 0 offset:124
	s_waitcnt vmcnt(2)
	ds_write_b64 v115, v[3:4]
.LBB120_325:
	s_or_b64 exec, exec, s[4:5]
	s_waitcnt lgkmcnt(0)
	; wave barrier
	buffer_load_dword v125, off, s[0:3], 0 offset:132
	buffer_load_dword v124, off, s[0:3], 0 offset:140
	;; [unrolled: 1-line block ×32, first 2 shown]
	v_mov_b32_e32 v116, 0
	buffer_load_dword v207, off, s[0:3], 0 offset:248
	buffer_load_dword v208, off, s[0:3], 0 offset:252
	;; [unrolled: 1-line block ×18, first 2 shown]
	ds_read_b128 v[126:129], v116 offset:592
	ds_read_b128 v[130:133], v116 offset:608
	;; [unrolled: 1-line block ×6, first 2 shown]
	buffer_load_dword v225, off, s[0:3], 0 offset:320
	buffer_load_dword v226, off, s[0:3], 0 offset:324
	;; [unrolled: 1-line block ×6, first 2 shown]
	v_cmp_lt_u32_e32 vcc, 14, v0
	s_waitcnt vmcnt(55) lgkmcnt(5)
	v_mul_f32_e32 v3, v126, v125
	s_waitcnt vmcnt(54)
	v_mul_f32_e32 v4, v128, v124
	s_waitcnt vmcnt(53) lgkmcnt(4)
	v_mul_f32_e32 v150, v130, v123
	s_waitcnt vmcnt(52)
	v_mul_f32_e32 v151, v132, v122
	;; [unrolled: 4-line block ×5, first 2 shown]
	s_waitcnt vmcnt(45) lgkmcnt(0)
	v_mul_f32_e32 v158, v146, v8
	s_waitcnt vmcnt(44)
	v_fmac_f32_e32 v150, v131, v9
	s_waitcnt vmcnt(43)
	v_fmac_f32_e32 v4, v129, v10
	;; [unrolled: 2-line block ×3, first 2 shown]
	v_add_f32_e32 v3, 0, v3
	v_add_f32_e32 v3, v3, v4
	v_add_f32_e32 v3, v3, v150
	s_waitcnt vmcnt(38)
	v_fmac_f32_e32 v151, v133, v15
	v_fmac_f32_e32 v152, v135, v14
	v_add_f32_e32 v3, v3, v151
	v_fmac_f32_e32 v153, v137, v13
	v_add_f32_e32 v3, v3, v152
	v_add_f32_e32 v3, v3, v153
	ds_read_b128 v[150:153], v116 offset:688
	buffer_load_dword v231, off, s[0:3], 0 offset:344
	buffer_load_dword v232, off, s[0:3], 0 offset:348
	v_fmac_f32_e32 v154, v139, v12
	s_waitcnt vmcnt(36)
	v_fmac_f32_e32 v155, v141, v19
	v_add_f32_e32 v3, v3, v154
	v_fmac_f32_e32 v156, v143, v18
	v_add_f32_e32 v3, v3, v155
	v_fmac_f32_e32 v157, v145, v17
	v_add_f32_e32 v3, v3, v156
	v_add_f32_e32 v3, v3, v157
	ds_read_b128 v[154:157], v116 offset:704
	buffer_load_dword v233, off, s[0:3], 0 offset:352
	buffer_load_dword v234, off, s[0:3], 0 offset:356
	;; [unrolled: 1-line block ×16, first 2 shown]
	v_fmac_f32_e32 v158, v147, v16
	v_add_f32_e32 v3, v3, v158
	ds_read_b128 v[158:161], v116 offset:720
	buffer_load_dword v249, off, s[0:3], 0 offset:416
	buffer_load_dword v250, off, s[0:3], 0 offset:420
	buffer_load_dword v251, off, s[0:3], 0 offset:428
	buffer_load_dword v252, off, s[0:3], 0 offset:432
	buffer_load_dword v253, off, s[0:3], 0 offset:436
	buffer_load_dword v254, off, s[0:3], 0 offset:424
	ds_read_b128 v[162:165], v116 offset:736
	buffer_load_dword v255, off, s[0:3], 0 offset:444
	buffer_load_dword v27, off, s[0:3], 0 offset:448
	;; [unrolled: 1-line block ×4, first 2 shown]
	s_waitcnt vmcnt(61)
	v_mul_f32_e32 v4, v148, v20
	s_waitcnt vmcnt(55)
	v_fmac_f32_e32 v4, v149, v26
	v_add_f32_e32 v3, v3, v4
	s_waitcnt vmcnt(54) lgkmcnt(3)
	v_mul_f32_e32 v4, v150, v206
	v_fmac_f32_e32 v4, v151, v25
	v_add_f32_e32 v3, v3, v4
	v_mul_f32_e32 v4, v152, v22
	v_fmac_f32_e32 v4, v153, v21
	v_add_f32_e32 v3, v3, v4
	s_waitcnt lgkmcnt(2)
	v_mul_f32_e32 v4, v154, v24
	v_fmac_f32_e32 v4, v155, v23
	v_add_f32_e32 v3, v3, v4
	s_waitcnt vmcnt(50)
	v_mul_f32_e32 v4, v156, v208
	v_fmac_f32_e32 v4, v157, v207
	v_add_f32_e32 v3, v3, v4
	s_waitcnt vmcnt(48) lgkmcnt(1)
	v_mul_f32_e32 v4, v158, v210
	v_fmac_f32_e32 v4, v159, v209
	v_add_f32_e32 v3, v3, v4
	s_waitcnt vmcnt(46)
	v_mul_f32_e32 v4, v160, v212
	v_fmac_f32_e32 v4, v161, v211
	ds_read_b128 v[166:169], v116 offset:752
	ds_read_b128 v[170:173], v116 offset:768
	v_add_f32_e32 v3, v3, v4
	s_waitcnt vmcnt(44) lgkmcnt(2)
	v_mul_f32_e32 v4, v162, v214
	v_fmac_f32_e32 v4, v163, v213
	v_add_f32_e32 v3, v3, v4
	s_waitcnt vmcnt(42)
	v_mul_f32_e32 v4, v164, v216
	v_fmac_f32_e32 v4, v165, v215
	v_add_f32_e32 v3, v3, v4
	s_waitcnt vmcnt(40) lgkmcnt(1)
	v_mul_f32_e32 v4, v166, v218
	v_fmac_f32_e32 v4, v167, v217
	v_add_f32_e32 v3, v3, v4
	s_waitcnt vmcnt(38)
	v_mul_f32_e32 v4, v168, v220
	v_fmac_f32_e32 v4, v169, v219
	ds_read_b128 v[174:177], v116 offset:784
	ds_read_b128 v[178:181], v116 offset:800
	v_add_f32_e32 v3, v3, v4
	s_waitcnt vmcnt(36) lgkmcnt(2)
	v_mul_f32_e32 v4, v170, v222
	v_fmac_f32_e32 v4, v171, v221
	v_add_f32_e32 v3, v3, v4
	s_waitcnt vmcnt(34)
	v_mul_f32_e32 v4, v172, v224
	v_fmac_f32_e32 v4, v173, v223
	v_add_f32_e32 v3, v3, v4
	s_waitcnt vmcnt(32) lgkmcnt(1)
	v_mul_f32_e32 v4, v174, v226
	v_fmac_f32_e32 v4, v175, v225
	v_add_f32_e32 v3, v3, v4
	s_waitcnt vmcnt(31)
	v_mul_f32_e32 v4, v176, v227
	s_waitcnt vmcnt(28)
	v_fmac_f32_e32 v4, v177, v230
	ds_read_b128 v[182:185], v116 offset:816
	ds_read_b128 v[186:189], v116 offset:832
	v_add_f32_e32 v3, v3, v4
	s_waitcnt lgkmcnt(2)
	v_mul_f32_e32 v4, v178, v229
	v_fmac_f32_e32 v4, v179, v228
	v_add_f32_e32 v3, v3, v4
	ds_read_b128 v[190:193], v116 offset:848
	ds_read_b128 v[194:197], v116 offset:864
	;; [unrolled: 1-line block ×4, first 2 shown]
	v_mul_f32_e32 v5, v141, v5
	v_fma_f32 v5, v140, v19, -v5
	s_waitcnt vmcnt(26)
	v_mul_f32_e32 v4, v180, v232
	v_fmac_f32_e32 v4, v181, v231
	v_add_f32_e32 v3, v3, v4
	v_mul_f32_e32 v6, v143, v6
	v_fma_f32 v6, v142, v18, -v6
	s_waitcnt vmcnt(24) lgkmcnt(5)
	v_mul_f32_e32 v4, v182, v234
	v_fmac_f32_e32 v4, v183, v233
	v_add_f32_e32 v3, v3, v4
	s_waitcnt vmcnt(23)
	v_mul_f32_e32 v4, v184, v235
	s_waitcnt vmcnt(20)
	v_fmac_f32_e32 v4, v185, v238
	v_add_f32_e32 v3, v3, v4
	s_waitcnt lgkmcnt(4)
	v_mul_f32_e32 v4, v186, v237
	v_fmac_f32_e32 v4, v187, v236
	v_add_f32_e32 v3, v3, v4
	s_waitcnt vmcnt(18)
	v_mul_f32_e32 v4, v188, v240
	v_fmac_f32_e32 v4, v189, v239
	v_add_f32_e32 v3, v3, v4
	s_waitcnt vmcnt(16) lgkmcnt(3)
	v_mul_f32_e32 v4, v190, v242
	v_fmac_f32_e32 v4, v191, v241
	v_add_f32_e32 v3, v3, v4
	s_waitcnt vmcnt(15)
	v_mul_f32_e32 v4, v192, v243
	s_waitcnt vmcnt(12)
	v_fmac_f32_e32 v4, v193, v246
	v_add_f32_e32 v3, v3, v4
	s_waitcnt lgkmcnt(2)
	v_mul_f32_e32 v4, v194, v245
	v_fmac_f32_e32 v4, v195, v244
	v_add_f32_e32 v3, v3, v4
	s_waitcnt vmcnt(10)
	v_mul_f32_e32 v4, v196, v248
	v_fmac_f32_e32 v4, v197, v247
	v_add_f32_e32 v3, v3, v4
	s_waitcnt vmcnt(8) lgkmcnt(1)
	v_mul_f32_e32 v4, v198, v250
	v_fmac_f32_e32 v4, v199, v249
	v_add_f32_e32 v3, v3, v4
	s_waitcnt vmcnt(7)
	v_mul_f32_e32 v4, v200, v251
	s_waitcnt vmcnt(4)
	v_fmac_f32_e32 v4, v201, v254
	v_add_f32_e32 v30, v3, v4
	ds_read_b64 v[3:4], v116 offset:912
	s_waitcnt lgkmcnt(1)
	v_mul_f32_e32 v31, v202, v253
	v_fmac_f32_e32 v31, v203, v252
	v_add_f32_e32 v30, v30, v31
	s_waitcnt vmcnt(3)
	v_mul_f32_e32 v31, v204, v255
	s_waitcnt vmcnt(0)
	v_fmac_f32_e32 v31, v205, v29
	v_add_f32_e32 v30, v30, v31
	s_waitcnt lgkmcnt(0)
	v_mul_f32_e32 v31, v3, v28
	v_fmac_f32_e32 v31, v4, v27
	v_add_f32_e32 v30, v30, v31
	v_mul_f32_e32 v31, v127, v125
	v_fma_f32 v11, v126, v11, -v31
	v_mul_f32_e32 v31, v129, v124
	v_add_f32_e32 v11, 0, v11
	v_fma_f32 v10, v128, v10, -v31
	v_add_f32_e32 v10, v11, v10
	v_mul_f32_e32 v11, v131, v123
	v_fma_f32 v9, v130, v9, -v11
	v_add_f32_e32 v9, v10, v9
	v_mul_f32_e32 v10, v133, v122
	;; [unrolled: 3-line block ×5, first 2 shown]
	v_fma_f32 v10, v138, v12, -v10
	v_add_f32_e32 v9, v9, v10
	v_add_f32_e32 v5, v9, v5
	;; [unrolled: 1-line block ×3, first 2 shown]
	v_mul_f32_e32 v6, v145, v7
	v_fma_f32 v6, v144, v17, -v6
	v_add_f32_e32 v5, v5, v6
	v_mul_f32_e32 v6, v147, v8
	v_fma_f32 v6, v146, v16, -v6
	v_add_f32_e32 v5, v5, v6
	;; [unrolled: 3-line block ×30, first 2 shown]
	v_mul_f32_e32 v6, v205, v255
	v_fma_f32 v6, v204, v29, -v6
	v_mul_f32_e32 v4, v4, v28
	v_add_f32_e32 v5, v5, v6
	v_fma_f32 v3, v3, v27, -v4
	v_add_f32_e32 v3, v5, v3
	v_sub_f32_e32 v3, v117, v3
	v_sub_f32_e32 v4, v118, v30
	buffer_store_dword v3, off, s[0:3], 0 offset:120
	buffer_store_dword v4, off, s[0:3], 0 offset:124
	s_and_saveexec_b64 s[4:5], vcc
	s_cbranch_execz .LBB120_327
; %bb.326:
	buffer_load_dword v3, off, s[0:3], 0 offset:112
	buffer_load_dword v4, off, s[0:3], 0 offset:116
	s_waitcnt vmcnt(0)
	ds_write_b64 v115, v[3:4]
	buffer_store_dword v116, off, s[0:3], 0 offset:112
	buffer_store_dword v116, off, s[0:3], 0 offset:116
.LBB120_327:
	s_or_b64 exec, exec, s[4:5]
	s_waitcnt lgkmcnt(0)
	; wave barrier
	buffer_load_dword v3, off, s[0:3], 0 offset:124
	buffer_load_dword v4, off, s[0:3], 0 offset:132
	;; [unrolled: 1-line block ×32, first 2 shown]
	ds_read2_b64 v[117:120], v116 offset0:73 offset1:74
	ds_read2_b64 v[121:124], v116 offset0:75 offset1:76
	;; [unrolled: 1-line block ×6, first 2 shown]
	buffer_load_dword v203, off, s[0:3], 0 offset:240
	buffer_load_dword v204, off, s[0:3], 0 offset:244
	;; [unrolled: 1-line block ×18, first 2 shown]
	v_cmp_lt_u32_e32 vcc, 13, v0
	s_waitcnt vmcnt(49) lgkmcnt(5)
	v_mul_f32_e32 v141, v117, v3
	s_waitcnt vmcnt(48)
	v_mul_f32_e32 v142, v119, v4
	s_waitcnt vmcnt(47) lgkmcnt(4)
	v_mul_f32_e32 v143, v121, v5
	s_waitcnt vmcnt(46)
	v_mul_f32_e32 v144, v123, v6
	;; [unrolled: 4-line block ×6, first 2 shown]
	s_waitcnt vmcnt(37)
	v_fmac_f32_e32 v143, v122, v15
	s_waitcnt vmcnt(36)
	v_fmac_f32_e32 v142, v120, v16
	;; [unrolled: 2-line block ×3, first 2 shown]
	v_add_f32_e32 v141, 0, v141
	v_add_f32_e32 v141, v141, v142
	;; [unrolled: 1-line block ×3, first 2 shown]
	s_waitcnt vmcnt(31)
	v_fmac_f32_e32 v144, v124, v21
	v_fmac_f32_e32 v145, v126, v20
	v_add_f32_e32 v141, v141, v144
	v_fmac_f32_e32 v146, v128, v19
	v_add_f32_e32 v141, v141, v145
	;; [unrolled: 2-line block ×3, first 2 shown]
	s_waitcnt vmcnt(27)
	v_fmac_f32_e32 v148, v132, v25
	v_add_f32_e32 v141, v141, v147
	v_fmac_f32_e32 v149, v134, v24
	v_add_f32_e32 v141, v141, v148
	;; [unrolled: 2-line block ×3, first 2 shown]
	v_add_f32_e32 v145, v141, v150
	ds_read2_b64 v[141:144], v116 offset0:85 offset1:86
	buffer_load_dword v221, off, s[0:3], 0 offset:312
	buffer_load_dword v222, off, s[0:3], 0 offset:316
	;; [unrolled: 1-line block ×6, first 2 shown]
	v_fmac_f32_e32 v151, v138, v22
	s_waitcnt vmcnt(27)
	v_fmac_f32_e32 v152, v140, v31
	v_add_f32_e32 v145, v145, v151
	v_add_f32_e32 v149, v145, v152
	ds_read2_b64 v[145:148], v116 offset0:87 offset1:88
	buffer_load_dword v227, off, s[0:3], 0 offset:336
	buffer_load_dword v228, off, s[0:3], 0 offset:340
	;; [unrolled: 1-line block ×10, first 2 shown]
	s_waitcnt vmcnt(36) lgkmcnt(1)
	v_mul_f32_e32 v150, v141, v32
	buffer_load_dword v237, off, s[0:3], 0 offset:376
	buffer_load_dword v238, off, s[0:3], 0 offset:380
	buffer_load_dword v239, off, s[0:3], 0 offset:388
	buffer_load_dword v240, off, s[0:3], 0 offset:392
	buffer_load_dword v241, off, s[0:3], 0 offset:396
	buffer_load_dword v242, off, s[0:3], 0 offset:384
	v_fmac_f32_e32 v150, v142, v30
	v_add_f32_e32 v149, v149, v150
	v_mul_f32_e32 v150, v143, v27
	v_fmac_f32_e32 v150, v144, v26
	v_add_f32_e32 v149, v149, v150
	s_waitcnt lgkmcnt(0)
	v_mul_f32_e32 v150, v145, v29
	v_fmac_f32_e32 v150, v146, v28
	v_add_f32_e32 v153, v149, v150
	ds_read2_b64 v[149:152], v116 offset0:89 offset1:90
	buffer_load_dword v243, off, s[0:3], 0 offset:400
	buffer_load_dword v244, off, s[0:3], 0 offset:404
	s_waitcnt vmcnt(40)
	v_mul_f32_e32 v154, v147, v204
	v_fmac_f32_e32 v154, v148, v203
	v_add_f32_e32 v157, v153, v154
	ds_read2_b64 v[153:156], v116 offset0:91 offset1:92
	buffer_load_dword v245, off, s[0:3], 0 offset:408
	buffer_load_dword v246, off, s[0:3], 0 offset:412
	;; [unrolled: 1-line block ×12, first 2 shown]
	v_mul_f32_e32 v3, v118, v3
	v_fma_f32 v3, v117, v17, -v3
	v_mul_f32_e32 v4, v120, v4
	v_add_f32_e32 v3, 0, v3
	v_fma_f32 v4, v119, v16, -v4
	v_add_f32_e32 v3, v3, v4
	v_mul_f32_e32 v4, v122, v5
	v_fma_f32 v4, v121, v15, -v4
	v_add_f32_e32 v3, v3, v4
	v_mul_f32_e32 v4, v124, v6
	;; [unrolled: 3-line block ×6, first 2 shown]
	v_fma_f32 v4, v131, v25, -v4
	s_waitcnt vmcnt(50) lgkmcnt(1)
	v_mul_f32_e32 v158, v149, v206
	v_add_f32_e32 v3, v3, v4
	v_mul_f32_e32 v4, v134, v11
	v_fmac_f32_e32 v158, v150, v205
	v_fma_f32 v4, v133, v24, -v4
	v_add_f32_e32 v157, v157, v158
	s_waitcnt vmcnt(48)
	v_mul_f32_e32 v158, v151, v208
	v_add_f32_e32 v3, v3, v4
	v_mul_f32_e32 v4, v136, v12
	v_fmac_f32_e32 v158, v152, v207
	v_fma_f32 v4, v135, v23, -v4
	v_add_f32_e32 v34, v157, v158
	s_waitcnt vmcnt(46) lgkmcnt(0)
	v_mul_f32_e32 v157, v153, v210
	v_add_f32_e32 v3, v3, v4
	v_mul_f32_e32 v4, v138, v13
	v_fmac_f32_e32 v157, v154, v209
	v_fma_f32 v4, v137, v22, -v4
	v_add_f32_e32 v34, v34, v157
	ds_read2_b64 v[157:160], v116 offset0:93 offset1:94
	v_add_f32_e32 v3, v3, v4
	v_mul_f32_e32 v4, v140, v14
	v_fma_f32 v4, v139, v31, -v4
	s_waitcnt vmcnt(44)
	v_mul_f32_e32 v161, v155, v212
	v_add_f32_e32 v3, v3, v4
	v_mul_f32_e32 v4, v142, v32
	v_fmac_f32_e32 v161, v156, v211
	v_fma_f32 v4, v141, v30, -v4
	v_add_f32_e32 v34, v34, v161
	ds_read2_b64 v[161:164], v116 offset0:95 offset1:96
	v_add_f32_e32 v3, v3, v4
	v_mul_f32_e32 v4, v144, v27
	s_waitcnt vmcnt(42) lgkmcnt(1)
	v_mul_f32_e32 v165, v157, v214
	v_fma_f32 v4, v143, v26, -v4
	v_fmac_f32_e32 v165, v158, v213
	v_add_f32_e32 v3, v3, v4
	v_mul_f32_e32 v4, v146, v29
	v_add_f32_e32 v34, v34, v165
	s_waitcnt vmcnt(40)
	v_mul_f32_e32 v165, v159, v216
	v_fma_f32 v4, v145, v28, -v4
	v_fmac_f32_e32 v165, v160, v215
	v_add_f32_e32 v3, v3, v4
	v_mul_f32_e32 v4, v148, v204
	v_add_f32_e32 v34, v34, v165
	s_waitcnt vmcnt(38) lgkmcnt(0)
	v_mul_f32_e32 v165, v161, v218
	v_fma_f32 v4, v147, v203, -v4
	v_fmac_f32_e32 v165, v162, v217
	v_add_f32_e32 v3, v3, v4
	v_mul_f32_e32 v4, v150, v206
	v_add_f32_e32 v34, v34, v165
	ds_read2_b64 v[165:168], v116 offset0:97 offset1:98
	v_fma_f32 v4, v149, v205, -v4
	v_add_f32_e32 v3, v3, v4
	v_mul_f32_e32 v4, v152, v208
	s_waitcnt vmcnt(36)
	v_mul_f32_e32 v169, v163, v220
	v_fma_f32 v4, v151, v207, -v4
	v_fmac_f32_e32 v169, v164, v219
	v_add_f32_e32 v3, v3, v4
	v_mul_f32_e32 v4, v154, v210
	v_add_f32_e32 v34, v34, v169
	ds_read2_b64 v[169:172], v116 offset0:99 offset1:100
	v_fma_f32 v4, v153, v209, -v4
	s_waitcnt vmcnt(34) lgkmcnt(1)
	v_mul_f32_e32 v173, v165, v222
	v_add_f32_e32 v3, v3, v4
	v_mul_f32_e32 v4, v156, v212
	v_fmac_f32_e32 v173, v166, v221
	v_fma_f32 v4, v155, v211, -v4
	v_add_f32_e32 v34, v34, v173
	s_waitcnt vmcnt(33)
	v_mul_f32_e32 v173, v167, v223
	v_add_f32_e32 v3, v3, v4
	v_mul_f32_e32 v4, v158, v214
	s_waitcnt vmcnt(30)
	v_fmac_f32_e32 v173, v168, v226
	v_fma_f32 v4, v157, v213, -v4
	v_add_f32_e32 v34, v34, v173
	s_waitcnt lgkmcnt(0)
	v_mul_f32_e32 v173, v169, v225
	v_add_f32_e32 v3, v3, v4
	v_mul_f32_e32 v4, v160, v216
	v_fmac_f32_e32 v173, v170, v224
	v_fma_f32 v4, v159, v215, -v4
	v_add_f32_e32 v34, v34, v173
	ds_read2_b64 v[173:176], v116 offset0:101 offset1:102
	v_add_f32_e32 v3, v3, v4
	v_mul_f32_e32 v4, v162, v218
	v_fma_f32 v4, v161, v217, -v4
	s_waitcnt vmcnt(28)
	v_mul_f32_e32 v177, v171, v228
	v_add_f32_e32 v3, v3, v4
	v_mul_f32_e32 v4, v164, v220
	v_fmac_f32_e32 v177, v172, v227
	v_fma_f32 v4, v163, v219, -v4
	v_add_f32_e32 v34, v34, v177
	ds_read2_b64 v[177:180], v116 offset0:103 offset1:104
	v_add_f32_e32 v3, v3, v4
	v_mul_f32_e32 v4, v166, v222
	s_waitcnt vmcnt(26) lgkmcnt(1)
	v_mul_f32_e32 v181, v173, v230
	v_fma_f32 v4, v165, v221, -v4
	v_fmac_f32_e32 v181, v174, v229
	v_add_f32_e32 v3, v3, v4
	v_mul_f32_e32 v4, v168, v223
	v_add_f32_e32 v34, v34, v181
	s_waitcnt vmcnt(25)
	v_mul_f32_e32 v181, v175, v231
	v_fma_f32 v4, v167, v226, -v4
	s_waitcnt vmcnt(22)
	v_fmac_f32_e32 v181, v176, v234
	v_add_f32_e32 v3, v3, v4
	v_mul_f32_e32 v4, v170, v225
	v_add_f32_e32 v34, v34, v181
	s_waitcnt lgkmcnt(0)
	v_mul_f32_e32 v181, v177, v233
	v_fma_f32 v4, v169, v224, -v4
	v_fmac_f32_e32 v181, v178, v232
	v_add_f32_e32 v3, v3, v4
	v_mul_f32_e32 v4, v172, v228
	v_add_f32_e32 v34, v34, v181
	ds_read2_b64 v[181:184], v116 offset0:105 offset1:106
	v_fma_f32 v4, v171, v227, -v4
	v_add_f32_e32 v3, v3, v4
	v_mul_f32_e32 v4, v174, v230
	s_waitcnt vmcnt(20)
	v_mul_f32_e32 v185, v179, v236
	v_fma_f32 v4, v173, v229, -v4
	v_fmac_f32_e32 v185, v180, v235
	v_add_f32_e32 v3, v3, v4
	v_mul_f32_e32 v4, v176, v231
	v_add_f32_e32 v34, v34, v185
	ds_read2_b64 v[185:188], v116 offset0:107 offset1:108
	v_fma_f32 v4, v175, v234, -v4
	s_waitcnt vmcnt(18) lgkmcnt(1)
	v_mul_f32_e32 v189, v181, v238
	v_add_f32_e32 v3, v3, v4
	v_mul_f32_e32 v4, v178, v233
	v_fmac_f32_e32 v189, v182, v237
	v_fma_f32 v4, v177, v232, -v4
	v_add_f32_e32 v34, v34, v189
	s_waitcnt vmcnt(17)
	v_mul_f32_e32 v189, v183, v239
	v_add_f32_e32 v3, v3, v4
	v_mul_f32_e32 v4, v180, v236
	s_waitcnt vmcnt(14)
	v_fmac_f32_e32 v189, v184, v242
	v_fma_f32 v4, v179, v235, -v4
	v_add_f32_e32 v34, v34, v189
	s_waitcnt lgkmcnt(0)
	v_mul_f32_e32 v189, v185, v241
	v_add_f32_e32 v3, v3, v4
	v_mul_f32_e32 v4, v182, v238
	v_fmac_f32_e32 v189, v186, v240
	v_fma_f32 v4, v181, v237, -v4
	v_add_f32_e32 v34, v34, v189
	ds_read2_b64 v[189:192], v116 offset0:109 offset1:110
	v_add_f32_e32 v3, v3, v4
	v_mul_f32_e32 v4, v184, v239
	v_fma_f32 v4, v183, v242, -v4
	v_add_f32_e32 v3, v3, v4
	v_mul_f32_e32 v4, v186, v241
	s_waitcnt vmcnt(12)
	v_mul_f32_e32 v193, v187, v244
	v_fma_f32 v4, v185, v240, -v4
	v_fmac_f32_e32 v193, v188, v243
	v_add_f32_e32 v3, v3, v4
	v_mul_f32_e32 v4, v188, v244
	v_add_f32_e32 v34, v34, v193
	ds_read2_b64 v[193:196], v116 offset0:111 offset1:112
	s_waitcnt vmcnt(10) lgkmcnt(1)
	v_mul_f32_e32 v197, v189, v246
	v_fma_f32 v4, v187, v243, -v4
	v_fmac_f32_e32 v197, v190, v245
	v_add_f32_e32 v3, v3, v4
	v_mul_f32_e32 v4, v190, v246
	v_add_f32_e32 v34, v34, v197
	s_waitcnt vmcnt(9)
	v_mul_f32_e32 v197, v191, v247
	v_fma_f32 v4, v189, v245, -v4
	s_waitcnt vmcnt(6)
	v_fmac_f32_e32 v197, v192, v250
	v_add_f32_e32 v3, v3, v4
	v_mul_f32_e32 v4, v192, v247
	v_add_f32_e32 v34, v34, v197
	ds_read2_b64 v[197:200], v116 offset0:113 offset1:114
	v_fma_f32 v4, v191, v250, -v4
	v_add_f32_e32 v3, v3, v4
	s_waitcnt lgkmcnt(1)
	v_mul_f32_e32 v4, v194, v249
	v_mul_f32_e32 v35, v193, v249
	v_fma_f32 v4, v193, v248, -v4
	v_fmac_f32_e32 v35, v194, v248
	v_add_f32_e32 v3, v3, v4
	s_waitcnt vmcnt(4)
	v_mul_f32_e32 v4, v196, v252
	v_add_f32_e32 v34, v34, v35
	v_mul_f32_e32 v35, v195, v252
	v_fma_f32 v4, v195, v251, -v4
	v_fmac_f32_e32 v35, v196, v251
	v_add_f32_e32 v3, v3, v4
	s_waitcnt vmcnt(3) lgkmcnt(0)
	v_mul_f32_e32 v4, v198, v253
	v_add_f32_e32 v34, v34, v35
	v_mul_f32_e32 v35, v197, v253
	s_waitcnt vmcnt(0)
	v_fma_f32 v4, v197, v33, -v4
	v_fmac_f32_e32 v35, v198, v33
	v_add_f32_e32 v3, v3, v4
	v_mul_f32_e32 v4, v200, v255
	v_add_f32_e32 v34, v34, v35
	v_mul_f32_e32 v35, v199, v255
	v_fma_f32 v4, v199, v254, -v4
	v_fmac_f32_e32 v35, v200, v254
	v_add_f32_e32 v3, v3, v4
	v_add_f32_e32 v34, v34, v35
	v_sub_f32_e32 v3, v201, v3
	v_sub_f32_e32 v4, v202, v34
	buffer_store_dword v3, off, s[0:3], 0 offset:112
	buffer_store_dword v4, off, s[0:3], 0 offset:116
	s_and_saveexec_b64 s[4:5], vcc
	s_cbranch_execz .LBB120_329
; %bb.328:
	buffer_load_dword v3, off, s[0:3], 0 offset:104
	buffer_load_dword v4, off, s[0:3], 0 offset:108
	v_mov_b32_e32 v5, 0
	buffer_store_dword v5, off, s[0:3], 0 offset:104
	buffer_store_dword v5, off, s[0:3], 0 offset:108
	s_waitcnt vmcnt(2)
	ds_write_b64 v115, v[3:4]
.LBB120_329:
	s_or_b64 exec, exec, s[4:5]
	s_waitcnt lgkmcnt(0)
	; wave barrier
	buffer_load_dword v125, off, s[0:3], 0 offset:116
	buffer_load_dword v124, off, s[0:3], 0 offset:124
	buffer_load_dword v123, off, s[0:3], 0 offset:132
	buffer_load_dword v122, off, s[0:3], 0 offset:140
	buffer_load_dword v121, off, s[0:3], 0 offset:148
	buffer_load_dword v120, off, s[0:3], 0 offset:156
	buffer_load_dword v119, off, s[0:3], 0 offset:164
	buffer_load_dword v126, off, s[0:3], 0 offset:172
	buffer_load_dword v127, off, s[0:3], 0 offset:180
	buffer_load_dword v128, off, s[0:3], 0 offset:188
	buffer_load_dword v129, off, s[0:3], 0 offset:196
	buffer_load_dword v130, off, s[0:3], 0 offset:204
	buffer_load_dword v5, off, s[0:3], 0 offset:128
	buffer_load_dword v6, off, s[0:3], 0 offset:120
	buffer_load_dword v7, off, s[0:3], 0 offset:112
	buffer_load_dword v8, off, s[0:3], 0 offset:160
	buffer_load_dword v9, off, s[0:3], 0 offset:152
	buffer_load_dword v10, off, s[0:3], 0 offset:144
	buffer_load_dword v11, off, s[0:3], 0 offset:136
	buffer_load_dword v12, off, s[0:3], 0 offset:192
	buffer_load_dword v13, off, s[0:3], 0 offset:184
	buffer_load_dword v14, off, s[0:3], 0 offset:176
	buffer_load_dword v15, off, s[0:3], 0 offset:168
	buffer_load_dword v16, off, s[0:3], 0 offset:224
	buffer_load_dword v17, off, s[0:3], 0 offset:228
	buffer_load_dword v18, off, s[0:3], 0 offset:216
	buffer_load_dword v19, off, s[0:3], 0 offset:208
	buffer_load_dword v20, off, s[0:3], 0 offset:200
	buffer_load_dword v21, off, s[0:3], 0 offset:212
	buffer_load_dword v22, off, s[0:3], 0 offset:220
	buffer_load_dword v117, off, s[0:3], 0 offset:104
	buffer_load_dword v118, off, s[0:3], 0 offset:108
	v_mov_b32_e32 v116, 0
	buffer_load_dword v23, off, s[0:3], 0 offset:232
	buffer_load_dword v24, off, s[0:3], 0 offset:236
	;; [unrolled: 1-line block ×16, first 2 shown]
	ds_read_b128 v[131:134], v116 offset:576
	ds_read_b128 v[135:138], v116 offset:592
	;; [unrolled: 1-line block ×6, first 2 shown]
	buffer_load_dword v217, off, s[0:3], 0 offset:296
	buffer_load_dword v218, off, s[0:3], 0 offset:300
	v_cmp_lt_u32_e32 vcc, 12, v0
	s_waitcnt vmcnt(49) lgkmcnt(5)
	v_mul_f32_e32 v3, v131, v125
	s_waitcnt vmcnt(48)
	v_mul_f32_e32 v4, v133, v124
	s_waitcnt vmcnt(47) lgkmcnt(4)
	v_mul_f32_e32 v155, v135, v123
	s_waitcnt vmcnt(46)
	v_mul_f32_e32 v156, v137, v122
	;; [unrolled: 4-line block ×6, first 2 shown]
	s_waitcnt vmcnt(37)
	v_fmac_f32_e32 v155, v136, v5
	s_waitcnt vmcnt(36)
	v_fmac_f32_e32 v4, v134, v6
	;; [unrolled: 2-line block ×3, first 2 shown]
	v_add_f32_e32 v3, 0, v3
	v_add_f32_e32 v3, v3, v4
	;; [unrolled: 1-line block ×3, first 2 shown]
	s_waitcnt vmcnt(31)
	v_fmac_f32_e32 v156, v138, v11
	v_fmac_f32_e32 v157, v140, v10
	v_add_f32_e32 v3, v3, v156
	v_fmac_f32_e32 v158, v142, v9
	v_add_f32_e32 v3, v3, v157
	;; [unrolled: 2-line block ×3, first 2 shown]
	s_waitcnt vmcnt(27)
	v_fmac_f32_e32 v160, v146, v15
	v_add_f32_e32 v3, v3, v159
	ds_read_b128 v[155:158], v116 offset:672
	buffer_load_dword v219, off, s[0:3], 0 offset:304
	buffer_load_dword v220, off, s[0:3], 0 offset:308
	;; [unrolled: 1-line block ×6, first 2 shown]
	v_fmac_f32_e32 v161, v148, v14
	v_add_f32_e32 v3, v3, v160
	v_fmac_f32_e32 v162, v150, v13
	v_add_f32_e32 v3, v3, v161
	v_add_f32_e32 v3, v3, v162
	ds_read_b128 v[159:162], v116 offset:688
	buffer_load_dword v225, off, s[0:3], 0 offset:328
	buffer_load_dword v226, off, s[0:3], 0 offset:332
	;; [unrolled: 1-line block ×10, first 2 shown]
	v_fmac_f32_e32 v163, v152, v12
	s_waitcnt vmcnt(38)
	v_fmac_f32_e32 v164, v154, v20
	v_add_f32_e32 v3, v3, v163
	v_add_f32_e32 v3, v3, v164
	ds_read_b128 v[163:166], v116 offset:704
	buffer_load_dword v235, off, s[0:3], 0 offset:368
	buffer_load_dword v236, off, s[0:3], 0 offset:372
	;; [unrolled: 1-line block ×6, first 2 shown]
	ds_read_b128 v[167:170], v116 offset:720
	buffer_load_dword v241, off, s[0:3], 0 offset:392
	buffer_load_dword v242, off, s[0:3], 0 offset:396
	;; [unrolled: 1-line block ×16, first 2 shown]
	s_waitcnt vmcnt(59) lgkmcnt(3)
	v_mul_f32_e32 v4, v155, v21
	v_fmac_f32_e32 v4, v156, v19
	v_add_f32_e32 v3, v3, v4
	s_waitcnt vmcnt(58)
	v_mul_f32_e32 v4, v157, v22
	v_fmac_f32_e32 v4, v158, v18
	v_add_f32_e32 v3, v3, v4
	s_waitcnt lgkmcnt(2)
	v_mul_f32_e32 v4, v159, v17
	v_fmac_f32_e32 v4, v160, v16
	v_add_f32_e32 v3, v3, v4
	s_waitcnt vmcnt(54)
	v_mul_f32_e32 v4, v161, v24
	v_fmac_f32_e32 v4, v162, v23
	v_add_f32_e32 v3, v3, v4
	s_waitcnt vmcnt(52) lgkmcnt(1)
	v_mul_f32_e32 v4, v163, v26
	v_fmac_f32_e32 v4, v164, v25
	v_add_f32_e32 v3, v3, v4
	s_waitcnt vmcnt(50)
	v_mul_f32_e32 v4, v165, v28
	v_fmac_f32_e32 v4, v166, v27
	ds_read_b128 v[171:174], v116 offset:736
	ds_read_b128 v[175:178], v116 offset:752
	v_add_f32_e32 v3, v3, v4
	s_waitcnt vmcnt(48) lgkmcnt(2)
	v_mul_f32_e32 v4, v167, v30
	v_fmac_f32_e32 v4, v168, v29
	v_add_f32_e32 v3, v3, v4
	s_waitcnt vmcnt(46)
	v_mul_f32_e32 v4, v169, v32
	v_fmac_f32_e32 v4, v170, v31
	v_add_f32_e32 v3, v3, v4
	s_waitcnt vmcnt(44) lgkmcnt(1)
	v_mul_f32_e32 v4, v171, v34
	v_fmac_f32_e32 v4, v172, v33
	v_add_f32_e32 v3, v3, v4
	s_waitcnt vmcnt(42)
	v_mul_f32_e32 v4, v173, v36
	v_fmac_f32_e32 v4, v174, v35
	ds_read_b128 v[179:182], v116 offset:768
	ds_read_b128 v[183:186], v116 offset:784
	v_add_f32_e32 v3, v3, v4
	s_waitcnt vmcnt(40) lgkmcnt(2)
	v_mul_f32_e32 v4, v175, v216
	v_fmac_f32_e32 v4, v176, v215
	v_add_f32_e32 v3, v3, v4
	s_waitcnt vmcnt(38)
	v_mul_f32_e32 v4, v177, v218
	v_fmac_f32_e32 v4, v178, v217
	v_add_f32_e32 v3, v3, v4
	ds_read_b128 v[187:190], v116 offset:800
	ds_read_b128 v[191:194], v116 offset:816
	;; [unrolled: 1-line block ×7, first 2 shown]
	s_waitcnt vmcnt(36) lgkmcnt(8)
	v_mul_f32_e32 v4, v179, v220
	v_fmac_f32_e32 v4, v180, v219
	v_add_f32_e32 v3, v3, v4
	s_waitcnt vmcnt(35)
	v_mul_f32_e32 v4, v181, v221
	s_waitcnt vmcnt(32)
	v_fmac_f32_e32 v4, v182, v224
	v_add_f32_e32 v3, v3, v4
	s_waitcnt lgkmcnt(7)
	v_mul_f32_e32 v4, v183, v223
	v_fmac_f32_e32 v4, v184, v222
	v_add_f32_e32 v3, v3, v4
	s_waitcnt vmcnt(30)
	v_mul_f32_e32 v4, v185, v226
	v_fmac_f32_e32 v4, v186, v225
	v_add_f32_e32 v3, v3, v4
	s_waitcnt vmcnt(28) lgkmcnt(6)
	v_mul_f32_e32 v4, v187, v228
	v_fmac_f32_e32 v4, v188, v227
	v_add_f32_e32 v3, v3, v4
	s_waitcnt vmcnt(27)
	v_mul_f32_e32 v4, v189, v229
	s_waitcnt vmcnt(24)
	v_fmac_f32_e32 v4, v190, v232
	v_add_f32_e32 v3, v3, v4
	s_waitcnt lgkmcnt(5)
	v_mul_f32_e32 v4, v191, v231
	v_fmac_f32_e32 v4, v192, v230
	v_add_f32_e32 v3, v3, v4
	s_waitcnt vmcnt(22)
	v_mul_f32_e32 v4, v193, v234
	v_fmac_f32_e32 v4, v194, v233
	v_add_f32_e32 v3, v3, v4
	;; [unrolled: 17-line block ×4, first 2 shown]
	ds_read_b64 v[3:4], v116 offset:912
	s_waitcnt vmcnt(4) lgkmcnt(1)
	v_mul_f32_e32 v39, v211, v252
	v_fmac_f32_e32 v39, v212, v251
	v_add_f32_e32 v38, v38, v39
	s_waitcnt vmcnt(3)
	v_mul_f32_e32 v39, v213, v253
	s_waitcnt vmcnt(0)
	v_fmac_f32_e32 v39, v214, v37
	v_add_f32_e32 v38, v38, v39
	s_waitcnt lgkmcnt(0)
	v_mul_f32_e32 v39, v3, v255
	v_fmac_f32_e32 v39, v4, v254
	v_add_f32_e32 v38, v38, v39
	v_mul_f32_e32 v39, v132, v125
	v_fma_f32 v7, v131, v7, -v39
	v_mul_f32_e32 v39, v134, v124
	v_add_f32_e32 v7, 0, v7
	v_fma_f32 v6, v133, v6, -v39
	v_add_f32_e32 v6, v7, v6
	v_mul_f32_e32 v7, v136, v123
	v_fma_f32 v5, v135, v5, -v7
	v_add_f32_e32 v5, v6, v5
	v_mul_f32_e32 v6, v138, v122
	;; [unrolled: 3-line block ×40, first 2 shown]
	v_fma_f32 v6, v213, v37, -v6
	v_mul_f32_e32 v4, v4, v255
	v_add_f32_e32 v5, v5, v6
	v_fma_f32 v3, v3, v254, -v4
	v_add_f32_e32 v3, v5, v3
	v_sub_f32_e32 v3, v117, v3
	v_sub_f32_e32 v4, v118, v38
	buffer_store_dword v3, off, s[0:3], 0 offset:104
	buffer_store_dword v4, off, s[0:3], 0 offset:108
	s_and_saveexec_b64 s[4:5], vcc
	s_cbranch_execz .LBB120_331
; %bb.330:
	buffer_load_dword v3, off, s[0:3], 0 offset:96
	buffer_load_dword v4, off, s[0:3], 0 offset:100
	s_waitcnt vmcnt(0)
	ds_write_b64 v115, v[3:4]
	buffer_store_dword v116, off, s[0:3], 0 offset:96
	buffer_store_dword v116, off, s[0:3], 0 offset:100
.LBB120_331:
	s_or_b64 exec, exec, s[4:5]
	s_waitcnt lgkmcnt(0)
	; wave barrier
	buffer_load_dword v125, off, s[0:3], 0 offset:108
	buffer_load_dword v124, off, s[0:3], 0 offset:116
	;; [unrolled: 1-line block ×32, first 2 shown]
	ds_read2_b64 v[131:134], v116 offset0:71 offset1:72
	ds_read2_b64 v[135:138], v116 offset0:73 offset1:74
	;; [unrolled: 1-line block ×4, first 2 shown]
	buffer_load_dword v21, off, s[0:3], 0 offset:224
	buffer_load_dword v22, off, s[0:3], 0 offset:228
	ds_read2_b64 v[147:150], v116 offset0:79 offset1:80
	ds_read2_b64 v[151:154], v116 offset0:81 offset1:82
	;; [unrolled: 1-line block ×3, first 2 shown]
	buffer_load_dword v23, off, s[0:3], 0 offset:232
	buffer_load_dword v24, off, s[0:3], 0 offset:236
	;; [unrolled: 1-line block ×14, first 2 shown]
	v_cmp_lt_u32_e32 vcc, 11, v0
	s_waitcnt vmcnt(47) lgkmcnt(6)
	v_mul_f32_e32 v37, v131, v125
	s_waitcnt vmcnt(46)
	v_mul_f32_e32 v38, v133, v124
	s_waitcnt vmcnt(45) lgkmcnt(5)
	v_mul_f32_e32 v39, v135, v123
	s_waitcnt vmcnt(44)
	v_mul_f32_e32 v40, v137, v122
	;; [unrolled: 4-line block ×6, first 2 shown]
	s_waitcnt vmcnt(35)
	v_fmac_f32_e32 v39, v136, v3
	s_waitcnt vmcnt(34)
	v_fmac_f32_e32 v38, v134, v4
	;; [unrolled: 2-line block ×3, first 2 shown]
	v_add_f32_e32 v37, 0, v37
	v_add_f32_e32 v37, v37, v38
	;; [unrolled: 1-line block ×3, first 2 shown]
	buffer_load_dword v38, off, s[0:3], 0 offset:288
	buffer_load_dword v39, off, s[0:3], 0 offset:292
	s_waitcnt vmcnt(31)
	v_fmac_f32_e32 v40, v138, v9
	v_fmac_f32_e32 v159, v140, v8
	v_add_f32_e32 v37, v37, v40
	v_fmac_f32_e32 v160, v142, v7
	v_add_f32_e32 v37, v37, v159
	v_fmac_f32_e32 v161, v144, v6
	v_add_f32_e32 v37, v37, v160
	s_waitcnt vmcnt(27)
	v_fmac_f32_e32 v162, v146, v13
	v_add_f32_e32 v37, v37, v161
	v_add_f32_e32 v37, v37, v162
	ds_read2_b64 v[159:162], v116 offset0:85 offset1:86
	buffer_load_dword v219, off, s[0:3], 0 offset:296
	buffer_load_dword v220, off, s[0:3], 0 offset:300
	;; [unrolled: 1-line block ×8, first 2 shown]
	v_fmac_f32_e32 v163, v148, v12
	buffer_load_dword v227, off, s[0:3], 0 offset:328
	buffer_load_dword v228, off, s[0:3], 0 offset:332
	;; [unrolled: 1-line block ×6, first 2 shown]
	v_fmac_f32_e32 v164, v150, v11
	v_add_f32_e32 v37, v37, v163
	v_fmac_f32_e32 v165, v152, v10
	v_add_f32_e32 v37, v37, v164
	s_waitcnt vmcnt(37)
	v_fmac_f32_e32 v166, v154, v17
	v_add_f32_e32 v37, v37, v165
	s_waitcnt vmcnt(36) lgkmcnt(1)
	v_mul_f32_e32 v40, v155, v18
	v_add_f32_e32 v37, v37, v166
	v_fmac_f32_e32 v40, v156, v16
	v_add_f32_e32 v37, v37, v40
	s_waitcnt vmcnt(35)
	v_mul_f32_e32 v40, v157, v19
	buffer_load_dword v233, off, s[0:3], 0 offset:352
	buffer_load_dword v234, off, s[0:3], 0 offset:356
	v_fmac_f32_e32 v40, v158, v15
	v_add_f32_e32 v37, v37, v40
	s_waitcnt vmcnt(36) lgkmcnt(0)
	v_mul_f32_e32 v40, v159, v20
	v_fmac_f32_e32 v40, v160, v14
	v_add_f32_e32 v37, v37, v40
	s_waitcnt vmcnt(32)
	v_mul_f32_e32 v40, v161, v22
	v_fmac_f32_e32 v40, v162, v21
	ds_read2_b64 v[163:166], v116 offset0:87 offset1:88
	v_add_f32_e32 v37, v37, v40
	buffer_load_dword v40, off, s[0:3], 0 offset:360
	buffer_load_dword v235, off, s[0:3], 0 offset:364
	;; [unrolled: 1-line block ×6, first 2 shown]
	ds_read2_b64 v[167:170], v116 offset0:89 offset1:90
	buffer_load_dword v240, off, s[0:3], 0 offset:384
	buffer_load_dword v241, off, s[0:3], 0 offset:388
	;; [unrolled: 1-line block ×10, first 2 shown]
	s_waitcnt vmcnt(46) lgkmcnt(1)
	v_mul_f32_e32 v171, v163, v24
	v_fmac_f32_e32 v171, v164, v23
	v_add_f32_e32 v37, v37, v171
	s_waitcnt vmcnt(44)
	v_mul_f32_e32 v171, v165, v26
	v_fmac_f32_e32 v171, v166, v25
	v_add_f32_e32 v37, v37, v171
	s_waitcnt vmcnt(42) lgkmcnt(0)
	v_mul_f32_e32 v171, v167, v28
	buffer_load_dword v250, off, s[0:3], 0 offset:424
	buffer_load_dword v251, off, s[0:3], 0 offset:428
	buffer_load_dword v252, off, s[0:3], 0 offset:436
	buffer_load_dword v253, off, s[0:3], 0 offset:440
	buffer_load_dword v254, off, s[0:3], 0 offset:444
	buffer_load_dword v255, off, s[0:3], 0 offset:432
	v_fmac_f32_e32 v171, v168, v27
	s_waitcnt vmcnt(46)
	v_mul_f32_e32 v175, v169, v30
	v_add_f32_e32 v37, v37, v171
	v_fmac_f32_e32 v175, v170, v29
	ds_read2_b64 v[171:174], v116 offset0:91 offset1:92
	v_add_f32_e32 v37, v37, v175
	ds_read2_b64 v[175:178], v116 offset0:93 offset1:94
	buffer_load_dword v41, off, s[0:3], 0 offset:448
	buffer_load_dword v42, off, s[0:3], 0 offset:452
	s_waitcnt vmcnt(46) lgkmcnt(1)
	v_mul_f32_e32 v179, v171, v32
	v_fmac_f32_e32 v179, v172, v31
	v_add_f32_e32 v37, v37, v179
	s_waitcnt vmcnt(44)
	v_mul_f32_e32 v179, v173, v34
	v_fmac_f32_e32 v179, v174, v33
	v_add_f32_e32 v37, v37, v179
	s_waitcnt vmcnt(42) lgkmcnt(0)
	v_mul_f32_e32 v179, v175, v36
	v_fmac_f32_e32 v179, v176, v35
	v_add_f32_e32 v37, v37, v179
	ds_read2_b64 v[179:182], v116 offset0:95 offset1:96
	s_waitcnt vmcnt(40)
	v_mul_f32_e32 v183, v177, v39
	v_fmac_f32_e32 v183, v178, v38
	v_add_f32_e32 v37, v37, v183
	ds_read2_b64 v[183:186], v116 offset0:97 offset1:98
	s_waitcnt vmcnt(38) lgkmcnt(1)
	v_mul_f32_e32 v187, v179, v220
	v_fmac_f32_e32 v187, v180, v219
	v_add_f32_e32 v37, v37, v187
	s_waitcnt vmcnt(37)
	v_mul_f32_e32 v187, v181, v221
	s_waitcnt vmcnt(34)
	v_fmac_f32_e32 v187, v182, v224
	v_add_f32_e32 v37, v37, v187
	s_waitcnt lgkmcnt(0)
	v_mul_f32_e32 v187, v183, v223
	v_fmac_f32_e32 v187, v184, v222
	v_add_f32_e32 v37, v37, v187
	ds_read2_b64 v[187:190], v116 offset0:99 offset1:100
	s_waitcnt vmcnt(32)
	v_mul_f32_e32 v191, v185, v226
	v_fmac_f32_e32 v191, v186, v225
	v_add_f32_e32 v37, v37, v191
	ds_read2_b64 v[191:194], v116 offset0:101 offset1:102
	s_waitcnt vmcnt(30) lgkmcnt(1)
	v_mul_f32_e32 v195, v187, v228
	v_fmac_f32_e32 v195, v188, v227
	v_add_f32_e32 v37, v37, v195
	s_waitcnt vmcnt(29)
	v_mul_f32_e32 v195, v189, v229
	s_waitcnt vmcnt(26)
	v_fmac_f32_e32 v195, v190, v232
	v_add_f32_e32 v37, v37, v195
	s_waitcnt lgkmcnt(0)
	;; [unrolled: 19-line block ×5, first 2 shown]
	v_mul_f32_e32 v116, v215, v254
	v_fmac_f32_e32 v116, v216, v253
	v_add_f32_e32 v37, v37, v116
	s_waitcnt vmcnt(0)
	v_mul_f32_e32 v116, v217, v42
	v_fmac_f32_e32 v116, v218, v41
	v_add_f32_e32 v37, v37, v116
	v_mul_f32_e32 v116, v132, v125
	v_fma_f32 v5, v131, v5, -v116
	v_mul_f32_e32 v116, v134, v124
	v_add_f32_e32 v5, 0, v5
	v_fma_f32 v4, v133, v4, -v116
	v_add_f32_e32 v4, v5, v4
	v_mul_f32_e32 v5, v136, v123
	v_fma_f32 v3, v135, v3, -v5
	v_add_f32_e32 v3, v4, v3
	v_mul_f32_e32 v4, v138, v122
	;; [unrolled: 3-line block ×42, first 2 shown]
	v_fma_f32 v4, v217, v41, -v4
	v_add_f32_e32 v3, v3, v4
	v_sub_f32_e32 v3, v117, v3
	v_sub_f32_e32 v4, v118, v37
	buffer_store_dword v3, off, s[0:3], 0 offset:96
	buffer_store_dword v4, off, s[0:3], 0 offset:100
	s_and_saveexec_b64 s[4:5], vcc
	s_cbranch_execz .LBB120_333
; %bb.332:
	buffer_load_dword v3, off, s[0:3], 0 offset:88
	buffer_load_dword v4, off, s[0:3], 0 offset:92
	v_mov_b32_e32 v5, 0
	buffer_store_dword v5, off, s[0:3], 0 offset:88
	buffer_store_dword v5, off, s[0:3], 0 offset:92
	s_waitcnt vmcnt(2)
	ds_write_b64 v115, v[3:4]
.LBB120_333:
	s_or_b64 exec, exec, s[4:5]
	s_waitcnt lgkmcnt(0)
	; wave barrier
	buffer_load_dword v5, off, s[0:3], 0 offset:100
	buffer_load_dword v6, off, s[0:3], 0 offset:108
	;; [unrolled: 1-line block ×32, first 2 shown]
	v_mov_b32_e32 v116, 0
	buffer_load_dword v35, off, s[0:3], 0 offset:216
	buffer_load_dword v36, off, s[0:3], 0 offset:220
	;; [unrolled: 1-line block ×16, first 2 shown]
	ds_read_b128 v[119:122], v116 offset:560
	ds_read_b128 v[123:126], v116 offset:576
	;; [unrolled: 1-line block ×7, first 2 shown]
	v_cmp_lt_u32_e32 vcc, 10, v0
	s_waitcnt vmcnt(47) lgkmcnt(6)
	v_mul_f32_e32 v3, v119, v5
	s_waitcnt vmcnt(46)
	v_mul_f32_e32 v4, v121, v6
	s_waitcnt vmcnt(45) lgkmcnt(5)
	v_mul_f32_e32 v147, v123, v7
	s_waitcnt vmcnt(44)
	v_mul_f32_e32 v148, v125, v8
	;; [unrolled: 4-line block ×6, first 2 shown]
	s_waitcnt vmcnt(35)
	v_fmac_f32_e32 v147, v124, v17
	s_waitcnt vmcnt(34)
	v_fmac_f32_e32 v4, v122, v18
	;; [unrolled: 2-line block ×3, first 2 shown]
	v_add_f32_e32 v3, 0, v3
	v_add_f32_e32 v3, v3, v4
	;; [unrolled: 1-line block ×3, first 2 shown]
	s_waitcnt vmcnt(29)
	v_fmac_f32_e32 v148, v126, v23
	v_fmac_f32_e32 v149, v128, v22
	v_add_f32_e32 v3, v3, v148
	v_fmac_f32_e32 v150, v130, v21
	v_add_f32_e32 v3, v3, v149
	v_add_f32_e32 v3, v3, v150
	ds_read_b128 v[147:150], v116 offset:672
	buffer_load_dword v215, off, s[0:3], 0 offset:280
	buffer_load_dword v216, off, s[0:3], 0 offset:284
	;; [unrolled: 1-line block ×10, first 2 shown]
	v_fmac_f32_e32 v151, v132, v20
	s_waitcnt vmcnt(35)
	v_fmac_f32_e32 v152, v134, v27
	v_add_f32_e32 v3, v3, v151
	buffer_load_dword v225, off, s[0:3], 0 offset:320
	buffer_load_dword v226, off, s[0:3], 0 offset:324
	;; [unrolled: 1-line block ×6, first 2 shown]
	v_fmac_f32_e32 v153, v136, v26
	v_add_f32_e32 v3, v3, v152
	v_fmac_f32_e32 v154, v138, v25
	v_add_f32_e32 v3, v3, v153
	v_add_f32_e32 v3, v3, v154
	ds_read_b128 v[151:154], v116 offset:688
	buffer_load_dword v231, off, s[0:3], 0 offset:344
	buffer_load_dword v232, off, s[0:3], 0 offset:348
	v_fmac_f32_e32 v155, v140, v24
	s_waitcnt vmcnt(39)
	v_fmac_f32_e32 v156, v142, v31
	v_add_f32_e32 v3, v3, v155
	v_add_f32_e32 v3, v3, v156
	ds_read_b128 v[155:158], v116 offset:704
	buffer_load_dword v233, off, s[0:3], 0 offset:352
	buffer_load_dword v234, off, s[0:3], 0 offset:356
	;; [unrolled: 1-line block ×16, first 2 shown]
	ds_read_b128 v[159:162], v116 offset:720
	buffer_load_dword v249, off, s[0:3], 0 offset:416
	buffer_load_dword v250, off, s[0:3], 0 offset:420
	;; [unrolled: 1-line block ×6, first 2 shown]
	v_mul_f32_e32 v5, v120, v5
	v_fma_f32 v5, v119, v19, -v5
	v_mul_f32_e32 v6, v122, v6
	v_add_f32_e32 v5, 0, v5
	v_fma_f32 v6, v121, v18, -v6
	v_add_f32_e32 v5, v5, v6
	v_mul_f32_e32 v6, v124, v7
	ds_read_b128 v[163:166], v116 offset:736
	buffer_load_dword v255, off, s[0:3], 0 offset:444
	buffer_load_dword v43, off, s[0:3], 0 offset:448
	;; [unrolled: 1-line block ×4, first 2 shown]
	v_fma_f32 v6, v123, v17, -v6
	v_add_f32_e32 v5, v5, v6
	v_mul_f32_e32 v6, v126, v8
	v_fma_f32 v6, v125, v23, -v6
	v_add_f32_e32 v5, v5, v6
	v_mul_f32_e32 v6, v128, v9
	;; [unrolled: 3-line block ×8, first 2 shown]
	s_waitcnt vmcnt(62) lgkmcnt(5)
	v_mul_f32_e32 v4, v143, v32
	v_fma_f32 v6, v139, v24, -v6
	v_fmac_f32_e32 v4, v144, v30
	v_add_f32_e32 v5, v5, v6
	v_mul_f32_e32 v6, v142, v16
	v_add_f32_e32 v3, v3, v4
	v_mul_f32_e32 v4, v145, v33
	v_fma_f32 v6, v141, v31, -v6
	v_fmac_f32_e32 v4, v146, v29
	v_add_f32_e32 v5, v5, v6
	v_mul_f32_e32 v6, v144, v32
	v_add_f32_e32 v3, v3, v4
	s_waitcnt lgkmcnt(4)
	v_mul_f32_e32 v4, v147, v34
	v_fma_f32 v6, v143, v30, -v6
	v_fmac_f32_e32 v4, v148, v28
	v_add_f32_e32 v5, v5, v6
	v_mul_f32_e32 v6, v146, v33
	v_add_f32_e32 v3, v3, v4
	s_waitcnt vmcnt(58)
	v_mul_f32_e32 v4, v149, v36
	v_fma_f32 v6, v145, v29, -v6
	v_fmac_f32_e32 v4, v150, v35
	v_add_f32_e32 v5, v5, v6
	v_mul_f32_e32 v6, v148, v34
	v_add_f32_e32 v3, v3, v4
	s_waitcnt vmcnt(56) lgkmcnt(3)
	v_mul_f32_e32 v4, v151, v38
	v_fma_f32 v6, v147, v28, -v6
	v_fmac_f32_e32 v4, v152, v37
	v_add_f32_e32 v5, v5, v6
	v_mul_f32_e32 v6, v150, v36
	v_add_f32_e32 v3, v3, v4
	s_waitcnt vmcnt(54)
	v_mul_f32_e32 v4, v153, v40
	v_fma_f32 v6, v149, v35, -v6
	v_fmac_f32_e32 v4, v154, v39
	v_add_f32_e32 v5, v5, v6
	v_mul_f32_e32 v6, v152, v38
	v_add_f32_e32 v3, v3, v4
	s_waitcnt vmcnt(52) lgkmcnt(2)
	;; [unrolled: 14-line block ×3, first 2 shown]
	v_mul_f32_e32 v4, v159, v210
	v_fma_f32 v6, v155, v41, -v6
	v_fmac_f32_e32 v4, v160, v209
	v_add_f32_e32 v5, v5, v6
	v_mul_f32_e32 v6, v158, v208
	v_add_f32_e32 v3, v3, v4
	s_waitcnt vmcnt(46)
	v_mul_f32_e32 v4, v161, v212
	v_fma_f32 v6, v157, v207, -v6
	v_fmac_f32_e32 v4, v162, v211
	ds_read_b128 v[167:170], v116 offset:752
	ds_read_b128 v[171:174], v116 offset:768
	v_add_f32_e32 v5, v5, v6
	v_mul_f32_e32 v6, v160, v210
	v_add_f32_e32 v3, v3, v4
	s_waitcnt vmcnt(44) lgkmcnt(2)
	v_mul_f32_e32 v4, v163, v214
	v_fma_f32 v6, v159, v209, -v6
	v_fmac_f32_e32 v4, v164, v213
	v_add_f32_e32 v5, v5, v6
	v_mul_f32_e32 v6, v162, v212
	v_add_f32_e32 v3, v3, v4
	s_waitcnt vmcnt(42)
	v_mul_f32_e32 v4, v165, v216
	v_fma_f32 v6, v161, v211, -v6
	v_fmac_f32_e32 v4, v166, v215
	v_add_f32_e32 v5, v5, v6
	v_mul_f32_e32 v6, v164, v214
	v_add_f32_e32 v3, v3, v4
	s_waitcnt vmcnt(40) lgkmcnt(1)
	v_mul_f32_e32 v4, v167, v218
	v_fma_f32 v6, v163, v213, -v6
	v_fmac_f32_e32 v4, v168, v217
	v_add_f32_e32 v5, v5, v6
	v_mul_f32_e32 v6, v166, v216
	v_add_f32_e32 v3, v3, v4
	s_waitcnt vmcnt(39)
	v_mul_f32_e32 v4, v169, v219
	v_fma_f32 v6, v165, v215, -v6
	s_waitcnt vmcnt(36)
	v_fmac_f32_e32 v4, v170, v222
	ds_read_b128 v[175:178], v116 offset:784
	ds_read_b128 v[179:182], v116 offset:800
	v_add_f32_e32 v5, v5, v6
	v_mul_f32_e32 v6, v168, v218
	v_add_f32_e32 v3, v3, v4
	s_waitcnt lgkmcnt(2)
	v_mul_f32_e32 v4, v171, v221
	v_fma_f32 v6, v167, v217, -v6
	v_fmac_f32_e32 v4, v172, v220
	v_add_f32_e32 v5, v5, v6
	v_mul_f32_e32 v6, v170, v219
	v_add_f32_e32 v3, v3, v4
	s_waitcnt vmcnt(34)
	v_mul_f32_e32 v4, v173, v224
	v_fma_f32 v6, v169, v222, -v6
	v_fmac_f32_e32 v4, v174, v223
	v_add_f32_e32 v5, v5, v6
	v_mul_f32_e32 v6, v172, v221
	v_add_f32_e32 v3, v3, v4
	s_waitcnt vmcnt(32) lgkmcnt(1)
	v_mul_f32_e32 v4, v175, v226
	v_fma_f32 v6, v171, v220, -v6
	v_fmac_f32_e32 v4, v176, v225
	v_add_f32_e32 v5, v5, v6
	v_mul_f32_e32 v6, v174, v224
	v_add_f32_e32 v3, v3, v4
	s_waitcnt vmcnt(31)
	v_mul_f32_e32 v4, v177, v227
	v_fma_f32 v6, v173, v223, -v6
	s_waitcnt vmcnt(28)
	v_fmac_f32_e32 v4, v178, v230
	ds_read_b128 v[183:186], v116 offset:816
	ds_read_b128 v[187:190], v116 offset:832
	v_add_f32_e32 v5, v5, v6
	v_mul_f32_e32 v6, v176, v226
	v_add_f32_e32 v3, v3, v4
	s_waitcnt lgkmcnt(2)
	;; [unrolled: 31-line block ×4, first 2 shown]
	v_mul_f32_e32 v4, v195, v245
	v_fma_f32 v6, v191, v241, -v6
	v_fmac_f32_e32 v4, v196, v244
	v_add_f32_e32 v5, v5, v6
	v_mul_f32_e32 v6, v194, v243
	v_add_f32_e32 v3, v3, v4
	s_waitcnt vmcnt(10)
	v_mul_f32_e32 v4, v197, v248
	v_fma_f32 v6, v193, v246, -v6
	v_fmac_f32_e32 v4, v198, v247
	v_add_f32_e32 v5, v5, v6
	v_mul_f32_e32 v6, v196, v245
	v_add_f32_e32 v3, v3, v4
	s_waitcnt vmcnt(8) lgkmcnt(1)
	v_mul_f32_e32 v4, v199, v250
	v_fma_f32 v6, v195, v244, -v6
	v_fmac_f32_e32 v4, v200, v249
	v_add_f32_e32 v5, v5, v6
	v_mul_f32_e32 v6, v198, v248
	v_add_f32_e32 v3, v3, v4
	s_waitcnt vmcnt(7)
	v_mul_f32_e32 v4, v201, v251
	v_fma_f32 v6, v197, v247, -v6
	s_waitcnt vmcnt(4)
	v_fmac_f32_e32 v4, v202, v254
	v_add_f32_e32 v5, v5, v6
	v_mul_f32_e32 v6, v200, v250
	v_add_f32_e32 v46, v3, v4
	ds_read_b64 v[3:4], v116 offset:912
	v_fma_f32 v6, v199, v249, -v6
	s_waitcnt lgkmcnt(1)
	v_mul_f32_e32 v47, v203, v253
	v_add_f32_e32 v5, v5, v6
	v_mul_f32_e32 v6, v202, v251
	v_fmac_f32_e32 v47, v204, v252
	v_fma_f32 v6, v201, v254, -v6
	v_add_f32_e32 v46, v46, v47
	s_waitcnt vmcnt(3)
	v_mul_f32_e32 v47, v205, v255
	v_add_f32_e32 v5, v5, v6
	v_mul_f32_e32 v6, v204, v253
	s_waitcnt vmcnt(0)
	v_fmac_f32_e32 v47, v206, v45
	v_fma_f32 v6, v203, v252, -v6
	v_add_f32_e32 v46, v46, v47
	s_waitcnt lgkmcnt(0)
	v_mul_f32_e32 v47, v3, v44
	v_add_f32_e32 v5, v5, v6
	v_mul_f32_e32 v6, v206, v255
	v_fmac_f32_e32 v47, v4, v43
	v_fma_f32 v6, v205, v45, -v6
	v_mul_f32_e32 v4, v4, v44
	v_add_f32_e32 v5, v5, v6
	v_fma_f32 v3, v3, v43, -v4
	v_add_f32_e32 v3, v5, v3
	v_add_f32_e32 v46, v46, v47
	v_sub_f32_e32 v3, v117, v3
	v_sub_f32_e32 v4, v118, v46
	buffer_store_dword v3, off, s[0:3], 0 offset:88
	buffer_store_dword v4, off, s[0:3], 0 offset:92
	s_and_saveexec_b64 s[4:5], vcc
	s_cbranch_execz .LBB120_335
; %bb.334:
	buffer_load_dword v3, off, s[0:3], 0 offset:80
	buffer_load_dword v4, off, s[0:3], 0 offset:84
	s_waitcnt vmcnt(0)
	ds_write_b64 v115, v[3:4]
	buffer_store_dword v116, off, s[0:3], 0 offset:80
	buffer_store_dword v116, off, s[0:3], 0 offset:84
.LBB120_335:
	s_or_b64 exec, exec, s[4:5]
	s_waitcnt lgkmcnt(0)
	; wave barrier
	buffer_load_dword v125, off, s[0:3], 0 offset:92
	buffer_load_dword v124, off, s[0:3], 0 offset:100
	;; [unrolled: 1-line block ×33, first 2 shown]
	ds_read2_b64 v[126:129], v116 offset0:69 offset1:70
	ds_read2_b64 v[130:133], v116 offset0:71 offset1:72
	;; [unrolled: 1-line block ×6, first 2 shown]
	buffer_load_dword v27, off, s[0:3], 0 offset:208
	buffer_load_dword v28, off, s[0:3], 0 offset:220
	;; [unrolled: 1-line block ×7, first 2 shown]
	ds_read2_b64 v[150:153], v116 offset0:81 offset1:82
	ds_read2_b64 v[154:157], v116 offset0:83 offset1:84
	buffer_load_dword v34, off, s[0:3], 0 offset:240
	buffer_load_dword v35, off, s[0:3], 0 offset:244
	;; [unrolled: 1-line block ×8, first 2 shown]
	v_cmp_lt_u32_e32 vcc, 9, v0
	s_waitcnt vmcnt(47) lgkmcnt(7)
	v_mul_f32_e32 v42, v126, v125
	s_waitcnt vmcnt(46)
	v_mul_f32_e32 v43, v128, v124
	s_waitcnt vmcnt(45) lgkmcnt(6)
	v_mul_f32_e32 v44, v130, v123
	s_waitcnt vmcnt(44)
	v_mul_f32_e32 v45, v132, v122
	s_waitcnt vmcnt(43) lgkmcnt(5)
	v_mul_f32_e32 v46, v134, v121
	s_waitcnt vmcnt(42)
	v_mul_f32_e32 v47, v136, v120
	s_waitcnt vmcnt(41) lgkmcnt(4)
	v_mul_f32_e32 v48, v138, v119
	s_waitcnt vmcnt(40)
	v_mul_f32_e32 v158, v140, v3
	s_waitcnt vmcnt(39) lgkmcnt(3)
	v_mul_f32_e32 v159, v142, v4
	s_waitcnt vmcnt(38)
	v_mul_f32_e32 v160, v144, v5
	s_waitcnt vmcnt(37) lgkmcnt(2)
	v_mul_f32_e32 v161, v146, v6
	s_waitcnt vmcnt(36)
	v_mul_f32_e32 v162, v148, v7
	s_waitcnt vmcnt(35)
	v_fmac_f32_e32 v44, v131, v8
	s_waitcnt vmcnt(34)
	v_fmac_f32_e32 v43, v129, v9
	;; [unrolled: 2-line block ×3, first 2 shown]
	v_add_f32_e32 v42, 0, v42
	v_add_f32_e32 v42, v42, v43
	;; [unrolled: 1-line block ×3, first 2 shown]
	s_waitcnt vmcnt(29)
	v_fmac_f32_e32 v45, v133, v14
	v_fmac_f32_e32 v46, v135, v13
	v_add_f32_e32 v42, v42, v45
	v_fmac_f32_e32 v47, v137, v12
	v_add_f32_e32 v42, v42, v46
	;; [unrolled: 2-line block ×3, first 2 shown]
	s_waitcnt vmcnt(25)
	v_fmac_f32_e32 v158, v141, v18
	v_add_f32_e32 v42, v42, v48
	v_fmac_f32_e32 v159, v143, v17
	v_add_f32_e32 v42, v42, v158
	;; [unrolled: 2-line block ×4, first 2 shown]
	s_waitcnt vmcnt(21)
	v_fmac_f32_e32 v162, v149, v22
	v_add_f32_e32 v42, v42, v161
	s_waitcnt vmcnt(20) lgkmcnt(1)
	v_mul_f32_e32 v43, v150, v23
	v_add_f32_e32 v42, v42, v162
	v_fmac_f32_e32 v43, v151, v21
	v_add_f32_e32 v42, v42, v43
	buffer_load_dword v43, off, s[0:3], 0 offset:272
	buffer_load_dword v44, off, s[0:3], 0 offset:276
	;; [unrolled: 1-line block ×8, first 2 shown]
	s_waitcnt vmcnt(27)
	v_mul_f32_e32 v45, v152, v24
	v_fmac_f32_e32 v45, v153, v20
	v_add_f32_e32 v42, v42, v45
	s_waitcnt vmcnt(26) lgkmcnt(0)
	v_mul_f32_e32 v45, v154, v25
	v_fmac_f32_e32 v45, v155, v19
	v_add_f32_e32 v42, v42, v45
	buffer_load_dword v45, off, s[0:3], 0 offset:304
	buffer_load_dword v221, off, s[0:3], 0 offset:308
	ds_read2_b64 v[158:161], v116 offset0:85 offset1:86
	buffer_load_dword v222, off, s[0:3], 0 offset:312
	buffer_load_dword v223, off, s[0:3], 0 offset:316
	;; [unrolled: 1-line block ×6, first 2 shown]
	s_waitcnt vmcnt(33)
	v_mul_f32_e32 v162, v156, v26
	s_waitcnt vmcnt(30)
	v_fmac_f32_e32 v162, v157, v27
	v_add_f32_e32 v42, v42, v162
	ds_read2_b64 v[162:165], v116 offset0:87 offset1:88
	buffer_load_dword v228, off, s[0:3], 0 offset:336
	buffer_load_dword v229, off, s[0:3], 0 offset:340
	;; [unrolled: 1-line block ×10, first 2 shown]
	s_waitcnt vmcnt(39) lgkmcnt(1)
	v_mul_f32_e32 v166, v158, v28
	buffer_load_dword v238, off, s[0:3], 0 offset:376
	buffer_load_dword v239, off, s[0:3], 0 offset:380
	;; [unrolled: 1-line block ×6, first 2 shown]
	s_waitcnt vmcnt(40)
	v_fmac_f32_e32 v166, v159, v33
	v_add_f32_e32 v42, v42, v166
	v_mul_f32_e32 v166, v160, v30
	v_fmac_f32_e32 v166, v161, v29
	v_add_f32_e32 v42, v42, v166
	s_waitcnt lgkmcnt(0)
	v_mul_f32_e32 v166, v162, v32
	v_fmac_f32_e32 v166, v163, v31
	v_add_f32_e32 v42, v42, v166
	ds_read2_b64 v[166:169], v116 offset0:89 offset1:90
	buffer_load_dword v244, off, s[0:3], 0 offset:400
	buffer_load_dword v245, off, s[0:3], 0 offset:404
	s_waitcnt vmcnt(40)
	v_mul_f32_e32 v170, v164, v35
	v_fmac_f32_e32 v170, v165, v34
	v_add_f32_e32 v42, v42, v170
	ds_read2_b64 v[170:173], v116 offset0:91 offset1:92
	buffer_load_dword v246, off, s[0:3], 0 offset:408
	buffer_load_dword v247, off, s[0:3], 0 offset:412
	buffer_load_dword v248, off, s[0:3], 0 offset:420
	buffer_load_dword v249, off, s[0:3], 0 offset:424
	buffer_load_dword v250, off, s[0:3], 0 offset:428
	buffer_load_dword v251, off, s[0:3], 0 offset:416
	buffer_load_dword v252, off, s[0:3], 0 offset:432
	buffer_load_dword v253, off, s[0:3], 0 offset:436
	buffer_load_dword v254, off, s[0:3], 0 offset:444
	buffer_load_dword v255, off, s[0:3], 0 offset:448
	buffer_load_dword v49, off, s[0:3], 0 offset:452
	buffer_load_dword v50, off, s[0:3], 0 offset:440
	s_waitcnt vmcnt(50) lgkmcnt(1)
	v_mul_f32_e32 v174, v166, v37
	v_fmac_f32_e32 v174, v167, v36
	v_add_f32_e32 v42, v42, v174
	s_waitcnt vmcnt(48)
	v_mul_f32_e32 v174, v168, v39
	v_fmac_f32_e32 v174, v169, v38
	v_add_f32_e32 v42, v42, v174
	s_waitcnt vmcnt(46) lgkmcnt(0)
	v_mul_f32_e32 v174, v170, v41
	v_fmac_f32_e32 v174, v171, v40
	v_add_f32_e32 v42, v42, v174
	ds_read2_b64 v[174:177], v116 offset0:93 offset1:94
	v_mul_f32_e32 v3, v141, v3
	v_fma_f32 v3, v140, v18, -v3
	v_mul_f32_e32 v4, v143, v4
	v_fma_f32 v4, v142, v17, -v4
	s_waitcnt vmcnt(44)
	v_mul_f32_e32 v178, v172, v44
	v_fmac_f32_e32 v178, v173, v43
	v_add_f32_e32 v42, v42, v178
	ds_read2_b64 v[178:181], v116 offset0:95 offset1:96
	s_waitcnt vmcnt(42) lgkmcnt(1)
	v_mul_f32_e32 v182, v174, v47
	v_fmac_f32_e32 v182, v175, v46
	v_add_f32_e32 v42, v42, v182
	s_waitcnt vmcnt(41)
	v_mul_f32_e32 v182, v176, v48
	s_waitcnt vmcnt(38)
	v_fmac_f32_e32 v182, v177, v220
	v_add_f32_e32 v42, v42, v182
	s_waitcnt lgkmcnt(0)
	v_mul_f32_e32 v182, v178, v219
	v_fmac_f32_e32 v182, v179, v218
	v_add_f32_e32 v42, v42, v182
	ds_read2_b64 v[182:185], v116 offset0:97 offset1:98
	s_waitcnt vmcnt(36)
	v_mul_f32_e32 v186, v180, v221
	v_fmac_f32_e32 v186, v181, v45
	v_add_f32_e32 v42, v42, v186
	ds_read2_b64 v[186:189], v116 offset0:99 offset1:100
	s_waitcnt vmcnt(34) lgkmcnt(1)
	v_mul_f32_e32 v190, v182, v223
	v_fmac_f32_e32 v190, v183, v222
	v_add_f32_e32 v42, v42, v190
	s_waitcnt vmcnt(33)
	v_mul_f32_e32 v190, v184, v224
	s_waitcnt vmcnt(30)
	v_fmac_f32_e32 v190, v185, v227
	v_add_f32_e32 v42, v42, v190
	s_waitcnt lgkmcnt(0)
	v_mul_f32_e32 v190, v186, v226
	v_fmac_f32_e32 v190, v187, v225
	v_add_f32_e32 v42, v42, v190
	ds_read2_b64 v[190:193], v116 offset0:101 offset1:102
	;; [unrolled: 19-line block ×4, first 2 shown]
	s_waitcnt vmcnt(12)
	v_mul_f32_e32 v210, v204, v245
	v_fmac_f32_e32 v210, v205, v244
	v_add_f32_e32 v42, v42, v210
	ds_read2_b64 v[210:213], v116 offset0:111 offset1:112
	s_waitcnt vmcnt(10) lgkmcnt(1)
	v_mul_f32_e32 v214, v206, v247
	v_fmac_f32_e32 v214, v207, v246
	v_add_f32_e32 v42, v42, v214
	s_waitcnt vmcnt(9)
	v_mul_f32_e32 v214, v208, v248
	s_waitcnt vmcnt(6)
	v_fmac_f32_e32 v214, v209, v251
	v_add_f32_e32 v42, v42, v214
	ds_read2_b64 v[214:217], v116 offset0:113 offset1:114
	s_waitcnt lgkmcnt(1)
	v_mul_f32_e32 v51, v210, v250
	v_fmac_f32_e32 v51, v211, v249
	v_add_f32_e32 v42, v42, v51
	s_waitcnt vmcnt(4)
	v_mul_f32_e32 v51, v212, v253
	v_fmac_f32_e32 v51, v213, v252
	v_add_f32_e32 v42, v42, v51
	s_waitcnt vmcnt(3) lgkmcnt(0)
	v_mul_f32_e32 v51, v214, v254
	s_waitcnt vmcnt(0)
	v_fmac_f32_e32 v51, v215, v50
	v_add_f32_e32 v42, v42, v51
	v_mul_f32_e32 v51, v216, v49
	v_fmac_f32_e32 v51, v217, v255
	v_add_f32_e32 v42, v42, v51
	v_mul_f32_e32 v51, v127, v125
	v_fma_f32 v10, v126, v10, -v51
	v_mul_f32_e32 v51, v129, v124
	v_add_f32_e32 v10, 0, v10
	v_fma_f32 v9, v128, v9, -v51
	v_add_f32_e32 v9, v10, v9
	v_mul_f32_e32 v10, v131, v123
	v_fma_f32 v8, v130, v8, -v10
	v_add_f32_e32 v8, v9, v8
	v_mul_f32_e32 v9, v133, v122
	;; [unrolled: 3-line block ×5, first 2 shown]
	v_fma_f32 v9, v138, v11, -v9
	v_add_f32_e32 v8, v8, v9
	v_add_f32_e32 v3, v8, v3
	;; [unrolled: 1-line block ×3, first 2 shown]
	v_mul_f32_e32 v4, v145, v5
	v_fma_f32 v4, v144, v16, -v4
	v_add_f32_e32 v3, v3, v4
	v_mul_f32_e32 v4, v147, v6
	v_fma_f32 v4, v146, v15, -v4
	v_add_f32_e32 v3, v3, v4
	;; [unrolled: 3-line block ×37, first 2 shown]
	v_sub_f32_e32 v3, v117, v3
	v_sub_f32_e32 v4, v118, v42
	buffer_store_dword v3, off, s[0:3], 0 offset:80
	buffer_store_dword v4, off, s[0:3], 0 offset:84
	s_and_saveexec_b64 s[4:5], vcc
	s_cbranch_execz .LBB120_337
; %bb.336:
	buffer_load_dword v3, off, s[0:3], 0 offset:72
	buffer_load_dword v4, off, s[0:3], 0 offset:76
	v_mov_b32_e32 v5, 0
	buffer_store_dword v5, off, s[0:3], 0 offset:72
	buffer_store_dword v5, off, s[0:3], 0 offset:76
	s_waitcnt vmcnt(2)
	ds_write_b64 v115, v[3:4]
.LBB120_337:
	s_or_b64 exec, exec, s[4:5]
	s_waitcnt lgkmcnt(0)
	; wave barrier
	buffer_load_dword v123, off, s[0:3], 0 offset:84
	buffer_load_dword v122, off, s[0:3], 0 offset:92
	buffer_load_dword v121, off, s[0:3], 0 offset:100
	buffer_load_dword v120, off, s[0:3], 0 offset:108
	buffer_load_dword v119, off, s[0:3], 0 offset:116
	buffer_load_dword v118, off, s[0:3], 0 offset:124
	buffer_load_dword v117, off, s[0:3], 0 offset:132
	buffer_load_dword v5, off, s[0:3], 0 offset:140
	buffer_load_dword v6, off, s[0:3], 0 offset:148
	buffer_load_dword v7, off, s[0:3], 0 offset:156
	buffer_load_dword v8, off, s[0:3], 0 offset:164
	buffer_load_dword v9, off, s[0:3], 0 offset:172
	buffer_load_dword v10, off, s[0:3], 0 offset:96
	buffer_load_dword v11, off, s[0:3], 0 offset:88
	buffer_load_dword v12, off, s[0:3], 0 offset:80
	buffer_load_dword v13, off, s[0:3], 0 offset:128
	buffer_load_dword v14, off, s[0:3], 0 offset:120
	buffer_load_dword v15, off, s[0:3], 0 offset:112
	buffer_load_dword v16, off, s[0:3], 0 offset:104
	buffer_load_dword v17, off, s[0:3], 0 offset:160
	buffer_load_dword v18, off, s[0:3], 0 offset:152
	buffer_load_dword v19, off, s[0:3], 0 offset:144
	buffer_load_dword v20, off, s[0:3], 0 offset:136
	buffer_load_dword v21, off, s[0:3], 0 offset:192
	buffer_load_dword v22, off, s[0:3], 0 offset:184
	buffer_load_dword v23, off, s[0:3], 0 offset:176
	buffer_load_dword v24, off, s[0:3], 0 offset:168
	buffer_load_dword v25, off, s[0:3], 0 offset:180
	buffer_load_dword v26, off, s[0:3], 0 offset:188
	buffer_load_dword v27, off, s[0:3], 0 offset:196
	buffer_load_dword v28, off, s[0:3], 0 offset:204
	buffer_load_dword v29, off, s[0:3], 0 offset:208
	buffer_load_dword v30, off, s[0:3], 0 offset:212
	buffer_load_dword v31, off, s[0:3], 0 offset:216
	buffer_load_dword v32, off, s[0:3], 0 offset:220
	buffer_load_dword v33, off, s[0:3], 0 offset:224
	buffer_load_dword v34, off, s[0:3], 0 offset:228
	buffer_load_dword v35, off, s[0:3], 0 offset:200
	buffer_load_dword v124, off, s[0:3], 0 offset:72
	buffer_load_dword v125, off, s[0:3], 0 offset:76
	v_mov_b32_e32 v116, 0
	buffer_load_dword v36, off, s[0:3], 0 offset:232
	buffer_load_dword v37, off, s[0:3], 0 offset:236
	;; [unrolled: 1-line block ×8, first 2 shown]
	ds_read_b128 v[126:129], v116 offset:544
	ds_read_b128 v[130:133], v116 offset:560
	;; [unrolled: 1-line block ×7, first 2 shown]
	v_cmp_lt_u32_e32 vcc, 8, v0
	s_waitcnt vmcnt(47) lgkmcnt(6)
	v_mul_f32_e32 v3, v126, v123
	s_waitcnt vmcnt(46)
	v_mul_f32_e32 v4, v128, v122
	s_waitcnt vmcnt(45) lgkmcnt(5)
	v_mul_f32_e32 v44, v130, v121
	s_waitcnt vmcnt(44)
	v_mul_f32_e32 v45, v132, v120
	;; [unrolled: 4-line block ×6, first 2 shown]
	s_waitcnt vmcnt(35)
	v_fmac_f32_e32 v44, v131, v10
	s_waitcnt vmcnt(34)
	v_fmac_f32_e32 v4, v129, v11
	;; [unrolled: 2-line block ×3, first 2 shown]
	v_add_f32_e32 v3, 0, v3
	v_add_f32_e32 v3, v3, v4
	;; [unrolled: 1-line block ×3, first 2 shown]
	s_waitcnt vmcnt(29)
	v_fmac_f32_e32 v45, v133, v16
	v_fmac_f32_e32 v46, v135, v15
	v_add_f32_e32 v3, v3, v45
	v_fmac_f32_e32 v47, v137, v14
	v_add_f32_e32 v3, v3, v46
	;; [unrolled: 2-line block ×3, first 2 shown]
	s_waitcnt vmcnt(25)
	v_fmac_f32_e32 v49, v141, v20
	v_add_f32_e32 v3, v3, v48
	v_fmac_f32_e32 v50, v143, v19
	v_add_f32_e32 v3, v3, v49
	;; [unrolled: 2-line block ×4, first 2 shown]
	s_waitcnt vmcnt(21)
	v_fmac_f32_e32 v154, v149, v24
	v_add_f32_e32 v3, v3, v52
	v_add_f32_e32 v3, v3, v154
	ds_read_b128 v[154:157], v116 offset:656
	buffer_load_dword v44, off, s[0:3], 0 offset:264
	buffer_load_dword v45, off, s[0:3], 0 offset:268
	;; [unrolled: 1-line block ×10, first 2 shown]
	ds_read_b128 v[158:161], v116 offset:672
	buffer_load_dword v219, off, s[0:3], 0 offset:304
	buffer_load_dword v220, off, s[0:3], 0 offset:308
	;; [unrolled: 1-line block ×6, first 2 shown]
	ds_read_b128 v[162:165], v116 offset:688
	buffer_load_dword v225, off, s[0:3], 0 offset:328
	buffer_load_dword v226, off, s[0:3], 0 offset:332
	;; [unrolled: 1-line block ×10, first 2 shown]
	ds_read_b128 v[166:169], v116 offset:704
	buffer_load_dword v235, off, s[0:3], 0 offset:368
	buffer_load_dword v236, off, s[0:3], 0 offset:372
	;; [unrolled: 1-line block ×6, first 2 shown]
	ds_read_b128 v[170:173], v116 offset:720
	buffer_load_dword v241, off, s[0:3], 0 offset:392
	buffer_load_dword v242, off, s[0:3], 0 offset:396
	;; [unrolled: 1-line block ×16, first 2 shown]
	s_waitcnt vmcnt(62) lgkmcnt(5)
	v_mul_f32_e32 v4, v150, v25
	v_fmac_f32_e32 v4, v151, v23
	v_add_f32_e32 v3, v3, v4
	v_mul_f32_e32 v4, v152, v26
	v_fmac_f32_e32 v4, v153, v22
	v_add_f32_e32 v3, v3, v4
	s_waitcnt lgkmcnt(4)
	v_mul_f32_e32 v4, v154, v27
	v_fmac_f32_e32 v4, v155, v21
	v_add_f32_e32 v3, v3, v4
	v_mul_f32_e32 v4, v156, v28
	s_waitcnt vmcnt(58)
	v_fmac_f32_e32 v4, v157, v35
	v_add_f32_e32 v3, v3, v4
	s_waitcnt lgkmcnt(3)
	v_mul_f32_e32 v4, v158, v30
	v_fmac_f32_e32 v4, v159, v29
	v_add_f32_e32 v3, v3, v4
	v_mul_f32_e32 v4, v160, v32
	v_fmac_f32_e32 v4, v161, v31
	v_add_f32_e32 v3, v3, v4
	s_waitcnt lgkmcnt(2)
	v_mul_f32_e32 v4, v162, v34
	v_fmac_f32_e32 v4, v163, v33
	v_add_f32_e32 v3, v3, v4
	s_waitcnt vmcnt(54)
	v_mul_f32_e32 v4, v164, v37
	v_fmac_f32_e32 v4, v165, v36
	v_add_f32_e32 v3, v3, v4
	s_waitcnt vmcnt(52) lgkmcnt(1)
	v_mul_f32_e32 v4, v166, v39
	v_fmac_f32_e32 v4, v167, v38
	v_add_f32_e32 v3, v3, v4
	s_waitcnt vmcnt(50)
	v_mul_f32_e32 v4, v168, v41
	v_fmac_f32_e32 v4, v169, v40
	ds_read_b128 v[174:177], v116 offset:736
	ds_read_b128 v[178:181], v116 offset:752
	v_add_f32_e32 v3, v3, v4
	s_waitcnt vmcnt(48) lgkmcnt(2)
	v_mul_f32_e32 v4, v170, v43
	v_fmac_f32_e32 v4, v171, v42
	v_add_f32_e32 v3, v3, v4
	ds_read_b128 v[182:185], v116 offset:768
	ds_read_b128 v[186:189], v116 offset:784
	;; [unrolled: 1-line block ×9, first 2 shown]
	v_mul_f32_e32 v5, v141, v5
	v_fma_f32 v5, v140, v20, -v5
	v_mul_f32_e32 v6, v143, v6
	v_fma_f32 v6, v142, v19, -v6
	s_waitcnt vmcnt(46)
	v_mul_f32_e32 v4, v172, v45
	v_fmac_f32_e32 v4, v173, v44
	v_add_f32_e32 v3, v3, v4
	s_waitcnt vmcnt(44) lgkmcnt(10)
	v_mul_f32_e32 v4, v174, v47
	v_fmac_f32_e32 v4, v175, v46
	v_add_f32_e32 v3, v3, v4
	s_waitcnt vmcnt(43)
	v_mul_f32_e32 v4, v176, v48
	s_waitcnt vmcnt(40)
	v_fmac_f32_e32 v4, v177, v51
	v_add_f32_e32 v3, v3, v4
	s_waitcnt lgkmcnt(9)
	v_mul_f32_e32 v4, v178, v50
	v_fmac_f32_e32 v4, v179, v49
	v_add_f32_e32 v3, v3, v4
	s_waitcnt vmcnt(38)
	v_mul_f32_e32 v4, v180, v218
	v_fmac_f32_e32 v4, v181, v52
	v_add_f32_e32 v3, v3, v4
	s_waitcnt vmcnt(36) lgkmcnt(8)
	v_mul_f32_e32 v4, v182, v220
	v_fmac_f32_e32 v4, v183, v219
	v_add_f32_e32 v3, v3, v4
	s_waitcnt vmcnt(35)
	v_mul_f32_e32 v4, v184, v221
	s_waitcnt vmcnt(32)
	v_fmac_f32_e32 v4, v185, v224
	v_add_f32_e32 v3, v3, v4
	s_waitcnt lgkmcnt(7)
	v_mul_f32_e32 v4, v186, v223
	v_fmac_f32_e32 v4, v187, v222
	v_add_f32_e32 v3, v3, v4
	;; [unrolled: 17-line block ×5, first 2 shown]
	s_waitcnt vmcnt(6)
	v_mul_f32_e32 v4, v212, v250
	v_fmac_f32_e32 v4, v213, v249
	v_add_f32_e32 v54, v3, v4
	ds_read_b64 v[3:4], v116 offset:912
	s_waitcnt vmcnt(4) lgkmcnt(1)
	v_mul_f32_e32 v55, v214, v252
	v_fmac_f32_e32 v55, v215, v251
	v_add_f32_e32 v54, v54, v55
	s_waitcnt vmcnt(3)
	v_mul_f32_e32 v55, v216, v253
	s_waitcnt vmcnt(0)
	v_fmac_f32_e32 v55, v217, v53
	v_add_f32_e32 v54, v54, v55
	s_waitcnt lgkmcnt(0)
	v_mul_f32_e32 v55, v3, v255
	v_fmac_f32_e32 v55, v4, v254
	v_add_f32_e32 v54, v54, v55
	v_mul_f32_e32 v55, v127, v123
	v_fma_f32 v12, v126, v12, -v55
	v_mul_f32_e32 v55, v129, v122
	v_add_f32_e32 v12, 0, v12
	v_fma_f32 v11, v128, v11, -v55
	v_add_f32_e32 v11, v12, v11
	v_mul_f32_e32 v12, v131, v121
	v_fma_f32 v10, v130, v10, -v12
	v_add_f32_e32 v10, v11, v10
	v_mul_f32_e32 v11, v133, v120
	;; [unrolled: 3-line block ×5, first 2 shown]
	v_fma_f32 v11, v138, v13, -v11
	v_add_f32_e32 v10, v10, v11
	v_add_f32_e32 v5, v10, v5
	;; [unrolled: 1-line block ×3, first 2 shown]
	v_mul_f32_e32 v6, v145, v7
	v_fma_f32 v6, v144, v18, -v6
	v_add_f32_e32 v5, v5, v6
	v_mul_f32_e32 v6, v147, v8
	v_fma_f32 v6, v146, v17, -v6
	v_add_f32_e32 v5, v5, v6
	;; [unrolled: 3-line block ×36, first 2 shown]
	v_mul_f32_e32 v6, v217, v253
	v_fma_f32 v6, v216, v53, -v6
	v_mul_f32_e32 v4, v4, v255
	v_add_f32_e32 v5, v5, v6
	v_fma_f32 v3, v3, v254, -v4
	v_add_f32_e32 v3, v5, v3
	v_sub_f32_e32 v3, v124, v3
	v_sub_f32_e32 v4, v125, v54
	buffer_store_dword v3, off, s[0:3], 0 offset:72
	buffer_store_dword v4, off, s[0:3], 0 offset:76
	s_and_saveexec_b64 s[4:5], vcc
	s_cbranch_execz .LBB120_339
; %bb.338:
	buffer_load_dword v3, off, s[0:3], 0 offset:64
	buffer_load_dword v4, off, s[0:3], 0 offset:68
	s_waitcnt vmcnt(0)
	ds_write_b64 v115, v[3:4]
	buffer_store_dword v116, off, s[0:3], 0 offset:64
	buffer_store_dword v116, off, s[0:3], 0 offset:68
.LBB120_339:
	s_or_b64 exec, exec, s[4:5]
	s_waitcnt lgkmcnt(0)
	; wave barrier
	buffer_load_dword v123, off, s[0:3], 0 offset:76
	buffer_load_dword v122, off, s[0:3], 0 offset:84
	;; [unrolled: 1-line block ×40, first 2 shown]
	ds_read2_b64 v[154:157], v116 offset0:67 offset1:68
	ds_read2_b64 v[158:161], v116 offset0:69 offset1:70
	;; [unrolled: 1-line block ×7, first 2 shown]
	buffer_load_dword v6, off, s[0:3], 0 offset:224
	buffer_load_dword v7, off, s[0:3], 0 offset:228
	;; [unrolled: 1-line block ×8, first 2 shown]
	v_cmp_lt_u32_e32 vcc, 7, v0
	s_waitcnt vmcnt(47) lgkmcnt(6)
	v_mul_f32_e32 v14, v154, v123
	s_waitcnt vmcnt(46)
	v_mul_f32_e32 v15, v156, v122
	s_waitcnt vmcnt(45) lgkmcnt(5)
	v_mul_f32_e32 v16, v158, v121
	s_waitcnt vmcnt(44)
	v_mul_f32_e32 v17, v160, v120
	;; [unrolled: 4-line block ×6, first 2 shown]
	s_waitcnt vmcnt(35)
	v_fmac_f32_e32 v16, v159, v136
	s_waitcnt vmcnt(34)
	v_fmac_f32_e32 v15, v157, v139
	;; [unrolled: 2-line block ×3, first 2 shown]
	v_add_f32_e32 v14, 0, v14
	v_add_f32_e32 v14, v14, v15
	;; [unrolled: 1-line block ×3, first 2 shown]
	buffer_load_dword v15, off, s[0:3], 0 offset:256
	buffer_load_dword v16, off, s[0:3], 0 offset:260
	s_waitcnt vmcnt(31)
	v_fmac_f32_e32 v17, v161, v141
	v_fmac_f32_e32 v18, v163, v138
	v_add_f32_e32 v14, v14, v17
	v_fmac_f32_e32 v19, v165, v135
	v_add_f32_e32 v14, v14, v18
	;; [unrolled: 2-line block ×3, first 2 shown]
	s_waitcnt vmcnt(27)
	v_fmac_f32_e32 v21, v169, v137
	v_add_f32_e32 v14, v14, v20
	v_fmac_f32_e32 v22, v171, v134
	v_add_f32_e32 v14, v14, v21
	;; [unrolled: 2-line block ×4, first 2 shown]
	ds_read2_b64 v[182:185], v116 offset0:81 offset1:82
	s_waitcnt vmcnt(23)
	v_fmac_f32_e32 v25, v177, v149
	v_add_f32_e32 v14, v14, v24
	s_waitcnt vmcnt(22) lgkmcnt(1)
	v_mul_f32_e32 v17, v178, v148
	v_add_f32_e32 v14, v14, v25
	v_fmac_f32_e32 v17, v179, v145
	v_add_f32_e32 v14, v14, v17
	s_waitcnt vmcnt(21)
	v_mul_f32_e32 v17, v180, v146
	v_fmac_f32_e32 v17, v181, v143
	v_add_f32_e32 v14, v14, v17
	s_waitcnt vmcnt(20) lgkmcnt(0)
	v_mul_f32_e32 v17, v182, v144
	v_fmac_f32_e32 v17, v183, v140
	v_add_f32_e32 v14, v14, v17
	buffer_load_dword v17, off, s[0:3], 0 offset:264
	buffer_load_dword v18, off, s[0:3], 0 offset:268
	;; [unrolled: 1-line block ×6, first 2 shown]
	s_waitcnt vmcnt(25)
	v_mul_f32_e32 v23, v184, v147
	s_waitcnt vmcnt(18)
	v_fmac_f32_e32 v23, v185, v5
	ds_read2_b64 v[186:189], v116 offset0:83 offset1:84
	v_add_f32_e32 v14, v14, v23
	buffer_load_dword v23, off, s[0:3], 0 offset:288
	buffer_load_dword v24, off, s[0:3], 0 offset:292
	ds_read2_b64 v[190:193], v116 offset0:85 offset1:86
	buffer_load_dword v26, off, s[0:3], 0 offset:296
	buffer_load_dword v27, off, s[0:3], 0 offset:300
	;; [unrolled: 1-line block ×14, first 2 shown]
	s_waitcnt lgkmcnt(1)
	v_mul_f32_e32 v25, v186, v151
	v_fmac_f32_e32 v25, v187, v150
	v_add_f32_e32 v14, v14, v25
	v_mul_f32_e32 v25, v188, v153
	buffer_load_dword v40, off, s[0:3], 0 offset:352
	buffer_load_dword v41, off, s[0:3], 0 offset:356
	v_fmac_f32_e32 v25, v189, v152
	v_add_f32_e32 v14, v14, v25
	s_waitcnt lgkmcnt(0)
	v_mul_f32_e32 v25, v190, v4
	v_fmac_f32_e32 v25, v191, v3
	v_add_f32_e32 v14, v14, v25
	s_waitcnt vmcnt(32)
	v_mul_f32_e32 v25, v192, v7
	ds_read2_b64 v[194:197], v116 offset0:87 offset1:88
	v_fmac_f32_e32 v25, v193, v6
	v_add_f32_e32 v14, v14, v25
	buffer_load_dword v25, off, s[0:3], 0 offset:360
	buffer_load_dword v42, off, s[0:3], 0 offset:364
	;; [unrolled: 1-line block ×6, first 2 shown]
	ds_read2_b64 v[198:201], v116 offset0:89 offset1:90
	s_waitcnt vmcnt(36) lgkmcnt(1)
	v_mul_f32_e32 v47, v194, v9
	v_fmac_f32_e32 v47, v195, v8
	v_add_f32_e32 v14, v14, v47
	buffer_load_dword v47, off, s[0:3], 0 offset:384
	buffer_load_dword v48, off, s[0:3], 0 offset:388
	;; [unrolled: 1-line block ×8, first 2 shown]
	s_waitcnt vmcnt(42)
	v_mul_f32_e32 v49, v196, v11
	v_fmac_f32_e32 v49, v197, v10
	v_add_f32_e32 v14, v14, v49
	s_waitcnt vmcnt(40) lgkmcnt(0)
	v_mul_f32_e32 v49, v198, v13
	v_fmac_f32_e32 v49, v199, v12
	v_add_f32_e32 v14, v14, v49
	buffer_load_dword v49, off, s[0:3], 0 offset:416
	buffer_load_dword v56, off, s[0:3], 0 offset:420
	;; [unrolled: 1-line block ×8, first 2 shown]
	ds_read2_b64 v[202:205], v116 offset0:91 offset1:92
	v_mul_f32_e32 v122, v157, v122
	v_fma_f32 v122, v156, v139, -v122
	v_mul_f32_e32 v121, v159, v121
	v_fma_f32 v121, v158, v136, -v121
	;; [unrolled: 2-line block ×5, first 2 shown]
	v_mul_f32_e32 v117, v167, v117
	s_waitcnt vmcnt(46)
	v_mul_f32_e32 v206, v200, v16
	v_fmac_f32_e32 v206, v201, v15
	v_add_f32_e32 v14, v14, v206
	ds_read2_b64 v[206:209], v116 offset0:93 offset1:94
	buffer_load_dword v57, off, s[0:3], 0 offset:448
	buffer_load_dword v58, off, s[0:3], 0 offset:452
	v_fma_f32 v117, v166, v133, -v117
	v_mul_f32_e32 v4, v191, v4
	v_fma_f32 v3, v190, v3, -v4
	v_mul_f32_e32 v4, v193, v7
	v_fma_f32 v4, v192, v6, -v4
	s_waitcnt vmcnt(46) lgkmcnt(1)
	v_mul_f32_e32 v210, v202, v18
	v_fmac_f32_e32 v210, v203, v17
	v_add_f32_e32 v14, v14, v210
	s_waitcnt vmcnt(45)
	v_mul_f32_e32 v210, v204, v19
	s_waitcnt vmcnt(42)
	v_fmac_f32_e32 v210, v205, v22
	v_add_f32_e32 v14, v14, v210
	s_waitcnt lgkmcnt(0)
	v_mul_f32_e32 v210, v206, v21
	v_fmac_f32_e32 v210, v207, v20
	v_add_f32_e32 v14, v14, v210
	ds_read2_b64 v[210:213], v116 offset0:95 offset1:96
	s_waitcnt vmcnt(40)
	v_mul_f32_e32 v214, v208, v24
	v_fmac_f32_e32 v214, v209, v23
	v_add_f32_e32 v14, v14, v214
	ds_read2_b64 v[214:217], v116 offset0:97 offset1:98
	s_waitcnt vmcnt(38) lgkmcnt(1)
	v_mul_f32_e32 v218, v210, v27
	v_fmac_f32_e32 v218, v211, v26
	v_add_f32_e32 v14, v14, v218
	s_waitcnt vmcnt(37)
	v_mul_f32_e32 v218, v212, v28
	s_waitcnt vmcnt(34)
	v_fmac_f32_e32 v218, v213, v31
	v_add_f32_e32 v14, v14, v218
	s_waitcnt lgkmcnt(0)
	v_mul_f32_e32 v218, v214, v30
	v_fmac_f32_e32 v218, v215, v29
	v_add_f32_e32 v14, v14, v218
	ds_read2_b64 v[218:221], v116 offset0:99 offset1:100
	s_waitcnt vmcnt(32)
	v_mul_f32_e32 v222, v216, v33
	v_fmac_f32_e32 v222, v217, v32
	v_add_f32_e32 v14, v14, v222
	ds_read2_b64 v[222:225], v116 offset0:101 offset1:102
	;; [unrolled: 19-line block ×5, first 2 shown]
	s_waitcnt vmcnt(6) lgkmcnt(1)
	v_mul_f32_e32 v116, v242, v251
	v_fmac_f32_e32 v116, v243, v250
	v_add_f32_e32 v14, v14, v116
	s_waitcnt vmcnt(5)
	v_mul_f32_e32 v116, v244, v252
	s_waitcnt vmcnt(2)
	v_fmac_f32_e32 v116, v245, v255
	v_add_f32_e32 v14, v14, v116
	s_waitcnt lgkmcnt(0)
	v_mul_f32_e32 v116, v246, v254
	v_fmac_f32_e32 v116, v247, v253
	v_add_f32_e32 v14, v14, v116
	s_waitcnt vmcnt(0)
	v_mul_f32_e32 v116, v248, v58
	v_fmac_f32_e32 v116, v249, v57
	v_add_f32_e32 v14, v14, v116
	v_mul_f32_e32 v116, v155, v123
	v_fma_f32 v116, v154, v142, -v116
	v_add_f32_e32 v116, 0, v116
	v_add_f32_e32 v116, v116, v122
	v_add_f32_e32 v116, v116, v121
	v_add_f32_e32 v116, v116, v120
	v_add_f32_e32 v116, v116, v119
	v_add_f32_e32 v116, v116, v118
	v_add_f32_e32 v116, v116, v117
	v_mul_f32_e32 v117, v169, v126
	v_fma_f32 v117, v168, v137, -v117
	v_add_f32_e32 v116, v116, v117
	v_mul_f32_e32 v117, v171, v127
	v_fma_f32 v117, v170, v134, -v117
	v_add_f32_e32 v116, v116, v117
	;; [unrolled: 3-line block ×11, first 2 shown]
	v_add_f32_e32 v3, v5, v3
	v_add_f32_e32 v3, v3, v4
	v_mul_f32_e32 v4, v195, v9
	v_fma_f32 v4, v194, v8, -v4
	v_add_f32_e32 v3, v3, v4
	v_mul_f32_e32 v4, v197, v11
	v_fma_f32 v4, v196, v10, -v4
	;; [unrolled: 3-line block ×28, first 2 shown]
	v_add_f32_e32 v3, v3, v4
	v_sub_f32_e32 v3, v124, v3
	v_sub_f32_e32 v4, v125, v14
	buffer_store_dword v3, off, s[0:3], 0 offset:64
	buffer_store_dword v4, off, s[0:3], 0 offset:68
	s_and_saveexec_b64 s[4:5], vcc
	s_cbranch_execz .LBB120_341
; %bb.340:
	buffer_load_dword v3, off, s[0:3], 0 offset:56
	buffer_load_dword v4, off, s[0:3], 0 offset:60
	v_mov_b32_e32 v5, 0
	buffer_store_dword v5, off, s[0:3], 0 offset:56
	buffer_store_dword v5, off, s[0:3], 0 offset:60
	s_waitcnt vmcnt(2)
	ds_write_b64 v115, v[3:4]
.LBB120_341:
	s_or_b64 exec, exec, s[4:5]
	s_waitcnt lgkmcnt(0)
	; wave barrier
	buffer_load_dword v123, off, s[0:3], 0 offset:68
	buffer_load_dword v122, off, s[0:3], 0 offset:76
	;; [unrolled: 1-line block ×40, first 2 shown]
	v_mov_b32_e32 v116, 0
	buffer_load_dword v32, off, s[0:3], 0 offset:216
	buffer_load_dword v33, off, s[0:3], 0 offset:220
	;; [unrolled: 1-line block ×10, first 2 shown]
	ds_read_b128 v[130:133], v116 offset:528
	ds_read_b128 v[134:137], v116 offset:544
	;; [unrolled: 1-line block ×8, first 2 shown]
	v_cmp_lt_u32_e32 vcc, 6, v0
	s_waitcnt vmcnt(49) lgkmcnt(7)
	v_mul_f32_e32 v3, v130, v123
	s_waitcnt vmcnt(48)
	v_mul_f32_e32 v4, v132, v122
	s_waitcnt vmcnt(47) lgkmcnt(6)
	v_mul_f32_e32 v42, v134, v121
	s_waitcnt vmcnt(46)
	v_mul_f32_e32 v43, v136, v120
	;; [unrolled: 4-line block ×5, first 2 shown]
	s_waitcnt vmcnt(39) lgkmcnt(2)
	v_mul_f32_e32 v50, v150, v129
	s_waitcnt vmcnt(38)
	v_fmac_f32_e32 v42, v135, v5
	s_waitcnt vmcnt(37)
	v_fmac_f32_e32 v4, v133, v6
	;; [unrolled: 2-line block ×3, first 2 shown]
	v_add_f32_e32 v3, 0, v3
	v_add_f32_e32 v3, v3, v4
	;; [unrolled: 1-line block ×3, first 2 shown]
	s_waitcnt vmcnt(32)
	v_fmac_f32_e32 v43, v137, v11
	v_fmac_f32_e32 v44, v139, v10
	v_add_f32_e32 v3, v3, v43
	v_fmac_f32_e32 v45, v141, v9
	v_add_f32_e32 v3, v3, v44
	buffer_load_dword v42, off, s[0:3], 0 offset:256
	buffer_load_dword v43, off, s[0:3], 0 offset:260
	v_fmac_f32_e32 v46, v143, v8
	v_add_f32_e32 v3, v3, v45
	s_waitcnt vmcnt(30)
	v_fmac_f32_e32 v47, v145, v15
	v_add_f32_e32 v3, v3, v46
	v_add_f32_e32 v3, v3, v47
	ds_read_b128 v[162:165], v116 offset:656
	buffer_load_dword v44, off, s[0:3], 0 offset:268
	buffer_load_dword v45, off, s[0:3], 0 offset:272
	;; [unrolled: 1-line block ×4, first 2 shown]
	v_fmac_f32_e32 v48, v147, v14
	v_fmac_f32_e32 v49, v149, v13
	v_add_f32_e32 v3, v3, v48
	v_add_f32_e32 v3, v3, v49
	ds_read_b128 v[166:169], v116 offset:672
	buffer_load_dword v48, off, s[0:3], 0 offset:280
	buffer_load_dword v49, off, s[0:3], 0 offset:284
	v_fmac_f32_e32 v50, v151, v12
	v_add_f32_e32 v3, v3, v50
	buffer_load_dword v50, off, s[0:3], 0 offset:288
	buffer_load_dword v51, off, s[0:3], 0 offset:292
	buffer_load_dword v52, off, s[0:3], 0 offset:300
	buffer_load_dword v53, off, s[0:3], 0 offset:304
	buffer_load_dword v54, off, s[0:3], 0 offset:308
	buffer_load_dword v55, off, s[0:3], 0 offset:296
	buffer_load_dword v56, off, s[0:3], 0 offset:312
	buffer_load_dword v57, off, s[0:3], 0 offset:316
	buffer_load_dword v58, off, s[0:3], 0 offset:320
	buffer_load_dword v226, off, s[0:3], 0 offset:324
	buffer_load_dword v227, off, s[0:3], 0 offset:332
	buffer_load_dword v228, off, s[0:3], 0 offset:336
	buffer_load_dword v229, off, s[0:3], 0 offset:340
	buffer_load_dword v230, off, s[0:3], 0 offset:328
	ds_read_b128 v[170:173], v116 offset:688
	buffer_load_dword v231, off, s[0:3], 0 offset:344
	buffer_load_dword v232, off, s[0:3], 0 offset:348
	ds_read_b128 v[174:177], v116 offset:704
	buffer_load_dword v233, off, s[0:3], 0 offset:352
	buffer_load_dword v234, off, s[0:3], 0 offset:356
	;; [unrolled: 1-line block ×16, first 2 shown]
	ds_read_b128 v[178:181], v116 offset:720
	buffer_load_dword v249, off, s[0:3], 0 offset:416
	buffer_load_dword v250, off, s[0:3], 0 offset:420
	;; [unrolled: 1-line block ×6, first 2 shown]
	ds_read_b128 v[182:185], v116 offset:736
	buffer_load_dword v255, off, s[0:3], 0 offset:444
	buffer_load_dword v59, off, s[0:3], 0 offset:448
	;; [unrolled: 1-line block ×4, first 2 shown]
	s_waitcnt vmcnt(62)
	v_mul_f32_e32 v4, v152, v16
	v_fmac_f32_e32 v4, v153, v20
	v_add_f32_e32 v3, v3, v4
	s_waitcnt lgkmcnt(7)
	v_mul_f32_e32 v4, v154, v21
	v_fmac_f32_e32 v4, v155, v19
	v_add_f32_e32 v3, v3, v4
	v_mul_f32_e32 v4, v156, v22
	v_fmac_f32_e32 v4, v157, v18
	v_add_f32_e32 v3, v3, v4
	s_waitcnt lgkmcnt(6)
	v_mul_f32_e32 v4, v158, v23
	v_fmac_f32_e32 v4, v159, v17
	v_add_f32_e32 v3, v3, v4
	;; [unrolled: 7-line block ×4, first 2 shown]
	s_waitcnt vmcnt(58)
	v_mul_f32_e32 v4, v168, v33
	v_fmac_f32_e32 v4, v169, v32
	v_add_f32_e32 v3, v3, v4
	s_waitcnt vmcnt(56) lgkmcnt(3)
	v_mul_f32_e32 v4, v170, v35
	v_fmac_f32_e32 v4, v171, v34
	v_add_f32_e32 v3, v3, v4
	s_waitcnt vmcnt(54)
	v_mul_f32_e32 v4, v172, v37
	v_fmac_f32_e32 v4, v173, v36
	v_add_f32_e32 v3, v3, v4
	s_waitcnt vmcnt(52) lgkmcnt(2)
	v_mul_f32_e32 v4, v174, v39
	v_fmac_f32_e32 v4, v175, v38
	v_add_f32_e32 v3, v3, v4
	s_waitcnt vmcnt(50)
	v_mul_f32_e32 v4, v176, v41
	v_fmac_f32_e32 v4, v177, v40
	v_add_f32_e32 v3, v3, v4
	ds_read_b128 v[186:189], v116 offset:752
	ds_read_b128 v[190:193], v116 offset:768
	;; [unrolled: 1-line block ×10, first 2 shown]
	s_waitcnt vmcnt(48) lgkmcnt(11)
	v_mul_f32_e32 v4, v178, v43
	v_fmac_f32_e32 v4, v179, v42
	v_add_f32_e32 v3, v3, v4
	s_waitcnt vmcnt(47)
	v_mul_f32_e32 v4, v180, v44
	s_waitcnt vmcnt(44)
	v_fmac_f32_e32 v4, v181, v47
	v_add_f32_e32 v3, v3, v4
	s_waitcnt lgkmcnt(10)
	v_mul_f32_e32 v4, v182, v46
	v_fmac_f32_e32 v4, v183, v45
	v_add_f32_e32 v3, v3, v4
	s_waitcnt vmcnt(42)
	v_mul_f32_e32 v4, v184, v49
	v_fmac_f32_e32 v4, v185, v48
	v_add_f32_e32 v3, v3, v4
	s_waitcnt vmcnt(40) lgkmcnt(9)
	v_mul_f32_e32 v4, v186, v51
	v_fmac_f32_e32 v4, v187, v50
	v_add_f32_e32 v3, v3, v4
	s_waitcnt vmcnt(39)
	v_mul_f32_e32 v4, v188, v52
	s_waitcnt vmcnt(36)
	v_fmac_f32_e32 v4, v189, v55
	v_add_f32_e32 v3, v3, v4
	s_waitcnt lgkmcnt(8)
	v_mul_f32_e32 v4, v190, v54
	v_fmac_f32_e32 v4, v191, v53
	v_add_f32_e32 v3, v3, v4
	s_waitcnt vmcnt(34)
	v_mul_f32_e32 v4, v192, v57
	v_fmac_f32_e32 v4, v193, v56
	v_add_f32_e32 v3, v3, v4
	;; [unrolled: 17-line block ×5, first 2 shown]
	s_waitcnt vmcnt(8) lgkmcnt(1)
	v_mul_f32_e32 v4, v218, v250
	v_fmac_f32_e32 v4, v219, v249
	v_add_f32_e32 v3, v3, v4
	s_waitcnt vmcnt(7)
	v_mul_f32_e32 v4, v220, v251
	s_waitcnt vmcnt(4)
	v_fmac_f32_e32 v4, v221, v254
	v_add_f32_e32 v62, v3, v4
	ds_read_b64 v[3:4], v116 offset:912
	s_waitcnt lgkmcnt(1)
	v_mul_f32_e32 v63, v222, v253
	v_fmac_f32_e32 v63, v223, v252
	v_add_f32_e32 v62, v62, v63
	s_waitcnt vmcnt(3)
	v_mul_f32_e32 v63, v224, v255
	s_waitcnt vmcnt(0)
	v_fmac_f32_e32 v63, v225, v61
	v_add_f32_e32 v62, v62, v63
	s_waitcnt lgkmcnt(0)
	v_mul_f32_e32 v63, v3, v60
	v_fmac_f32_e32 v63, v4, v59
	v_add_f32_e32 v62, v62, v63
	v_mul_f32_e32 v63, v131, v123
	v_fma_f32 v7, v130, v7, -v63
	v_mul_f32_e32 v63, v133, v122
	v_add_f32_e32 v7, 0, v7
	v_fma_f32 v6, v132, v6, -v63
	v_add_f32_e32 v6, v7, v6
	v_mul_f32_e32 v7, v135, v121
	v_fma_f32 v5, v134, v5, -v7
	v_add_f32_e32 v5, v6, v5
	v_mul_f32_e32 v6, v137, v120
	;; [unrolled: 3-line block ×46, first 2 shown]
	v_fma_f32 v6, v224, v61, -v6
	v_mul_f32_e32 v4, v4, v60
	v_add_f32_e32 v5, v5, v6
	v_fma_f32 v3, v3, v59, -v4
	v_add_f32_e32 v3, v5, v3
	v_sub_f32_e32 v3, v124, v3
	v_sub_f32_e32 v4, v125, v62
	buffer_store_dword v3, off, s[0:3], 0 offset:56
	buffer_store_dword v4, off, s[0:3], 0 offset:60
	s_and_saveexec_b64 s[4:5], vcc
	s_cbranch_execz .LBB120_343
; %bb.342:
	buffer_load_dword v3, off, s[0:3], 0 offset:48
	buffer_load_dword v4, off, s[0:3], 0 offset:52
	s_waitcnt vmcnt(0)
	ds_write_b64 v115, v[3:4]
	buffer_store_dword v116, off, s[0:3], 0 offset:48
	buffer_store_dword v116, off, s[0:3], 0 offset:52
.LBB120_343:
	s_or_b64 exec, exec, s[4:5]
	s_waitcnt lgkmcnt(0)
	; wave barrier
	buffer_load_dword v123, off, s[0:3], 0 offset:60
	buffer_load_dword v122, off, s[0:3], 0 offset:68
	;; [unrolled: 1-line block ×40, first 2 shown]
	ds_read2_b64 v[131:134], v116 offset0:65 offset1:66
	ds_read2_b64 v[135:138], v116 offset0:67 offset1:68
	;; [unrolled: 1-line block ×7, first 2 shown]
	buffer_load_dword v29, off, s[0:3], 0 offset:208
	buffer_load_dword v30, off, s[0:3], 0 offset:212
	;; [unrolled: 1-line block ×10, first 2 shown]
	ds_read2_b64 v[159:162], v116 offset0:79 offset1:80
	v_cmp_lt_u32_e32 vcc, 5, v0
	s_waitcnt vmcnt(49) lgkmcnt(7)
	v_mul_f32_e32 v39, v131, v123
	s_waitcnt vmcnt(48)
	v_mul_f32_e32 v40, v133, v122
	s_waitcnt vmcnt(47) lgkmcnt(6)
	v_mul_f32_e32 v41, v135, v121
	s_waitcnt vmcnt(46)
	v_mul_f32_e32 v42, v137, v120
	;; [unrolled: 4-line block ×6, first 2 shown]
	s_waitcnt vmcnt(37)
	v_fmac_f32_e32 v41, v136, v3
	s_waitcnt vmcnt(36)
	v_fmac_f32_e32 v40, v134, v4
	;; [unrolled: 2-line block ×3, first 2 shown]
	v_add_f32_e32 v39, 0, v39
	v_add_f32_e32 v39, v39, v40
	;; [unrolled: 1-line block ×3, first 2 shown]
	s_waitcnt vmcnt(31)
	v_fmac_f32_e32 v42, v138, v9
	v_fmac_f32_e32 v43, v140, v8
	v_add_f32_e32 v39, v39, v42
	v_fmac_f32_e32 v44, v142, v7
	v_add_f32_e32 v39, v39, v43
	;; [unrolled: 2-line block ×3, first 2 shown]
	s_waitcnt vmcnt(27)
	v_fmac_f32_e32 v46, v146, v13
	v_add_f32_e32 v39, v39, v45
	v_fmac_f32_e32 v47, v148, v12
	v_add_f32_e32 v39, v39, v46
	;; [unrolled: 2-line block ×4, first 2 shown]
	v_add_f32_e32 v39, v39, v49
	s_waitcnt vmcnt(23)
	v_fmac_f32_e32 v50, v154, v17
	s_waitcnt vmcnt(22) lgkmcnt(1)
	v_mul_f32_e32 v40, v155, v18
	v_add_f32_e32 v39, v39, v50
	v_fmac_f32_e32 v40, v156, v16
	buffer_load_dword v41, off, s[0:3], 0 offset:252
	v_add_f32_e32 v39, v39, v40
	s_waitcnt vmcnt(22)
	v_mul_f32_e32 v40, v157, v19
	v_fmac_f32_e32 v40, v158, v15
	buffer_load_dword v42, off, s[0:3], 0 offset:248
	buffer_load_dword v43, off, s[0:3], 0 offset:256
	;; [unrolled: 1-line block ×3, first 2 shown]
	ds_read2_b64 v[163:166], v116 offset0:81 offset1:82
	v_add_f32_e32 v39, v39, v40
	s_waitcnt vmcnt(24) lgkmcnt(1)
	v_mul_f32_e32 v40, v159, v20
	v_fmac_f32_e32 v40, v160, v14
	v_add_f32_e32 v39, v39, v40
	s_waitcnt vmcnt(23)
	v_mul_f32_e32 v40, v161, v21
	buffer_load_dword v45, off, s[0:3], 0 offset:264
	buffer_load_dword v46, off, s[0:3], 0 offset:268
	s_waitcnt vmcnt(19)
	v_fmac_f32_e32 v40, v162, v27
	v_add_f32_e32 v39, v39, v40
	s_waitcnt vmcnt(18) lgkmcnt(0)
	v_mul_f32_e32 v40, v163, v28
	v_fmac_f32_e32 v40, v164, v26
	ds_read2_b64 v[167:170], v116 offset0:83 offset1:84
	v_add_f32_e32 v39, v39, v40
	buffer_load_dword v40, off, s[0:3], 0 offset:272
	buffer_load_dword v47, off, s[0:3], 0 offset:276
	;; [unrolled: 1-line block ×8, first 2 shown]
	v_mul_f32_e32 v48, v165, v23
	v_fmac_f32_e32 v48, v166, v22
	v_add_f32_e32 v39, v39, v48
	s_waitcnt lgkmcnt(0)
	v_mul_f32_e32 v48, v167, v25
	v_fmac_f32_e32 v48, v168, v24
	v_add_f32_e32 v39, v39, v48
	buffer_load_dword v48, off, s[0:3], 0 offset:304
	buffer_load_dword v55, off, s[0:3], 0 offset:308
	ds_read2_b64 v[171:174], v116 offset0:85 offset1:86
	buffer_load_dword v57, off, s[0:3], 0 offset:312
	buffer_load_dword v58, off, s[0:3], 0 offset:316
	buffer_load_dword v59, off, s[0:3], 0 offset:324
	buffer_load_dword v60, off, s[0:3], 0 offset:328
	buffer_load_dword v61, off, s[0:3], 0 offset:332
	buffer_load_dword v62, off, s[0:3], 0 offset:320
	ds_read2_b64 v[175:178], v116 offset0:87 offset1:88
	buffer_load_dword v63, off, s[0:3], 0 offset:336
	buffer_load_dword v64, off, s[0:3], 0 offset:340
	s_waitcnt vmcnt(32)
	v_mul_f32_e32 v56, v169, v30
	v_fmac_f32_e32 v56, v170, v29
	v_add_f32_e32 v39, v39, v56
	s_waitcnt vmcnt(30) lgkmcnt(1)
	v_mul_f32_e32 v56, v171, v32
	v_fmac_f32_e32 v56, v172, v31
	v_add_f32_e32 v39, v39, v56
	buffer_load_dword v56, off, s[0:3], 0 offset:344
	buffer_load_dword v231, off, s[0:3], 0 offset:348
	;; [unrolled: 1-line block ×14, first 2 shown]
	s_waitcnt vmcnt(42)
	v_mul_f32_e32 v179, v173, v34
	v_fmac_f32_e32 v179, v174, v33
	v_add_f32_e32 v39, v39, v179
	s_waitcnt vmcnt(40) lgkmcnt(0)
	v_mul_f32_e32 v179, v175, v36
	v_fmac_f32_e32 v179, v176, v35
	v_add_f32_e32 v39, v39, v179
	ds_read2_b64 v[179:182], v116 offset0:89 offset1:90
	buffer_load_dword v244, off, s[0:3], 0 offset:400
	buffer_load_dword v245, off, s[0:3], 0 offset:404
	s_waitcnt vmcnt(40)
	v_mul_f32_e32 v183, v177, v38
	v_fmac_f32_e32 v183, v178, v37
	v_add_f32_e32 v39, v39, v183
	ds_read2_b64 v[183:186], v116 offset0:91 offset1:92
	buffer_load_dword v246, off, s[0:3], 0 offset:408
	buffer_load_dword v247, off, s[0:3], 0 offset:412
	;; [unrolled: 1-line block ×12, first 2 shown]
	s_waitcnt vmcnt(51) lgkmcnt(1)
	v_mul_f32_e32 v187, v179, v41
	s_waitcnt vmcnt(50)
	v_fmac_f32_e32 v187, v180, v42
	v_add_f32_e32 v39, v39, v187
	s_waitcnt vmcnt(48)
	v_mul_f32_e32 v187, v181, v44
	v_fmac_f32_e32 v187, v182, v43
	v_add_f32_e32 v39, v39, v187
	s_waitcnt vmcnt(46) lgkmcnt(0)
	v_mul_f32_e32 v187, v183, v46
	v_fmac_f32_e32 v187, v184, v45
	v_add_f32_e32 v39, v39, v187
	ds_read2_b64 v[187:190], v116 offset0:93 offset1:94
	s_waitcnt vmcnt(44)
	v_mul_f32_e32 v191, v185, v47
	v_fmac_f32_e32 v191, v186, v40
	v_add_f32_e32 v39, v39, v191
	ds_read2_b64 v[191:194], v116 offset0:95 offset1:96
	s_waitcnt vmcnt(42) lgkmcnt(1)
	v_mul_f32_e32 v195, v187, v50
	v_fmac_f32_e32 v195, v188, v49
	v_add_f32_e32 v39, v39, v195
	s_waitcnt vmcnt(41)
	v_mul_f32_e32 v195, v189, v51
	s_waitcnt vmcnt(38)
	v_fmac_f32_e32 v195, v190, v54
	v_add_f32_e32 v39, v39, v195
	s_waitcnt lgkmcnt(0)
	v_mul_f32_e32 v195, v191, v53
	v_fmac_f32_e32 v195, v192, v52
	v_add_f32_e32 v39, v39, v195
	ds_read2_b64 v[195:198], v116 offset0:97 offset1:98
	s_waitcnt vmcnt(36)
	v_mul_f32_e32 v199, v193, v55
	v_fmac_f32_e32 v199, v194, v48
	v_add_f32_e32 v39, v39, v199
	ds_read2_b64 v[199:202], v116 offset0:99 offset1:100
	s_waitcnt vmcnt(34) lgkmcnt(1)
	v_mul_f32_e32 v203, v195, v58
	v_fmac_f32_e32 v203, v196, v57
	v_add_f32_e32 v39, v39, v203
	s_waitcnt vmcnt(33)
	v_mul_f32_e32 v203, v197, v59
	s_waitcnt vmcnt(30)
	v_fmac_f32_e32 v203, v198, v62
	v_add_f32_e32 v39, v39, v203
	s_waitcnt lgkmcnt(0)
	v_mul_f32_e32 v203, v199, v61
	v_fmac_f32_e32 v203, v200, v60
	v_add_f32_e32 v39, v39, v203
	ds_read2_b64 v[203:206], v116 offset0:101 offset1:102
	s_waitcnt vmcnt(28)
	v_mul_f32_e32 v207, v201, v64
	v_fmac_f32_e32 v207, v202, v63
	v_add_f32_e32 v39, v39, v207
	ds_read2_b64 v[207:210], v116 offset0:103 offset1:104
	s_waitcnt vmcnt(26) lgkmcnt(1)
	v_mul_f32_e32 v211, v203, v231
	v_fmac_f32_e32 v211, v204, v56
	v_add_f32_e32 v39, v39, v211
	s_waitcnt vmcnt(25)
	v_mul_f32_e32 v211, v205, v232
	s_waitcnt vmcnt(22)
	v_fmac_f32_e32 v211, v206, v235
	v_add_f32_e32 v39, v39, v211
	s_waitcnt lgkmcnt(0)
	v_mul_f32_e32 v211, v207, v234
	v_fmac_f32_e32 v211, v208, v233
	v_add_f32_e32 v39, v39, v211
	ds_read2_b64 v[211:214], v116 offset0:105 offset1:106
	s_waitcnt vmcnt(20)
	v_mul_f32_e32 v215, v209, v237
	v_fmac_f32_e32 v215, v210, v236
	v_add_f32_e32 v39, v39, v215
	ds_read2_b64 v[215:218], v116 offset0:107 offset1:108
	s_waitcnt vmcnt(18) lgkmcnt(1)
	v_mul_f32_e32 v219, v211, v239
	v_fmac_f32_e32 v219, v212, v238
	v_add_f32_e32 v39, v39, v219
	s_waitcnt vmcnt(17)
	v_mul_f32_e32 v219, v213, v240
	s_waitcnt vmcnt(14)
	v_fmac_f32_e32 v219, v214, v243
	v_add_f32_e32 v39, v39, v219
	s_waitcnt lgkmcnt(0)
	v_mul_f32_e32 v219, v215, v242
	v_fmac_f32_e32 v219, v216, v241
	v_add_f32_e32 v39, v39, v219
	ds_read2_b64 v[219:222], v116 offset0:109 offset1:110
	s_waitcnt vmcnt(12)
	v_mul_f32_e32 v223, v217, v245
	v_fmac_f32_e32 v223, v218, v244
	v_add_f32_e32 v39, v39, v223
	ds_read2_b64 v[223:226], v116 offset0:111 offset1:112
	s_waitcnt vmcnt(10) lgkmcnt(1)
	v_mul_f32_e32 v227, v219, v247
	v_fmac_f32_e32 v227, v220, v246
	v_add_f32_e32 v39, v39, v227
	s_waitcnt vmcnt(9)
	v_mul_f32_e32 v227, v221, v248
	s_waitcnt vmcnt(6)
	v_fmac_f32_e32 v227, v222, v251
	v_add_f32_e32 v39, v39, v227
	ds_read2_b64 v[227:230], v116 offset0:113 offset1:114
	s_waitcnt lgkmcnt(1)
	v_mul_f32_e32 v67, v223, v250
	v_fmac_f32_e32 v67, v224, v249
	v_add_f32_e32 v39, v39, v67
	s_waitcnt vmcnt(4)
	v_mul_f32_e32 v67, v225, v253
	v_fmac_f32_e32 v67, v226, v252
	v_add_f32_e32 v39, v39, v67
	s_waitcnt vmcnt(3) lgkmcnt(0)
	v_mul_f32_e32 v67, v227, v254
	s_waitcnt vmcnt(0)
	v_fmac_f32_e32 v67, v228, v66
	v_add_f32_e32 v39, v39, v67
	v_mul_f32_e32 v67, v229, v65
	v_fmac_f32_e32 v67, v230, v255
	v_add_f32_e32 v39, v39, v67
	v_mul_f32_e32 v67, v132, v123
	v_fma_f32 v5, v131, v5, -v67
	v_mul_f32_e32 v67, v134, v122
	v_add_f32_e32 v5, 0, v5
	v_fma_f32 v4, v133, v4, -v67
	v_add_f32_e32 v4, v5, v4
	v_mul_f32_e32 v5, v136, v121
	v_fma_f32 v3, v135, v3, -v5
	v_add_f32_e32 v3, v4, v3
	v_mul_f32_e32 v4, v138, v120
	;; [unrolled: 3-line block ×48, first 2 shown]
	v_fma_f32 v4, v229, v255, -v4
	v_add_f32_e32 v3, v3, v4
	v_sub_f32_e32 v3, v124, v3
	v_sub_f32_e32 v4, v125, v39
	buffer_store_dword v3, off, s[0:3], 0 offset:48
	buffer_store_dword v4, off, s[0:3], 0 offset:52
	s_and_saveexec_b64 s[4:5], vcc
	s_cbranch_execz .LBB120_345
; %bb.344:
	buffer_load_dword v3, off, s[0:3], 0 offset:40
	buffer_load_dword v4, off, s[0:3], 0 offset:44
	v_mov_b32_e32 v5, 0
	buffer_store_dword v5, off, s[0:3], 0 offset:40
	buffer_store_dword v5, off, s[0:3], 0 offset:44
	s_waitcnt vmcnt(2)
	ds_write_b64 v115, v[3:4]
.LBB120_345:
	s_or_b64 exec, exec, s[4:5]
	s_waitcnt lgkmcnt(0)
	; wave barrier
	buffer_load_dword v125, off, s[0:3], 0 offset:52
	buffer_load_dword v124, off, s[0:3], 0 offset:60
	;; [unrolled: 1-line block ×40, first 2 shown]
	v_mov_b32_e32 v116, 0
	buffer_load_dword v30, off, s[0:3], 0 offset:200
	buffer_load_dword v31, off, s[0:3], 0 offset:204
	;; [unrolled: 1-line block ×10, first 2 shown]
	ds_read_b128 v[132:135], v116 offset:512
	ds_read_b128 v[136:139], v116 offset:528
	;; [unrolled: 1-line block ×7, first 2 shown]
	v_cmp_lt_u32_e32 vcc, 4, v0
	s_waitcnt vmcnt(49) lgkmcnt(6)
	v_mul_f32_e32 v3, v132, v125
	s_waitcnt vmcnt(48)
	v_mul_f32_e32 v4, v134, v124
	s_waitcnt vmcnt(47) lgkmcnt(5)
	v_mul_f32_e32 v40, v136, v121
	s_waitcnt vmcnt(46)
	v_mul_f32_e32 v41, v138, v120
	;; [unrolled: 4-line block ×6, first 2 shown]
	s_waitcnt vmcnt(37)
	v_fmac_f32_e32 v40, v137, v5
	s_waitcnt vmcnt(36)
	v_fmac_f32_e32 v4, v135, v6
	s_waitcnt vmcnt(35)
	v_fmac_f32_e32 v3, v133, v7
	v_add_f32_e32 v3, 0, v3
	v_add_f32_e32 v3, v3, v4
	;; [unrolled: 1-line block ×3, first 2 shown]
	s_waitcnt vmcnt(31)
	v_fmac_f32_e32 v41, v139, v11
	v_fmac_f32_e32 v42, v141, v10
	v_add_f32_e32 v3, v3, v41
	buffer_load_dword v40, off, s[0:3], 0 offset:240
	buffer_load_dword v41, off, s[0:3], 0 offset:244
	v_fmac_f32_e32 v43, v143, v9
	v_add_f32_e32 v3, v3, v42
	v_fmac_f32_e32 v44, v145, v8
	v_add_f32_e32 v3, v3, v43
	s_waitcnt vmcnt(29)
	v_fmac_f32_e32 v45, v147, v14
	v_add_f32_e32 v3, v3, v44
	v_fmac_f32_e32 v46, v149, v13
	v_add_f32_e32 v3, v3, v45
	ds_read_b128 v[160:163], v116 offset:624
	buffer_load_dword v42, off, s[0:3], 0 offset:252
	buffer_load_dword v43, off, s[0:3], 0 offset:248
	;; [unrolled: 1-line block ×4, first 2 shown]
	v_fmac_f32_e32 v47, v151, v12
	v_add_f32_e32 v3, v3, v46
	v_add_f32_e32 v3, v3, v47
	ds_read_b128 v[164:167], v116 offset:640
	ds_read_b128 v[168:171], v116 offset:656
	buffer_load_dword v46, off, s[0:3], 0 offset:264
	buffer_load_dword v47, off, s[0:3], 0 offset:268
	v_fmac_f32_e32 v48, v153, v131
	v_add_f32_e32 v3, v3, v48
	s_waitcnt vmcnt(31)
	v_fmac_f32_e32 v49, v155, v18
	v_add_f32_e32 v3, v3, v49
	buffer_load_dword v48, off, s[0:3], 0 offset:272
	buffer_load_dword v49, off, s[0:3], 0 offset:276
	buffer_load_dword v50, off, s[0:3], 0 offset:284
	buffer_load_dword v51, off, s[0:3], 0 offset:288
	buffer_load_dword v52, off, s[0:3], 0 offset:292
	buffer_load_dword v53, off, s[0:3], 0 offset:280
	buffer_load_dword v54, off, s[0:3], 0 offset:296
	buffer_load_dword v55, off, s[0:3], 0 offset:300
	ds_read_b128 v[172:175], v116 offset:672
	buffer_load_dword v56, off, s[0:3], 0 offset:304
	buffer_load_dword v57, off, s[0:3], 0 offset:308
	;; [unrolled: 1-line block ×6, first 2 shown]
	ds_read_b128 v[176:179], v116 offset:688
	buffer_load_dword v62, off, s[0:3], 0 offset:328
	buffer_load_dword v63, off, s[0:3], 0 offset:332
	buffer_load_dword v64, off, s[0:3], 0 offset:336
	buffer_load_dword v65, off, s[0:3], 0 offset:340
	buffer_load_dword v66, off, s[0:3], 0 offset:348
	buffer_load_dword v67, off, s[0:3], 0 offset:352
	buffer_load_dword v68, off, s[0:3], 0 offset:356
	buffer_load_dword v232, off, s[0:3], 0 offset:344
	buffer_load_dword v233, off, s[0:3], 0 offset:360
	buffer_load_dword v234, off, s[0:3], 0 offset:364
	ds_read_b128 v[180:183], v116 offset:704
	buffer_load_dword v235, off, s[0:3], 0 offset:368
	buffer_load_dword v236, off, s[0:3], 0 offset:372
	;; [unrolled: 1-line block ×6, first 2 shown]
	ds_read_b128 v[184:187], v116 offset:720
	buffer_load_dword v241, off, s[0:3], 0 offset:392
	buffer_load_dword v242, off, s[0:3], 0 offset:396
	;; [unrolled: 1-line block ×16, first 2 shown]
	s_waitcnt vmcnt(62) lgkmcnt(7)
	v_mul_f32_e32 v4, v156, v19
	v_fmac_f32_e32 v4, v157, v17
	v_add_f32_e32 v3, v3, v4
	v_mul_f32_e32 v4, v158, v20
	v_fmac_f32_e32 v4, v159, v16
	v_add_f32_e32 v3, v3, v4
	s_waitcnt lgkmcnt(6)
	v_mul_f32_e32 v4, v160, v21
	v_fmac_f32_e32 v4, v161, v15
	v_add_f32_e32 v3, v3, v4
	v_mul_f32_e32 v4, v162, v22
	v_fmac_f32_e32 v4, v163, v29
	v_add_f32_e32 v3, v3, v4
	s_waitcnt lgkmcnt(5)
	;; [unrolled: 7-line block ×3, first 2 shown]
	v_mul_f32_e32 v4, v168, v28
	v_fmac_f32_e32 v4, v169, v27
	v_add_f32_e32 v3, v3, v4
	v_mul_f32_e32 v4, v170, v31
	v_fmac_f32_e32 v4, v171, v30
	v_add_f32_e32 v3, v3, v4
	s_waitcnt vmcnt(60) lgkmcnt(3)
	v_mul_f32_e32 v4, v172, v33
	v_fmac_f32_e32 v4, v173, v32
	v_add_f32_e32 v3, v3, v4
	s_waitcnt vmcnt(58)
	v_mul_f32_e32 v4, v174, v35
	v_fmac_f32_e32 v4, v175, v34
	v_add_f32_e32 v3, v3, v4
	s_waitcnt vmcnt(56) lgkmcnt(2)
	v_mul_f32_e32 v4, v176, v37
	v_fmac_f32_e32 v4, v177, v36
	v_add_f32_e32 v3, v3, v4
	s_waitcnt vmcnt(54)
	v_mul_f32_e32 v4, v178, v39
	v_fmac_f32_e32 v4, v179, v38
	v_add_f32_e32 v3, v3, v4
	ds_read_b128 v[188:191], v116 offset:736
	ds_read_b128 v[192:195], v116 offset:752
	;; [unrolled: 1-line block ×8, first 2 shown]
	s_waitcnt vmcnt(52) lgkmcnt(9)
	v_mul_f32_e32 v4, v180, v41
	v_fmac_f32_e32 v4, v181, v40
	v_add_f32_e32 v3, v3, v4
	ds_read_b128 v[220:223], v116 offset:864
	ds_read_b128 v[224:227], v116 offset:880
	;; [unrolled: 1-line block ×3, first 2 shown]
	s_waitcnt vmcnt(51)
	v_mul_f32_e32 v4, v182, v42
	s_waitcnt vmcnt(50)
	v_fmac_f32_e32 v4, v183, v43
	v_add_f32_e32 v3, v3, v4
	s_waitcnt vmcnt(48) lgkmcnt(11)
	v_mul_f32_e32 v4, v184, v45
	v_fmac_f32_e32 v4, v185, v44
	v_add_f32_e32 v3, v3, v4
	s_waitcnt vmcnt(46)
	v_mul_f32_e32 v4, v186, v47
	v_fmac_f32_e32 v4, v187, v46
	v_add_f32_e32 v3, v3, v4
	s_waitcnt vmcnt(44) lgkmcnt(10)
	v_mul_f32_e32 v4, v188, v49
	v_fmac_f32_e32 v4, v189, v48
	v_add_f32_e32 v3, v3, v4
	s_waitcnt vmcnt(43)
	v_mul_f32_e32 v4, v190, v50
	s_waitcnt vmcnt(40)
	v_fmac_f32_e32 v4, v191, v53
	v_add_f32_e32 v3, v3, v4
	s_waitcnt lgkmcnt(9)
	v_mul_f32_e32 v4, v192, v52
	v_fmac_f32_e32 v4, v193, v51
	v_add_f32_e32 v3, v3, v4
	s_waitcnt vmcnt(38)
	v_mul_f32_e32 v4, v194, v55
	v_fmac_f32_e32 v4, v195, v54
	v_add_f32_e32 v3, v3, v4
	s_waitcnt vmcnt(36) lgkmcnt(8)
	v_mul_f32_e32 v4, v196, v57
	v_fmac_f32_e32 v4, v197, v56
	v_add_f32_e32 v3, v3, v4
	s_waitcnt vmcnt(35)
	v_mul_f32_e32 v4, v198, v58
	s_waitcnt vmcnt(32)
	v_fmac_f32_e32 v4, v199, v61
	v_add_f32_e32 v3, v3, v4
	s_waitcnt lgkmcnt(7)
	;; [unrolled: 17-line block ×5, first 2 shown]
	v_mul_f32_e32 v4, v224, v247
	v_fmac_f32_e32 v4, v225, v246
	v_add_f32_e32 v3, v3, v4
	s_waitcnt vmcnt(6)
	v_mul_f32_e32 v4, v226, v250
	v_fmac_f32_e32 v4, v227, v249
	v_add_f32_e32 v70, v3, v4
	ds_read_b64 v[3:4], v116 offset:912
	s_waitcnt vmcnt(4) lgkmcnt(1)
	v_mul_f32_e32 v71, v228, v252
	v_fmac_f32_e32 v71, v229, v251
	v_add_f32_e32 v70, v70, v71
	s_waitcnt vmcnt(3)
	v_mul_f32_e32 v71, v230, v253
	s_waitcnt vmcnt(0)
	v_fmac_f32_e32 v71, v231, v69
	v_add_f32_e32 v70, v70, v71
	s_waitcnt lgkmcnt(0)
	v_mul_f32_e32 v71, v3, v255
	v_fmac_f32_e32 v71, v4, v254
	v_add_f32_e32 v70, v70, v71
	v_mul_f32_e32 v71, v133, v125
	v_fma_f32 v7, v132, v7, -v71
	v_mul_f32_e32 v71, v135, v124
	v_add_f32_e32 v7, 0, v7
	v_fma_f32 v6, v134, v6, -v71
	v_add_f32_e32 v6, v7, v6
	v_mul_f32_e32 v7, v137, v121
	v_fma_f32 v5, v136, v5, -v7
	v_add_f32_e32 v5, v6, v5
	v_mul_f32_e32 v6, v139, v120
	;; [unrolled: 3-line block ×48, first 2 shown]
	v_fma_f32 v6, v230, v69, -v6
	v_mul_f32_e32 v4, v4, v255
	v_add_f32_e32 v5, v5, v6
	v_fma_f32 v3, v3, v254, -v4
	v_add_f32_e32 v3, v5, v3
	v_sub_f32_e32 v3, v122, v3
	v_sub_f32_e32 v4, v123, v70
	buffer_store_dword v3, off, s[0:3], 0 offset:40
	buffer_store_dword v4, off, s[0:3], 0 offset:44
	s_and_saveexec_b64 s[4:5], vcc
	s_cbranch_execz .LBB120_347
; %bb.346:
	buffer_load_dword v3, off, s[0:3], 0 offset:32
	buffer_load_dword v4, off, s[0:3], 0 offset:36
	s_waitcnt vmcnt(0)
	ds_write_b64 v115, v[3:4]
	buffer_store_dword v116, off, s[0:3], 0 offset:32
	buffer_store_dword v116, off, s[0:3], 0 offset:36
.LBB120_347:
	s_or_b64 exec, exec, s[4:5]
	s_waitcnt lgkmcnt(0)
	; wave barrier
	buffer_load_dword v125, off, s[0:3], 0 offset:44
	buffer_load_dword v122, off, s[0:3], 0 offset:52
	;; [unrolled: 1-line block ×40, first 2 shown]
	ds_read2_b64 v[140:143], v116 offset0:63 offset1:64
	ds_read2_b64 v[144:147], v116 offset0:65 offset1:66
	ds_read2_b64 v[148:151], v116 offset0:67 offset1:68
	ds_read2_b64 v[152:155], v116 offset0:69 offset1:70
	ds_read2_b64 v[156:159], v116 offset0:71 offset1:72
	ds_read2_b64 v[160:163], v116 offset0:73 offset1:74
	buffer_load_dword v20, off, s[0:3], 0 offset:192
	buffer_load_dword v21, off, s[0:3], 0 offset:196
	;; [unrolled: 1-line block ×12, first 2 shown]
	ds_read2_b64 v[164:167], v116 offset0:75 offset1:76
	ds_read2_b64 v[168:171], v116 offset0:77 offset1:78
	v_cmp_lt_u32_e32 vcc, 3, v0
	s_waitcnt vmcnt(51) lgkmcnt(7)
	v_mul_f32_e32 v32, v140, v125
	s_waitcnt vmcnt(50)
	v_mul_f32_e32 v33, v142, v122
	s_waitcnt vmcnt(49) lgkmcnt(6)
	v_mul_f32_e32 v34, v144, v121
	s_waitcnt vmcnt(48)
	v_mul_f32_e32 v35, v146, v120
	s_waitcnt vmcnt(47) lgkmcnt(5)
	v_mul_f32_e32 v36, v148, v119
	s_waitcnt vmcnt(46)
	v_mul_f32_e32 v37, v150, v118
	s_waitcnt vmcnt(45) lgkmcnt(4)
	v_mul_f32_e32 v38, v152, v117
	s_waitcnt vmcnt(44)
	v_mul_f32_e32 v39, v154, v126
	s_waitcnt vmcnt(43) lgkmcnt(3)
	v_mul_f32_e32 v40, v156, v127
	s_waitcnt vmcnt(42)
	v_mul_f32_e32 v41, v158, v128
	s_waitcnt vmcnt(41) lgkmcnt(2)
	v_mul_f32_e32 v42, v160, v129
	s_waitcnt vmcnt(40)
	v_fmac_f32_e32 v34, v145, v136
	s_waitcnt vmcnt(39)
	v_fmac_f32_e32 v33, v143, v139
	;; [unrolled: 2-line block ×3, first 2 shown]
	v_add_f32_e32 v32, 0, v32
	v_add_f32_e32 v32, v32, v33
	;; [unrolled: 1-line block ×3, first 2 shown]
	s_waitcnt vmcnt(34)
	v_fmac_f32_e32 v35, v147, v4
	v_fmac_f32_e32 v36, v149, v138
	v_add_f32_e32 v32, v32, v35
	buffer_load_dword v34, off, s[0:3], 0 offset:240
	buffer_load_dword v35, off, s[0:3], 0 offset:244
	v_fmac_f32_e32 v37, v151, v135
	v_add_f32_e32 v32, v32, v36
	v_add_f32_e32 v32, v32, v37
	buffer_load_dword v36, off, s[0:3], 0 offset:248
	buffer_load_dword v37, off, s[0:3], 0 offset:252
	v_fmac_f32_e32 v38, v153, v132
	s_waitcnt vmcnt(34)
	v_fmac_f32_e32 v39, v155, v137
	v_add_f32_e32 v32, v32, v38
	v_add_f32_e32 v32, v32, v39
	ds_read2_b64 v[172:175], v116 offset0:79 offset1:80
	buffer_load_dword v38, off, s[0:3], 0 offset:256
	buffer_load_dword v39, off, s[0:3], 0 offset:260
	v_fmac_f32_e32 v40, v157, v134
	v_fmac_f32_e32 v41, v159, v131
	v_add_f32_e32 v32, v32, v40
	v_fmac_f32_e32 v42, v161, v130
	v_add_f32_e32 v32, v32, v41
	s_waitcnt vmcnt(35)
	v_mul_f32_e32 v33, v162, v133
	v_add_f32_e32 v32, v32, v42
	s_waitcnt vmcnt(31)
	v_fmac_f32_e32 v33, v163, v8
	v_add_f32_e32 v32, v32, v33
	s_waitcnt vmcnt(30) lgkmcnt(2)
	v_mul_f32_e32 v33, v164, v9
	v_fmac_f32_e32 v33, v165, v7
	v_add_f32_e32 v32, v32, v33
	s_waitcnt vmcnt(29)
	v_mul_f32_e32 v33, v166, v10
	v_fmac_f32_e32 v33, v167, v6
	v_add_f32_e32 v32, v32, v33
	s_waitcnt vmcnt(28) lgkmcnt(1)
	v_mul_f32_e32 v33, v168, v11
	v_fmac_f32_e32 v33, v169, v5
	v_add_f32_e32 v32, v32, v33
	s_waitcnt vmcnt(27)
	v_mul_f32_e32 v33, v170, v12
	s_waitcnt vmcnt(21)
	v_fmac_f32_e32 v33, v171, v18
	ds_read2_b64 v[176:179], v116 offset0:81 offset1:82
	v_add_f32_e32 v32, v32, v33
	s_waitcnt vmcnt(20) lgkmcnt(1)
	v_mul_f32_e32 v33, v172, v19
	v_fmac_f32_e32 v33, v173, v17
	v_add_f32_e32 v32, v32, v33
	v_mul_f32_e32 v33, v174, v14
	v_fmac_f32_e32 v33, v175, v13
	v_add_f32_e32 v32, v32, v33
	s_waitcnt lgkmcnt(0)
	v_mul_f32_e32 v33, v176, v16
	v_fmac_f32_e32 v33, v177, v15
	v_add_f32_e32 v32, v32, v33
	buffer_load_dword v33, off, s[0:3], 0 offset:264
	buffer_load_dword v40, off, s[0:3], 0 offset:268
	;; [unrolled: 1-line block ×6, first 2 shown]
	s_waitcnt vmcnt(22)
	v_mul_f32_e32 v45, v178, v21
	v_fmac_f32_e32 v45, v179, v20
	ds_read2_b64 v[180:183], v116 offset0:83 offset1:84
	v_add_f32_e32 v32, v32, v45
	buffer_load_dword v45, off, s[0:3], 0 offset:288
	buffer_load_dword v46, off, s[0:3], 0 offset:292
	ds_read2_b64 v[184:187], v116 offset0:85 offset1:86
	buffer_load_dword v48, off, s[0:3], 0 offset:296
	buffer_load_dword v49, off, s[0:3], 0 offset:300
	;; [unrolled: 1-line block ×14, first 2 shown]
	s_waitcnt vmcnt(36) lgkmcnt(1)
	v_mul_f32_e32 v47, v180, v23
	v_fmac_f32_e32 v47, v181, v22
	v_add_f32_e32 v32, v32, v47
	s_waitcnt vmcnt(34)
	v_mul_f32_e32 v47, v182, v25
	buffer_load_dword v62, off, s[0:3], 0 offset:352
	buffer_load_dword v63, off, s[0:3], 0 offset:356
	v_fmac_f32_e32 v47, v183, v24
	v_add_f32_e32 v32, v32, v47
	s_waitcnt vmcnt(34) lgkmcnt(0)
	v_mul_f32_e32 v47, v184, v27
	v_fmac_f32_e32 v47, v185, v26
	v_add_f32_e32 v32, v32, v47
	s_waitcnt vmcnt(32)
	v_mul_f32_e32 v47, v186, v29
	ds_read2_b64 v[188:191], v116 offset0:87 offset1:88
	v_fmac_f32_e32 v47, v187, v28
	v_add_f32_e32 v32, v32, v47
	buffer_load_dword v47, off, s[0:3], 0 offset:360
	buffer_load_dword v64, off, s[0:3], 0 offset:364
	;; [unrolled: 1-line block ×6, first 2 shown]
	ds_read2_b64 v[192:195], v116 offset0:89 offset1:90
	s_waitcnt vmcnt(36) lgkmcnt(1)
	v_mul_f32_e32 v69, v188, v31
	v_fmac_f32_e32 v69, v189, v30
	v_add_f32_e32 v32, v32, v69
	buffer_load_dword v69, off, s[0:3], 0 offset:384
	buffer_load_dword v70, off, s[0:3], 0 offset:388
	;; [unrolled: 1-line block ×8, first 2 shown]
	s_waitcnt vmcnt(42)
	v_mul_f32_e32 v71, v190, v35
	v_fmac_f32_e32 v71, v191, v34
	v_add_f32_e32 v32, v32, v71
	s_waitcnt vmcnt(40) lgkmcnt(0)
	v_mul_f32_e32 v71, v192, v37
	v_fmac_f32_e32 v71, v193, v36
	v_add_f32_e32 v32, v32, v71
	buffer_load_dword v71, off, s[0:3], 0 offset:416
	buffer_load_dword v249, off, s[0:3], 0 offset:420
	;; [unrolled: 1-line block ×8, first 2 shown]
	ds_read2_b64 v[196:199], v116 offset0:91 offset1:92
	s_waitcnt vmcnt(46)
	v_mul_f32_e32 v200, v194, v39
	v_fmac_f32_e32 v200, v195, v38
	v_add_f32_e32 v32, v32, v200
	ds_read2_b64 v[200:203], v116 offset0:93 offset1:94
	buffer_load_dword v73, off, s[0:3], 0 offset:448
	buffer_load_dword v74, off, s[0:3], 0 offset:452
	s_waitcnt vmcnt(46) lgkmcnt(1)
	v_mul_f32_e32 v204, v196, v40
	v_fmac_f32_e32 v204, v197, v33
	v_add_f32_e32 v32, v32, v204
	s_waitcnt vmcnt(45)
	v_mul_f32_e32 v204, v198, v41
	s_waitcnt vmcnt(42)
	v_fmac_f32_e32 v204, v199, v44
	v_add_f32_e32 v32, v32, v204
	s_waitcnt lgkmcnt(0)
	v_mul_f32_e32 v204, v200, v43
	v_fmac_f32_e32 v204, v201, v42
	v_add_f32_e32 v32, v32, v204
	ds_read2_b64 v[204:207], v116 offset0:95 offset1:96
	s_waitcnt vmcnt(40)
	v_mul_f32_e32 v208, v202, v46
	v_fmac_f32_e32 v208, v203, v45
	v_add_f32_e32 v32, v32, v208
	ds_read2_b64 v[208:211], v116 offset0:97 offset1:98
	s_waitcnt vmcnt(38) lgkmcnt(1)
	v_mul_f32_e32 v212, v204, v49
	v_fmac_f32_e32 v212, v205, v48
	v_add_f32_e32 v32, v32, v212
	s_waitcnt vmcnt(37)
	v_mul_f32_e32 v212, v206, v50
	s_waitcnt vmcnt(34)
	v_fmac_f32_e32 v212, v207, v53
	v_add_f32_e32 v32, v32, v212
	s_waitcnt lgkmcnt(0)
	v_mul_f32_e32 v212, v208, v52
	v_fmac_f32_e32 v212, v209, v51
	v_add_f32_e32 v32, v32, v212
	ds_read2_b64 v[212:215], v116 offset0:99 offset1:100
	s_waitcnt vmcnt(32)
	v_mul_f32_e32 v216, v210, v55
	v_fmac_f32_e32 v216, v211, v54
	v_add_f32_e32 v32, v32, v216
	ds_read2_b64 v[216:219], v116 offset0:101 offset1:102
	s_waitcnt vmcnt(30) lgkmcnt(1)
	v_mul_f32_e32 v220, v212, v57
	v_fmac_f32_e32 v220, v213, v56
	v_add_f32_e32 v32, v32, v220
	s_waitcnt vmcnt(29)
	v_mul_f32_e32 v220, v214, v58
	s_waitcnt vmcnt(26)
	v_fmac_f32_e32 v220, v215, v61
	v_add_f32_e32 v32, v32, v220
	s_waitcnt lgkmcnt(0)
	v_mul_f32_e32 v220, v216, v60
	v_fmac_f32_e32 v220, v217, v59
	v_add_f32_e32 v32, v32, v220
	ds_read2_b64 v[220:223], v116 offset0:103 offset1:104
	s_waitcnt vmcnt(24)
	v_mul_f32_e32 v224, v218, v63
	v_fmac_f32_e32 v224, v219, v62
	v_add_f32_e32 v32, v32, v224
	ds_read2_b64 v[224:227], v116 offset0:105 offset1:106
	s_waitcnt vmcnt(22) lgkmcnt(1)
	v_mul_f32_e32 v228, v220, v64
	v_fmac_f32_e32 v228, v221, v47
	v_add_f32_e32 v32, v32, v228
	s_waitcnt vmcnt(21)
	v_mul_f32_e32 v228, v222, v65
	s_waitcnt vmcnt(18)
	v_fmac_f32_e32 v228, v223, v68
	v_add_f32_e32 v32, v32, v228
	s_waitcnt lgkmcnt(0)
	v_mul_f32_e32 v228, v224, v67
	v_fmac_f32_e32 v228, v225, v66
	v_add_f32_e32 v32, v32, v228
	ds_read2_b64 v[228:231], v116 offset0:107 offset1:108
	s_waitcnt vmcnt(16)
	v_mul_f32_e32 v232, v226, v70
	v_fmac_f32_e32 v232, v227, v69
	v_add_f32_e32 v32, v32, v232
	ds_read2_b64 v[232:235], v116 offset0:109 offset1:110
	s_waitcnt vmcnt(14) lgkmcnt(1)
	v_mul_f32_e32 v236, v228, v244
	v_fmac_f32_e32 v236, v229, v72
	v_add_f32_e32 v32, v32, v236
	s_waitcnt vmcnt(13)
	v_mul_f32_e32 v236, v230, v245
	s_waitcnt vmcnt(10)
	v_fmac_f32_e32 v236, v231, v248
	v_add_f32_e32 v32, v32, v236
	s_waitcnt lgkmcnt(0)
	v_mul_f32_e32 v236, v232, v247
	v_fmac_f32_e32 v236, v233, v246
	v_add_f32_e32 v32, v32, v236
	ds_read2_b64 v[236:239], v116 offset0:111 offset1:112
	s_waitcnt vmcnt(8)
	v_mul_f32_e32 v240, v234, v249
	v_fmac_f32_e32 v240, v235, v71
	v_add_f32_e32 v32, v32, v240
	ds_read2_b64 v[240:243], v116 offset0:113 offset1:114
	s_waitcnt vmcnt(6) lgkmcnt(1)
	v_mul_f32_e32 v116, v236, v251
	v_fmac_f32_e32 v116, v237, v250
	v_add_f32_e32 v32, v32, v116
	s_waitcnt vmcnt(5)
	v_mul_f32_e32 v116, v238, v252
	s_waitcnt vmcnt(2)
	v_fmac_f32_e32 v116, v239, v255
	v_add_f32_e32 v32, v32, v116
	s_waitcnt lgkmcnt(0)
	v_mul_f32_e32 v116, v240, v254
	v_fmac_f32_e32 v116, v241, v253
	v_add_f32_e32 v32, v32, v116
	s_waitcnt vmcnt(0)
	v_mul_f32_e32 v116, v242, v74
	v_fmac_f32_e32 v116, v243, v73
	v_add_f32_e32 v32, v32, v116
	v_mul_f32_e32 v116, v141, v125
	v_fma_f32 v3, v140, v3, -v116
	v_mul_f32_e32 v116, v143, v122
	v_add_f32_e32 v3, 0, v3
	v_fma_f32 v116, v142, v139, -v116
	v_add_f32_e32 v3, v3, v116
	v_mul_f32_e32 v116, v145, v121
	v_fma_f32 v116, v144, v136, -v116
	v_add_f32_e32 v3, v3, v116
	v_mul_f32_e32 v116, v147, v120
	;; [unrolled: 3-line block ×50, first 2 shown]
	v_fma_f32 v4, v242, v73, -v4
	v_add_f32_e32 v3, v3, v4
	v_sub_f32_e32 v3, v123, v3
	v_sub_f32_e32 v4, v124, v32
	buffer_store_dword v3, off, s[0:3], 0 offset:32
	buffer_store_dword v4, off, s[0:3], 0 offset:36
	s_and_saveexec_b64 s[4:5], vcc
	s_cbranch_execz .LBB120_349
; %bb.348:
	buffer_load_dword v3, off, s[0:3], 0 offset:24
	buffer_load_dword v4, off, s[0:3], 0 offset:28
	v_mov_b32_e32 v5, 0
	buffer_store_dword v5, off, s[0:3], 0 offset:24
	buffer_store_dword v5, off, s[0:3], 0 offset:28
	s_waitcnt vmcnt(2)
	ds_write_b64 v115, v[3:4]
.LBB120_349:
	s_or_b64 exec, exec, s[4:5]
	s_waitcnt lgkmcnt(0)
	; wave barrier
	buffer_load_dword v125, off, s[0:3], 0 offset:36
	buffer_load_dword v124, off, s[0:3], 0 offset:44
	;; [unrolled: 1-line block ×40, first 2 shown]
	v_mov_b32_e32 v116, 0
	buffer_load_dword v13, off, s[0:3], 0 offset:184
	buffer_load_dword v14, off, s[0:3], 0 offset:188
	;; [unrolled: 1-line block ×11, first 2 shown]
	ds_read_b128 v[153:156], v116 offset:496
	ds_read_b128 v[157:160], v116 offset:512
	;; [unrolled: 1-line block ×8, first 2 shown]
	v_cmp_lt_u32_e32 vcc, 2, v0
	s_waitcnt vmcnt(50) lgkmcnt(7)
	v_mul_f32_e32 v3, v153, v125
	s_waitcnt vmcnt(49)
	v_mul_f32_e32 v4, v155, v124
	s_waitcnt vmcnt(48) lgkmcnt(6)
	v_mul_f32_e32 v5, v157, v123
	s_waitcnt vmcnt(47)
	v_mul_f32_e32 v6, v159, v122
	;; [unrolled: 4-line block ×5, first 2 shown]
	s_waitcnt vmcnt(40) lgkmcnt(2)
	v_mul_f32_e32 v28, v173, v129
	s_waitcnt vmcnt(39)
	v_fmac_f32_e32 v5, v158, v136
	s_waitcnt vmcnt(38)
	v_fmac_f32_e32 v4, v156, v139
	;; [unrolled: 2-line block ×3, first 2 shown]
	v_add_f32_e32 v3, 0, v3
	v_add_f32_e32 v3, v3, v4
	;; [unrolled: 1-line block ×3, first 2 shown]
	s_waitcnt vmcnt(33)
	v_fmac_f32_e32 v6, v160, v140
	v_fmac_f32_e32 v7, v162, v138
	v_add_f32_e32 v3, v3, v6
	v_fmac_f32_e32 v8, v164, v135
	v_add_f32_e32 v3, v3, v7
	v_fmac_f32_e32 v24, v166, v132
	v_add_f32_e32 v3, v3, v8
	s_waitcnt vmcnt(29)
	v_fmac_f32_e32 v25, v168, v137
	v_add_f32_e32 v3, v3, v24
	v_fmac_f32_e32 v26, v170, v134
	v_add_f32_e32 v3, v3, v25
	;; [unrolled: 2-line block ×3, first 2 shown]
	buffer_load_dword v24, off, s[0:3], 0 offset:224
	buffer_load_dword v25, off, s[0:3], 0 offset:232
	;; [unrolled: 1-line block ×3, first 2 shown]
	v_fmac_f32_e32 v28, v174, v130
	v_add_f32_e32 v3, v3, v27
	v_add_f32_e32 v3, v3, v28
	buffer_load_dword v27, off, s[0:3], 0 offset:240
	buffer_load_dword v28, off, s[0:3], 0 offset:244
	ds_read_b128 v[185:188], v116 offset:624
	buffer_load_dword v29, off, s[0:3], 0 offset:248
	buffer_load_dword v30, off, s[0:3], 0 offset:252
	ds_read_b128 v[189:192], v116 offset:640
	;; [unrolled: 3-line block ×3, first 2 shown]
	buffer_load_dword v33, off, s[0:3], 0 offset:268
	buffer_load_dword v34, off, s[0:3], 0 offset:272
	;; [unrolled: 1-line block ×4, first 2 shown]
	ds_read_b128 v[197:200], v116 offset:672
	buffer_load_dword v37, off, s[0:3], 0 offset:280
	buffer_load_dword v38, off, s[0:3], 0 offset:284
	;; [unrolled: 1-line block ×16, first 2 shown]
	ds_read_b128 v[201:204], v116 offset:688
	buffer_load_dword v53, off, s[0:3], 0 offset:344
	buffer_load_dword v54, off, s[0:3], 0 offset:348
	ds_read_b128 v[205:208], v116 offset:704
	buffer_load_dword v55, off, s[0:3], 0 offset:352
	buffer_load_dword v56, off, s[0:3], 0 offset:356
	;; [unrolled: 1-line block ×16, first 2 shown]
	ds_read_b128 v[209:212], v116 offset:720
	buffer_load_dword v71, off, s[0:3], 0 offset:416
	buffer_load_dword v72, off, s[0:3], 0 offset:420
	;; [unrolled: 1-line block ×6, first 2 shown]
	s_waitcnt vmcnt(62)
	v_mul_f32_e32 v4, v175, v133
	v_fmac_f32_e32 v4, v176, v148
	v_add_f32_e32 v3, v3, v4
	s_waitcnt lgkmcnt(8)
	v_mul_f32_e32 v4, v177, v147
	ds_read_b128 v[213:216], v116 offset:736
	buffer_load_dword v255, off, s[0:3], 0 offset:444
	buffer_load_dword v75, off, s[0:3], 0 offset:448
	;; [unrolled: 1-line block ×4, first 2 shown]
	v_fmac_f32_e32 v4, v178, v145
	v_add_f32_e32 v3, v3, v4
	v_mul_f32_e32 v4, v179, v146
	v_fmac_f32_e32 v4, v180, v143
	v_add_f32_e32 v3, v3, v4
	s_waitcnt lgkmcnt(8)
	v_mul_f32_e32 v4, v181, v144
	v_fmac_f32_e32 v4, v182, v142
	v_add_f32_e32 v3, v3, v4
	v_mul_f32_e32 v4, v183, v149
	v_fmac_f32_e32 v4, v184, v12
	v_add_f32_e32 v3, v3, v4
	s_waitcnt lgkmcnt(7)
	v_mul_f32_e32 v4, v185, v151
	;; [unrolled: 7-line block ×3, first 2 shown]
	v_fmac_f32_e32 v4, v190, v10
	v_add_f32_e32 v3, v3, v4
	v_mul_f32_e32 v4, v191, v14
	v_fmac_f32_e32 v4, v192, v13
	v_add_f32_e32 v3, v3, v4
	s_waitcnt vmcnt(62) lgkmcnt(5)
	v_mul_f32_e32 v4, v193, v16
	v_fmac_f32_e32 v4, v194, v15
	v_add_f32_e32 v3, v3, v4
	v_mul_f32_e32 v4, v195, v18
	v_fmac_f32_e32 v4, v196, v17
	v_add_f32_e32 v3, v3, v4
	s_waitcnt vmcnt(60) lgkmcnt(4)
	v_mul_f32_e32 v4, v197, v20
	v_fmac_f32_e32 v4, v198, v19
	v_add_f32_e32 v3, v3, v4
	s_waitcnt vmcnt(58)
	v_mul_f32_e32 v4, v199, v22
	v_fmac_f32_e32 v4, v200, v21
	v_add_f32_e32 v3, v3, v4
	s_waitcnt vmcnt(57) lgkmcnt(3)
	v_mul_f32_e32 v4, v201, v23
	ds_read_b128 v[217:220], v116 offset:752
	ds_read_b128 v[221:224], v116 offset:768
	;; [unrolled: 1-line block ×9, first 2 shown]
	v_mul_f32_e32 v80, v156, v124
	v_fma_f32 v80, v155, v139, -v80
	s_waitcnt vmcnt(56)
	v_fmac_f32_e32 v4, v202, v24
	v_add_f32_e32 v3, v3, v4
	s_waitcnt vmcnt(54)
	v_mul_f32_e32 v4, v203, v26
	v_fmac_f32_e32 v4, v204, v25
	v_add_f32_e32 v3, v3, v4
	v_mul_f32_e32 v9, v188, v9
	s_waitcnt vmcnt(52) lgkmcnt(11)
	v_mul_f32_e32 v4, v205, v28
	v_fmac_f32_e32 v4, v206, v27
	v_add_f32_e32 v3, v3, v4
	s_waitcnt vmcnt(50)
	v_mul_f32_e32 v4, v207, v30
	v_fmac_f32_e32 v4, v208, v29
	v_add_f32_e32 v3, v3, v4
	s_waitcnt vmcnt(48) lgkmcnt(10)
	v_mul_f32_e32 v4, v209, v32
	v_fmac_f32_e32 v4, v210, v31
	v_add_f32_e32 v3, v3, v4
	s_waitcnt vmcnt(47)
	v_mul_f32_e32 v4, v211, v33
	s_waitcnt vmcnt(44)
	v_fmac_f32_e32 v4, v212, v36
	v_add_f32_e32 v3, v3, v4
	s_waitcnt lgkmcnt(9)
	v_mul_f32_e32 v4, v213, v35
	v_fmac_f32_e32 v4, v214, v34
	v_add_f32_e32 v3, v3, v4
	s_waitcnt vmcnt(42)
	v_mul_f32_e32 v4, v215, v38
	v_fmac_f32_e32 v4, v216, v37
	v_add_f32_e32 v3, v3, v4
	s_waitcnt vmcnt(40) lgkmcnt(8)
	v_mul_f32_e32 v4, v217, v40
	v_fmac_f32_e32 v4, v218, v39
	v_add_f32_e32 v3, v3, v4
	s_waitcnt vmcnt(39)
	v_mul_f32_e32 v4, v219, v41
	s_waitcnt vmcnt(36)
	v_fmac_f32_e32 v4, v220, v44
	v_add_f32_e32 v3, v3, v4
	s_waitcnt lgkmcnt(7)
	;; [unrolled: 17-line block ×5, first 2 shown]
	v_mul_f32_e32 v4, v245, v67
	v_fmac_f32_e32 v4, v246, v66
	v_add_f32_e32 v3, v3, v4
	s_waitcnt vmcnt(10)
	v_mul_f32_e32 v4, v247, v70
	v_fmac_f32_e32 v4, v248, v69
	v_add_f32_e32 v7, v3, v4
	ds_read_b128 v[3:6], v116 offset:896
	s_waitcnt vmcnt(8) lgkmcnt(1)
	v_mul_f32_e32 v8, v249, v72
	v_fmac_f32_e32 v8, v250, v71
	v_add_f32_e32 v7, v7, v8
	s_waitcnt vmcnt(7)
	v_mul_f32_e32 v8, v251, v73
	s_waitcnt vmcnt(4)
	v_fmac_f32_e32 v8, v252, v254
	v_add_f32_e32 v78, v7, v8
	ds_read_b64 v[7:8], v116 offset:912
	s_waitcnt lgkmcnt(1)
	v_mul_f32_e32 v79, v3, v253
	v_fmac_f32_e32 v79, v4, v74
	v_add_f32_e32 v78, v78, v79
	s_waitcnt vmcnt(3)
	v_mul_f32_e32 v79, v5, v255
	s_waitcnt vmcnt(0)
	v_fmac_f32_e32 v79, v6, v77
	v_add_f32_e32 v78, v78, v79
	s_waitcnt lgkmcnt(0)
	v_mul_f32_e32 v79, v7, v76
	v_fmac_f32_e32 v79, v8, v75
	v_add_f32_e32 v78, v78, v79
	v_mul_f32_e32 v79, v154, v125
	v_fma_f32 v79, v153, v141, -v79
	v_add_f32_e32 v79, 0, v79
	v_add_f32_e32 v79, v79, v80
	v_mul_f32_e32 v80, v158, v123
	v_fma_f32 v80, v157, v136, -v80
	v_add_f32_e32 v79, v79, v80
	v_mul_f32_e32 v80, v160, v122
	v_fma_f32 v80, v159, v140, -v80
	;; [unrolled: 3-line block ×15, first 2 shown]
	v_add_f32_e32 v12, v12, v79
	v_fma_f32 v9, v187, v152, -v9
	v_mul_f32_e32 v11, v190, v11
	v_add_f32_e32 v9, v12, v9
	v_fma_f32 v10, v189, v10, -v11
	v_add_f32_e32 v9, v9, v10
	v_mul_f32_e32 v10, v192, v14
	v_fma_f32 v10, v191, v13, -v10
	v_add_f32_e32 v9, v9, v10
	v_mul_f32_e32 v10, v194, v16
	;; [unrolled: 3-line block ×31, first 2 shown]
	v_fma_f32 v10, v251, v254, -v10
	v_mul_f32_e32 v4, v4, v253
	v_add_f32_e32 v9, v9, v10
	v_fma_f32 v3, v3, v74, -v4
	v_mul_f32_e32 v4, v6, v255
	v_add_f32_e32 v3, v9, v3
	v_fma_f32 v4, v5, v77, -v4
	v_add_f32_e32 v3, v3, v4
	v_mul_f32_e32 v4, v8, v76
	v_fma_f32 v4, v7, v75, -v4
	v_add_f32_e32 v3, v3, v4
	v_sub_f32_e32 v3, v117, v3
	v_sub_f32_e32 v4, v118, v78
	buffer_store_dword v3, off, s[0:3], 0 offset:24
	buffer_store_dword v4, off, s[0:3], 0 offset:28
	s_and_saveexec_b64 s[4:5], vcc
	s_cbranch_execz .LBB120_351
; %bb.350:
	buffer_load_dword v3, off, s[0:3], 0 offset:16
	buffer_load_dword v4, off, s[0:3], 0 offset:20
	s_waitcnt vmcnt(0)
	ds_write_b64 v115, v[3:4]
	buffer_store_dword v116, off, s[0:3], 0 offset:16
	buffer_store_dword v116, off, s[0:3], 0 offset:20
.LBB120_351:
	s_or_b64 exec, exec, s[4:5]
	s_waitcnt lgkmcnt(0)
	; wave barrier
	buffer_load_dword v125, off, s[0:3], 0 offset:28
	buffer_load_dword v124, off, s[0:3], 0 offset:36
	;; [unrolled: 1-line block ×40, first 2 shown]
	ds_read2_b64 v[3:6], v116 offset0:61 offset1:62
	ds_read2_b64 v[150:153], v116 offset0:63 offset1:64
	;; [unrolled: 1-line block ×6, first 2 shown]
	buffer_load_dword v14, off, s[0:3], 0 offset:176
	buffer_load_dword v15, off, s[0:3], 0 offset:180
	;; [unrolled: 1-line block ×12, first 2 shown]
	ds_read2_b64 v[170:173], v116 offset0:73 offset1:74
	ds_read2_b64 v[174:177], v116 offset0:75 offset1:76
	v_cmp_lt_u32_e32 vcc, 1, v0
	s_waitcnt vmcnt(51) lgkmcnt(7)
	v_mul_f32_e32 v26, v3, v125
	s_waitcnt vmcnt(50)
	v_mul_f32_e32 v27, v5, v124
	s_waitcnt vmcnt(49) lgkmcnt(6)
	v_mul_f32_e32 v28, v150, v123
	s_waitcnt vmcnt(48)
	v_mul_f32_e32 v29, v152, v122
	s_waitcnt vmcnt(47) lgkmcnt(5)
	v_mul_f32_e32 v30, v154, v121
	s_waitcnt vmcnt(46)
	v_mul_f32_e32 v31, v156, v118
	s_waitcnt vmcnt(45) lgkmcnt(4)
	v_mul_f32_e32 v32, v158, v117
	s_waitcnt vmcnt(44)
	v_mul_f32_e32 v33, v160, v126
	s_waitcnt vmcnt(43) lgkmcnt(3)
	v_mul_f32_e32 v34, v162, v127
	s_waitcnt vmcnt(42)
	v_mul_f32_e32 v35, v164, v128
	s_waitcnt vmcnt(41) lgkmcnt(2)
	v_mul_f32_e32 v36, v166, v129
	s_waitcnt vmcnt(40)
	v_fmac_f32_e32 v28, v151, v136
	s_waitcnt vmcnt(39)
	v_fmac_f32_e32 v27, v6, v139
	;; [unrolled: 2-line block ×3, first 2 shown]
	v_add_f32_e32 v26, 0, v26
	v_add_f32_e32 v26, v26, v27
	;; [unrolled: 1-line block ×3, first 2 shown]
	s_waitcnt vmcnt(34)
	v_fmac_f32_e32 v29, v153, v140
	v_fmac_f32_e32 v30, v155, v138
	v_add_f32_e32 v26, v26, v29
	v_fmac_f32_e32 v31, v157, v135
	v_add_f32_e32 v26, v26, v30
	;; [unrolled: 2-line block ×3, first 2 shown]
	s_waitcnt vmcnt(30)
	v_fmac_f32_e32 v33, v161, v137
	v_add_f32_e32 v26, v26, v32
	v_fmac_f32_e32 v34, v163, v134
	v_add_f32_e32 v26, v26, v33
	;; [unrolled: 2-line block ×4, first 2 shown]
	s_waitcnt vmcnt(29)
	v_mul_f32_e32 v27, v168, v133
	v_add_f32_e32 v26, v26, v36
	s_waitcnt vmcnt(25)
	v_fmac_f32_e32 v27, v169, v148
	v_add_f32_e32 v26, v26, v27
	s_waitcnt vmcnt(24) lgkmcnt(1)
	v_mul_f32_e32 v27, v170, v147
	buffer_load_dword v28, off, s[0:3], 0 offset:228
	buffer_load_dword v29, off, s[0:3], 0 offset:224
	;; [unrolled: 1-line block ×4, first 2 shown]
	v_fmac_f32_e32 v27, v171, v145
	v_add_f32_e32 v26, v26, v27
	s_waitcnt vmcnt(27)
	v_mul_f32_e32 v27, v172, v146
	v_fmac_f32_e32 v27, v173, v143
	v_add_f32_e32 v26, v26, v27
	buffer_load_dword v27, off, s[0:3], 0 offset:240
	buffer_load_dword v32, off, s[0:3], 0 offset:244
	ds_read2_b64 v[178:181], v116 offset0:77 offset1:78
	ds_read2_b64 v[182:185], v116 offset0:79 offset1:80
	s_waitcnt vmcnt(28) lgkmcnt(2)
	v_mul_f32_e32 v33, v174, v144
	v_fmac_f32_e32 v33, v175, v142
	v_add_f32_e32 v26, v26, v33
	s_waitcnt vmcnt(27)
	v_mul_f32_e32 v33, v176, v149
	s_waitcnt vmcnt(21)
	v_fmac_f32_e32 v33, v177, v12
	v_add_f32_e32 v26, v26, v33
	s_waitcnt vmcnt(20) lgkmcnt(1)
	v_mul_f32_e32 v33, v178, v13
	v_fmac_f32_e32 v33, v179, v11
	v_add_f32_e32 v26, v26, v33
	v_mul_f32_e32 v33, v180, v8
	buffer_load_dword v34, off, s[0:3], 0 offset:252
	v_fmac_f32_e32 v33, v181, v7
	buffer_load_dword v35, off, s[0:3], 0 offset:248
	buffer_load_dword v36, off, s[0:3], 0 offset:256
	;; [unrolled: 1-line block ×3, first 2 shown]
	ds_read2_b64 v[186:189], v116 offset0:81 offset1:82
	v_add_f32_e32 v26, v26, v33
	s_waitcnt lgkmcnt(1)
	v_mul_f32_e32 v33, v182, v10
	v_fmac_f32_e32 v33, v183, v9
	v_add_f32_e32 v26, v26, v33
	s_waitcnt vmcnt(20)
	v_mul_f32_e32 v33, v184, v15
	v_fmac_f32_e32 v33, v185, v14
	buffer_load_dword v38, off, s[0:3], 0 offset:264
	buffer_load_dword v39, off, s[0:3], 0 offset:268
	v_add_f32_e32 v26, v26, v33
	s_waitcnt vmcnt(20) lgkmcnt(0)
	v_mul_f32_e32 v33, v186, v17
	v_fmac_f32_e32 v33, v187, v16
	ds_read2_b64 v[190:193], v116 offset0:83 offset1:84
	v_add_f32_e32 v26, v26, v33
	buffer_load_dword v33, off, s[0:3], 0 offset:272
	buffer_load_dword v40, off, s[0:3], 0 offset:276
	s_waitcnt vmcnt(20)
	v_mul_f32_e32 v41, v188, v19
	v_fmac_f32_e32 v41, v189, v18
	buffer_load_dword v42, off, s[0:3], 0 offset:280
	buffer_load_dword v43, off, s[0:3], 0 offset:284
	;; [unrolled: 1-line block ×6, first 2 shown]
	v_add_f32_e32 v26, v26, v41
	s_waitcnt vmcnt(24) lgkmcnt(0)
	v_mul_f32_e32 v41, v190, v21
	v_fmac_f32_e32 v41, v191, v20
	v_add_f32_e32 v26, v26, v41
	buffer_load_dword v41, off, s[0:3], 0 offset:304
	buffer_load_dword v48, off, s[0:3], 0 offset:308
	ds_read2_b64 v[194:197], v116 offset0:85 offset1:86
	buffer_load_dword v50, off, s[0:3], 0 offset:312
	buffer_load_dword v51, off, s[0:3], 0 offset:316
	;; [unrolled: 1-line block ×6, first 2 shown]
	ds_read2_b64 v[198:201], v116 offset0:87 offset1:88
	buffer_load_dword v56, off, s[0:3], 0 offset:336
	buffer_load_dword v57, off, s[0:3], 0 offset:340
	s_waitcnt vmcnt(32)
	v_mul_f32_e32 v49, v192, v23
	v_fmac_f32_e32 v49, v193, v22
	v_add_f32_e32 v26, v26, v49
	s_waitcnt vmcnt(30) lgkmcnt(1)
	v_mul_f32_e32 v49, v194, v25
	v_mul_f32_e32 v4, v4, v125
	v_fmac_f32_e32 v49, v195, v24
	v_fma_f32 v3, v3, v141, -v4
	v_mul_f32_e32 v4, v6, v124
	v_add_f32_e32 v26, v26, v49
	buffer_load_dword v49, off, s[0:3], 0 offset:344
	buffer_load_dword v58, off, s[0:3], 0 offset:348
	;; [unrolled: 1-line block ×6, first 2 shown]
	v_add_f32_e32 v3, 0, v3
	v_fma_f32 v4, v5, v139, -v4
	v_add_f32_e32 v3, v3, v4
	v_mul_f32_e32 v4, v151, v123
	v_fma_f32 v4, v150, v136, -v4
	buffer_load_dword v64, off, s[0:3], 0 offset:368
	buffer_load_dword v65, off, s[0:3], 0 offset:372
	v_add_f32_e32 v3, v3, v4
	v_mul_f32_e32 v4, v153, v122
	v_fma_f32 v4, v152, v140, -v4
	v_add_f32_e32 v3, v3, v4
	v_mul_f32_e32 v4, v155, v121
	v_fma_f32 v4, v154, v138, -v4
	v_add_f32_e32 v3, v3, v4
	v_mul_f32_e32 v4, v157, v118
	v_fma_f32 v4, v156, v135, -v4
	v_add_f32_e32 v3, v3, v4
	v_mul_f32_e32 v4, v159, v117
	v_fma_f32 v4, v158, v132, -v4
	v_add_f32_e32 v3, v3, v4
	s_waitcnt vmcnt(37)
	v_mul_f32_e32 v63, v196, v28
	s_waitcnt vmcnt(36)
	v_fmac_f32_e32 v63, v197, v29
	v_add_f32_e32 v26, v26, v63
	s_waitcnt vmcnt(34) lgkmcnt(0)
	v_mul_f32_e32 v63, v198, v31
	v_fmac_f32_e32 v63, v199, v30
	v_add_f32_e32 v26, v26, v63
	buffer_load_dword v63, off, s[0:3], 0 offset:376
	buffer_load_dword v66, off, s[0:3], 0 offset:380
	;; [unrolled: 1-line block ×6, first 2 shown]
	ds_read2_b64 v[202:205], v116 offset0:89 offset1:90
	v_mul_f32_e32 v4, v161, v126
	s_waitcnt vmcnt(38)
	v_mul_f32_e32 v71, v200, v32
	v_fmac_f32_e32 v71, v201, v27
	v_add_f32_e32 v26, v26, v71
	buffer_load_dword v71, off, s[0:3], 0 offset:400
	buffer_load_dword v72, off, s[0:3], 0 offset:404
	v_fma_f32 v4, v160, v137, -v4
	v_add_f32_e32 v3, v3, v4
	v_mul_f32_e32 v4, v163, v127
	v_fma_f32 v4, v162, v134, -v4
	v_add_f32_e32 v3, v3, v4
	v_mul_f32_e32 v4, v165, v128
	ds_read2_b64 v[206:209], v116 offset0:91 offset1:92
	buffer_load_dword v74, off, s[0:3], 0 offset:408
	buffer_load_dword v75, off, s[0:3], 0 offset:412
	;; [unrolled: 1-line block ×6, first 2 shown]
	v_fma_f32 v4, v164, v131, -v4
	v_add_f32_e32 v3, v3, v4
	v_mul_f32_e32 v4, v167, v129
	v_fma_f32 v4, v166, v130, -v4
	v_add_f32_e32 v3, v3, v4
	v_mul_f32_e32 v4, v169, v133
	;; [unrolled: 3-line block ×3, first 2 shown]
	buffer_load_dword v80, off, s[0:3], 0 offset:432
	buffer_load_dword v254, off, s[0:3], 0 offset:436
	;; [unrolled: 1-line block ×6, first 2 shown]
	v_fma_f32 v4, v170, v145, -v4
	v_add_f32_e32 v3, v3, v4
	v_mul_f32_e32 v4, v173, v146
	v_fma_f32 v4, v172, v143, -v4
	v_add_f32_e32 v3, v3, v4
	v_mul_f32_e32 v4, v175, v144
	;; [unrolled: 3-line block ×15, first 2 shown]
	v_fma_f32 v4, v200, v27, -v4
	v_add_f32_e32 v3, v3, v4
	s_waitcnt vmcnt(51) lgkmcnt(1)
	v_mul_f32_e32 v4, v203, v34
	v_mul_f32_e32 v73, v202, v34
	s_waitcnt vmcnt(50)
	v_fma_f32 v4, v202, v35, -v4
	v_fmac_f32_e32 v73, v203, v35
	v_add_f32_e32 v3, v3, v4
	s_waitcnt vmcnt(48)
	v_mul_f32_e32 v4, v205, v37
	v_add_f32_e32 v26, v26, v73
	v_mul_f32_e32 v73, v204, v37
	ds_read2_b64 v[210:213], v116 offset0:93 offset1:94
	ds_read2_b64 v[214:217], v116 offset0:95 offset1:96
	v_fma_f32 v4, v204, v36, -v4
	v_fmac_f32_e32 v73, v205, v36
	v_add_f32_e32 v3, v3, v4
	s_waitcnt vmcnt(46) lgkmcnt(2)
	v_mul_f32_e32 v4, v207, v39
	v_add_f32_e32 v26, v26, v73
	v_mul_f32_e32 v73, v206, v39
	v_fma_f32 v4, v206, v38, -v4
	v_fmac_f32_e32 v73, v207, v38
	v_add_f32_e32 v3, v3, v4
	s_waitcnt vmcnt(44)
	v_mul_f32_e32 v4, v209, v40
	v_add_f32_e32 v26, v26, v73
	v_mul_f32_e32 v73, v208, v40
	v_fma_f32 v4, v208, v33, -v4
	v_fmac_f32_e32 v73, v209, v33
	v_add_f32_e32 v3, v3, v4
	s_waitcnt vmcnt(42) lgkmcnt(1)
	v_mul_f32_e32 v4, v211, v43
	v_add_f32_e32 v26, v26, v73
	v_mul_f32_e32 v73, v210, v43
	v_fma_f32 v4, v210, v42, -v4
	v_fmac_f32_e32 v73, v211, v42
	v_add_f32_e32 v3, v3, v4
	s_waitcnt vmcnt(41)
	v_mul_f32_e32 v4, v213, v44
	v_add_f32_e32 v26, v26, v73
	v_mul_f32_e32 v73, v212, v44
	ds_read2_b64 v[218:221], v116 offset0:97 offset1:98
	ds_read2_b64 v[222:225], v116 offset0:99 offset1:100
	s_waitcnt vmcnt(38)
	v_fma_f32 v4, v212, v47, -v4
	v_fmac_f32_e32 v73, v213, v47
	v_add_f32_e32 v3, v3, v4
	s_waitcnt lgkmcnt(2)
	v_mul_f32_e32 v4, v215, v46
	v_add_f32_e32 v26, v26, v73
	v_mul_f32_e32 v73, v214, v46
	v_fma_f32 v4, v214, v45, -v4
	v_fmac_f32_e32 v73, v215, v45
	v_add_f32_e32 v3, v3, v4
	s_waitcnt vmcnt(36)
	v_mul_f32_e32 v4, v217, v48
	v_add_f32_e32 v26, v26, v73
	v_mul_f32_e32 v73, v216, v48
	v_fma_f32 v4, v216, v41, -v4
	v_fmac_f32_e32 v73, v217, v41
	v_add_f32_e32 v3, v3, v4
	s_waitcnt vmcnt(34) lgkmcnt(1)
	v_mul_f32_e32 v4, v219, v51
	v_add_f32_e32 v26, v26, v73
	v_mul_f32_e32 v73, v218, v51
	v_fma_f32 v4, v218, v50, -v4
	v_fmac_f32_e32 v73, v219, v50
	v_add_f32_e32 v3, v3, v4
	s_waitcnt vmcnt(33)
	v_mul_f32_e32 v4, v221, v52
	v_add_f32_e32 v26, v26, v73
	v_mul_f32_e32 v73, v220, v52
	ds_read2_b64 v[226:229], v116 offset0:101 offset1:102
	ds_read2_b64 v[230:233], v116 offset0:103 offset1:104
	s_waitcnt vmcnt(30)
	v_fma_f32 v4, v220, v55, -v4
	v_fmac_f32_e32 v73, v221, v55
	v_add_f32_e32 v3, v3, v4
	s_waitcnt lgkmcnt(2)
	;; [unrolled: 31-line block ×4, first 2 shown]
	v_mul_f32_e32 v4, v239, v69
	v_add_f32_e32 v26, v26, v73
	v_mul_f32_e32 v73, v238, v69
	v_fma_f32 v4, v238, v68, -v4
	v_fmac_f32_e32 v73, v239, v68
	v_add_f32_e32 v3, v3, v4
	s_waitcnt vmcnt(12)
	v_mul_f32_e32 v4, v241, v72
	v_add_f32_e32 v26, v26, v73
	v_mul_f32_e32 v73, v240, v72
	v_fma_f32 v4, v240, v71, -v4
	v_fmac_f32_e32 v73, v241, v71
	v_add_f32_e32 v3, v3, v4
	s_waitcnt vmcnt(10) lgkmcnt(1)
	v_mul_f32_e32 v4, v243, v75
	v_add_f32_e32 v26, v26, v73
	v_mul_f32_e32 v73, v242, v75
	v_fma_f32 v4, v242, v74, -v4
	v_fmac_f32_e32 v73, v243, v74
	v_add_f32_e32 v3, v3, v4
	s_waitcnt vmcnt(9)
	v_mul_f32_e32 v4, v245, v76
	v_add_f32_e32 v26, v26, v73
	v_mul_f32_e32 v73, v244, v76
	ds_read2_b64 v[250:253], v116 offset0:113 offset1:114
	s_waitcnt vmcnt(6)
	v_fma_f32 v4, v244, v79, -v4
	v_fmac_f32_e32 v73, v245, v79
	v_add_f32_e32 v3, v3, v4
	s_waitcnt lgkmcnt(1)
	v_mul_f32_e32 v4, v247, v78
	v_add_f32_e32 v26, v26, v73
	v_mul_f32_e32 v73, v246, v78
	v_fma_f32 v4, v246, v77, -v4
	v_fmac_f32_e32 v73, v247, v77
	v_add_f32_e32 v3, v3, v4
	s_waitcnt vmcnt(4)
	v_mul_f32_e32 v4, v249, v254
	v_add_f32_e32 v26, v26, v73
	v_mul_f32_e32 v73, v248, v254
	v_fma_f32 v4, v248, v80, -v4
	v_fmac_f32_e32 v73, v249, v80
	v_add_f32_e32 v3, v3, v4
	s_waitcnt vmcnt(3) lgkmcnt(0)
	v_mul_f32_e32 v4, v251, v255
	v_add_f32_e32 v26, v26, v73
	v_mul_f32_e32 v73, v250, v255
	s_waitcnt vmcnt(0)
	v_fma_f32 v4, v250, v83, -v4
	v_fmac_f32_e32 v73, v251, v83
	v_add_f32_e32 v3, v3, v4
	v_mul_f32_e32 v4, v253, v82
	v_add_f32_e32 v26, v26, v73
	v_mul_f32_e32 v73, v252, v82
	v_fma_f32 v4, v252, v81, -v4
	v_fmac_f32_e32 v73, v253, v81
	v_add_f32_e32 v3, v3, v4
	v_add_f32_e32 v26, v26, v73
	v_sub_f32_e32 v3, v119, v3
	v_sub_f32_e32 v4, v120, v26
	buffer_store_dword v3, off, s[0:3], 0 offset:16
	buffer_store_dword v4, off, s[0:3], 0 offset:20
	s_and_saveexec_b64 s[4:5], vcc
	s_cbranch_execz .LBB120_353
; %bb.352:
	buffer_load_dword v3, off, s[0:3], 0 offset:8
	buffer_load_dword v4, off, s[0:3], 0 offset:12
	v_mov_b32_e32 v5, 0
	buffer_store_dword v5, off, s[0:3], 0 offset:8
	buffer_store_dword v5, off, s[0:3], 0 offset:12
	s_waitcnt vmcnt(2)
	ds_write_b64 v115, v[3:4]
.LBB120_353:
	s_or_b64 exec, exec, s[4:5]
	s_waitcnt lgkmcnt(0)
	; wave barrier
	buffer_load_dword v125, off, s[0:3], 0 offset:20
	buffer_load_dword v124, off, s[0:3], 0 offset:28
	;; [unrolled: 1-line block ×40, first 2 shown]
	v_mov_b32_e32 v116, 0
	buffer_load_dword v14, off, s[0:3], 0 offset:168
	buffer_load_dword v15, off, s[0:3], 0 offset:172
	;; [unrolled: 1-line block ×12, first 2 shown]
	ds_read_b128 v[3:6], v116 offset:480
	ds_read_b128 v[156:159], v116 offset:496
	;; [unrolled: 1-line block ×6, first 2 shown]
	v_cmp_ne_u32_e32 vcc, 0, v0
	s_waitcnt vmcnt(51) lgkmcnt(5)
	v_mul_f32_e32 v7, v3, v125
	s_waitcnt vmcnt(50)
	v_mul_f32_e32 v8, v5, v124
	s_waitcnt vmcnt(49) lgkmcnt(4)
	v_mul_f32_e32 v9, v156, v123
	s_waitcnt vmcnt(48)
	v_mul_f32_e32 v10, v158, v122
	;; [unrolled: 4-line block ×5, first 2 shown]
	s_waitcnt vmcnt(41) lgkmcnt(0)
	v_mul_f32_e32 v30, v172, v129
	s_waitcnt vmcnt(40)
	v_fmac_f32_e32 v9, v157, v136
	s_waitcnt vmcnt(39)
	v_fmac_f32_e32 v8, v6, v139
	s_waitcnt vmcnt(38)
	v_fmac_f32_e32 v7, v4, v141
	v_add_f32_e32 v7, 0, v7
	v_add_f32_e32 v7, v7, v8
	;; [unrolled: 1-line block ×3, first 2 shown]
	s_waitcnt vmcnt(34)
	v_fmac_f32_e32 v10, v159, v140
	v_fmac_f32_e32 v11, v161, v138
	v_add_f32_e32 v7, v7, v10
	v_fmac_f32_e32 v12, v163, v135
	v_add_f32_e32 v7, v7, v11
	;; [unrolled: 2-line block ×3, first 2 shown]
	s_waitcnt vmcnt(30)
	v_fmac_f32_e32 v27, v167, v137
	v_add_f32_e32 v7, v7, v26
	v_fmac_f32_e32 v28, v169, v134
	v_add_f32_e32 v7, v7, v27
	buffer_load_dword v26, off, s[0:3], 0 offset:216
	buffer_load_dword v27, off, s[0:3], 0 offset:220
	v_fmac_f32_e32 v29, v171, v131
	v_add_f32_e32 v7, v7, v28
	v_add_f32_e32 v7, v7, v29
	ds_read_b128 v[176:179], v116 offset:576
	buffer_load_dword v28, off, s[0:3], 0 offset:224
	buffer_load_dword v29, off, s[0:3], 0 offset:228
	v_fmac_f32_e32 v30, v173, v130
	v_add_f32_e32 v7, v7, v30
	ds_read_b128 v[180:183], v116 offset:592
	buffer_load_dword v30, off, s[0:3], 0 offset:232
	buffer_load_dword v31, off, s[0:3], 0 offset:236
	ds_read_b128 v[184:187], v116 offset:608
	buffer_load_dword v32, off, s[0:3], 0 offset:240
	buffer_load_dword v33, off, s[0:3], 0 offset:244
	;; [unrolled: 3-line block ×3, first 2 shown]
	buffer_load_dword v36, off, s[0:3], 0 offset:256
	buffer_load_dword v37, off, s[0:3], 0 offset:260
	ds_read_b128 v[192:195], v116 offset:640
	ds_read_b128 v[196:199], v116 offset:656
	buffer_load_dword v38, off, s[0:3], 0 offset:264
	buffer_load_dword v39, off, s[0:3], 0 offset:268
	;; [unrolled: 1-line block ×10, first 2 shown]
	ds_read_b128 v[200:203], v116 offset:672
	buffer_load_dword v48, off, s[0:3], 0 offset:304
	buffer_load_dword v49, off, s[0:3], 0 offset:308
	;; [unrolled: 1-line block ×6, first 2 shown]
	ds_read_b128 v[204:207], v116 offset:688
	buffer_load_dword v54, off, s[0:3], 0 offset:328
	buffer_load_dword v55, off, s[0:3], 0 offset:332
	buffer_load_dword v56, off, s[0:3], 0 offset:336
	buffer_load_dword v57, off, s[0:3], 0 offset:340
	buffer_load_dword v58, off, s[0:3], 0 offset:348
	buffer_load_dword v59, off, s[0:3], 0 offset:352
	buffer_load_dword v60, off, s[0:3], 0 offset:356
	buffer_load_dword v61, off, s[0:3], 0 offset:344
	v_mul_f32_e32 v4, v4, v125
	v_fma_f32 v3, v3, v141, -v4
	v_mul_f32_e32 v4, v6, v124
	buffer_load_dword v62, off, s[0:3], 0 offset:360
	buffer_load_dword v63, off, s[0:3], 0 offset:364
	v_add_f32_e32 v3, 0, v3
	v_fma_f32 v4, v5, v139, -v4
	v_add_f32_e32 v3, v3, v4
	v_mul_f32_e32 v4, v157, v123
	v_fma_f32 v4, v156, v136, -v4
	v_add_f32_e32 v3, v3, v4
	v_mul_f32_e32 v4, v159, v122
	v_fma_f32 v4, v158, v140, -v4
	ds_read_b128 v[208:211], v116 offset:704
	buffer_load_dword v64, off, s[0:3], 0 offset:368
	buffer_load_dword v65, off, s[0:3], 0 offset:372
	;; [unrolled: 1-line block ×6, first 2 shown]
	v_add_f32_e32 v3, v3, v4
	v_mul_f32_e32 v4, v161, v121
	v_fma_f32 v4, v160, v138, -v4
	v_add_f32_e32 v3, v3, v4
	v_mul_f32_e32 v4, v163, v120
	ds_read_b128 v[212:215], v116 offset:720
	buffer_load_dword v70, off, s[0:3], 0 offset:392
	buffer_load_dword v71, off, s[0:3], 0 offset:396
	v_fma_f32 v4, v162, v135, -v4
	v_add_f32_e32 v3, v3, v4
	v_mul_f32_e32 v4, v165, v119
	v_fma_f32 v4, v164, v132, -v4
	v_add_f32_e32 v3, v3, v4
	v_mul_f32_e32 v4, v167, v126
	v_fma_f32 v4, v166, v137, -v4
	buffer_load_dword v72, off, s[0:3], 0 offset:400
	buffer_load_dword v73, off, s[0:3], 0 offset:404
	;; [unrolled: 1-line block ×6, first 2 shown]
	v_add_f32_e32 v3, v3, v4
	v_mul_f32_e32 v4, v169, v127
	v_fma_f32 v4, v168, v134, -v4
	v_add_f32_e32 v3, v3, v4
	v_mul_f32_e32 v4, v171, v128
	s_waitcnt vmcnt(62)
	v_mul_f32_e32 v8, v174, v133
	v_fma_f32 v4, v170, v131, -v4
	v_fmac_f32_e32 v8, v175, v149
	v_add_f32_e32 v3, v3, v4
	v_mul_f32_e32 v4, v173, v129
	v_add_f32_e32 v7, v7, v8
	s_waitcnt lgkmcnt(9)
	v_mul_f32_e32 v8, v176, v147
	buffer_load_dword v78, off, s[0:3], 0 offset:424
	buffer_load_dword v79, off, s[0:3], 0 offset:428
	v_fma_f32 v4, v172, v130, -v4
	v_fmac_f32_e32 v8, v177, v145
	v_add_f32_e32 v3, v3, v4
	v_mul_f32_e32 v4, v175, v133
	v_add_f32_e32 v7, v7, v8
	v_mul_f32_e32 v8, v178, v146
	v_fma_f32 v4, v174, v149, -v4
	v_fmac_f32_e32 v8, v179, v144
	v_add_f32_e32 v3, v3, v4
	v_mul_f32_e32 v4, v177, v147
	v_add_f32_e32 v7, v7, v8
	s_waitcnt lgkmcnt(8)
	v_mul_f32_e32 v8, v180, v143
	v_fma_f32 v4, v176, v145, -v4
	v_fmac_f32_e32 v8, v181, v142
	v_add_f32_e32 v3, v3, v4
	v_mul_f32_e32 v4, v179, v146
	v_add_f32_e32 v7, v7, v8
	v_mul_f32_e32 v8, v182, v148
	buffer_load_dword v80, off, s[0:3], 0 offset:432
	buffer_load_dword v81, off, s[0:3], 0 offset:436
	;; [unrolled: 1-line block ×6, first 2 shown]
	v_fma_f32 v4, v178, v144, -v4
	v_fmac_f32_e32 v8, v183, v13
	v_add_f32_e32 v3, v3, v4
	v_mul_f32_e32 v4, v181, v143
	v_add_f32_e32 v7, v7, v8
	s_waitcnt lgkmcnt(7)
	v_mul_f32_e32 v8, v184, v151
	v_fma_f32 v4, v180, v142, -v4
	v_fmac_f32_e32 v8, v185, v150
	v_add_f32_e32 v3, v3, v4
	v_mul_f32_e32 v4, v183, v148
	v_add_f32_e32 v7, v7, v8
	v_mul_f32_e32 v8, v186, v153
	v_fma_f32 v4, v182, v13, -v4
	v_fmac_f32_e32 v8, v187, v152
	v_add_f32_e32 v3, v3, v4
	v_mul_f32_e32 v4, v185, v151
	v_add_f32_e32 v7, v7, v8
	s_waitcnt lgkmcnt(6)
	v_mul_f32_e32 v8, v188, v155
	v_fma_f32 v4, v184, v150, -v4
	v_fmac_f32_e32 v8, v189, v154
	v_add_f32_e32 v3, v3, v4
	v_mul_f32_e32 v4, v187, v153
	v_add_f32_e32 v7, v7, v8
	v_mul_f32_e32 v8, v190, v15
	v_fma_f32 v4, v186, v152, -v4
	v_fmac_f32_e32 v8, v191, v14
	v_add_f32_e32 v3, v3, v4
	v_mul_f32_e32 v4, v189, v155
	v_add_f32_e32 v7, v7, v8
	s_waitcnt vmcnt(62) lgkmcnt(5)
	v_mul_f32_e32 v8, v192, v17
	v_fma_f32 v4, v188, v154, -v4
	v_fmac_f32_e32 v8, v193, v16
	v_add_f32_e32 v3, v3, v4
	v_mul_f32_e32 v4, v191, v15
	v_add_f32_e32 v7, v7, v8
	v_mul_f32_e32 v8, v194, v19
	v_fma_f32 v4, v190, v14, -v4
	v_fmac_f32_e32 v8, v195, v18
	v_add_f32_e32 v3, v3, v4
	v_mul_f32_e32 v4, v193, v17
	v_add_f32_e32 v7, v7, v8
	s_waitcnt lgkmcnt(4)
	v_mul_f32_e32 v8, v196, v21
	v_fma_f32 v4, v192, v16, -v4
	v_fmac_f32_e32 v8, v197, v20
	v_add_f32_e32 v3, v3, v4
	v_mul_f32_e32 v4, v195, v19
	v_add_f32_e32 v7, v7, v8
	v_mul_f32_e32 v8, v198, v23
	v_fma_f32 v4, v194, v18, -v4
	v_fmac_f32_e32 v8, v199, v22
	v_add_f32_e32 v3, v3, v4
	v_mul_f32_e32 v4, v197, v21
	v_add_f32_e32 v7, v7, v8
	s_waitcnt vmcnt(60) lgkmcnt(3)
	v_mul_f32_e32 v8, v200, v25
	v_fma_f32 v4, v196, v20, -v4
	v_fmac_f32_e32 v8, v201, v24
	v_add_f32_e32 v3, v3, v4
	v_mul_f32_e32 v4, v199, v23
	v_add_f32_e32 v7, v7, v8
	s_waitcnt vmcnt(58)
	v_mul_f32_e32 v8, v202, v27
	v_fma_f32 v4, v198, v22, -v4
	v_fmac_f32_e32 v8, v203, v26
	v_add_f32_e32 v3, v3, v4
	v_mul_f32_e32 v4, v201, v25
	v_add_f32_e32 v7, v7, v8
	s_waitcnt vmcnt(56) lgkmcnt(2)
	v_mul_f32_e32 v8, v204, v29
	v_fma_f32 v4, v200, v24, -v4
	v_fmac_f32_e32 v8, v205, v28
	v_add_f32_e32 v3, v3, v4
	v_mul_f32_e32 v4, v203, v27
	v_add_f32_e32 v7, v7, v8
	s_waitcnt vmcnt(54)
	;; [unrolled: 14-line block ×3, first 2 shown]
	v_mul_f32_e32 v8, v210, v34
	v_fma_f32 v4, v206, v30, -v4
	s_waitcnt vmcnt(50)
	v_fmac_f32_e32 v8, v211, v35
	ds_read_b128 v[216:219], v116 offset:736
	ds_read_b128 v[220:223], v116 offset:752
	v_add_f32_e32 v3, v3, v4
	v_mul_f32_e32 v4, v209, v33
	v_add_f32_e32 v7, v7, v8
	s_waitcnt vmcnt(48) lgkmcnt(2)
	v_mul_f32_e32 v8, v212, v37
	v_fma_f32 v4, v208, v32, -v4
	v_fmac_f32_e32 v8, v213, v36
	v_add_f32_e32 v3, v3, v4
	v_mul_f32_e32 v4, v211, v34
	v_add_f32_e32 v7, v7, v8
	s_waitcnt vmcnt(46)
	v_mul_f32_e32 v8, v214, v39
	v_fma_f32 v4, v210, v35, -v4
	v_fmac_f32_e32 v8, v215, v38
	v_add_f32_e32 v3, v3, v4
	v_mul_f32_e32 v4, v213, v37
	v_add_f32_e32 v7, v7, v8
	s_waitcnt vmcnt(44) lgkmcnt(1)
	v_mul_f32_e32 v8, v216, v41
	v_fma_f32 v4, v212, v36, -v4
	v_fmac_f32_e32 v8, v217, v40
	v_add_f32_e32 v3, v3, v4
	v_mul_f32_e32 v4, v215, v39
	v_add_f32_e32 v7, v7, v8
	s_waitcnt vmcnt(43)
	v_mul_f32_e32 v8, v218, v42
	v_fma_f32 v4, v214, v38, -v4
	s_waitcnt vmcnt(40)
	v_fmac_f32_e32 v8, v219, v45
	ds_read_b128 v[224:227], v116 offset:768
	ds_read_b128 v[228:231], v116 offset:784
	v_add_f32_e32 v3, v3, v4
	v_mul_f32_e32 v4, v217, v41
	v_add_f32_e32 v7, v7, v8
	s_waitcnt lgkmcnt(2)
	v_mul_f32_e32 v8, v220, v44
	v_fma_f32 v4, v216, v40, -v4
	v_fmac_f32_e32 v8, v221, v43
	v_add_f32_e32 v3, v3, v4
	v_mul_f32_e32 v4, v219, v42
	v_add_f32_e32 v7, v7, v8
	s_waitcnt vmcnt(38)
	v_mul_f32_e32 v8, v222, v47
	v_fma_f32 v4, v218, v45, -v4
	v_fmac_f32_e32 v8, v223, v46
	v_add_f32_e32 v3, v3, v4
	v_mul_f32_e32 v4, v221, v44
	v_add_f32_e32 v7, v7, v8
	s_waitcnt vmcnt(36) lgkmcnt(1)
	v_mul_f32_e32 v8, v224, v49
	v_fma_f32 v4, v220, v43, -v4
	v_fmac_f32_e32 v8, v225, v48
	v_add_f32_e32 v3, v3, v4
	v_mul_f32_e32 v4, v223, v47
	v_add_f32_e32 v7, v7, v8
	s_waitcnt vmcnt(35)
	v_mul_f32_e32 v8, v226, v50
	v_fma_f32 v4, v222, v46, -v4
	s_waitcnt vmcnt(32)
	v_fmac_f32_e32 v8, v227, v53
	ds_read_b128 v[232:235], v116 offset:800
	ds_read_b128 v[236:239], v116 offset:816
	v_add_f32_e32 v3, v3, v4
	v_mul_f32_e32 v4, v225, v49
	v_add_f32_e32 v7, v7, v8
	s_waitcnt lgkmcnt(2)
	;; [unrolled: 31-line block ×4, first 2 shown]
	v_mul_f32_e32 v8, v244, v68
	v_fma_f32 v4, v240, v64, -v4
	v_fmac_f32_e32 v8, v245, v67
	v_add_f32_e32 v3, v3, v4
	v_mul_f32_e32 v4, v243, v66
	v_add_f32_e32 v7, v7, v8
	s_waitcnt vmcnt(14)
	v_mul_f32_e32 v8, v246, v71
	v_fma_f32 v4, v242, v69, -v4
	v_fmac_f32_e32 v8, v247, v70
	v_add_f32_e32 v3, v3, v4
	v_mul_f32_e32 v4, v245, v68
	v_add_f32_e32 v7, v7, v8
	s_waitcnt vmcnt(12) lgkmcnt(1)
	v_mul_f32_e32 v8, v248, v73
	v_fma_f32 v4, v244, v67, -v4
	v_fmac_f32_e32 v8, v249, v72
	v_add_f32_e32 v3, v3, v4
	v_mul_f32_e32 v4, v247, v71
	v_add_f32_e32 v7, v7, v8
	s_waitcnt vmcnt(11)
	v_mul_f32_e32 v8, v250, v74
	v_fma_f32 v4, v246, v70, -v4
	s_waitcnt vmcnt(8)
	v_fmac_f32_e32 v8, v251, v77
	v_add_f32_e32 v3, v3, v4
	v_mul_f32_e32 v4, v249, v73
	v_add_f32_e32 v7, v7, v8
	s_waitcnt lgkmcnt(0)
	v_mul_f32_e32 v8, v252, v76
	v_fma_f32 v4, v248, v72, -v4
	v_fmac_f32_e32 v8, v253, v75
	v_add_f32_e32 v3, v3, v4
	v_mul_f32_e32 v4, v251, v74
	v_add_f32_e32 v11, v7, v8
	ds_read_b128 v[7:10], v116 offset:896
	v_fma_f32 v4, v250, v77, -v4
	v_add_f32_e32 v3, v3, v4
	v_mul_f32_e32 v4, v253, v76
	s_waitcnt vmcnt(6)
	v_mul_f32_e32 v12, v254, v79
	v_fma_f32 v4, v252, v75, -v4
	v_fmac_f32_e32 v12, v255, v78
	v_add_f32_e32 v3, v3, v4
	v_mul_f32_e32 v4, v255, v79
	v_add_f32_e32 v86, v11, v12
	ds_read_b64 v[11:12], v116 offset:912
	v_fma_f32 v4, v254, v78, -v4
	v_add_f32_e32 v3, v3, v4
	s_waitcnt vmcnt(4) lgkmcnt(1)
	v_mul_f32_e32 v4, v8, v81
	v_mul_f32_e32 v87, v7, v81
	v_fma_f32 v4, v7, v80, -v4
	v_fmac_f32_e32 v87, v8, v80
	v_add_f32_e32 v3, v3, v4
	s_waitcnt vmcnt(3)
	v_mul_f32_e32 v4, v10, v82
	v_add_f32_e32 v86, v86, v87
	v_mul_f32_e32 v87, v9, v82
	s_waitcnt vmcnt(0)
	v_fma_f32 v4, v9, v85, -v4
	v_fmac_f32_e32 v87, v10, v85
	v_add_f32_e32 v3, v3, v4
	s_waitcnt lgkmcnt(0)
	v_mul_f32_e32 v4, v12, v84
	v_add_f32_e32 v86, v86, v87
	v_mul_f32_e32 v87, v11, v84
	v_fma_f32 v4, v11, v83, -v4
	v_fmac_f32_e32 v87, v12, v83
	v_add_f32_e32 v3, v3, v4
	v_add_f32_e32 v86, v86, v87
	v_sub_f32_e32 v3, v117, v3
	v_sub_f32_e32 v4, v118, v86
	buffer_store_dword v3, off, s[0:3], 0 offset:8
	buffer_store_dword v4, off, s[0:3], 0 offset:12
	s_and_saveexec_b64 s[4:5], vcc
	s_cbranch_execz .LBB120_355
; %bb.354:
	buffer_load_dword v3, off, s[0:3], 0
	buffer_load_dword v4, off, s[0:3], 0 offset:4
	s_waitcnt vmcnt(0)
	ds_write_b64 v115, v[3:4]
	buffer_store_dword v116, off, s[0:3], 0
	buffer_store_dword v116, off, s[0:3], 0 offset:4
.LBB120_355:
	s_or_b64 exec, exec, s[4:5]
	s_waitcnt lgkmcnt(0)
	; wave barrier
	buffer_load_dword v123, off, s[0:3], 0 offset:12
	buffer_load_dword v122, off, s[0:3], 0 offset:20
	;; [unrolled: 1-line block ×38, first 2 shown]
	buffer_load_dword v0, off, s[0:3], 0
	buffer_load_dword v115, off, s[0:3], 0 offset:4
	ds_read2_b64 v[3:6], v116 offset0:59 offset1:60
	ds_read2_b64 v[7:10], v116 offset0:61 offset1:62
	;; [unrolled: 1-line block ×6, first 2 shown]
	buffer_load_dword v16, off, s[0:3], 0 offset:160
	buffer_load_dword v17, off, s[0:3], 0 offset:164
	;; [unrolled: 1-line block ×14, first 2 shown]
	s_and_b64 vcc, exec, s[14:15]
	s_waitcnt vmcnt(53) lgkmcnt(5)
	v_mul_f32_e32 v11, v3, v123
	s_waitcnt vmcnt(52)
	v_mul_f32_e32 v12, v5, v122
	s_waitcnt vmcnt(51) lgkmcnt(4)
	v_mul_f32_e32 v13, v7, v121
	s_waitcnt vmcnt(50)
	v_mul_f32_e32 v14, v9, v120
	;; [unrolled: 4-line block ×5, first 2 shown]
	s_waitcnt vmcnt(43)
	v_fmac_f32_e32 v13, v8, v130
	s_waitcnt vmcnt(42)
	v_fmac_f32_e32 v12, v6, v134
	;; [unrolled: 2-line block ×3, first 2 shown]
	v_add_f32_e32 v11, 0, v11
	v_add_f32_e32 v11, v11, v12
	;; [unrolled: 1-line block ×3, first 2 shown]
	s_waitcnt vmcnt(37)
	v_fmac_f32_e32 v14, v10, v137
	v_fmac_f32_e32 v30, v155, v133
	v_add_f32_e32 v11, v11, v14
	v_fmac_f32_e32 v31, v157, v129
	v_add_f32_e32 v11, v11, v30
	;; [unrolled: 2-line block ×3, first 2 shown]
	buffer_load_dword v30, off, s[0:3], 0 offset:216
	buffer_load_dword v31, off, s[0:3], 0 offset:220
	s_waitcnt vmcnt(35)
	v_fmac_f32_e32 v33, v161, v139
	v_add_f32_e32 v11, v11, v32
	v_fmac_f32_e32 v34, v163, v135
	v_add_f32_e32 v11, v11, v33
	ds_read2_b64 v[170:173], v116 offset0:71 offset1:72
	ds_read2_b64 v[174:177], v116 offset0:73 offset1:74
	buffer_load_dword v32, off, s[0:3], 0 offset:224
	buffer_load_dword v33, off, s[0:3], 0 offset:228
	v_fmac_f32_e32 v35, v165, v131
	v_add_f32_e32 v11, v11, v34
	v_add_f32_e32 v11, v11, v35
	buffer_load_dword v34, off, s[0:3], 0 offset:232
	buffer_load_dword v35, off, s[0:3], 0 offset:236
	ds_read2_b64 v[178:181], v116 offset0:75 offset1:76
	ds_read2_b64 v[182:185], v116 offset0:77 offset1:78
	buffer_load_dword v36, off, s[0:3], 0 offset:240
	buffer_load_dword v37, off, s[0:3], 0 offset:244
	;; [unrolled: 1-line block ×4, first 2 shown]
	ds_read2_b64 v[186:189], v116 offset0:79 offset1:80
	buffer_load_dword v40, off, s[0:3], 0 offset:256
	buffer_load_dword v41, off, s[0:3], 0 offset:260
	ds_read2_b64 v[190:193], v116 offset0:81 offset1:82
	buffer_load_dword v42, off, s[0:3], 0 offset:264
	buffer_load_dword v43, off, s[0:3], 0 offset:268
	;; [unrolled: 1-line block ×6, first 2 shown]
	ds_read2_b64 v[194:197], v116 offset0:83 offset1:84
	buffer_load_dword v48, off, s[0:3], 0 offset:288
	buffer_load_dword v49, off, s[0:3], 0 offset:292
	ds_read2_b64 v[198:201], v116 offset0:85 offset1:86
	buffer_load_dword v50, off, s[0:3], 0 offset:296
	buffer_load_dword v51, off, s[0:3], 0 offset:300
	;; [unrolled: 1-line block ×8, first 2 shown]
	v_mul_f32_e32 v4, v4, v123
	buffer_load_dword v58, off, s[0:3], 0 offset:328
	buffer_load_dword v59, off, s[0:3], 0 offset:332
	buffer_load_dword v60, off, s[0:3], 0 offset:340
	buffer_load_dword v61, off, s[0:3], 0 offset:344
	buffer_load_dword v62, off, s[0:3], 0 offset:348
	buffer_load_dword v63, off, s[0:3], 0 offset:336
	v_fma_f32 v3, v3, v138, -v4
	v_mul_f32_e32 v4, v6, v122
	v_add_f32_e32 v3, 0, v3
	v_fma_f32 v4, v5, v134, -v4
	v_add_f32_e32 v3, v3, v4
	v_mul_f32_e32 v4, v8, v121
	buffer_load_dword v64, off, s[0:3], 0 offset:352
	buffer_load_dword v65, off, s[0:3], 0 offset:356
	v_fma_f32 v4, v7, v130, -v4
	v_add_f32_e32 v3, v3, v4
	v_mul_f32_e32 v4, v10, v120
	v_fma_f32 v4, v9, v137, -v4
	v_add_f32_e32 v3, v3, v4
	v_mul_f32_e32 v4, v155, v119
	v_fma_f32 v4, v154, v133, -v4
	ds_read2_b64 v[202:205], v116 offset0:87 offset1:88
	buffer_load_dword v66, off, s[0:3], 0 offset:360
	buffer_load_dword v67, off, s[0:3], 0 offset:364
	;; [unrolled: 1-line block ×6, first 2 shown]
	v_add_f32_e32 v3, v3, v4
	v_mul_f32_e32 v4, v157, v118
	v_fma_f32 v4, v156, v129, -v4
	v_add_f32_e32 v3, v3, v4
	v_mul_f32_e32 v4, v159, v117
	ds_read2_b64 v[206:209], v116 offset0:89 offset1:90
	buffer_load_dword v72, off, s[0:3], 0 offset:384
	buffer_load_dword v73, off, s[0:3], 0 offset:388
	v_fma_f32 v4, v158, v127, -v4
	v_add_f32_e32 v3, v3, v4
	v_mul_f32_e32 v4, v161, v124
	v_fma_f32 v4, v160, v139, -v4
	v_add_f32_e32 v3, v3, v4
	v_mul_f32_e32 v4, v163, v125
	v_fma_f32 v4, v162, v135, -v4
	buffer_load_dword v74, off, s[0:3], 0 offset:392
	buffer_load_dword v75, off, s[0:3], 0 offset:396
	;; [unrolled: 1-line block ×6, first 2 shown]
	v_add_f32_e32 v3, v3, v4
	v_mul_f32_e32 v4, v165, v126
	s_waitcnt vmcnt(62) lgkmcnt(10)
	v_mul_f32_e32 v12, v166, v132
	v_fma_f32 v4, v164, v131, -v4
	v_fmac_f32_e32 v12, v167, v128
	v_add_f32_e32 v3, v3, v4
	v_mul_f32_e32 v4, v167, v132
	v_add_f32_e32 v11, v11, v12
	v_mul_f32_e32 v12, v168, v136
	buffer_load_dword v80, off, s[0:3], 0 offset:416
	buffer_load_dword v81, off, s[0:3], 0 offset:420
	v_fma_f32 v4, v166, v128, -v4
	v_fmac_f32_e32 v12, v169, v146
	v_add_f32_e32 v3, v3, v4
	v_mul_f32_e32 v4, v169, v136
	v_add_f32_e32 v11, v11, v12
	s_waitcnt lgkmcnt(9)
	v_mul_f32_e32 v12, v170, v145
	v_fma_f32 v4, v168, v146, -v4
	v_fmac_f32_e32 v12, v171, v143
	v_add_f32_e32 v3, v3, v4
	v_mul_f32_e32 v4, v171, v145
	v_add_f32_e32 v11, v11, v12
	v_mul_f32_e32 v12, v172, v144
	v_fma_f32 v4, v170, v143, -v4
	v_fmac_f32_e32 v12, v173, v141
	v_add_f32_e32 v3, v3, v4
	v_mul_f32_e32 v4, v173, v144
	v_add_f32_e32 v11, v11, v12
	s_waitcnt lgkmcnt(8)
	v_mul_f32_e32 v12, v174, v142
	buffer_load_dword v82, off, s[0:3], 0 offset:424
	buffer_load_dword v83, off, s[0:3], 0 offset:428
	;; [unrolled: 1-line block ×6, first 2 shown]
	v_fma_f32 v4, v172, v141, -v4
	v_fmac_f32_e32 v12, v175, v140
	v_add_f32_e32 v3, v3, v4
	v_mul_f32_e32 v4, v175, v142
	v_add_f32_e32 v11, v11, v12
	v_mul_f32_e32 v12, v176, v147
	v_fma_f32 v4, v174, v140, -v4
	v_fmac_f32_e32 v12, v177, v15
	ds_read2_b64 v[210:213], v116 offset0:91 offset1:92
	ds_read2_b64 v[214:217], v116 offset0:93 offset1:94
	buffer_load_dword v88, off, s[0:3], 0 offset:448
	buffer_load_dword v254, off, s[0:3], 0 offset:452
	v_add_f32_e32 v3, v3, v4
	v_mul_f32_e32 v4, v177, v147
	v_add_f32_e32 v11, v11, v12
	s_waitcnt lgkmcnt(9)
	v_mul_f32_e32 v12, v178, v149
	v_fma_f32 v4, v176, v15, -v4
	v_fmac_f32_e32 v12, v179, v148
	v_add_f32_e32 v3, v3, v4
	v_mul_f32_e32 v4, v179, v149
	v_add_f32_e32 v11, v11, v12
	v_mul_f32_e32 v12, v180, v151
	v_fma_f32 v4, v178, v148, -v4
	v_fmac_f32_e32 v12, v181, v150
	v_add_f32_e32 v3, v3, v4
	v_mul_f32_e32 v4, v181, v151
	v_add_f32_e32 v11, v11, v12
	s_waitcnt lgkmcnt(8)
	v_mul_f32_e32 v12, v182, v153
	v_fma_f32 v4, v180, v150, -v4
	v_fmac_f32_e32 v12, v183, v152
	v_add_f32_e32 v3, v3, v4
	v_mul_f32_e32 v4, v183, v153
	v_add_f32_e32 v11, v11, v12
	v_mul_f32_e32 v12, v184, v17
	v_fma_f32 v4, v182, v152, -v4
	v_fmac_f32_e32 v12, v185, v16
	v_add_f32_e32 v3, v3, v4
	v_mul_f32_e32 v4, v185, v17
	v_add_f32_e32 v11, v11, v12
	s_waitcnt vmcnt(62) lgkmcnt(7)
	v_mul_f32_e32 v12, v186, v19
	v_fma_f32 v4, v184, v16, -v4
	v_fmac_f32_e32 v12, v187, v18
	v_add_f32_e32 v3, v3, v4
	v_mul_f32_e32 v4, v187, v19
	v_add_f32_e32 v11, v11, v12
	v_mul_f32_e32 v12, v188, v21
	v_fma_f32 v4, v186, v18, -v4
	v_fmac_f32_e32 v12, v189, v20
	v_add_f32_e32 v3, v3, v4
	v_mul_f32_e32 v4, v189, v21
	v_add_f32_e32 v11, v11, v12
	s_waitcnt lgkmcnt(6)
	v_mul_f32_e32 v12, v190, v23
	v_fma_f32 v4, v188, v20, -v4
	v_fmac_f32_e32 v12, v191, v22
	v_add_f32_e32 v3, v3, v4
	v_mul_f32_e32 v4, v191, v23
	v_add_f32_e32 v11, v11, v12
	v_mul_f32_e32 v12, v192, v25
	v_fma_f32 v4, v190, v22, -v4
	v_fmac_f32_e32 v12, v193, v24
	v_add_f32_e32 v3, v3, v4
	v_mul_f32_e32 v4, v193, v25
	v_add_f32_e32 v11, v11, v12
	s_waitcnt lgkmcnt(5)
	v_mul_f32_e32 v12, v194, v27
	v_fma_f32 v4, v192, v24, -v4
	v_fmac_f32_e32 v12, v195, v26
	v_add_f32_e32 v3, v3, v4
	v_mul_f32_e32 v4, v195, v27
	v_add_f32_e32 v11, v11, v12
	s_waitcnt vmcnt(60)
	v_mul_f32_e32 v12, v196, v29
	v_fma_f32 v4, v194, v26, -v4
	v_fmac_f32_e32 v12, v197, v28
	v_add_f32_e32 v3, v3, v4
	v_mul_f32_e32 v4, v197, v29
	v_add_f32_e32 v11, v11, v12
	s_waitcnt vmcnt(58) lgkmcnt(4)
	v_mul_f32_e32 v12, v198, v31
	v_fma_f32 v4, v196, v28, -v4
	v_fmac_f32_e32 v12, v199, v30
	v_add_f32_e32 v3, v3, v4
	v_mul_f32_e32 v4, v199, v31
	v_add_f32_e32 v11, v11, v12
	s_waitcnt vmcnt(56)
	v_mul_f32_e32 v12, v200, v33
	v_fma_f32 v4, v198, v30, -v4
	v_fmac_f32_e32 v12, v201, v32
	v_add_f32_e32 v3, v3, v4
	v_mul_f32_e32 v4, v201, v33
	v_add_f32_e32 v11, v11, v12
	s_waitcnt vmcnt(54) lgkmcnt(3)
	;; [unrolled: 14-line block ×4, first 2 shown]
	v_mul_f32_e32 v12, v210, v43
	v_fma_f32 v4, v208, v40, -v4
	v_fmac_f32_e32 v12, v211, v42
	v_add_f32_e32 v3, v3, v4
	v_mul_f32_e32 v4, v211, v43
	v_add_f32_e32 v11, v11, v12
	s_waitcnt vmcnt(45)
	v_mul_f32_e32 v12, v212, v44
	v_fma_f32 v4, v210, v42, -v4
	s_waitcnt vmcnt(42)
	v_fmac_f32_e32 v12, v213, v47
	ds_read2_b64 v[218:221], v116 offset0:95 offset1:96
	ds_read2_b64 v[222:225], v116 offset0:97 offset1:98
	v_add_f32_e32 v3, v3, v4
	v_mul_f32_e32 v4, v213, v44
	v_add_f32_e32 v11, v11, v12
	s_waitcnt lgkmcnt(2)
	v_mul_f32_e32 v12, v214, v46
	v_fma_f32 v4, v212, v47, -v4
	v_fmac_f32_e32 v12, v215, v45
	v_add_f32_e32 v3, v3, v4
	v_mul_f32_e32 v4, v215, v46
	v_add_f32_e32 v11, v11, v12
	s_waitcnt vmcnt(40)
	v_mul_f32_e32 v12, v216, v49
	v_fma_f32 v4, v214, v45, -v4
	v_fmac_f32_e32 v12, v217, v48
	v_add_f32_e32 v3, v3, v4
	v_mul_f32_e32 v4, v217, v49
	v_add_f32_e32 v11, v11, v12
	s_waitcnt vmcnt(38) lgkmcnt(1)
	v_mul_f32_e32 v12, v218, v51
	v_fma_f32 v4, v216, v48, -v4
	v_fmac_f32_e32 v12, v219, v50
	v_add_f32_e32 v3, v3, v4
	v_mul_f32_e32 v4, v219, v51
	v_add_f32_e32 v11, v11, v12
	s_waitcnt vmcnt(37)
	v_mul_f32_e32 v12, v220, v52
	v_fma_f32 v4, v218, v50, -v4
	s_waitcnt vmcnt(34)
	v_fmac_f32_e32 v12, v221, v55
	ds_read2_b64 v[226:229], v116 offset0:99 offset1:100
	ds_read2_b64 v[230:233], v116 offset0:101 offset1:102
	v_add_f32_e32 v3, v3, v4
	v_mul_f32_e32 v4, v221, v52
	v_add_f32_e32 v11, v11, v12
	s_waitcnt lgkmcnt(2)
	v_mul_f32_e32 v12, v222, v54
	v_fma_f32 v4, v220, v55, -v4
	v_fmac_f32_e32 v12, v223, v53
	v_add_f32_e32 v3, v3, v4
	v_mul_f32_e32 v4, v223, v54
	v_add_f32_e32 v11, v11, v12
	s_waitcnt vmcnt(32)
	v_mul_f32_e32 v12, v224, v57
	v_fma_f32 v4, v222, v53, -v4
	v_fmac_f32_e32 v12, v225, v56
	v_add_f32_e32 v3, v3, v4
	v_mul_f32_e32 v4, v225, v57
	v_add_f32_e32 v11, v11, v12
	s_waitcnt vmcnt(30) lgkmcnt(1)
	;; [unrolled: 31-line block ×4, first 2 shown]
	v_mul_f32_e32 v12, v242, v75
	v_fma_f32 v4, v240, v72, -v4
	v_fmac_f32_e32 v12, v243, v74
	v_add_f32_e32 v3, v3, v4
	v_mul_f32_e32 v4, v243, v75
	v_add_f32_e32 v11, v11, v12
	s_waitcnt vmcnt(13)
	v_mul_f32_e32 v12, v244, v76
	v_fma_f32 v4, v242, v74, -v4
	s_waitcnt vmcnt(10)
	v_fmac_f32_e32 v12, v245, v79
	v_add_f32_e32 v3, v3, v4
	v_mul_f32_e32 v4, v245, v76
	v_add_f32_e32 v11, v11, v12
	s_waitcnt lgkmcnt(0)
	v_mul_f32_e32 v12, v246, v78
	ds_read2_b64 v[250:253], v116 offset0:111 offset1:112
	v_fma_f32 v4, v244, v79, -v4
	v_fmac_f32_e32 v12, v247, v77
	v_add_f32_e32 v3, v3, v4
	v_mul_f32_e32 v4, v247, v78
	v_add_f32_e32 v11, v11, v12
	s_waitcnt vmcnt(8)
	v_mul_f32_e32 v12, v248, v81
	v_fma_f32 v4, v246, v77, -v4
	v_fmac_f32_e32 v12, v249, v80
	v_add_f32_e32 v3, v3, v4
	v_mul_f32_e32 v4, v249, v81
	v_add_f32_e32 v255, v11, v12
	ds_read2_b64 v[11:14], v116 offset0:113 offset1:114
	v_fma_f32 v4, v248, v80, -v4
	v_add_f32_e32 v3, v3, v4
	s_waitcnt vmcnt(6) lgkmcnt(1)
	v_mul_f32_e32 v4, v251, v83
	v_mul_f32_e32 v116, v250, v83
	v_fma_f32 v4, v250, v82, -v4
	v_fmac_f32_e32 v116, v251, v82
	v_add_f32_e32 v3, v3, v4
	s_waitcnt vmcnt(5)
	v_mul_f32_e32 v4, v253, v84
	v_add_f32_e32 v116, v255, v116
	v_mul_f32_e32 v255, v252, v84
	s_waitcnt vmcnt(2)
	v_fma_f32 v4, v252, v87, -v4
	v_fmac_f32_e32 v255, v253, v87
	v_add_f32_e32 v3, v3, v4
	s_waitcnt lgkmcnt(0)
	v_mul_f32_e32 v4, v12, v86
	v_add_f32_e32 v116, v116, v255
	v_mul_f32_e32 v255, v11, v86
	v_fma_f32 v4, v11, v85, -v4
	v_fmac_f32_e32 v255, v12, v85
	v_add_f32_e32 v3, v3, v4
	s_waitcnt vmcnt(0)
	v_mul_f32_e32 v4, v14, v254
	v_add_f32_e32 v116, v116, v255
	v_mul_f32_e32 v255, v13, v254
	v_fma_f32 v4, v13, v88, -v4
	v_fmac_f32_e32 v255, v14, v88
	v_add_f32_e32 v3, v3, v4
	v_add_f32_e32 v116, v116, v255
	v_sub_f32_e32 v0, v0, v3
	v_sub_f32_e32 v3, v115, v116
	buffer_store_dword v0, off, s[0:3], 0
	buffer_store_dword v3, off, s[0:3], 0 offset:4
	s_cbranch_vccz .LBB120_468
; %bb.356:
	v_mov_b32_e32 v0, 0
	global_load_dword v3, v0, s[12:13] offset:220
	s_waitcnt vmcnt(0)
	v_add_u32_e32 v115, -1, v3
	v_cmp_ne_u32_e32 vcc, 55, v115
	s_cbranch_vccz .LBB120_358
; %bb.357:
	v_lshlrev_b32_e32 v3, 3, v115
	buffer_load_dword v4, v3, s[0:3], 0 offen
	buffer_load_dword v5, v3, s[0:3], 0 offen offset:4
	buffer_load_dword v6, off, s[0:3], 0 offset:440
	buffer_load_dword v7, off, s[0:3], 0 offset:444
	s_waitcnt vmcnt(3)
	buffer_store_dword v4, off, s[0:3], 0 offset:440
	s_waitcnt vmcnt(3)
	buffer_store_dword v5, off, s[0:3], 0 offset:444
	s_waitcnt vmcnt(3)
	buffer_store_dword v6, v3, s[0:3], 0 offen
	s_waitcnt vmcnt(3)
	buffer_store_dword v7, v3, s[0:3], 0 offen offset:4
.LBB120_358:
	global_load_dword v0, v0, s[12:13] offset:216
	s_waitcnt vmcnt(0)
	v_add_u32_e32 v0, -1, v0
	v_cmp_eq_u32_e32 vcc, 54, v0
	s_cbranch_vccnz .LBB120_360
; %bb.359:
	v_lshlrev_b32_e32 v0, 3, v0
	buffer_load_dword v3, v0, s[0:3], 0 offen
	buffer_load_dword v4, v0, s[0:3], 0 offen offset:4
	buffer_load_dword v5, off, s[0:3], 0 offset:436
	buffer_load_dword v6, off, s[0:3], 0 offset:432
	s_waitcnt vmcnt(3)
	buffer_store_dword v3, off, s[0:3], 0 offset:432
	s_waitcnt vmcnt(3)
	buffer_store_dword v4, off, s[0:3], 0 offset:436
	s_waitcnt vmcnt(3)
	buffer_store_dword v5, v0, s[0:3], 0 offen offset:4
	s_waitcnt vmcnt(3)
	buffer_store_dword v6, v0, s[0:3], 0 offen
.LBB120_360:
	v_mov_b32_e32 v0, 0
	global_load_dword v3, v0, s[12:13] offset:212
	s_waitcnt vmcnt(0)
	v_add_u32_e32 v115, -1, v3
	v_cmp_eq_u32_e32 vcc, 53, v115
	s_cbranch_vccnz .LBB120_362
; %bb.361:
	v_lshlrev_b32_e32 v3, 3, v115
	buffer_load_dword v4, v3, s[0:3], 0 offen
	buffer_load_dword v5, v3, s[0:3], 0 offen offset:4
	buffer_load_dword v6, off, s[0:3], 0 offset:424
	buffer_load_dword v7, off, s[0:3], 0 offset:428
	s_waitcnt vmcnt(3)
	buffer_store_dword v4, off, s[0:3], 0 offset:424
	s_waitcnt vmcnt(3)
	buffer_store_dword v5, off, s[0:3], 0 offset:428
	s_waitcnt vmcnt(3)
	buffer_store_dword v6, v3, s[0:3], 0 offen
	s_waitcnt vmcnt(3)
	buffer_store_dword v7, v3, s[0:3], 0 offen offset:4
.LBB120_362:
	global_load_dword v0, v0, s[12:13] offset:208
	s_waitcnt vmcnt(0)
	v_add_u32_e32 v0, -1, v0
	v_cmp_eq_u32_e32 vcc, 52, v0
	s_cbranch_vccnz .LBB120_364
; %bb.363:
	v_lshlrev_b32_e32 v0, 3, v0
	buffer_load_dword v3, v0, s[0:3], 0 offen
	buffer_load_dword v4, v0, s[0:3], 0 offen offset:4
	buffer_load_dword v5, off, s[0:3], 0 offset:420
	buffer_load_dword v6, off, s[0:3], 0 offset:416
	s_waitcnt vmcnt(3)
	buffer_store_dword v3, off, s[0:3], 0 offset:416
	s_waitcnt vmcnt(3)
	buffer_store_dword v4, off, s[0:3], 0 offset:420
	s_waitcnt vmcnt(3)
	buffer_store_dword v5, v0, s[0:3], 0 offen offset:4
	s_waitcnt vmcnt(3)
	buffer_store_dword v6, v0, s[0:3], 0 offen
.LBB120_364:
	v_mov_b32_e32 v0, 0
	global_load_dword v3, v0, s[12:13] offset:204
	s_waitcnt vmcnt(0)
	v_add_u32_e32 v115, -1, v3
	v_cmp_eq_u32_e32 vcc, 51, v115
	s_cbranch_vccnz .LBB120_366
; %bb.365:
	v_lshlrev_b32_e32 v3, 3, v115
	buffer_load_dword v4, v3, s[0:3], 0 offen
	buffer_load_dword v5, v3, s[0:3], 0 offen offset:4
	buffer_load_dword v6, off, s[0:3], 0 offset:408
	buffer_load_dword v7, off, s[0:3], 0 offset:412
	s_waitcnt vmcnt(3)
	buffer_store_dword v4, off, s[0:3], 0 offset:408
	s_waitcnt vmcnt(3)
	buffer_store_dword v5, off, s[0:3], 0 offset:412
	s_waitcnt vmcnt(3)
	buffer_store_dword v6, v3, s[0:3], 0 offen
	s_waitcnt vmcnt(3)
	buffer_store_dword v7, v3, s[0:3], 0 offen offset:4
.LBB120_366:
	;; [unrolled: 41-line block ×27, first 2 shown]
	global_load_dword v0, v0, s[12:13]
	s_waitcnt vmcnt(0)
	v_add_u32_e32 v0, -1, v0
	v_cmp_eq_u32_e32 vcc, 0, v0
	s_cbranch_vccnz .LBB120_468
; %bb.467:
	v_lshlrev_b32_e32 v0, 3, v0
	buffer_load_dword v3, v0, s[0:3], 0 offen
	buffer_load_dword v4, v0, s[0:3], 0 offen offset:4
	buffer_load_dword v5, off, s[0:3], 0 offset:4
	buffer_load_dword v6, off, s[0:3], 0
	s_waitcnt vmcnt(3)
	buffer_store_dword v3, off, s[0:3], 0
	s_waitcnt vmcnt(3)
	buffer_store_dword v4, off, s[0:3], 0 offset:4
	s_waitcnt vmcnt(3)
	buffer_store_dword v5, v0, s[0:3], 0 offen offset:4
	s_waitcnt vmcnt(3)
	buffer_store_dword v6, v0, s[0:3], 0 offen
.LBB120_468:
	buffer_load_dword v3, off, s[0:3], 0
	buffer_load_dword v4, off, s[0:3], 0 offset:4
	s_waitcnt vmcnt(0)
	flat_store_dwordx2 v[1:2], v[3:4]
	buffer_load_dword v0, off, s[0:3], 0 offset:8
	s_nop 0
	buffer_load_dword v1, off, s[0:3], 0 offset:12
	buffer_load_dword v2, off, s[0:3], 0 offset:456 ; 4-byte Folded Reload
	buffer_load_dword v3, off, s[0:3], 0 offset:460 ; 4-byte Folded Reload
	s_waitcnt vmcnt(0)
	flat_store_dwordx2 v[2:3], v[0:1]
	buffer_load_dword v0, off, s[0:3], 0 offset:16
	s_nop 0
	buffer_load_dword v1, off, s[0:3], 0 offset:20
	buffer_load_dword v2, off, s[0:3], 0 offset:464 ; 4-byte Folded Reload
	buffer_load_dword v3, off, s[0:3], 0 offset:468 ; 4-byte Folded Reload
	;; [unrolled: 7-line block ×43, first 2 shown]
	s_waitcnt vmcnt(0)
	flat_store_dwordx2 v[2:3], v[0:1]
	buffer_load_dword v0, off, s[0:3], 0 offset:352
	s_nop 0
	buffer_load_dword v1, off, s[0:3], 0 offset:356
	s_waitcnt vmcnt(0)
	flat_store_dwordx2 v[89:90], v[0:1]
	buffer_load_dword v0, off, s[0:3], 0 offset:360
	s_nop 0
	buffer_load_dword v1, off, s[0:3], 0 offset:364
	;; [unrolled: 5-line block ×13, first 2 shown]
	s_waitcnt vmcnt(0)
	flat_store_dwordx2 v[113:114], v[0:1]
	s_endpgm
	.section	.rodata,"a",@progbits
	.p2align	6, 0x0
	.amdhsa_kernel _ZN9rocsolver6v33100L18getri_kernel_smallILi57E19rocblas_complex_numIfEPKPS3_EEvT1_iilPiilS8_bb
		.amdhsa_group_segment_fixed_size 920
		.amdhsa_private_segment_fixed_size 816
		.amdhsa_kernarg_size 60
		.amdhsa_user_sgpr_count 6
		.amdhsa_user_sgpr_private_segment_buffer 1
		.amdhsa_user_sgpr_dispatch_ptr 0
		.amdhsa_user_sgpr_queue_ptr 0
		.amdhsa_user_sgpr_kernarg_segment_ptr 1
		.amdhsa_user_sgpr_dispatch_id 0
		.amdhsa_user_sgpr_flat_scratch_init 0
		.amdhsa_user_sgpr_private_segment_size 0
		.amdhsa_uses_dynamic_stack 0
		.amdhsa_system_sgpr_private_segment_wavefront_offset 1
		.amdhsa_system_sgpr_workgroup_id_x 1
		.amdhsa_system_sgpr_workgroup_id_y 0
		.amdhsa_system_sgpr_workgroup_id_z 0
		.amdhsa_system_sgpr_workgroup_info 0
		.amdhsa_system_vgpr_workitem_id 0
		.amdhsa_next_free_vgpr 256
		.amdhsa_next_free_sgpr 21
		.amdhsa_reserve_vcc 1
		.amdhsa_reserve_flat_scratch 0
		.amdhsa_float_round_mode_32 0
		.amdhsa_float_round_mode_16_64 0
		.amdhsa_float_denorm_mode_32 3
		.amdhsa_float_denorm_mode_16_64 3
		.amdhsa_dx10_clamp 1
		.amdhsa_ieee_mode 1
		.amdhsa_fp16_overflow 0
		.amdhsa_exception_fp_ieee_invalid_op 0
		.amdhsa_exception_fp_denorm_src 0
		.amdhsa_exception_fp_ieee_div_zero 0
		.amdhsa_exception_fp_ieee_overflow 0
		.amdhsa_exception_fp_ieee_underflow 0
		.amdhsa_exception_fp_ieee_inexact 0
		.amdhsa_exception_int_div_zero 0
	.end_amdhsa_kernel
	.section	.text._ZN9rocsolver6v33100L18getri_kernel_smallILi57E19rocblas_complex_numIfEPKPS3_EEvT1_iilPiilS8_bb,"axG",@progbits,_ZN9rocsolver6v33100L18getri_kernel_smallILi57E19rocblas_complex_numIfEPKPS3_EEvT1_iilPiilS8_bb,comdat
.Lfunc_end120:
	.size	_ZN9rocsolver6v33100L18getri_kernel_smallILi57E19rocblas_complex_numIfEPKPS3_EEvT1_iilPiilS8_bb, .Lfunc_end120-_ZN9rocsolver6v33100L18getri_kernel_smallILi57E19rocblas_complex_numIfEPKPS3_EEvT1_iilPiilS8_bb
                                        ; -- End function
	.set _ZN9rocsolver6v33100L18getri_kernel_smallILi57E19rocblas_complex_numIfEPKPS3_EEvT1_iilPiilS8_bb.num_vgpr, 256
	.set _ZN9rocsolver6v33100L18getri_kernel_smallILi57E19rocblas_complex_numIfEPKPS3_EEvT1_iilPiilS8_bb.num_agpr, 0
	.set _ZN9rocsolver6v33100L18getri_kernel_smallILi57E19rocblas_complex_numIfEPKPS3_EEvT1_iilPiilS8_bb.numbered_sgpr, 21
	.set _ZN9rocsolver6v33100L18getri_kernel_smallILi57E19rocblas_complex_numIfEPKPS3_EEvT1_iilPiilS8_bb.num_named_barrier, 0
	.set _ZN9rocsolver6v33100L18getri_kernel_smallILi57E19rocblas_complex_numIfEPKPS3_EEvT1_iilPiilS8_bb.private_seg_size, 816
	.set _ZN9rocsolver6v33100L18getri_kernel_smallILi57E19rocblas_complex_numIfEPKPS3_EEvT1_iilPiilS8_bb.uses_vcc, 1
	.set _ZN9rocsolver6v33100L18getri_kernel_smallILi57E19rocblas_complex_numIfEPKPS3_EEvT1_iilPiilS8_bb.uses_flat_scratch, 0
	.set _ZN9rocsolver6v33100L18getri_kernel_smallILi57E19rocblas_complex_numIfEPKPS3_EEvT1_iilPiilS8_bb.has_dyn_sized_stack, 0
	.set _ZN9rocsolver6v33100L18getri_kernel_smallILi57E19rocblas_complex_numIfEPKPS3_EEvT1_iilPiilS8_bb.has_recursion, 0
	.set _ZN9rocsolver6v33100L18getri_kernel_smallILi57E19rocblas_complex_numIfEPKPS3_EEvT1_iilPiilS8_bb.has_indirect_call, 0
	.section	.AMDGPU.csdata,"",@progbits
; Kernel info:
; codeLenInByte = 117300
; TotalNumSgprs: 25
; NumVgprs: 256
; ScratchSize: 816
; MemoryBound: 0
; FloatMode: 240
; IeeeMode: 1
; LDSByteSize: 920 bytes/workgroup (compile time only)
; SGPRBlocks: 3
; VGPRBlocks: 63
; NumSGPRsForWavesPerEU: 25
; NumVGPRsForWavesPerEU: 256
; Occupancy: 1
; WaveLimiterHint : 1
; COMPUTE_PGM_RSRC2:SCRATCH_EN: 1
; COMPUTE_PGM_RSRC2:USER_SGPR: 6
; COMPUTE_PGM_RSRC2:TRAP_HANDLER: 0
; COMPUTE_PGM_RSRC2:TGID_X_EN: 1
; COMPUTE_PGM_RSRC2:TGID_Y_EN: 0
; COMPUTE_PGM_RSRC2:TGID_Z_EN: 0
; COMPUTE_PGM_RSRC2:TIDIG_COMP_CNT: 0
	.section	.text._ZN9rocsolver6v33100L18getri_kernel_smallILi58E19rocblas_complex_numIfEPKPS3_EEvT1_iilPiilS8_bb,"axG",@progbits,_ZN9rocsolver6v33100L18getri_kernel_smallILi58E19rocblas_complex_numIfEPKPS3_EEvT1_iilPiilS8_bb,comdat
	.globl	_ZN9rocsolver6v33100L18getri_kernel_smallILi58E19rocblas_complex_numIfEPKPS3_EEvT1_iilPiilS8_bb ; -- Begin function _ZN9rocsolver6v33100L18getri_kernel_smallILi58E19rocblas_complex_numIfEPKPS3_EEvT1_iilPiilS8_bb
	.p2align	8
	.type	_ZN9rocsolver6v33100L18getri_kernel_smallILi58E19rocblas_complex_numIfEPKPS3_EEvT1_iilPiilS8_bb,@function
_ZN9rocsolver6v33100L18getri_kernel_smallILi58E19rocblas_complex_numIfEPKPS3_EEvT1_iilPiilS8_bb: ; @_ZN9rocsolver6v33100L18getri_kernel_smallILi58E19rocblas_complex_numIfEPKPS3_EEvT1_iilPiilS8_bb
; %bb.0:
	s_add_u32 s0, s0, s7
	s_addc_u32 s1, s1, 0
	v_cmp_gt_u32_e32 vcc, 58, v0
	s_and_saveexec_b64 s[8:9], vcc
	s_cbranch_execz .LBB121_246
; %bb.1:
	s_load_dword s18, s[4:5], 0x38
	s_load_dwordx2 s[12:13], s[4:5], 0x0
	s_load_dwordx4 s[8:11], s[4:5], 0x28
	s_waitcnt lgkmcnt(0)
	s_bitcmp1_b32 s18, 8
	s_cselect_b64 s[14:15], -1, 0
	s_ashr_i32 s7, s6, 31
	s_lshl_b64 s[16:17], s[6:7], 3
	s_add_u32 s12, s12, s16
	s_addc_u32 s13, s13, s17
	s_load_dwordx2 s[16:17], s[12:13], 0x0
	s_bfe_u32 s12, s18, 0x10008
	s_cmp_eq_u32 s12, 0
                                        ; implicit-def: $sgpr12_sgpr13
	s_cbranch_scc1 .LBB121_3
; %bb.2:
	s_load_dword s12, s[4:5], 0x20
	s_load_dwordx2 s[18:19], s[4:5], 0x18
	s_mul_i32 s13, s8, s7
	s_mul_hi_u32 s20, s8, s6
	s_add_i32 s20, s20, s13
	s_mul_i32 s9, s9, s6
	s_add_i32 s9, s20, s9
	s_mul_i32 s8, s8, s6
	s_waitcnt lgkmcnt(0)
	s_ashr_i32 s13, s12, 31
	s_lshl_b64 s[8:9], s[8:9], 2
	s_add_u32 s18, s18, s8
	s_addc_u32 s19, s19, s9
	s_lshl_b64 s[8:9], s[12:13], 2
	s_add_u32 s12, s18, s8
	s_addc_u32 s13, s19, s9
.LBB121_3:
	s_load_dwordx2 s[8:9], s[4:5], 0x8
	s_load_dword s18, s[4:5], 0x38
	v_lshlrev_b32_e32 v119, 3, v0
	s_waitcnt lgkmcnt(0)
	s_ashr_i32 s5, s8, 31
	s_mov_b32 s4, s8
	s_lshl_b64 s[4:5], s[4:5], 3
	s_add_u32 s4, s16, s4
	s_addc_u32 s5, s17, s5
	v_mov_b32_e32 v2, s5
	v_add_co_u32_e32 v1, vcc, s4, v119
	v_addc_co_u32_e32 v2, vcc, 0, v2, vcc
	flat_load_dwordx2 v[3:4], v[1:2]
	s_mov_b32 s16, s9
	s_ashr_i32 s17, s9, 31
	s_lshl_b64 s[16:17], s[16:17], 3
	v_mov_b32_e32 v5, s17
	v_add_co_u32_e32 v6, vcc, s16, v1
	v_addc_co_u32_e32 v7, vcc, v2, v5, vcc
	s_add_i32 s8, s9, s9
	v_add_u32_e32 v5, s8, v0
	v_mov_b32_e32 v8, s5
	s_bitcmp0_b32 s18, 0
	s_waitcnt vmcnt(0) lgkmcnt(0)
	buffer_store_dword v4, off, s[0:3], 0 offset:4
	buffer_store_dword v3, off, s[0:3], 0
	buffer_store_dword v6, off, s[0:3], 0 offset:464 ; 4-byte Folded Spill
	s_nop 0
	buffer_store_dword v7, off, s[0:3], 0 offset:468 ; 4-byte Folded Spill
	flat_load_dwordx2 v[3:4], v[6:7]
	v_ashrrev_i32_e32 v6, 31, v5
	v_lshlrev_b64 v[6:7], 3, v[5:6]
	v_add_u32_e32 v5, s9, v5
	v_add_co_u32_e32 v6, vcc, s4, v6
	v_addc_co_u32_e32 v7, vcc, v8, v7, vcc
	s_waitcnt vmcnt(0) lgkmcnt(0)
	buffer_store_dword v4, off, s[0:3], 0 offset:12
	buffer_store_dword v3, off, s[0:3], 0 offset:8
	buffer_store_dword v6, off, s[0:3], 0 offset:472 ; 4-byte Folded Spill
	s_nop 0
	buffer_store_dword v7, off, s[0:3], 0 offset:476 ; 4-byte Folded Spill
	flat_load_dwordx2 v[3:4], v[6:7]
	v_ashrrev_i32_e32 v6, 31, v5
	v_lshlrev_b64 v[6:7], 3, v[5:6]
	v_add_u32_e32 v5, s9, v5
	v_add_co_u32_e32 v6, vcc, s4, v6
	v_addc_co_u32_e32 v7, vcc, v8, v7, vcc
	s_waitcnt vmcnt(0) lgkmcnt(0)
	buffer_store_dword v4, off, s[0:3], 0 offset:20
	buffer_store_dword v3, off, s[0:3], 0 offset:16
	;; [unrolled: 12-line block ×46, first 2 shown]
	buffer_store_dword v6, off, s[0:3], 0 offset:832 ; 4-byte Folded Spill
	s_nop 0
	buffer_store_dword v7, off, s[0:3], 0 offset:836 ; 4-byte Folded Spill
	flat_load_dwordx2 v[3:4], v[6:7]
	v_ashrrev_i32_e32 v6, 31, v5
	v_lshlrev_b64 v[6:7], 3, v[5:6]
	v_add_u32_e32 v5, s9, v5
	v_add_co_u32_e32 v97, vcc, s4, v6
	v_addc_co_u32_e32 v98, vcc, v8, v7, vcc
	v_ashrrev_i32_e32 v6, 31, v5
	v_lshlrev_b64 v[6:7], 3, v[5:6]
	v_add_u32_e32 v5, s9, v5
	v_add_co_u32_e32 v99, vcc, s4, v6
	v_addc_co_u32_e32 v100, vcc, v8, v7, vcc
	;; [unrolled: 5-line block ×9, first 2 shown]
	v_ashrrev_i32_e32 v6, 31, v5
	v_lshlrev_b64 v[5:6], 3, v[5:6]
	v_mov_b32_e32 v7, s5
	v_add_co_u32_e32 v115, vcc, s4, v5
	v_addc_co_u32_e32 v116, vcc, v7, v6, vcc
	s_mov_b64 s[8:9], -1
	s_waitcnt vmcnt(0) lgkmcnt(0)
	buffer_store_dword v4, off, s[0:3], 0 offset:380
	buffer_store_dword v3, off, s[0:3], 0 offset:376
	flat_load_dwordx2 v[3:4], v[97:98]
	s_waitcnt vmcnt(0) lgkmcnt(0)
	buffer_store_dword v4, off, s[0:3], 0 offset:388
	buffer_store_dword v3, off, s[0:3], 0 offset:384
	flat_load_dwordx2 v[3:4], v[99:100]
	;; [unrolled: 4-line block ×10, first 2 shown]
	s_waitcnt vmcnt(0) lgkmcnt(0)
	buffer_store_dword v4, off, s[0:3], 0 offset:460
	buffer_store_dword v3, off, s[0:3], 0 offset:456
	s_cbranch_scc1 .LBB121_244
; %bb.4:
	v_cmp_eq_u32_e64 s[4:5], 0, v0
	s_and_saveexec_b64 s[8:9], s[4:5]
; %bb.5:
	v_mov_b32_e32 v3, 0
	ds_write_b32 v3, v3 offset:928
; %bb.6:
	s_or_b64 exec, exec, s[8:9]
	v_mov_b32_e32 v3, 0
	v_lshl_add_u32 v121, v0, 3, v3
	s_waitcnt lgkmcnt(0)
	; wave barrier
	buffer_load_dword v3, v121, s[0:3], 0 offen
	buffer_load_dword v4, v121, s[0:3], 0 offen offset:4
	s_waitcnt vmcnt(1)
	v_cmp_eq_f32_e32 vcc, 0, v3
	s_waitcnt vmcnt(0)
	v_cmp_eq_f32_e64 s[8:9], 0, v4
	s_and_b64 s[8:9], vcc, s[8:9]
	s_and_saveexec_b64 s[16:17], s[8:9]
	s_cbranch_execz .LBB121_10
; %bb.7:
	v_mov_b32_e32 v117, 0
	ds_read_b32 v3, v117 offset:928
	v_add_u32_e32 v118, 1, v0
	s_waitcnt lgkmcnt(0)
	v_readfirstlane_b32 s8, v3
	s_cmp_eq_u32 s8, 0
	s_cselect_b64 s[18:19], -1, 0
	v_cmp_gt_i32_e32 vcc, s8, v118
	s_or_b64 s[18:19], s[18:19], vcc
	s_and_b64 exec, exec, s[18:19]
	s_cbranch_execz .LBB121_10
; %bb.8:
	s_mov_b64 s[18:19], 0
	v_mov_b32_e32 v120, s8
.LBB121_9:                              ; =>This Inner Loop Header: Depth=1
	ds_cmpst_rtn_b32 v120, v117, v120, v118 offset:928
	s_waitcnt lgkmcnt(0)
	v_cmp_ne_u32_e32 vcc, 0, v120
	v_cmp_le_i32_e64 s[8:9], v120, v118
	s_and_b64 s[8:9], vcc, s[8:9]
	s_and_b64 s[8:9], exec, s[8:9]
	s_or_b64 s[18:19], s[8:9], s[18:19]
	s_andn2_b64 exec, exec, s[18:19]
	s_cbranch_execnz .LBB121_9
.LBB121_10:
	s_or_b64 exec, exec, s[16:17]
	v_mov_b32_e32 v118, 0
	; wave barrier
	ds_read_b32 v117, v118 offset:928
	s_and_saveexec_b64 s[8:9], s[4:5]
	s_cbranch_execz .LBB121_12
; %bb.11:
	s_lshl_b64 s[16:17], s[6:7], 2
	s_add_u32 s16, s10, s16
	s_addc_u32 s17, s11, s17
	s_waitcnt lgkmcnt(0)
	global_store_dword v118, v117, s[16:17]
.LBB121_12:
	s_or_b64 exec, exec, s[8:9]
	s_waitcnt lgkmcnt(0)
	v_cmp_ne_u32_e32 vcc, 0, v117
	s_mov_b64 s[8:9], 0
	s_cbranch_vccnz .LBB121_244
; %bb.13:
	buffer_load_dword v118, v121, s[0:3], 0 offen
	buffer_load_dword v120, v121, s[0:3], 0 offen offset:4
                                        ; implicit-def: $vgpr123
                                        ; implicit-def: $vgpr122
                                        ; implicit-def: $vgpr117
	s_waitcnt vmcnt(0)
	v_cmp_ngt_f32_e64 s[8:9], |v118|, |v120|
	s_and_saveexec_b64 s[16:17], s[8:9]
	s_xor_b64 s[8:9], exec, s[16:17]
	s_cbranch_execz .LBB121_15
; %bb.14:
	v_div_scale_f32 v3, s[16:17], v120, v120, v118
	v_div_scale_f32 v4, vcc, v118, v120, v118
	v_rcp_f32_e32 v5, v3
	v_fma_f32 v6, -v3, v5, 1.0
	v_fmac_f32_e32 v5, v6, v5
	v_mul_f32_e32 v6, v4, v5
	v_fma_f32 v7, -v3, v6, v4
	v_fmac_f32_e32 v6, v7, v5
	v_fma_f32 v3, -v3, v6, v4
	v_div_fmas_f32 v3, v3, v5, v6
	v_div_fixup_f32 v3, v3, v120, v118
	v_fmac_f32_e32 v120, v118, v3
	v_div_scale_f32 v4, s[16:17], v120, v120, 1.0
	v_div_scale_f32 v5, vcc, 1.0, v120, 1.0
                                        ; implicit-def: $vgpr118
	v_rcp_f32_e32 v6, v4
	v_fma_f32 v7, -v4, v6, 1.0
	v_fmac_f32_e32 v6, v7, v6
	v_mul_f32_e32 v7, v5, v6
	v_fma_f32 v8, -v4, v7, v5
	v_fmac_f32_e32 v7, v8, v6
	v_fma_f32 v4, -v4, v7, v5
	v_div_fmas_f32 v4, v4, v6, v7
	v_div_fixup_f32 v4, v4, v120, 1.0
	v_mul_f32_e32 v123, v3, v4
	v_xor_b32_e32 v122, 0x80000000, v4
	v_xor_b32_e32 v117, 0x80000000, v123
                                        ; implicit-def: $vgpr120
.LBB121_15:
	s_andn2_saveexec_b64 s[8:9], s[8:9]
	s_cbranch_execz .LBB121_17
; %bb.16:
	v_div_scale_f32 v3, s[16:17], v118, v118, v120
	v_div_scale_f32 v4, vcc, v120, v118, v120
	v_rcp_f32_e32 v5, v3
	v_fma_f32 v6, -v3, v5, 1.0
	v_fmac_f32_e32 v5, v6, v5
	v_mul_f32_e32 v6, v4, v5
	v_fma_f32 v7, -v3, v6, v4
	v_fmac_f32_e32 v6, v7, v5
	v_fma_f32 v3, -v3, v6, v4
	v_div_fmas_f32 v3, v3, v5, v6
	v_div_fixup_f32 v3, v3, v118, v120
	v_fmac_f32_e32 v118, v120, v3
	v_div_scale_f32 v4, s[16:17], v118, v118, 1.0
	v_div_scale_f32 v5, vcc, 1.0, v118, 1.0
	v_rcp_f32_e32 v6, v4
	v_fma_f32 v7, -v4, v6, 1.0
	v_fmac_f32_e32 v6, v7, v6
	v_mul_f32_e32 v7, v5, v6
	v_fma_f32 v8, -v4, v7, v5
	v_fmac_f32_e32 v7, v8, v6
	v_fma_f32 v4, -v4, v7, v5
	v_div_fmas_f32 v4, v4, v6, v7
	v_div_fixup_f32 v123, v4, v118, 1.0
	v_xor_b32_e32 v117, 0x80000000, v123
	v_mul_f32_e64 v122, v3, -v123
.LBB121_17:
	s_or_b64 exec, exec, s[8:9]
	buffer_store_dword v123, v121, s[0:3], 0 offen
	buffer_store_dword v122, v121, s[0:3], 0 offen offset:4
	buffer_load_dword v4, off, s[0:3], 0 offset:12
	buffer_load_dword v3, off, s[0:3], 0 offset:8
	v_xor_b32_e32 v118, 0x80000000, v122
	v_add_u32_e32 v120, 0x1d0, v119
	s_waitcnt vmcnt(0)
	ds_write2_b64 v119, v[117:118], v[3:4] offset1:58
	s_waitcnt lgkmcnt(0)
	; wave barrier
	s_and_saveexec_b64 s[8:9], s[4:5]
	s_cbranch_execz .LBB121_19
; %bb.18:
	buffer_load_dword v7, v121, s[0:3], 0 offen offset:4
	buffer_load_dword v8, v121, s[0:3], 0 offen
	ds_read_b64 v[3:4], v120
	v_mov_b32_e32 v5, 0
	ds_read_b64 v[5:6], v5 offset:8
	s_waitcnt vmcnt(1) lgkmcnt(1)
	v_mul_f32_e32 v9, v4, v7
	v_mul_f32_e32 v7, v3, v7
	s_waitcnt vmcnt(0)
	v_fmac_f32_e32 v7, v4, v8
	v_fma_f32 v3, v3, v8, -v9
	v_add_f32_e32 v4, 0, v7
	v_add_f32_e32 v3, 0, v3
	s_waitcnt lgkmcnt(0)
	v_mul_f32_e32 v7, v4, v6
	v_mul_f32_e32 v6, v3, v6
	v_fma_f32 v3, v3, v5, -v7
	v_fmac_f32_e32 v6, v4, v5
	buffer_store_dword v3, off, s[0:3], 0 offset:8
	buffer_store_dword v6, off, s[0:3], 0 offset:12
.LBB121_19:
	s_or_b64 exec, exec, s[8:9]
	; wave barrier
	buffer_load_dword v3, off, s[0:3], 0 offset:16
	buffer_load_dword v4, off, s[0:3], 0 offset:20
	v_cmp_gt_u32_e32 vcc, 2, v0
	s_waitcnt vmcnt(0)
	ds_write_b64 v120, v[3:4]
	s_waitcnt lgkmcnt(0)
	; wave barrier
	s_and_saveexec_b64 s[8:9], vcc
	s_cbranch_execz .LBB121_23
; %bb.20:
	buffer_load_dword v5, v121, s[0:3], 0 offen offset:4
	buffer_load_dword v6, v121, s[0:3], 0 offen
	ds_read_b64 v[3:4], v120
	s_waitcnt vmcnt(1) lgkmcnt(0)
	v_mul_f32_e32 v7, v4, v5
	v_mul_f32_e32 v5, v3, v5
	s_waitcnt vmcnt(0)
	v_fma_f32 v3, v3, v6, -v7
	v_fmac_f32_e32 v5, v4, v6
	v_add_f32_e32 v118, 0, v3
	v_add_f32_e32 v117, 0, v5
	s_and_saveexec_b64 s[16:17], s[4:5]
	s_cbranch_execz .LBB121_22
; %bb.21:
	buffer_load_dword v5, off, s[0:3], 0 offset:12
	buffer_load_dword v6, off, s[0:3], 0 offset:8
	v_mov_b32_e32 v3, 0
	ds_read_b64 v[3:4], v3 offset:472
	s_waitcnt vmcnt(1) lgkmcnt(0)
	v_mul_f32_e32 v7, v3, v5
	v_mul_f32_e32 v5, v4, v5
	s_waitcnt vmcnt(0)
	v_fmac_f32_e32 v7, v4, v6
	v_fma_f32 v3, v3, v6, -v5
	v_add_f32_e32 v117, v117, v7
	v_add_f32_e32 v118, v118, v3
.LBB121_22:
	s_or_b64 exec, exec, s[16:17]
	v_mov_b32_e32 v3, 0
	ds_read_b64 v[3:4], v3 offset:16
	s_waitcnt lgkmcnt(0)
	v_mul_f32_e32 v5, v117, v4
	v_mul_f32_e32 v4, v118, v4
	v_fma_f32 v5, v118, v3, -v5
	v_fmac_f32_e32 v4, v117, v3
	buffer_store_dword v5, off, s[0:3], 0 offset:16
	buffer_store_dword v4, off, s[0:3], 0 offset:20
.LBB121_23:
	s_or_b64 exec, exec, s[8:9]
	; wave barrier
	buffer_load_dword v3, off, s[0:3], 0 offset:24
	buffer_load_dword v4, off, s[0:3], 0 offset:28
	v_cmp_gt_u32_e32 vcc, 3, v0
	v_add_u32_e32 v117, -1, v0
	s_waitcnt vmcnt(0)
	ds_write_b64 v120, v[3:4]
	s_waitcnt lgkmcnt(0)
	; wave barrier
	s_and_saveexec_b64 s[4:5], vcc
	s_cbranch_execz .LBB121_27
; %bb.24:
	v_add_u32_e32 v121, -1, v0
	v_add_u32_e32 v122, 0x1d0, v119
	v_mov_b32_e32 v123, v119
	v_mov_b32_e32 v118, 0
	s_mov_b64 s[8:9], 0
	v_mov_b32_e32 v124, 0
.LBB121_25:                             ; =>This Inner Loop Header: Depth=1
	buffer_load_dword v5, v123, s[0:3], 0 offen offset:4
	buffer_load_dword v6, v123, s[0:3], 0 offen
	ds_read_b64 v[3:4], v122
	v_add_u32_e32 v121, 1, v121
	v_cmp_lt_u32_e32 vcc, 1, v121
	v_add_u32_e32 v122, 8, v122
	v_add_u32_e32 v123, 8, v123
	s_or_b64 s[8:9], vcc, s[8:9]
	s_waitcnt vmcnt(1) lgkmcnt(0)
	v_mul_f32_e32 v7, v4, v5
	v_mul_f32_e32 v5, v3, v5
	s_waitcnt vmcnt(0)
	v_fma_f32 v3, v3, v6, -v7
	v_fmac_f32_e32 v5, v4, v6
	v_add_f32_e32 v124, v124, v3
	v_add_f32_e32 v118, v118, v5
	s_andn2_b64 exec, exec, s[8:9]
	s_cbranch_execnz .LBB121_25
; %bb.26:
	s_or_b64 exec, exec, s[8:9]
	v_mov_b32_e32 v3, 0
	ds_read_b64 v[3:4], v3 offset:24
	s_waitcnt lgkmcnt(0)
	v_mul_f32_e32 v5, v118, v4
	v_mul_f32_e32 v4, v124, v4
	v_fma_f32 v5, v124, v3, -v5
	v_fmac_f32_e32 v4, v118, v3
	buffer_store_dword v5, off, s[0:3], 0 offset:24
	buffer_store_dword v4, off, s[0:3], 0 offset:28
.LBB121_27:
	s_or_b64 exec, exec, s[4:5]
	; wave barrier
	buffer_load_dword v3, off, s[0:3], 0 offset:32
	buffer_load_dword v4, off, s[0:3], 0 offset:36
	v_cmp_gt_u32_e32 vcc, 4, v0
	s_waitcnt vmcnt(0)
	ds_write_b64 v120, v[3:4]
	s_waitcnt lgkmcnt(0)
	; wave barrier
	s_and_saveexec_b64 s[4:5], vcc
	s_cbranch_execz .LBB121_31
; %bb.28:
	v_add_u32_e32 v121, -1, v0
	v_add_u32_e32 v122, 0x1d0, v119
	v_mov_b32_e32 v123, v119
	v_mov_b32_e32 v118, 0
	s_mov_b64 s[8:9], 0
	v_mov_b32_e32 v124, 0
.LBB121_29:                             ; =>This Inner Loop Header: Depth=1
	buffer_load_dword v5, v123, s[0:3], 0 offen offset:4
	buffer_load_dword v6, v123, s[0:3], 0 offen
	ds_read_b64 v[3:4], v122
	v_add_u32_e32 v121, 1, v121
	v_cmp_lt_u32_e32 vcc, 2, v121
	v_add_u32_e32 v122, 8, v122
	v_add_u32_e32 v123, 8, v123
	s_or_b64 s[8:9], vcc, s[8:9]
	s_waitcnt vmcnt(1) lgkmcnt(0)
	v_mul_f32_e32 v7, v4, v5
	v_mul_f32_e32 v5, v3, v5
	s_waitcnt vmcnt(0)
	v_fma_f32 v3, v3, v6, -v7
	v_fmac_f32_e32 v5, v4, v6
	v_add_f32_e32 v124, v124, v3
	v_add_f32_e32 v118, v118, v5
	s_andn2_b64 exec, exec, s[8:9]
	s_cbranch_execnz .LBB121_29
; %bb.30:
	s_or_b64 exec, exec, s[8:9]
	v_mov_b32_e32 v3, 0
	ds_read_b64 v[3:4], v3 offset:32
	s_waitcnt lgkmcnt(0)
	v_mul_f32_e32 v5, v118, v4
	v_mul_f32_e32 v4, v124, v4
	v_fma_f32 v5, v124, v3, -v5
	v_fmac_f32_e32 v4, v118, v3
	buffer_store_dword v5, off, s[0:3], 0 offset:32
	buffer_store_dword v4, off, s[0:3], 0 offset:36
.LBB121_31:
	s_or_b64 exec, exec, s[4:5]
	; wave barrier
	buffer_load_dword v3, off, s[0:3], 0 offset:40
	buffer_load_dword v4, off, s[0:3], 0 offset:44
	v_cmp_gt_u32_e32 vcc, 5, v0
	;; [unrolled: 49-line block ×19, first 2 shown]
	s_waitcnt vmcnt(0)
	ds_write_b64 v120, v[3:4]
	s_waitcnt lgkmcnt(0)
	; wave barrier
	s_and_saveexec_b64 s[4:5], vcc
	s_cbranch_execz .LBB121_103
; %bb.100:
	v_add_u32_e32 v121, -1, v0
	v_add_u32_e32 v122, 0x1d0, v119
	v_mov_b32_e32 v123, v119
	v_mov_b32_e32 v118, 0
	s_mov_b64 s[8:9], 0
	v_mov_b32_e32 v124, 0
.LBB121_101:                            ; =>This Inner Loop Header: Depth=1
	buffer_load_dword v5, v123, s[0:3], 0 offen offset:4
	buffer_load_dword v6, v123, s[0:3], 0 offen
	ds_read_b64 v[3:4], v122
	v_add_u32_e32 v121, 1, v121
	v_cmp_lt_u32_e32 vcc, 20, v121
	v_add_u32_e32 v122, 8, v122
	v_add_u32_e32 v123, 8, v123
	s_or_b64 s[8:9], vcc, s[8:9]
	s_waitcnt vmcnt(1) lgkmcnt(0)
	v_mul_f32_e32 v7, v4, v5
	v_mul_f32_e32 v5, v3, v5
	s_waitcnt vmcnt(0)
	v_fma_f32 v3, v3, v6, -v7
	v_fmac_f32_e32 v5, v4, v6
	v_add_f32_e32 v124, v124, v3
	v_add_f32_e32 v118, v118, v5
	s_andn2_b64 exec, exec, s[8:9]
	s_cbranch_execnz .LBB121_101
; %bb.102:
	s_or_b64 exec, exec, s[8:9]
	v_mov_b32_e32 v3, 0
	ds_read_b64 v[3:4], v3 offset:176
	s_waitcnt lgkmcnt(0)
	v_mul_f32_e32 v5, v118, v4
	v_mul_f32_e32 v4, v124, v4
	v_fma_f32 v5, v124, v3, -v5
	v_fmac_f32_e32 v4, v118, v3
	buffer_store_dword v5, off, s[0:3], 0 offset:176
	buffer_store_dword v4, off, s[0:3], 0 offset:180
.LBB121_103:
	s_or_b64 exec, exec, s[4:5]
	; wave barrier
	buffer_load_dword v3, off, s[0:3], 0 offset:184
	buffer_load_dword v4, off, s[0:3], 0 offset:188
	v_cmp_gt_u32_e32 vcc, 23, v0
	s_waitcnt vmcnt(0)
	ds_write_b64 v120, v[3:4]
	s_waitcnt lgkmcnt(0)
	; wave barrier
	s_and_saveexec_b64 s[4:5], vcc
	s_cbranch_execz .LBB121_107
; %bb.104:
	v_add_u32_e32 v121, -1, v0
	v_add_u32_e32 v122, 0x1d0, v119
	v_mov_b32_e32 v123, v119
	v_mov_b32_e32 v118, 0
	s_mov_b64 s[8:9], 0
	v_mov_b32_e32 v124, 0
.LBB121_105:                            ; =>This Inner Loop Header: Depth=1
	buffer_load_dword v5, v123, s[0:3], 0 offen offset:4
	buffer_load_dword v6, v123, s[0:3], 0 offen
	ds_read_b64 v[3:4], v122
	v_add_u32_e32 v121, 1, v121
	v_cmp_lt_u32_e32 vcc, 21, v121
	v_add_u32_e32 v122, 8, v122
	v_add_u32_e32 v123, 8, v123
	s_or_b64 s[8:9], vcc, s[8:9]
	s_waitcnt vmcnt(1) lgkmcnt(0)
	v_mul_f32_e32 v7, v4, v5
	v_mul_f32_e32 v5, v3, v5
	s_waitcnt vmcnt(0)
	v_fma_f32 v3, v3, v6, -v7
	v_fmac_f32_e32 v5, v4, v6
	v_add_f32_e32 v124, v124, v3
	v_add_f32_e32 v118, v118, v5
	s_andn2_b64 exec, exec, s[8:9]
	s_cbranch_execnz .LBB121_105
; %bb.106:
	s_or_b64 exec, exec, s[8:9]
	v_mov_b32_e32 v3, 0
	ds_read_b64 v[3:4], v3 offset:184
	s_waitcnt lgkmcnt(0)
	v_mul_f32_e32 v5, v118, v4
	v_mul_f32_e32 v4, v124, v4
	v_fma_f32 v5, v124, v3, -v5
	v_fmac_f32_e32 v4, v118, v3
	buffer_store_dword v5, off, s[0:3], 0 offset:184
	buffer_store_dword v4, off, s[0:3], 0 offset:188
.LBB121_107:
	s_or_b64 exec, exec, s[4:5]
	; wave barrier
	buffer_load_dword v3, off, s[0:3], 0 offset:192
	buffer_load_dword v4, off, s[0:3], 0 offset:196
	v_cmp_gt_u32_e32 vcc, 24, v0
	;; [unrolled: 49-line block ×34, first 2 shown]
	s_waitcnt vmcnt(0)
	ds_write_b64 v120, v[3:4]
	s_waitcnt lgkmcnt(0)
	; wave barrier
	s_and_saveexec_b64 s[4:5], vcc
	s_cbranch_execz .LBB121_239
; %bb.236:
	v_add_u32_e32 v121, -1, v0
	v_add_u32_e32 v122, 0x1d0, v119
	v_mov_b32_e32 v123, v119
	v_mov_b32_e32 v118, 0
	s_mov_b64 s[8:9], 0
	v_mov_b32_e32 v124, 0
.LBB121_237:                            ; =>This Inner Loop Header: Depth=1
	buffer_load_dword v5, v123, s[0:3], 0 offen offset:4
	buffer_load_dword v6, v123, s[0:3], 0 offen
	ds_read_b64 v[3:4], v122
	v_add_u32_e32 v121, 1, v121
	v_cmp_lt_u32_e32 vcc, 54, v121
	v_add_u32_e32 v122, 8, v122
	v_add_u32_e32 v123, 8, v123
	s_or_b64 s[8:9], vcc, s[8:9]
	s_waitcnt vmcnt(1) lgkmcnt(0)
	v_mul_f32_e32 v7, v4, v5
	v_mul_f32_e32 v5, v3, v5
	s_waitcnt vmcnt(0)
	v_fma_f32 v3, v3, v6, -v7
	v_fmac_f32_e32 v5, v4, v6
	v_add_f32_e32 v124, v124, v3
	v_add_f32_e32 v118, v118, v5
	s_andn2_b64 exec, exec, s[8:9]
	s_cbranch_execnz .LBB121_237
; %bb.238:
	s_or_b64 exec, exec, s[8:9]
	v_mov_b32_e32 v3, 0
	ds_read_b64 v[3:4], v3 offset:448
	s_waitcnt lgkmcnt(0)
	v_mul_f32_e32 v5, v118, v4
	v_mul_f32_e32 v4, v124, v4
	v_fma_f32 v5, v124, v3, -v5
	v_fmac_f32_e32 v4, v118, v3
	buffer_store_dword v5, off, s[0:3], 0 offset:448
	buffer_store_dword v4, off, s[0:3], 0 offset:452
.LBB121_239:
	s_or_b64 exec, exec, s[4:5]
	; wave barrier
	buffer_load_dword v3, off, s[0:3], 0 offset:456
	buffer_load_dword v4, off, s[0:3], 0 offset:460
	v_cmp_ne_u32_e32 vcc, 57, v0
	s_waitcnt vmcnt(0)
	ds_write_b64 v120, v[3:4]
	s_waitcnt lgkmcnt(0)
	; wave barrier
	s_and_saveexec_b64 s[4:5], vcc
	s_cbranch_execz .LBB121_243
; %bb.240:
	v_add_u32_e32 v120, 0x1d0, v119
	v_mov_b32_e32 v118, 0
	s_mov_b64 s[8:9], 0
	v_mov_b32_e32 v121, 0
.LBB121_241:                            ; =>This Inner Loop Header: Depth=1
	buffer_load_dword v5, v119, s[0:3], 0 offen offset:4
	buffer_load_dword v6, v119, s[0:3], 0 offen
	ds_read_b64 v[3:4], v120
	v_add_u32_e32 v117, 1, v117
	v_cmp_lt_u32_e32 vcc, 55, v117
	v_add_u32_e32 v120, 8, v120
	v_add_u32_e32 v119, 8, v119
	s_or_b64 s[8:9], vcc, s[8:9]
	s_waitcnt vmcnt(1) lgkmcnt(0)
	v_mul_f32_e32 v7, v4, v5
	v_mul_f32_e32 v5, v3, v5
	s_waitcnt vmcnt(0)
	v_fma_f32 v3, v3, v6, -v7
	v_fmac_f32_e32 v5, v4, v6
	v_add_f32_e32 v121, v121, v3
	v_add_f32_e32 v118, v118, v5
	s_andn2_b64 exec, exec, s[8:9]
	s_cbranch_execnz .LBB121_241
; %bb.242:
	s_or_b64 exec, exec, s[8:9]
	v_mov_b32_e32 v3, 0
	ds_read_b64 v[3:4], v3 offset:456
	s_waitcnt lgkmcnt(0)
	v_mul_f32_e32 v5, v118, v4
	v_mul_f32_e32 v4, v121, v4
	v_fma_f32 v5, v121, v3, -v5
	v_fmac_f32_e32 v4, v118, v3
	buffer_store_dword v5, off, s[0:3], 0 offset:456
	buffer_store_dword v4, off, s[0:3], 0 offset:460
.LBB121_243:
	s_or_b64 exec, exec, s[4:5]
	s_mov_b64 s[8:9], -1
	; wave barrier
.LBB121_244:
	s_and_b64 vcc, exec, s[8:9]
	s_cbranch_vccz .LBB121_246
; %bb.245:
	s_lshl_b64 s[4:5], s[6:7], 2
	s_add_u32 s4, s10, s4
	s_addc_u32 s5, s11, s5
	v_mov_b32_e32 v3, 0
	global_load_dword v3, v3, s[4:5]
	s_waitcnt vmcnt(0)
	v_cmp_ne_u32_e32 vcc, 0, v3
	s_cbranch_vccz .LBB121_247
.LBB121_246:
	s_endpgm
.LBB121_247:
	v_mov_b32_e32 v3, 0x1d0
	v_lshl_add_u32 v117, v0, 3, v3
	v_cmp_eq_u32_e32 vcc, 57, v0
	s_and_saveexec_b64 s[4:5], vcc
	s_cbranch_execz .LBB121_249
; %bb.248:
	buffer_load_dword v3, off, s[0:3], 0 offset:448
	buffer_load_dword v4, off, s[0:3], 0 offset:452
	v_mov_b32_e32 v5, 0
	buffer_store_dword v5, off, s[0:3], 0 offset:448
	buffer_store_dword v5, off, s[0:3], 0 offset:452
	s_waitcnt vmcnt(2)
	ds_write_b64 v117, v[3:4]
.LBB121_249:
	s_or_b64 exec, exec, s[4:5]
	s_waitcnt lgkmcnt(0)
	; wave barrier
	buffer_load_dword v5, off, s[0:3], 0 offset:460
	buffer_load_dword v6, off, s[0:3], 0 offset:456
	;; [unrolled: 1-line block ×4, first 2 shown]
	v_mov_b32_e32 v118, 0
	ds_read_b64 v[3:4], v118 offset:920
	v_cmp_lt_u32_e32 vcc, 55, v0
	s_waitcnt vmcnt(3) lgkmcnt(0)
	v_mul_f32_e32 v9, v3, v5
	v_mul_f32_e32 v5, v4, v5
	s_waitcnt vmcnt(2)
	v_fma_f32 v3, v3, v6, -v5
	v_fmac_f32_e32 v9, v4, v6
	v_add_f32_e32 v3, 0, v3
	v_add_f32_e32 v4, 0, v9
	s_waitcnt vmcnt(1)
	v_sub_f32_e32 v3, v7, v3
	s_waitcnt vmcnt(0)
	v_sub_f32_e32 v4, v8, v4
	buffer_store_dword v3, off, s[0:3], 0 offset:448
	buffer_store_dword v4, off, s[0:3], 0 offset:452
	s_and_saveexec_b64 s[4:5], vcc
	s_cbranch_execz .LBB121_251
; %bb.250:
	buffer_load_dword v3, off, s[0:3], 0 offset:440
	buffer_load_dword v4, off, s[0:3], 0 offset:444
	s_waitcnt vmcnt(0)
	ds_write_b64 v117, v[3:4]
	buffer_store_dword v118, off, s[0:3], 0 offset:440
	buffer_store_dword v118, off, s[0:3], 0 offset:444
.LBB121_251:
	s_or_b64 exec, exec, s[4:5]
	s_waitcnt lgkmcnt(0)
	; wave barrier
	buffer_load_dword v3, off, s[0:3], 0 offset:452
	buffer_load_dword v4, off, s[0:3], 0 offset:460
	;; [unrolled: 1-line block ×6, first 2 shown]
	ds_read_b128 v[118:121], v118 offset:912
	v_cmp_lt_u32_e32 vcc, 54, v0
	s_waitcnt vmcnt(5) lgkmcnt(0)
	v_mul_f32_e32 v9, v118, v3
	v_mul_f32_e32 v3, v119, v3
	s_waitcnt vmcnt(4)
	v_mul_f32_e32 v10, v120, v4
	v_mul_f32_e32 v4, v121, v4
	s_waitcnt vmcnt(3)
	v_fma_f32 v3, v118, v5, -v3
	v_fmac_f32_e32 v9, v119, v5
	s_waitcnt vmcnt(2)
	v_fma_f32 v4, v120, v6, -v4
	v_add_f32_e32 v3, 0, v3
	v_fmac_f32_e32 v10, v121, v6
	v_add_f32_e32 v5, 0, v9
	v_add_f32_e32 v3, v3, v4
	;; [unrolled: 1-line block ×3, first 2 shown]
	s_waitcnt vmcnt(1)
	v_sub_f32_e32 v3, v7, v3
	s_waitcnt vmcnt(0)
	v_sub_f32_e32 v4, v8, v5
	buffer_store_dword v3, off, s[0:3], 0 offset:440
	buffer_store_dword v4, off, s[0:3], 0 offset:444
	s_and_saveexec_b64 s[4:5], vcc
	s_cbranch_execz .LBB121_253
; %bb.252:
	buffer_load_dword v3, off, s[0:3], 0 offset:432
	buffer_load_dword v4, off, s[0:3], 0 offset:436
	v_mov_b32_e32 v5, 0
	buffer_store_dword v5, off, s[0:3], 0 offset:432
	buffer_store_dword v5, off, s[0:3], 0 offset:436
	s_waitcnt vmcnt(2)
	ds_write_b64 v117, v[3:4]
.LBB121_253:
	s_or_b64 exec, exec, s[4:5]
	s_waitcnt lgkmcnt(0)
	; wave barrier
	buffer_load_dword v5, off, s[0:3], 0 offset:444
	buffer_load_dword v6, off, s[0:3], 0 offset:452
	;; [unrolled: 1-line block ×8, first 2 shown]
	v_mov_b32_e32 v118, 0
	ds_read2_b64 v[119:122], v118 offset0:113 offset1:114
	ds_read_b64 v[3:4], v118 offset:920
	v_cmp_lt_u32_e32 vcc, 53, v0
	s_waitcnt vmcnt(7) lgkmcnt(1)
	v_mul_f32_e32 v13, v119, v5
	v_mul_f32_e32 v5, v120, v5
	s_waitcnt vmcnt(5) lgkmcnt(0)
	v_mul_f32_e32 v15, v3, v7
	v_mul_f32_e32 v14, v121, v6
	;; [unrolled: 1-line block ×4, first 2 shown]
	s_waitcnt vmcnt(2)
	v_fmac_f32_e32 v15, v4, v10
	v_fma_f32 v4, v119, v8, -v5
	v_fmac_f32_e32 v13, v120, v8
	v_fma_f32 v5, v121, v9, -v6
	v_add_f32_e32 v4, 0, v4
	v_fmac_f32_e32 v14, v122, v9
	v_fma_f32 v3, v3, v10, -v7
	v_add_f32_e32 v6, 0, v13
	v_add_f32_e32 v4, v4, v5
	;; [unrolled: 1-line block ×5, first 2 shown]
	s_waitcnt vmcnt(1)
	v_sub_f32_e32 v3, v11, v3
	s_waitcnt vmcnt(0)
	v_sub_f32_e32 v4, v12, v5
	buffer_store_dword v3, off, s[0:3], 0 offset:432
	buffer_store_dword v4, off, s[0:3], 0 offset:436
	s_and_saveexec_b64 s[4:5], vcc
	s_cbranch_execz .LBB121_255
; %bb.254:
	buffer_load_dword v3, off, s[0:3], 0 offset:424
	buffer_load_dword v4, off, s[0:3], 0 offset:428
	s_waitcnt vmcnt(0)
	ds_write_b64 v117, v[3:4]
	buffer_store_dword v118, off, s[0:3], 0 offset:424
	buffer_store_dword v118, off, s[0:3], 0 offset:428
.LBB121_255:
	s_or_b64 exec, exec, s[4:5]
	s_waitcnt lgkmcnt(0)
	; wave barrier
	buffer_load_dword v3, off, s[0:3], 0 offset:436
	buffer_load_dword v4, off, s[0:3], 0 offset:444
	;; [unrolled: 1-line block ×10, first 2 shown]
	ds_read_b128 v[119:122], v118 offset:896
	ds_read_b128 v[123:126], v118 offset:912
	v_cmp_lt_u32_e32 vcc, 52, v0
	s_waitcnt vmcnt(9) lgkmcnt(1)
	v_mul_f32_e32 v13, v119, v3
	v_mul_f32_e32 v3, v120, v3
	s_waitcnt vmcnt(8)
	v_mul_f32_e32 v14, v121, v4
	v_mul_f32_e32 v4, v122, v4
	s_waitcnt vmcnt(5)
	v_fma_f32 v3, v119, v7, -v3
	s_waitcnt lgkmcnt(0)
	v_mul_f32_e32 v15, v123, v5
	v_mul_f32_e32 v5, v124, v5
	v_fmac_f32_e32 v13, v120, v7
	s_waitcnt vmcnt(4)
	v_fma_f32 v4, v121, v8, -v4
	v_add_f32_e32 v3, 0, v3
	v_mul_f32_e32 v16, v125, v6
	v_mul_f32_e32 v6, v126, v6
	v_fmac_f32_e32 v14, v122, v8
	s_waitcnt vmcnt(3)
	v_fma_f32 v5, v123, v9, -v5
	v_add_f32_e32 v7, 0, v13
	v_add_f32_e32 v3, v3, v4
	v_fmac_f32_e32 v15, v124, v9
	s_waitcnt vmcnt(2)
	v_fma_f32 v6, v125, v10, -v6
	v_add_f32_e32 v7, v7, v14
	v_add_f32_e32 v3, v3, v5
	v_fmac_f32_e32 v16, v126, v10
	v_add_f32_e32 v4, v7, v15
	v_add_f32_e32 v3, v3, v6
	;; [unrolled: 1-line block ×3, first 2 shown]
	s_waitcnt vmcnt(1)
	v_sub_f32_e32 v3, v11, v3
	s_waitcnt vmcnt(0)
	v_sub_f32_e32 v4, v12, v4
	buffer_store_dword v3, off, s[0:3], 0 offset:424
	buffer_store_dword v4, off, s[0:3], 0 offset:428
	s_and_saveexec_b64 s[4:5], vcc
	s_cbranch_execz .LBB121_257
; %bb.256:
	buffer_load_dword v3, off, s[0:3], 0 offset:416
	buffer_load_dword v4, off, s[0:3], 0 offset:420
	v_mov_b32_e32 v5, 0
	buffer_store_dword v5, off, s[0:3], 0 offset:416
	buffer_store_dword v5, off, s[0:3], 0 offset:420
	s_waitcnt vmcnt(2)
	ds_write_b64 v117, v[3:4]
.LBB121_257:
	s_or_b64 exec, exec, s[4:5]
	s_waitcnt lgkmcnt(0)
	; wave barrier
	buffer_load_dword v5, off, s[0:3], 0 offset:428
	buffer_load_dword v6, off, s[0:3], 0 offset:436
	;; [unrolled: 1-line block ×12, first 2 shown]
	v_mov_b32_e32 v118, 0
	ds_read2_b64 v[119:122], v118 offset0:111 offset1:112
	ds_read2_b64 v[123:126], v118 offset0:113 offset1:114
	ds_read_b64 v[3:4], v118 offset:920
	v_cmp_lt_u32_e32 vcc, 51, v0
	s_waitcnt vmcnt(11) lgkmcnt(2)
	v_mul_f32_e32 v17, v119, v5
	v_mul_f32_e32 v5, v120, v5
	s_waitcnt vmcnt(10)
	v_mul_f32_e32 v18, v121, v6
	v_mul_f32_e32 v6, v122, v6
	s_waitcnt vmcnt(7) lgkmcnt(0)
	v_mul_f32_e32 v21, v3, v9
	v_mul_f32_e32 v9, v4, v9
	;; [unrolled: 1-line block ×5, first 2 shown]
	s_waitcnt vmcnt(2)
	v_fmac_f32_e32 v21, v4, v14
	v_fma_f32 v4, v119, v10, -v5
	v_mul_f32_e32 v8, v126, v8
	v_fmac_f32_e32 v17, v120, v10
	v_fma_f32 v5, v121, v11, -v6
	v_add_f32_e32 v4, 0, v4
	v_fmac_f32_e32 v18, v122, v11
	v_fma_f32 v6, v123, v12, -v7
	v_fma_f32 v7, v125, v13, -v8
	v_add_f32_e32 v8, 0, v17
	v_add_f32_e32 v4, v4, v5
	v_fmac_f32_e32 v19, v124, v12
	v_add_f32_e32 v8, v8, v18
	v_add_f32_e32 v4, v4, v6
	v_fmac_f32_e32 v20, v126, v13
	v_fma_f32 v3, v3, v14, -v9
	v_add_f32_e32 v5, v8, v19
	v_add_f32_e32 v4, v4, v7
	;; [unrolled: 1-line block ×5, first 2 shown]
	s_waitcnt vmcnt(1)
	v_sub_f32_e32 v3, v15, v3
	s_waitcnt vmcnt(0)
	v_sub_f32_e32 v4, v16, v5
	buffer_store_dword v3, off, s[0:3], 0 offset:416
	buffer_store_dword v4, off, s[0:3], 0 offset:420
	s_and_saveexec_b64 s[4:5], vcc
	s_cbranch_execz .LBB121_259
; %bb.258:
	buffer_load_dword v3, off, s[0:3], 0 offset:408
	buffer_load_dword v4, off, s[0:3], 0 offset:412
	s_waitcnt vmcnt(0)
	ds_write_b64 v117, v[3:4]
	buffer_store_dword v118, off, s[0:3], 0 offset:408
	buffer_store_dword v118, off, s[0:3], 0 offset:412
.LBB121_259:
	s_or_b64 exec, exec, s[4:5]
	s_waitcnt lgkmcnt(0)
	; wave barrier
	buffer_load_dword v3, off, s[0:3], 0 offset:420
	buffer_load_dword v4, off, s[0:3], 0 offset:428
	;; [unrolled: 1-line block ×14, first 2 shown]
	ds_read_b128 v[119:122], v118 offset:880
	ds_read_b128 v[123:126], v118 offset:896
	ds_read_b128 v[127:130], v118 offset:912
	v_cmp_lt_u32_e32 vcc, 50, v0
	s_waitcnt vmcnt(13) lgkmcnt(2)
	v_mul_f32_e32 v17, v119, v3
	v_mul_f32_e32 v3, v120, v3
	s_waitcnt vmcnt(12)
	v_mul_f32_e32 v18, v121, v4
	v_mul_f32_e32 v4, v122, v4
	s_waitcnt vmcnt(11) lgkmcnt(1)
	v_mul_f32_e32 v19, v123, v5
	v_mul_f32_e32 v5, v124, v5
	s_waitcnt vmcnt(7)
	v_fma_f32 v3, v119, v9, -v3
	v_fmac_f32_e32 v17, v120, v9
	s_waitcnt vmcnt(6)
	v_fma_f32 v4, v121, v10, -v4
	v_add_f32_e32 v3, 0, v3
	v_mul_f32_e32 v20, v125, v6
	v_mul_f32_e32 v6, v126, v6
	v_fmac_f32_e32 v18, v122, v10
	s_waitcnt vmcnt(5)
	v_fma_f32 v5, v123, v11, -v5
	v_add_f32_e32 v9, 0, v17
	v_add_f32_e32 v3, v3, v4
	s_waitcnt lgkmcnt(0)
	v_mul_f32_e32 v21, v127, v7
	v_mul_f32_e32 v7, v128, v7
	v_fmac_f32_e32 v19, v124, v11
	s_waitcnt vmcnt(4)
	v_fma_f32 v6, v125, v12, -v6
	v_add_f32_e32 v9, v9, v18
	v_add_f32_e32 v3, v3, v5
	v_mul_f32_e32 v22, v129, v8
	v_mul_f32_e32 v8, v130, v8
	v_fmac_f32_e32 v20, v126, v12
	s_waitcnt vmcnt(3)
	v_fma_f32 v7, v127, v13, -v7
	v_add_f32_e32 v4, v9, v19
	v_add_f32_e32 v3, v3, v6
	v_fmac_f32_e32 v21, v128, v13
	s_waitcnt vmcnt(2)
	v_fma_f32 v8, v129, v14, -v8
	v_add_f32_e32 v4, v4, v20
	v_add_f32_e32 v3, v3, v7
	v_fmac_f32_e32 v22, v130, v14
	v_add_f32_e32 v4, v4, v21
	v_add_f32_e32 v3, v3, v8
	v_add_f32_e32 v4, v4, v22
	s_waitcnt vmcnt(1)
	v_sub_f32_e32 v3, v15, v3
	s_waitcnt vmcnt(0)
	v_sub_f32_e32 v4, v16, v4
	buffer_store_dword v3, off, s[0:3], 0 offset:408
	buffer_store_dword v4, off, s[0:3], 0 offset:412
	s_and_saveexec_b64 s[4:5], vcc
	s_cbranch_execz .LBB121_261
; %bb.260:
	buffer_load_dword v3, off, s[0:3], 0 offset:400
	buffer_load_dword v4, off, s[0:3], 0 offset:404
	v_mov_b32_e32 v5, 0
	buffer_store_dword v5, off, s[0:3], 0 offset:400
	buffer_store_dword v5, off, s[0:3], 0 offset:404
	s_waitcnt vmcnt(2)
	ds_write_b64 v117, v[3:4]
.LBB121_261:
	s_or_b64 exec, exec, s[4:5]
	s_waitcnt lgkmcnt(0)
	; wave barrier
	buffer_load_dword v5, off, s[0:3], 0 offset:412
	buffer_load_dword v6, off, s[0:3], 0 offset:420
	;; [unrolled: 1-line block ×16, first 2 shown]
	v_mov_b32_e32 v118, 0
	ds_read2_b64 v[119:122], v118 offset0:109 offset1:110
	ds_read2_b64 v[123:126], v118 offset0:111 offset1:112
	;; [unrolled: 1-line block ×3, first 2 shown]
	ds_read_b64 v[3:4], v118 offset:920
	v_cmp_lt_u32_e32 vcc, 49, v0
	s_waitcnt vmcnt(15) lgkmcnt(3)
	v_mul_f32_e32 v21, v119, v5
	v_mul_f32_e32 v5, v120, v5
	s_waitcnt vmcnt(14)
	v_mul_f32_e32 v22, v121, v6
	v_mul_f32_e32 v6, v122, v6
	s_waitcnt vmcnt(13) lgkmcnt(2)
	v_mul_f32_e32 v23, v123, v7
	s_waitcnt vmcnt(12)
	v_mul_f32_e32 v24, v125, v8
	s_waitcnt vmcnt(9) lgkmcnt(0)
	v_mul_f32_e32 v27, v3, v11
	v_mul_f32_e32 v11, v4, v11
	;; [unrolled: 1-line block ×7, first 2 shown]
	s_waitcnt vmcnt(2)
	v_fmac_f32_e32 v27, v4, v18
	v_fma_f32 v4, v119, v12, -v5
	v_mul_f32_e32 v10, v130, v10
	v_fmac_f32_e32 v21, v120, v12
	v_fma_f32 v5, v121, v13, -v6
	v_add_f32_e32 v4, 0, v4
	v_fmac_f32_e32 v22, v122, v13
	v_fma_f32 v6, v123, v14, -v7
	v_fma_f32 v7, v125, v15, -v8
	;; [unrolled: 1-line block ×4, first 2 shown]
	v_add_f32_e32 v10, 0, v21
	v_add_f32_e32 v4, v4, v5
	v_fmac_f32_e32 v23, v124, v14
	v_add_f32_e32 v10, v10, v22
	v_add_f32_e32 v4, v4, v6
	v_fmac_f32_e32 v24, v126, v15
	v_add_f32_e32 v5, v10, v23
	v_add_f32_e32 v4, v4, v7
	v_fmac_f32_e32 v25, v128, v16
	v_add_f32_e32 v5, v5, v24
	v_add_f32_e32 v4, v4, v8
	v_fmac_f32_e32 v26, v130, v17
	v_fma_f32 v3, v3, v18, -v11
	v_add_f32_e32 v5, v5, v25
	v_add_f32_e32 v4, v4, v9
	;; [unrolled: 1-line block ×5, first 2 shown]
	s_waitcnt vmcnt(1)
	v_sub_f32_e32 v3, v19, v3
	s_waitcnt vmcnt(0)
	v_sub_f32_e32 v4, v20, v5
	buffer_store_dword v3, off, s[0:3], 0 offset:400
	buffer_store_dword v4, off, s[0:3], 0 offset:404
	s_and_saveexec_b64 s[4:5], vcc
	s_cbranch_execz .LBB121_263
; %bb.262:
	buffer_load_dword v3, off, s[0:3], 0 offset:392
	buffer_load_dword v4, off, s[0:3], 0 offset:396
	s_waitcnt vmcnt(0)
	ds_write_b64 v117, v[3:4]
	buffer_store_dword v118, off, s[0:3], 0 offset:392
	buffer_store_dword v118, off, s[0:3], 0 offset:396
.LBB121_263:
	s_or_b64 exec, exec, s[4:5]
	s_waitcnt lgkmcnt(0)
	; wave barrier
	buffer_load_dword v3, off, s[0:3], 0 offset:404
	buffer_load_dword v4, off, s[0:3], 0 offset:412
	;; [unrolled: 1-line block ×18, first 2 shown]
	ds_read_b128 v[119:122], v118 offset:864
	ds_read_b128 v[123:126], v118 offset:880
	;; [unrolled: 1-line block ×4, first 2 shown]
	v_cmp_lt_u32_e32 vcc, 48, v0
	s_waitcnt vmcnt(17) lgkmcnt(3)
	v_mul_f32_e32 v21, v119, v3
	v_mul_f32_e32 v3, v120, v3
	s_waitcnt vmcnt(16)
	v_mul_f32_e32 v22, v121, v4
	v_mul_f32_e32 v4, v122, v4
	s_waitcnt vmcnt(15) lgkmcnt(2)
	v_mul_f32_e32 v23, v123, v5
	v_mul_f32_e32 v5, v124, v5
	s_waitcnt vmcnt(14)
	v_mul_f32_e32 v24, v125, v6
	v_mul_f32_e32 v6, v126, v6
	s_waitcnt vmcnt(9)
	v_fma_f32 v3, v119, v11, -v3
	v_fmac_f32_e32 v21, v120, v11
	s_waitcnt vmcnt(8)
	v_fma_f32 v4, v121, v12, -v4
	v_add_f32_e32 v3, 0, v3
	v_fmac_f32_e32 v22, v122, v12
	s_waitcnt vmcnt(7)
	v_fma_f32 v5, v123, v13, -v5
	v_add_f32_e32 v11, 0, v21
	v_add_f32_e32 v3, v3, v4
	s_waitcnt lgkmcnt(1)
	v_mul_f32_e32 v25, v127, v7
	v_mul_f32_e32 v7, v128, v7
	v_fmac_f32_e32 v23, v124, v13
	s_waitcnt vmcnt(6)
	v_fma_f32 v6, v125, v14, -v6
	v_add_f32_e32 v11, v11, v22
	v_add_f32_e32 v3, v3, v5
	v_mul_f32_e32 v26, v129, v8
	v_mul_f32_e32 v8, v130, v8
	v_fmac_f32_e32 v24, v126, v14
	s_waitcnt vmcnt(5)
	v_fma_f32 v7, v127, v15, -v7
	v_add_f32_e32 v4, v11, v23
	v_add_f32_e32 v3, v3, v6
	s_waitcnt lgkmcnt(0)
	v_mul_f32_e32 v27, v131, v9
	v_mul_f32_e32 v9, v132, v9
	v_fmac_f32_e32 v25, v128, v15
	s_waitcnt vmcnt(4)
	v_fma_f32 v8, v129, v16, -v8
	v_add_f32_e32 v4, v4, v24
	v_add_f32_e32 v3, v3, v7
	v_mul_f32_e32 v28, v133, v10
	v_mul_f32_e32 v10, v134, v10
	v_fmac_f32_e32 v26, v130, v16
	s_waitcnt vmcnt(3)
	v_fma_f32 v9, v131, v17, -v9
	v_add_f32_e32 v4, v4, v25
	v_add_f32_e32 v3, v3, v8
	v_fmac_f32_e32 v27, v132, v17
	s_waitcnt vmcnt(2)
	v_fma_f32 v10, v133, v18, -v10
	v_add_f32_e32 v4, v4, v26
	v_add_f32_e32 v3, v3, v9
	v_fmac_f32_e32 v28, v134, v18
	v_add_f32_e32 v4, v4, v27
	v_add_f32_e32 v3, v3, v10
	;; [unrolled: 1-line block ×3, first 2 shown]
	s_waitcnt vmcnt(1)
	v_sub_f32_e32 v3, v19, v3
	s_waitcnt vmcnt(0)
	v_sub_f32_e32 v4, v20, v4
	buffer_store_dword v3, off, s[0:3], 0 offset:392
	buffer_store_dword v4, off, s[0:3], 0 offset:396
	s_and_saveexec_b64 s[4:5], vcc
	s_cbranch_execz .LBB121_265
; %bb.264:
	buffer_load_dword v3, off, s[0:3], 0 offset:384
	buffer_load_dword v4, off, s[0:3], 0 offset:388
	v_mov_b32_e32 v5, 0
	buffer_store_dword v5, off, s[0:3], 0 offset:384
	buffer_store_dword v5, off, s[0:3], 0 offset:388
	s_waitcnt vmcnt(2)
	ds_write_b64 v117, v[3:4]
.LBB121_265:
	s_or_b64 exec, exec, s[4:5]
	s_waitcnt lgkmcnt(0)
	; wave barrier
	buffer_load_dword v5, off, s[0:3], 0 offset:396
	buffer_load_dword v6, off, s[0:3], 0 offset:404
	;; [unrolled: 1-line block ×20, first 2 shown]
	v_mov_b32_e32 v118, 0
	ds_read2_b64 v[119:122], v118 offset0:107 offset1:108
	ds_read2_b64 v[123:126], v118 offset0:109 offset1:110
	;; [unrolled: 1-line block ×4, first 2 shown]
	ds_read_b64 v[3:4], v118 offset:920
	v_cmp_lt_u32_e32 vcc, 47, v0
	s_waitcnt vmcnt(19) lgkmcnt(4)
	v_mul_f32_e32 v25, v119, v5
	v_mul_f32_e32 v5, v120, v5
	s_waitcnt vmcnt(18)
	v_mul_f32_e32 v26, v121, v6
	v_mul_f32_e32 v6, v122, v6
	s_waitcnt vmcnt(17) lgkmcnt(3)
	v_mul_f32_e32 v27, v123, v7
	s_waitcnt vmcnt(16)
	v_mul_f32_e32 v28, v125, v8
	s_waitcnt vmcnt(15) lgkmcnt(2)
	v_mul_f32_e32 v29, v127, v9
	s_waitcnt vmcnt(14)
	v_mul_f32_e32 v30, v129, v10
	s_waitcnt vmcnt(11) lgkmcnt(0)
	v_mul_f32_e32 v137, v3, v13
	v_mul_f32_e32 v13, v4, v13
	;; [unrolled: 1-line block ×9, first 2 shown]
	s_waitcnt vmcnt(2)
	v_fmac_f32_e32 v137, v4, v22
	v_fma_f32 v4, v119, v14, -v5
	v_mul_f32_e32 v12, v134, v12
	v_fmac_f32_e32 v25, v120, v14
	v_fma_f32 v5, v121, v15, -v6
	v_add_f32_e32 v4, 0, v4
	v_fmac_f32_e32 v26, v122, v15
	v_fma_f32 v6, v123, v16, -v7
	v_fma_f32 v7, v125, v17, -v8
	;; [unrolled: 1-line block ×6, first 2 shown]
	v_add_f32_e32 v12, 0, v25
	v_add_f32_e32 v4, v4, v5
	v_fmac_f32_e32 v27, v124, v16
	v_add_f32_e32 v12, v12, v26
	v_add_f32_e32 v4, v4, v6
	v_fmac_f32_e32 v28, v126, v17
	v_add_f32_e32 v5, v12, v27
	v_add_f32_e32 v4, v4, v7
	v_fmac_f32_e32 v29, v128, v18
	v_add_f32_e32 v5, v5, v28
	v_add_f32_e32 v4, v4, v8
	v_fmac_f32_e32 v30, v130, v19
	v_add_f32_e32 v5, v5, v29
	v_add_f32_e32 v4, v4, v9
	v_fmac_f32_e32 v135, v132, v20
	v_add_f32_e32 v5, v5, v30
	v_add_f32_e32 v4, v4, v10
	v_fmac_f32_e32 v136, v134, v21
	v_fma_f32 v3, v3, v22, -v13
	v_add_f32_e32 v5, v5, v135
	v_add_f32_e32 v4, v4, v11
	;; [unrolled: 1-line block ×5, first 2 shown]
	s_waitcnt vmcnt(1)
	v_sub_f32_e32 v3, v23, v3
	s_waitcnt vmcnt(0)
	v_sub_f32_e32 v4, v24, v5
	buffer_store_dword v3, off, s[0:3], 0 offset:384
	buffer_store_dword v4, off, s[0:3], 0 offset:388
	s_and_saveexec_b64 s[4:5], vcc
	s_cbranch_execz .LBB121_267
; %bb.266:
	buffer_load_dword v3, off, s[0:3], 0 offset:376
	buffer_load_dword v4, off, s[0:3], 0 offset:380
	s_waitcnt vmcnt(0)
	ds_write_b64 v117, v[3:4]
	buffer_store_dword v118, off, s[0:3], 0 offset:376
	buffer_store_dword v118, off, s[0:3], 0 offset:380
.LBB121_267:
	s_or_b64 exec, exec, s[4:5]
	s_waitcnt lgkmcnt(0)
	; wave barrier
	buffer_load_dword v3, off, s[0:3], 0 offset:388
	buffer_load_dword v4, off, s[0:3], 0 offset:396
	;; [unrolled: 1-line block ×22, first 2 shown]
	ds_read_b128 v[119:122], v118 offset:848
	ds_read_b128 v[123:126], v118 offset:864
	;; [unrolled: 1-line block ×5, first 2 shown]
	v_cmp_lt_u32_e32 vcc, 46, v0
	s_waitcnt vmcnt(21) lgkmcnt(4)
	v_mul_f32_e32 v25, v119, v3
	v_mul_f32_e32 v3, v120, v3
	s_waitcnt vmcnt(20)
	v_mul_f32_e32 v26, v121, v4
	v_mul_f32_e32 v4, v122, v4
	s_waitcnt vmcnt(19) lgkmcnt(3)
	v_mul_f32_e32 v27, v123, v5
	v_mul_f32_e32 v5, v124, v5
	s_waitcnt vmcnt(18)
	v_mul_f32_e32 v28, v125, v6
	v_mul_f32_e32 v6, v126, v6
	s_waitcnt vmcnt(17) lgkmcnt(2)
	v_mul_f32_e32 v29, v127, v7
	v_mul_f32_e32 v7, v128, v7
	s_waitcnt vmcnt(11)
	v_fma_f32 v3, v119, v13, -v3
	v_fmac_f32_e32 v25, v120, v13
	s_waitcnt vmcnt(10)
	v_fma_f32 v4, v121, v14, -v4
	v_add_f32_e32 v3, 0, v3
	v_fmac_f32_e32 v26, v122, v14
	s_waitcnt vmcnt(9)
	v_fma_f32 v5, v123, v15, -v5
	v_add_f32_e32 v13, 0, v25
	v_add_f32_e32 v3, v3, v4
	v_fmac_f32_e32 v27, v124, v15
	s_waitcnt vmcnt(8)
	v_fma_f32 v6, v125, v16, -v6
	v_add_f32_e32 v13, v13, v26
	v_add_f32_e32 v3, v3, v5
	v_mul_f32_e32 v30, v129, v8
	v_mul_f32_e32 v8, v130, v8
	v_fmac_f32_e32 v28, v126, v16
	s_waitcnt vmcnt(7)
	v_fma_f32 v7, v127, v17, -v7
	v_add_f32_e32 v4, v13, v27
	v_add_f32_e32 v3, v3, v6
	s_waitcnt lgkmcnt(1)
	v_mul_f32_e32 v118, v131, v9
	v_mul_f32_e32 v9, v132, v9
	v_fmac_f32_e32 v29, v128, v17
	s_waitcnt vmcnt(6)
	v_fma_f32 v8, v129, v18, -v8
	v_add_f32_e32 v4, v4, v28
	v_add_f32_e32 v3, v3, v7
	v_mul_f32_e32 v139, v133, v10
	v_mul_f32_e32 v10, v134, v10
	v_fmac_f32_e32 v30, v130, v18
	s_waitcnt vmcnt(5)
	v_fma_f32 v9, v131, v19, -v9
	v_add_f32_e32 v4, v4, v29
	v_add_f32_e32 v3, v3, v8
	s_waitcnt lgkmcnt(0)
	v_mul_f32_e32 v140, v135, v11
	v_mul_f32_e32 v11, v136, v11
	v_fmac_f32_e32 v118, v132, v19
	s_waitcnt vmcnt(4)
	v_fma_f32 v10, v133, v20, -v10
	v_add_f32_e32 v4, v4, v30
	v_add_f32_e32 v3, v3, v9
	v_mul_f32_e32 v141, v137, v12
	v_mul_f32_e32 v12, v138, v12
	v_fmac_f32_e32 v139, v134, v20
	s_waitcnt vmcnt(3)
	v_fma_f32 v11, v135, v21, -v11
	v_add_f32_e32 v4, v4, v118
	v_add_f32_e32 v3, v3, v10
	v_fmac_f32_e32 v140, v136, v21
	s_waitcnt vmcnt(2)
	v_fma_f32 v12, v137, v22, -v12
	v_add_f32_e32 v4, v4, v139
	v_add_f32_e32 v3, v3, v11
	v_fmac_f32_e32 v141, v138, v22
	v_add_f32_e32 v4, v4, v140
	v_add_f32_e32 v3, v3, v12
	;; [unrolled: 1-line block ×3, first 2 shown]
	s_waitcnt vmcnt(1)
	v_sub_f32_e32 v3, v23, v3
	s_waitcnt vmcnt(0)
	v_sub_f32_e32 v4, v24, v4
	buffer_store_dword v3, off, s[0:3], 0 offset:376
	buffer_store_dword v4, off, s[0:3], 0 offset:380
	s_and_saveexec_b64 s[4:5], vcc
	s_cbranch_execz .LBB121_269
; %bb.268:
	buffer_load_dword v3, off, s[0:3], 0 offset:368
	buffer_load_dword v4, off, s[0:3], 0 offset:372
	v_mov_b32_e32 v5, 0
	buffer_store_dword v5, off, s[0:3], 0 offset:368
	buffer_store_dword v5, off, s[0:3], 0 offset:372
	s_waitcnt vmcnt(2)
	ds_write_b64 v117, v[3:4]
.LBB121_269:
	s_or_b64 exec, exec, s[4:5]
	s_waitcnt lgkmcnt(0)
	; wave barrier
	buffer_load_dword v5, off, s[0:3], 0 offset:380
	buffer_load_dword v6, off, s[0:3], 0 offset:388
	;; [unrolled: 1-line block ×24, first 2 shown]
	v_mov_b32_e32 v118, 0
	ds_read2_b64 v[119:122], v118 offset0:105 offset1:106
	ds_read2_b64 v[123:126], v118 offset0:107 offset1:108
	;; [unrolled: 1-line block ×5, first 2 shown]
	ds_read_b64 v[3:4], v118 offset:920
	v_cmp_lt_u32_e32 vcc, 45, v0
	s_waitcnt vmcnt(23) lgkmcnt(5)
	v_mul_f32_e32 v29, v119, v5
	v_mul_f32_e32 v5, v120, v5
	s_waitcnt vmcnt(22)
	v_mul_f32_e32 v30, v121, v6
	v_mul_f32_e32 v6, v122, v6
	s_waitcnt vmcnt(21) lgkmcnt(4)
	v_mul_f32_e32 v139, v123, v7
	v_mul_f32_e32 v7, v124, v7
	s_waitcnt vmcnt(20)
	v_mul_f32_e32 v140, v125, v8
	v_mul_f32_e32 v8, v126, v8
	s_waitcnt vmcnt(19) lgkmcnt(3)
	v_mul_f32_e32 v141, v127, v9
	v_mul_f32_e32 v9, v128, v9
	s_waitcnt vmcnt(18)
	v_mul_f32_e32 v142, v129, v10
	s_waitcnt vmcnt(12)
	v_fma_f32 v5, v119, v16, -v5
	v_fmac_f32_e32 v29, v120, v16
	s_waitcnt vmcnt(11)
	v_fma_f32 v6, v121, v17, -v6
	v_add_f32_e32 v5, 0, v5
	v_fmac_f32_e32 v30, v122, v17
	s_waitcnt vmcnt(10)
	v_fma_f32 v7, v123, v18, -v7
	v_add_f32_e32 v16, 0, v29
	v_add_f32_e32 v5, v5, v6
	v_fmac_f32_e32 v139, v124, v18
	s_waitcnt vmcnt(9)
	v_fma_f32 v8, v125, v19, -v8
	v_add_f32_e32 v16, v16, v30
	v_add_f32_e32 v5, v5, v7
	v_mul_f32_e32 v10, v130, v10
	v_fmac_f32_e32 v140, v126, v19
	s_waitcnt vmcnt(8)
	v_fma_f32 v9, v127, v20, -v9
	v_add_f32_e32 v6, v16, v139
	v_add_f32_e32 v5, v5, v8
	s_waitcnt lgkmcnt(2)
	v_mul_f32_e32 v143, v131, v11
	v_mul_f32_e32 v11, v132, v11
	v_fmac_f32_e32 v141, v128, v20
	s_waitcnt vmcnt(7)
	v_fma_f32 v10, v129, v21, -v10
	v_add_f32_e32 v6, v6, v140
	v_add_f32_e32 v5, v5, v9
	v_mul_f32_e32 v144, v133, v12
	v_mul_f32_e32 v12, v134, v12
	v_fmac_f32_e32 v142, v130, v21
	s_waitcnt vmcnt(6)
	v_fma_f32 v11, v131, v22, -v11
	v_add_f32_e32 v6, v6, v141
	v_add_f32_e32 v5, v5, v10
	s_waitcnt lgkmcnt(1)
	v_mul_f32_e32 v145, v135, v13
	v_mul_f32_e32 v13, v136, v13
	v_fmac_f32_e32 v143, v132, v22
	s_waitcnt vmcnt(5)
	v_fma_f32 v12, v133, v23, -v12
	v_add_f32_e32 v6, v6, v142
	v_add_f32_e32 v5, v5, v11
	s_waitcnt lgkmcnt(0)
	v_mul_f32_e32 v147, v3, v15
	v_fmac_f32_e32 v144, v134, v23
	s_waitcnt vmcnt(4)
	v_fma_f32 v13, v135, v24, -v13
	v_add_f32_e32 v6, v6, v143
	v_add_f32_e32 v5, v5, v12
	v_mul_f32_e32 v7, v138, v14
	v_mul_f32_e32 v146, v137, v14
	v_fmac_f32_e32 v145, v136, v24
	s_waitcnt vmcnt(2)
	v_fmac_f32_e32 v147, v4, v26
	v_add_f32_e32 v6, v6, v144
	v_add_f32_e32 v5, v5, v13
	v_fma_f32 v7, v137, v25, -v7
	v_mul_f32_e32 v4, v4, v15
	v_fmac_f32_e32 v146, v138, v25
	v_add_f32_e32 v6, v6, v145
	v_add_f32_e32 v5, v5, v7
	v_fma_f32 v3, v3, v26, -v4
	v_add_f32_e32 v6, v6, v146
	v_add_f32_e32 v3, v5, v3
	;; [unrolled: 1-line block ×3, first 2 shown]
	s_waitcnt vmcnt(1)
	v_sub_f32_e32 v3, v27, v3
	s_waitcnt vmcnt(0)
	v_sub_f32_e32 v4, v28, v6
	buffer_store_dword v3, off, s[0:3], 0 offset:368
	buffer_store_dword v4, off, s[0:3], 0 offset:372
	s_and_saveexec_b64 s[4:5], vcc
	s_cbranch_execz .LBB121_271
; %bb.270:
	buffer_load_dword v3, off, s[0:3], 0 offset:360
	buffer_load_dword v4, off, s[0:3], 0 offset:364
	s_waitcnt vmcnt(0)
	ds_write_b64 v117, v[3:4]
	buffer_store_dword v118, off, s[0:3], 0 offset:360
	buffer_store_dword v118, off, s[0:3], 0 offset:364
.LBB121_271:
	s_or_b64 exec, exec, s[4:5]
	s_waitcnt lgkmcnt(0)
	; wave barrier
	buffer_load_dword v3, off, s[0:3], 0 offset:372
	buffer_load_dword v4, off, s[0:3], 0 offset:380
	;; [unrolled: 1-line block ×26, first 2 shown]
	ds_read_b128 v[119:122], v118 offset:832
	ds_read_b128 v[123:126], v118 offset:848
	;; [unrolled: 1-line block ×6, first 2 shown]
	v_cmp_lt_u32_e32 vcc, 44, v0
	s_waitcnt vmcnt(25) lgkmcnt(5)
	v_mul_f32_e32 v29, v119, v3
	v_mul_f32_e32 v3, v120, v3
	s_waitcnt vmcnt(24)
	v_mul_f32_e32 v30, v121, v4
	v_mul_f32_e32 v4, v122, v4
	s_waitcnt vmcnt(23) lgkmcnt(4)
	v_mul_f32_e32 v118, v123, v5
	v_mul_f32_e32 v5, v124, v5
	s_waitcnt vmcnt(22)
	v_mul_f32_e32 v143, v125, v6
	v_mul_f32_e32 v6, v126, v6
	;; [unrolled: 6-line block ×3, first 2 shown]
	s_waitcnt vmcnt(13)
	v_fma_f32 v3, v119, v15, -v3
	s_waitcnt vmcnt(12)
	v_fma_f32 v4, v121, v16, -v4
	v_add_f32_e32 v3, 0, v3
	s_waitcnt vmcnt(11)
	v_fma_f32 v5, v123, v17, -v5
	v_add_f32_e32 v3, v3, v4
	;; [unrolled: 3-line block ×3, first 2 shown]
	v_fmac_f32_e32 v29, v120, v15
	s_waitcnt vmcnt(9)
	v_fma_f32 v7, v127, v19, -v7
	v_add_f32_e32 v3, v3, v6
	s_waitcnt lgkmcnt(2)
	v_mul_f32_e32 v146, v131, v9
	v_mul_f32_e32 v9, v132, v9
	v_fmac_f32_e32 v30, v122, v16
	s_waitcnt vmcnt(8)
	v_fma_f32 v8, v129, v20, -v8
	v_add_f32_e32 v15, 0, v29
	v_add_f32_e32 v3, v3, v7
	v_mul_f32_e32 v147, v133, v10
	v_mul_f32_e32 v10, v134, v10
	v_fmac_f32_e32 v118, v124, v17
	s_waitcnt vmcnt(7)
	v_fma_f32 v9, v131, v21, -v9
	v_add_f32_e32 v15, v15, v30
	v_add_f32_e32 v3, v3, v8
	v_fmac_f32_e32 v143, v126, v18
	s_waitcnt vmcnt(6)
	v_fma_f32 v10, v133, v22, -v10
	v_add_f32_e32 v4, v15, v118
	v_add_f32_e32 v3, v3, v9
	s_waitcnt lgkmcnt(1)
	v_mul_f32_e32 v5, v136, v11
	v_fmac_f32_e32 v144, v128, v19
	v_add_f32_e32 v4, v4, v143
	v_add_f32_e32 v3, v3, v10
	s_waitcnt vmcnt(5)
	v_fma_f32 v5, v135, v23, -v5
	v_fmac_f32_e32 v145, v130, v20
	v_add_f32_e32 v4, v4, v144
	v_add_f32_e32 v3, v3, v5
	v_mul_f32_e32 v5, v138, v12
	v_fmac_f32_e32 v146, v132, v21
	v_add_f32_e32 v4, v4, v145
	s_waitcnt vmcnt(4)
	v_fma_f32 v5, v137, v24, -v5
	v_mul_f32_e32 v148, v135, v11
	v_fmac_f32_e32 v147, v134, v22
	v_add_f32_e32 v4, v4, v146
	v_add_f32_e32 v3, v3, v5
	s_waitcnt lgkmcnt(0)
	v_mul_f32_e32 v5, v140, v13
	v_mul_f32_e32 v149, v137, v12
	v_fmac_f32_e32 v148, v136, v23
	v_add_f32_e32 v4, v4, v147
	s_waitcnt vmcnt(3)
	v_fma_f32 v5, v139, v25, -v5
	v_mul_f32_e32 v150, v139, v13
	v_fmac_f32_e32 v149, v138, v24
	v_add_f32_e32 v4, v4, v148
	v_add_f32_e32 v3, v3, v5
	v_mul_f32_e32 v5, v142, v14
	v_mul_f32_e32 v151, v141, v14
	v_fmac_f32_e32 v150, v140, v25
	v_add_f32_e32 v4, v4, v149
	s_waitcnt vmcnt(2)
	v_fma_f32 v5, v141, v26, -v5
	v_fmac_f32_e32 v151, v142, v26
	v_add_f32_e32 v4, v4, v150
	v_add_f32_e32 v3, v3, v5
	;; [unrolled: 1-line block ×3, first 2 shown]
	s_waitcnt vmcnt(1)
	v_sub_f32_e32 v3, v27, v3
	s_waitcnt vmcnt(0)
	v_sub_f32_e32 v4, v28, v4
	buffer_store_dword v3, off, s[0:3], 0 offset:360
	buffer_store_dword v4, off, s[0:3], 0 offset:364
	s_and_saveexec_b64 s[4:5], vcc
	s_cbranch_execz .LBB121_273
; %bb.272:
	buffer_load_dword v3, off, s[0:3], 0 offset:352
	buffer_load_dword v4, off, s[0:3], 0 offset:356
	v_mov_b32_e32 v5, 0
	buffer_store_dword v5, off, s[0:3], 0 offset:352
	buffer_store_dword v5, off, s[0:3], 0 offset:356
	s_waitcnt vmcnt(2)
	ds_write_b64 v117, v[3:4]
.LBB121_273:
	s_or_b64 exec, exec, s[4:5]
	s_waitcnt lgkmcnt(0)
	; wave barrier
	buffer_load_dword v5, off, s[0:3], 0 offset:364
	buffer_load_dword v6, off, s[0:3], 0 offset:372
	;; [unrolled: 1-line block ×28, first 2 shown]
	v_mov_b32_e32 v118, 0
	ds_read2_b64 v[119:122], v118 offset0:103 offset1:104
	ds_read2_b64 v[123:126], v118 offset0:105 offset1:106
	ds_read2_b64 v[127:130], v118 offset0:107 offset1:108
	ds_read2_b64 v[131:134], v118 offset0:109 offset1:110
	ds_read2_b64 v[135:138], v118 offset0:111 offset1:112
	ds_read2_b64 v[139:142], v118 offset0:113 offset1:114
	ds_read_b64 v[3:4], v118 offset:920
	v_cmp_lt_u32_e32 vcc, 43, v0
	s_waitcnt vmcnt(27) lgkmcnt(6)
	v_mul_f32_e32 v145, v119, v5
	v_mul_f32_e32 v5, v120, v5
	s_waitcnt vmcnt(26)
	v_mul_f32_e32 v146, v121, v6
	v_mul_f32_e32 v6, v122, v6
	s_waitcnt vmcnt(25) lgkmcnt(5)
	v_mul_f32_e32 v147, v123, v7
	v_mul_f32_e32 v7, v124, v7
	s_waitcnt vmcnt(24)
	v_mul_f32_e32 v148, v125, v8
	v_mul_f32_e32 v8, v126, v8
	;; [unrolled: 6-line block ×3, first 2 shown]
	s_waitcnt vmcnt(21) lgkmcnt(3)
	v_mul_f32_e32 v151, v131, v11
	s_waitcnt vmcnt(14)
	v_fma_f32 v5, v119, v18, -v5
	s_waitcnt vmcnt(13)
	v_fma_f32 v6, v121, v19, -v6
	v_add_f32_e32 v5, 0, v5
	s_waitcnt vmcnt(12)
	v_fma_f32 v7, v123, v20, -v7
	v_add_f32_e32 v5, v5, v6
	;; [unrolled: 3-line block ×5, first 2 shown]
	v_mul_f32_e32 v7, v132, v11
	v_fmac_f32_e32 v145, v120, v18
	v_add_f32_e32 v5, v5, v10
	s_waitcnt vmcnt(8)
	v_fma_f32 v7, v131, v24, -v7
	v_fmac_f32_e32 v146, v122, v19
	v_add_f32_e32 v18, 0, v145
	v_add_f32_e32 v5, v5, v7
	v_mul_f32_e32 v7, v134, v12
	v_fmac_f32_e32 v147, v124, v20
	v_add_f32_e32 v18, v18, v146
	s_waitcnt vmcnt(7)
	v_fma_f32 v7, v133, v25, -v7
	v_fmac_f32_e32 v148, v126, v21
	v_add_f32_e32 v6, v18, v147
	v_add_f32_e32 v5, v5, v7
	s_waitcnt lgkmcnt(2)
	v_mul_f32_e32 v7, v136, v13
	v_fmac_f32_e32 v149, v128, v22
	v_add_f32_e32 v6, v6, v148
	s_waitcnt vmcnt(6)
	v_fma_f32 v7, v135, v26, -v7
	v_fmac_f32_e32 v150, v130, v23
	v_add_f32_e32 v6, v6, v149
	v_add_f32_e32 v5, v5, v7
	v_mul_f32_e32 v7, v138, v14
	v_mul_f32_e32 v152, v133, v12
	v_fmac_f32_e32 v151, v132, v24
	v_add_f32_e32 v6, v6, v150
	s_waitcnt vmcnt(5)
	v_fma_f32 v7, v137, v27, -v7
	v_mul_f32_e32 v153, v135, v13
	v_fmac_f32_e32 v152, v134, v25
	v_add_f32_e32 v6, v6, v151
	v_add_f32_e32 v5, v5, v7
	s_waitcnt lgkmcnt(1)
	v_mul_f32_e32 v7, v140, v15
	v_mul_f32_e32 v154, v137, v14
	v_fmac_f32_e32 v153, v136, v26
	v_add_f32_e32 v6, v6, v152
	s_waitcnt vmcnt(4)
	v_fma_f32 v7, v139, v28, -v7
	v_mul_f32_e32 v155, v139, v15
	s_waitcnt lgkmcnt(0)
	v_mul_f32_e32 v157, v3, v17
	v_fmac_f32_e32 v154, v138, v27
	v_add_f32_e32 v6, v6, v153
	v_add_f32_e32 v5, v5, v7
	v_mul_f32_e32 v7, v142, v16
	v_mul_f32_e32 v156, v141, v16
	v_fmac_f32_e32 v155, v140, v28
	s_waitcnt vmcnt(2)
	v_fmac_f32_e32 v157, v4, v30
	v_add_f32_e32 v6, v6, v154
	v_fma_f32 v7, v141, v29, -v7
	v_mul_f32_e32 v4, v4, v17
	v_fmac_f32_e32 v156, v142, v29
	v_add_f32_e32 v6, v6, v155
	v_add_f32_e32 v5, v5, v7
	v_fma_f32 v3, v3, v30, -v4
	v_add_f32_e32 v6, v6, v156
	v_add_f32_e32 v3, v5, v3
	v_add_f32_e32 v6, v6, v157
	s_waitcnt vmcnt(1)
	v_sub_f32_e32 v3, v143, v3
	s_waitcnt vmcnt(0)
	v_sub_f32_e32 v4, v144, v6
	buffer_store_dword v3, off, s[0:3], 0 offset:352
	buffer_store_dword v4, off, s[0:3], 0 offset:356
	s_and_saveexec_b64 s[4:5], vcc
	s_cbranch_execz .LBB121_275
; %bb.274:
	buffer_load_dword v3, off, s[0:3], 0 offset:344
	buffer_load_dword v4, off, s[0:3], 0 offset:348
	s_waitcnt vmcnt(0)
	ds_write_b64 v117, v[3:4]
	buffer_store_dword v118, off, s[0:3], 0 offset:344
	buffer_store_dword v118, off, s[0:3], 0 offset:348
.LBB121_275:
	s_or_b64 exec, exec, s[4:5]
	s_waitcnt lgkmcnt(0)
	; wave barrier
	buffer_load_dword v3, off, s[0:3], 0 offset:356
	buffer_load_dword v4, off, s[0:3], 0 offset:364
	;; [unrolled: 1-line block ×30, first 2 shown]
	ds_read_b128 v[119:122], v118 offset:816
	ds_read_b128 v[123:126], v118 offset:832
	;; [unrolled: 1-line block ×7, first 2 shown]
	v_cmp_lt_u32_e32 vcc, 42, v0
	s_waitcnt vmcnt(29) lgkmcnt(6)
	v_mul_f32_e32 v118, v119, v3
	v_mul_f32_e32 v3, v120, v3
	s_waitcnt vmcnt(28)
	v_mul_f32_e32 v149, v121, v4
	v_mul_f32_e32 v4, v122, v4
	s_waitcnt vmcnt(27) lgkmcnt(5)
	v_mul_f32_e32 v150, v123, v5
	v_mul_f32_e32 v5, v124, v5
	s_waitcnt vmcnt(26)
	v_mul_f32_e32 v151, v125, v6
	v_mul_f32_e32 v6, v126, v6
	s_waitcnt vmcnt(25) lgkmcnt(4)
	v_mul_f32_e32 v152, v127, v7
	v_mul_f32_e32 v7, v128, v7
	s_waitcnt vmcnt(24)
	v_mul_f32_e32 v153, v129, v8
	s_waitcnt vmcnt(23) lgkmcnt(3)
	v_mul_f32_e32 v154, v131, v9
	s_waitcnt vmcnt(22)
	v_mul_f32_e32 v155, v133, v10
	s_waitcnt vmcnt(21) lgkmcnt(2)
	v_mul_f32_e32 v156, v135, v11
	s_waitcnt vmcnt(15)
	v_fma_f32 v3, v119, v17, -v3
	s_waitcnt vmcnt(14)
	v_fma_f32 v4, v121, v18, -v4
	v_add_f32_e32 v3, 0, v3
	s_waitcnt vmcnt(13)
	v_fma_f32 v5, v123, v19, -v5
	v_add_f32_e32 v3, v3, v4
	;; [unrolled: 3-line block ×4, first 2 shown]
	v_mul_f32_e32 v5, v130, v8
	v_add_f32_e32 v3, v3, v7
	s_waitcnt vmcnt(10)
	v_fma_f32 v5, v129, v22, -v5
	v_add_f32_e32 v3, v3, v5
	v_mul_f32_e32 v5, v132, v9
	s_waitcnt vmcnt(9)
	v_fma_f32 v5, v131, v23, -v5
	v_add_f32_e32 v3, v3, v5
	v_mul_f32_e32 v5, v134, v10
	v_fmac_f32_e32 v118, v120, v17
	s_waitcnt vmcnt(8)
	v_fma_f32 v5, v133, v24, -v5
	v_fmac_f32_e32 v149, v122, v18
	v_add_f32_e32 v17, 0, v118
	v_add_f32_e32 v3, v3, v5
	v_mul_f32_e32 v5, v136, v11
	v_fmac_f32_e32 v150, v124, v19
	v_add_f32_e32 v17, v17, v149
	s_waitcnt vmcnt(7)
	v_fma_f32 v5, v135, v25, -v5
	v_fmac_f32_e32 v151, v126, v20
	v_add_f32_e32 v4, v17, v150
	v_add_f32_e32 v3, v3, v5
	v_mul_f32_e32 v5, v138, v12
	v_fmac_f32_e32 v152, v128, v21
	v_add_f32_e32 v4, v4, v151
	s_waitcnt vmcnt(6)
	v_fma_f32 v5, v137, v26, -v5
	v_fmac_f32_e32 v153, v130, v22
	v_add_f32_e32 v4, v4, v152
	v_add_f32_e32 v3, v3, v5
	s_waitcnt lgkmcnt(1)
	v_mul_f32_e32 v5, v140, v13
	v_fmac_f32_e32 v154, v132, v23
	v_add_f32_e32 v4, v4, v153
	s_waitcnt vmcnt(5)
	v_fma_f32 v5, v139, v27, -v5
	v_fmac_f32_e32 v155, v134, v24
	v_add_f32_e32 v4, v4, v154
	v_add_f32_e32 v3, v3, v5
	v_mul_f32_e32 v5, v142, v14
	v_mul_f32_e32 v157, v137, v12
	v_fmac_f32_e32 v156, v136, v25
	v_add_f32_e32 v4, v4, v155
	s_waitcnt vmcnt(4)
	v_fma_f32 v5, v141, v28, -v5
	v_mul_f32_e32 v158, v139, v13
	v_fmac_f32_e32 v157, v138, v26
	v_add_f32_e32 v4, v4, v156
	v_add_f32_e32 v3, v3, v5
	s_waitcnt lgkmcnt(0)
	v_mul_f32_e32 v5, v144, v15
	v_mul_f32_e32 v159, v141, v14
	v_fmac_f32_e32 v158, v140, v27
	v_add_f32_e32 v4, v4, v157
	s_waitcnt vmcnt(3)
	v_fma_f32 v5, v143, v29, -v5
	v_mul_f32_e32 v160, v143, v15
	v_fmac_f32_e32 v159, v142, v28
	v_add_f32_e32 v4, v4, v158
	v_add_f32_e32 v3, v3, v5
	v_mul_f32_e32 v5, v146, v16
	v_mul_f32_e32 v161, v145, v16
	v_fmac_f32_e32 v160, v144, v29
	v_add_f32_e32 v4, v4, v159
	s_waitcnt vmcnt(2)
	v_fma_f32 v5, v145, v30, -v5
	v_fmac_f32_e32 v161, v146, v30
	v_add_f32_e32 v4, v4, v160
	v_add_f32_e32 v3, v3, v5
	;; [unrolled: 1-line block ×3, first 2 shown]
	s_waitcnt vmcnt(1)
	v_sub_f32_e32 v3, v147, v3
	s_waitcnt vmcnt(0)
	v_sub_f32_e32 v4, v148, v4
	buffer_store_dword v3, off, s[0:3], 0 offset:344
	buffer_store_dword v4, off, s[0:3], 0 offset:348
	s_and_saveexec_b64 s[4:5], vcc
	s_cbranch_execz .LBB121_277
; %bb.276:
	buffer_load_dword v3, off, s[0:3], 0 offset:336
	buffer_load_dword v4, off, s[0:3], 0 offset:340
	v_mov_b32_e32 v5, 0
	buffer_store_dword v5, off, s[0:3], 0 offset:336
	buffer_store_dword v5, off, s[0:3], 0 offset:340
	s_waitcnt vmcnt(2)
	ds_write_b64 v117, v[3:4]
.LBB121_277:
	s_or_b64 exec, exec, s[4:5]
	s_waitcnt lgkmcnt(0)
	; wave barrier
	buffer_load_dword v5, off, s[0:3], 0 offset:348
	buffer_load_dword v6, off, s[0:3], 0 offset:356
	;; [unrolled: 1-line block ×32, first 2 shown]
	v_mov_b32_e32 v118, 0
	ds_read2_b64 v[119:122], v118 offset0:101 offset1:102
	ds_read2_b64 v[123:126], v118 offset0:103 offset1:104
	;; [unrolled: 1-line block ×7, first 2 shown]
	ds_read_b64 v[3:4], v118 offset:920
	v_cmp_lt_u32_e32 vcc, 41, v0
	s_waitcnt vmcnt(31) lgkmcnt(7)
	v_mul_f32_e32 v153, v119, v5
	v_mul_f32_e32 v5, v120, v5
	s_waitcnt vmcnt(30)
	v_mul_f32_e32 v154, v121, v6
	v_mul_f32_e32 v6, v122, v6
	s_waitcnt vmcnt(29) lgkmcnt(6)
	v_mul_f32_e32 v155, v123, v7
	v_mul_f32_e32 v7, v124, v7
	s_waitcnt vmcnt(28)
	v_mul_f32_e32 v156, v125, v8
	s_waitcnt vmcnt(27) lgkmcnt(5)
	v_mul_f32_e32 v157, v127, v9
	s_waitcnt vmcnt(26)
	v_mul_f32_e32 v158, v129, v10
	s_waitcnt vmcnt(25) lgkmcnt(4)
	;; [unrolled: 4-line block ×4, first 2 shown]
	v_mul_f32_e32 v163, v139, v15
	s_waitcnt vmcnt(20)
	v_mul_f32_e32 v164, v141, v16
	s_waitcnt vmcnt(16)
	v_fma_f32 v5, v119, v20, -v5
	s_waitcnt vmcnt(15)
	v_fma_f32 v6, v121, v21, -v6
	v_add_f32_e32 v5, 0, v5
	s_waitcnt vmcnt(14)
	v_fma_f32 v7, v123, v22, -v7
	v_add_f32_e32 v5, v5, v6
	v_add_f32_e32 v5, v5, v7
	v_mul_f32_e32 v7, v126, v8
	s_waitcnt vmcnt(13)
	v_fma_f32 v7, v125, v23, -v7
	v_add_f32_e32 v5, v5, v7
	v_mul_f32_e32 v7, v128, v9
	s_waitcnt vmcnt(12)
	v_fma_f32 v7, v127, v24, -v7
	;; [unrolled: 4-line block ×4, first 2 shown]
	v_add_f32_e32 v5, v5, v7
	v_mul_f32_e32 v7, v134, v12
	v_fmac_f32_e32 v153, v120, v20
	s_waitcnt vmcnt(9)
	v_fma_f32 v7, v133, v27, -v7
	v_fmac_f32_e32 v154, v122, v21
	v_add_f32_e32 v20, 0, v153
	v_add_f32_e32 v5, v5, v7
	v_mul_f32_e32 v7, v136, v13
	v_fmac_f32_e32 v155, v124, v22
	v_add_f32_e32 v20, v20, v154
	s_waitcnt vmcnt(8)
	v_fma_f32 v7, v135, v28, -v7
	v_fmac_f32_e32 v156, v126, v23
	v_add_f32_e32 v6, v20, v155
	v_add_f32_e32 v5, v5, v7
	v_mul_f32_e32 v7, v138, v14
	v_fmac_f32_e32 v157, v128, v24
	v_add_f32_e32 v6, v6, v156
	;; [unrolled: 8-line block ×4, first 2 shown]
	s_waitcnt vmcnt(5)
	v_fma_f32 v7, v141, v147, -v7
	v_fmac_f32_e32 v162, v138, v29
	v_add_f32_e32 v6, v6, v161
	v_add_f32_e32 v5, v5, v7
	s_waitcnt lgkmcnt(1)
	v_mul_f32_e32 v7, v144, v17
	v_fmac_f32_e32 v163, v140, v30
	v_add_f32_e32 v6, v6, v162
	s_waitcnt vmcnt(4)
	v_fma_f32 v7, v143, v148, -v7
	v_mul_f32_e32 v165, v143, v17
	s_waitcnt lgkmcnt(0)
	v_mul_f32_e32 v167, v3, v19
	v_fmac_f32_e32 v164, v142, v147
	v_add_f32_e32 v6, v6, v163
	v_add_f32_e32 v5, v5, v7
	v_mul_f32_e32 v7, v146, v18
	v_mul_f32_e32 v166, v145, v18
	v_fmac_f32_e32 v165, v144, v148
	s_waitcnt vmcnt(2)
	v_fmac_f32_e32 v167, v4, v150
	v_add_f32_e32 v6, v6, v164
	v_fma_f32 v7, v145, v149, -v7
	v_mul_f32_e32 v4, v4, v19
	v_fmac_f32_e32 v166, v146, v149
	v_add_f32_e32 v6, v6, v165
	v_add_f32_e32 v5, v5, v7
	v_fma_f32 v3, v3, v150, -v4
	v_add_f32_e32 v6, v6, v166
	v_add_f32_e32 v3, v5, v3
	;; [unrolled: 1-line block ×3, first 2 shown]
	s_waitcnt vmcnt(1)
	v_sub_f32_e32 v3, v151, v3
	s_waitcnt vmcnt(0)
	v_sub_f32_e32 v4, v152, v6
	buffer_store_dword v3, off, s[0:3], 0 offset:336
	buffer_store_dword v4, off, s[0:3], 0 offset:340
	s_and_saveexec_b64 s[4:5], vcc
	s_cbranch_execz .LBB121_279
; %bb.278:
	buffer_load_dword v3, off, s[0:3], 0 offset:328
	buffer_load_dword v4, off, s[0:3], 0 offset:332
	s_waitcnt vmcnt(0)
	ds_write_b64 v117, v[3:4]
	buffer_store_dword v118, off, s[0:3], 0 offset:328
	buffer_store_dword v118, off, s[0:3], 0 offset:332
.LBB121_279:
	s_or_b64 exec, exec, s[4:5]
	s_waitcnt lgkmcnt(0)
	; wave barrier
	buffer_load_dword v3, off, s[0:3], 0 offset:340
	buffer_load_dword v4, off, s[0:3], 0 offset:348
	;; [unrolled: 1-line block ×34, first 2 shown]
	ds_read_b128 v[119:122], v118 offset:800
	ds_read_b128 v[123:126], v118 offset:816
	;; [unrolled: 1-line block ×8, first 2 shown]
	v_cmp_lt_u32_e32 vcc, 40, v0
	s_waitcnt vmcnt(33) lgkmcnt(7)
	v_mul_f32_e32 v118, v119, v3
	v_mul_f32_e32 v3, v120, v3
	s_waitcnt vmcnt(32)
	v_mul_f32_e32 v157, v121, v4
	v_mul_f32_e32 v4, v122, v4
	s_waitcnt vmcnt(31) lgkmcnt(6)
	v_mul_f32_e32 v158, v123, v5
	v_mul_f32_e32 v5, v124, v5
	s_waitcnt vmcnt(30)
	v_mul_f32_e32 v159, v125, v6
	s_waitcnt vmcnt(29) lgkmcnt(5)
	v_mul_f32_e32 v160, v127, v7
	s_waitcnt vmcnt(28)
	v_mul_f32_e32 v161, v129, v8
	s_waitcnt vmcnt(27) lgkmcnt(4)
	;; [unrolled: 4-line block ×5, first 2 shown]
	v_mul_f32_e32 v168, v143, v15
	s_waitcnt vmcnt(17)
	v_fma_f32 v3, v119, v19, -v3
	s_waitcnt vmcnt(16)
	v_fma_f32 v4, v121, v20, -v4
	v_add_f32_e32 v3, 0, v3
	v_add_f32_e32 v3, v3, v4
	s_waitcnt vmcnt(15)
	v_fma_f32 v5, v123, v21, -v5
	v_add_f32_e32 v3, v3, v5
	v_mul_f32_e32 v5, v126, v6
	s_waitcnt vmcnt(14)
	v_fma_f32 v5, v125, v22, -v5
	v_add_f32_e32 v3, v3, v5
	v_mul_f32_e32 v5, v128, v7
	;; [unrolled: 4-line block ×6, first 2 shown]
	v_fmac_f32_e32 v118, v120, v19
	s_waitcnt vmcnt(9)
	v_fma_f32 v5, v135, v27, -v5
	v_fmac_f32_e32 v157, v122, v20
	v_add_f32_e32 v19, 0, v118
	v_add_f32_e32 v3, v3, v5
	v_mul_f32_e32 v5, v138, v12
	v_fmac_f32_e32 v158, v124, v21
	v_add_f32_e32 v19, v19, v157
	s_waitcnt vmcnt(8)
	v_fma_f32 v5, v137, v28, -v5
	v_fmac_f32_e32 v159, v126, v22
	v_add_f32_e32 v4, v19, v158
	v_add_f32_e32 v3, v3, v5
	v_mul_f32_e32 v5, v140, v13
	v_fmac_f32_e32 v160, v128, v23
	v_add_f32_e32 v4, v4, v159
	;; [unrolled: 8-line block ×5, first 2 shown]
	s_waitcnt vmcnt(4)
	v_fma_f32 v5, v145, v152, -v5
	v_fmac_f32_e32 v167, v142, v30
	v_add_f32_e32 v4, v4, v166
	v_add_f32_e32 v3, v3, v5
	s_waitcnt lgkmcnt(0)
	v_mul_f32_e32 v5, v148, v17
	v_mul_f32_e32 v169, v145, v16
	v_fmac_f32_e32 v168, v144, v151
	v_add_f32_e32 v4, v4, v167
	s_waitcnt vmcnt(3)
	v_fma_f32 v5, v147, v153, -v5
	v_mul_f32_e32 v170, v147, v17
	v_fmac_f32_e32 v169, v146, v152
	v_add_f32_e32 v4, v4, v168
	v_add_f32_e32 v3, v3, v5
	v_mul_f32_e32 v5, v150, v18
	v_mul_f32_e32 v171, v149, v18
	v_fmac_f32_e32 v170, v148, v153
	v_add_f32_e32 v4, v4, v169
	s_waitcnt vmcnt(2)
	v_fma_f32 v5, v149, v154, -v5
	v_fmac_f32_e32 v171, v150, v154
	v_add_f32_e32 v4, v4, v170
	v_add_f32_e32 v3, v3, v5
	;; [unrolled: 1-line block ×3, first 2 shown]
	s_waitcnt vmcnt(1)
	v_sub_f32_e32 v3, v155, v3
	s_waitcnt vmcnt(0)
	v_sub_f32_e32 v4, v156, v4
	buffer_store_dword v3, off, s[0:3], 0 offset:328
	buffer_store_dword v4, off, s[0:3], 0 offset:332
	s_and_saveexec_b64 s[4:5], vcc
	s_cbranch_execz .LBB121_281
; %bb.280:
	buffer_load_dword v3, off, s[0:3], 0 offset:320
	buffer_load_dword v4, off, s[0:3], 0 offset:324
	v_mov_b32_e32 v5, 0
	buffer_store_dword v5, off, s[0:3], 0 offset:320
	buffer_store_dword v5, off, s[0:3], 0 offset:324
	s_waitcnt vmcnt(2)
	ds_write_b64 v117, v[3:4]
.LBB121_281:
	s_or_b64 exec, exec, s[4:5]
	s_waitcnt lgkmcnt(0)
	; wave barrier
	buffer_load_dword v5, off, s[0:3], 0 offset:332
	buffer_load_dword v6, off, s[0:3], 0 offset:340
	;; [unrolled: 1-line block ×36, first 2 shown]
	v_mov_b32_e32 v118, 0
	ds_read2_b64 v[119:122], v118 offset0:99 offset1:100
	ds_read2_b64 v[123:126], v118 offset0:101 offset1:102
	;; [unrolled: 1-line block ×8, first 2 shown]
	ds_read_b64 v[3:4], v118 offset:920
	v_cmp_lt_u32_e32 vcc, 39, v0
	s_waitcnt vmcnt(35) lgkmcnt(8)
	v_mul_f32_e32 v161, v119, v5
	v_mul_f32_e32 v5, v120, v5
	s_waitcnt vmcnt(34)
	v_mul_f32_e32 v162, v121, v6
	v_mul_f32_e32 v6, v122, v6
	s_waitcnt vmcnt(33) lgkmcnt(7)
	v_mul_f32_e32 v163, v123, v7
	s_waitcnt vmcnt(32)
	v_mul_f32_e32 v164, v125, v8
	s_waitcnt vmcnt(31) lgkmcnt(6)
	v_mul_f32_e32 v165, v127, v9
	s_waitcnt vmcnt(30)
	v_mul_f32_e32 v166, v129, v10
	s_waitcnt vmcnt(29) lgkmcnt(5)
	v_mul_f32_e32 v167, v131, v11
	s_waitcnt vmcnt(28)
	v_mul_f32_e32 v168, v133, v12
	s_waitcnt vmcnt(27) lgkmcnt(4)
	v_mul_f32_e32 v169, v135, v13
	s_waitcnt vmcnt(26)
	v_mul_f32_e32 v170, v137, v14
	s_waitcnt vmcnt(25) lgkmcnt(3)
	v_mul_f32_e32 v171, v139, v15
	s_waitcnt vmcnt(24)
	v_mul_f32_e32 v172, v141, v16
	s_waitcnt vmcnt(23) lgkmcnt(2)
	v_mul_f32_e32 v173, v143, v17
	s_waitcnt vmcnt(22)
	v_mul_f32_e32 v174, v145, v18
	s_waitcnt vmcnt(21) lgkmcnt(1)
	v_mul_f32_e32 v175, v147, v19
	s_waitcnt vmcnt(18)
	v_fma_f32 v5, v119, v22, -v5
	v_add_f32_e32 v5, 0, v5
	s_waitcnt vmcnt(17)
	v_fma_f32 v6, v121, v23, -v6
	v_add_f32_e32 v5, v5, v6
	v_mul_f32_e32 v6, v124, v7
	s_waitcnt vmcnt(16)
	v_fma_f32 v6, v123, v24, -v6
	v_add_f32_e32 v5, v5, v6
	v_mul_f32_e32 v6, v126, v8
	;; [unrolled: 4-line block ×7, first 2 shown]
	v_fmac_f32_e32 v161, v120, v22
	s_waitcnt vmcnt(10)
	v_fma_f32 v6, v135, v30, -v6
	v_fmac_f32_e32 v162, v122, v23
	v_add_f32_e32 v161, 0, v161
	v_add_f32_e32 v5, v5, v6
	v_mul_f32_e32 v6, v138, v14
	v_fmac_f32_e32 v163, v124, v24
	v_add_f32_e32 v161, v161, v162
	s_waitcnt vmcnt(9)
	v_fma_f32 v6, v137, v151, -v6
	v_fmac_f32_e32 v164, v126, v25
	v_add_f32_e32 v161, v161, v163
	v_add_f32_e32 v5, v5, v6
	v_mul_f32_e32 v6, v140, v15
	v_fmac_f32_e32 v165, v128, v26
	v_add_f32_e32 v161, v161, v164
	;; [unrolled: 8-line block ×6, first 2 shown]
	s_waitcnt vmcnt(4)
	v_fma_f32 v6, v147, v156, -v6
	s_waitcnt lgkmcnt(0)
	v_mul_f32_e32 v177, v3, v21
	v_fmac_f32_e32 v174, v146, v155
	v_add_f32_e32 v161, v161, v173
	v_add_f32_e32 v5, v5, v6
	v_mul_f32_e32 v6, v150, v20
	v_mul_f32_e32 v176, v149, v20
	v_fmac_f32_e32 v175, v148, v156
	s_waitcnt vmcnt(2)
	v_fmac_f32_e32 v177, v4, v158
	v_add_f32_e32 v161, v161, v174
	v_fma_f32 v6, v149, v157, -v6
	v_mul_f32_e32 v4, v4, v21
	v_fmac_f32_e32 v176, v150, v157
	v_add_f32_e32 v161, v161, v175
	v_add_f32_e32 v5, v5, v6
	v_fma_f32 v3, v3, v158, -v4
	v_add_f32_e32 v161, v161, v176
	v_add_f32_e32 v3, v5, v3
	;; [unrolled: 1-line block ×3, first 2 shown]
	s_waitcnt vmcnt(1)
	v_sub_f32_e32 v3, v159, v3
	s_waitcnt vmcnt(0)
	v_sub_f32_e32 v4, v160, v161
	buffer_store_dword v3, off, s[0:3], 0 offset:320
	buffer_store_dword v4, off, s[0:3], 0 offset:324
	s_and_saveexec_b64 s[4:5], vcc
	s_cbranch_execz .LBB121_283
; %bb.282:
	buffer_load_dword v3, off, s[0:3], 0 offset:312
	buffer_load_dword v4, off, s[0:3], 0 offset:316
	s_waitcnt vmcnt(0)
	ds_write_b64 v117, v[3:4]
	buffer_store_dword v118, off, s[0:3], 0 offset:312
	buffer_store_dword v118, off, s[0:3], 0 offset:316
.LBB121_283:
	s_or_b64 exec, exec, s[4:5]
	s_waitcnt lgkmcnt(0)
	; wave barrier
	buffer_load_dword v3, off, s[0:3], 0 offset:324
	buffer_load_dword v4, off, s[0:3], 0 offset:332
	;; [unrolled: 1-line block ×38, first 2 shown]
	ds_read_b128 v[119:122], v118 offset:784
	ds_read_b128 v[123:126], v118 offset:800
	;; [unrolled: 1-line block ×9, first 2 shown]
	v_cmp_lt_u32_e32 vcc, 38, v0
	s_waitcnt vmcnt(37) lgkmcnt(8)
	v_mul_f32_e32 v118, v119, v3
	v_mul_f32_e32 v3, v120, v3
	s_waitcnt vmcnt(36)
	v_mul_f32_e32 v165, v121, v4
	v_mul_f32_e32 v4, v122, v4
	s_waitcnt vmcnt(35) lgkmcnt(7)
	v_mul_f32_e32 v166, v123, v5
	s_waitcnt vmcnt(34)
	v_mul_f32_e32 v167, v125, v6
	s_waitcnt vmcnt(33) lgkmcnt(6)
	v_mul_f32_e32 v168, v127, v7
	s_waitcnt vmcnt(32)
	;; [unrolled: 4-line block ×7, first 2 shown]
	v_fma_f32 v3, v119, v20, -v3
	v_add_f32_e32 v3, 0, v3
	s_waitcnt vmcnt(19)
	v_fma_f32 v4, v121, v21, -v4
	v_add_f32_e32 v3, v3, v4
	v_mul_f32_e32 v4, v124, v5
	s_waitcnt vmcnt(18)
	v_fma_f32 v4, v123, v22, -v4
	v_add_f32_e32 v3, v3, v4
	v_mul_f32_e32 v4, v126, v6
	;; [unrolled: 4-line block ×8, first 2 shown]
	v_fmac_f32_e32 v118, v120, v20
	s_waitcnt vmcnt(11)
	v_fma_f32 v4, v137, v29, -v4
	v_fmac_f32_e32 v165, v122, v21
	v_add_f32_e32 v118, 0, v118
	v_add_f32_e32 v3, v3, v4
	v_mul_f32_e32 v4, v140, v13
	v_fmac_f32_e32 v166, v124, v22
	v_add_f32_e32 v118, v118, v165
	s_waitcnt vmcnt(10)
	v_fma_f32 v4, v139, v30, -v4
	v_fmac_f32_e32 v167, v126, v23
	v_add_f32_e32 v118, v118, v166
	v_add_f32_e32 v3, v3, v4
	v_mul_f32_e32 v4, v142, v14
	v_fmac_f32_e32 v168, v128, v24
	v_add_f32_e32 v118, v118, v167
	;; [unrolled: 8-line block ×6, first 2 shown]
	s_waitcnt vmcnt(5)
	v_fma_f32 v4, v149, v159, -v4
	v_fmac_f32_e32 v177, v146, v157
	v_add_f32_e32 v118, v118, v176
	v_add_f32_e32 v3, v3, v4
	s_waitcnt lgkmcnt(0)
	v_mul_f32_e32 v4, v152, v19
	v_mul_f32_e32 v179, v149, v18
	v_fmac_f32_e32 v178, v148, v158
	v_add_f32_e32 v118, v118, v177
	s_waitcnt vmcnt(4)
	v_fma_f32 v4, v151, v160, -v4
	v_mul_f32_e32 v180, v151, v19
	v_fmac_f32_e32 v179, v150, v159
	v_add_f32_e32 v118, v118, v178
	v_add_f32_e32 v3, v3, v4
	s_waitcnt vmcnt(3)
	v_mul_f32_e32 v4, v154, v161
	v_add_f32_e32 v118, v118, v179
	v_fmac_f32_e32 v180, v152, v160
	v_mul_f32_e32 v165, v153, v161
	s_waitcnt vmcnt(2)
	v_fma_f32 v4, v153, v162, -v4
	v_add_f32_e32 v118, v118, v180
	v_fmac_f32_e32 v165, v154, v162
	v_add_f32_e32 v3, v3, v4
	v_add_f32_e32 v118, v118, v165
	s_waitcnt vmcnt(1)
	v_sub_f32_e32 v3, v163, v3
	s_waitcnt vmcnt(0)
	v_sub_f32_e32 v4, v164, v118
	buffer_store_dword v3, off, s[0:3], 0 offset:312
	buffer_store_dword v4, off, s[0:3], 0 offset:316
	s_and_saveexec_b64 s[4:5], vcc
	s_cbranch_execz .LBB121_285
; %bb.284:
	buffer_load_dword v3, off, s[0:3], 0 offset:304
	buffer_load_dword v4, off, s[0:3], 0 offset:308
	v_mov_b32_e32 v5, 0
	buffer_store_dword v5, off, s[0:3], 0 offset:304
	buffer_store_dword v5, off, s[0:3], 0 offset:308
	s_waitcnt vmcnt(2)
	ds_write_b64 v117, v[3:4]
.LBB121_285:
	s_or_b64 exec, exec, s[4:5]
	s_waitcnt lgkmcnt(0)
	; wave barrier
	buffer_load_dword v5, off, s[0:3], 0 offset:316
	buffer_load_dword v6, off, s[0:3], 0 offset:324
	;; [unrolled: 1-line block ×40, first 2 shown]
	v_mov_b32_e32 v118, 0
	ds_read2_b64 v[119:122], v118 offset0:97 offset1:98
	ds_read2_b64 v[123:126], v118 offset0:99 offset1:100
	;; [unrolled: 1-line block ×9, first 2 shown]
	v_cmp_lt_u32_e32 vcc, 37, v0
	s_waitcnt vmcnt(39) lgkmcnt(8)
	v_mul_f32_e32 v3, v119, v5
	v_mul_f32_e32 v5, v120, v5
	s_waitcnt vmcnt(38)
	v_mul_f32_e32 v4, v121, v6
	v_mul_f32_e32 v6, v122, v6
	s_waitcnt vmcnt(37) lgkmcnt(7)
	v_mul_f32_e32 v169, v123, v7
	s_waitcnt vmcnt(36)
	v_mul_f32_e32 v170, v125, v8
	s_waitcnt vmcnt(35) lgkmcnt(6)
	v_mul_f32_e32 v171, v127, v9
	s_waitcnt vmcnt(34)
	;; [unrolled: 4-line block ×6, first 2 shown]
	v_fma_f32 v5, v119, v20, -v5
	v_add_f32_e32 v5, 0, v5
	s_waitcnt vmcnt(23)
	v_fma_f32 v6, v121, v21, -v6
	v_add_f32_e32 v5, v5, v6
	v_mul_f32_e32 v6, v124, v7
	s_waitcnt vmcnt(22)
	v_fma_f32 v6, v123, v22, -v6
	v_add_f32_e32 v5, v5, v6
	v_mul_f32_e32 v6, v126, v8
	;; [unrolled: 4-line block ×5, first 2 shown]
	v_fmac_f32_e32 v3, v120, v20
	s_waitcnt vmcnt(18)
	v_fma_f32 v6, v131, v26, -v6
	v_fmac_f32_e32 v4, v122, v21
	v_add_f32_e32 v3, 0, v3
	v_add_f32_e32 v5, v5, v6
	v_mul_f32_e32 v6, v134, v12
	v_fmac_f32_e32 v169, v124, v22
	v_add_f32_e32 v3, v3, v4
	s_waitcnt vmcnt(17)
	v_fma_f32 v6, v133, v27, -v6
	v_fmac_f32_e32 v170, v126, v23
	v_add_f32_e32 v3, v3, v169
	v_add_f32_e32 v5, v5, v6
	v_mul_f32_e32 v6, v136, v13
	v_fmac_f32_e32 v171, v128, v24
	v_add_f32_e32 v3, v3, v170
	;; [unrolled: 8-line block ×5, first 2 shown]
	s_waitcnt vmcnt(13)
	v_fma_f32 v6, v141, v155, -v6
	v_fmac_f32_e32 v178, v142, v155
	v_add_f32_e32 v3, v3, v177
	v_add_f32_e32 v5, v5, v6
	v_mul_f32_e32 v6, v144, v17
	v_mul_f32_e32 v180, v145, v18
	s_waitcnt vmcnt(12)
	v_fmac_f32_e32 v179, v144, v156
	v_add_f32_e32 v3, v3, v178
	v_fma_f32 v6, v143, v156, -v6
	s_waitcnt lgkmcnt(1)
	v_mul_f32_e32 v181, v147, v19
	s_waitcnt vmcnt(11)
	v_fmac_f32_e32 v180, v146, v157
	v_add_f32_e32 v3, v3, v179
	v_add_f32_e32 v5, v5, v6
	v_mul_f32_e32 v6, v146, v18
	s_waitcnt vmcnt(10)
	v_fmac_f32_e32 v181, v148, v158
	v_add_f32_e32 v3, v3, v180
	s_waitcnt vmcnt(9)
	v_mul_f32_e32 v4, v149, v159
	v_fma_f32 v6, v145, v157, -v6
	v_add_f32_e32 v3, v3, v181
	s_waitcnt vmcnt(8)
	v_fmac_f32_e32 v4, v150, v160
	v_add_f32_e32 v5, v5, v6
	v_mul_f32_e32 v6, v148, v19
	v_add_f32_e32 v169, v3, v4
	ds_read_b64 v[3:4], v118 offset:920
	v_fma_f32 v6, v147, v158, -v6
	s_waitcnt vmcnt(7) lgkmcnt(1)
	v_mul_f32_e32 v170, v151, v161
	v_add_f32_e32 v5, v5, v6
	v_mul_f32_e32 v6, v150, v159
	s_waitcnt vmcnt(6)
	v_fmac_f32_e32 v170, v152, v162
	v_fma_f32 v6, v149, v160, -v6
	v_add_f32_e32 v169, v169, v170
	s_waitcnt vmcnt(5)
	v_mul_f32_e32 v170, v153, v163
	v_add_f32_e32 v5, v5, v6
	v_mul_f32_e32 v6, v152, v161
	s_waitcnt vmcnt(4)
	v_fmac_f32_e32 v170, v154, v164
	v_fma_f32 v6, v151, v162, -v6
	v_add_f32_e32 v169, v169, v170
	s_waitcnt vmcnt(3) lgkmcnt(0)
	v_mul_f32_e32 v170, v3, v165
	v_add_f32_e32 v5, v5, v6
	v_mul_f32_e32 v6, v154, v163
	s_waitcnt vmcnt(2)
	v_fmac_f32_e32 v170, v4, v166
	v_fma_f32 v6, v153, v164, -v6
	v_mul_f32_e32 v4, v4, v165
	v_add_f32_e32 v5, v5, v6
	v_fma_f32 v3, v3, v166, -v4
	v_add_f32_e32 v3, v5, v3
	v_add_f32_e32 v169, v169, v170
	s_waitcnt vmcnt(1)
	v_sub_f32_e32 v3, v167, v3
	s_waitcnt vmcnt(0)
	v_sub_f32_e32 v4, v168, v169
	buffer_store_dword v3, off, s[0:3], 0 offset:304
	buffer_store_dword v4, off, s[0:3], 0 offset:308
	s_and_saveexec_b64 s[4:5], vcc
	s_cbranch_execz .LBB121_287
; %bb.286:
	buffer_load_dword v3, off, s[0:3], 0 offset:296
	buffer_load_dword v4, off, s[0:3], 0 offset:300
	s_waitcnt vmcnt(0)
	ds_write_b64 v117, v[3:4]
	buffer_store_dword v118, off, s[0:3], 0 offset:296
	buffer_store_dword v118, off, s[0:3], 0 offset:300
.LBB121_287:
	s_or_b64 exec, exec, s[4:5]
	s_waitcnt lgkmcnt(0)
	; wave barrier
	buffer_load_dword v3, off, s[0:3], 0 offset:308
	buffer_load_dword v4, off, s[0:3], 0 offset:316
	;; [unrolled: 1-line block ×42, first 2 shown]
	ds_read_b128 v[119:122], v118 offset:768
	ds_read_b128 v[123:126], v118 offset:784
	;; [unrolled: 1-line block ×8, first 2 shown]
	v_cmp_lt_u32_e32 vcc, 36, v0
	s_waitcnt vmcnt(41) lgkmcnt(7)
	v_mul_f32_e32 v151, v119, v3
	v_mul_f32_e32 v3, v120, v3
	s_waitcnt vmcnt(40)
	v_mul_f32_e32 v152, v121, v4
	v_mul_f32_e32 v4, v122, v4
	s_waitcnt vmcnt(39) lgkmcnt(6)
	v_mul_f32_e32 v153, v123, v5
	s_waitcnt vmcnt(38)
	v_mul_f32_e32 v154, v125, v6
	s_waitcnt vmcnt(37) lgkmcnt(5)
	v_mul_f32_e32 v155, v127, v7
	s_waitcnt vmcnt(36)
	;; [unrolled: 4-line block ×6, first 2 shown]
	v_fma_f32 v3, v119, v18, -v3
	v_add_f32_e32 v3, 0, v3
	s_waitcnt vmcnt(25)
	v_fma_f32 v4, v121, v19, -v4
	v_add_f32_e32 v3, v3, v4
	v_mul_f32_e32 v4, v124, v5
	s_waitcnt vmcnt(24)
	v_fma_f32 v4, v123, v20, -v4
	v_add_f32_e32 v3, v3, v4
	v_mul_f32_e32 v4, v126, v6
	;; [unrolled: 4-line block ×4, first 2 shown]
	s_waitcnt vmcnt(21)
	v_fma_f32 v4, v129, v23, -v4
	v_fmac_f32_e32 v151, v120, v18
	v_add_f32_e32 v3, v3, v4
	v_mul_f32_e32 v4, v132, v9
	v_fmac_f32_e32 v152, v122, v19
	v_add_f32_e32 v151, 0, v151
	s_waitcnt vmcnt(20)
	v_fma_f32 v4, v131, v24, -v4
	v_fmac_f32_e32 v153, v124, v20
	v_add_f32_e32 v151, v151, v152
	v_add_f32_e32 v3, v3, v4
	v_mul_f32_e32 v4, v134, v10
	v_fmac_f32_e32 v154, v126, v21
	v_add_f32_e32 v151, v151, v153
	s_waitcnt vmcnt(19)
	v_fma_f32 v4, v133, v25, -v4
	v_fmac_f32_e32 v155, v128, v22
	v_add_f32_e32 v151, v151, v154
	;; [unrolled: 8-line block ×5, first 2 shown]
	v_add_f32_e32 v3, v3, v4
	v_mul_f32_e32 v4, v142, v14
	s_waitcnt vmcnt(15)
	v_fmac_f32_e32 v176, v142, v29
	v_add_f32_e32 v151, v151, v175
	v_fma_f32 v4, v141, v29, -v4
	v_mul_f32_e32 v178, v145, v16
	s_waitcnt vmcnt(14)
	v_fmac_f32_e32 v177, v144, v30
	v_add_f32_e32 v151, v151, v176
	v_add_f32_e32 v3, v3, v4
	v_mul_f32_e32 v4, v144, v15
	s_waitcnt lgkmcnt(0)
	v_mul_f32_e32 v179, v147, v17
	s_waitcnt vmcnt(13)
	v_fmac_f32_e32 v178, v146, v159
	v_add_f32_e32 v151, v151, v177
	v_fma_f32 v4, v143, v30, -v4
	s_waitcnt vmcnt(12)
	v_fmac_f32_e32 v179, v148, v160
	v_add_f32_e32 v151, v151, v178
	v_add_f32_e32 v3, v3, v4
	v_mul_f32_e32 v4, v146, v16
	v_add_f32_e32 v155, v151, v179
	ds_read_b128 v[151:154], v118 offset:896
	v_fma_f32 v4, v145, v159, -v4
	v_add_f32_e32 v3, v3, v4
	v_mul_f32_e32 v4, v148, v17
	s_waitcnt vmcnt(11)
	v_mul_f32_e32 v156, v149, v161
	v_fma_f32 v4, v147, v160, -v4
	s_waitcnt vmcnt(10)
	v_fmac_f32_e32 v156, v150, v162
	v_add_f32_e32 v3, v3, v4
	v_mul_f32_e32 v4, v150, v161
	v_add_f32_e32 v173, v155, v156
	ds_read_b128 v[155:158], v118 offset:912
	v_fma_f32 v4, v149, v162, -v4
	v_add_f32_e32 v3, v3, v4
	s_waitcnt vmcnt(9) lgkmcnt(1)
	v_mul_f32_e32 v4, v152, v163
	v_mul_f32_e32 v118, v151, v163
	s_waitcnt vmcnt(8)
	v_fma_f32 v4, v151, v164, -v4
	v_fmac_f32_e32 v118, v152, v164
	v_add_f32_e32 v3, v3, v4
	s_waitcnt vmcnt(7)
	v_mul_f32_e32 v4, v154, v165
	v_add_f32_e32 v118, v173, v118
	v_mul_f32_e32 v173, v153, v165
	s_waitcnt vmcnt(6)
	v_fma_f32 v4, v153, v166, -v4
	v_fmac_f32_e32 v173, v154, v166
	v_add_f32_e32 v3, v3, v4
	s_waitcnt vmcnt(5) lgkmcnt(0)
	v_mul_f32_e32 v4, v156, v167
	v_add_f32_e32 v118, v118, v173
	v_mul_f32_e32 v173, v155, v167
	s_waitcnt vmcnt(4)
	v_fma_f32 v4, v155, v168, -v4
	v_fmac_f32_e32 v173, v156, v168
	v_add_f32_e32 v3, v3, v4
	s_waitcnt vmcnt(3)
	v_mul_f32_e32 v4, v158, v169
	v_add_f32_e32 v118, v118, v173
	v_mul_f32_e32 v173, v157, v169
	s_waitcnt vmcnt(2)
	v_fma_f32 v4, v157, v170, -v4
	v_fmac_f32_e32 v173, v158, v170
	v_add_f32_e32 v3, v3, v4
	v_add_f32_e32 v118, v118, v173
	s_waitcnt vmcnt(1)
	v_sub_f32_e32 v3, v171, v3
	s_waitcnt vmcnt(0)
	v_sub_f32_e32 v4, v172, v118
	buffer_store_dword v3, off, s[0:3], 0 offset:296
	buffer_store_dword v4, off, s[0:3], 0 offset:300
	s_and_saveexec_b64 s[4:5], vcc
	s_cbranch_execz .LBB121_289
; %bb.288:
	buffer_load_dword v3, off, s[0:3], 0 offset:288
	buffer_load_dword v4, off, s[0:3], 0 offset:292
	v_mov_b32_e32 v5, 0
	buffer_store_dword v5, off, s[0:3], 0 offset:288
	buffer_store_dword v5, off, s[0:3], 0 offset:292
	s_waitcnt vmcnt(2)
	ds_write_b64 v117, v[3:4]
.LBB121_289:
	s_or_b64 exec, exec, s[4:5]
	s_waitcnt lgkmcnt(0)
	; wave barrier
	buffer_load_dword v5, off, s[0:3], 0 offset:300
	buffer_load_dword v6, off, s[0:3], 0 offset:308
	;; [unrolled: 1-line block ×44, first 2 shown]
	v_mov_b32_e32 v118, 0
	ds_read2_b64 v[119:122], v118 offset0:95 offset1:96
	ds_read2_b64 v[123:126], v118 offset0:97 offset1:98
	;; [unrolled: 1-line block ×8, first 2 shown]
	v_cmp_lt_u32_e32 vcc, 35, v0
	s_waitcnt vmcnt(43) lgkmcnt(7)
	v_mul_f32_e32 v3, v119, v5
	v_mul_f32_e32 v5, v120, v5
	s_waitcnt vmcnt(42)
	v_mul_f32_e32 v4, v121, v6
	v_mul_f32_e32 v6, v122, v6
	s_waitcnt vmcnt(41) lgkmcnt(6)
	v_mul_f32_e32 v151, v123, v7
	s_waitcnt vmcnt(40)
	v_mul_f32_e32 v152, v125, v8
	s_waitcnt vmcnt(39) lgkmcnt(5)
	v_mul_f32_e32 v153, v127, v9
	s_waitcnt vmcnt(38)
	v_mul_f32_e32 v154, v129, v10
	s_waitcnt vmcnt(37) lgkmcnt(4)
	v_mul_f32_e32 v155, v131, v11
	s_waitcnt vmcnt(36)
	v_mul_f32_e32 v156, v133, v12
	s_waitcnt vmcnt(35) lgkmcnt(3)
	v_mul_f32_e32 v157, v135, v13
	s_waitcnt vmcnt(34)
	v_mul_f32_e32 v158, v137, v14
	s_waitcnt vmcnt(33) lgkmcnt(2)
	v_mul_f32_e32 v177, v139, v15
	s_waitcnt vmcnt(32)
	v_mul_f32_e32 v178, v141, v16
	s_waitcnt vmcnt(29)
	v_fma_f32 v5, v119, v19, -v5
	v_add_f32_e32 v5, 0, v5
	s_waitcnt vmcnt(28)
	v_fma_f32 v6, v121, v20, -v6
	v_add_f32_e32 v5, v5, v6
	v_mul_f32_e32 v6, v124, v7
	s_waitcnt vmcnt(27)
	v_fma_f32 v6, v123, v21, -v6
	v_add_f32_e32 v5, v5, v6
	v_mul_f32_e32 v6, v126, v8
	;; [unrolled: 4-line block ×4, first 2 shown]
	s_waitcnt vmcnt(24)
	v_fma_f32 v6, v129, v24, -v6
	v_fmac_f32_e32 v3, v120, v19
	v_add_f32_e32 v5, v5, v6
	v_mul_f32_e32 v6, v132, v11
	v_fmac_f32_e32 v4, v122, v20
	v_add_f32_e32 v3, 0, v3
	s_waitcnt vmcnt(23)
	v_fma_f32 v6, v131, v25, -v6
	v_fmac_f32_e32 v151, v124, v21
	v_add_f32_e32 v3, v3, v4
	v_add_f32_e32 v5, v5, v6
	v_mul_f32_e32 v6, v134, v12
	v_fmac_f32_e32 v152, v126, v22
	v_add_f32_e32 v3, v3, v151
	s_waitcnt vmcnt(22)
	v_fma_f32 v6, v133, v26, -v6
	v_fmac_f32_e32 v153, v128, v23
	v_add_f32_e32 v3, v3, v152
	;; [unrolled: 8-line block ×5, first 2 shown]
	v_add_f32_e32 v5, v5, v6
	v_mul_f32_e32 v6, v142, v16
	s_waitcnt lgkmcnt(1)
	v_mul_f32_e32 v179, v143, v17
	s_waitcnt vmcnt(18)
	v_fmac_f32_e32 v178, v142, v30
	v_add_f32_e32 v3, v3, v177
	v_fma_f32 v6, v141, v30, -v6
	v_mul_f32_e32 v180, v145, v18
	s_waitcnt vmcnt(17)
	v_fmac_f32_e32 v179, v144, v159
	v_add_f32_e32 v3, v3, v178
	ds_read2_b64 v[151:154], v118 offset0:111 offset1:112
	ds_read2_b64 v[155:158], v118 offset0:113 offset1:114
	v_add_f32_e32 v5, v5, v6
	v_mul_f32_e32 v6, v144, v17
	v_add_f32_e32 v3, v3, v179
	s_waitcnt vmcnt(16)
	v_fmac_f32_e32 v180, v146, v160
	s_waitcnt vmcnt(15) lgkmcnt(2)
	v_mul_f32_e32 v4, v147, v161
	v_fma_f32 v6, v143, v159, -v6
	v_add_f32_e32 v3, v3, v180
	s_waitcnt vmcnt(14)
	v_fmac_f32_e32 v4, v148, v162
	v_add_f32_e32 v5, v5, v6
	v_mul_f32_e32 v6, v146, v18
	v_add_f32_e32 v3, v3, v4
	s_waitcnt vmcnt(13)
	v_mul_f32_e32 v4, v149, v163
	v_fma_f32 v6, v145, v160, -v6
	s_waitcnt vmcnt(12)
	v_fmac_f32_e32 v4, v150, v164
	v_add_f32_e32 v5, v5, v6
	v_mul_f32_e32 v6, v148, v161
	v_add_f32_e32 v3, v3, v4
	s_waitcnt vmcnt(11) lgkmcnt(1)
	v_mul_f32_e32 v4, v151, v165
	v_fma_f32 v6, v147, v162, -v6
	s_waitcnt vmcnt(10)
	v_fmac_f32_e32 v4, v152, v166
	v_add_f32_e32 v5, v5, v6
	v_mul_f32_e32 v6, v150, v163
	v_add_f32_e32 v3, v3, v4
	s_waitcnt vmcnt(9)
	v_mul_f32_e32 v4, v153, v167
	v_fma_f32 v6, v149, v164, -v6
	s_waitcnt vmcnt(8)
	v_fmac_f32_e32 v4, v154, v168
	v_add_f32_e32 v5, v5, v6
	v_mul_f32_e32 v6, v152, v165
	v_add_f32_e32 v177, v3, v4
	ds_read_b64 v[3:4], v118 offset:920
	v_fma_f32 v6, v151, v166, -v6
	s_waitcnt vmcnt(7) lgkmcnt(1)
	v_mul_f32_e32 v178, v155, v169
	v_add_f32_e32 v5, v5, v6
	v_mul_f32_e32 v6, v154, v167
	s_waitcnt vmcnt(6)
	v_fmac_f32_e32 v178, v156, v170
	v_fma_f32 v6, v153, v168, -v6
	v_add_f32_e32 v177, v177, v178
	s_waitcnt vmcnt(5)
	v_mul_f32_e32 v178, v157, v171
	v_add_f32_e32 v5, v5, v6
	v_mul_f32_e32 v6, v156, v169
	s_waitcnt vmcnt(4)
	v_fmac_f32_e32 v178, v158, v172
	v_fma_f32 v6, v155, v170, -v6
	v_add_f32_e32 v177, v177, v178
	s_waitcnt vmcnt(3) lgkmcnt(0)
	v_mul_f32_e32 v178, v3, v173
	v_add_f32_e32 v5, v5, v6
	v_mul_f32_e32 v6, v158, v171
	s_waitcnt vmcnt(2)
	v_fmac_f32_e32 v178, v4, v174
	v_fma_f32 v6, v157, v172, -v6
	v_mul_f32_e32 v4, v4, v173
	v_add_f32_e32 v5, v5, v6
	v_fma_f32 v3, v3, v174, -v4
	v_add_f32_e32 v3, v5, v3
	v_add_f32_e32 v177, v177, v178
	s_waitcnt vmcnt(1)
	v_sub_f32_e32 v3, v175, v3
	s_waitcnt vmcnt(0)
	v_sub_f32_e32 v4, v176, v177
	buffer_store_dword v3, off, s[0:3], 0 offset:288
	buffer_store_dword v4, off, s[0:3], 0 offset:292
	s_and_saveexec_b64 s[4:5], vcc
	s_cbranch_execz .LBB121_291
; %bb.290:
	buffer_load_dword v3, off, s[0:3], 0 offset:280
	buffer_load_dword v4, off, s[0:3], 0 offset:284
	s_waitcnt vmcnt(0)
	ds_write_b64 v117, v[3:4]
	buffer_store_dword v118, off, s[0:3], 0 offset:280
	buffer_store_dword v118, off, s[0:3], 0 offset:284
.LBB121_291:
	s_or_b64 exec, exec, s[4:5]
	s_waitcnt lgkmcnt(0)
	; wave barrier
	buffer_load_dword v3, off, s[0:3], 0 offset:292
	buffer_load_dword v4, off, s[0:3], 0 offset:300
	;; [unrolled: 1-line block ×46, first 2 shown]
	ds_read_b128 v[119:122], v118 offset:752
	ds_read_b128 v[123:126], v118 offset:768
	;; [unrolled: 1-line block ×8, first 2 shown]
	v_cmp_lt_u32_e32 vcc, 34, v0
	s_waitcnt vmcnt(45) lgkmcnt(7)
	v_mul_f32_e32 v151, v119, v3
	v_mul_f32_e32 v3, v120, v3
	s_waitcnt vmcnt(44)
	v_mul_f32_e32 v152, v121, v4
	v_mul_f32_e32 v4, v122, v4
	s_waitcnt vmcnt(43) lgkmcnt(6)
	v_mul_f32_e32 v153, v123, v5
	s_waitcnt vmcnt(42)
	v_mul_f32_e32 v154, v125, v6
	s_waitcnt vmcnt(41) lgkmcnt(5)
	v_mul_f32_e32 v155, v127, v7
	s_waitcnt vmcnt(40)
	;; [unrolled: 4-line block ×5, first 2 shown]
	v_fma_f32 v3, v119, v16, -v3
	v_add_f32_e32 v3, 0, v3
	s_waitcnt vmcnt(31)
	v_fma_f32 v4, v121, v17, -v4
	v_add_f32_e32 v3, v3, v4
	v_mul_f32_e32 v4, v124, v5
	s_waitcnt vmcnt(30)
	v_fma_f32 v4, v123, v18, -v4
	v_add_f32_e32 v3, v3, v4
	v_mul_f32_e32 v4, v126, v6
	;; [unrolled: 4-line block ×3, first 2 shown]
	s_waitcnt vmcnt(28)
	v_fma_f32 v4, v127, v20, -v4
	v_fmac_f32_e32 v151, v120, v16
	v_add_f32_e32 v3, v3, v4
	v_mul_f32_e32 v4, v130, v8
	v_fmac_f32_e32 v152, v122, v17
	v_add_f32_e32 v151, 0, v151
	s_waitcnt vmcnt(27)
	v_fma_f32 v4, v129, v21, -v4
	v_fmac_f32_e32 v153, v124, v18
	v_add_f32_e32 v151, v151, v152
	v_add_f32_e32 v3, v3, v4
	v_mul_f32_e32 v4, v132, v9
	v_fmac_f32_e32 v154, v126, v19
	v_add_f32_e32 v151, v151, v153
	s_waitcnt vmcnt(26)
	v_fma_f32 v4, v131, v22, -v4
	v_fmac_f32_e32 v155, v128, v20
	v_add_f32_e32 v151, v151, v154
	;; [unrolled: 8-line block ×4, first 2 shown]
	v_add_f32_e32 v3, v3, v4
	v_mul_f32_e32 v4, v138, v12
	s_waitcnt vmcnt(23)
	v_fmac_f32_e32 v160, v138, v25
	v_add_f32_e32 v151, v151, v159
	v_fma_f32 v4, v137, v25, -v4
	v_mul_f32_e32 v162, v141, v14
	s_waitcnt vmcnt(22)
	v_fmac_f32_e32 v161, v140, v26
	v_add_f32_e32 v151, v151, v160
	v_add_f32_e32 v3, v3, v4
	v_mul_f32_e32 v4, v140, v13
	s_waitcnt lgkmcnt(1)
	v_mul_f32_e32 v181, v143, v15
	s_waitcnt vmcnt(21)
	v_fmac_f32_e32 v162, v142, v27
	v_add_f32_e32 v151, v151, v161
	v_fma_f32 v4, v139, v26, -v4
	s_waitcnt vmcnt(20)
	v_fmac_f32_e32 v181, v144, v28
	v_add_f32_e32 v151, v151, v162
	s_waitcnt vmcnt(19)
	v_mul_f32_e32 v152, v145, v29
	v_add_f32_e32 v3, v3, v4
	v_mul_f32_e32 v4, v142, v14
	v_add_f32_e32 v151, v151, v181
	s_waitcnt vmcnt(18)
	v_fmac_f32_e32 v152, v146, v30
	v_fma_f32 v4, v141, v27, -v4
	v_add_f32_e32 v151, v151, v152
	s_waitcnt vmcnt(17) lgkmcnt(0)
	v_mul_f32_e32 v152, v147, v163
	v_add_f32_e32 v3, v3, v4
	v_mul_f32_e32 v4, v144, v15
	s_waitcnt vmcnt(16)
	v_fmac_f32_e32 v152, v148, v164
	v_fma_f32 v4, v143, v28, -v4
	v_add_f32_e32 v155, v151, v152
	ds_read_b128 v[151:154], v118 offset:880
	v_add_f32_e32 v3, v3, v4
	v_mul_f32_e32 v4, v146, v29
	v_fma_f32 v4, v145, v30, -v4
	v_add_f32_e32 v3, v3, v4
	v_mul_f32_e32 v4, v148, v163
	s_waitcnt vmcnt(15)
	v_mul_f32_e32 v156, v149, v165
	v_fma_f32 v4, v147, v164, -v4
	s_waitcnt vmcnt(14)
	v_fmac_f32_e32 v156, v150, v166
	v_add_f32_e32 v3, v3, v4
	v_mul_f32_e32 v4, v150, v165
	v_add_f32_e32 v159, v155, v156
	ds_read_b128 v[155:158], v118 offset:896
	s_waitcnt vmcnt(13) lgkmcnt(1)
	v_mul_f32_e32 v160, v151, v167
	v_fma_f32 v4, v149, v166, -v4
	s_waitcnt vmcnt(12)
	v_fmac_f32_e32 v160, v152, v168
	v_add_f32_e32 v3, v3, v4
	v_mul_f32_e32 v4, v152, v167
	v_add_f32_e32 v159, v159, v160
	s_waitcnt vmcnt(11)
	v_mul_f32_e32 v160, v153, v169
	v_fma_f32 v4, v151, v168, -v4
	s_waitcnt vmcnt(10)
	v_fmac_f32_e32 v160, v154, v170
	v_add_f32_e32 v3, v3, v4
	v_mul_f32_e32 v4, v154, v169
	v_add_f32_e32 v181, v159, v160
	ds_read_b128 v[159:162], v118 offset:912
	v_fma_f32 v4, v153, v170, -v4
	v_add_f32_e32 v3, v3, v4
	s_waitcnt vmcnt(9) lgkmcnt(1)
	v_mul_f32_e32 v4, v156, v171
	v_mul_f32_e32 v182, v155, v171
	s_waitcnt vmcnt(8)
	v_fma_f32 v4, v155, v172, -v4
	v_fmac_f32_e32 v182, v156, v172
	v_add_f32_e32 v3, v3, v4
	s_waitcnt vmcnt(7)
	v_mul_f32_e32 v4, v158, v173
	v_add_f32_e32 v118, v181, v182
	v_mul_f32_e32 v181, v157, v173
	s_waitcnt vmcnt(6)
	v_fma_f32 v4, v157, v174, -v4
	v_fmac_f32_e32 v181, v158, v174
	v_add_f32_e32 v3, v3, v4
	s_waitcnt vmcnt(5) lgkmcnt(0)
	v_mul_f32_e32 v4, v160, v175
	v_add_f32_e32 v118, v118, v181
	v_mul_f32_e32 v181, v159, v175
	s_waitcnt vmcnt(4)
	v_fma_f32 v4, v159, v176, -v4
	v_fmac_f32_e32 v181, v160, v176
	v_add_f32_e32 v3, v3, v4
	s_waitcnt vmcnt(3)
	v_mul_f32_e32 v4, v162, v177
	v_add_f32_e32 v118, v118, v181
	v_mul_f32_e32 v181, v161, v177
	s_waitcnt vmcnt(2)
	v_fma_f32 v4, v161, v178, -v4
	v_fmac_f32_e32 v181, v162, v178
	v_add_f32_e32 v3, v3, v4
	v_add_f32_e32 v118, v118, v181
	s_waitcnt vmcnt(1)
	v_sub_f32_e32 v3, v179, v3
	s_waitcnt vmcnt(0)
	v_sub_f32_e32 v4, v180, v118
	buffer_store_dword v3, off, s[0:3], 0 offset:280
	buffer_store_dword v4, off, s[0:3], 0 offset:284
	s_and_saveexec_b64 s[4:5], vcc
	s_cbranch_execz .LBB121_293
; %bb.292:
	buffer_load_dword v3, off, s[0:3], 0 offset:272
	buffer_load_dword v4, off, s[0:3], 0 offset:276
	v_mov_b32_e32 v5, 0
	buffer_store_dword v5, off, s[0:3], 0 offset:272
	buffer_store_dword v5, off, s[0:3], 0 offset:276
	s_waitcnt vmcnt(2)
	ds_write_b64 v117, v[3:4]
.LBB121_293:
	s_or_b64 exec, exec, s[4:5]
	s_waitcnt lgkmcnt(0)
	; wave barrier
	buffer_load_dword v5, off, s[0:3], 0 offset:284
	buffer_load_dword v6, off, s[0:3], 0 offset:292
	;; [unrolled: 1-line block ×48, first 2 shown]
	v_mov_b32_e32 v118, 0
	ds_read2_b64 v[119:122], v118 offset0:93 offset1:94
	ds_read2_b64 v[123:126], v118 offset0:95 offset1:96
	;; [unrolled: 1-line block ×7, first 2 shown]
	v_cmp_lt_u32_e32 vcc, 33, v0
	ds_read2_b64 v[159:162], v118 offset0:113 offset1:114
	s_waitcnt vmcnt(47) lgkmcnt(7)
	v_mul_f32_e32 v3, v119, v5
	v_mul_f32_e32 v5, v120, v5
	s_waitcnt vmcnt(46)
	v_mul_f32_e32 v4, v121, v6
	v_mul_f32_e32 v6, v122, v6
	s_waitcnt vmcnt(45) lgkmcnt(6)
	v_mul_f32_e32 v147, v123, v7
	s_waitcnt vmcnt(44)
	v_mul_f32_e32 v148, v125, v8
	s_waitcnt vmcnt(43) lgkmcnt(5)
	v_mul_f32_e32 v149, v127, v9
	s_waitcnt vmcnt(42)
	;; [unrolled: 4-line block ×4, first 2 shown]
	v_mul_f32_e32 v154, v137, v14
	s_waitcnt vmcnt(35)
	v_fma_f32 v5, v119, v17, -v5
	v_add_f32_e32 v5, 0, v5
	s_waitcnt vmcnt(34)
	v_fma_f32 v6, v121, v18, -v6
	v_add_f32_e32 v5, v5, v6
	v_mul_f32_e32 v6, v124, v7
	s_waitcnt vmcnt(33)
	v_fma_f32 v6, v123, v19, -v6
	v_add_f32_e32 v5, v5, v6
	v_mul_f32_e32 v6, v126, v8
	s_waitcnt vmcnt(32)
	v_fma_f32 v6, v125, v20, -v6
	v_add_f32_e32 v5, v5, v6
	v_mul_f32_e32 v6, v128, v9
	s_waitcnt vmcnt(31)
	v_fma_f32 v6, v127, v21, -v6
	v_fmac_f32_e32 v3, v120, v17
	v_add_f32_e32 v5, v5, v6
	v_mul_f32_e32 v6, v130, v10
	v_fmac_f32_e32 v4, v122, v18
	v_add_f32_e32 v3, 0, v3
	s_waitcnt vmcnt(30)
	v_fma_f32 v6, v129, v22, -v6
	v_fmac_f32_e32 v147, v124, v19
	v_add_f32_e32 v3, v3, v4
	v_add_f32_e32 v5, v5, v6
	v_mul_f32_e32 v6, v132, v11
	v_fmac_f32_e32 v148, v126, v20
	v_add_f32_e32 v3, v3, v147
	s_waitcnt vmcnt(29)
	v_fma_f32 v6, v131, v23, -v6
	v_fmac_f32_e32 v149, v128, v21
	v_add_f32_e32 v3, v3, v148
	;; [unrolled: 8-line block ×4, first 2 shown]
	v_add_f32_e32 v5, v5, v6
	v_mul_f32_e32 v6, v138, v14
	s_waitcnt lgkmcnt(2)
	v_mul_f32_e32 v155, v139, v15
	s_waitcnt vmcnt(26)
	v_fmac_f32_e32 v154, v138, v26
	v_add_f32_e32 v3, v3, v153
	v_fma_f32 v6, v137, v26, -v6
	v_mul_f32_e32 v156, v141, v16
	s_waitcnt vmcnt(25)
	v_fmac_f32_e32 v155, v140, v27
	v_add_f32_e32 v3, v3, v154
	ds_read2_b64 v[147:150], v118 offset0:107 offset1:108
	ds_read2_b64 v[151:154], v118 offset0:109 offset1:110
	v_add_f32_e32 v5, v5, v6
	v_mul_f32_e32 v6, v140, v15
	s_waitcnt vmcnt(24)
	v_fmac_f32_e32 v156, v142, v28
	v_add_f32_e32 v3, v3, v155
	s_waitcnt vmcnt(23) lgkmcnt(3)
	v_mul_f32_e32 v4, v143, v29
	v_fma_f32 v6, v139, v27, -v6
	v_add_f32_e32 v3, v3, v156
	s_waitcnt vmcnt(22)
	v_fmac_f32_e32 v4, v144, v30
	v_add_f32_e32 v5, v5, v6
	v_mul_f32_e32 v6, v142, v16
	v_add_f32_e32 v3, v3, v4
	s_waitcnt vmcnt(21)
	v_mul_f32_e32 v4, v145, v163
	v_fma_f32 v6, v141, v28, -v6
	s_waitcnt vmcnt(20)
	v_fmac_f32_e32 v4, v146, v164
	v_add_f32_e32 v5, v5, v6
	v_mul_f32_e32 v6, v144, v29
	v_add_f32_e32 v3, v3, v4
	s_waitcnt vmcnt(19) lgkmcnt(1)
	v_mul_f32_e32 v4, v147, v165
	v_fma_f32 v6, v143, v30, -v6
	s_waitcnt vmcnt(18)
	v_fmac_f32_e32 v4, v148, v166
	v_add_f32_e32 v5, v5, v6
	v_mul_f32_e32 v6, v146, v163
	v_add_f32_e32 v3, v3, v4
	s_waitcnt vmcnt(17)
	v_mul_f32_e32 v4, v149, v167
	v_fma_f32 v6, v145, v164, -v6
	s_waitcnt vmcnt(16)
	v_fmac_f32_e32 v4, v150, v168
	ds_read2_b64 v[155:158], v118 offset0:111 offset1:112
	v_add_f32_e32 v5, v5, v6
	v_mul_f32_e32 v6, v148, v165
	v_add_f32_e32 v3, v3, v4
	s_waitcnt vmcnt(15) lgkmcnt(1)
	v_mul_f32_e32 v4, v151, v169
	v_fma_f32 v6, v147, v166, -v6
	s_waitcnt vmcnt(14)
	v_fmac_f32_e32 v4, v152, v170
	v_add_f32_e32 v5, v5, v6
	v_mul_f32_e32 v6, v150, v167
	v_add_f32_e32 v3, v3, v4
	s_waitcnt vmcnt(13)
	v_mul_f32_e32 v4, v153, v171
	v_fma_f32 v6, v149, v168, -v6
	s_waitcnt vmcnt(12)
	v_fmac_f32_e32 v4, v154, v172
	v_add_f32_e32 v5, v5, v6
	v_mul_f32_e32 v6, v152, v169
	v_add_f32_e32 v3, v3, v4
	s_waitcnt vmcnt(11) lgkmcnt(0)
	v_mul_f32_e32 v4, v155, v173
	v_fma_f32 v6, v151, v170, -v6
	s_waitcnt vmcnt(10)
	v_fmac_f32_e32 v4, v156, v174
	v_add_f32_e32 v5, v5, v6
	v_mul_f32_e32 v6, v154, v171
	v_add_f32_e32 v3, v3, v4
	s_waitcnt vmcnt(9)
	v_mul_f32_e32 v4, v157, v175
	v_fma_f32 v6, v153, v172, -v6
	s_waitcnt vmcnt(8)
	v_fmac_f32_e32 v4, v158, v176
	v_add_f32_e32 v5, v5, v6
	v_mul_f32_e32 v6, v156, v173
	v_add_f32_e32 v185, v3, v4
	ds_read_b64 v[3:4], v118 offset:920
	v_fma_f32 v6, v155, v174, -v6
	s_waitcnt vmcnt(6)
	v_mul_f32_e32 v186, v159, v178
	v_add_f32_e32 v5, v5, v6
	v_mul_f32_e32 v6, v158, v175
	v_fmac_f32_e32 v186, v160, v177
	v_fma_f32 v6, v157, v176, -v6
	v_add_f32_e32 v185, v185, v186
	s_waitcnt vmcnt(3)
	v_mul_f32_e32 v186, v161, v181
	v_add_f32_e32 v5, v5, v6
	v_mul_f32_e32 v6, v160, v178
	s_waitcnt vmcnt(2)
	v_fmac_f32_e32 v186, v162, v182
	v_fma_f32 v6, v159, v177, -v6
	v_add_f32_e32 v185, v185, v186
	s_waitcnt vmcnt(0) lgkmcnt(0)
	v_mul_f32_e32 v186, v3, v184
	v_add_f32_e32 v5, v5, v6
	v_mul_f32_e32 v6, v162, v181
	v_fmac_f32_e32 v186, v4, v183
	v_fma_f32 v6, v161, v182, -v6
	v_mul_f32_e32 v4, v4, v184
	v_add_f32_e32 v5, v5, v6
	v_fma_f32 v3, v3, v183, -v4
	v_add_f32_e32 v3, v5, v3
	v_add_f32_e32 v185, v185, v186
	v_sub_f32_e32 v3, v179, v3
	v_sub_f32_e32 v4, v180, v185
	buffer_store_dword v3, off, s[0:3], 0 offset:272
	buffer_store_dword v4, off, s[0:3], 0 offset:276
	s_and_saveexec_b64 s[4:5], vcc
	s_cbranch_execz .LBB121_295
; %bb.294:
	buffer_load_dword v3, off, s[0:3], 0 offset:264
	buffer_load_dword v4, off, s[0:3], 0 offset:268
	s_waitcnt vmcnt(0)
	ds_write_b64 v117, v[3:4]
	buffer_store_dword v118, off, s[0:3], 0 offset:264
	buffer_store_dword v118, off, s[0:3], 0 offset:268
.LBB121_295:
	s_or_b64 exec, exec, s[4:5]
	s_waitcnt lgkmcnt(0)
	; wave barrier
	buffer_load_dword v3, off, s[0:3], 0 offset:276
	buffer_load_dword v4, off, s[0:3], 0 offset:284
	;; [unrolled: 1-line block ×48, first 2 shown]
	ds_read_b128 v[119:122], v118 offset:736
	ds_read_b128 v[123:126], v118 offset:752
	buffer_load_dword v187, off, s[0:3], 0 offset:456
	buffer_load_dword v188, off, s[0:3], 0 offset:460
	ds_read_b128 v[127:130], v118 offset:768
	ds_read_b128 v[131:134], v118 offset:784
	;; [unrolled: 1-line block ×5, first 2 shown]
	v_cmp_lt_u32_e32 vcc, 32, v0
	s_waitcnt vmcnt(49) lgkmcnt(6)
	v_mul_f32_e32 v147, v119, v3
	v_mul_f32_e32 v3, v120, v3
	s_waitcnt vmcnt(48)
	v_mul_f32_e32 v148, v121, v4
	v_mul_f32_e32 v4, v122, v4
	s_waitcnt vmcnt(47) lgkmcnt(5)
	v_mul_f32_e32 v149, v123, v5
	s_waitcnt vmcnt(46)
	v_mul_f32_e32 v150, v125, v6
	s_waitcnt vmcnt(45) lgkmcnt(4)
	v_mul_f32_e32 v151, v127, v7
	s_waitcnt vmcnt(44)
	;; [unrolled: 4-line block ×4, first 2 shown]
	v_mul_f32_e32 v156, v137, v12
	s_waitcnt vmcnt(37)
	v_fma_f32 v3, v119, v15, -v3
	v_add_f32_e32 v3, 0, v3
	s_waitcnt vmcnt(36)
	v_fma_f32 v4, v121, v16, -v4
	v_add_f32_e32 v3, v3, v4
	v_mul_f32_e32 v4, v124, v5
	v_fmac_f32_e32 v147, v120, v15
	s_waitcnt vmcnt(35)
	v_fma_f32 v4, v123, v17, -v4
	v_fmac_f32_e32 v148, v122, v16
	v_add_f32_e32 v147, 0, v147
	v_add_f32_e32 v3, v3, v4
	v_mul_f32_e32 v4, v126, v6
	v_fmac_f32_e32 v149, v124, v17
	v_add_f32_e32 v147, v147, v148
	s_waitcnt vmcnt(34)
	v_fma_f32 v4, v125, v18, -v4
	v_fmac_f32_e32 v150, v126, v18
	v_add_f32_e32 v147, v147, v149
	v_add_f32_e32 v3, v3, v4
	v_mul_f32_e32 v4, v128, v7
	s_waitcnt vmcnt(33)
	v_fmac_f32_e32 v151, v128, v19
	v_add_f32_e32 v147, v147, v150
	v_fma_f32 v4, v127, v19, -v4
	s_waitcnt vmcnt(32)
	v_fmac_f32_e32 v152, v130, v20
	v_add_f32_e32 v147, v147, v151
	v_add_f32_e32 v3, v3, v4
	v_mul_f32_e32 v4, v130, v8
	s_waitcnt vmcnt(31)
	v_fmac_f32_e32 v153, v132, v21
	v_add_f32_e32 v147, v147, v152
	v_fma_f32 v4, v129, v20, -v4
	s_waitcnt vmcnt(30)
	v_fmac_f32_e32 v154, v134, v22
	v_add_f32_e32 v147, v147, v153
	v_add_f32_e32 v3, v3, v4
	v_mul_f32_e32 v4, v132, v9
	s_waitcnt vmcnt(29)
	v_fmac_f32_e32 v155, v136, v23
	v_add_f32_e32 v147, v147, v154
	v_fma_f32 v4, v131, v21, -v4
	s_waitcnt lgkmcnt(1)
	v_mul_f32_e32 v157, v139, v13
	s_waitcnt vmcnt(28)
	v_fmac_f32_e32 v156, v138, v24
	v_add_f32_e32 v147, v147, v155
	v_add_f32_e32 v3, v3, v4
	v_mul_f32_e32 v4, v134, v10
	v_mul_f32_e32 v158, v141, v14
	s_waitcnt vmcnt(27)
	v_fmac_f32_e32 v157, v140, v25
	v_add_f32_e32 v147, v147, v156
	v_fma_f32 v4, v133, v22, -v4
	v_add_f32_e32 v147, v147, v157
	s_waitcnt vmcnt(26)
	v_fmac_f32_e32 v158, v142, v26
	v_add_f32_e32 v3, v3, v4
	v_mul_f32_e32 v4, v136, v11
	v_add_f32_e32 v151, v147, v158
	ds_read_b128 v[147:150], v118 offset:848
	v_fma_f32 v4, v135, v23, -v4
	s_waitcnt vmcnt(25) lgkmcnt(1)
	v_mul_f32_e32 v152, v143, v27
	v_add_f32_e32 v3, v3, v4
	v_mul_f32_e32 v4, v138, v12
	s_waitcnt vmcnt(24)
	v_fmac_f32_e32 v152, v144, v28
	v_fma_f32 v4, v137, v24, -v4
	v_add_f32_e32 v151, v151, v152
	s_waitcnt vmcnt(23)
	v_mul_f32_e32 v152, v145, v29
	v_add_f32_e32 v3, v3, v4
	v_mul_f32_e32 v4, v140, v13
	s_waitcnt vmcnt(22)
	v_fmac_f32_e32 v152, v146, v30
	v_fma_f32 v4, v139, v25, -v4
	v_add_f32_e32 v151, v151, v152
	s_waitcnt vmcnt(21) lgkmcnt(0)
	v_mul_f32_e32 v152, v147, v167
	v_add_f32_e32 v3, v3, v4
	v_mul_f32_e32 v4, v142, v14
	s_waitcnt vmcnt(20)
	v_fmac_f32_e32 v152, v148, v168
	v_fma_f32 v4, v141, v26, -v4
	v_add_f32_e32 v155, v151, v152
	ds_read_b128 v[151:154], v118 offset:864
	v_add_f32_e32 v3, v3, v4
	v_mul_f32_e32 v4, v144, v27
	v_fma_f32 v4, v143, v28, -v4
	s_waitcnt vmcnt(19)
	v_mul_f32_e32 v156, v149, v169
	v_add_f32_e32 v3, v3, v4
	v_mul_f32_e32 v4, v146, v29
	s_waitcnt vmcnt(18)
	v_fmac_f32_e32 v156, v150, v170
	v_fma_f32 v4, v145, v30, -v4
	v_add_f32_e32 v159, v155, v156
	ds_read_b128 v[155:158], v118 offset:880
	v_add_f32_e32 v3, v3, v4
	v_mul_f32_e32 v4, v148, v167
	s_waitcnt vmcnt(17) lgkmcnt(1)
	v_mul_f32_e32 v160, v151, v171
	v_fma_f32 v4, v147, v168, -v4
	s_waitcnt vmcnt(16)
	v_fmac_f32_e32 v160, v152, v172
	v_add_f32_e32 v3, v3, v4
	v_mul_f32_e32 v4, v150, v169
	v_add_f32_e32 v159, v159, v160
	s_waitcnt vmcnt(15)
	v_mul_f32_e32 v160, v153, v173
	v_fma_f32 v4, v149, v170, -v4
	s_waitcnt vmcnt(14)
	v_fmac_f32_e32 v160, v154, v174
	v_add_f32_e32 v3, v3, v4
	v_mul_f32_e32 v4, v152, v171
	v_add_f32_e32 v159, v159, v160
	s_waitcnt vmcnt(13) lgkmcnt(0)
	v_mul_f32_e32 v160, v155, v175
	v_fma_f32 v4, v151, v172, -v4
	s_waitcnt vmcnt(12)
	v_fmac_f32_e32 v160, v156, v176
	v_add_f32_e32 v3, v3, v4
	v_mul_f32_e32 v4, v154, v173
	v_add_f32_e32 v163, v159, v160
	ds_read_b128 v[159:162], v118 offset:896
	v_fma_f32 v4, v153, v174, -v4
	v_add_f32_e32 v3, v3, v4
	v_mul_f32_e32 v4, v156, v175
	s_waitcnt vmcnt(11)
	v_mul_f32_e32 v164, v157, v177
	v_fma_f32 v4, v155, v176, -v4
	s_waitcnt vmcnt(10)
	v_fmac_f32_e32 v164, v158, v178
	v_add_f32_e32 v3, v3, v4
	v_mul_f32_e32 v4, v158, v177
	v_add_f32_e32 v189, v163, v164
	ds_read_b128 v[163:166], v118 offset:912
	v_fma_f32 v4, v157, v178, -v4
	v_add_f32_e32 v3, v3, v4
	s_waitcnt vmcnt(7) lgkmcnt(1)
	v_mul_f32_e32 v4, v160, v181
	v_mul_f32_e32 v118, v159, v181
	s_waitcnt vmcnt(6)
	v_fma_f32 v4, v159, v182, -v4
	v_fmac_f32_e32 v118, v160, v182
	v_add_f32_e32 v3, v3, v4
	s_waitcnt vmcnt(4)
	v_mul_f32_e32 v4, v162, v184
	v_add_f32_e32 v118, v189, v118
	v_mul_f32_e32 v189, v161, v184
	v_fma_f32 v4, v161, v183, -v4
	v_fmac_f32_e32 v189, v162, v183
	v_add_f32_e32 v3, v3, v4
	s_waitcnt vmcnt(2) lgkmcnt(0)
	v_mul_f32_e32 v4, v164, v186
	v_add_f32_e32 v118, v118, v189
	v_mul_f32_e32 v189, v163, v186
	v_fma_f32 v4, v163, v185, -v4
	v_fmac_f32_e32 v189, v164, v185
	v_add_f32_e32 v3, v3, v4
	s_waitcnt vmcnt(0)
	v_mul_f32_e32 v4, v166, v188
	v_add_f32_e32 v118, v118, v189
	v_mul_f32_e32 v189, v165, v188
	v_fma_f32 v4, v165, v187, -v4
	v_fmac_f32_e32 v189, v166, v187
	v_add_f32_e32 v3, v3, v4
	v_add_f32_e32 v118, v118, v189
	v_sub_f32_e32 v3, v179, v3
	v_sub_f32_e32 v4, v180, v118
	buffer_store_dword v3, off, s[0:3], 0 offset:264
	buffer_store_dword v4, off, s[0:3], 0 offset:268
	s_and_saveexec_b64 s[4:5], vcc
	s_cbranch_execz .LBB121_297
; %bb.296:
	buffer_load_dword v3, off, s[0:3], 0 offset:256
	buffer_load_dword v4, off, s[0:3], 0 offset:260
	v_mov_b32_e32 v5, 0
	buffer_store_dword v5, off, s[0:3], 0 offset:256
	buffer_store_dword v5, off, s[0:3], 0 offset:260
	s_waitcnt vmcnt(2)
	ds_write_b64 v117, v[3:4]
.LBB121_297:
	s_or_b64 exec, exec, s[4:5]
	s_waitcnt lgkmcnt(0)
	; wave barrier
	buffer_load_dword v5, off, s[0:3], 0 offset:268
	buffer_load_dword v6, off, s[0:3], 0 offset:276
	buffer_load_dword v7, off, s[0:3], 0 offset:284
	buffer_load_dword v8, off, s[0:3], 0 offset:292
	buffer_load_dword v9, off, s[0:3], 0 offset:300
	buffer_load_dword v10, off, s[0:3], 0 offset:308
	buffer_load_dword v11, off, s[0:3], 0 offset:316
	buffer_load_dword v12, off, s[0:3], 0 offset:324
	buffer_load_dword v13, off, s[0:3], 0 offset:332
	buffer_load_dword v14, off, s[0:3], 0 offset:340
	buffer_load_dword v15, off, s[0:3], 0 offset:348
	buffer_load_dword v16, off, s[0:3], 0 offset:264
	buffer_load_dword v17, off, s[0:3], 0 offset:272
	buffer_load_dword v18, off, s[0:3], 0 offset:280
	buffer_load_dword v19, off, s[0:3], 0 offset:288
	buffer_load_dword v20, off, s[0:3], 0 offset:296
	buffer_load_dword v21, off, s[0:3], 0 offset:304
	buffer_load_dword v22, off, s[0:3], 0 offset:312
	buffer_load_dword v23, off, s[0:3], 0 offset:320
	buffer_load_dword v24, off, s[0:3], 0 offset:328
	buffer_load_dword v25, off, s[0:3], 0 offset:336
	buffer_load_dword v26, off, s[0:3], 0 offset:344
	buffer_load_dword v27, off, s[0:3], 0 offset:356
	buffer_load_dword v28, off, s[0:3], 0 offset:352
	buffer_load_dword v29, off, s[0:3], 0 offset:364
	buffer_load_dword v30, off, s[0:3], 0 offset:360
	buffer_load_dword v167, off, s[0:3], 0 offset:372
	buffer_load_dword v168, off, s[0:3], 0 offset:368
	buffer_load_dword v169, off, s[0:3], 0 offset:380
	buffer_load_dword v170, off, s[0:3], 0 offset:376
	buffer_load_dword v171, off, s[0:3], 0 offset:388
	buffer_load_dword v172, off, s[0:3], 0 offset:384
	buffer_load_dword v173, off, s[0:3], 0 offset:396
	buffer_load_dword v174, off, s[0:3], 0 offset:392
	buffer_load_dword v175, off, s[0:3], 0 offset:404
	buffer_load_dword v176, off, s[0:3], 0 offset:400
	buffer_load_dword v177, off, s[0:3], 0 offset:408
	buffer_load_dword v178, off, s[0:3], 0 offset:412
	buffer_load_dword v179, off, s[0:3], 0 offset:256
	buffer_load_dword v180, off, s[0:3], 0 offset:260
	buffer_load_dword v181, off, s[0:3], 0 offset:420
	buffer_load_dword v182, off, s[0:3], 0 offset:416
	buffer_load_dword v183, off, s[0:3], 0 offset:424
	buffer_load_dword v184, off, s[0:3], 0 offset:428
	buffer_load_dword v185, off, s[0:3], 0 offset:432
	buffer_load_dword v186, off, s[0:3], 0 offset:436
	buffer_load_dword v187, off, s[0:3], 0 offset:440
	buffer_load_dword v188, off, s[0:3], 0 offset:444
	buffer_load_dword v189, off, s[0:3], 0 offset:448
	buffer_load_dword v190, off, s[0:3], 0 offset:452
	buffer_load_dword v191, off, s[0:3], 0 offset:456
	buffer_load_dword v192, off, s[0:3], 0 offset:460
	v_mov_b32_e32 v118, 0
	ds_read2_b64 v[119:122], v118 offset0:91 offset1:92
	ds_read2_b64 v[123:126], v118 offset0:93 offset1:94
	;; [unrolled: 1-line block ×8, first 2 shown]
	v_cmp_lt_u32_e32 vcc, 31, v0
	ds_read2_b64 v[155:158], v118 offset0:109 offset1:110
	s_waitcnt vmcnt(51) lgkmcnt(8)
	v_mul_f32_e32 v3, v119, v5
	v_mul_f32_e32 v5, v120, v5
	s_waitcnt vmcnt(50)
	v_mul_f32_e32 v4, v121, v6
	v_mul_f32_e32 v6, v122, v6
	s_waitcnt vmcnt(49) lgkmcnt(7)
	v_mul_f32_e32 v143, v123, v7
	s_waitcnt vmcnt(48)
	v_mul_f32_e32 v144, v125, v8
	s_waitcnt vmcnt(47) lgkmcnt(6)
	v_mul_f32_e32 v145, v127, v9
	s_waitcnt vmcnt(46)
	v_mul_f32_e32 v146, v129, v10
	s_waitcnt vmcnt(45) lgkmcnt(5)
	v_mul_f32_e32 v147, v131, v11
	s_waitcnt vmcnt(44)
	v_mul_f32_e32 v148, v133, v12
	s_waitcnt vmcnt(43) lgkmcnt(4)
	v_mul_f32_e32 v149, v135, v13
	s_waitcnt vmcnt(40)
	v_fma_f32 v5, v119, v16, -v5
	v_add_f32_e32 v5, 0, v5
	s_waitcnt vmcnt(39)
	v_fma_f32 v6, v121, v17, -v6
	v_add_f32_e32 v5, v5, v6
	v_mul_f32_e32 v6, v124, v7
	s_waitcnt vmcnt(38)
	v_fma_f32 v6, v123, v18, -v6
	v_add_f32_e32 v5, v5, v6
	v_mul_f32_e32 v6, v126, v8
	;; [unrolled: 4-line block ×3, first 2 shown]
	v_fmac_f32_e32 v3, v120, v16
	s_waitcnt vmcnt(36)
	v_fma_f32 v6, v127, v20, -v6
	v_fmac_f32_e32 v4, v122, v17
	v_add_f32_e32 v3, 0, v3
	v_add_f32_e32 v5, v5, v6
	v_mul_f32_e32 v6, v130, v10
	v_fmac_f32_e32 v143, v124, v18
	v_add_f32_e32 v3, v3, v4
	s_waitcnt vmcnt(35)
	v_fma_f32 v6, v129, v21, -v6
	v_fmac_f32_e32 v144, v126, v19
	v_add_f32_e32 v3, v3, v143
	v_add_f32_e32 v5, v5, v6
	v_mul_f32_e32 v6, v132, v11
	v_fmac_f32_e32 v145, v128, v20
	v_add_f32_e32 v3, v3, v144
	;; [unrolled: 8-line block ×3, first 2 shown]
	s_waitcnt vmcnt(33)
	v_fma_f32 v6, v133, v23, -v6
	v_fmac_f32_e32 v148, v134, v23
	v_add_f32_e32 v3, v3, v147
	ds_read2_b64 v[143:146], v118 offset0:103 offset1:104
	v_add_f32_e32 v5, v5, v6
	v_mul_f32_e32 v6, v136, v13
	v_mul_f32_e32 v150, v137, v14
	s_waitcnt vmcnt(32)
	v_fmac_f32_e32 v149, v136, v24
	v_add_f32_e32 v3, v3, v148
	v_fma_f32 v6, v135, v24, -v6
	s_waitcnt lgkmcnt(4)
	v_mul_f32_e32 v151, v139, v15
	s_waitcnt vmcnt(31)
	v_fmac_f32_e32 v150, v138, v25
	v_add_f32_e32 v3, v3, v149
	v_add_f32_e32 v5, v5, v6
	v_mul_f32_e32 v6, v138, v14
	v_add_f32_e32 v3, v3, v150
	s_waitcnt vmcnt(30)
	v_fmac_f32_e32 v151, v140, v26
	s_waitcnt vmcnt(29)
	v_mul_f32_e32 v4, v141, v27
	v_fma_f32 v6, v137, v25, -v6
	v_add_f32_e32 v3, v3, v151
	s_waitcnt vmcnt(28)
	v_fmac_f32_e32 v4, v142, v28
	ds_read2_b64 v[147:150], v118 offset0:105 offset1:106
	v_add_f32_e32 v5, v5, v6
	v_mul_f32_e32 v6, v140, v15
	v_add_f32_e32 v3, v3, v4
	s_waitcnt vmcnt(27) lgkmcnt(1)
	v_mul_f32_e32 v4, v143, v29
	v_fma_f32 v6, v139, v26, -v6
	s_waitcnt vmcnt(26)
	v_fmac_f32_e32 v4, v144, v30
	v_add_f32_e32 v5, v5, v6
	v_mul_f32_e32 v6, v142, v27
	v_add_f32_e32 v3, v3, v4
	s_waitcnt vmcnt(25)
	v_mul_f32_e32 v4, v145, v167
	v_fma_f32 v6, v141, v28, -v6
	s_waitcnt vmcnt(24)
	v_fmac_f32_e32 v4, v146, v168
	ds_read2_b64 v[151:154], v118 offset0:107 offset1:108
	v_add_f32_e32 v5, v5, v6
	v_mul_f32_e32 v6, v144, v29
	v_add_f32_e32 v3, v3, v4
	s_waitcnt vmcnt(23) lgkmcnt(1)
	v_mul_f32_e32 v4, v147, v169
	v_fma_f32 v6, v143, v30, -v6
	s_waitcnt vmcnt(22)
	v_fmac_f32_e32 v4, v148, v170
	v_add_f32_e32 v5, v5, v6
	v_mul_f32_e32 v6, v146, v167
	v_add_f32_e32 v3, v3, v4
	s_waitcnt vmcnt(21)
	v_mul_f32_e32 v4, v149, v171
	v_fma_f32 v6, v145, v168, -v6
	s_waitcnt vmcnt(20)
	v_fmac_f32_e32 v4, v150, v172
	v_add_f32_e32 v5, v5, v6
	v_mul_f32_e32 v6, v148, v169
	v_add_f32_e32 v3, v3, v4
	s_waitcnt vmcnt(19) lgkmcnt(0)
	v_mul_f32_e32 v4, v151, v173
	v_fma_f32 v6, v147, v170, -v6
	s_waitcnt vmcnt(18)
	v_fmac_f32_e32 v4, v152, v174
	v_add_f32_e32 v5, v5, v6
	v_mul_f32_e32 v6, v150, v171
	v_add_f32_e32 v3, v3, v4
	s_waitcnt vmcnt(17)
	v_mul_f32_e32 v4, v153, v175
	v_fma_f32 v6, v149, v172, -v6
	s_waitcnt vmcnt(16)
	v_fmac_f32_e32 v4, v154, v176
	v_add_f32_e32 v5, v5, v6
	v_mul_f32_e32 v6, v152, v173
	v_add_f32_e32 v3, v3, v4
	s_waitcnt vmcnt(14)
	v_mul_f32_e32 v4, v155, v178
	v_fma_f32 v6, v151, v174, -v6
	v_fmac_f32_e32 v4, v156, v177
	v_add_f32_e32 v5, v5, v6
	v_mul_f32_e32 v6, v154, v175
	v_add_f32_e32 v3, v3, v4
	s_waitcnt vmcnt(11)
	v_mul_f32_e32 v4, v157, v181
	v_fma_f32 v6, v153, v176, -v6
	s_waitcnt vmcnt(10)
	v_fmac_f32_e32 v4, v158, v182
	v_add_f32_e32 v5, v5, v6
	v_mul_f32_e32 v6, v156, v178
	v_add_f32_e32 v3, v3, v4
	s_waitcnt vmcnt(8)
	v_mul_f32_e32 v4, v159, v184
	v_fma_f32 v6, v155, v177, -v6
	v_fmac_f32_e32 v4, v160, v183
	v_add_f32_e32 v5, v5, v6
	v_mul_f32_e32 v6, v158, v181
	v_add_f32_e32 v3, v3, v4
	s_waitcnt vmcnt(6)
	v_mul_f32_e32 v4, v161, v186
	v_fma_f32 v6, v157, v182, -v6
	v_fmac_f32_e32 v4, v162, v185
	v_add_f32_e32 v5, v5, v6
	v_mul_f32_e32 v6, v160, v184
	v_add_f32_e32 v193, v3, v4
	ds_read_b64 v[3:4], v118 offset:920
	v_fma_f32 v6, v159, v183, -v6
	s_waitcnt vmcnt(4)
	v_mul_f32_e32 v194, v163, v188
	v_add_f32_e32 v5, v5, v6
	v_mul_f32_e32 v6, v162, v186
	v_fmac_f32_e32 v194, v164, v187
	v_fma_f32 v6, v161, v185, -v6
	v_add_f32_e32 v193, v193, v194
	s_waitcnt vmcnt(2)
	v_mul_f32_e32 v194, v165, v190
	v_add_f32_e32 v5, v5, v6
	v_mul_f32_e32 v6, v164, v188
	v_fmac_f32_e32 v194, v166, v189
	v_fma_f32 v6, v163, v187, -v6
	v_add_f32_e32 v193, v193, v194
	s_waitcnt vmcnt(0) lgkmcnt(0)
	v_mul_f32_e32 v194, v3, v192
	v_add_f32_e32 v5, v5, v6
	v_mul_f32_e32 v6, v166, v190
	v_fmac_f32_e32 v194, v4, v191
	v_fma_f32 v6, v165, v189, -v6
	v_mul_f32_e32 v4, v4, v192
	v_add_f32_e32 v5, v5, v6
	v_fma_f32 v3, v3, v191, -v4
	v_add_f32_e32 v3, v5, v3
	v_add_f32_e32 v193, v193, v194
	v_sub_f32_e32 v3, v179, v3
	v_sub_f32_e32 v4, v180, v193
	buffer_store_dword v3, off, s[0:3], 0 offset:256
	buffer_store_dword v4, off, s[0:3], 0 offset:260
	s_and_saveexec_b64 s[4:5], vcc
	s_cbranch_execz .LBB121_299
; %bb.298:
	buffer_load_dword v3, off, s[0:3], 0 offset:248
	buffer_load_dword v4, off, s[0:3], 0 offset:252
	s_waitcnt vmcnt(0)
	ds_write_b64 v117, v[3:4]
	buffer_store_dword v118, off, s[0:3], 0 offset:248
	buffer_store_dword v118, off, s[0:3], 0 offset:252
.LBB121_299:
	s_or_b64 exec, exec, s[4:5]
	s_waitcnt lgkmcnt(0)
	; wave barrier
	buffer_load_dword v3, off, s[0:3], 0 offset:260
	buffer_load_dword v4, off, s[0:3], 0 offset:268
	;; [unrolled: 1-line block ×42, first 2 shown]
	ds_read_b128 v[119:122], v118 offset:720
	ds_read_b128 v[123:126], v118 offset:736
	;; [unrolled: 1-line block ×4, first 2 shown]
	buffer_load_dword v185, off, s[0:3], 0 offset:420
	buffer_load_dword v186, off, s[0:3], 0 offset:416
	;; [unrolled: 1-line block ×6, first 2 shown]
	ds_read_b128 v[135:138], v118 offset:784
	ds_read_b128 v[139:142], v118 offset:800
	buffer_load_dword v191, off, s[0:3], 0 offset:440
	buffer_load_dword v192, off, s[0:3], 0 offset:444
	;; [unrolled: 1-line block ×6, first 2 shown]
	v_cmp_lt_u32_e32 vcc, 30, v0
	s_waitcnt vmcnt(53) lgkmcnt(5)
	v_mul_f32_e32 v143, v119, v3
	s_waitcnt vmcnt(52)
	v_mul_f32_e32 v144, v121, v4
	v_mul_f32_e32 v3, v120, v3
	s_waitcnt vmcnt(51) lgkmcnt(4)
	v_mul_f32_e32 v145, v123, v5
	v_mul_f32_e32 v4, v122, v4
	s_waitcnt vmcnt(50)
	v_mul_f32_e32 v146, v125, v6
	s_waitcnt vmcnt(49) lgkmcnt(3)
	v_mul_f32_e32 v147, v127, v7
	s_waitcnt vmcnt(48)
	v_mul_f32_e32 v148, v129, v8
	s_waitcnt vmcnt(47) lgkmcnt(2)
	v_mul_f32_e32 v149, v131, v9
	s_waitcnt vmcnt(46)
	v_mul_f32_e32 v150, v133, v10
	s_waitcnt vmcnt(43)
	v_fmac_f32_e32 v143, v120, v13
	s_waitcnt vmcnt(42)
	v_fmac_f32_e32 v144, v122, v14
	v_add_f32_e32 v143, 0, v143
	v_fma_f32 v3, v119, v13, -v3
	s_waitcnt vmcnt(41)
	v_fmac_f32_e32 v145, v124, v15
	v_add_f32_e32 v143, v143, v144
	v_add_f32_e32 v3, 0, v3
	v_fma_f32 v4, v121, v14, -v4
	s_waitcnt vmcnt(40)
	v_fmac_f32_e32 v146, v126, v16
	v_add_f32_e32 v143, v143, v145
	v_add_f32_e32 v3, v3, v4
	v_mul_f32_e32 v4, v124, v5
	s_waitcnt vmcnt(39)
	v_fmac_f32_e32 v147, v128, v17
	v_add_f32_e32 v143, v143, v146
	v_fma_f32 v4, v123, v15, -v4
	s_waitcnt vmcnt(38)
	v_fmac_f32_e32 v148, v130, v18
	v_add_f32_e32 v143, v143, v147
	v_add_f32_e32 v3, v3, v4
	v_mul_f32_e32 v4, v126, v6
	s_waitcnt vmcnt(37)
	v_fmac_f32_e32 v149, v132, v19
	v_add_f32_e32 v143, v143, v148
	v_fma_f32 v4, v125, v16, -v4
	s_waitcnt lgkmcnt(1)
	v_mul_f32_e32 v151, v135, v11
	s_waitcnt vmcnt(36)
	v_fmac_f32_e32 v150, v134, v20
	v_add_f32_e32 v143, v143, v149
	v_add_f32_e32 v3, v3, v4
	v_mul_f32_e32 v4, v128, v7
	v_mul_f32_e32 v152, v137, v12
	s_waitcnt vmcnt(35)
	v_fmac_f32_e32 v151, v136, v21
	v_add_f32_e32 v143, v143, v150
	v_fma_f32 v4, v127, v17, -v4
	s_waitcnt vmcnt(34)
	v_fmac_f32_e32 v152, v138, v22
	v_add_f32_e32 v143, v143, v151
	s_waitcnt vmcnt(33) lgkmcnt(0)
	v_mul_f32_e32 v144, v139, v23
	v_add_f32_e32 v3, v3, v4
	v_mul_f32_e32 v4, v130, v8
	v_add_f32_e32 v143, v143, v152
	s_waitcnt vmcnt(32)
	v_fmac_f32_e32 v144, v140, v24
	v_fma_f32 v4, v129, v18, -v4
	v_add_f32_e32 v147, v143, v144
	ds_read_b128 v[143:146], v118 offset:816
	v_add_f32_e32 v3, v3, v4
	v_mul_f32_e32 v4, v132, v9
	v_fma_f32 v4, v131, v19, -v4
	s_waitcnt vmcnt(31)
	v_mul_f32_e32 v148, v141, v25
	v_add_f32_e32 v3, v3, v4
	v_mul_f32_e32 v4, v134, v10
	s_waitcnt vmcnt(30)
	v_fmac_f32_e32 v148, v142, v26
	v_fma_f32 v4, v133, v20, -v4
	v_add_f32_e32 v151, v147, v148
	ds_read_b128 v[147:150], v118 offset:832
	v_add_f32_e32 v3, v3, v4
	v_mul_f32_e32 v4, v136, v11
	s_waitcnt vmcnt(29) lgkmcnt(1)
	v_mul_f32_e32 v152, v143, v27
	v_fma_f32 v4, v135, v21, -v4
	s_waitcnt vmcnt(28)
	v_fmac_f32_e32 v152, v144, v28
	v_add_f32_e32 v3, v3, v4
	v_mul_f32_e32 v4, v138, v12
	v_add_f32_e32 v151, v151, v152
	s_waitcnt vmcnt(27)
	v_mul_f32_e32 v152, v145, v29
	v_fma_f32 v4, v137, v22, -v4
	s_waitcnt vmcnt(26)
	v_fmac_f32_e32 v152, v146, v30
	v_add_f32_e32 v3, v3, v4
	v_mul_f32_e32 v4, v140, v23
	v_add_f32_e32 v151, v151, v152
	s_waitcnt vmcnt(25) lgkmcnt(0)
	v_mul_f32_e32 v152, v147, v171
	v_fma_f32 v4, v139, v24, -v4
	s_waitcnt vmcnt(24)
	v_fmac_f32_e32 v152, v148, v172
	v_add_f32_e32 v3, v3, v4
	v_mul_f32_e32 v4, v142, v25
	v_add_f32_e32 v155, v151, v152
	ds_read_b128 v[151:154], v118 offset:848
	v_fma_f32 v4, v141, v26, -v4
	v_add_f32_e32 v3, v3, v4
	v_mul_f32_e32 v4, v144, v27
	s_waitcnt vmcnt(23)
	v_mul_f32_e32 v156, v149, v173
	v_fma_f32 v4, v143, v28, -v4
	s_waitcnt vmcnt(22)
	v_fmac_f32_e32 v156, v150, v174
	v_add_f32_e32 v3, v3, v4
	v_mul_f32_e32 v4, v146, v29
	v_add_f32_e32 v159, v155, v156
	ds_read_b128 v[155:158], v118 offset:864
	v_fma_f32 v4, v145, v30, -v4
	s_waitcnt vmcnt(21) lgkmcnt(1)
	v_mul_f32_e32 v160, v151, v175
	v_add_f32_e32 v3, v3, v4
	v_mul_f32_e32 v4, v148, v171
	s_waitcnt vmcnt(20)
	v_fmac_f32_e32 v160, v152, v176
	v_fma_f32 v4, v147, v172, -v4
	v_add_f32_e32 v159, v159, v160
	s_waitcnt vmcnt(18)
	v_mul_f32_e32 v160, v153, v178
	v_add_f32_e32 v3, v3, v4
	v_mul_f32_e32 v4, v150, v173
	v_fmac_f32_e32 v160, v154, v177
	v_fma_f32 v4, v149, v174, -v4
	v_add_f32_e32 v159, v159, v160
	s_waitcnt vmcnt(15) lgkmcnt(0)
	v_mul_f32_e32 v160, v155, v181
	v_add_f32_e32 v3, v3, v4
	v_mul_f32_e32 v4, v152, v175
	s_waitcnt vmcnt(14)
	v_fmac_f32_e32 v160, v156, v182
	v_fma_f32 v4, v151, v176, -v4
	v_add_f32_e32 v163, v159, v160
	ds_read_b128 v[159:162], v118 offset:880
	v_add_f32_e32 v3, v3, v4
	v_mul_f32_e32 v4, v154, v178
	v_fma_f32 v4, v153, v177, -v4
	v_add_f32_e32 v3, v3, v4
	v_mul_f32_e32 v4, v156, v181
	s_waitcnt vmcnt(12)
	v_mul_f32_e32 v164, v157, v184
	v_fma_f32 v4, v155, v182, -v4
	v_fmac_f32_e32 v164, v158, v183
	v_add_f32_e32 v3, v3, v4
	v_mul_f32_e32 v4, v158, v184
	v_add_f32_e32 v167, v163, v164
	ds_read_b128 v[163:166], v118 offset:896
	s_waitcnt vmcnt(11) lgkmcnt(1)
	v_mul_f32_e32 v168, v159, v185
	v_fma_f32 v4, v157, v183, -v4
	s_waitcnt vmcnt(10)
	v_fmac_f32_e32 v168, v160, v186
	v_add_f32_e32 v3, v3, v4
	v_mul_f32_e32 v4, v160, v185
	v_add_f32_e32 v167, v167, v168
	s_waitcnt vmcnt(8)
	v_mul_f32_e32 v168, v161, v188
	v_fma_f32 v4, v159, v186, -v4
	v_fmac_f32_e32 v168, v162, v187
	v_add_f32_e32 v3, v3, v4
	v_mul_f32_e32 v4, v162, v188
	v_add_f32_e32 v197, v167, v168
	ds_read_b128 v[167:170], v118 offset:912
	v_fma_f32 v4, v161, v187, -v4
	v_add_f32_e32 v3, v3, v4
	s_waitcnt vmcnt(6) lgkmcnt(1)
	v_mul_f32_e32 v4, v164, v190
	v_mul_f32_e32 v198, v163, v190
	v_fma_f32 v4, v163, v189, -v4
	v_fmac_f32_e32 v198, v164, v189
	v_add_f32_e32 v3, v3, v4
	s_waitcnt vmcnt(4)
	v_mul_f32_e32 v4, v166, v192
	v_add_f32_e32 v118, v197, v198
	v_mul_f32_e32 v197, v165, v192
	v_fma_f32 v4, v165, v191, -v4
	v_fmac_f32_e32 v197, v166, v191
	v_add_f32_e32 v3, v3, v4
	s_waitcnt vmcnt(2) lgkmcnt(0)
	v_mul_f32_e32 v4, v168, v194
	v_add_f32_e32 v118, v118, v197
	v_mul_f32_e32 v197, v167, v194
	v_fma_f32 v4, v167, v193, -v4
	v_fmac_f32_e32 v197, v168, v193
	v_add_f32_e32 v3, v3, v4
	s_waitcnt vmcnt(0)
	v_mul_f32_e32 v4, v170, v196
	v_add_f32_e32 v118, v118, v197
	v_mul_f32_e32 v197, v169, v196
	v_fma_f32 v4, v169, v195, -v4
	v_fmac_f32_e32 v197, v170, v195
	v_add_f32_e32 v3, v3, v4
	v_add_f32_e32 v118, v118, v197
	v_sub_f32_e32 v3, v179, v3
	v_sub_f32_e32 v4, v180, v118
	buffer_store_dword v3, off, s[0:3], 0 offset:248
	buffer_store_dword v4, off, s[0:3], 0 offset:252
	s_and_saveexec_b64 s[4:5], vcc
	s_cbranch_execz .LBB121_301
; %bb.300:
	buffer_load_dword v3, off, s[0:3], 0 offset:240
	buffer_load_dword v4, off, s[0:3], 0 offset:244
	v_mov_b32_e32 v5, 0
	buffer_store_dword v5, off, s[0:3], 0 offset:240
	buffer_store_dword v5, off, s[0:3], 0 offset:244
	s_waitcnt vmcnt(2)
	ds_write_b64 v117, v[3:4]
.LBB121_301:
	s_or_b64 exec, exec, s[4:5]
	s_waitcnt lgkmcnt(0)
	; wave barrier
	buffer_load_dword v5, off, s[0:3], 0 offset:252
	buffer_load_dword v6, off, s[0:3], 0 offset:260
	;; [unrolled: 1-line block ×56, first 2 shown]
	v_mov_b32_e32 v118, 0
	ds_read2_b64 v[119:122], v118 offset0:89 offset1:90
	ds_read2_b64 v[123:126], v118 offset0:91 offset1:92
	;; [unrolled: 1-line block ×11, first 2 shown]
	v_cmp_lt_u32_e32 vcc, 29, v0
	s_waitcnt vmcnt(55) lgkmcnt(10)
	v_mul_f32_e32 v3, v119, v5
	v_mul_f32_e32 v5, v120, v5
	s_waitcnt vmcnt(54)
	v_mul_f32_e32 v4, v121, v6
	v_mul_f32_e32 v6, v122, v6
	s_waitcnt vmcnt(53) lgkmcnt(9)
	v_mul_f32_e32 v143, v123, v7
	s_waitcnt vmcnt(52)
	v_mul_f32_e32 v144, v125, v8
	s_waitcnt vmcnt(51) lgkmcnt(8)
	v_mul_f32_e32 v145, v127, v9
	s_waitcnt vmcnt(50)
	;; [unrolled: 4-line block ×3, first 2 shown]
	v_fma_f32 v5, v119, v14, -v5
	v_add_f32_e32 v5, 0, v5
	s_waitcnt vmcnt(45)
	v_fma_f32 v6, v121, v15, -v6
	v_add_f32_e32 v5, v5, v6
	v_mul_f32_e32 v6, v124, v7
	s_waitcnt vmcnt(44)
	v_fma_f32 v6, v123, v16, -v6
	v_add_f32_e32 v5, v5, v6
	v_mul_f32_e32 v6, v126, v8
	v_fmac_f32_e32 v3, v120, v14
	s_waitcnt vmcnt(43)
	v_fma_f32 v6, v125, v17, -v6
	v_fmac_f32_e32 v4, v122, v15
	v_add_f32_e32 v3, 0, v3
	v_add_f32_e32 v5, v5, v6
	v_mul_f32_e32 v6, v128, v9
	v_fmac_f32_e32 v143, v124, v16
	v_add_f32_e32 v3, v3, v4
	s_waitcnt vmcnt(42)
	v_fma_f32 v6, v127, v18, -v6
	v_fmac_f32_e32 v144, v126, v17
	v_add_f32_e32 v3, v3, v143
	v_add_f32_e32 v5, v5, v6
	v_mul_f32_e32 v6, v130, v10
	v_fmac_f32_e32 v145, v128, v18
	v_add_f32_e32 v3, v3, v144
	s_waitcnt vmcnt(41)
	v_fma_f32 v6, v129, v19, -v6
	v_fmac_f32_e32 v146, v130, v19
	v_add_f32_e32 v3, v3, v145
	v_add_f32_e32 v5, v5, v6
	v_mul_f32_e32 v6, v132, v11
	v_mul_f32_e32 v148, v133, v12
	s_waitcnt vmcnt(40)
	v_fmac_f32_e32 v147, v132, v20
	v_add_f32_e32 v3, v3, v146
	v_fma_f32 v6, v131, v20, -v6
	s_waitcnt lgkmcnt(6)
	v_mul_f32_e32 v149, v135, v13
	s_waitcnt vmcnt(39)
	v_fmac_f32_e32 v148, v134, v21
	v_add_f32_e32 v3, v3, v147
	v_add_f32_e32 v5, v5, v6
	v_mul_f32_e32 v6, v134, v12
	v_add_f32_e32 v3, v3, v148
	s_waitcnt vmcnt(38)
	v_fmac_f32_e32 v149, v136, v22
	s_waitcnt vmcnt(37)
	v_mul_f32_e32 v4, v137, v23
	v_fma_f32 v6, v133, v21, -v6
	v_add_f32_e32 v3, v3, v149
	s_waitcnt vmcnt(36)
	v_fmac_f32_e32 v4, v138, v24
	ds_read2_b64 v[143:146], v118 offset0:101 offset1:102
	ds_read2_b64 v[147:150], v118 offset0:103 offset1:104
	v_add_f32_e32 v5, v5, v6
	v_mul_f32_e32 v6, v136, v13
	v_add_f32_e32 v3, v3, v4
	s_waitcnt vmcnt(35) lgkmcnt(7)
	v_mul_f32_e32 v4, v139, v25
	v_fma_f32 v6, v135, v22, -v6
	s_waitcnt vmcnt(34)
	v_fmac_f32_e32 v4, v140, v26
	v_add_f32_e32 v5, v5, v6
	v_mul_f32_e32 v6, v138, v23
	v_add_f32_e32 v3, v3, v4
	s_waitcnt vmcnt(33)
	v_mul_f32_e32 v4, v141, v27
	v_fma_f32 v6, v137, v24, -v6
	s_waitcnt vmcnt(32)
	v_fmac_f32_e32 v4, v142, v28
	v_add_f32_e32 v5, v5, v6
	v_mul_f32_e32 v6, v140, v25
	v_add_f32_e32 v3, v3, v4
	s_waitcnt vmcnt(31) lgkmcnt(1)
	v_mul_f32_e32 v4, v143, v29
	v_fma_f32 v6, v139, v26, -v6
	s_waitcnt vmcnt(30)
	v_fmac_f32_e32 v4, v144, v30
	v_add_f32_e32 v5, v5, v6
	v_mul_f32_e32 v6, v142, v27
	v_add_f32_e32 v3, v3, v4
	s_waitcnt vmcnt(29)
	v_mul_f32_e32 v4, v145, v171
	v_fma_f32 v6, v141, v28, -v6
	s_waitcnt vmcnt(28)
	v_fmac_f32_e32 v4, v146, v172
	v_add_f32_e32 v5, v5, v6
	v_mul_f32_e32 v6, v144, v29
	v_add_f32_e32 v3, v3, v4
	s_waitcnt vmcnt(27) lgkmcnt(0)
	v_mul_f32_e32 v4, v147, v173
	v_fma_f32 v6, v143, v30, -v6
	s_waitcnt vmcnt(26)
	v_fmac_f32_e32 v4, v148, v174
	v_add_f32_e32 v5, v5, v6
	v_mul_f32_e32 v6, v146, v171
	v_add_f32_e32 v3, v3, v4
	s_waitcnt vmcnt(24)
	v_mul_f32_e32 v4, v149, v176
	v_fma_f32 v6, v145, v172, -v6
	v_fmac_f32_e32 v4, v150, v175
	v_add_f32_e32 v5, v5, v6
	v_mul_f32_e32 v6, v148, v173
	v_add_f32_e32 v3, v3, v4
	s_waitcnt vmcnt(21)
	v_mul_f32_e32 v4, v151, v179
	v_fma_f32 v6, v147, v174, -v6
	s_waitcnt vmcnt(20)
	v_fmac_f32_e32 v4, v152, v180
	v_add_f32_e32 v5, v5, v6
	v_mul_f32_e32 v6, v150, v176
	v_add_f32_e32 v3, v3, v4
	s_waitcnt vmcnt(18)
	v_mul_f32_e32 v4, v153, v182
	v_fma_f32 v6, v149, v175, -v6
	v_fmac_f32_e32 v4, v154, v181
	v_add_f32_e32 v5, v5, v6
	v_mul_f32_e32 v6, v152, v179
	v_add_f32_e32 v3, v3, v4
	s_waitcnt vmcnt(16)
	v_mul_f32_e32 v4, v155, v184
	v_fma_f32 v6, v151, v180, -v6
	;; [unrolled: 7-line block ×7, first 2 shown]
	v_fmac_f32_e32 v4, v166, v193
	v_add_f32_e32 v5, v5, v6
	v_mul_f32_e32 v6, v164, v192
	v_add_f32_e32 v201, v3, v4
	ds_read_b64 v[3:4], v118 offset:920
	v_fma_f32 v6, v163, v191, -v6
	s_waitcnt vmcnt(4)
	v_mul_f32_e32 v202, v167, v196
	v_add_f32_e32 v5, v5, v6
	v_mul_f32_e32 v6, v166, v194
	v_fmac_f32_e32 v202, v168, v195
	v_fma_f32 v6, v165, v193, -v6
	v_add_f32_e32 v201, v201, v202
	s_waitcnt vmcnt(2)
	v_mul_f32_e32 v202, v169, v198
	v_add_f32_e32 v5, v5, v6
	v_mul_f32_e32 v6, v168, v196
	v_fmac_f32_e32 v202, v170, v197
	v_fma_f32 v6, v167, v195, -v6
	v_add_f32_e32 v201, v201, v202
	s_waitcnt vmcnt(0) lgkmcnt(0)
	v_mul_f32_e32 v202, v3, v200
	v_add_f32_e32 v5, v5, v6
	v_mul_f32_e32 v6, v170, v198
	v_fmac_f32_e32 v202, v4, v199
	v_fma_f32 v6, v169, v197, -v6
	v_mul_f32_e32 v4, v4, v200
	v_add_f32_e32 v5, v5, v6
	v_fma_f32 v3, v3, v199, -v4
	v_add_f32_e32 v3, v5, v3
	v_add_f32_e32 v201, v201, v202
	v_sub_f32_e32 v3, v177, v3
	v_sub_f32_e32 v4, v178, v201
	buffer_store_dword v3, off, s[0:3], 0 offset:240
	buffer_store_dword v4, off, s[0:3], 0 offset:244
	s_and_saveexec_b64 s[4:5], vcc
	s_cbranch_execz .LBB121_303
; %bb.302:
	buffer_load_dword v3, off, s[0:3], 0 offset:232
	buffer_load_dword v4, off, s[0:3], 0 offset:236
	s_waitcnt vmcnt(0)
	ds_write_b64 v117, v[3:4]
	buffer_store_dword v118, off, s[0:3], 0 offset:232
	buffer_store_dword v118, off, s[0:3], 0 offset:236
.LBB121_303:
	s_or_b64 exec, exec, s[4:5]
	s_waitcnt lgkmcnt(0)
	; wave barrier
	buffer_load_dword v3, off, s[0:3], 0 offset:244
	buffer_load_dword v4, off, s[0:3], 0 offset:252
	buffer_load_dword v5, off, s[0:3], 0 offset:260
	buffer_load_dword v6, off, s[0:3], 0 offset:268
	buffer_load_dword v7, off, s[0:3], 0 offset:276
	buffer_load_dword v8, off, s[0:3], 0 offset:284
	buffer_load_dword v9, off, s[0:3], 0 offset:292
	buffer_load_dword v10, off, s[0:3], 0 offset:300
	buffer_load_dword v11, off, s[0:3], 0 offset:240
	buffer_load_dword v12, off, s[0:3], 0 offset:248
	buffer_load_dword v13, off, s[0:3], 0 offset:256
	buffer_load_dword v14, off, s[0:3], 0 offset:264
	buffer_load_dword v15, off, s[0:3], 0 offset:272
	buffer_load_dword v16, off, s[0:3], 0 offset:280
	buffer_load_dword v17, off, s[0:3], 0 offset:288
	buffer_load_dword v18, off, s[0:3], 0 offset:296
	buffer_load_dword v19, off, s[0:3], 0 offset:308
	buffer_load_dword v20, off, s[0:3], 0 offset:304
	buffer_load_dword v21, off, s[0:3], 0 offset:316
	buffer_load_dword v22, off, s[0:3], 0 offset:312
	buffer_load_dword v23, off, s[0:3], 0 offset:324
	buffer_load_dword v24, off, s[0:3], 0 offset:320
	buffer_load_dword v25, off, s[0:3], 0 offset:332
	buffer_load_dword v26, off, s[0:3], 0 offset:328
	buffer_load_dword v27, off, s[0:3], 0 offset:340
	buffer_load_dword v28, off, s[0:3], 0 offset:336
	buffer_load_dword v29, off, s[0:3], 0 offset:348
	buffer_load_dword v30, off, s[0:3], 0 offset:344
	buffer_load_dword v175, off, s[0:3], 0 offset:356
	buffer_load_dword v176, off, s[0:3], 0 offset:352
	buffer_load_dword v177, off, s[0:3], 0 offset:232
	buffer_load_dword v178, off, s[0:3], 0 offset:236
	buffer_load_dword v179, off, s[0:3], 0 offset:364
	buffer_load_dword v180, off, s[0:3], 0 offset:360
	ds_read_b128 v[119:122], v118 offset:704
	ds_read_b128 v[123:126], v118 offset:720
	buffer_load_dword v181, off, s[0:3], 0 offset:372
	buffer_load_dword v182, off, s[0:3], 0 offset:368
	;; [unrolled: 1-line block ×6, first 2 shown]
	ds_read_b128 v[127:130], v118 offset:736
	ds_read_b128 v[131:134], v118 offset:752
	ds_read_b128 v[135:138], v118 offset:768
	ds_read_b128 v[139:142], v118 offset:784
	buffer_load_dword v187, off, s[0:3], 0 offset:396
	buffer_load_dword v188, off, s[0:3], 0 offset:392
	;; [unrolled: 1-line block ×18, first 2 shown]
	v_cmp_lt_u32_e32 vcc, 28, v0
	s_waitcnt vmcnt(57) lgkmcnt(5)
	v_mul_f32_e32 v143, v119, v3
	s_waitcnt vmcnt(56)
	v_mul_f32_e32 v144, v121, v4
	s_waitcnt vmcnt(55) lgkmcnt(4)
	v_mul_f32_e32 v145, v123, v5
	s_waitcnt vmcnt(54)
	v_mul_f32_e32 v146, v125, v6
	;; [unrolled: 4-line block ×3, first 2 shown]
	v_mul_f32_e32 v3, v120, v3
	s_waitcnt vmcnt(51) lgkmcnt(2)
	v_mul_f32_e32 v149, v131, v9
	s_waitcnt vmcnt(49)
	v_fmac_f32_e32 v143, v120, v11
	s_waitcnt vmcnt(48)
	v_fmac_f32_e32 v144, v122, v12
	v_add_f32_e32 v143, 0, v143
	s_waitcnt vmcnt(47)
	v_fmac_f32_e32 v145, v124, v13
	v_add_f32_e32 v143, v143, v144
	s_waitcnt vmcnt(46)
	v_fmac_f32_e32 v146, v126, v14
	v_add_f32_e32 v143, v143, v145
	s_waitcnt vmcnt(45)
	v_fmac_f32_e32 v147, v128, v15
	v_add_f32_e32 v143, v143, v146
	s_waitcnt vmcnt(44)
	v_fmac_f32_e32 v148, v130, v16
	v_add_f32_e32 v143, v143, v147
	v_fma_f32 v3, v119, v11, -v3
	v_mul_f32_e32 v4, v122, v4
	v_mul_f32_e32 v150, v133, v10
	s_waitcnt vmcnt(43)
	v_fmac_f32_e32 v149, v132, v17
	v_add_f32_e32 v143, v143, v148
	v_add_f32_e32 v3, 0, v3
	v_fma_f32 v4, v121, v12, -v4
	s_waitcnt vmcnt(42)
	v_fmac_f32_e32 v150, v134, v18
	v_add_f32_e32 v143, v143, v149
	s_waitcnt vmcnt(41) lgkmcnt(1)
	v_mul_f32_e32 v144, v135, v19
	v_add_f32_e32 v3, v3, v4
	v_mul_f32_e32 v4, v124, v5
	v_add_f32_e32 v143, v143, v150
	s_waitcnt vmcnt(40)
	v_fmac_f32_e32 v144, v136, v20
	v_fma_f32 v4, v123, v13, -v4
	v_add_f32_e32 v143, v143, v144
	s_waitcnt vmcnt(39)
	v_mul_f32_e32 v144, v137, v21
	v_add_f32_e32 v3, v3, v4
	v_mul_f32_e32 v4, v126, v6
	s_waitcnt vmcnt(38)
	v_fmac_f32_e32 v144, v138, v22
	v_fma_f32 v4, v125, v14, -v4
	v_add_f32_e32 v143, v143, v144
	s_waitcnt vmcnt(37) lgkmcnt(0)
	v_mul_f32_e32 v144, v139, v23
	v_add_f32_e32 v3, v3, v4
	v_mul_f32_e32 v4, v128, v7
	s_waitcnt vmcnt(36)
	v_fmac_f32_e32 v144, v140, v24
	v_fma_f32 v4, v127, v15, -v4
	v_add_f32_e32 v147, v143, v144
	ds_read_b128 v[143:146], v118 offset:800
	v_add_f32_e32 v3, v3, v4
	v_mul_f32_e32 v4, v130, v8
	v_fma_f32 v4, v129, v16, -v4
	s_waitcnt vmcnt(35)
	v_mul_f32_e32 v148, v141, v25
	v_add_f32_e32 v3, v3, v4
	v_mul_f32_e32 v4, v132, v9
	s_waitcnt vmcnt(34)
	v_fmac_f32_e32 v148, v142, v26
	v_fma_f32 v4, v131, v17, -v4
	v_add_f32_e32 v151, v147, v148
	ds_read_b128 v[147:150], v118 offset:816
	v_add_f32_e32 v3, v3, v4
	v_mul_f32_e32 v4, v134, v10
	s_waitcnt vmcnt(33) lgkmcnt(1)
	v_mul_f32_e32 v152, v143, v27
	v_fma_f32 v4, v133, v18, -v4
	s_waitcnt vmcnt(32)
	v_fmac_f32_e32 v152, v144, v28
	v_add_f32_e32 v3, v3, v4
	v_mul_f32_e32 v4, v136, v19
	v_add_f32_e32 v151, v151, v152
	s_waitcnt vmcnt(31)
	v_mul_f32_e32 v152, v145, v29
	v_fma_f32 v4, v135, v20, -v4
	s_waitcnt vmcnt(30)
	v_fmac_f32_e32 v152, v146, v30
	v_add_f32_e32 v3, v3, v4
	v_mul_f32_e32 v4, v138, v21
	v_add_f32_e32 v151, v151, v152
	s_waitcnt vmcnt(29) lgkmcnt(0)
	v_mul_f32_e32 v152, v147, v175
	v_fma_f32 v4, v137, v22, -v4
	s_waitcnt vmcnt(28)
	v_fmac_f32_e32 v152, v148, v176
	v_add_f32_e32 v3, v3, v4
	v_mul_f32_e32 v4, v140, v23
	v_add_f32_e32 v155, v151, v152
	ds_read_b128 v[151:154], v118 offset:832
	v_fma_f32 v4, v139, v24, -v4
	v_add_f32_e32 v3, v3, v4
	v_mul_f32_e32 v4, v142, v25
	s_waitcnt vmcnt(25)
	v_mul_f32_e32 v156, v149, v179
	v_fma_f32 v4, v141, v26, -v4
	s_waitcnt vmcnt(24)
	v_fmac_f32_e32 v156, v150, v180
	v_add_f32_e32 v3, v3, v4
	v_mul_f32_e32 v4, v144, v27
	v_add_f32_e32 v159, v155, v156
	ds_read_b128 v[155:158], v118 offset:848
	v_fma_f32 v4, v143, v28, -v4
	s_waitcnt vmcnt(23) lgkmcnt(1)
	v_mul_f32_e32 v160, v151, v181
	v_add_f32_e32 v3, v3, v4
	v_mul_f32_e32 v4, v146, v29
	s_waitcnt vmcnt(22)
	v_fmac_f32_e32 v160, v152, v182
	v_fma_f32 v4, v145, v30, -v4
	v_add_f32_e32 v159, v159, v160
	s_waitcnt vmcnt(20)
	v_mul_f32_e32 v160, v153, v184
	v_add_f32_e32 v3, v3, v4
	v_mul_f32_e32 v4, v148, v175
	v_fmac_f32_e32 v160, v154, v183
	v_fma_f32 v4, v147, v176, -v4
	v_add_f32_e32 v159, v159, v160
	s_waitcnt vmcnt(18) lgkmcnt(0)
	v_mul_f32_e32 v160, v155, v186
	v_add_f32_e32 v3, v3, v4
	v_mul_f32_e32 v4, v150, v179
	v_fmac_f32_e32 v160, v156, v185
	v_fma_f32 v4, v149, v180, -v4
	v_add_f32_e32 v163, v159, v160
	ds_read_b128 v[159:162], v118 offset:864
	v_add_f32_e32 v3, v3, v4
	v_mul_f32_e32 v4, v152, v181
	v_fma_f32 v4, v151, v182, -v4
	s_waitcnt vmcnt(17)
	v_mul_f32_e32 v164, v157, v187
	v_add_f32_e32 v3, v3, v4
	v_mul_f32_e32 v4, v154, v184
	s_waitcnt vmcnt(16)
	v_fmac_f32_e32 v164, v158, v188
	v_fma_f32 v4, v153, v183, -v4
	v_add_f32_e32 v167, v163, v164
	ds_read_b128 v[163:166], v118 offset:880
	v_add_f32_e32 v3, v3, v4
	v_mul_f32_e32 v4, v156, v186
	s_waitcnt vmcnt(14) lgkmcnt(1)
	v_mul_f32_e32 v168, v159, v190
	v_fma_f32 v4, v155, v185, -v4
	v_fmac_f32_e32 v168, v160, v189
	v_add_f32_e32 v3, v3, v4
	v_mul_f32_e32 v4, v158, v187
	v_add_f32_e32 v167, v167, v168
	s_waitcnt vmcnt(12)
	v_mul_f32_e32 v168, v161, v192
	v_fma_f32 v4, v157, v188, -v4
	v_fmac_f32_e32 v168, v162, v191
	v_add_f32_e32 v3, v3, v4
	v_mul_f32_e32 v4, v160, v190
	v_add_f32_e32 v167, v167, v168
	s_waitcnt vmcnt(10) lgkmcnt(0)
	v_mul_f32_e32 v168, v163, v194
	v_fma_f32 v4, v159, v189, -v4
	v_fmac_f32_e32 v168, v164, v193
	v_add_f32_e32 v3, v3, v4
	v_mul_f32_e32 v4, v162, v192
	v_add_f32_e32 v171, v167, v168
	ds_read_b128 v[167:170], v118 offset:896
	v_fma_f32 v4, v161, v191, -v4
	v_add_f32_e32 v3, v3, v4
	v_mul_f32_e32 v4, v164, v194
	s_waitcnt vmcnt(8)
	v_mul_f32_e32 v172, v165, v196
	v_fma_f32 v4, v163, v193, -v4
	v_fmac_f32_e32 v172, v166, v195
	v_add_f32_e32 v3, v3, v4
	v_mul_f32_e32 v4, v166, v196
	v_add_f32_e32 v205, v171, v172
	ds_read_b128 v[171:174], v118 offset:912
	v_fma_f32 v4, v165, v195, -v4
	v_add_f32_e32 v3, v3, v4
	s_waitcnt vmcnt(6) lgkmcnt(1)
	v_mul_f32_e32 v4, v168, v198
	v_mul_f32_e32 v118, v167, v198
	v_fma_f32 v4, v167, v197, -v4
	v_fmac_f32_e32 v118, v168, v197
	v_add_f32_e32 v3, v3, v4
	s_waitcnt vmcnt(4)
	v_mul_f32_e32 v4, v170, v200
	v_add_f32_e32 v118, v205, v118
	v_mul_f32_e32 v205, v169, v200
	v_fma_f32 v4, v169, v199, -v4
	v_fmac_f32_e32 v205, v170, v199
	v_add_f32_e32 v3, v3, v4
	s_waitcnt vmcnt(2) lgkmcnt(0)
	v_mul_f32_e32 v4, v172, v202
	v_add_f32_e32 v118, v118, v205
	v_mul_f32_e32 v205, v171, v202
	v_fma_f32 v4, v171, v201, -v4
	v_fmac_f32_e32 v205, v172, v201
	v_add_f32_e32 v3, v3, v4
	s_waitcnt vmcnt(0)
	v_mul_f32_e32 v4, v174, v204
	v_add_f32_e32 v118, v118, v205
	v_mul_f32_e32 v205, v173, v204
	v_fma_f32 v4, v173, v203, -v4
	v_fmac_f32_e32 v205, v174, v203
	v_add_f32_e32 v3, v3, v4
	v_add_f32_e32 v118, v118, v205
	v_sub_f32_e32 v3, v177, v3
	v_sub_f32_e32 v4, v178, v118
	buffer_store_dword v3, off, s[0:3], 0 offset:232
	buffer_store_dword v4, off, s[0:3], 0 offset:236
	s_and_saveexec_b64 s[4:5], vcc
	s_cbranch_execz .LBB121_305
; %bb.304:
	buffer_load_dword v3, off, s[0:3], 0 offset:224
	buffer_load_dword v4, off, s[0:3], 0 offset:228
	v_mov_b32_e32 v5, 0
	buffer_store_dword v5, off, s[0:3], 0 offset:224
	buffer_store_dword v5, off, s[0:3], 0 offset:228
	s_waitcnt vmcnt(2)
	ds_write_b64 v117, v[3:4]
.LBB121_305:
	s_or_b64 exec, exec, s[4:5]
	s_waitcnt lgkmcnt(0)
	; wave barrier
	buffer_load_dword v5, off, s[0:3], 0 offset:236
	buffer_load_dword v6, off, s[0:3], 0 offset:244
	;; [unrolled: 1-line block ×60, first 2 shown]
	v_mov_b32_e32 v118, 0
	ds_read2_b64 v[119:122], v118 offset0:87 offset1:88
	ds_read2_b64 v[123:126], v118 offset0:89 offset1:90
	;; [unrolled: 1-line block ×12, first 2 shown]
	v_cmp_lt_u32_e32 vcc, 27, v0
	s_waitcnt vmcnt(59) lgkmcnt(11)
	v_mul_f32_e32 v3, v119, v5
	v_mul_f32_e32 v5, v120, v5
	s_waitcnt vmcnt(58)
	v_mul_f32_e32 v4, v121, v6
	v_mul_f32_e32 v6, v122, v6
	s_waitcnt vmcnt(57) lgkmcnt(10)
	v_mul_f32_e32 v139, v123, v7
	s_waitcnt vmcnt(56)
	v_mul_f32_e32 v140, v125, v8
	s_waitcnt vmcnt(55) lgkmcnt(9)
	v_mul_f32_e32 v141, v127, v9
	s_waitcnt vmcnt(52)
	v_fma_f32 v5, v119, v12, -v5
	v_add_f32_e32 v5, 0, v5
	s_waitcnt vmcnt(51)
	v_fma_f32 v6, v121, v13, -v6
	v_add_f32_e32 v5, v5, v6
	v_mul_f32_e32 v6, v124, v7
	v_fmac_f32_e32 v3, v120, v12
	s_waitcnt vmcnt(50)
	v_fma_f32 v6, v123, v14, -v6
	v_fmac_f32_e32 v4, v122, v13
	v_add_f32_e32 v3, 0, v3
	v_add_f32_e32 v5, v5, v6
	v_mul_f32_e32 v6, v126, v8
	v_fmac_f32_e32 v139, v124, v14
	v_add_f32_e32 v3, v3, v4
	s_waitcnt vmcnt(49)
	v_fma_f32 v6, v125, v15, -v6
	v_fmac_f32_e32 v140, v126, v15
	v_add_f32_e32 v3, v3, v139
	v_add_f32_e32 v5, v5, v6
	v_mul_f32_e32 v6, v128, v9
	v_mul_f32_e32 v142, v129, v10
	s_waitcnt vmcnt(48)
	v_fmac_f32_e32 v141, v128, v16
	v_add_f32_e32 v3, v3, v140
	v_fma_f32 v6, v127, v16, -v6
	s_waitcnt lgkmcnt(8)
	v_mul_f32_e32 v143, v131, v11
	s_waitcnt vmcnt(47)
	v_fmac_f32_e32 v142, v130, v17
	v_add_f32_e32 v3, v3, v141
	v_add_f32_e32 v5, v5, v6
	v_mul_f32_e32 v6, v130, v10
	s_waitcnt vmcnt(46)
	v_fmac_f32_e32 v143, v132, v18
	v_add_f32_e32 v3, v3, v142
	s_waitcnt vmcnt(45)
	v_mul_f32_e32 v4, v133, v19
	v_fma_f32 v6, v129, v17, -v6
	v_add_f32_e32 v3, v3, v143
	s_waitcnt vmcnt(44)
	v_fmac_f32_e32 v4, v134, v20
	ds_read2_b64 v[139:142], v118 offset0:97 offset1:98
	ds_read2_b64 v[143:146], v118 offset0:99 offset1:100
	v_add_f32_e32 v5, v5, v6
	v_mul_f32_e32 v6, v132, v11
	v_add_f32_e32 v3, v3, v4
	s_waitcnt vmcnt(43) lgkmcnt(9)
	v_mul_f32_e32 v4, v135, v21
	v_fma_f32 v6, v131, v18, -v6
	s_waitcnt vmcnt(42)
	v_fmac_f32_e32 v4, v136, v22
	v_add_f32_e32 v5, v5, v6
	v_mul_f32_e32 v6, v134, v19
	v_add_f32_e32 v3, v3, v4
	s_waitcnt vmcnt(41)
	v_mul_f32_e32 v4, v137, v23
	v_fma_f32 v6, v133, v20, -v6
	s_waitcnt vmcnt(40)
	v_fmac_f32_e32 v4, v138, v24
	v_add_f32_e32 v5, v5, v6
	v_mul_f32_e32 v6, v136, v21
	v_add_f32_e32 v3, v3, v4
	s_waitcnt vmcnt(39) lgkmcnt(1)
	v_mul_f32_e32 v4, v139, v25
	v_fma_f32 v6, v135, v22, -v6
	s_waitcnt vmcnt(38)
	v_fmac_f32_e32 v4, v140, v26
	v_add_f32_e32 v5, v5, v6
	v_mul_f32_e32 v6, v138, v23
	v_add_f32_e32 v3, v3, v4
	s_waitcnt vmcnt(37)
	v_mul_f32_e32 v4, v141, v27
	v_fma_f32 v6, v137, v24, -v6
	s_waitcnt vmcnt(36)
	v_fmac_f32_e32 v4, v142, v28
	v_add_f32_e32 v5, v5, v6
	v_mul_f32_e32 v6, v140, v25
	v_add_f32_e32 v3, v3, v4
	s_waitcnt vmcnt(34) lgkmcnt(0)
	v_mul_f32_e32 v4, v143, v30
	v_fma_f32 v6, v139, v26, -v6
	v_fmac_f32_e32 v4, v144, v29
	v_add_f32_e32 v5, v5, v6
	v_mul_f32_e32 v6, v142, v27
	v_add_f32_e32 v3, v3, v4
	s_waitcnt vmcnt(31)
	v_mul_f32_e32 v4, v145, v177
	v_fma_f32 v6, v141, v28, -v6
	s_waitcnt vmcnt(30)
	v_fmac_f32_e32 v4, v146, v178
	v_add_f32_e32 v5, v5, v6
	v_mul_f32_e32 v6, v144, v30
	v_add_f32_e32 v3, v3, v4
	s_waitcnt vmcnt(28)
	v_mul_f32_e32 v4, v147, v180
	v_fma_f32 v6, v143, v29, -v6
	v_fmac_f32_e32 v4, v148, v179
	v_add_f32_e32 v5, v5, v6
	v_mul_f32_e32 v6, v146, v177
	v_add_f32_e32 v3, v3, v4
	s_waitcnt vmcnt(26)
	v_mul_f32_e32 v4, v149, v182
	v_fma_f32 v6, v145, v178, -v6
	;; [unrolled: 7-line block ×12, first 2 shown]
	v_fmac_f32_e32 v4, v170, v201
	v_add_f32_e32 v5, v5, v6
	v_mul_f32_e32 v6, v168, v200
	v_add_f32_e32 v209, v3, v4
	ds_read_b64 v[3:4], v118 offset:920
	v_fma_f32 v6, v167, v199, -v6
	s_waitcnt vmcnt(4)
	v_mul_f32_e32 v210, v171, v204
	v_add_f32_e32 v5, v5, v6
	v_mul_f32_e32 v6, v170, v202
	v_fmac_f32_e32 v210, v172, v203
	v_fma_f32 v6, v169, v201, -v6
	v_add_f32_e32 v209, v209, v210
	s_waitcnt vmcnt(2)
	v_mul_f32_e32 v210, v173, v206
	v_add_f32_e32 v5, v5, v6
	v_mul_f32_e32 v6, v172, v204
	v_fmac_f32_e32 v210, v174, v205
	v_fma_f32 v6, v171, v203, -v6
	v_add_f32_e32 v209, v209, v210
	s_waitcnt vmcnt(0) lgkmcnt(0)
	v_mul_f32_e32 v210, v3, v208
	v_add_f32_e32 v5, v5, v6
	v_mul_f32_e32 v6, v174, v206
	v_fmac_f32_e32 v210, v4, v207
	v_fma_f32 v6, v173, v205, -v6
	v_mul_f32_e32 v4, v4, v208
	v_add_f32_e32 v5, v5, v6
	v_fma_f32 v3, v3, v207, -v4
	v_add_f32_e32 v3, v5, v3
	v_add_f32_e32 v209, v209, v210
	v_sub_f32_e32 v3, v175, v3
	v_sub_f32_e32 v4, v176, v209
	buffer_store_dword v3, off, s[0:3], 0 offset:224
	buffer_store_dword v4, off, s[0:3], 0 offset:228
	s_and_saveexec_b64 s[4:5], vcc
	s_cbranch_execz .LBB121_307
; %bb.306:
	buffer_load_dword v3, off, s[0:3], 0 offset:216
	buffer_load_dword v4, off, s[0:3], 0 offset:220
	s_waitcnt vmcnt(0)
	ds_write_b64 v117, v[3:4]
	buffer_store_dword v118, off, s[0:3], 0 offset:216
	buffer_store_dword v118, off, s[0:3], 0 offset:220
.LBB121_307:
	s_or_b64 exec, exec, s[4:5]
	s_waitcnt lgkmcnt(0)
	; wave barrier
	buffer_load_dword v3, off, s[0:3], 0 offset:228
	buffer_load_dword v4, off, s[0:3], 0 offset:236
	;; [unrolled: 1-line block ×32, first 2 shown]
	ds_read_b128 v[119:122], v118 offset:688
	ds_read_b128 v[123:126], v118 offset:704
	;; [unrolled: 1-line block ×4, first 2 shown]
	buffer_load_dword v183, off, s[0:3], 0 offset:348
	buffer_load_dword v184, off, s[0:3], 0 offset:344
	buffer_load_dword v185, off, s[0:3], 0 offset:352
	buffer_load_dword v186, off, s[0:3], 0 offset:356
	buffer_load_dword v187, off, s[0:3], 0 offset:360
	buffer_load_dword v188, off, s[0:3], 0 offset:364
	buffer_load_dword v189, off, s[0:3], 0 offset:368
	buffer_load_dword v190, off, s[0:3], 0 offset:372
	buffer_load_dword v191, off, s[0:3], 0 offset:376
	buffer_load_dword v192, off, s[0:3], 0 offset:380
	buffer_load_dword v193, off, s[0:3], 0 offset:384
	buffer_load_dword v194, off, s[0:3], 0 offset:388
	buffer_load_dword v195, off, s[0:3], 0 offset:392
	buffer_load_dword v196, off, s[0:3], 0 offset:396
	buffer_load_dword v197, off, s[0:3], 0 offset:400
	buffer_load_dword v198, off, s[0:3], 0 offset:404
	buffer_load_dword v199, off, s[0:3], 0 offset:408
	buffer_load_dword v200, off, s[0:3], 0 offset:412
	buffer_load_dword v201, off, s[0:3], 0 offset:416
	buffer_load_dword v202, off, s[0:3], 0 offset:420
	buffer_load_dword v203, off, s[0:3], 0 offset:424
	buffer_load_dword v204, off, s[0:3], 0 offset:428
	buffer_load_dword v205, off, s[0:3], 0 offset:432
	buffer_load_dword v206, off, s[0:3], 0 offset:436
	buffer_load_dword v207, off, s[0:3], 0 offset:440
	buffer_load_dword v208, off, s[0:3], 0 offset:444
	buffer_load_dword v209, off, s[0:3], 0 offset:448
	buffer_load_dword v210, off, s[0:3], 0 offset:452
	buffer_load_dword v211, off, s[0:3], 0 offset:456
	buffer_load_dword v212, off, s[0:3], 0 offset:460
	v_cmp_lt_u32_e32 vcc, 26, v0
	s_waitcnt vmcnt(61) lgkmcnt(3)
	v_mul_f32_e32 v135, v119, v3
	s_waitcnt vmcnt(60)
	v_mul_f32_e32 v136, v121, v4
	s_waitcnt vmcnt(59) lgkmcnt(2)
	v_mul_f32_e32 v137, v123, v5
	s_waitcnt vmcnt(58)
	v_mul_f32_e32 v138, v125, v6
	;; [unrolled: 4-line block ×3, first 2 shown]
	s_waitcnt vmcnt(55) lgkmcnt(0)
	v_mul_f32_e32 v141, v131, v9
	s_waitcnt vmcnt(54)
	v_fmac_f32_e32 v135, v120, v10
	s_waitcnt vmcnt(53)
	v_fmac_f32_e32 v136, v122, v11
	v_add_f32_e32 v135, 0, v135
	s_waitcnt vmcnt(52)
	v_fmac_f32_e32 v137, v124, v12
	v_add_f32_e32 v135, v135, v136
	;; [unrolled: 3-line block ×6, first 2 shown]
	v_add_f32_e32 v139, v135, v141
	ds_read_b128 v[135:138], v118 offset:752
	s_waitcnt vmcnt(47)
	v_mul_f32_e32 v140, v133, v17
	s_waitcnt vmcnt(46)
	v_fmac_f32_e32 v140, v134, v18
	v_mul_f32_e32 v3, v120, v3
	v_add_f32_e32 v143, v139, v140
	ds_read_b128 v[139:142], v118 offset:768
	v_fma_f32 v3, v119, v10, -v3
	v_mul_f32_e32 v4, v122, v4
	s_waitcnt vmcnt(45) lgkmcnt(1)
	v_mul_f32_e32 v144, v135, v19
	v_add_f32_e32 v3, 0, v3
	v_fma_f32 v4, v121, v11, -v4
	s_waitcnt vmcnt(44)
	v_fmac_f32_e32 v144, v136, v20
	v_add_f32_e32 v3, v3, v4
	v_mul_f32_e32 v4, v124, v5
	v_add_f32_e32 v143, v143, v144
	s_waitcnt vmcnt(43)
	v_mul_f32_e32 v144, v137, v21
	v_fma_f32 v4, v123, v12, -v4
	s_waitcnt vmcnt(42)
	v_fmac_f32_e32 v144, v138, v22
	v_add_f32_e32 v3, v3, v4
	v_mul_f32_e32 v4, v126, v6
	v_add_f32_e32 v143, v143, v144
	s_waitcnt vmcnt(41) lgkmcnt(0)
	v_mul_f32_e32 v144, v139, v23
	v_fma_f32 v4, v125, v13, -v4
	s_waitcnt vmcnt(40)
	v_fmac_f32_e32 v144, v140, v24
	v_add_f32_e32 v3, v3, v4
	v_mul_f32_e32 v4, v128, v7
	v_add_f32_e32 v147, v143, v144
	ds_read_b128 v[143:146], v118 offset:784
	v_fma_f32 v4, v127, v14, -v4
	v_add_f32_e32 v3, v3, v4
	v_mul_f32_e32 v4, v130, v8
	s_waitcnt vmcnt(39)
	v_mul_f32_e32 v148, v141, v25
	v_fma_f32 v4, v129, v15, -v4
	s_waitcnt vmcnt(38)
	v_fmac_f32_e32 v148, v142, v26
	v_add_f32_e32 v3, v3, v4
	v_mul_f32_e32 v4, v132, v9
	v_add_f32_e32 v151, v147, v148
	ds_read_b128 v[147:150], v118 offset:800
	v_fma_f32 v4, v131, v16, -v4
	s_waitcnt vmcnt(35) lgkmcnt(1)
	v_mul_f32_e32 v152, v143, v29
	v_add_f32_e32 v3, v3, v4
	v_mul_f32_e32 v4, v134, v17
	s_waitcnt vmcnt(34)
	v_fmac_f32_e32 v152, v144, v30
	v_fma_f32 v4, v133, v18, -v4
	v_add_f32_e32 v151, v151, v152
	s_waitcnt vmcnt(32)
	v_mul_f32_e32 v152, v145, v180
	v_add_f32_e32 v3, v3, v4
	v_mul_f32_e32 v4, v136, v19
	v_fmac_f32_e32 v152, v146, v179
	v_fma_f32 v4, v135, v20, -v4
	v_add_f32_e32 v151, v151, v152
	s_waitcnt vmcnt(30) lgkmcnt(0)
	v_mul_f32_e32 v152, v147, v182
	v_add_f32_e32 v3, v3, v4
	v_mul_f32_e32 v4, v138, v21
	v_fmac_f32_e32 v152, v148, v181
	v_fma_f32 v4, v137, v22, -v4
	v_add_f32_e32 v155, v151, v152
	ds_read_b128 v[151:154], v118 offset:816
	v_add_f32_e32 v3, v3, v4
	v_mul_f32_e32 v4, v140, v23
	v_fma_f32 v4, v139, v24, -v4
	s_waitcnt vmcnt(29)
	v_mul_f32_e32 v156, v149, v183
	v_add_f32_e32 v3, v3, v4
	v_mul_f32_e32 v4, v142, v25
	s_waitcnt vmcnt(28)
	v_fmac_f32_e32 v156, v150, v184
	v_fma_f32 v4, v141, v26, -v4
	v_add_f32_e32 v159, v155, v156
	ds_read_b128 v[155:158], v118 offset:832
	v_add_f32_e32 v3, v3, v4
	v_mul_f32_e32 v4, v144, v29
	s_waitcnt vmcnt(26) lgkmcnt(1)
	v_mul_f32_e32 v160, v151, v186
	v_fma_f32 v4, v143, v30, -v4
	v_fmac_f32_e32 v160, v152, v185
	v_add_f32_e32 v3, v3, v4
	v_mul_f32_e32 v4, v146, v180
	v_add_f32_e32 v159, v159, v160
	s_waitcnt vmcnt(24)
	v_mul_f32_e32 v160, v153, v188
	v_fma_f32 v4, v145, v179, -v4
	v_fmac_f32_e32 v160, v154, v187
	v_add_f32_e32 v3, v3, v4
	v_mul_f32_e32 v4, v148, v182
	v_add_f32_e32 v159, v159, v160
	s_waitcnt vmcnt(22) lgkmcnt(0)
	v_mul_f32_e32 v160, v155, v190
	v_fma_f32 v4, v147, v181, -v4
	v_fmac_f32_e32 v160, v156, v189
	v_add_f32_e32 v3, v3, v4
	v_mul_f32_e32 v4, v150, v183
	v_add_f32_e32 v163, v159, v160
	ds_read_b128 v[159:162], v118 offset:848
	v_fma_f32 v4, v149, v184, -v4
	v_add_f32_e32 v3, v3, v4
	v_mul_f32_e32 v4, v152, v186
	s_waitcnt vmcnt(20)
	v_mul_f32_e32 v164, v157, v192
	v_fma_f32 v4, v151, v185, -v4
	v_fmac_f32_e32 v164, v158, v191
	v_add_f32_e32 v3, v3, v4
	v_mul_f32_e32 v4, v154, v188
	v_add_f32_e32 v167, v163, v164
	ds_read_b128 v[163:166], v118 offset:864
	v_fma_f32 v4, v153, v187, -v4
	s_waitcnt vmcnt(18) lgkmcnt(1)
	v_mul_f32_e32 v168, v159, v194
	v_add_f32_e32 v3, v3, v4
	v_mul_f32_e32 v4, v156, v190
	v_fmac_f32_e32 v168, v160, v193
	v_fma_f32 v4, v155, v189, -v4
	v_add_f32_e32 v167, v167, v168
	s_waitcnt vmcnt(16)
	v_mul_f32_e32 v168, v161, v196
	v_add_f32_e32 v3, v3, v4
	v_mul_f32_e32 v4, v158, v192
	v_fmac_f32_e32 v168, v162, v195
	v_fma_f32 v4, v157, v191, -v4
	v_add_f32_e32 v167, v167, v168
	s_waitcnt vmcnt(14) lgkmcnt(0)
	v_mul_f32_e32 v168, v163, v198
	v_add_f32_e32 v3, v3, v4
	v_mul_f32_e32 v4, v160, v194
	v_fmac_f32_e32 v168, v164, v197
	v_fma_f32 v4, v159, v193, -v4
	v_add_f32_e32 v171, v167, v168
	ds_read_b128 v[167:170], v118 offset:880
	v_add_f32_e32 v3, v3, v4
	v_mul_f32_e32 v4, v162, v196
	v_fma_f32 v4, v161, v195, -v4
	v_add_f32_e32 v3, v3, v4
	v_mul_f32_e32 v4, v164, v198
	s_waitcnt vmcnt(12)
	v_mul_f32_e32 v172, v165, v200
	v_fma_f32 v4, v163, v197, -v4
	v_fmac_f32_e32 v172, v166, v199
	v_add_f32_e32 v3, v3, v4
	v_mul_f32_e32 v4, v166, v200
	v_add_f32_e32 v175, v171, v172
	ds_read_b128 v[171:174], v118 offset:896
	s_waitcnt vmcnt(10) lgkmcnt(1)
	v_mul_f32_e32 v176, v167, v202
	v_fma_f32 v4, v165, v199, -v4
	v_fmac_f32_e32 v176, v168, v201
	v_add_f32_e32 v3, v3, v4
	v_mul_f32_e32 v4, v168, v202
	v_add_f32_e32 v175, v175, v176
	s_waitcnt vmcnt(8)
	v_mul_f32_e32 v176, v169, v204
	v_fma_f32 v4, v167, v201, -v4
	v_fmac_f32_e32 v176, v170, v203
	v_add_f32_e32 v3, v3, v4
	v_mul_f32_e32 v4, v170, v204
	v_add_f32_e32 v213, v175, v176
	ds_read_b128 v[175:178], v118 offset:912
	v_fma_f32 v4, v169, v203, -v4
	v_add_f32_e32 v3, v3, v4
	s_waitcnt vmcnt(6) lgkmcnt(1)
	v_mul_f32_e32 v4, v172, v206
	v_mul_f32_e32 v214, v171, v206
	v_fma_f32 v4, v171, v205, -v4
	v_fmac_f32_e32 v214, v172, v205
	v_add_f32_e32 v3, v3, v4
	s_waitcnt vmcnt(4)
	v_mul_f32_e32 v4, v174, v208
	v_add_f32_e32 v118, v213, v214
	v_mul_f32_e32 v213, v173, v208
	v_fma_f32 v4, v173, v207, -v4
	v_fmac_f32_e32 v213, v174, v207
	v_add_f32_e32 v3, v3, v4
	s_waitcnt vmcnt(2) lgkmcnt(0)
	v_mul_f32_e32 v4, v176, v210
	v_add_f32_e32 v118, v118, v213
	v_mul_f32_e32 v213, v175, v210
	v_fma_f32 v4, v175, v209, -v4
	v_fmac_f32_e32 v213, v176, v209
	v_add_f32_e32 v3, v3, v4
	s_waitcnt vmcnt(0)
	v_mul_f32_e32 v4, v178, v212
	v_add_f32_e32 v118, v118, v213
	v_mul_f32_e32 v213, v177, v212
	v_fma_f32 v4, v177, v211, -v4
	v_fmac_f32_e32 v213, v178, v211
	v_add_f32_e32 v3, v3, v4
	v_add_f32_e32 v118, v118, v213
	v_sub_f32_e32 v3, v27, v3
	v_sub_f32_e32 v4, v28, v118
	buffer_store_dword v3, off, s[0:3], 0 offset:216
	buffer_store_dword v4, off, s[0:3], 0 offset:220
	s_and_saveexec_b64 s[4:5], vcc
	s_cbranch_execz .LBB121_309
; %bb.308:
	buffer_load_dword v3, off, s[0:3], 0 offset:208
	buffer_load_dword v4, off, s[0:3], 0 offset:212
	v_mov_b32_e32 v5, 0
	buffer_store_dword v5, off, s[0:3], 0 offset:208
	buffer_store_dword v5, off, s[0:3], 0 offset:212
	s_waitcnt vmcnt(2)
	ds_write_b64 v117, v[3:4]
.LBB121_309:
	s_or_b64 exec, exec, s[4:5]
	s_waitcnt lgkmcnt(0)
	; wave barrier
	buffer_load_dword v5, off, s[0:3], 0 offset:220
	buffer_load_dword v6, off, s[0:3], 0 offset:228
	buffer_load_dword v7, off, s[0:3], 0 offset:236
	buffer_load_dword v8, off, s[0:3], 0 offset:244
	buffer_load_dword v9, off, s[0:3], 0 offset:252
	buffer_load_dword v10, off, s[0:3], 0 offset:260
	buffer_load_dword v11, off, s[0:3], 0 offset:268
	buffer_load_dword v12, off, s[0:3], 0 offset:276
	buffer_load_dword v13, off, s[0:3], 0 offset:216
	buffer_load_dword v14, off, s[0:3], 0 offset:224
	buffer_load_dword v15, off, s[0:3], 0 offset:232
	buffer_load_dword v16, off, s[0:3], 0 offset:240
	buffer_load_dword v17, off, s[0:3], 0 offset:248
	buffer_load_dword v18, off, s[0:3], 0 offset:256
	buffer_load_dword v19, off, s[0:3], 0 offset:264
	buffer_load_dword v20, off, s[0:3], 0 offset:272
	buffer_load_dword v21, off, s[0:3], 0 offset:284
	buffer_load_dword v22, off, s[0:3], 0 offset:280
	buffer_load_dword v23, off, s[0:3], 0 offset:292
	buffer_load_dword v24, off, s[0:3], 0 offset:288
	buffer_load_dword v25, off, s[0:3], 0 offset:296
	buffer_load_dword v26, off, s[0:3], 0 offset:300
	buffer_load_dword v27, off, s[0:3], 0 offset:208
	buffer_load_dword v28, off, s[0:3], 0 offset:212
	v_mov_b32_e32 v118, 0
	buffer_load_dword v29, off, s[0:3], 0 offset:308
	buffer_load_dword v30, off, s[0:3], 0 offset:304
	;; [unrolled: 1-line block ×32, first 2 shown]
	ds_read2_b64 v[119:122], v118 offset0:85 offset1:86
	buffer_load_dword v209, off, s[0:3], 0 offset:432
	buffer_load_dword v210, off, s[0:3], 0 offset:436
	;; [unrolled: 1-line block ×4, first 2 shown]
	ds_read2_b64 v[123:126], v118 offset0:87 offset1:88
	ds_read2_b64 v[127:130], v118 offset0:89 offset1:90
	;; [unrolled: 1-line block ×3, first 2 shown]
	v_cmp_lt_u32_e32 vcc, 25, v0
	s_waitcnt vmcnt(59) lgkmcnt(3)
	v_mul_f32_e32 v3, v119, v5
	s_waitcnt vmcnt(58)
	v_mul_f32_e32 v4, v121, v6
	s_waitcnt vmcnt(57) lgkmcnt(2)
	v_mul_f32_e32 v135, v123, v7
	s_waitcnt vmcnt(56)
	v_mul_f32_e32 v136, v125, v8
	;; [unrolled: 4-line block ×3, first 2 shown]
	v_mul_f32_e32 v5, v120, v5
	v_mul_f32_e32 v6, v122, v6
	s_waitcnt vmcnt(51)
	v_fmac_f32_e32 v3, v120, v13
	s_waitcnt vmcnt(50)
	v_fmac_f32_e32 v4, v122, v14
	v_add_f32_e32 v3, 0, v3
	s_waitcnt vmcnt(49)
	v_fmac_f32_e32 v135, v124, v15
	v_add_f32_e32 v3, v3, v4
	;; [unrolled: 3-line block ×5, first 2 shown]
	v_add_f32_e32 v3, v3, v138
	ds_read2_b64 v[135:138], v118 offset0:93 offset1:94
	buffer_load_dword v213, off, s[0:3], 0 offset:452
	buffer_load_dword v214, off, s[0:3], 0 offset:448
	;; [unrolled: 1-line block ×4, first 2 shown]
	v_fma_f32 v5, v119, v13, -v5
	v_add_f32_e32 v5, 0, v5
	v_fma_f32 v6, v121, v14, -v6
	v_add_f32_e32 v5, v5, v6
	v_mul_f32_e32 v6, v124, v7
	v_fma_f32 v6, v123, v15, -v6
	v_add_f32_e32 v5, v5, v6
	v_mul_f32_e32 v6, v126, v8
	;; [unrolled: 3-line block ×3, first 2 shown]
	s_waitcnt lgkmcnt(1)
	v_mul_f32_e32 v139, v131, v11
	v_fma_f32 v6, v127, v17, -v6
	v_mul_f32_e32 v140, v133, v12
	s_waitcnt vmcnt(49)
	v_fmac_f32_e32 v139, v132, v19
	v_add_f32_e32 v5, v5, v6
	v_mul_f32_e32 v6, v130, v10
	v_add_f32_e32 v3, v3, v139
	s_waitcnt vmcnt(48)
	v_fmac_f32_e32 v140, v134, v20
	v_fma_f32 v6, v129, v18, -v6
	v_add_f32_e32 v3, v3, v140
	ds_read2_b64 v[139:142], v118 offset0:95 offset1:96
	ds_read2_b64 v[143:146], v118 offset0:97 offset1:98
	v_add_f32_e32 v5, v5, v6
	v_mul_f32_e32 v6, v132, v11
	s_waitcnt vmcnt(47) lgkmcnt(2)
	v_mul_f32_e32 v4, v135, v21
	v_fma_f32 v6, v131, v19, -v6
	s_waitcnt vmcnt(46)
	v_fmac_f32_e32 v4, v136, v22
	v_add_f32_e32 v5, v5, v6
	v_mul_f32_e32 v6, v134, v12
	v_add_f32_e32 v3, v3, v4
	s_waitcnt vmcnt(45)
	v_mul_f32_e32 v4, v137, v23
	v_fma_f32 v6, v133, v20, -v6
	s_waitcnt vmcnt(44)
	v_fmac_f32_e32 v4, v138, v24
	v_add_f32_e32 v5, v5, v6
	v_mul_f32_e32 v6, v136, v21
	v_add_f32_e32 v3, v3, v4
	s_waitcnt vmcnt(42) lgkmcnt(1)
	v_mul_f32_e32 v4, v139, v26
	v_fma_f32 v6, v135, v22, -v6
	v_fmac_f32_e32 v4, v140, v25
	v_add_f32_e32 v5, v5, v6
	v_mul_f32_e32 v6, v138, v23
	v_add_f32_e32 v3, v3, v4
	s_waitcnt vmcnt(39)
	v_mul_f32_e32 v4, v141, v29
	v_fma_f32 v6, v137, v24, -v6
	s_waitcnt vmcnt(38)
	v_fmac_f32_e32 v4, v142, v30
	ds_read2_b64 v[147:150], v118 offset0:99 offset1:100
	ds_read2_b64 v[151:154], v118 offset0:101 offset1:102
	v_add_f32_e32 v5, v5, v6
	v_mul_f32_e32 v6, v140, v26
	v_add_f32_e32 v3, v3, v4
	s_waitcnt vmcnt(36) lgkmcnt(2)
	v_mul_f32_e32 v4, v143, v180
	v_fma_f32 v6, v139, v25, -v6
	v_fmac_f32_e32 v4, v144, v179
	v_add_f32_e32 v5, v5, v6
	v_mul_f32_e32 v6, v142, v29
	v_add_f32_e32 v3, v3, v4
	s_waitcnt vmcnt(34)
	v_mul_f32_e32 v4, v145, v182
	v_fma_f32 v6, v141, v30, -v6
	v_fmac_f32_e32 v4, v146, v181
	v_add_f32_e32 v5, v5, v6
	v_mul_f32_e32 v6, v144, v180
	v_add_f32_e32 v3, v3, v4
	s_waitcnt vmcnt(32) lgkmcnt(1)
	v_mul_f32_e32 v4, v147, v184
	v_fma_f32 v6, v143, v179, -v6
	v_fmac_f32_e32 v4, v148, v183
	v_add_f32_e32 v5, v5, v6
	v_mul_f32_e32 v6, v146, v182
	v_add_f32_e32 v3, v3, v4
	s_waitcnt vmcnt(30)
	v_mul_f32_e32 v4, v149, v186
	v_fma_f32 v6, v145, v181, -v6
	v_fmac_f32_e32 v4, v150, v185
	ds_read2_b64 v[155:158], v118 offset0:103 offset1:104
	ds_read2_b64 v[159:162], v118 offset0:105 offset1:106
	v_add_f32_e32 v5, v5, v6
	v_mul_f32_e32 v6, v148, v184
	v_add_f32_e32 v3, v3, v4
	s_waitcnt vmcnt(28) lgkmcnt(2)
	v_mul_f32_e32 v4, v151, v188
	v_fma_f32 v6, v147, v183, -v6
	v_fmac_f32_e32 v4, v152, v187
	v_add_f32_e32 v5, v5, v6
	v_mul_f32_e32 v6, v150, v186
	v_add_f32_e32 v3, v3, v4
	s_waitcnt vmcnt(26)
	v_mul_f32_e32 v4, v153, v190
	v_fma_f32 v6, v149, v185, -v6
	v_fmac_f32_e32 v4, v154, v189
	v_add_f32_e32 v5, v5, v6
	v_mul_f32_e32 v6, v152, v188
	v_add_f32_e32 v3, v3, v4
	s_waitcnt vmcnt(24) lgkmcnt(1)
	v_mul_f32_e32 v4, v155, v192
	v_fma_f32 v6, v151, v187, -v6
	v_fmac_f32_e32 v4, v156, v191
	v_add_f32_e32 v5, v5, v6
	v_mul_f32_e32 v6, v154, v190
	v_add_f32_e32 v3, v3, v4
	s_waitcnt vmcnt(22)
	v_mul_f32_e32 v4, v157, v194
	v_fma_f32 v6, v153, v189, -v6
	;; [unrolled: 30-line block ×4, first 2 shown]
	v_fmac_f32_e32 v4, v174, v209
	v_add_f32_e32 v5, v5, v6
	v_mul_f32_e32 v6, v172, v208
	v_add_f32_e32 v217, v3, v4
	ds_read_b64 v[3:4], v118 offset:920
	v_fma_f32 v6, v171, v207, -v6
	s_waitcnt vmcnt(4) lgkmcnt(1)
	v_mul_f32_e32 v218, v175, v212
	v_add_f32_e32 v5, v5, v6
	v_mul_f32_e32 v6, v174, v210
	v_fmac_f32_e32 v218, v176, v211
	v_fma_f32 v6, v173, v209, -v6
	v_add_f32_e32 v217, v217, v218
	s_waitcnt vmcnt(3)
	v_mul_f32_e32 v218, v177, v213
	v_add_f32_e32 v5, v5, v6
	v_mul_f32_e32 v6, v176, v212
	s_waitcnt vmcnt(2)
	v_fmac_f32_e32 v218, v178, v214
	v_fma_f32 v6, v175, v211, -v6
	v_add_f32_e32 v217, v217, v218
	s_waitcnt vmcnt(0) lgkmcnt(0)
	v_mul_f32_e32 v218, v3, v216
	v_add_f32_e32 v5, v5, v6
	v_mul_f32_e32 v6, v178, v213
	v_fmac_f32_e32 v218, v4, v215
	v_fma_f32 v6, v177, v214, -v6
	v_mul_f32_e32 v4, v4, v216
	v_add_f32_e32 v5, v5, v6
	v_fma_f32 v3, v3, v215, -v4
	v_add_f32_e32 v3, v5, v3
	v_add_f32_e32 v217, v217, v218
	v_sub_f32_e32 v3, v27, v3
	v_sub_f32_e32 v4, v28, v217
	buffer_store_dword v3, off, s[0:3], 0 offset:208
	buffer_store_dword v4, off, s[0:3], 0 offset:212
	s_and_saveexec_b64 s[4:5], vcc
	s_cbranch_execz .LBB121_311
; %bb.310:
	buffer_load_dword v3, off, s[0:3], 0 offset:200
	buffer_load_dword v4, off, s[0:3], 0 offset:204
	s_waitcnt vmcnt(0)
	ds_write_b64 v117, v[3:4]
	buffer_store_dword v118, off, s[0:3], 0 offset:200
	buffer_store_dword v118, off, s[0:3], 0 offset:204
.LBB121_311:
	s_or_b64 exec, exec, s[4:5]
	s_waitcnt lgkmcnt(0)
	; wave barrier
	buffer_load_dword v3, off, s[0:3], 0 offset:212
	buffer_load_dword v4, off, s[0:3], 0 offset:220
	;; [unrolled: 1-line block ×26, first 2 shown]
	ds_read_b128 v[119:122], v118 offset:672
	ds_read_b128 v[123:126], v118 offset:688
	ds_read_b128 v[127:130], v118 offset:704
	ds_read_b128 v[131:134], v118 offset:720
	buffer_load_dword v29, off, s[0:3], 0 offset:308
	buffer_load_dword v30, off, s[0:3], 0 offset:304
	;; [unrolled: 1-line block ×34, first 2 shown]
	v_cmp_lt_u32_e32 vcc, 24, v0
	s_waitcnt vmcnt(59) lgkmcnt(3)
	v_mul_f32_e32 v135, v119, v3
	s_waitcnt vmcnt(58)
	v_mul_f32_e32 v136, v121, v4
	s_waitcnt vmcnt(57) lgkmcnt(2)
	v_mul_f32_e32 v137, v123, v5
	s_waitcnt vmcnt(56)
	v_mul_f32_e32 v138, v125, v6
	;; [unrolled: 4-line block ×4, first 2 shown]
	s_waitcnt vmcnt(51)
	v_fmac_f32_e32 v135, v120, v11
	s_waitcnt vmcnt(50)
	v_fmac_f32_e32 v136, v122, v12
	v_add_f32_e32 v135, 0, v135
	s_waitcnt vmcnt(49)
	v_fmac_f32_e32 v137, v124, v13
	v_add_f32_e32 v135, v135, v136
	;; [unrolled: 3-line block ×7, first 2 shown]
	v_add_f32_e32 v143, v135, v142
	ds_read_b128 v[135:138], v118 offset:736
	buffer_load_dword v215, off, s[0:3], 0 offset:444
	buffer_load_dword v216, off, s[0:3], 0 offset:440
	;; [unrolled: 1-line block ×4, first 2 shown]
	ds_read_b128 v[139:142], v118 offset:752
	buffer_load_dword v219, off, s[0:3], 0 offset:456
	buffer_load_dword v220, off, s[0:3], 0 offset:460
	v_mul_f32_e32 v3, v120, v3
	s_waitcnt vmcnt(49) lgkmcnt(1)
	v_mul_f32_e32 v144, v135, v19
	s_waitcnt vmcnt(48)
	v_fmac_f32_e32 v144, v136, v20
	v_fma_f32 v3, v119, v11, -v3
	v_mul_f32_e32 v4, v122, v4
	v_add_f32_e32 v143, v143, v144
	s_waitcnt vmcnt(46)
	v_mul_f32_e32 v144, v137, v22
	v_add_f32_e32 v3, 0, v3
	v_fma_f32 v4, v121, v12, -v4
	v_fmac_f32_e32 v144, v138, v21
	v_add_f32_e32 v3, v3, v4
	v_mul_f32_e32 v4, v124, v5
	v_add_f32_e32 v143, v143, v144
	s_waitcnt vmcnt(43) lgkmcnt(0)
	v_mul_f32_e32 v144, v139, v25
	v_fma_f32 v4, v123, v13, -v4
	s_waitcnt vmcnt(42)
	v_fmac_f32_e32 v144, v140, v26
	v_add_f32_e32 v3, v3, v4
	v_mul_f32_e32 v4, v126, v6
	v_add_f32_e32 v147, v143, v144
	ds_read_b128 v[143:146], v118 offset:768
	v_fma_f32 v4, v125, v14, -v4
	v_add_f32_e32 v3, v3, v4
	v_mul_f32_e32 v4, v128, v7
	s_waitcnt vmcnt(40)
	v_mul_f32_e32 v148, v141, v28
	v_fma_f32 v4, v127, v15, -v4
	v_fmac_f32_e32 v148, v142, v27
	v_add_f32_e32 v3, v3, v4
	v_mul_f32_e32 v4, v130, v8
	v_add_f32_e32 v151, v147, v148
	ds_read_b128 v[147:150], v118 offset:784
	v_fma_f32 v4, v129, v16, -v4
	s_waitcnt vmcnt(39) lgkmcnt(1)
	v_mul_f32_e32 v152, v143, v29
	v_add_f32_e32 v3, v3, v4
	v_mul_f32_e32 v4, v132, v9
	s_waitcnt vmcnt(38)
	v_fmac_f32_e32 v152, v144, v30
	v_fma_f32 v4, v131, v17, -v4
	v_add_f32_e32 v151, v151, v152
	s_waitcnt vmcnt(36)
	v_mul_f32_e32 v152, v145, v184
	v_add_f32_e32 v3, v3, v4
	v_mul_f32_e32 v4, v134, v10
	v_fmac_f32_e32 v152, v146, v183
	v_fma_f32 v4, v133, v18, -v4
	v_add_f32_e32 v151, v151, v152
	s_waitcnt vmcnt(34) lgkmcnt(0)
	v_mul_f32_e32 v152, v147, v186
	v_add_f32_e32 v3, v3, v4
	v_mul_f32_e32 v4, v136, v19
	v_fmac_f32_e32 v152, v148, v185
	v_fma_f32 v4, v135, v20, -v4
	v_add_f32_e32 v155, v151, v152
	ds_read_b128 v[151:154], v118 offset:800
	v_add_f32_e32 v3, v3, v4
	v_mul_f32_e32 v4, v138, v22
	v_fma_f32 v4, v137, v21, -v4
	s_waitcnt vmcnt(32)
	v_mul_f32_e32 v156, v149, v188
	v_add_f32_e32 v3, v3, v4
	v_mul_f32_e32 v4, v140, v25
	v_fmac_f32_e32 v156, v150, v187
	v_fma_f32 v4, v139, v26, -v4
	v_add_f32_e32 v159, v155, v156
	ds_read_b128 v[155:158], v118 offset:816
	v_add_f32_e32 v3, v3, v4
	v_mul_f32_e32 v4, v142, v28
	s_waitcnt vmcnt(30) lgkmcnt(1)
	v_mul_f32_e32 v160, v151, v190
	v_fma_f32 v4, v141, v27, -v4
	v_fmac_f32_e32 v160, v152, v189
	v_add_f32_e32 v3, v3, v4
	v_mul_f32_e32 v4, v144, v29
	v_add_f32_e32 v159, v159, v160
	s_waitcnt vmcnt(28)
	v_mul_f32_e32 v160, v153, v192
	v_fma_f32 v4, v143, v30, -v4
	v_fmac_f32_e32 v160, v154, v191
	v_add_f32_e32 v3, v3, v4
	v_mul_f32_e32 v4, v146, v184
	v_add_f32_e32 v159, v159, v160
	s_waitcnt vmcnt(26) lgkmcnt(0)
	v_mul_f32_e32 v160, v155, v194
	v_fma_f32 v4, v145, v183, -v4
	v_fmac_f32_e32 v160, v156, v193
	v_add_f32_e32 v3, v3, v4
	v_mul_f32_e32 v4, v148, v186
	v_add_f32_e32 v163, v159, v160
	ds_read_b128 v[159:162], v118 offset:832
	v_fma_f32 v4, v147, v185, -v4
	v_add_f32_e32 v3, v3, v4
	v_mul_f32_e32 v4, v150, v188
	s_waitcnt vmcnt(24)
	v_mul_f32_e32 v164, v157, v196
	v_fma_f32 v4, v149, v187, -v4
	v_fmac_f32_e32 v164, v158, v195
	v_add_f32_e32 v3, v3, v4
	v_mul_f32_e32 v4, v152, v190
	v_add_f32_e32 v167, v163, v164
	ds_read_b128 v[163:166], v118 offset:848
	v_fma_f32 v4, v151, v189, -v4
	s_waitcnt vmcnt(22) lgkmcnt(1)
	v_mul_f32_e32 v168, v159, v198
	v_add_f32_e32 v3, v3, v4
	v_mul_f32_e32 v4, v154, v192
	v_fmac_f32_e32 v168, v160, v197
	v_fma_f32 v4, v153, v191, -v4
	v_add_f32_e32 v167, v167, v168
	s_waitcnt vmcnt(20)
	v_mul_f32_e32 v168, v161, v200
	v_add_f32_e32 v3, v3, v4
	v_mul_f32_e32 v4, v156, v194
	v_fmac_f32_e32 v168, v162, v199
	v_fma_f32 v4, v155, v193, -v4
	v_add_f32_e32 v167, v167, v168
	s_waitcnt vmcnt(18) lgkmcnt(0)
	v_mul_f32_e32 v168, v163, v202
	v_add_f32_e32 v3, v3, v4
	v_mul_f32_e32 v4, v158, v196
	v_fmac_f32_e32 v168, v164, v201
	v_fma_f32 v4, v157, v195, -v4
	v_add_f32_e32 v171, v167, v168
	ds_read_b128 v[167:170], v118 offset:864
	v_add_f32_e32 v3, v3, v4
	v_mul_f32_e32 v4, v160, v198
	v_fma_f32 v4, v159, v197, -v4
	s_waitcnt vmcnt(16)
	v_mul_f32_e32 v172, v165, v204
	v_add_f32_e32 v3, v3, v4
	v_mul_f32_e32 v4, v162, v200
	v_fmac_f32_e32 v172, v166, v203
	v_fma_f32 v4, v161, v199, -v4
	v_add_f32_e32 v175, v171, v172
	ds_read_b128 v[171:174], v118 offset:880
	v_add_f32_e32 v3, v3, v4
	v_mul_f32_e32 v4, v164, v202
	s_waitcnt vmcnt(14) lgkmcnt(1)
	v_mul_f32_e32 v176, v167, v206
	v_fma_f32 v4, v163, v201, -v4
	v_fmac_f32_e32 v176, v168, v205
	v_add_f32_e32 v3, v3, v4
	v_mul_f32_e32 v4, v166, v204
	v_add_f32_e32 v175, v175, v176
	s_waitcnt vmcnt(12)
	v_mul_f32_e32 v176, v169, v208
	v_fma_f32 v4, v165, v203, -v4
	v_fmac_f32_e32 v176, v170, v207
	v_add_f32_e32 v3, v3, v4
	v_mul_f32_e32 v4, v168, v206
	v_add_f32_e32 v175, v175, v176
	s_waitcnt vmcnt(10) lgkmcnt(0)
	v_mul_f32_e32 v176, v171, v210
	v_fma_f32 v4, v167, v205, -v4
	v_fmac_f32_e32 v176, v172, v209
	v_add_f32_e32 v3, v3, v4
	v_mul_f32_e32 v4, v170, v208
	v_add_f32_e32 v179, v175, v176
	ds_read_b128 v[175:178], v118 offset:896
	v_fma_f32 v4, v169, v207, -v4
	v_add_f32_e32 v3, v3, v4
	v_mul_f32_e32 v4, v172, v210
	s_waitcnt vmcnt(8)
	v_mul_f32_e32 v180, v173, v212
	v_fma_f32 v4, v171, v209, -v4
	v_fmac_f32_e32 v180, v174, v211
	v_add_f32_e32 v3, v3, v4
	v_mul_f32_e32 v4, v174, v212
	v_add_f32_e32 v221, v179, v180
	ds_read_b128 v[179:182], v118 offset:912
	v_fma_f32 v4, v173, v211, -v4
	v_add_f32_e32 v3, v3, v4
	s_waitcnt vmcnt(6) lgkmcnt(1)
	v_mul_f32_e32 v4, v176, v214
	v_mul_f32_e32 v118, v175, v214
	v_fma_f32 v4, v175, v213, -v4
	v_fmac_f32_e32 v118, v176, v213
	v_add_f32_e32 v3, v3, v4
	s_waitcnt vmcnt(5)
	v_mul_f32_e32 v4, v178, v215
	v_add_f32_e32 v118, v221, v118
	v_mul_f32_e32 v221, v177, v215
	s_waitcnt vmcnt(4)
	v_fma_f32 v4, v177, v216, -v4
	v_fmac_f32_e32 v221, v178, v216
	v_add_f32_e32 v3, v3, v4
	s_waitcnt vmcnt(2) lgkmcnt(0)
	v_mul_f32_e32 v4, v180, v218
	v_add_f32_e32 v118, v118, v221
	v_mul_f32_e32 v221, v179, v218
	v_fma_f32 v4, v179, v217, -v4
	v_fmac_f32_e32 v221, v180, v217
	v_add_f32_e32 v3, v3, v4
	s_waitcnt vmcnt(0)
	v_mul_f32_e32 v4, v182, v220
	v_add_f32_e32 v118, v118, v221
	v_mul_f32_e32 v221, v181, v220
	v_fma_f32 v4, v181, v219, -v4
	v_fmac_f32_e32 v221, v182, v219
	v_add_f32_e32 v3, v3, v4
	v_add_f32_e32 v118, v118, v221
	v_sub_f32_e32 v3, v23, v3
	v_sub_f32_e32 v4, v24, v118
	buffer_store_dword v3, off, s[0:3], 0 offset:200
	buffer_store_dword v4, off, s[0:3], 0 offset:204
	s_and_saveexec_b64 s[4:5], vcc
	s_cbranch_execz .LBB121_313
; %bb.312:
	buffer_load_dword v3, off, s[0:3], 0 offset:192
	buffer_load_dword v4, off, s[0:3], 0 offset:196
	v_mov_b32_e32 v5, 0
	buffer_store_dword v5, off, s[0:3], 0 offset:192
	buffer_store_dword v5, off, s[0:3], 0 offset:196
	s_waitcnt vmcnt(2)
	ds_write_b64 v117, v[3:4]
.LBB121_313:
	s_or_b64 exec, exec, s[4:5]
	s_waitcnt lgkmcnt(0)
	; wave barrier
	buffer_load_dword v5, off, s[0:3], 0 offset:204
	buffer_load_dword v6, off, s[0:3], 0 offset:212
	;; [unrolled: 1-line block ×21, first 2 shown]
	v_mov_b32_e32 v118, 0
	buffer_load_dword v26, off, s[0:3], 0 offset:272
	buffer_load_dword v27, off, s[0:3], 0 offset:280
	;; [unrolled: 1-line block ×37, first 2 shown]
	ds_read2_b64 v[119:122], v118 offset0:83 offset1:84
	ds_read2_b64 v[123:126], v118 offset0:85 offset1:86
	;; [unrolled: 1-line block ×5, first 2 shown]
	buffer_load_dword v215, off, s[0:3], 0 offset:424
	buffer_load_dword v216, off, s[0:3], 0 offset:428
	v_cmp_lt_u32_e32 vcc, 23, v0
	s_waitcnt vmcnt(59) lgkmcnt(4)
	v_mul_f32_e32 v3, v119, v5
	s_waitcnt vmcnt(58)
	v_mul_f32_e32 v4, v121, v6
	s_waitcnt vmcnt(57) lgkmcnt(3)
	v_mul_f32_e32 v139, v123, v7
	s_waitcnt vmcnt(56)
	v_mul_f32_e32 v140, v125, v8
	;; [unrolled: 4-line block ×3, first 2 shown]
	v_mul_f32_e32 v5, v120, v5
	v_mul_f32_e32 v6, v122, v6
	s_waitcnt vmcnt(51)
	v_fmac_f32_e32 v3, v120, v13
	s_waitcnt vmcnt(50)
	v_fmac_f32_e32 v4, v122, v14
	v_add_f32_e32 v3, 0, v3
	s_waitcnt vmcnt(49)
	v_fmac_f32_e32 v139, v124, v15
	v_add_f32_e32 v3, v3, v4
	;; [unrolled: 3-line block ×5, first 2 shown]
	v_add_f32_e32 v3, v3, v142
	ds_read2_b64 v[139:142], v118 offset0:93 offset1:94
	buffer_load_dword v217, off, s[0:3], 0 offset:436
	buffer_load_dword v218, off, s[0:3], 0 offset:432
	;; [unrolled: 1-line block ×8, first 2 shown]
	v_fma_f32 v5, v119, v13, -v5
	v_add_f32_e32 v5, 0, v5
	v_fma_f32 v6, v121, v14, -v6
	v_add_f32_e32 v5, v5, v6
	v_mul_f32_e32 v6, v124, v7
	v_fma_f32 v6, v123, v15, -v6
	v_add_f32_e32 v5, v5, v6
	v_mul_f32_e32 v6, v126, v8
	;; [unrolled: 3-line block ×4, first 2 shown]
	s_waitcnt lgkmcnt(2)
	v_mul_f32_e32 v143, v131, v11
	v_fma_f32 v6, v129, v18, -v6
	v_mul_f32_e32 v144, v133, v12
	s_waitcnt vmcnt(53)
	v_fmac_f32_e32 v143, v132, v19
	v_add_f32_e32 v5, v5, v6
	v_mul_f32_e32 v6, v132, v11
	s_waitcnt vmcnt(52)
	v_fmac_f32_e32 v144, v134, v20
	v_add_f32_e32 v3, v3, v143
	s_waitcnt vmcnt(51) lgkmcnt(1)
	v_mul_f32_e32 v4, v135, v21
	v_fma_f32 v6, v131, v19, -v6
	v_add_f32_e32 v3, v3, v144
	s_waitcnt vmcnt(50)
	v_fmac_f32_e32 v4, v136, v22
	v_add_f32_e32 v5, v5, v6
	v_mul_f32_e32 v6, v134, v12
	v_add_f32_e32 v3, v3, v4
	s_waitcnt vmcnt(49)
	v_mul_f32_e32 v4, v137, v23
	v_fma_f32 v6, v133, v20, -v6
	s_waitcnt vmcnt(46)
	v_fmac_f32_e32 v4, v138, v26
	ds_read2_b64 v[143:146], v118 offset0:95 offset1:96
	ds_read2_b64 v[147:150], v118 offset0:97 offset1:98
	v_add_f32_e32 v5, v5, v6
	v_mul_f32_e32 v6, v136, v21
	v_add_f32_e32 v3, v3, v4
	s_waitcnt vmcnt(44) lgkmcnt(2)
	v_mul_f32_e32 v4, v139, v28
	v_fma_f32 v6, v135, v22, -v6
	v_fmac_f32_e32 v4, v140, v27
	v_add_f32_e32 v5, v5, v6
	v_mul_f32_e32 v6, v138, v23
	v_add_f32_e32 v3, v3, v4
	s_waitcnt vmcnt(42)
	v_mul_f32_e32 v4, v141, v30
	v_fma_f32 v6, v137, v26, -v6
	v_fmac_f32_e32 v4, v142, v29
	v_add_f32_e32 v5, v5, v6
	v_mul_f32_e32 v6, v140, v28
	v_add_f32_e32 v3, v3, v4
	s_waitcnt vmcnt(40) lgkmcnt(1)
	v_mul_f32_e32 v4, v143, v184
	v_fma_f32 v6, v139, v27, -v6
	v_fmac_f32_e32 v4, v144, v183
	v_add_f32_e32 v5, v5, v6
	v_mul_f32_e32 v6, v142, v30
	v_add_f32_e32 v3, v3, v4
	s_waitcnt vmcnt(38)
	v_mul_f32_e32 v4, v145, v186
	v_fma_f32 v6, v141, v29, -v6
	v_fmac_f32_e32 v4, v146, v185
	ds_read2_b64 v[151:154], v118 offset0:99 offset1:100
	ds_read2_b64 v[155:158], v118 offset0:101 offset1:102
	v_add_f32_e32 v5, v5, v6
	v_mul_f32_e32 v6, v144, v184
	v_add_f32_e32 v3, v3, v4
	s_waitcnt vmcnt(36) lgkmcnt(2)
	v_mul_f32_e32 v4, v147, v188
	v_fma_f32 v6, v143, v183, -v6
	v_fmac_f32_e32 v4, v148, v187
	v_add_f32_e32 v5, v5, v6
	v_mul_f32_e32 v6, v146, v186
	v_add_f32_e32 v3, v3, v4
	s_waitcnt vmcnt(34)
	v_mul_f32_e32 v4, v149, v190
	v_fma_f32 v6, v145, v185, -v6
	v_fmac_f32_e32 v4, v150, v189
	v_add_f32_e32 v5, v5, v6
	v_mul_f32_e32 v6, v148, v188
	v_add_f32_e32 v3, v3, v4
	s_waitcnt vmcnt(32) lgkmcnt(1)
	v_mul_f32_e32 v4, v151, v192
	v_fma_f32 v6, v147, v187, -v6
	v_fmac_f32_e32 v4, v152, v191
	v_add_f32_e32 v5, v5, v6
	v_mul_f32_e32 v6, v150, v190
	v_add_f32_e32 v3, v3, v4
	s_waitcnt vmcnt(30)
	v_mul_f32_e32 v4, v153, v194
	v_fma_f32 v6, v149, v189, -v6
	;; [unrolled: 30-line block ×5, first 2 shown]
	s_waitcnt vmcnt(6)
	v_fmac_f32_e32 v4, v178, v218
	v_add_f32_e32 v5, v5, v6
	v_mul_f32_e32 v6, v176, v216
	v_add_f32_e32 v225, v3, v4
	ds_read_b64 v[3:4], v118 offset:920
	v_fma_f32 v6, v175, v215, -v6
	s_waitcnt vmcnt(4) lgkmcnt(1)
	v_mul_f32_e32 v226, v179, v220
	v_add_f32_e32 v5, v5, v6
	v_mul_f32_e32 v6, v178, v217
	v_fmac_f32_e32 v226, v180, v219
	v_fma_f32 v6, v177, v218, -v6
	v_add_f32_e32 v225, v225, v226
	s_waitcnt vmcnt(3)
	v_mul_f32_e32 v226, v181, v221
	v_add_f32_e32 v5, v5, v6
	v_mul_f32_e32 v6, v180, v220
	s_waitcnt vmcnt(2)
	v_fmac_f32_e32 v226, v182, v222
	v_fma_f32 v6, v179, v219, -v6
	v_add_f32_e32 v225, v225, v226
	s_waitcnt vmcnt(0) lgkmcnt(0)
	v_mul_f32_e32 v226, v3, v224
	v_add_f32_e32 v5, v5, v6
	v_mul_f32_e32 v6, v182, v221
	v_fmac_f32_e32 v226, v4, v223
	v_fma_f32 v6, v181, v222, -v6
	v_mul_f32_e32 v4, v4, v224
	v_add_f32_e32 v5, v5, v6
	v_fma_f32 v3, v3, v223, -v4
	v_add_f32_e32 v3, v5, v3
	v_add_f32_e32 v225, v225, v226
	v_sub_f32_e32 v3, v24, v3
	v_sub_f32_e32 v4, v25, v225
	buffer_store_dword v3, off, s[0:3], 0 offset:192
	buffer_store_dword v4, off, s[0:3], 0 offset:196
	s_and_saveexec_b64 s[4:5], vcc
	s_cbranch_execz .LBB121_315
; %bb.314:
	buffer_load_dword v3, off, s[0:3], 0 offset:184
	buffer_load_dword v4, off, s[0:3], 0 offset:188
	s_waitcnt vmcnt(0)
	ds_write_b64 v117, v[3:4]
	buffer_store_dword v118, off, s[0:3], 0 offset:184
	buffer_store_dword v118, off, s[0:3], 0 offset:188
.LBB121_315:
	s_or_b64 exec, exec, s[4:5]
	s_waitcnt lgkmcnt(0)
	; wave barrier
	buffer_load_dword v3, off, s[0:3], 0 offset:196
	buffer_load_dword v4, off, s[0:3], 0 offset:204
	;; [unrolled: 1-line block ×32, first 2 shown]
	ds_read_b128 v[119:122], v118 offset:656
	ds_read_b128 v[123:126], v118 offset:672
	;; [unrolled: 1-line block ×6, first 2 shown]
	buffer_load_dword v191, off, s[0:3], 0 offset:312
	buffer_load_dword v192, off, s[0:3], 0 offset:316
	;; [unrolled: 1-line block ×38, first 2 shown]
	v_cmp_lt_u32_e32 vcc, 22, v0
	s_waitcnt vmcnt(62) lgkmcnt(5)
	v_mul_f32_e32 v143, v119, v3
	v_mul_f32_e32 v144, v121, v4
	s_waitcnt lgkmcnt(4)
	v_mul_f32_e32 v145, v123, v5
	v_mul_f32_e32 v146, v125, v6
	s_waitcnt lgkmcnt(3)
	v_mul_f32_e32 v147, v127, v7
	v_mul_f32_e32 v148, v129, v8
	s_waitcnt lgkmcnt(2)
	v_mul_f32_e32 v149, v131, v9
	v_mul_f32_e32 v150, v133, v10
	s_waitcnt vmcnt(61)
	v_fmac_f32_e32 v145, v124, v11
	s_waitcnt vmcnt(60)
	v_fmac_f32_e32 v144, v122, v12
	;; [unrolled: 2-line block ×3, first 2 shown]
	v_add_f32_e32 v143, 0, v143
	v_add_f32_e32 v143, v143, v144
	;; [unrolled: 1-line block ×3, first 2 shown]
	s_waitcnt vmcnt(55)
	v_fmac_f32_e32 v146, v126, v17
	v_fmac_f32_e32 v147, v128, v16
	v_add_f32_e32 v143, v143, v146
	v_fmac_f32_e32 v148, v130, v15
	v_add_f32_e32 v143, v143, v147
	;; [unrolled: 2-line block ×3, first 2 shown]
	s_waitcnt vmcnt(51)
	v_fmac_f32_e32 v150, v134, v21
	v_add_f32_e32 v143, v143, v149
	s_waitcnt vmcnt(50) lgkmcnt(1)
	v_mul_f32_e32 v144, v135, v22
	v_add_f32_e32 v143, v143, v150
	v_fmac_f32_e32 v144, v136, v20
	v_mul_f32_e32 v3, v120, v3
	v_add_f32_e32 v143, v143, v144
	s_waitcnt vmcnt(49)
	v_mul_f32_e32 v144, v137, v23
	v_fma_f32 v3, v119, v13, -v3
	v_mul_f32_e32 v4, v122, v4
	v_fmac_f32_e32 v144, v138, v19
	v_add_f32_e32 v3, 0, v3
	v_fma_f32 v4, v121, v12, -v4
	v_add_f32_e32 v143, v143, v144
	s_waitcnt vmcnt(48) lgkmcnt(0)
	v_mul_f32_e32 v144, v139, v24
	v_add_f32_e32 v3, v3, v4
	v_mul_f32_e32 v4, v124, v5
	v_fmac_f32_e32 v144, v140, v18
	v_fma_f32 v4, v123, v11, -v4
	v_add_f32_e32 v147, v143, v144
	ds_read_b128 v[143:146], v118 offset:752
	v_add_f32_e32 v3, v3, v4
	v_mul_f32_e32 v4, v126, v6
	v_fma_f32 v4, v125, v17, -v4
	s_waitcnt vmcnt(45)
	v_mul_f32_e32 v148, v141, v27
	v_add_f32_e32 v3, v3, v4
	v_mul_f32_e32 v4, v128, v7
	s_waitcnt vmcnt(38)
	v_fmac_f32_e32 v148, v142, v190
	v_fma_f32 v4, v127, v16, -v4
	v_add_f32_e32 v151, v147, v148
	ds_read_b128 v[147:150], v118 offset:768
	v_add_f32_e32 v3, v3, v4
	v_mul_f32_e32 v4, v130, v8
	s_waitcnt lgkmcnt(1)
	v_mul_f32_e32 v152, v143, v29
	v_fma_f32 v4, v129, v15, -v4
	v_fmac_f32_e32 v152, v144, v28
	v_add_f32_e32 v3, v3, v4
	v_mul_f32_e32 v4, v132, v9
	v_add_f32_e32 v151, v151, v152
	v_mul_f32_e32 v152, v145, v187
	v_fma_f32 v4, v131, v14, -v4
	v_fmac_f32_e32 v152, v146, v30
	v_add_f32_e32 v3, v3, v4
	v_mul_f32_e32 v4, v134, v10
	v_add_f32_e32 v151, v151, v152
	s_waitcnt lgkmcnt(0)
	v_mul_f32_e32 v152, v147, v189
	v_fma_f32 v4, v133, v21, -v4
	v_fmac_f32_e32 v152, v148, v188
	v_add_f32_e32 v3, v3, v4
	v_mul_f32_e32 v4, v136, v22
	v_add_f32_e32 v155, v151, v152
	ds_read_b128 v[151:154], v118 offset:784
	v_fma_f32 v4, v135, v20, -v4
	v_add_f32_e32 v3, v3, v4
	v_mul_f32_e32 v4, v138, v23
	s_waitcnt vmcnt(36)
	v_mul_f32_e32 v156, v149, v192
	v_fma_f32 v4, v137, v19, -v4
	v_fmac_f32_e32 v156, v150, v191
	v_add_f32_e32 v3, v3, v4
	v_mul_f32_e32 v4, v140, v24
	v_add_f32_e32 v159, v155, v156
	ds_read_b128 v[155:158], v118 offset:800
	v_fma_f32 v4, v139, v18, -v4
	s_waitcnt vmcnt(34) lgkmcnt(1)
	v_mul_f32_e32 v160, v151, v194
	v_add_f32_e32 v3, v3, v4
	v_mul_f32_e32 v4, v142, v27
	v_fmac_f32_e32 v160, v152, v193
	v_fma_f32 v4, v141, v190, -v4
	v_add_f32_e32 v159, v159, v160
	s_waitcnt vmcnt(32)
	v_mul_f32_e32 v160, v153, v196
	v_add_f32_e32 v3, v3, v4
	v_mul_f32_e32 v4, v144, v29
	v_fmac_f32_e32 v160, v154, v195
	v_fma_f32 v4, v143, v28, -v4
	v_add_f32_e32 v159, v159, v160
	s_waitcnt vmcnt(30) lgkmcnt(0)
	v_mul_f32_e32 v160, v155, v198
	v_add_f32_e32 v3, v3, v4
	v_mul_f32_e32 v4, v146, v187
	v_fmac_f32_e32 v160, v156, v197
	v_fma_f32 v4, v145, v30, -v4
	v_add_f32_e32 v163, v159, v160
	ds_read_b128 v[159:162], v118 offset:816
	v_add_f32_e32 v3, v3, v4
	v_mul_f32_e32 v4, v148, v189
	v_fma_f32 v4, v147, v188, -v4
	s_waitcnt vmcnt(28)
	v_mul_f32_e32 v164, v157, v200
	v_add_f32_e32 v3, v3, v4
	v_mul_f32_e32 v4, v150, v192
	v_fmac_f32_e32 v164, v158, v199
	v_fma_f32 v4, v149, v191, -v4
	v_add_f32_e32 v167, v163, v164
	ds_read_b128 v[163:166], v118 offset:832
	v_add_f32_e32 v3, v3, v4
	v_mul_f32_e32 v4, v152, v194
	s_waitcnt vmcnt(26) lgkmcnt(1)
	v_mul_f32_e32 v168, v159, v202
	v_fma_f32 v4, v151, v193, -v4
	v_fmac_f32_e32 v168, v160, v201
	v_add_f32_e32 v3, v3, v4
	v_mul_f32_e32 v4, v154, v196
	v_add_f32_e32 v167, v167, v168
	s_waitcnt vmcnt(24)
	v_mul_f32_e32 v168, v161, v204
	v_fma_f32 v4, v153, v195, -v4
	v_fmac_f32_e32 v168, v162, v203
	v_add_f32_e32 v3, v3, v4
	v_mul_f32_e32 v4, v156, v198
	v_add_f32_e32 v167, v167, v168
	s_waitcnt vmcnt(22) lgkmcnt(0)
	v_mul_f32_e32 v168, v163, v206
	v_fma_f32 v4, v155, v197, -v4
	v_fmac_f32_e32 v168, v164, v205
	v_add_f32_e32 v3, v3, v4
	v_mul_f32_e32 v4, v158, v200
	v_add_f32_e32 v171, v167, v168
	ds_read_b128 v[167:170], v118 offset:848
	v_fma_f32 v4, v157, v199, -v4
	v_add_f32_e32 v3, v3, v4
	v_mul_f32_e32 v4, v160, v202
	s_waitcnt vmcnt(20)
	v_mul_f32_e32 v172, v165, v208
	v_fma_f32 v4, v159, v201, -v4
	v_fmac_f32_e32 v172, v166, v207
	v_add_f32_e32 v3, v3, v4
	v_mul_f32_e32 v4, v162, v204
	v_add_f32_e32 v175, v171, v172
	ds_read_b128 v[171:174], v118 offset:864
	v_fma_f32 v4, v161, v203, -v4
	s_waitcnt vmcnt(18) lgkmcnt(1)
	v_mul_f32_e32 v176, v167, v210
	v_add_f32_e32 v3, v3, v4
	v_mul_f32_e32 v4, v164, v206
	v_fmac_f32_e32 v176, v168, v209
	v_fma_f32 v4, v163, v205, -v4
	v_add_f32_e32 v175, v175, v176
	s_waitcnt vmcnt(16)
	v_mul_f32_e32 v176, v169, v212
	v_add_f32_e32 v3, v3, v4
	v_mul_f32_e32 v4, v166, v208
	v_fmac_f32_e32 v176, v170, v211
	v_fma_f32 v4, v165, v207, -v4
	v_add_f32_e32 v175, v175, v176
	s_waitcnt vmcnt(14) lgkmcnt(0)
	v_mul_f32_e32 v176, v171, v214
	v_add_f32_e32 v3, v3, v4
	v_mul_f32_e32 v4, v168, v210
	v_fmac_f32_e32 v176, v172, v213
	v_fma_f32 v4, v167, v209, -v4
	v_add_f32_e32 v179, v175, v176
	ds_read_b128 v[175:178], v118 offset:880
	v_add_f32_e32 v3, v3, v4
	v_mul_f32_e32 v4, v170, v212
	v_fma_f32 v4, v169, v211, -v4
	v_add_f32_e32 v3, v3, v4
	v_mul_f32_e32 v4, v172, v214
	s_waitcnt vmcnt(12)
	v_mul_f32_e32 v180, v173, v216
	v_fma_f32 v4, v171, v213, -v4
	v_fmac_f32_e32 v180, v174, v215
	v_add_f32_e32 v3, v3, v4
	v_mul_f32_e32 v4, v174, v216
	v_add_f32_e32 v183, v179, v180
	ds_read_b128 v[179:182], v118 offset:896
	s_waitcnt vmcnt(10) lgkmcnt(1)
	v_mul_f32_e32 v184, v175, v218
	v_fma_f32 v4, v173, v215, -v4
	v_fmac_f32_e32 v184, v176, v217
	v_add_f32_e32 v3, v3, v4
	v_mul_f32_e32 v4, v176, v218
	v_add_f32_e32 v183, v183, v184
	s_waitcnt vmcnt(9)
	v_mul_f32_e32 v184, v177, v219
	v_fma_f32 v4, v175, v217, -v4
	s_waitcnt vmcnt(6)
	v_fmac_f32_e32 v184, v178, v222
	v_add_f32_e32 v3, v3, v4
	v_mul_f32_e32 v4, v178, v219
	v_add_f32_e32 v229, v183, v184
	ds_read_b128 v[183:186], v118 offset:912
	v_fma_f32 v4, v177, v222, -v4
	v_add_f32_e32 v3, v3, v4
	s_waitcnt lgkmcnt(1)
	v_mul_f32_e32 v4, v180, v221
	v_mul_f32_e32 v230, v179, v221
	v_fma_f32 v4, v179, v220, -v4
	v_fmac_f32_e32 v230, v180, v220
	v_add_f32_e32 v3, v3, v4
	s_waitcnt vmcnt(4)
	v_mul_f32_e32 v4, v182, v224
	v_add_f32_e32 v118, v229, v230
	v_mul_f32_e32 v229, v181, v224
	v_fma_f32 v4, v181, v223, -v4
	v_fmac_f32_e32 v229, v182, v223
	v_add_f32_e32 v3, v3, v4
	s_waitcnt vmcnt(3) lgkmcnt(0)
	v_mul_f32_e32 v4, v184, v225
	v_add_f32_e32 v118, v118, v229
	v_mul_f32_e32 v229, v183, v225
	s_waitcnt vmcnt(0)
	v_fma_f32 v4, v183, v228, -v4
	v_fmac_f32_e32 v229, v184, v228
	v_add_f32_e32 v3, v3, v4
	v_mul_f32_e32 v4, v186, v227
	v_add_f32_e32 v118, v118, v229
	v_mul_f32_e32 v229, v185, v227
	v_fma_f32 v4, v185, v226, -v4
	v_fmac_f32_e32 v229, v186, v226
	v_add_f32_e32 v3, v3, v4
	v_add_f32_e32 v118, v118, v229
	v_sub_f32_e32 v3, v25, v3
	v_sub_f32_e32 v4, v26, v118
	buffer_store_dword v3, off, s[0:3], 0 offset:184
	buffer_store_dword v4, off, s[0:3], 0 offset:188
	s_and_saveexec_b64 s[4:5], vcc
	s_cbranch_execz .LBB121_317
; %bb.316:
	buffer_load_dword v3, off, s[0:3], 0 offset:176
	buffer_load_dword v4, off, s[0:3], 0 offset:180
	v_mov_b32_e32 v5, 0
	buffer_store_dword v5, off, s[0:3], 0 offset:176
	buffer_store_dword v5, off, s[0:3], 0 offset:180
	s_waitcnt vmcnt(2)
	ds_write_b64 v117, v[3:4]
.LBB121_317:
	s_or_b64 exec, exec, s[4:5]
	s_waitcnt lgkmcnt(0)
	; wave barrier
	buffer_load_dword v5, off, s[0:3], 0 offset:188
	buffer_load_dword v6, off, s[0:3], 0 offset:196
	;; [unrolled: 1-line block ×56, first 2 shown]
	v_mov_b32_e32 v118, 0
	ds_read2_b64 v[119:122], v118 offset0:81 offset1:82
	ds_read2_b64 v[123:126], v118 offset0:83 offset1:84
	;; [unrolled: 1-line block ×6, first 2 shown]
	buffer_load_dword v217, off, s[0:3], 0 offset:400
	buffer_load_dword v218, off, s[0:3], 0 offset:404
	;; [unrolled: 1-line block ×16, first 2 shown]
	ds_read2_b64 v[151:154], v118 offset0:97 offset1:98
	ds_read2_b64 v[155:158], v118 offset0:99 offset1:100
	;; [unrolled: 1-line block ×9, first 2 shown]
	v_cmp_lt_u32_e32 vcc, 21, v0
	s_waitcnt vmcnt(62) lgkmcnt(14)
	v_mul_f32_e32 v3, v119, v5
	v_mul_f32_e32 v5, v120, v5
	;; [unrolled: 1-line block ×4, first 2 shown]
	s_waitcnt lgkmcnt(13)
	v_mul_f32_e32 v143, v123, v7
	v_mul_f32_e32 v144, v125, v8
	s_waitcnt lgkmcnt(12)
	v_mul_f32_e32 v145, v127, v9
	v_mul_f32_e32 v146, v129, v10
	s_waitcnt lgkmcnt(11)
	v_mul_f32_e32 v147, v131, v11
	v_fmac_f32_e32 v143, v124, v14
	s_waitcnt vmcnt(61)
	v_fma_f32 v6, v121, v15, -v6
	s_waitcnt vmcnt(60)
	v_fma_f32 v5, v119, v16, -v5
	v_add_f32_e32 v5, 0, v5
	v_add_f32_e32 v5, v5, v6
	v_mul_f32_e32 v6, v124, v7
	v_fma_f32 v6, v123, v14, -v6
	v_add_f32_e32 v5, v5, v6
	v_mul_f32_e32 v6, v126, v8
	v_fmac_f32_e32 v3, v120, v16
	s_waitcnt vmcnt(56)
	v_fma_f32 v6, v125, v20, -v6
	v_fmac_f32_e32 v4, v122, v15
	v_add_f32_e32 v3, 0, v3
	v_add_f32_e32 v5, v5, v6
	v_mul_f32_e32 v6, v128, v9
	v_add_f32_e32 v3, v3, v4
	v_fma_f32 v6, v127, v19, -v6
	v_fmac_f32_e32 v144, v126, v20
	v_add_f32_e32 v3, v3, v143
	v_add_f32_e32 v5, v5, v6
	v_mul_f32_e32 v6, v130, v10
	v_fmac_f32_e32 v145, v128, v19
	v_add_f32_e32 v3, v3, v144
	v_fma_f32 v6, v129, v18, -v6
	v_fmac_f32_e32 v146, v130, v18
	v_add_f32_e32 v3, v3, v145
	v_add_f32_e32 v5, v5, v6
	v_mul_f32_e32 v6, v132, v11
	v_mul_f32_e32 v148, v133, v12
	v_fmac_f32_e32 v147, v132, v17
	v_add_f32_e32 v3, v3, v146
	v_fma_f32 v6, v131, v17, -v6
	s_waitcnt lgkmcnt(10)
	v_mul_f32_e32 v149, v135, v13
	s_waitcnt vmcnt(52)
	v_fmac_f32_e32 v148, v134, v24
	v_add_f32_e32 v3, v3, v147
	v_add_f32_e32 v5, v5, v6
	v_mul_f32_e32 v6, v134, v12
	v_add_f32_e32 v3, v3, v148
	v_fmac_f32_e32 v149, v136, v23
	s_waitcnt vmcnt(51)
	v_mul_f32_e32 v4, v137, v25
	v_fma_f32 v6, v133, v24, -v6
	v_add_f32_e32 v3, v3, v149
	v_fmac_f32_e32 v4, v138, v22
	ds_read2_b64 v[143:146], v118 offset0:93 offset1:94
	ds_read2_b64 v[147:150], v118 offset0:95 offset1:96
	v_add_f32_e32 v5, v5, v6
	v_mul_f32_e32 v6, v136, v13
	v_add_f32_e32 v3, v3, v4
	s_waitcnt vmcnt(50) lgkmcnt(11)
	v_mul_f32_e32 v4, v139, v26
	v_fma_f32 v6, v135, v23, -v6
	v_fmac_f32_e32 v4, v140, v21
	v_add_f32_e32 v5, v5, v6
	v_mul_f32_e32 v6, v138, v25
	v_add_f32_e32 v3, v3, v4
	s_waitcnt vmcnt(46)
	v_mul_f32_e32 v4, v141, v30
	v_fma_f32 v6, v137, v22, -v6
	v_fmac_f32_e32 v4, v142, v29
	v_add_f32_e32 v5, v5, v6
	v_mul_f32_e32 v6, v140, v26
	v_add_f32_e32 v3, v3, v4
	s_waitcnt vmcnt(44) lgkmcnt(1)
	v_mul_f32_e32 v4, v143, v188
	v_fma_f32 v6, v139, v21, -v6
	v_fmac_f32_e32 v4, v144, v187
	v_add_f32_e32 v5, v5, v6
	v_mul_f32_e32 v6, v142, v30
	v_add_f32_e32 v3, v3, v4
	s_waitcnt vmcnt(42)
	v_mul_f32_e32 v4, v145, v190
	v_fma_f32 v6, v141, v29, -v6
	v_fmac_f32_e32 v4, v146, v189
	;; [unrolled: 14-line block ×3, first 2 shown]
	v_add_f32_e32 v5, v5, v6
	v_mul_f32_e32 v6, v148, v192
	v_add_f32_e32 v3, v3, v4
	s_waitcnt vmcnt(36)
	v_mul_f32_e32 v4, v151, v196
	v_fma_f32 v6, v147, v191, -v6
	v_fmac_f32_e32 v4, v152, v195
	v_add_f32_e32 v5, v5, v6
	v_mul_f32_e32 v6, v150, v194
	v_add_f32_e32 v3, v3, v4
	s_waitcnt vmcnt(34)
	v_mul_f32_e32 v4, v153, v198
	v_fma_f32 v6, v149, v193, -v6
	v_fmac_f32_e32 v4, v154, v197
	;; [unrolled: 7-line block ×13, first 2 shown]
	v_add_f32_e32 v5, v5, v6
	v_mul_f32_e32 v6, v174, v218
	v_add_f32_e32 v3, v3, v4
	s_waitcnt vmcnt(11)
	v_mul_f32_e32 v4, v177, v221
	v_fma_f32 v6, v173, v217, -v6
	s_waitcnt vmcnt(8)
	v_fmac_f32_e32 v4, v178, v224
	v_add_f32_e32 v5, v5, v6
	v_mul_f32_e32 v6, v176, v220
	v_add_f32_e32 v3, v3, v4
	v_mul_f32_e32 v4, v179, v223
	v_fma_f32 v6, v175, v219, -v6
	v_fmac_f32_e32 v4, v180, v222
	v_add_f32_e32 v5, v5, v6
	v_mul_f32_e32 v6, v178, v221
	v_add_f32_e32 v3, v3, v4
	s_waitcnt vmcnt(6)
	v_mul_f32_e32 v4, v181, v226
	v_fma_f32 v6, v177, v224, -v6
	v_fmac_f32_e32 v4, v182, v225
	v_add_f32_e32 v5, v5, v6
	v_mul_f32_e32 v6, v180, v223
	v_add_f32_e32 v233, v3, v4
	ds_read_b64 v[3:4], v118 offset:920
	v_fma_f32 v6, v179, v222, -v6
	s_waitcnt vmcnt(4)
	v_mul_f32_e32 v234, v183, v228
	v_add_f32_e32 v5, v5, v6
	v_mul_f32_e32 v6, v182, v226
	v_fmac_f32_e32 v234, v184, v227
	v_fma_f32 v6, v181, v225, -v6
	v_add_f32_e32 v233, v233, v234
	s_waitcnt vmcnt(3)
	v_mul_f32_e32 v234, v185, v229
	v_add_f32_e32 v5, v5, v6
	v_mul_f32_e32 v6, v184, v228
	s_waitcnt vmcnt(0)
	v_fmac_f32_e32 v234, v186, v232
	v_fma_f32 v6, v183, v227, -v6
	v_add_f32_e32 v233, v233, v234
	s_waitcnt lgkmcnt(0)
	v_mul_f32_e32 v234, v3, v231
	v_add_f32_e32 v5, v5, v6
	v_mul_f32_e32 v6, v186, v229
	v_fmac_f32_e32 v234, v4, v230
	v_fma_f32 v6, v185, v232, -v6
	v_mul_f32_e32 v4, v4, v231
	v_add_f32_e32 v5, v5, v6
	v_fma_f32 v3, v3, v230, -v4
	v_add_f32_e32 v3, v5, v3
	v_add_f32_e32 v233, v233, v234
	v_sub_f32_e32 v3, v27, v3
	v_sub_f32_e32 v4, v28, v233
	buffer_store_dword v3, off, s[0:3], 0 offset:176
	buffer_store_dword v4, off, s[0:3], 0 offset:180
	s_and_saveexec_b64 s[4:5], vcc
	s_cbranch_execz .LBB121_319
; %bb.318:
	buffer_load_dword v3, off, s[0:3], 0 offset:168
	buffer_load_dword v4, off, s[0:3], 0 offset:172
	s_waitcnt vmcnt(0)
	ds_write_b64 v117, v[3:4]
	buffer_store_dword v118, off, s[0:3], 0 offset:168
	buffer_store_dword v118, off, s[0:3], 0 offset:172
.LBB121_319:
	s_or_b64 exec, exec, s[4:5]
	s_waitcnt lgkmcnt(0)
	; wave barrier
	buffer_load_dword v3, off, s[0:3], 0 offset:180
	buffer_load_dword v4, off, s[0:3], 0 offset:188
	;; [unrolled: 1-line block ×26, first 2 shown]
	ds_read_b128 v[119:122], v118 offset:640
	ds_read_b128 v[123:126], v118 offset:656
	;; [unrolled: 1-line block ×6, first 2 shown]
	buffer_load_dword v29, off, s[0:3], 0 offset:272
	buffer_load_dword v30, off, s[0:3], 0 offset:276
	;; [unrolled: 1-line block ×46, first 2 shown]
	v_cmp_lt_u32_e32 vcc, 20, v0
	s_waitcnt vmcnt(62) lgkmcnt(5)
	v_mul_f32_e32 v143, v119, v3
	v_mul_f32_e32 v144, v121, v4
	s_waitcnt lgkmcnt(4)
	v_mul_f32_e32 v145, v123, v5
	v_mul_f32_e32 v146, v125, v6
	s_waitcnt lgkmcnt(3)
	;; [unrolled: 3-line block ×4, first 2 shown]
	v_mul_f32_e32 v151, v135, v11
	v_fmac_f32_e32 v145, v124, v12
	s_waitcnt vmcnt(61)
	v_fmac_f32_e32 v144, v122, v13
	s_waitcnt vmcnt(60)
	v_fmac_f32_e32 v143, v120, v14
	v_add_f32_e32 v143, 0, v143
	v_add_f32_e32 v143, v143, v144
	;; [unrolled: 1-line block ×3, first 2 shown]
	s_waitcnt vmcnt(56)
	v_fmac_f32_e32 v146, v126, v18
	v_fmac_f32_e32 v147, v128, v17
	v_add_f32_e32 v143, v143, v146
	v_fmac_f32_e32 v148, v130, v16
	v_add_f32_e32 v143, v143, v147
	;; [unrolled: 2-line block ×3, first 2 shown]
	s_waitcnt vmcnt(52)
	v_fmac_f32_e32 v150, v134, v22
	v_add_f32_e32 v143, v143, v149
	v_fmac_f32_e32 v151, v136, v21
	v_add_f32_e32 v143, v143, v150
	s_waitcnt vmcnt(51)
	v_mul_f32_e32 v144, v137, v23
	v_add_f32_e32 v143, v143, v151
	v_fmac_f32_e32 v144, v138, v20
	v_add_f32_e32 v143, v143, v144
	s_waitcnt vmcnt(50) lgkmcnt(0)
	v_mul_f32_e32 v144, v139, v24
	v_fmac_f32_e32 v144, v140, v19
	s_waitcnt vmcnt(46)
	v_mul_f32_e32 v148, v141, v28
	v_add_f32_e32 v147, v143, v144
	v_fmac_f32_e32 v148, v142, v27
	ds_read_b128 v[143:146], v118 offset:736
	v_add_f32_e32 v151, v147, v148
	ds_read_b128 v[147:150], v118 offset:752
	buffer_load_dword v235, off, s[0:3], 0 offset:456
	buffer_load_dword v236, off, s[0:3], 0 offset:460
	v_mul_f32_e32 v3, v120, v3
	v_fma_f32 v3, v119, v14, -v3
	v_mul_f32_e32 v4, v122, v4
	v_add_f32_e32 v3, 0, v3
	v_fma_f32 v4, v121, v13, -v4
	v_add_f32_e32 v3, v3, v4
	v_mul_f32_e32 v4, v124, v5
	v_fma_f32 v4, v123, v12, -v4
	v_add_f32_e32 v3, v3, v4
	v_mul_f32_e32 v4, v126, v6
	;; [unrolled: 3-line block ×3, first 2 shown]
	s_waitcnt vmcnt(46) lgkmcnt(1)
	v_mul_f32_e32 v152, v143, v30
	v_fma_f32 v4, v127, v17, -v4
	v_fmac_f32_e32 v152, v144, v29
	v_add_f32_e32 v3, v3, v4
	v_mul_f32_e32 v4, v130, v8
	v_add_f32_e32 v151, v151, v152
	s_waitcnt vmcnt(44)
	v_mul_f32_e32 v152, v145, v192
	v_fma_f32 v4, v129, v16, -v4
	v_fmac_f32_e32 v152, v146, v191
	v_add_f32_e32 v3, v3, v4
	v_mul_f32_e32 v4, v132, v9
	v_add_f32_e32 v151, v151, v152
	s_waitcnt vmcnt(42) lgkmcnt(0)
	v_mul_f32_e32 v152, v147, v194
	v_fma_f32 v4, v131, v15, -v4
	v_fmac_f32_e32 v152, v148, v193
	v_add_f32_e32 v3, v3, v4
	v_mul_f32_e32 v4, v134, v10
	v_add_f32_e32 v155, v151, v152
	ds_read_b128 v[151:154], v118 offset:768
	v_fma_f32 v4, v133, v22, -v4
	v_add_f32_e32 v3, v3, v4
	v_mul_f32_e32 v4, v136, v11
	s_waitcnt vmcnt(40)
	v_mul_f32_e32 v156, v149, v196
	v_fma_f32 v4, v135, v21, -v4
	v_fmac_f32_e32 v156, v150, v195
	v_add_f32_e32 v3, v3, v4
	v_mul_f32_e32 v4, v138, v23
	v_add_f32_e32 v159, v155, v156
	ds_read_b128 v[155:158], v118 offset:784
	v_fma_f32 v4, v137, v20, -v4
	s_waitcnt vmcnt(38) lgkmcnt(1)
	v_mul_f32_e32 v160, v151, v198
	v_add_f32_e32 v3, v3, v4
	v_mul_f32_e32 v4, v140, v24
	v_fmac_f32_e32 v160, v152, v197
	v_fma_f32 v4, v139, v19, -v4
	v_add_f32_e32 v159, v159, v160
	s_waitcnt vmcnt(36)
	v_mul_f32_e32 v160, v153, v200
	v_add_f32_e32 v3, v3, v4
	v_mul_f32_e32 v4, v142, v28
	v_fmac_f32_e32 v160, v154, v199
	v_fma_f32 v4, v141, v27, -v4
	v_add_f32_e32 v159, v159, v160
	s_waitcnt vmcnt(34) lgkmcnt(0)
	v_mul_f32_e32 v160, v155, v202
	v_add_f32_e32 v3, v3, v4
	v_mul_f32_e32 v4, v144, v30
	v_fmac_f32_e32 v160, v156, v201
	v_fma_f32 v4, v143, v29, -v4
	v_add_f32_e32 v163, v159, v160
	ds_read_b128 v[159:162], v118 offset:800
	v_add_f32_e32 v3, v3, v4
	v_mul_f32_e32 v4, v146, v192
	v_fma_f32 v4, v145, v191, -v4
	s_waitcnt vmcnt(32)
	v_mul_f32_e32 v164, v157, v204
	v_add_f32_e32 v3, v3, v4
	v_mul_f32_e32 v4, v148, v194
	v_fmac_f32_e32 v164, v158, v203
	v_fma_f32 v4, v147, v193, -v4
	v_add_f32_e32 v167, v163, v164
	ds_read_b128 v[163:166], v118 offset:816
	v_add_f32_e32 v3, v3, v4
	v_mul_f32_e32 v4, v150, v196
	s_waitcnt vmcnt(30) lgkmcnt(1)
	v_mul_f32_e32 v168, v159, v206
	v_fma_f32 v4, v149, v195, -v4
	v_fmac_f32_e32 v168, v160, v205
	v_add_f32_e32 v3, v3, v4
	v_mul_f32_e32 v4, v152, v198
	v_add_f32_e32 v167, v167, v168
	s_waitcnt vmcnt(28)
	v_mul_f32_e32 v168, v161, v208
	v_fma_f32 v4, v151, v197, -v4
	v_fmac_f32_e32 v168, v162, v207
	v_add_f32_e32 v3, v3, v4
	v_mul_f32_e32 v4, v154, v200
	v_add_f32_e32 v167, v167, v168
	s_waitcnt vmcnt(26) lgkmcnt(0)
	v_mul_f32_e32 v168, v163, v210
	v_fma_f32 v4, v153, v199, -v4
	v_fmac_f32_e32 v168, v164, v209
	v_add_f32_e32 v3, v3, v4
	v_mul_f32_e32 v4, v156, v202
	v_add_f32_e32 v171, v167, v168
	ds_read_b128 v[167:170], v118 offset:832
	v_fma_f32 v4, v155, v201, -v4
	v_add_f32_e32 v3, v3, v4
	v_mul_f32_e32 v4, v158, v204
	s_waitcnt vmcnt(24)
	v_mul_f32_e32 v172, v165, v212
	v_fma_f32 v4, v157, v203, -v4
	v_fmac_f32_e32 v172, v166, v211
	v_add_f32_e32 v3, v3, v4
	v_mul_f32_e32 v4, v160, v206
	v_add_f32_e32 v175, v171, v172
	ds_read_b128 v[171:174], v118 offset:848
	v_fma_f32 v4, v159, v205, -v4
	s_waitcnt vmcnt(22) lgkmcnt(1)
	v_mul_f32_e32 v176, v167, v214
	v_add_f32_e32 v3, v3, v4
	v_mul_f32_e32 v4, v162, v208
	v_fmac_f32_e32 v176, v168, v213
	v_fma_f32 v4, v161, v207, -v4
	v_add_f32_e32 v175, v175, v176
	s_waitcnt vmcnt(20)
	v_mul_f32_e32 v176, v169, v216
	v_add_f32_e32 v3, v3, v4
	v_mul_f32_e32 v4, v164, v210
	v_fmac_f32_e32 v176, v170, v215
	v_fma_f32 v4, v163, v209, -v4
	v_add_f32_e32 v175, v175, v176
	s_waitcnt vmcnt(18) lgkmcnt(0)
	v_mul_f32_e32 v176, v171, v218
	v_add_f32_e32 v3, v3, v4
	v_mul_f32_e32 v4, v166, v212
	v_fmac_f32_e32 v176, v172, v217
	v_fma_f32 v4, v165, v211, -v4
	v_add_f32_e32 v179, v175, v176
	ds_read_b128 v[175:178], v118 offset:864
	v_add_f32_e32 v3, v3, v4
	v_mul_f32_e32 v4, v168, v214
	v_fma_f32 v4, v167, v213, -v4
	s_waitcnt vmcnt(16)
	v_mul_f32_e32 v180, v173, v220
	v_add_f32_e32 v3, v3, v4
	v_mul_f32_e32 v4, v170, v216
	v_fmac_f32_e32 v180, v174, v219
	v_fma_f32 v4, v169, v215, -v4
	v_add_f32_e32 v183, v179, v180
	ds_read_b128 v[179:182], v118 offset:880
	v_add_f32_e32 v3, v3, v4
	v_mul_f32_e32 v4, v172, v218
	s_waitcnt vmcnt(14) lgkmcnt(1)
	v_mul_f32_e32 v184, v175, v222
	v_fma_f32 v4, v171, v217, -v4
	v_fmac_f32_e32 v184, v176, v221
	v_add_f32_e32 v3, v3, v4
	v_mul_f32_e32 v4, v174, v220
	v_add_f32_e32 v183, v183, v184
	s_waitcnt vmcnt(13)
	v_mul_f32_e32 v184, v177, v223
	v_fma_f32 v4, v173, v219, -v4
	s_waitcnt vmcnt(10)
	v_fmac_f32_e32 v184, v178, v226
	v_add_f32_e32 v3, v3, v4
	v_mul_f32_e32 v4, v176, v222
	v_add_f32_e32 v183, v183, v184
	s_waitcnt lgkmcnt(0)
	v_mul_f32_e32 v184, v179, v225
	v_fma_f32 v4, v175, v221, -v4
	v_fmac_f32_e32 v184, v180, v224
	v_add_f32_e32 v3, v3, v4
	v_mul_f32_e32 v4, v178, v223
	v_add_f32_e32 v187, v183, v184
	ds_read_b128 v[183:186], v118 offset:896
	v_fma_f32 v4, v177, v226, -v4
	v_add_f32_e32 v3, v3, v4
	v_mul_f32_e32 v4, v180, v225
	s_waitcnt vmcnt(8)
	v_mul_f32_e32 v188, v181, v228
	v_fma_f32 v4, v179, v224, -v4
	v_fmac_f32_e32 v188, v182, v227
	v_add_f32_e32 v3, v3, v4
	v_mul_f32_e32 v4, v182, v228
	v_add_f32_e32 v237, v187, v188
	ds_read_b128 v[187:190], v118 offset:912
	v_fma_f32 v4, v181, v227, -v4
	v_add_f32_e32 v3, v3, v4
	s_waitcnt vmcnt(6) lgkmcnt(1)
	v_mul_f32_e32 v4, v184, v230
	v_mul_f32_e32 v118, v183, v230
	v_fma_f32 v4, v183, v229, -v4
	v_fmac_f32_e32 v118, v184, v229
	v_add_f32_e32 v3, v3, v4
	s_waitcnt vmcnt(5)
	v_mul_f32_e32 v4, v186, v231
	v_add_f32_e32 v118, v237, v118
	v_mul_f32_e32 v237, v185, v231
	s_waitcnt vmcnt(2)
	v_fma_f32 v4, v185, v234, -v4
	v_fmac_f32_e32 v237, v186, v234
	v_add_f32_e32 v3, v3, v4
	s_waitcnt lgkmcnt(0)
	v_mul_f32_e32 v4, v188, v233
	v_add_f32_e32 v118, v118, v237
	v_mul_f32_e32 v237, v187, v233
	v_fma_f32 v4, v187, v232, -v4
	v_fmac_f32_e32 v237, v188, v232
	v_add_f32_e32 v3, v3, v4
	s_waitcnt vmcnt(0)
	v_mul_f32_e32 v4, v190, v236
	v_add_f32_e32 v118, v118, v237
	v_mul_f32_e32 v237, v189, v236
	v_fma_f32 v4, v189, v235, -v4
	v_fmac_f32_e32 v237, v190, v235
	v_add_f32_e32 v3, v3, v4
	v_add_f32_e32 v118, v118, v237
	v_sub_f32_e32 v3, v25, v3
	v_sub_f32_e32 v4, v26, v118
	buffer_store_dword v3, off, s[0:3], 0 offset:168
	buffer_store_dword v4, off, s[0:3], 0 offset:172
	s_and_saveexec_b64 s[4:5], vcc
	s_cbranch_execz .LBB121_321
; %bb.320:
	buffer_load_dword v3, off, s[0:3], 0 offset:160
	buffer_load_dword v4, off, s[0:3], 0 offset:164
	v_mov_b32_e32 v5, 0
	buffer_store_dword v5, off, s[0:3], 0 offset:160
	buffer_store_dword v5, off, s[0:3], 0 offset:164
	s_waitcnt vmcnt(2)
	ds_write_b64 v117, v[3:4]
.LBB121_321:
	s_or_b64 exec, exec, s[4:5]
	s_waitcnt lgkmcnt(0)
	; wave barrier
	buffer_load_dword v5, off, s[0:3], 0 offset:172
	buffer_load_dword v6, off, s[0:3], 0 offset:180
	;; [unrolled: 1-line block ×50, first 2 shown]
	v_mov_b32_e32 v118, 0
	ds_read2_b64 v[119:122], v118 offset0:79 offset1:80
	ds_read2_b64 v[123:126], v118 offset0:81 offset1:82
	;; [unrolled: 1-line block ×6, first 2 shown]
	buffer_load_dword v215, off, s[0:3], 0 offset:360
	buffer_load_dword v216, off, s[0:3], 0 offset:364
	;; [unrolled: 1-line block ×16, first 2 shown]
	v_cmp_lt_u32_e32 vcc, 19, v0
	s_waitcnt vmcnt(62) lgkmcnt(5)
	v_mul_f32_e32 v3, v119, v5
	v_mul_f32_e32 v4, v121, v6
	s_waitcnt lgkmcnt(4)
	v_mul_f32_e32 v143, v123, v7
	v_mul_f32_e32 v144, v125, v8
	s_waitcnt vmcnt(61) lgkmcnt(3)
	v_mul_f32_e32 v145, v127, v9
	s_waitcnt vmcnt(60)
	v_mul_f32_e32 v146, v129, v10
	s_waitcnt vmcnt(59) lgkmcnt(2)
	v_mul_f32_e32 v147, v131, v11
	s_waitcnt vmcnt(58)
	;; [unrolled: 4-line block ×3, first 2 shown]
	v_fmac_f32_e32 v143, v124, v14
	s_waitcnt vmcnt(55)
	v_fmac_f32_e32 v4, v122, v15
	s_waitcnt vmcnt(54)
	v_fmac_f32_e32 v3, v120, v16
	v_add_f32_e32 v3, 0, v3
	v_add_f32_e32 v3, v3, v4
	;; [unrolled: 1-line block ×3, first 2 shown]
	s_waitcnt vmcnt(50)
	v_fmac_f32_e32 v144, v126, v20
	v_fmac_f32_e32 v145, v128, v19
	v_add_f32_e32 v3, v3, v144
	v_fmac_f32_e32 v146, v130, v18
	v_add_f32_e32 v3, v3, v145
	v_add_f32_e32 v3, v3, v146
	ds_read2_b64 v[143:146], v118 offset0:91 offset1:92
	buffer_load_dword v231, off, s[0:3], 0 offset:424
	buffer_load_dword v232, off, s[0:3], 0 offset:428
	;; [unrolled: 1-line block ×6, first 2 shown]
	v_fmac_f32_e32 v147, v132, v17
	s_waitcnt vmcnt(52)
	v_fmac_f32_e32 v148, v134, v24
	v_add_f32_e32 v3, v3, v147
	v_fmac_f32_e32 v149, v136, v23
	v_add_f32_e32 v3, v3, v148
	v_add_f32_e32 v3, v3, v149
	ds_read2_b64 v[147:150], v118 offset0:93 offset1:94
	buffer_load_dword v237, off, s[0:3], 0 offset:452
	buffer_load_dword v238, off, s[0:3], 0 offset:456
	;; [unrolled: 1-line block ×4, first 2 shown]
	v_mul_f32_e32 v5, v120, v5
	v_fma_f32 v5, v119, v16, -v5
	v_mul_f32_e32 v6, v122, v6
	v_add_f32_e32 v5, 0, v5
	v_fma_f32 v6, v121, v15, -v6
	v_add_f32_e32 v5, v5, v6
	v_mul_f32_e32 v6, v124, v7
	v_fma_f32 v6, v123, v14, -v6
	v_add_f32_e32 v5, v5, v6
	v_mul_f32_e32 v6, v126, v8
	;; [unrolled: 3-line block ×6, first 2 shown]
	s_waitcnt vmcnt(55)
	v_mul_f32_e32 v4, v137, v25
	v_fma_f32 v6, v133, v24, -v6
	v_fmac_f32_e32 v4, v138, v22
	v_add_f32_e32 v5, v5, v6
	v_mul_f32_e32 v6, v136, v13
	v_add_f32_e32 v3, v3, v4
	s_waitcnt vmcnt(54) lgkmcnt(2)
	v_mul_f32_e32 v4, v139, v26
	v_fma_f32 v6, v135, v23, -v6
	v_fmac_f32_e32 v4, v140, v21
	v_add_f32_e32 v5, v5, v6
	v_mul_f32_e32 v6, v138, v25
	v_add_f32_e32 v3, v3, v4
	s_waitcnt vmcnt(53)
	v_mul_f32_e32 v4, v141, v27
	v_fma_f32 v6, v137, v22, -v6
	s_waitcnt vmcnt(46)
	v_fmac_f32_e32 v4, v142, v194
	v_add_f32_e32 v5, v5, v6
	v_mul_f32_e32 v6, v140, v26
	v_add_f32_e32 v3, v3, v4
	s_waitcnt lgkmcnt(1)
	v_mul_f32_e32 v4, v143, v29
	v_fma_f32 v6, v139, v21, -v6
	v_fmac_f32_e32 v4, v144, v28
	v_add_f32_e32 v5, v5, v6
	v_mul_f32_e32 v6, v142, v27
	v_add_f32_e32 v3, v3, v4
	v_mul_f32_e32 v4, v145, v191
	v_fma_f32 v6, v141, v194, -v6
	v_fmac_f32_e32 v4, v146, v30
	ds_read2_b64 v[151:154], v118 offset0:95 offset1:96
	ds_read2_b64 v[155:158], v118 offset0:97 offset1:98
	v_add_f32_e32 v5, v5, v6
	v_mul_f32_e32 v6, v144, v29
	v_add_f32_e32 v3, v3, v4
	s_waitcnt lgkmcnt(2)
	v_mul_f32_e32 v4, v147, v193
	v_fma_f32 v6, v143, v28, -v6
	v_fmac_f32_e32 v4, v148, v192
	v_add_f32_e32 v5, v5, v6
	v_mul_f32_e32 v6, v146, v191
	v_add_f32_e32 v3, v3, v4
	s_waitcnt vmcnt(42)
	v_mul_f32_e32 v4, v149, v198
	v_fma_f32 v6, v145, v30, -v6
	v_fmac_f32_e32 v4, v150, v197
	v_add_f32_e32 v5, v5, v6
	v_mul_f32_e32 v6, v148, v193
	v_add_f32_e32 v3, v3, v4
	s_waitcnt vmcnt(40) lgkmcnt(1)
	v_mul_f32_e32 v4, v151, v200
	v_fma_f32 v6, v147, v192, -v6
	v_fmac_f32_e32 v4, v152, v199
	v_add_f32_e32 v5, v5, v6
	v_mul_f32_e32 v6, v150, v198
	v_add_f32_e32 v3, v3, v4
	s_waitcnt vmcnt(38)
	v_mul_f32_e32 v4, v153, v202
	v_fma_f32 v6, v149, v197, -v6
	v_fmac_f32_e32 v4, v154, v201
	ds_read2_b64 v[159:162], v118 offset0:99 offset1:100
	ds_read2_b64 v[163:166], v118 offset0:101 offset1:102
	v_add_f32_e32 v5, v5, v6
	v_mul_f32_e32 v6, v152, v200
	v_add_f32_e32 v3, v3, v4
	s_waitcnt vmcnt(36) lgkmcnt(2)
	v_mul_f32_e32 v4, v155, v204
	v_fma_f32 v6, v151, v199, -v6
	v_fmac_f32_e32 v4, v156, v203
	v_add_f32_e32 v5, v5, v6
	v_mul_f32_e32 v6, v154, v202
	v_add_f32_e32 v3, v3, v4
	s_waitcnt vmcnt(34)
	v_mul_f32_e32 v4, v157, v206
	v_fma_f32 v6, v153, v201, -v6
	v_fmac_f32_e32 v4, v158, v205
	v_add_f32_e32 v5, v5, v6
	v_mul_f32_e32 v6, v156, v204
	v_add_f32_e32 v3, v3, v4
	s_waitcnt vmcnt(32) lgkmcnt(1)
	v_mul_f32_e32 v4, v159, v208
	v_fma_f32 v6, v155, v203, -v6
	v_fmac_f32_e32 v4, v160, v207
	v_add_f32_e32 v5, v5, v6
	v_mul_f32_e32 v6, v158, v206
	v_add_f32_e32 v3, v3, v4
	s_waitcnt vmcnt(30)
	v_mul_f32_e32 v4, v161, v210
	v_fma_f32 v6, v157, v205, -v6
	v_fmac_f32_e32 v4, v162, v209
	ds_read2_b64 v[167:170], v118 offset0:103 offset1:104
	ds_read2_b64 v[171:174], v118 offset0:105 offset1:106
	v_add_f32_e32 v5, v5, v6
	v_mul_f32_e32 v6, v160, v208
	v_add_f32_e32 v3, v3, v4
	s_waitcnt vmcnt(28) lgkmcnt(2)
	v_mul_f32_e32 v4, v163, v212
	v_fma_f32 v6, v159, v207, -v6
	v_fmac_f32_e32 v4, v164, v211
	v_add_f32_e32 v5, v5, v6
	v_mul_f32_e32 v6, v162, v210
	v_add_f32_e32 v3, v3, v4
	s_waitcnt vmcnt(26)
	v_mul_f32_e32 v4, v165, v214
	v_fma_f32 v6, v161, v209, -v6
	v_fmac_f32_e32 v4, v166, v213
	v_add_f32_e32 v5, v5, v6
	v_mul_f32_e32 v6, v164, v212
	v_add_f32_e32 v3, v3, v4
	s_waitcnt vmcnt(24) lgkmcnt(1)
	v_mul_f32_e32 v4, v167, v216
	v_fma_f32 v6, v163, v211, -v6
	v_fmac_f32_e32 v4, v168, v215
	v_add_f32_e32 v5, v5, v6
	v_mul_f32_e32 v6, v166, v214
	v_add_f32_e32 v3, v3, v4
	s_waitcnt vmcnt(23)
	v_mul_f32_e32 v4, v169, v217
	v_fma_f32 v6, v165, v213, -v6
	s_waitcnt vmcnt(20)
	v_fmac_f32_e32 v4, v170, v220
	ds_read2_b64 v[175:178], v118 offset0:107 offset1:108
	ds_read2_b64 v[179:182], v118 offset0:109 offset1:110
	v_add_f32_e32 v5, v5, v6
	v_mul_f32_e32 v6, v168, v216
	v_add_f32_e32 v3, v3, v4
	s_waitcnt lgkmcnt(2)
	v_mul_f32_e32 v4, v171, v219
	v_fma_f32 v6, v167, v215, -v6
	v_fmac_f32_e32 v4, v172, v218
	v_add_f32_e32 v5, v5, v6
	v_mul_f32_e32 v6, v170, v217
	v_add_f32_e32 v3, v3, v4
	s_waitcnt vmcnt(18)
	v_mul_f32_e32 v4, v173, v222
	v_fma_f32 v6, v169, v220, -v6
	v_fmac_f32_e32 v4, v174, v221
	v_add_f32_e32 v5, v5, v6
	v_mul_f32_e32 v6, v172, v219
	v_add_f32_e32 v3, v3, v4
	s_waitcnt vmcnt(16) lgkmcnt(1)
	v_mul_f32_e32 v4, v175, v224
	v_fma_f32 v6, v171, v218, -v6
	v_fmac_f32_e32 v4, v176, v223
	v_add_f32_e32 v5, v5, v6
	v_mul_f32_e32 v6, v174, v222
	v_add_f32_e32 v3, v3, v4
	s_waitcnt vmcnt(15)
	v_mul_f32_e32 v4, v177, v225
	v_fma_f32 v6, v173, v221, -v6
	s_waitcnt vmcnt(12)
	v_fmac_f32_e32 v4, v178, v228
	ds_read2_b64 v[183:186], v118 offset0:111 offset1:112
	ds_read2_b64 v[187:190], v118 offset0:113 offset1:114
	v_add_f32_e32 v5, v5, v6
	v_mul_f32_e32 v6, v176, v224
	v_add_f32_e32 v3, v3, v4
	s_waitcnt lgkmcnt(2)
	v_mul_f32_e32 v4, v179, v227
	v_fma_f32 v6, v175, v223, -v6
	v_fmac_f32_e32 v4, v180, v226
	v_add_f32_e32 v5, v5, v6
	v_mul_f32_e32 v6, v178, v225
	v_add_f32_e32 v3, v3, v4
	s_waitcnt vmcnt(10)
	v_mul_f32_e32 v4, v181, v230
	v_fma_f32 v6, v177, v228, -v6
	v_fmac_f32_e32 v4, v182, v229
	v_add_f32_e32 v5, v5, v6
	v_mul_f32_e32 v6, v180, v227
	v_add_f32_e32 v3, v3, v4
	s_waitcnt vmcnt(8) lgkmcnt(1)
	v_mul_f32_e32 v4, v183, v232
	v_fma_f32 v6, v179, v226, -v6
	v_fmac_f32_e32 v4, v184, v231
	v_add_f32_e32 v5, v5, v6
	v_mul_f32_e32 v6, v182, v230
	v_add_f32_e32 v3, v3, v4
	s_waitcnt vmcnt(7)
	v_mul_f32_e32 v4, v185, v233
	v_fma_f32 v6, v181, v229, -v6
	s_waitcnt vmcnt(4)
	v_fmac_f32_e32 v4, v186, v236
	v_add_f32_e32 v5, v5, v6
	v_mul_f32_e32 v6, v184, v232
	v_add_f32_e32 v241, v3, v4
	ds_read_b64 v[3:4], v118 offset:920
	v_fma_f32 v6, v183, v231, -v6
	s_waitcnt lgkmcnt(1)
	v_mul_f32_e32 v242, v187, v235
	v_add_f32_e32 v5, v5, v6
	v_mul_f32_e32 v6, v186, v233
	v_fmac_f32_e32 v242, v188, v234
	v_fma_f32 v6, v185, v236, -v6
	v_add_f32_e32 v241, v241, v242
	s_waitcnt vmcnt(3)
	v_mul_f32_e32 v242, v189, v237
	v_add_f32_e32 v5, v5, v6
	v_mul_f32_e32 v6, v188, v235
	s_waitcnt vmcnt(0)
	v_fmac_f32_e32 v242, v190, v240
	v_fma_f32 v6, v187, v234, -v6
	v_add_f32_e32 v241, v241, v242
	s_waitcnt lgkmcnt(0)
	v_mul_f32_e32 v242, v3, v239
	v_add_f32_e32 v5, v5, v6
	v_mul_f32_e32 v6, v190, v237
	v_fmac_f32_e32 v242, v4, v238
	v_fma_f32 v6, v189, v240, -v6
	v_mul_f32_e32 v4, v4, v239
	v_add_f32_e32 v5, v5, v6
	v_fma_f32 v3, v3, v238, -v4
	v_add_f32_e32 v3, v5, v3
	v_add_f32_e32 v241, v241, v242
	v_sub_f32_e32 v3, v195, v3
	v_sub_f32_e32 v4, v196, v241
	buffer_store_dword v3, off, s[0:3], 0 offset:160
	buffer_store_dword v4, off, s[0:3], 0 offset:164
	s_and_saveexec_b64 s[4:5], vcc
	s_cbranch_execz .LBB121_323
; %bb.322:
	buffer_load_dword v3, off, s[0:3], 0 offset:152
	buffer_load_dword v4, off, s[0:3], 0 offset:156
	s_waitcnt vmcnt(0)
	ds_write_b64 v117, v[3:4]
	buffer_store_dword v118, off, s[0:3], 0 offset:152
	buffer_store_dword v118, off, s[0:3], 0 offset:156
.LBB121_323:
	s_or_b64 exec, exec, s[4:5]
	s_waitcnt lgkmcnt(0)
	; wave barrier
	buffer_load_dword v3, off, s[0:3], 0 offset:164
	buffer_load_dword v4, off, s[0:3], 0 offset:172
	;; [unrolled: 1-line block ×32, first 2 shown]
	ds_read_b128 v[119:122], v118 offset:624
	ds_read_b128 v[123:126], v118 offset:640
	;; [unrolled: 1-line block ×6, first 2 shown]
	buffer_load_dword v199, off, s[0:3], 0 offset:280
	buffer_load_dword v200, off, s[0:3], 0 offset:284
	;; [unrolled: 1-line block ×32, first 2 shown]
	v_cmp_lt_u32_e32 vcc, 18, v0
	s_waitcnt vmcnt(62) lgkmcnt(5)
	v_mul_f32_e32 v143, v119, v3
	v_mul_f32_e32 v144, v121, v4
	s_waitcnt vmcnt(61) lgkmcnt(4)
	v_mul_f32_e32 v145, v123, v5
	s_waitcnt vmcnt(60)
	v_mul_f32_e32 v146, v125, v6
	s_waitcnt vmcnt(59) lgkmcnt(3)
	v_mul_f32_e32 v147, v127, v7
	s_waitcnt vmcnt(58)
	;; [unrolled: 4-line block ×4, first 2 shown]
	v_mul_f32_e32 v152, v137, v12
	s_waitcnt vmcnt(53)
	v_fmac_f32_e32 v145, v124, v13
	s_waitcnt vmcnt(52)
	v_fmac_f32_e32 v144, v122, v14
	s_waitcnt vmcnt(51)
	v_fmac_f32_e32 v143, v120, v15
	v_add_f32_e32 v143, 0, v143
	v_add_f32_e32 v143, v143, v144
	;; [unrolled: 1-line block ×3, first 2 shown]
	s_waitcnt vmcnt(47)
	v_fmac_f32_e32 v146, v126, v19
	v_fmac_f32_e32 v147, v128, v18
	v_add_f32_e32 v143, v143, v146
	v_fmac_f32_e32 v148, v130, v17
	v_add_f32_e32 v143, v143, v147
	;; [unrolled: 2-line block ×3, first 2 shown]
	s_waitcnt vmcnt(43)
	v_fmac_f32_e32 v150, v134, v23
	v_add_f32_e32 v143, v143, v149
	v_fmac_f32_e32 v151, v136, v22
	v_add_f32_e32 v143, v143, v150
	v_fmac_f32_e32 v152, v138, v21
	v_add_f32_e32 v143, v143, v151
	s_waitcnt vmcnt(42) lgkmcnt(0)
	v_mul_f32_e32 v144, v139, v24
	v_add_f32_e32 v143, v143, v152
	v_fmac_f32_e32 v144, v140, v20
	v_add_f32_e32 v147, v143, v144
	ds_read_b128 v[143:146], v118 offset:720
	buffer_load_dword v231, off, s[0:3], 0 offset:408
	buffer_load_dword v232, off, s[0:3], 0 offset:412
	s_waitcnt vmcnt(43)
	v_mul_f32_e32 v148, v141, v25
	s_waitcnt vmcnt(37)
	v_fmac_f32_e32 v148, v142, v195
	v_add_f32_e32 v151, v147, v148
	ds_read_b128 v[147:150], v118 offset:736
	buffer_load_dword v233, off, s[0:3], 0 offset:416
	buffer_load_dword v234, off, s[0:3], 0 offset:420
	;; [unrolled: 1-line block ×12, first 2 shown]
	v_mul_f32_e32 v3, v120, v3
	v_fma_f32 v3, v119, v15, -v3
	v_mul_f32_e32 v4, v122, v4
	v_add_f32_e32 v3, 0, v3
	v_fma_f32 v4, v121, v14, -v4
	v_add_f32_e32 v3, v3, v4
	v_mul_f32_e32 v4, v124, v5
	v_fma_f32 v4, v123, v13, -v4
	v_add_f32_e32 v3, v3, v4
	v_mul_f32_e32 v4, v126, v6
	v_fma_f32 v4, v125, v19, -v4
	s_waitcnt vmcnt(48) lgkmcnt(1)
	v_mul_f32_e32 v152, v143, v196
	v_add_f32_e32 v3, v3, v4
	v_mul_f32_e32 v4, v128, v7
	v_fmac_f32_e32 v152, v144, v30
	v_fma_f32 v4, v127, v18, -v4
	v_add_f32_e32 v151, v151, v152
	v_mul_f32_e32 v152, v145, v27
	v_add_f32_e32 v3, v3, v4
	v_mul_f32_e32 v4, v130, v8
	v_fmac_f32_e32 v152, v146, v26
	v_fma_f32 v4, v129, v17, -v4
	v_add_f32_e32 v151, v151, v152
	s_waitcnt lgkmcnt(0)
	v_mul_f32_e32 v152, v147, v29
	v_add_f32_e32 v3, v3, v4
	v_mul_f32_e32 v4, v132, v9
	v_fmac_f32_e32 v152, v148, v28
	v_fma_f32 v4, v131, v16, -v4
	v_add_f32_e32 v155, v151, v152
	ds_read_b128 v[151:154], v118 offset:752
	v_add_f32_e32 v3, v3, v4
	v_mul_f32_e32 v4, v134, v10
	v_fma_f32 v4, v133, v23, -v4
	s_waitcnt vmcnt(44)
	v_mul_f32_e32 v156, v149, v200
	v_add_f32_e32 v3, v3, v4
	v_mul_f32_e32 v4, v136, v11
	v_fmac_f32_e32 v156, v150, v199
	v_fma_f32 v4, v135, v22, -v4
	v_add_f32_e32 v159, v155, v156
	ds_read_b128 v[155:158], v118 offset:768
	v_add_f32_e32 v3, v3, v4
	v_mul_f32_e32 v4, v138, v12
	s_waitcnt vmcnt(42) lgkmcnt(1)
	v_mul_f32_e32 v160, v151, v202
	v_fma_f32 v4, v137, v21, -v4
	v_fmac_f32_e32 v160, v152, v201
	v_add_f32_e32 v3, v3, v4
	v_mul_f32_e32 v4, v140, v24
	v_add_f32_e32 v159, v159, v160
	s_waitcnt vmcnt(40)
	v_mul_f32_e32 v160, v153, v204
	v_fma_f32 v4, v139, v20, -v4
	v_fmac_f32_e32 v160, v154, v203
	v_add_f32_e32 v3, v3, v4
	v_mul_f32_e32 v4, v142, v25
	v_add_f32_e32 v159, v159, v160
	s_waitcnt vmcnt(38) lgkmcnt(0)
	v_mul_f32_e32 v160, v155, v206
	v_fma_f32 v4, v141, v195, -v4
	v_fmac_f32_e32 v160, v156, v205
	v_add_f32_e32 v3, v3, v4
	v_mul_f32_e32 v4, v144, v196
	v_add_f32_e32 v163, v159, v160
	ds_read_b128 v[159:162], v118 offset:784
	v_fma_f32 v4, v143, v30, -v4
	v_add_f32_e32 v3, v3, v4
	v_mul_f32_e32 v4, v146, v27
	s_waitcnt vmcnt(36)
	v_mul_f32_e32 v164, v157, v208
	v_fma_f32 v4, v145, v26, -v4
	v_fmac_f32_e32 v164, v158, v207
	v_add_f32_e32 v3, v3, v4
	v_mul_f32_e32 v4, v148, v29
	v_add_f32_e32 v167, v163, v164
	ds_read_b128 v[163:166], v118 offset:800
	v_fma_f32 v4, v147, v28, -v4
	s_waitcnt vmcnt(34) lgkmcnt(1)
	v_mul_f32_e32 v168, v159, v210
	v_add_f32_e32 v3, v3, v4
	v_mul_f32_e32 v4, v150, v200
	v_fmac_f32_e32 v168, v160, v209
	v_fma_f32 v4, v149, v199, -v4
	v_add_f32_e32 v167, v167, v168
	s_waitcnt vmcnt(32)
	v_mul_f32_e32 v168, v161, v212
	v_add_f32_e32 v3, v3, v4
	v_mul_f32_e32 v4, v152, v202
	v_fmac_f32_e32 v168, v162, v211
	v_fma_f32 v4, v151, v201, -v4
	v_add_f32_e32 v167, v167, v168
	s_waitcnt vmcnt(30) lgkmcnt(0)
	v_mul_f32_e32 v168, v163, v214
	v_add_f32_e32 v3, v3, v4
	v_mul_f32_e32 v4, v154, v204
	v_fmac_f32_e32 v168, v164, v213
	v_fma_f32 v4, v153, v203, -v4
	v_add_f32_e32 v171, v167, v168
	ds_read_b128 v[167:170], v118 offset:816
	v_add_f32_e32 v3, v3, v4
	v_mul_f32_e32 v4, v156, v206
	v_fma_f32 v4, v155, v205, -v4
	s_waitcnt vmcnt(28)
	v_mul_f32_e32 v172, v165, v216
	v_add_f32_e32 v3, v3, v4
	v_mul_f32_e32 v4, v158, v208
	v_fmac_f32_e32 v172, v166, v215
	v_fma_f32 v4, v157, v207, -v4
	v_add_f32_e32 v175, v171, v172
	ds_read_b128 v[171:174], v118 offset:832
	v_add_f32_e32 v3, v3, v4
	v_mul_f32_e32 v4, v160, v210
	s_waitcnt vmcnt(26) lgkmcnt(1)
	v_mul_f32_e32 v176, v167, v218
	v_fma_f32 v4, v159, v209, -v4
	v_fmac_f32_e32 v176, v168, v217
	v_add_f32_e32 v3, v3, v4
	v_mul_f32_e32 v4, v162, v212
	v_add_f32_e32 v175, v175, v176
	s_waitcnt vmcnt(25)
	v_mul_f32_e32 v176, v169, v219
	v_fma_f32 v4, v161, v211, -v4
	s_waitcnt vmcnt(22)
	v_fmac_f32_e32 v176, v170, v222
	v_add_f32_e32 v3, v3, v4
	v_mul_f32_e32 v4, v164, v214
	v_add_f32_e32 v175, v175, v176
	s_waitcnt lgkmcnt(0)
	v_mul_f32_e32 v176, v171, v221
	v_fma_f32 v4, v163, v213, -v4
	v_fmac_f32_e32 v176, v172, v220
	v_add_f32_e32 v3, v3, v4
	v_mul_f32_e32 v4, v166, v216
	v_add_f32_e32 v179, v175, v176
	ds_read_b128 v[175:178], v118 offset:848
	v_fma_f32 v4, v165, v215, -v4
	v_add_f32_e32 v3, v3, v4
	v_mul_f32_e32 v4, v168, v218
	s_waitcnt vmcnt(20)
	v_mul_f32_e32 v180, v173, v224
	v_fma_f32 v4, v167, v217, -v4
	v_fmac_f32_e32 v180, v174, v223
	v_add_f32_e32 v3, v3, v4
	v_mul_f32_e32 v4, v170, v219
	v_add_f32_e32 v183, v179, v180
	ds_read_b128 v[179:182], v118 offset:864
	v_fma_f32 v4, v169, v222, -v4
	s_waitcnt vmcnt(18) lgkmcnt(1)
	v_mul_f32_e32 v184, v175, v226
	v_add_f32_e32 v3, v3, v4
	v_mul_f32_e32 v4, v172, v221
	v_fmac_f32_e32 v184, v176, v225
	v_fma_f32 v4, v171, v220, -v4
	v_add_f32_e32 v183, v183, v184
	s_waitcnt vmcnt(17)
	v_mul_f32_e32 v184, v177, v227
	v_add_f32_e32 v3, v3, v4
	v_mul_f32_e32 v4, v174, v224
	s_waitcnt vmcnt(14)
	v_fmac_f32_e32 v184, v178, v230
	v_fma_f32 v4, v173, v223, -v4
	v_add_f32_e32 v183, v183, v184
	s_waitcnt lgkmcnt(0)
	v_mul_f32_e32 v184, v179, v229
	v_add_f32_e32 v3, v3, v4
	v_mul_f32_e32 v4, v176, v226
	v_fmac_f32_e32 v184, v180, v228
	v_fma_f32 v4, v175, v225, -v4
	v_add_f32_e32 v187, v183, v184
	ds_read_b128 v[183:186], v118 offset:880
	v_add_f32_e32 v3, v3, v4
	v_mul_f32_e32 v4, v178, v227
	v_fma_f32 v4, v177, v230, -v4
	v_add_f32_e32 v3, v3, v4
	v_mul_f32_e32 v4, v180, v229
	s_waitcnt vmcnt(12)
	v_mul_f32_e32 v188, v181, v232
	v_fma_f32 v4, v179, v228, -v4
	v_fmac_f32_e32 v188, v182, v231
	v_add_f32_e32 v3, v3, v4
	v_mul_f32_e32 v4, v182, v232
	v_add_f32_e32 v191, v187, v188
	ds_read_b128 v[187:190], v118 offset:896
	s_waitcnt vmcnt(10) lgkmcnt(1)
	v_mul_f32_e32 v192, v183, v234
	v_fma_f32 v4, v181, v231, -v4
	v_fmac_f32_e32 v192, v184, v233
	v_add_f32_e32 v3, v3, v4
	v_mul_f32_e32 v4, v184, v234
	v_add_f32_e32 v191, v191, v192
	s_waitcnt vmcnt(9)
	v_mul_f32_e32 v192, v185, v235
	v_fma_f32 v4, v183, v233, -v4
	s_waitcnt vmcnt(6)
	v_fmac_f32_e32 v192, v186, v238
	v_add_f32_e32 v3, v3, v4
	v_mul_f32_e32 v4, v186, v235
	v_add_f32_e32 v245, v191, v192
	ds_read_b128 v[191:194], v118 offset:912
	v_fma_f32 v4, v185, v238, -v4
	v_add_f32_e32 v3, v3, v4
	s_waitcnt lgkmcnt(1)
	v_mul_f32_e32 v4, v188, v237
	v_mul_f32_e32 v246, v187, v237
	v_fma_f32 v4, v187, v236, -v4
	v_fmac_f32_e32 v246, v188, v236
	v_add_f32_e32 v3, v3, v4
	s_waitcnt vmcnt(4)
	v_mul_f32_e32 v4, v190, v240
	v_add_f32_e32 v118, v245, v246
	v_mul_f32_e32 v245, v189, v240
	v_fma_f32 v4, v189, v239, -v4
	v_fmac_f32_e32 v245, v190, v239
	v_add_f32_e32 v3, v3, v4
	s_waitcnt vmcnt(3) lgkmcnt(0)
	v_mul_f32_e32 v4, v192, v241
	v_add_f32_e32 v118, v118, v245
	v_mul_f32_e32 v245, v191, v241
	s_waitcnt vmcnt(0)
	v_fma_f32 v4, v191, v244, -v4
	v_fmac_f32_e32 v245, v192, v244
	v_add_f32_e32 v3, v3, v4
	v_mul_f32_e32 v4, v194, v243
	v_add_f32_e32 v118, v118, v245
	v_mul_f32_e32 v245, v193, v243
	v_fma_f32 v4, v193, v242, -v4
	v_fmac_f32_e32 v245, v194, v242
	v_add_f32_e32 v3, v3, v4
	v_add_f32_e32 v118, v118, v245
	v_sub_f32_e32 v3, v197, v3
	v_sub_f32_e32 v4, v198, v118
	buffer_store_dword v3, off, s[0:3], 0 offset:152
	buffer_store_dword v4, off, s[0:3], 0 offset:156
	s_and_saveexec_b64 s[4:5], vcc
	s_cbranch_execz .LBB121_325
; %bb.324:
	buffer_load_dword v3, off, s[0:3], 0 offset:144
	buffer_load_dword v4, off, s[0:3], 0 offset:148
	v_mov_b32_e32 v5, 0
	buffer_store_dword v5, off, s[0:3], 0 offset:144
	buffer_store_dword v5, off, s[0:3], 0 offset:148
	s_waitcnt vmcnt(2)
	ds_write_b64 v117, v[3:4]
.LBB121_325:
	s_or_b64 exec, exec, s[4:5]
	s_waitcnt lgkmcnt(0)
	; wave barrier
	buffer_load_dword v5, off, s[0:3], 0 offset:156
	buffer_load_dword v6, off, s[0:3], 0 offset:164
	buffer_load_dword v7, off, s[0:3], 0 offset:172
	buffer_load_dword v8, off, s[0:3], 0 offset:180
	buffer_load_dword v9, off, s[0:3], 0 offset:188
	buffer_load_dword v10, off, s[0:3], 0 offset:196
	buffer_load_dword v11, off, s[0:3], 0 offset:204
	buffer_load_dword v12, off, s[0:3], 0 offset:212
	buffer_load_dword v13, off, s[0:3], 0 offset:220
	buffer_load_dword v14, off, s[0:3], 0 offset:228
	buffer_load_dword v15, off, s[0:3], 0 offset:236
	buffer_load_dword v16, off, s[0:3], 0 offset:168
	buffer_load_dword v17, off, s[0:3], 0 offset:160
	buffer_load_dword v18, off, s[0:3], 0 offset:152
	buffer_load_dword v19, off, s[0:3], 0 offset:200
	buffer_load_dword v20, off, s[0:3], 0 offset:192
	buffer_load_dword v21, off, s[0:3], 0 offset:184
	buffer_load_dword v22, off, s[0:3], 0 offset:176
	buffer_load_dword v23, off, s[0:3], 0 offset:232
	buffer_load_dword v24, off, s[0:3], 0 offset:224
	buffer_load_dword v25, off, s[0:3], 0 offset:216
	buffer_load_dword v26, off, s[0:3], 0 offset:208
	buffer_load_dword v27, off, s[0:3], 0 offset:244
	buffer_load_dword v28, off, s[0:3], 0 offset:248
	buffer_load_dword v29, off, s[0:3], 0 offset:252
	buffer_load_dword v30, off, s[0:3], 0 offset:256
	buffer_load_dword v195, off, s[0:3], 0 offset:260
	buffer_load_dword v196, off, s[0:3], 0 offset:264
	buffer_load_dword v197, off, s[0:3], 0 offset:268
	buffer_load_dword v198, off, s[0:3], 0 offset:240
	buffer_load_dword v199, off, s[0:3], 0 offset:144
	buffer_load_dword v200, off, s[0:3], 0 offset:148
	buffer_load_dword v201, off, s[0:3], 0 offset:272
	buffer_load_dword v202, off, s[0:3], 0 offset:276
	buffer_load_dword v203, off, s[0:3], 0 offset:280
	buffer_load_dword v204, off, s[0:3], 0 offset:284
	buffer_load_dword v205, off, s[0:3], 0 offset:288
	buffer_load_dword v206, off, s[0:3], 0 offset:292
	buffer_load_dword v207, off, s[0:3], 0 offset:296
	buffer_load_dword v208, off, s[0:3], 0 offset:300
	buffer_load_dword v209, off, s[0:3], 0 offset:304
	buffer_load_dword v210, off, s[0:3], 0 offset:308
	buffer_load_dword v211, off, s[0:3], 0 offset:312
	buffer_load_dword v212, off, s[0:3], 0 offset:316
	buffer_load_dword v213, off, s[0:3], 0 offset:320
	buffer_load_dword v214, off, s[0:3], 0 offset:324
	buffer_load_dword v215, off, s[0:3], 0 offset:328
	buffer_load_dword v216, off, s[0:3], 0 offset:332
	buffer_load_dword v217, off, s[0:3], 0 offset:336
	buffer_load_dword v218, off, s[0:3], 0 offset:340
	v_mov_b32_e32 v118, 0
	ds_read2_b64 v[119:122], v118 offset0:77 offset1:78
	ds_read2_b64 v[123:126], v118 offset0:79 offset1:80
	;; [unrolled: 1-line block ×6, first 2 shown]
	buffer_load_dword v219, off, s[0:3], 0 offset:344
	buffer_load_dword v220, off, s[0:3], 0 offset:348
	buffer_load_dword v221, off, s[0:3], 0 offset:356
	buffer_load_dword v222, off, s[0:3], 0 offset:360
	buffer_load_dword v223, off, s[0:3], 0 offset:364
	buffer_load_dword v224, off, s[0:3], 0 offset:352
	buffer_load_dword v225, off, s[0:3], 0 offset:368
	buffer_load_dword v226, off, s[0:3], 0 offset:372
	v_cmp_lt_u32_e32 vcc, 17, v0
	s_waitcnt vmcnt(57) lgkmcnt(5)
	v_mul_f32_e32 v3, v119, v5
	s_waitcnt vmcnt(56)
	v_mul_f32_e32 v4, v121, v6
	s_waitcnt vmcnt(55) lgkmcnt(4)
	v_mul_f32_e32 v143, v123, v7
	s_waitcnt vmcnt(54)
	v_mul_f32_e32 v144, v125, v8
	;; [unrolled: 4-line block ×5, first 2 shown]
	v_mul_f32_e32 v5, v120, v5
	s_waitcnt vmcnt(46)
	v_fmac_f32_e32 v143, v124, v16
	s_waitcnt vmcnt(45)
	v_fmac_f32_e32 v4, v122, v17
	s_waitcnt vmcnt(44)
	v_fmac_f32_e32 v3, v120, v18
	v_add_f32_e32 v3, 0, v3
	v_add_f32_e32 v3, v3, v4
	;; [unrolled: 1-line block ×3, first 2 shown]
	s_waitcnt vmcnt(40)
	v_fmac_f32_e32 v144, v126, v22
	v_fmac_f32_e32 v145, v128, v21
	v_add_f32_e32 v3, v3, v144
	v_fmac_f32_e32 v146, v130, v20
	v_add_f32_e32 v3, v3, v145
	;; [unrolled: 2-line block ×3, first 2 shown]
	s_waitcnt vmcnt(36)
	v_fmac_f32_e32 v148, v134, v26
	v_add_f32_e32 v3, v3, v147
	ds_read2_b64 v[143:146], v118 offset0:89 offset1:90
	buffer_load_dword v227, off, s[0:3], 0 offset:376
	buffer_load_dword v228, off, s[0:3], 0 offset:380
	;; [unrolled: 1-line block ×6, first 2 shown]
	v_fmac_f32_e32 v149, v136, v25
	v_add_f32_e32 v3, v3, v148
	v_fmac_f32_e32 v150, v138, v24
	v_add_f32_e32 v3, v3, v149
	v_add_f32_e32 v3, v3, v150
	ds_read2_b64 v[147:150], v118 offset0:91 offset1:92
	buffer_load_dword v233, off, s[0:3], 0 offset:400
	buffer_load_dword v234, off, s[0:3], 0 offset:404
	;; [unrolled: 1-line block ×16, first 2 shown]
	v_fma_f32 v5, v119, v18, -v5
	v_mul_f32_e32 v6, v122, v6
	v_add_f32_e32 v5, 0, v5
	v_fma_f32 v6, v121, v17, -v6
	v_add_f32_e32 v5, v5, v6
	v_mul_f32_e32 v6, v124, v7
	v_fma_f32 v6, v123, v16, -v6
	v_add_f32_e32 v5, v5, v6
	v_mul_f32_e32 v6, v126, v8
	;; [unrolled: 3-line block ×7, first 2 shown]
	v_fma_f32 v6, v135, v25, -v6
	s_waitcnt lgkmcnt(2)
	v_mul_f32_e32 v151, v139, v15
	v_add_f32_e32 v5, v5, v6
	v_mul_f32_e32 v6, v138, v14
	v_fmac_f32_e32 v151, v140, v23
	s_waitcnt vmcnt(57)
	v_mul_f32_e32 v4, v141, v27
	v_fma_f32 v6, v137, v24, -v6
	v_add_f32_e32 v3, v3, v151
	s_waitcnt vmcnt(50)
	v_fmac_f32_e32 v4, v142, v198
	v_add_f32_e32 v5, v5, v6
	v_mul_f32_e32 v6, v140, v15
	v_add_f32_e32 v3, v3, v4
	s_waitcnt lgkmcnt(1)
	v_mul_f32_e32 v4, v143, v29
	v_fma_f32 v6, v139, v23, -v6
	v_fmac_f32_e32 v4, v144, v28
	v_add_f32_e32 v5, v5, v6
	v_mul_f32_e32 v6, v142, v27
	v_add_f32_e32 v3, v3, v4
	v_mul_f32_e32 v4, v145, v195
	v_fma_f32 v6, v141, v198, -v6
	v_fmac_f32_e32 v4, v146, v30
	ds_read2_b64 v[151:154], v118 offset0:93 offset1:94
	ds_read2_b64 v[155:158], v118 offset0:95 offset1:96
	v_add_f32_e32 v5, v5, v6
	v_mul_f32_e32 v6, v144, v29
	v_add_f32_e32 v3, v3, v4
	s_waitcnt lgkmcnt(2)
	v_mul_f32_e32 v4, v147, v197
	v_fma_f32 v6, v143, v28, -v6
	v_fmac_f32_e32 v4, v148, v196
	v_add_f32_e32 v5, v5, v6
	v_mul_f32_e32 v6, v146, v195
	v_add_f32_e32 v3, v3, v4
	s_waitcnt vmcnt(46)
	v_mul_f32_e32 v4, v149, v202
	v_fma_f32 v6, v145, v30, -v6
	v_fmac_f32_e32 v4, v150, v201
	v_add_f32_e32 v5, v5, v6
	v_mul_f32_e32 v6, v148, v197
	v_add_f32_e32 v3, v3, v4
	s_waitcnt vmcnt(44) lgkmcnt(1)
	v_mul_f32_e32 v4, v151, v204
	v_fma_f32 v6, v147, v196, -v6
	v_fmac_f32_e32 v4, v152, v203
	v_add_f32_e32 v5, v5, v6
	v_mul_f32_e32 v6, v150, v202
	v_add_f32_e32 v3, v3, v4
	s_waitcnt vmcnt(42)
	v_mul_f32_e32 v4, v153, v206
	v_fma_f32 v6, v149, v201, -v6
	v_fmac_f32_e32 v4, v154, v205
	ds_read2_b64 v[159:162], v118 offset0:97 offset1:98
	ds_read2_b64 v[163:166], v118 offset0:99 offset1:100
	v_add_f32_e32 v5, v5, v6
	v_mul_f32_e32 v6, v152, v204
	v_add_f32_e32 v3, v3, v4
	s_waitcnt vmcnt(40) lgkmcnt(2)
	v_mul_f32_e32 v4, v155, v208
	v_fma_f32 v6, v151, v203, -v6
	v_fmac_f32_e32 v4, v156, v207
	v_add_f32_e32 v5, v5, v6
	v_mul_f32_e32 v6, v154, v206
	v_add_f32_e32 v3, v3, v4
	s_waitcnt vmcnt(38)
	v_mul_f32_e32 v4, v157, v210
	v_fma_f32 v6, v153, v205, -v6
	v_fmac_f32_e32 v4, v158, v209
	v_add_f32_e32 v5, v5, v6
	v_mul_f32_e32 v6, v156, v208
	v_add_f32_e32 v3, v3, v4
	s_waitcnt vmcnt(36) lgkmcnt(1)
	v_mul_f32_e32 v4, v159, v212
	v_fma_f32 v6, v155, v207, -v6
	v_fmac_f32_e32 v4, v160, v211
	v_add_f32_e32 v5, v5, v6
	v_mul_f32_e32 v6, v158, v210
	v_add_f32_e32 v3, v3, v4
	s_waitcnt vmcnt(34)
	v_mul_f32_e32 v4, v161, v214
	v_fma_f32 v6, v157, v209, -v6
	v_fmac_f32_e32 v4, v162, v213
	ds_read2_b64 v[167:170], v118 offset0:101 offset1:102
	ds_read2_b64 v[171:174], v118 offset0:103 offset1:104
	v_add_f32_e32 v5, v5, v6
	v_mul_f32_e32 v6, v160, v212
	v_add_f32_e32 v3, v3, v4
	s_waitcnt vmcnt(32) lgkmcnt(2)
	v_mul_f32_e32 v4, v163, v216
	v_fma_f32 v6, v159, v211, -v6
	v_fmac_f32_e32 v4, v164, v215
	v_add_f32_e32 v5, v5, v6
	v_mul_f32_e32 v6, v162, v214
	v_add_f32_e32 v3, v3, v4
	s_waitcnt vmcnt(30)
	v_mul_f32_e32 v4, v165, v218
	v_fma_f32 v6, v161, v213, -v6
	v_fmac_f32_e32 v4, v166, v217
	v_add_f32_e32 v5, v5, v6
	v_mul_f32_e32 v6, v164, v216
	v_add_f32_e32 v3, v3, v4
	s_waitcnt vmcnt(28) lgkmcnt(1)
	v_mul_f32_e32 v4, v167, v220
	v_fma_f32 v6, v163, v215, -v6
	v_fmac_f32_e32 v4, v168, v219
	v_add_f32_e32 v5, v5, v6
	v_mul_f32_e32 v6, v166, v218
	v_add_f32_e32 v3, v3, v4
	s_waitcnt vmcnt(27)
	v_mul_f32_e32 v4, v169, v221
	v_fma_f32 v6, v165, v217, -v6
	s_waitcnt vmcnt(24)
	v_fmac_f32_e32 v4, v170, v224
	ds_read2_b64 v[175:178], v118 offset0:105 offset1:106
	ds_read2_b64 v[179:182], v118 offset0:107 offset1:108
	v_add_f32_e32 v5, v5, v6
	v_mul_f32_e32 v6, v168, v220
	v_add_f32_e32 v3, v3, v4
	s_waitcnt lgkmcnt(2)
	v_mul_f32_e32 v4, v171, v223
	v_fma_f32 v6, v167, v219, -v6
	v_fmac_f32_e32 v4, v172, v222
	v_add_f32_e32 v5, v5, v6
	v_mul_f32_e32 v6, v170, v221
	v_add_f32_e32 v3, v3, v4
	s_waitcnt vmcnt(22)
	v_mul_f32_e32 v4, v173, v226
	v_fma_f32 v6, v169, v224, -v6
	v_fmac_f32_e32 v4, v174, v225
	v_add_f32_e32 v5, v5, v6
	v_mul_f32_e32 v6, v172, v223
	v_add_f32_e32 v3, v3, v4
	s_waitcnt vmcnt(20) lgkmcnt(1)
	v_mul_f32_e32 v4, v175, v228
	v_fma_f32 v6, v171, v222, -v6
	v_fmac_f32_e32 v4, v176, v227
	v_add_f32_e32 v5, v5, v6
	v_mul_f32_e32 v6, v174, v226
	v_add_f32_e32 v3, v3, v4
	s_waitcnt vmcnt(19)
	v_mul_f32_e32 v4, v177, v229
	v_fma_f32 v6, v173, v225, -v6
	s_waitcnt vmcnt(16)
	v_fmac_f32_e32 v4, v178, v232
	ds_read2_b64 v[183:186], v118 offset0:109 offset1:110
	ds_read2_b64 v[187:190], v118 offset0:111 offset1:112
	v_add_f32_e32 v5, v5, v6
	v_mul_f32_e32 v6, v176, v228
	v_add_f32_e32 v3, v3, v4
	s_waitcnt lgkmcnt(2)
	v_mul_f32_e32 v4, v179, v231
	v_fma_f32 v6, v175, v227, -v6
	v_fmac_f32_e32 v4, v180, v230
	v_add_f32_e32 v5, v5, v6
	v_mul_f32_e32 v6, v178, v229
	v_add_f32_e32 v3, v3, v4
	s_waitcnt vmcnt(14)
	v_mul_f32_e32 v4, v181, v234
	v_fma_f32 v6, v177, v232, -v6
	v_fmac_f32_e32 v4, v182, v233
	v_add_f32_e32 v5, v5, v6
	v_mul_f32_e32 v6, v180, v231
	v_add_f32_e32 v3, v3, v4
	s_waitcnt vmcnt(12) lgkmcnt(1)
	v_mul_f32_e32 v4, v183, v236
	v_fma_f32 v6, v179, v230, -v6
	v_fmac_f32_e32 v4, v184, v235
	v_add_f32_e32 v5, v5, v6
	v_mul_f32_e32 v6, v182, v234
	v_add_f32_e32 v3, v3, v4
	s_waitcnt vmcnt(11)
	v_mul_f32_e32 v4, v185, v237
	v_fma_f32 v6, v181, v233, -v6
	s_waitcnt vmcnt(8)
	v_fmac_f32_e32 v4, v186, v240
	v_add_f32_e32 v5, v5, v6
	v_mul_f32_e32 v6, v184, v236
	v_add_f32_e32 v3, v3, v4
	s_waitcnt lgkmcnt(0)
	v_mul_f32_e32 v4, v187, v239
	ds_read2_b64 v[191:194], v118 offset0:113 offset1:114
	v_fma_f32 v6, v183, v235, -v6
	v_fmac_f32_e32 v4, v188, v238
	v_add_f32_e32 v5, v5, v6
	v_mul_f32_e32 v6, v186, v237
	v_add_f32_e32 v3, v3, v4
	s_waitcnt vmcnt(6)
	v_mul_f32_e32 v4, v189, v242
	v_fma_f32 v6, v185, v240, -v6
	v_fmac_f32_e32 v4, v190, v241
	v_add_f32_e32 v5, v5, v6
	v_mul_f32_e32 v6, v188, v239
	v_add_f32_e32 v249, v3, v4
	ds_read_b64 v[3:4], v118 offset:920
	v_fma_f32 v6, v187, v238, -v6
	s_waitcnt vmcnt(4) lgkmcnt(1)
	v_mul_f32_e32 v250, v191, v244
	v_add_f32_e32 v5, v5, v6
	v_mul_f32_e32 v6, v190, v242
	v_fmac_f32_e32 v250, v192, v243
	v_fma_f32 v6, v189, v241, -v6
	v_add_f32_e32 v249, v249, v250
	s_waitcnt vmcnt(3)
	v_mul_f32_e32 v250, v193, v245
	v_add_f32_e32 v5, v5, v6
	v_mul_f32_e32 v6, v192, v244
	s_waitcnt vmcnt(0)
	v_fmac_f32_e32 v250, v194, v248
	v_fma_f32 v6, v191, v243, -v6
	v_add_f32_e32 v249, v249, v250
	s_waitcnt lgkmcnt(0)
	v_mul_f32_e32 v250, v3, v247
	v_add_f32_e32 v5, v5, v6
	v_mul_f32_e32 v6, v194, v245
	v_fmac_f32_e32 v250, v4, v246
	v_fma_f32 v6, v193, v248, -v6
	v_mul_f32_e32 v4, v4, v247
	v_add_f32_e32 v5, v5, v6
	v_fma_f32 v3, v3, v246, -v4
	v_add_f32_e32 v3, v5, v3
	v_add_f32_e32 v249, v249, v250
	v_sub_f32_e32 v3, v199, v3
	v_sub_f32_e32 v4, v200, v249
	buffer_store_dword v3, off, s[0:3], 0 offset:144
	buffer_store_dword v4, off, s[0:3], 0 offset:148
	s_and_saveexec_b64 s[4:5], vcc
	s_cbranch_execz .LBB121_327
; %bb.326:
	buffer_load_dword v3, off, s[0:3], 0 offset:136
	buffer_load_dword v4, off, s[0:3], 0 offset:140
	s_waitcnt vmcnt(0)
	ds_write_b64 v117, v[3:4]
	buffer_store_dword v118, off, s[0:3], 0 offset:136
	buffer_store_dword v118, off, s[0:3], 0 offset:140
.LBB121_327:
	s_or_b64 exec, exec, s[4:5]
	s_waitcnt lgkmcnt(0)
	; wave barrier
	buffer_load_dword v3, off, s[0:3], 0 offset:148
	buffer_load_dword v4, off, s[0:3], 0 offset:156
	;; [unrolled: 1-line block ×32, first 2 shown]
	ds_read_b128 v[119:122], v118 offset:608
	ds_read_b128 v[123:126], v118 offset:624
	;; [unrolled: 1-line block ×6, first 2 shown]
	buffer_load_dword v203, off, s[0:3], 0 offset:264
	buffer_load_dword v204, off, s[0:3], 0 offset:268
	;; [unrolled: 1-line block ×26, first 2 shown]
	v_cmp_lt_u32_e32 vcc, 16, v0
	s_waitcnt vmcnt(57) lgkmcnt(5)
	v_mul_f32_e32 v143, v119, v3
	s_waitcnt vmcnt(56)
	v_mul_f32_e32 v144, v121, v4
	s_waitcnt vmcnt(55) lgkmcnt(4)
	v_mul_f32_e32 v145, v123, v5
	s_waitcnt vmcnt(54)
	v_mul_f32_e32 v146, v125, v6
	s_waitcnt vmcnt(53) lgkmcnt(3)
	v_mul_f32_e32 v147, v127, v7
	s_waitcnt vmcnt(52)
	v_mul_f32_e32 v148, v129, v8
	s_waitcnt vmcnt(51) lgkmcnt(2)
	v_mul_f32_e32 v149, v131, v9
	s_waitcnt vmcnt(50)
	v_mul_f32_e32 v150, v133, v10
	s_waitcnt vmcnt(49) lgkmcnt(1)
	v_mul_f32_e32 v151, v135, v11
	s_waitcnt vmcnt(48)
	v_mul_f32_e32 v152, v137, v12
	s_waitcnt vmcnt(47) lgkmcnt(0)
	v_mul_f32_e32 v153, v139, v13
	s_waitcnt vmcnt(46)
	v_fmac_f32_e32 v145, v124, v14
	s_waitcnt vmcnt(45)
	v_fmac_f32_e32 v144, v122, v15
	;; [unrolled: 2-line block ×3, first 2 shown]
	v_add_f32_e32 v143, 0, v143
	v_add_f32_e32 v143, v143, v144
	;; [unrolled: 1-line block ×3, first 2 shown]
	s_waitcnt vmcnt(40)
	v_fmac_f32_e32 v146, v126, v20
	v_fmac_f32_e32 v147, v128, v19
	v_add_f32_e32 v143, v143, v146
	v_fmac_f32_e32 v148, v130, v18
	v_add_f32_e32 v143, v143, v147
	;; [unrolled: 2-line block ×3, first 2 shown]
	s_waitcnt vmcnt(36)
	v_fmac_f32_e32 v150, v134, v24
	v_add_f32_e32 v143, v143, v149
	v_fmac_f32_e32 v151, v136, v23
	v_add_f32_e32 v143, v143, v150
	;; [unrolled: 2-line block ×4, first 2 shown]
	v_add_f32_e32 v147, v143, v153
	ds_read_b128 v[143:146], v118 offset:704
	buffer_load_dword v229, off, s[0:3], 0 offset:368
	buffer_load_dword v230, off, s[0:3], 0 offset:372
	;; [unrolled: 1-line block ×6, first 2 shown]
	s_waitcnt vmcnt(41)
	v_mul_f32_e32 v148, v141, v25
	s_waitcnt vmcnt(35)
	v_fmac_f32_e32 v148, v142, v199
	v_add_f32_e32 v151, v147, v148
	ds_read_b128 v[147:150], v118 offset:720
	buffer_load_dword v235, off, s[0:3], 0 offset:392
	buffer_load_dword v236, off, s[0:3], 0 offset:396
	buffer_load_dword v237, off, s[0:3], 0 offset:400
	buffer_load_dword v238, off, s[0:3], 0 offset:404
	buffer_load_dword v239, off, s[0:3], 0 offset:412
	buffer_load_dword v240, off, s[0:3], 0 offset:416
	buffer_load_dword v241, off, s[0:3], 0 offset:420
	buffer_load_dword v242, off, s[0:3], 0 offset:408
	buffer_load_dword v243, off, s[0:3], 0 offset:424
	buffer_load_dword v244, off, s[0:3], 0 offset:428
	s_waitcnt vmcnt(44) lgkmcnt(1)
	v_mul_f32_e32 v152, v143, v200
	v_fmac_f32_e32 v152, v144, v30
	v_add_f32_e32 v151, v151, v152
	v_mul_f32_e32 v152, v145, v27
	v_fmac_f32_e32 v152, v146, v26
	v_add_f32_e32 v151, v151, v152
	s_waitcnt lgkmcnt(0)
	v_mul_f32_e32 v152, v147, v29
	buffer_load_dword v245, off, s[0:3], 0 offset:432
	buffer_load_dword v246, off, s[0:3], 0 offset:436
	;; [unrolled: 1-line block ×6, first 2 shown]
	v_fmac_f32_e32 v152, v148, v28
	s_waitcnt vmcnt(46)
	v_mul_f32_e32 v156, v149, v204
	v_add_f32_e32 v155, v151, v152
	v_fmac_f32_e32 v156, v150, v203
	ds_read_b128 v[151:154], v118 offset:736
	v_add_f32_e32 v159, v155, v156
	ds_read_b128 v[155:158], v118 offset:752
	buffer_load_dword v251, off, s[0:3], 0 offset:456
	buffer_load_dword v252, off, s[0:3], 0 offset:460
	v_mul_f32_e32 v3, v120, v3
	v_fma_f32 v3, v119, v16, -v3
	v_mul_f32_e32 v4, v122, v4
	v_add_f32_e32 v3, 0, v3
	v_fma_f32 v4, v121, v15, -v4
	v_add_f32_e32 v3, v3, v4
	v_mul_f32_e32 v4, v124, v5
	v_fma_f32 v4, v123, v14, -v4
	v_add_f32_e32 v3, v3, v4
	v_mul_f32_e32 v4, v126, v6
	;; [unrolled: 3-line block ×7, first 2 shown]
	s_waitcnt vmcnt(46) lgkmcnt(1)
	v_mul_f32_e32 v160, v151, v206
	v_fma_f32 v4, v135, v23, -v4
	v_fmac_f32_e32 v160, v152, v205
	v_add_f32_e32 v3, v3, v4
	v_mul_f32_e32 v4, v138, v12
	v_add_f32_e32 v159, v159, v160
	s_waitcnt vmcnt(44)
	v_mul_f32_e32 v160, v153, v208
	v_fma_f32 v4, v137, v22, -v4
	v_fmac_f32_e32 v160, v154, v207
	v_add_f32_e32 v3, v3, v4
	v_mul_f32_e32 v4, v140, v13
	v_add_f32_e32 v159, v159, v160
	s_waitcnt vmcnt(42) lgkmcnt(0)
	v_mul_f32_e32 v160, v155, v210
	v_fma_f32 v4, v139, v21, -v4
	v_fmac_f32_e32 v160, v156, v209
	v_add_f32_e32 v3, v3, v4
	v_mul_f32_e32 v4, v142, v25
	v_add_f32_e32 v163, v159, v160
	ds_read_b128 v[159:162], v118 offset:768
	v_fma_f32 v4, v141, v199, -v4
	v_add_f32_e32 v3, v3, v4
	v_mul_f32_e32 v4, v144, v200
	s_waitcnt vmcnt(40)
	v_mul_f32_e32 v164, v157, v212
	v_fma_f32 v4, v143, v30, -v4
	v_fmac_f32_e32 v164, v158, v211
	v_add_f32_e32 v3, v3, v4
	v_mul_f32_e32 v4, v146, v27
	v_add_f32_e32 v167, v163, v164
	ds_read_b128 v[163:166], v118 offset:784
	v_fma_f32 v4, v145, v26, -v4
	s_waitcnt vmcnt(38) lgkmcnt(1)
	v_mul_f32_e32 v168, v159, v214
	v_add_f32_e32 v3, v3, v4
	v_mul_f32_e32 v4, v148, v29
	v_fmac_f32_e32 v168, v160, v213
	v_fma_f32 v4, v147, v28, -v4
	v_add_f32_e32 v167, v167, v168
	s_waitcnt vmcnt(36)
	v_mul_f32_e32 v168, v161, v216
	v_add_f32_e32 v3, v3, v4
	v_mul_f32_e32 v4, v150, v204
	v_fmac_f32_e32 v168, v162, v215
	v_fma_f32 v4, v149, v203, -v4
	v_add_f32_e32 v167, v167, v168
	s_waitcnt vmcnt(34) lgkmcnt(0)
	v_mul_f32_e32 v168, v163, v218
	v_add_f32_e32 v3, v3, v4
	v_mul_f32_e32 v4, v152, v206
	v_fmac_f32_e32 v168, v164, v217
	v_fma_f32 v4, v151, v205, -v4
	v_add_f32_e32 v171, v167, v168
	ds_read_b128 v[167:170], v118 offset:800
	v_add_f32_e32 v3, v3, v4
	v_mul_f32_e32 v4, v154, v208
	v_fma_f32 v4, v153, v207, -v4
	s_waitcnt vmcnt(32)
	v_mul_f32_e32 v172, v165, v220
	v_add_f32_e32 v3, v3, v4
	v_mul_f32_e32 v4, v156, v210
	v_fmac_f32_e32 v172, v166, v219
	v_fma_f32 v4, v155, v209, -v4
	v_add_f32_e32 v175, v171, v172
	ds_read_b128 v[171:174], v118 offset:816
	v_add_f32_e32 v3, v3, v4
	v_mul_f32_e32 v4, v158, v212
	s_waitcnt vmcnt(30) lgkmcnt(1)
	v_mul_f32_e32 v176, v167, v222
	v_fma_f32 v4, v157, v211, -v4
	v_fmac_f32_e32 v176, v168, v221
	v_add_f32_e32 v3, v3, v4
	v_mul_f32_e32 v4, v160, v214
	v_add_f32_e32 v175, v175, v176
	s_waitcnt vmcnt(29)
	v_mul_f32_e32 v176, v169, v223
	v_fma_f32 v4, v159, v213, -v4
	s_waitcnt vmcnt(26)
	v_fmac_f32_e32 v176, v170, v226
	v_add_f32_e32 v3, v3, v4
	v_mul_f32_e32 v4, v162, v216
	v_add_f32_e32 v175, v175, v176
	s_waitcnt lgkmcnt(0)
	v_mul_f32_e32 v176, v171, v225
	v_fma_f32 v4, v161, v215, -v4
	v_fmac_f32_e32 v176, v172, v224
	v_add_f32_e32 v3, v3, v4
	v_mul_f32_e32 v4, v164, v218
	v_add_f32_e32 v179, v175, v176
	ds_read_b128 v[175:178], v118 offset:832
	v_fma_f32 v4, v163, v217, -v4
	v_add_f32_e32 v3, v3, v4
	v_mul_f32_e32 v4, v166, v220
	s_waitcnt vmcnt(24)
	v_mul_f32_e32 v180, v173, v228
	v_fma_f32 v4, v165, v219, -v4
	v_fmac_f32_e32 v180, v174, v227
	v_add_f32_e32 v3, v3, v4
	v_mul_f32_e32 v4, v168, v222
	v_add_f32_e32 v183, v179, v180
	ds_read_b128 v[179:182], v118 offset:848
	v_fma_f32 v4, v167, v221, -v4
	s_waitcnt vmcnt(22) lgkmcnt(1)
	v_mul_f32_e32 v184, v175, v230
	v_add_f32_e32 v3, v3, v4
	v_mul_f32_e32 v4, v170, v223
	v_fmac_f32_e32 v184, v176, v229
	v_fma_f32 v4, v169, v226, -v4
	v_add_f32_e32 v183, v183, v184
	s_waitcnt vmcnt(21)
	v_mul_f32_e32 v184, v177, v231
	v_add_f32_e32 v3, v3, v4
	v_mul_f32_e32 v4, v172, v225
	s_waitcnt vmcnt(18)
	v_fmac_f32_e32 v184, v178, v234
	v_fma_f32 v4, v171, v224, -v4
	v_add_f32_e32 v183, v183, v184
	s_waitcnt lgkmcnt(0)
	v_mul_f32_e32 v184, v179, v233
	v_add_f32_e32 v3, v3, v4
	v_mul_f32_e32 v4, v174, v228
	v_fmac_f32_e32 v184, v180, v232
	v_fma_f32 v4, v173, v227, -v4
	v_add_f32_e32 v187, v183, v184
	ds_read_b128 v[183:186], v118 offset:864
	v_add_f32_e32 v3, v3, v4
	v_mul_f32_e32 v4, v176, v230
	v_fma_f32 v4, v175, v229, -v4
	s_waitcnt vmcnt(16)
	v_mul_f32_e32 v188, v181, v236
	v_add_f32_e32 v3, v3, v4
	v_mul_f32_e32 v4, v178, v231
	v_fmac_f32_e32 v188, v182, v235
	v_fma_f32 v4, v177, v234, -v4
	v_add_f32_e32 v191, v187, v188
	ds_read_b128 v[187:190], v118 offset:880
	v_add_f32_e32 v3, v3, v4
	v_mul_f32_e32 v4, v180, v233
	s_waitcnt vmcnt(14) lgkmcnt(1)
	v_mul_f32_e32 v192, v183, v238
	v_fma_f32 v4, v179, v232, -v4
	v_fmac_f32_e32 v192, v184, v237
	v_add_f32_e32 v3, v3, v4
	v_mul_f32_e32 v4, v182, v236
	v_add_f32_e32 v191, v191, v192
	s_waitcnt vmcnt(13)
	v_mul_f32_e32 v192, v185, v239
	v_fma_f32 v4, v181, v235, -v4
	s_waitcnt vmcnt(10)
	v_fmac_f32_e32 v192, v186, v242
	v_add_f32_e32 v3, v3, v4
	v_mul_f32_e32 v4, v184, v238
	v_add_f32_e32 v191, v191, v192
	s_waitcnt lgkmcnt(0)
	v_mul_f32_e32 v192, v187, v241
	v_fma_f32 v4, v183, v237, -v4
	v_fmac_f32_e32 v192, v188, v240
	v_add_f32_e32 v3, v3, v4
	v_mul_f32_e32 v4, v186, v239
	v_add_f32_e32 v195, v191, v192
	ds_read_b128 v[191:194], v118 offset:896
	v_fma_f32 v4, v185, v242, -v4
	v_add_f32_e32 v3, v3, v4
	v_mul_f32_e32 v4, v188, v241
	s_waitcnt vmcnt(8)
	v_mul_f32_e32 v196, v189, v244
	v_fma_f32 v4, v187, v240, -v4
	v_fmac_f32_e32 v196, v190, v243
	v_add_f32_e32 v3, v3, v4
	v_mul_f32_e32 v4, v190, v244
	v_add_f32_e32 v253, v195, v196
	ds_read_b128 v[195:198], v118 offset:912
	v_fma_f32 v4, v189, v243, -v4
	v_add_f32_e32 v3, v3, v4
	s_waitcnt vmcnt(6) lgkmcnt(1)
	v_mul_f32_e32 v4, v192, v246
	v_mul_f32_e32 v118, v191, v246
	v_fma_f32 v4, v191, v245, -v4
	v_fmac_f32_e32 v118, v192, v245
	v_add_f32_e32 v3, v3, v4
	s_waitcnt vmcnt(5)
	v_mul_f32_e32 v4, v194, v247
	v_add_f32_e32 v118, v253, v118
	v_mul_f32_e32 v253, v193, v247
	s_waitcnt vmcnt(2)
	v_fma_f32 v4, v193, v250, -v4
	v_fmac_f32_e32 v253, v194, v250
	v_add_f32_e32 v3, v3, v4
	s_waitcnt lgkmcnt(0)
	v_mul_f32_e32 v4, v196, v249
	v_add_f32_e32 v118, v118, v253
	v_mul_f32_e32 v253, v195, v249
	v_fma_f32 v4, v195, v248, -v4
	v_fmac_f32_e32 v253, v196, v248
	v_add_f32_e32 v3, v3, v4
	s_waitcnt vmcnt(0)
	v_mul_f32_e32 v4, v198, v252
	v_add_f32_e32 v118, v118, v253
	v_mul_f32_e32 v253, v197, v252
	v_fma_f32 v4, v197, v251, -v4
	v_fmac_f32_e32 v253, v198, v251
	v_add_f32_e32 v3, v3, v4
	v_add_f32_e32 v118, v118, v253
	v_sub_f32_e32 v3, v201, v3
	v_sub_f32_e32 v4, v202, v118
	buffer_store_dword v3, off, s[0:3], 0 offset:136
	buffer_store_dword v4, off, s[0:3], 0 offset:140
	s_and_saveexec_b64 s[4:5], vcc
	s_cbranch_execz .LBB121_329
; %bb.328:
	buffer_load_dword v3, off, s[0:3], 0 offset:128
	buffer_load_dword v4, off, s[0:3], 0 offset:132
	v_mov_b32_e32 v5, 0
	buffer_store_dword v5, off, s[0:3], 0 offset:128
	buffer_store_dword v5, off, s[0:3], 0 offset:132
	s_waitcnt vmcnt(2)
	ds_write_b64 v117, v[3:4]
.LBB121_329:
	s_or_b64 exec, exec, s[4:5]
	s_waitcnt lgkmcnt(0)
	; wave barrier
	buffer_load_dword v127, off, s[0:3], 0 offset:140
	buffer_load_dword v126, off, s[0:3], 0 offset:148
	;; [unrolled: 1-line block ×32, first 2 shown]
	v_mov_b32_e32 v118, 0
	buffer_load_dword v28, off, s[0:3], 0 offset:256
	buffer_load_dword v29, off, s[0:3], 0 offset:260
	;; [unrolled: 1-line block ×18, first 2 shown]
	ds_read2_b64 v[128:131], v118 offset0:75 offset1:76
	ds_read2_b64 v[132:135], v118 offset0:77 offset1:78
	;; [unrolled: 1-line block ×6, first 2 shown]
	buffer_load_dword v223, off, s[0:3], 0 offset:328
	buffer_load_dword v224, off, s[0:3], 0 offset:332
	;; [unrolled: 1-line block ×6, first 2 shown]
	v_cmp_lt_u32_e32 vcc, 15, v0
	s_waitcnt vmcnt(55) lgkmcnt(5)
	v_mul_f32_e32 v3, v128, v127
	s_waitcnt vmcnt(54)
	v_mul_f32_e32 v4, v130, v126
	s_waitcnt vmcnt(53) lgkmcnt(4)
	v_mul_f32_e32 v152, v132, v125
	s_waitcnt vmcnt(52)
	v_mul_f32_e32 v153, v134, v124
	;; [unrolled: 4-line block ×5, first 2 shown]
	s_waitcnt vmcnt(45) lgkmcnt(0)
	v_mul_f32_e32 v160, v148, v8
	s_waitcnt vmcnt(44)
	v_fmac_f32_e32 v152, v133, v9
	s_waitcnt vmcnt(43)
	v_fmac_f32_e32 v4, v131, v10
	;; [unrolled: 2-line block ×3, first 2 shown]
	v_add_f32_e32 v3, 0, v3
	v_add_f32_e32 v3, v3, v4
	;; [unrolled: 1-line block ×3, first 2 shown]
	s_waitcnt vmcnt(38)
	v_fmac_f32_e32 v153, v135, v15
	v_fmac_f32_e32 v154, v137, v14
	v_add_f32_e32 v3, v3, v153
	v_fmac_f32_e32 v155, v139, v13
	v_add_f32_e32 v3, v3, v154
	v_add_f32_e32 v3, v3, v155
	ds_read2_b64 v[152:155], v118 offset0:87 offset1:88
	buffer_load_dword v229, off, s[0:3], 0 offset:352
	buffer_load_dword v230, off, s[0:3], 0 offset:356
	v_fmac_f32_e32 v156, v141, v12
	s_waitcnt vmcnt(36)
	v_fmac_f32_e32 v157, v143, v19
	v_add_f32_e32 v3, v3, v156
	v_fmac_f32_e32 v158, v145, v18
	v_add_f32_e32 v3, v3, v157
	;; [unrolled: 2-line block ×3, first 2 shown]
	v_add_f32_e32 v3, v3, v159
	ds_read2_b64 v[156:159], v118 offset0:89 offset1:90
	buffer_load_dword v231, off, s[0:3], 0 offset:360
	buffer_load_dword v232, off, s[0:3], 0 offset:364
	buffer_load_dword v233, off, s[0:3], 0 offset:372
	buffer_load_dword v234, off, s[0:3], 0 offset:376
	buffer_load_dword v235, off, s[0:3], 0 offset:380
	buffer_load_dword v236, off, s[0:3], 0 offset:368
	buffer_load_dword v237, off, s[0:3], 0 offset:384
	buffer_load_dword v238, off, s[0:3], 0 offset:388
	buffer_load_dword v239, off, s[0:3], 0 offset:392
	buffer_load_dword v240, off, s[0:3], 0 offset:396
	buffer_load_dword v241, off, s[0:3], 0 offset:404
	buffer_load_dword v242, off, s[0:3], 0 offset:408
	buffer_load_dword v243, off, s[0:3], 0 offset:412
	buffer_load_dword v244, off, s[0:3], 0 offset:400
	buffer_load_dword v245, off, s[0:3], 0 offset:416
	buffer_load_dword v246, off, s[0:3], 0 offset:420
	v_fmac_f32_e32 v160, v149, v16
	v_add_f32_e32 v3, v3, v160
	ds_read2_b64 v[160:163], v118 offset0:91 offset1:92
	buffer_load_dword v247, off, s[0:3], 0 offset:424
	buffer_load_dword v248, off, s[0:3], 0 offset:428
	;; [unrolled: 1-line block ×6, first 2 shown]
	ds_read2_b64 v[164:167], v118 offset0:93 offset1:94
	buffer_load_dword v253, off, s[0:3], 0 offset:452
	buffer_load_dword v254, off, s[0:3], 0 offset:456
	buffer_load_dword v255, off, s[0:3], 0 offset:460
	buffer_load_dword v31, off, s[0:3], 0 offset:448
	s_waitcnt vmcnt(61)
	v_mul_f32_e32 v4, v150, v20
	s_waitcnt vmcnt(55)
	v_fmac_f32_e32 v4, v151, v26
	v_add_f32_e32 v3, v3, v4
	s_waitcnt vmcnt(54) lgkmcnt(3)
	v_mul_f32_e32 v4, v152, v27
	v_fmac_f32_e32 v4, v153, v25
	v_add_f32_e32 v3, v3, v4
	v_mul_f32_e32 v4, v154, v22
	v_fmac_f32_e32 v4, v155, v21
	v_add_f32_e32 v3, v3, v4
	s_waitcnt lgkmcnt(2)
	v_mul_f32_e32 v4, v156, v24
	v_fmac_f32_e32 v4, v157, v23
	v_add_f32_e32 v3, v3, v4
	s_waitcnt vmcnt(50)
	v_mul_f32_e32 v4, v158, v29
	v_fmac_f32_e32 v4, v159, v28
	v_add_f32_e32 v3, v3, v4
	s_waitcnt vmcnt(48) lgkmcnt(1)
	v_mul_f32_e32 v4, v160, v208
	v_fmac_f32_e32 v4, v161, v30
	v_add_f32_e32 v3, v3, v4
	s_waitcnt vmcnt(46)
	v_mul_f32_e32 v4, v162, v210
	v_fmac_f32_e32 v4, v163, v209
	ds_read2_b64 v[168:171], v118 offset0:95 offset1:96
	ds_read2_b64 v[172:175], v118 offset0:97 offset1:98
	v_add_f32_e32 v3, v3, v4
	s_waitcnt vmcnt(44) lgkmcnt(2)
	v_mul_f32_e32 v4, v164, v212
	v_fmac_f32_e32 v4, v165, v211
	v_add_f32_e32 v3, v3, v4
	s_waitcnt vmcnt(42)
	v_mul_f32_e32 v4, v166, v214
	v_fmac_f32_e32 v4, v167, v213
	v_add_f32_e32 v3, v3, v4
	s_waitcnt vmcnt(40) lgkmcnt(1)
	v_mul_f32_e32 v4, v168, v216
	v_fmac_f32_e32 v4, v169, v215
	v_add_f32_e32 v3, v3, v4
	s_waitcnt vmcnt(38)
	v_mul_f32_e32 v4, v170, v218
	v_fmac_f32_e32 v4, v171, v217
	ds_read2_b64 v[176:179], v118 offset0:99 offset1:100
	ds_read2_b64 v[180:183], v118 offset0:101 offset1:102
	v_add_f32_e32 v3, v3, v4
	s_waitcnt vmcnt(36) lgkmcnt(2)
	v_mul_f32_e32 v4, v172, v220
	v_fmac_f32_e32 v4, v173, v219
	v_add_f32_e32 v3, v3, v4
	s_waitcnt vmcnt(34)
	v_mul_f32_e32 v4, v174, v222
	v_fmac_f32_e32 v4, v175, v221
	v_add_f32_e32 v3, v3, v4
	s_waitcnt vmcnt(32) lgkmcnt(1)
	v_mul_f32_e32 v4, v176, v224
	v_fmac_f32_e32 v4, v177, v223
	v_add_f32_e32 v3, v3, v4
	s_waitcnt vmcnt(31)
	v_mul_f32_e32 v4, v178, v225
	s_waitcnt vmcnt(28)
	v_fmac_f32_e32 v4, v179, v228
	ds_read2_b64 v[184:187], v118 offset0:103 offset1:104
	ds_read2_b64 v[188:191], v118 offset0:105 offset1:106
	v_add_f32_e32 v3, v3, v4
	s_waitcnt lgkmcnt(2)
	v_mul_f32_e32 v4, v180, v227
	v_fmac_f32_e32 v4, v181, v226
	v_add_f32_e32 v3, v3, v4
	ds_read2_b64 v[192:195], v118 offset0:107 offset1:108
	ds_read2_b64 v[196:199], v118 offset0:109 offset1:110
	;; [unrolled: 1-line block ×4, first 2 shown]
	v_mul_f32_e32 v5, v143, v5
	v_fma_f32 v5, v142, v19, -v5
	s_waitcnt vmcnt(26)
	v_mul_f32_e32 v4, v182, v230
	v_fmac_f32_e32 v4, v183, v229
	v_add_f32_e32 v3, v3, v4
	v_mul_f32_e32 v6, v145, v6
	v_fma_f32 v6, v144, v18, -v6
	s_waitcnt vmcnt(24) lgkmcnt(5)
	v_mul_f32_e32 v4, v184, v232
	v_fmac_f32_e32 v4, v185, v231
	v_add_f32_e32 v3, v3, v4
	s_waitcnt vmcnt(23)
	v_mul_f32_e32 v4, v186, v233
	s_waitcnt vmcnt(20)
	v_fmac_f32_e32 v4, v187, v236
	v_add_f32_e32 v3, v3, v4
	s_waitcnt lgkmcnt(4)
	v_mul_f32_e32 v4, v188, v235
	v_fmac_f32_e32 v4, v189, v234
	v_add_f32_e32 v3, v3, v4
	s_waitcnt vmcnt(18)
	v_mul_f32_e32 v4, v190, v238
	v_fmac_f32_e32 v4, v191, v237
	v_add_f32_e32 v3, v3, v4
	s_waitcnt vmcnt(16) lgkmcnt(3)
	v_mul_f32_e32 v4, v192, v240
	v_fmac_f32_e32 v4, v193, v239
	v_add_f32_e32 v3, v3, v4
	s_waitcnt vmcnt(15)
	v_mul_f32_e32 v4, v194, v241
	s_waitcnt vmcnt(12)
	v_fmac_f32_e32 v4, v195, v244
	v_add_f32_e32 v3, v3, v4
	s_waitcnt lgkmcnt(2)
	v_mul_f32_e32 v4, v196, v243
	v_fmac_f32_e32 v4, v197, v242
	v_add_f32_e32 v3, v3, v4
	s_waitcnt vmcnt(10)
	v_mul_f32_e32 v4, v198, v246
	v_fmac_f32_e32 v4, v199, v245
	v_add_f32_e32 v3, v3, v4
	s_waitcnt vmcnt(8) lgkmcnt(1)
	v_mul_f32_e32 v4, v200, v248
	v_fmac_f32_e32 v4, v201, v247
	v_add_f32_e32 v3, v3, v4
	s_waitcnt vmcnt(7)
	v_mul_f32_e32 v4, v202, v249
	s_waitcnt vmcnt(4)
	v_fmac_f32_e32 v4, v203, v252
	v_add_f32_e32 v32, v3, v4
	ds_read_b64 v[3:4], v118 offset:920
	s_waitcnt lgkmcnt(1)
	v_mul_f32_e32 v33, v204, v251
	v_fmac_f32_e32 v33, v205, v250
	v_add_f32_e32 v32, v32, v33
	s_waitcnt vmcnt(3)
	v_mul_f32_e32 v33, v206, v253
	s_waitcnt vmcnt(0)
	v_fmac_f32_e32 v33, v207, v31
	v_add_f32_e32 v32, v32, v33
	s_waitcnt lgkmcnt(0)
	v_mul_f32_e32 v33, v3, v255
	v_fmac_f32_e32 v33, v4, v254
	v_add_f32_e32 v32, v32, v33
	v_mul_f32_e32 v33, v129, v127
	v_fma_f32 v11, v128, v11, -v33
	v_mul_f32_e32 v33, v131, v126
	v_add_f32_e32 v11, 0, v11
	v_fma_f32 v10, v130, v10, -v33
	v_add_f32_e32 v10, v11, v10
	v_mul_f32_e32 v11, v133, v125
	v_fma_f32 v9, v132, v9, -v11
	v_add_f32_e32 v9, v10, v9
	v_mul_f32_e32 v10, v135, v124
	v_fma_f32 v10, v134, v15, -v10
	v_add_f32_e32 v9, v9, v10
	v_mul_f32_e32 v10, v137, v123
	v_fma_f32 v10, v136, v14, -v10
	v_add_f32_e32 v9, v9, v10
	v_mul_f32_e32 v10, v139, v120
	v_fma_f32 v10, v138, v13, -v10
	v_add_f32_e32 v9, v9, v10
	v_mul_f32_e32 v10, v141, v119
	v_fma_f32 v10, v140, v12, -v10
	v_add_f32_e32 v9, v9, v10
	v_add_f32_e32 v5, v9, v5
	;; [unrolled: 1-line block ×3, first 2 shown]
	v_mul_f32_e32 v6, v147, v7
	v_fma_f32 v6, v146, v17, -v6
	v_add_f32_e32 v5, v5, v6
	v_mul_f32_e32 v6, v149, v8
	v_fma_f32 v6, v148, v16, -v6
	v_add_f32_e32 v5, v5, v6
	;; [unrolled: 3-line block ×30, first 2 shown]
	v_mul_f32_e32 v6, v207, v253
	v_fma_f32 v6, v206, v31, -v6
	v_mul_f32_e32 v4, v4, v255
	v_add_f32_e32 v5, v5, v6
	v_fma_f32 v3, v3, v254, -v4
	v_add_f32_e32 v3, v5, v3
	v_sub_f32_e32 v3, v121, v3
	v_sub_f32_e32 v4, v122, v32
	buffer_store_dword v3, off, s[0:3], 0 offset:128
	buffer_store_dword v4, off, s[0:3], 0 offset:132
	s_and_saveexec_b64 s[4:5], vcc
	s_cbranch_execz .LBB121_331
; %bb.330:
	buffer_load_dword v3, off, s[0:3], 0 offset:120
	buffer_load_dword v4, off, s[0:3], 0 offset:124
	s_waitcnt vmcnt(0)
	ds_write_b64 v117, v[3:4]
	buffer_store_dword v118, off, s[0:3], 0 offset:120
	buffer_store_dword v118, off, s[0:3], 0 offset:124
.LBB121_331:
	s_or_b64 exec, exec, s[4:5]
	s_waitcnt lgkmcnt(0)
	; wave barrier
	buffer_load_dword v3, off, s[0:3], 0 offset:132
	buffer_load_dword v4, off, s[0:3], 0 offset:140
	;; [unrolled: 1-line block ×32, first 2 shown]
	ds_read_b128 v[119:122], v118 offset:592
	ds_read_b128 v[123:126], v118 offset:608
	;; [unrolled: 1-line block ×6, first 2 shown]
	buffer_load_dword v203, off, s[0:3], 0 offset:248
	buffer_load_dword v204, off, s[0:3], 0 offset:252
	;; [unrolled: 1-line block ×18, first 2 shown]
	v_cmp_lt_u32_e32 vcc, 14, v0
	s_waitcnt vmcnt(49) lgkmcnt(5)
	v_mul_f32_e32 v143, v119, v3
	s_waitcnt vmcnt(48)
	v_mul_f32_e32 v144, v121, v4
	s_waitcnt vmcnt(47) lgkmcnt(4)
	v_mul_f32_e32 v145, v123, v5
	s_waitcnt vmcnt(46)
	v_mul_f32_e32 v146, v125, v6
	;; [unrolled: 4-line block ×6, first 2 shown]
	s_waitcnt vmcnt(37)
	v_fmac_f32_e32 v145, v124, v15
	s_waitcnt vmcnt(36)
	v_fmac_f32_e32 v144, v122, v16
	s_waitcnt vmcnt(35)
	v_fmac_f32_e32 v143, v120, v17
	v_add_f32_e32 v143, 0, v143
	v_add_f32_e32 v143, v143, v144
	;; [unrolled: 1-line block ×3, first 2 shown]
	s_waitcnt vmcnt(31)
	v_fmac_f32_e32 v146, v126, v21
	v_fmac_f32_e32 v147, v128, v20
	v_add_f32_e32 v143, v143, v146
	v_fmac_f32_e32 v148, v130, v19
	v_add_f32_e32 v143, v143, v147
	;; [unrolled: 2-line block ×3, first 2 shown]
	s_waitcnt vmcnt(27)
	v_fmac_f32_e32 v150, v134, v25
	v_add_f32_e32 v143, v143, v149
	v_fmac_f32_e32 v151, v136, v24
	v_add_f32_e32 v143, v143, v150
	;; [unrolled: 2-line block ×3, first 2 shown]
	v_add_f32_e32 v147, v143, v152
	ds_read_b128 v[143:146], v118 offset:688
	buffer_load_dword v221, off, s[0:3], 0 offset:320
	buffer_load_dword v222, off, s[0:3], 0 offset:324
	;; [unrolled: 1-line block ×6, first 2 shown]
	v_fmac_f32_e32 v153, v140, v22
	s_waitcnt vmcnt(27)
	v_fmac_f32_e32 v154, v142, v31
	v_add_f32_e32 v147, v147, v153
	v_add_f32_e32 v151, v147, v154
	ds_read_b128 v[147:150], v118 offset:704
	buffer_load_dword v227, off, s[0:3], 0 offset:344
	buffer_load_dword v228, off, s[0:3], 0 offset:348
	;; [unrolled: 1-line block ×10, first 2 shown]
	s_waitcnt vmcnt(36) lgkmcnt(1)
	v_mul_f32_e32 v152, v143, v32
	buffer_load_dword v237, off, s[0:3], 0 offset:384
	buffer_load_dword v238, off, s[0:3], 0 offset:388
	;; [unrolled: 1-line block ×6, first 2 shown]
	v_fmac_f32_e32 v152, v144, v30
	v_add_f32_e32 v151, v151, v152
	v_mul_f32_e32 v152, v145, v27
	v_fmac_f32_e32 v152, v146, v26
	v_add_f32_e32 v151, v151, v152
	s_waitcnt lgkmcnt(0)
	v_mul_f32_e32 v152, v147, v29
	v_fmac_f32_e32 v152, v148, v28
	v_add_f32_e32 v155, v151, v152
	ds_read_b128 v[151:154], v118 offset:720
	buffer_load_dword v243, off, s[0:3], 0 offset:408
	buffer_load_dword v244, off, s[0:3], 0 offset:412
	s_waitcnt vmcnt(40)
	v_mul_f32_e32 v156, v149, v204
	v_fmac_f32_e32 v156, v150, v203
	v_add_f32_e32 v159, v155, v156
	ds_read_b128 v[155:158], v118 offset:736
	buffer_load_dword v245, off, s[0:3], 0 offset:416
	buffer_load_dword v246, off, s[0:3], 0 offset:420
	;; [unrolled: 1-line block ×12, first 2 shown]
	v_mul_f32_e32 v3, v120, v3
	v_fma_f32 v3, v119, v17, -v3
	v_mul_f32_e32 v4, v122, v4
	v_add_f32_e32 v3, 0, v3
	v_fma_f32 v4, v121, v16, -v4
	v_add_f32_e32 v3, v3, v4
	v_mul_f32_e32 v4, v124, v5
	v_fma_f32 v4, v123, v15, -v4
	v_add_f32_e32 v3, v3, v4
	v_mul_f32_e32 v4, v126, v6
	;; [unrolled: 3-line block ×6, first 2 shown]
	v_fma_f32 v4, v133, v25, -v4
	s_waitcnt vmcnt(50) lgkmcnt(1)
	v_mul_f32_e32 v160, v151, v206
	v_add_f32_e32 v3, v3, v4
	v_mul_f32_e32 v4, v136, v11
	v_fmac_f32_e32 v160, v152, v205
	v_fma_f32 v4, v135, v24, -v4
	v_add_f32_e32 v159, v159, v160
	s_waitcnt vmcnt(48)
	v_mul_f32_e32 v160, v153, v208
	v_add_f32_e32 v3, v3, v4
	v_mul_f32_e32 v4, v138, v12
	v_fmac_f32_e32 v160, v154, v207
	v_fma_f32 v4, v137, v23, -v4
	v_add_f32_e32 v36, v159, v160
	s_waitcnt vmcnt(46) lgkmcnt(0)
	v_mul_f32_e32 v159, v155, v210
	v_add_f32_e32 v3, v3, v4
	v_mul_f32_e32 v4, v140, v13
	v_fmac_f32_e32 v159, v156, v209
	v_fma_f32 v4, v139, v22, -v4
	v_add_f32_e32 v36, v36, v159
	ds_read_b128 v[159:162], v118 offset:752
	v_add_f32_e32 v3, v3, v4
	v_mul_f32_e32 v4, v142, v14
	v_fma_f32 v4, v141, v31, -v4
	s_waitcnt vmcnt(44)
	v_mul_f32_e32 v163, v157, v212
	v_add_f32_e32 v3, v3, v4
	v_mul_f32_e32 v4, v144, v32
	v_fmac_f32_e32 v163, v158, v211
	v_fma_f32 v4, v143, v30, -v4
	v_add_f32_e32 v36, v36, v163
	ds_read_b128 v[163:166], v118 offset:768
	v_add_f32_e32 v3, v3, v4
	v_mul_f32_e32 v4, v146, v27
	s_waitcnt vmcnt(42) lgkmcnt(1)
	v_mul_f32_e32 v167, v159, v214
	v_fma_f32 v4, v145, v26, -v4
	v_fmac_f32_e32 v167, v160, v213
	v_add_f32_e32 v3, v3, v4
	v_mul_f32_e32 v4, v148, v29
	v_add_f32_e32 v36, v36, v167
	s_waitcnt vmcnt(40)
	v_mul_f32_e32 v167, v161, v216
	v_fma_f32 v4, v147, v28, -v4
	v_fmac_f32_e32 v167, v162, v215
	v_add_f32_e32 v3, v3, v4
	v_mul_f32_e32 v4, v150, v204
	v_add_f32_e32 v36, v36, v167
	s_waitcnt vmcnt(38) lgkmcnt(0)
	v_mul_f32_e32 v167, v163, v218
	v_fma_f32 v4, v149, v203, -v4
	v_fmac_f32_e32 v167, v164, v217
	v_add_f32_e32 v3, v3, v4
	v_mul_f32_e32 v4, v152, v206
	v_add_f32_e32 v36, v36, v167
	ds_read_b128 v[167:170], v118 offset:784
	v_fma_f32 v4, v151, v205, -v4
	v_add_f32_e32 v3, v3, v4
	v_mul_f32_e32 v4, v154, v208
	s_waitcnt vmcnt(36)
	v_mul_f32_e32 v171, v165, v220
	v_fma_f32 v4, v153, v207, -v4
	v_fmac_f32_e32 v171, v166, v219
	v_add_f32_e32 v3, v3, v4
	v_mul_f32_e32 v4, v156, v210
	v_add_f32_e32 v36, v36, v171
	ds_read_b128 v[171:174], v118 offset:800
	v_fma_f32 v4, v155, v209, -v4
	s_waitcnt vmcnt(34) lgkmcnt(1)
	v_mul_f32_e32 v175, v167, v222
	v_add_f32_e32 v3, v3, v4
	v_mul_f32_e32 v4, v158, v212
	v_fmac_f32_e32 v175, v168, v221
	v_fma_f32 v4, v157, v211, -v4
	v_add_f32_e32 v36, v36, v175
	s_waitcnt vmcnt(33)
	v_mul_f32_e32 v175, v169, v223
	v_add_f32_e32 v3, v3, v4
	v_mul_f32_e32 v4, v160, v214
	s_waitcnt vmcnt(30)
	v_fmac_f32_e32 v175, v170, v226
	v_fma_f32 v4, v159, v213, -v4
	v_add_f32_e32 v36, v36, v175
	s_waitcnt lgkmcnt(0)
	v_mul_f32_e32 v175, v171, v225
	v_add_f32_e32 v3, v3, v4
	v_mul_f32_e32 v4, v162, v216
	v_fmac_f32_e32 v175, v172, v224
	v_fma_f32 v4, v161, v215, -v4
	v_add_f32_e32 v36, v36, v175
	ds_read_b128 v[175:178], v118 offset:816
	v_add_f32_e32 v3, v3, v4
	v_mul_f32_e32 v4, v164, v218
	v_fma_f32 v4, v163, v217, -v4
	s_waitcnt vmcnt(28)
	v_mul_f32_e32 v179, v173, v228
	v_add_f32_e32 v3, v3, v4
	v_mul_f32_e32 v4, v166, v220
	v_fmac_f32_e32 v179, v174, v227
	v_fma_f32 v4, v165, v219, -v4
	v_add_f32_e32 v36, v36, v179
	ds_read_b128 v[179:182], v118 offset:832
	v_add_f32_e32 v3, v3, v4
	v_mul_f32_e32 v4, v168, v222
	s_waitcnt vmcnt(26) lgkmcnt(1)
	v_mul_f32_e32 v183, v175, v230
	v_fma_f32 v4, v167, v221, -v4
	v_fmac_f32_e32 v183, v176, v229
	v_add_f32_e32 v3, v3, v4
	v_mul_f32_e32 v4, v170, v223
	v_add_f32_e32 v36, v36, v183
	s_waitcnt vmcnt(25)
	v_mul_f32_e32 v183, v177, v231
	v_fma_f32 v4, v169, v226, -v4
	s_waitcnt vmcnt(22)
	v_fmac_f32_e32 v183, v178, v234
	v_add_f32_e32 v3, v3, v4
	v_mul_f32_e32 v4, v172, v225
	v_add_f32_e32 v36, v36, v183
	s_waitcnt lgkmcnt(0)
	v_mul_f32_e32 v183, v179, v233
	v_fma_f32 v4, v171, v224, -v4
	v_fmac_f32_e32 v183, v180, v232
	v_add_f32_e32 v3, v3, v4
	v_mul_f32_e32 v4, v174, v228
	v_add_f32_e32 v36, v36, v183
	ds_read_b128 v[183:186], v118 offset:848
	v_fma_f32 v4, v173, v227, -v4
	v_add_f32_e32 v3, v3, v4
	v_mul_f32_e32 v4, v176, v230
	s_waitcnt vmcnt(20)
	v_mul_f32_e32 v187, v181, v236
	v_fma_f32 v4, v175, v229, -v4
	v_fmac_f32_e32 v187, v182, v235
	v_add_f32_e32 v3, v3, v4
	v_mul_f32_e32 v4, v178, v231
	v_add_f32_e32 v36, v36, v187
	ds_read_b128 v[187:190], v118 offset:864
	v_fma_f32 v4, v177, v234, -v4
	s_waitcnt vmcnt(18) lgkmcnt(1)
	v_mul_f32_e32 v191, v183, v238
	v_add_f32_e32 v3, v3, v4
	v_mul_f32_e32 v4, v180, v233
	v_fmac_f32_e32 v191, v184, v237
	v_fma_f32 v4, v179, v232, -v4
	v_add_f32_e32 v36, v36, v191
	s_waitcnt vmcnt(17)
	v_mul_f32_e32 v191, v185, v239
	v_add_f32_e32 v3, v3, v4
	v_mul_f32_e32 v4, v182, v236
	s_waitcnt vmcnt(14)
	v_fmac_f32_e32 v191, v186, v242
	v_fma_f32 v4, v181, v235, -v4
	v_add_f32_e32 v36, v36, v191
	s_waitcnt lgkmcnt(0)
	v_mul_f32_e32 v191, v187, v241
	v_add_f32_e32 v3, v3, v4
	v_mul_f32_e32 v4, v184, v238
	v_fmac_f32_e32 v191, v188, v240
	v_fma_f32 v4, v183, v237, -v4
	v_add_f32_e32 v36, v36, v191
	ds_read_b128 v[191:194], v118 offset:880
	v_add_f32_e32 v3, v3, v4
	v_mul_f32_e32 v4, v186, v239
	v_fma_f32 v4, v185, v242, -v4
	v_add_f32_e32 v3, v3, v4
	v_mul_f32_e32 v4, v188, v241
	s_waitcnt vmcnt(12)
	v_mul_f32_e32 v195, v189, v244
	v_fma_f32 v4, v187, v240, -v4
	v_fmac_f32_e32 v195, v190, v243
	v_add_f32_e32 v3, v3, v4
	v_mul_f32_e32 v4, v190, v244
	v_add_f32_e32 v36, v36, v195
	ds_read_b128 v[195:198], v118 offset:896
	s_waitcnt vmcnt(10) lgkmcnt(1)
	v_mul_f32_e32 v199, v191, v246
	v_fma_f32 v4, v189, v243, -v4
	v_fmac_f32_e32 v199, v192, v245
	v_add_f32_e32 v3, v3, v4
	v_mul_f32_e32 v4, v192, v246
	v_add_f32_e32 v36, v36, v199
	s_waitcnt vmcnt(9)
	v_mul_f32_e32 v199, v193, v247
	v_fma_f32 v4, v191, v245, -v4
	s_waitcnt vmcnt(6)
	v_fmac_f32_e32 v199, v194, v250
	v_add_f32_e32 v3, v3, v4
	v_mul_f32_e32 v4, v194, v247
	v_add_f32_e32 v36, v36, v199
	ds_read_b128 v[199:202], v118 offset:912
	v_fma_f32 v4, v193, v250, -v4
	v_add_f32_e32 v3, v3, v4
	s_waitcnt lgkmcnt(1)
	v_mul_f32_e32 v4, v196, v249
	v_mul_f32_e32 v37, v195, v249
	v_fma_f32 v4, v195, v248, -v4
	v_fmac_f32_e32 v37, v196, v248
	v_add_f32_e32 v3, v3, v4
	s_waitcnt vmcnt(4)
	v_mul_f32_e32 v4, v198, v252
	v_add_f32_e32 v36, v36, v37
	v_mul_f32_e32 v37, v197, v252
	v_fma_f32 v4, v197, v251, -v4
	v_fmac_f32_e32 v37, v198, v251
	v_add_f32_e32 v3, v3, v4
	s_waitcnt vmcnt(3) lgkmcnt(0)
	v_mul_f32_e32 v4, v200, v253
	v_add_f32_e32 v36, v36, v37
	v_mul_f32_e32 v37, v199, v253
	s_waitcnt vmcnt(0)
	v_fma_f32 v4, v199, v35, -v4
	v_fmac_f32_e32 v37, v200, v35
	v_add_f32_e32 v3, v3, v4
	v_mul_f32_e32 v4, v202, v255
	v_add_f32_e32 v36, v36, v37
	v_mul_f32_e32 v37, v201, v255
	v_fma_f32 v4, v201, v254, -v4
	v_fmac_f32_e32 v37, v202, v254
	v_add_f32_e32 v3, v3, v4
	v_add_f32_e32 v36, v36, v37
	v_sub_f32_e32 v3, v33, v3
	v_sub_f32_e32 v4, v34, v36
	buffer_store_dword v3, off, s[0:3], 0 offset:120
	buffer_store_dword v4, off, s[0:3], 0 offset:124
	s_and_saveexec_b64 s[4:5], vcc
	s_cbranch_execz .LBB121_333
; %bb.332:
	buffer_load_dword v3, off, s[0:3], 0 offset:112
	buffer_load_dword v4, off, s[0:3], 0 offset:116
	v_mov_b32_e32 v5, 0
	buffer_store_dword v5, off, s[0:3], 0 offset:112
	buffer_store_dword v5, off, s[0:3], 0 offset:116
	s_waitcnt vmcnt(2)
	ds_write_b64 v117, v[3:4]
.LBB121_333:
	s_or_b64 exec, exec, s[4:5]
	s_waitcnt lgkmcnt(0)
	; wave barrier
	buffer_load_dword v127, off, s[0:3], 0 offset:124
	buffer_load_dword v126, off, s[0:3], 0 offset:132
	;; [unrolled: 1-line block ×32, first 2 shown]
	v_mov_b32_e32 v118, 0
	buffer_load_dword v23, off, s[0:3], 0 offset:240
	buffer_load_dword v24, off, s[0:3], 0 offset:244
	;; [unrolled: 1-line block ×16, first 2 shown]
	ds_read2_b64 v[133:136], v118 offset0:73 offset1:74
	ds_read2_b64 v[137:140], v118 offset0:75 offset1:76
	;; [unrolled: 1-line block ×6, first 2 shown]
	buffer_load_dword v217, off, s[0:3], 0 offset:304
	buffer_load_dword v218, off, s[0:3], 0 offset:308
	v_cmp_lt_u32_e32 vcc, 13, v0
	s_waitcnt vmcnt(49) lgkmcnt(5)
	v_mul_f32_e32 v3, v133, v127
	s_waitcnt vmcnt(48)
	v_mul_f32_e32 v4, v135, v126
	s_waitcnt vmcnt(47) lgkmcnt(4)
	v_mul_f32_e32 v157, v137, v125
	s_waitcnt vmcnt(46)
	v_mul_f32_e32 v158, v139, v124
	;; [unrolled: 4-line block ×6, first 2 shown]
	s_waitcnt vmcnt(37)
	v_fmac_f32_e32 v157, v138, v5
	s_waitcnt vmcnt(36)
	v_fmac_f32_e32 v4, v136, v6
	s_waitcnt vmcnt(35)
	v_fmac_f32_e32 v3, v134, v7
	v_add_f32_e32 v3, 0, v3
	v_add_f32_e32 v3, v3, v4
	;; [unrolled: 1-line block ×3, first 2 shown]
	s_waitcnt vmcnt(31)
	v_fmac_f32_e32 v158, v140, v11
	v_fmac_f32_e32 v159, v142, v10
	v_add_f32_e32 v3, v3, v158
	v_fmac_f32_e32 v160, v144, v9
	v_add_f32_e32 v3, v3, v159
	;; [unrolled: 2-line block ×3, first 2 shown]
	s_waitcnt vmcnt(27)
	v_fmac_f32_e32 v162, v148, v15
	v_add_f32_e32 v3, v3, v161
	ds_read2_b64 v[157:160], v118 offset0:85 offset1:86
	buffer_load_dword v219, off, s[0:3], 0 offset:312
	buffer_load_dword v220, off, s[0:3], 0 offset:316
	buffer_load_dword v221, off, s[0:3], 0 offset:324
	buffer_load_dword v222, off, s[0:3], 0 offset:328
	buffer_load_dword v223, off, s[0:3], 0 offset:332
	buffer_load_dword v224, off, s[0:3], 0 offset:320
	v_fmac_f32_e32 v163, v150, v14
	v_add_f32_e32 v3, v3, v162
	v_fmac_f32_e32 v164, v152, v13
	v_add_f32_e32 v3, v3, v163
	v_add_f32_e32 v3, v3, v164
	ds_read2_b64 v[161:164], v118 offset0:87 offset1:88
	buffer_load_dword v225, off, s[0:3], 0 offset:336
	buffer_load_dword v226, off, s[0:3], 0 offset:340
	;; [unrolled: 1-line block ×10, first 2 shown]
	v_fmac_f32_e32 v165, v154, v12
	s_waitcnt vmcnt(38)
	v_fmac_f32_e32 v166, v156, v20
	v_add_f32_e32 v3, v3, v165
	v_add_f32_e32 v3, v3, v166
	ds_read2_b64 v[165:168], v118 offset0:89 offset1:90
	buffer_load_dword v235, off, s[0:3], 0 offset:376
	buffer_load_dword v236, off, s[0:3], 0 offset:380
	;; [unrolled: 1-line block ×6, first 2 shown]
	ds_read2_b64 v[169:172], v118 offset0:91 offset1:92
	buffer_load_dword v241, off, s[0:3], 0 offset:400
	buffer_load_dword v242, off, s[0:3], 0 offset:404
	;; [unrolled: 1-line block ×16, first 2 shown]
	s_waitcnt vmcnt(59) lgkmcnt(3)
	v_mul_f32_e32 v4, v157, v21
	v_fmac_f32_e32 v4, v158, v19
	v_add_f32_e32 v3, v3, v4
	s_waitcnt vmcnt(58)
	v_mul_f32_e32 v4, v159, v22
	v_fmac_f32_e32 v4, v160, v18
	v_add_f32_e32 v3, v3, v4
	s_waitcnt lgkmcnt(2)
	v_mul_f32_e32 v4, v161, v17
	v_fmac_f32_e32 v4, v162, v16
	v_add_f32_e32 v3, v3, v4
	s_waitcnt vmcnt(54)
	v_mul_f32_e32 v4, v163, v24
	v_fmac_f32_e32 v4, v164, v23
	v_add_f32_e32 v3, v3, v4
	s_waitcnt vmcnt(52) lgkmcnt(1)
	v_mul_f32_e32 v4, v165, v26
	v_fmac_f32_e32 v4, v166, v25
	v_add_f32_e32 v3, v3, v4
	s_waitcnt vmcnt(50)
	v_mul_f32_e32 v4, v167, v28
	v_fmac_f32_e32 v4, v168, v27
	ds_read2_b64 v[173:176], v118 offset0:93 offset1:94
	ds_read2_b64 v[177:180], v118 offset0:95 offset1:96
	v_add_f32_e32 v3, v3, v4
	s_waitcnt vmcnt(48) lgkmcnt(2)
	v_mul_f32_e32 v4, v169, v30
	v_fmac_f32_e32 v4, v170, v29
	v_add_f32_e32 v3, v3, v4
	s_waitcnt vmcnt(46)
	v_mul_f32_e32 v4, v171, v32
	v_fmac_f32_e32 v4, v172, v31
	v_add_f32_e32 v3, v3, v4
	s_waitcnt vmcnt(44) lgkmcnt(1)
	v_mul_f32_e32 v4, v173, v34
	v_fmac_f32_e32 v4, v174, v33
	v_add_f32_e32 v3, v3, v4
	s_waitcnt vmcnt(42)
	v_mul_f32_e32 v4, v175, v36
	v_fmac_f32_e32 v4, v176, v35
	ds_read2_b64 v[181:184], v118 offset0:97 offset1:98
	ds_read2_b64 v[185:188], v118 offset0:99 offset1:100
	v_add_f32_e32 v3, v3, v4
	s_waitcnt vmcnt(40) lgkmcnt(2)
	v_mul_f32_e32 v4, v177, v38
	v_fmac_f32_e32 v4, v178, v37
	v_add_f32_e32 v3, v3, v4
	s_waitcnt vmcnt(38)
	v_mul_f32_e32 v4, v179, v218
	v_fmac_f32_e32 v4, v180, v217
	v_add_f32_e32 v3, v3, v4
	ds_read2_b64 v[189:192], v118 offset0:101 offset1:102
	ds_read2_b64 v[193:196], v118 offset0:103 offset1:104
	;; [unrolled: 1-line block ×7, first 2 shown]
	s_waitcnt vmcnt(36) lgkmcnt(8)
	v_mul_f32_e32 v4, v181, v220
	v_fmac_f32_e32 v4, v182, v219
	v_add_f32_e32 v3, v3, v4
	s_waitcnt vmcnt(35)
	v_mul_f32_e32 v4, v183, v221
	s_waitcnt vmcnt(32)
	v_fmac_f32_e32 v4, v184, v224
	v_add_f32_e32 v3, v3, v4
	s_waitcnt lgkmcnt(7)
	v_mul_f32_e32 v4, v185, v223
	v_fmac_f32_e32 v4, v186, v222
	v_add_f32_e32 v3, v3, v4
	s_waitcnt vmcnt(30)
	v_mul_f32_e32 v4, v187, v226
	v_fmac_f32_e32 v4, v188, v225
	v_add_f32_e32 v3, v3, v4
	s_waitcnt vmcnt(28) lgkmcnt(6)
	v_mul_f32_e32 v4, v189, v228
	v_fmac_f32_e32 v4, v190, v227
	v_add_f32_e32 v3, v3, v4
	s_waitcnt vmcnt(27)
	v_mul_f32_e32 v4, v191, v229
	s_waitcnt vmcnt(24)
	v_fmac_f32_e32 v4, v192, v232
	v_add_f32_e32 v3, v3, v4
	s_waitcnt lgkmcnt(5)
	v_mul_f32_e32 v4, v193, v231
	v_fmac_f32_e32 v4, v194, v230
	v_add_f32_e32 v3, v3, v4
	s_waitcnt vmcnt(22)
	v_mul_f32_e32 v4, v195, v234
	v_fmac_f32_e32 v4, v196, v233
	v_add_f32_e32 v3, v3, v4
	;; [unrolled: 17-line block ×4, first 2 shown]
	ds_read_b64 v[3:4], v118 offset:920
	s_waitcnt vmcnt(4) lgkmcnt(1)
	v_mul_f32_e32 v41, v213, v252
	v_fmac_f32_e32 v41, v214, v251
	v_add_f32_e32 v40, v40, v41
	s_waitcnt vmcnt(3)
	v_mul_f32_e32 v41, v215, v253
	s_waitcnt vmcnt(0)
	v_fmac_f32_e32 v41, v216, v39
	v_add_f32_e32 v40, v40, v41
	s_waitcnt lgkmcnt(0)
	v_mul_f32_e32 v41, v3, v255
	v_fmac_f32_e32 v41, v4, v254
	v_add_f32_e32 v40, v40, v41
	v_mul_f32_e32 v41, v134, v127
	v_fma_f32 v7, v133, v7, -v41
	v_mul_f32_e32 v41, v136, v126
	v_add_f32_e32 v7, 0, v7
	v_fma_f32 v6, v135, v6, -v41
	v_add_f32_e32 v6, v7, v6
	v_mul_f32_e32 v7, v138, v125
	v_fma_f32 v5, v137, v5, -v7
	v_add_f32_e32 v5, v6, v5
	v_mul_f32_e32 v6, v140, v124
	;; [unrolled: 3-line block ×40, first 2 shown]
	v_fma_f32 v6, v215, v39, -v6
	v_mul_f32_e32 v4, v4, v255
	v_add_f32_e32 v5, v5, v6
	v_fma_f32 v3, v3, v254, -v4
	v_add_f32_e32 v3, v5, v3
	v_sub_f32_e32 v3, v119, v3
	v_sub_f32_e32 v4, v120, v40
	buffer_store_dword v3, off, s[0:3], 0 offset:112
	buffer_store_dword v4, off, s[0:3], 0 offset:116
	s_and_saveexec_b64 s[4:5], vcc
	s_cbranch_execz .LBB121_335
; %bb.334:
	buffer_load_dword v3, off, s[0:3], 0 offset:104
	buffer_load_dword v4, off, s[0:3], 0 offset:108
	s_waitcnt vmcnt(0)
	ds_write_b64 v117, v[3:4]
	buffer_store_dword v118, off, s[0:3], 0 offset:104
	buffer_store_dword v118, off, s[0:3], 0 offset:108
.LBB121_335:
	s_or_b64 exec, exec, s[4:5]
	s_waitcnt lgkmcnt(0)
	; wave barrier
	buffer_load_dword v127, off, s[0:3], 0 offset:116
	buffer_load_dword v126, off, s[0:3], 0 offset:124
	;; [unrolled: 1-line block ×32, first 2 shown]
	ds_read_b128 v[133:136], v118 offset:576
	ds_read_b128 v[137:140], v118 offset:592
	;; [unrolled: 1-line block ×4, first 2 shown]
	buffer_load_dword v21, off, s[0:3], 0 offset:232
	buffer_load_dword v22, off, s[0:3], 0 offset:236
	ds_read_b128 v[149:152], v118 offset:640
	ds_read_b128 v[153:156], v118 offset:656
	;; [unrolled: 1-line block ×3, first 2 shown]
	buffer_load_dword v23, off, s[0:3], 0 offset:240
	buffer_load_dword v24, off, s[0:3], 0 offset:244
	;; [unrolled: 1-line block ×14, first 2 shown]
	v_cmp_lt_u32_e32 vcc, 12, v0
	s_waitcnt vmcnt(47) lgkmcnt(6)
	v_mul_f32_e32 v37, v133, v127
	s_waitcnt vmcnt(46)
	v_mul_f32_e32 v38, v135, v126
	s_waitcnt vmcnt(45) lgkmcnt(5)
	v_mul_f32_e32 v39, v137, v125
	s_waitcnt vmcnt(44)
	v_mul_f32_e32 v40, v139, v124
	;; [unrolled: 4-line block ×6, first 2 shown]
	s_waitcnt vmcnt(35)
	v_fmac_f32_e32 v39, v138, v3
	s_waitcnt vmcnt(34)
	v_fmac_f32_e32 v38, v136, v4
	;; [unrolled: 2-line block ×3, first 2 shown]
	v_add_f32_e32 v37, 0, v37
	v_add_f32_e32 v37, v37, v38
	;; [unrolled: 1-line block ×3, first 2 shown]
	s_waitcnt vmcnt(29)
	v_fmac_f32_e32 v40, v140, v9
	v_fmac_f32_e32 v41, v142, v8
	v_add_f32_e32 v37, v37, v40
	buffer_load_dword v38, off, s[0:3], 0 offset:296
	buffer_load_dword v39, off, s[0:3], 0 offset:300
	v_fmac_f32_e32 v42, v144, v7
	v_add_f32_e32 v37, v37, v41
	v_fmac_f32_e32 v161, v146, v6
	v_add_f32_e32 v37, v37, v42
	s_waitcnt vmcnt(27)
	v_fmac_f32_e32 v162, v148, v13
	v_add_f32_e32 v37, v37, v161
	v_fmac_f32_e32 v163, v150, v12
	v_add_f32_e32 v37, v37, v162
	;; [unrolled: 2-line block ×3, first 2 shown]
	v_add_f32_e32 v37, v37, v164
	ds_read_b128 v[161:164], v118 offset:688
	buffer_load_dword v41, off, s[0:3], 0 offset:304
	buffer_load_dword v42, off, s[0:3], 0 offset:308
	buffer_load_dword v221, off, s[0:3], 0 offset:316
	buffer_load_dword v222, off, s[0:3], 0 offset:320
	buffer_load_dword v223, off, s[0:3], 0 offset:324
	buffer_load_dword v224, off, s[0:3], 0 offset:312
	buffer_load_dword v225, off, s[0:3], 0 offset:328
	buffer_load_dword v226, off, s[0:3], 0 offset:332
	buffer_load_dword v227, off, s[0:3], 0 offset:336
	buffer_load_dword v228, off, s[0:3], 0 offset:340
	buffer_load_dword v229, off, s[0:3], 0 offset:348
	buffer_load_dword v230, off, s[0:3], 0 offset:352
	buffer_load_dword v231, off, s[0:3], 0 offset:356
	buffer_load_dword v232, off, s[0:3], 0 offset:344
	v_fmac_f32_e32 v165, v154, v10
	s_waitcnt vmcnt(37)
	v_fmac_f32_e32 v166, v156, v17
	v_add_f32_e32 v37, v37, v165
	s_waitcnt vmcnt(36) lgkmcnt(1)
	v_mul_f32_e32 v40, v157, v18
	v_add_f32_e32 v37, v37, v166
	v_fmac_f32_e32 v40, v158, v16
	v_add_f32_e32 v37, v37, v40
	s_waitcnt vmcnt(35)
	v_mul_f32_e32 v40, v159, v19
	buffer_load_dword v233, off, s[0:3], 0 offset:360
	buffer_load_dword v234, off, s[0:3], 0 offset:364
	v_fmac_f32_e32 v40, v160, v15
	v_add_f32_e32 v37, v37, v40
	s_waitcnt vmcnt(36) lgkmcnt(0)
	v_mul_f32_e32 v40, v161, v20
	v_fmac_f32_e32 v40, v162, v14
	v_add_f32_e32 v37, v37, v40
	s_waitcnt vmcnt(32)
	v_mul_f32_e32 v40, v163, v22
	v_fmac_f32_e32 v40, v164, v21
	ds_read_b128 v[165:168], v118 offset:704
	v_add_f32_e32 v37, v37, v40
	buffer_load_dword v40, off, s[0:3], 0 offset:368
	buffer_load_dword v235, off, s[0:3], 0 offset:372
	;; [unrolled: 1-line block ×6, first 2 shown]
	ds_read_b128 v[169:172], v118 offset:720
	buffer_load_dword v240, off, s[0:3], 0 offset:392
	buffer_load_dword v241, off, s[0:3], 0 offset:396
	;; [unrolled: 1-line block ×10, first 2 shown]
	s_waitcnt vmcnt(46) lgkmcnt(1)
	v_mul_f32_e32 v173, v165, v24
	v_fmac_f32_e32 v173, v166, v23
	v_add_f32_e32 v37, v37, v173
	s_waitcnt vmcnt(44)
	v_mul_f32_e32 v173, v167, v26
	v_fmac_f32_e32 v173, v168, v25
	v_add_f32_e32 v37, v37, v173
	s_waitcnt vmcnt(42) lgkmcnt(0)
	v_mul_f32_e32 v173, v169, v28
	buffer_load_dword v250, off, s[0:3], 0 offset:432
	buffer_load_dword v251, off, s[0:3], 0 offset:436
	;; [unrolled: 1-line block ×6, first 2 shown]
	v_fmac_f32_e32 v173, v170, v27
	s_waitcnt vmcnt(46)
	v_mul_f32_e32 v177, v171, v30
	v_add_f32_e32 v37, v37, v173
	v_fmac_f32_e32 v177, v172, v29
	ds_read_b128 v[173:176], v118 offset:736
	v_add_f32_e32 v37, v37, v177
	ds_read_b128 v[177:180], v118 offset:752
	buffer_load_dword v43, off, s[0:3], 0 offset:456
	buffer_load_dword v44, off, s[0:3], 0 offset:460
	s_waitcnt vmcnt(46) lgkmcnt(1)
	v_mul_f32_e32 v181, v173, v32
	v_fmac_f32_e32 v181, v174, v31
	v_add_f32_e32 v37, v37, v181
	s_waitcnt vmcnt(44)
	v_mul_f32_e32 v181, v175, v34
	v_fmac_f32_e32 v181, v176, v33
	v_add_f32_e32 v37, v37, v181
	s_waitcnt vmcnt(42) lgkmcnt(0)
	v_mul_f32_e32 v181, v177, v36
	v_fmac_f32_e32 v181, v178, v35
	v_add_f32_e32 v37, v37, v181
	ds_read_b128 v[181:184], v118 offset:768
	s_waitcnt vmcnt(40)
	v_mul_f32_e32 v185, v179, v39
	v_fmac_f32_e32 v185, v180, v38
	v_add_f32_e32 v37, v37, v185
	ds_read_b128 v[185:188], v118 offset:784
	s_waitcnt vmcnt(38) lgkmcnt(1)
	v_mul_f32_e32 v189, v181, v42
	v_fmac_f32_e32 v189, v182, v41
	v_add_f32_e32 v37, v37, v189
	s_waitcnt vmcnt(37)
	v_mul_f32_e32 v189, v183, v221
	s_waitcnt vmcnt(34)
	v_fmac_f32_e32 v189, v184, v224
	v_add_f32_e32 v37, v37, v189
	s_waitcnt lgkmcnt(0)
	v_mul_f32_e32 v189, v185, v223
	v_fmac_f32_e32 v189, v186, v222
	v_add_f32_e32 v37, v37, v189
	ds_read_b128 v[189:192], v118 offset:800
	s_waitcnt vmcnt(32)
	v_mul_f32_e32 v193, v187, v226
	v_fmac_f32_e32 v193, v188, v225
	v_add_f32_e32 v37, v37, v193
	ds_read_b128 v[193:196], v118 offset:816
	s_waitcnt vmcnt(30) lgkmcnt(1)
	v_mul_f32_e32 v197, v189, v228
	v_fmac_f32_e32 v197, v190, v227
	v_add_f32_e32 v37, v37, v197
	s_waitcnt vmcnt(29)
	v_mul_f32_e32 v197, v191, v229
	s_waitcnt vmcnt(26)
	v_fmac_f32_e32 v197, v192, v232
	v_add_f32_e32 v37, v37, v197
	s_waitcnt lgkmcnt(0)
	;; [unrolled: 19-line block ×5, first 2 shown]
	v_mul_f32_e32 v118, v217, v254
	v_fmac_f32_e32 v118, v218, v253
	v_add_f32_e32 v37, v37, v118
	s_waitcnt vmcnt(0)
	v_mul_f32_e32 v118, v219, v44
	v_fmac_f32_e32 v118, v220, v43
	v_add_f32_e32 v37, v37, v118
	v_mul_f32_e32 v118, v134, v127
	v_fma_f32 v5, v133, v5, -v118
	v_mul_f32_e32 v118, v136, v126
	v_add_f32_e32 v5, 0, v5
	v_fma_f32 v4, v135, v4, -v118
	v_add_f32_e32 v4, v5, v4
	v_mul_f32_e32 v5, v138, v125
	v_fma_f32 v3, v137, v3, -v5
	v_add_f32_e32 v3, v4, v3
	v_mul_f32_e32 v4, v140, v124
	v_fma_f32 v4, v139, v9, -v4
	v_add_f32_e32 v3, v3, v4
	v_mul_f32_e32 v4, v142, v123
	v_fma_f32 v4, v141, v8, -v4
	v_add_f32_e32 v3, v3, v4
	v_mul_f32_e32 v4, v144, v122
	v_fma_f32 v4, v143, v7, -v4
	v_add_f32_e32 v3, v3, v4
	v_mul_f32_e32 v4, v146, v121
	v_fma_f32 v4, v145, v6, -v4
	v_add_f32_e32 v3, v3, v4
	v_mul_f32_e32 v4, v148, v128
	v_fma_f32 v4, v147, v13, -v4
	v_add_f32_e32 v3, v3, v4
	v_mul_f32_e32 v4, v150, v129
	v_fma_f32 v4, v149, v12, -v4
	v_add_f32_e32 v3, v3, v4
	v_mul_f32_e32 v4, v152, v130
	v_fma_f32 v4, v151, v11, -v4
	v_add_f32_e32 v3, v3, v4
	v_mul_f32_e32 v4, v154, v131
	v_fma_f32 v4, v153, v10, -v4
	v_add_f32_e32 v3, v3, v4
	v_mul_f32_e32 v4, v156, v132
	v_fma_f32 v4, v155, v17, -v4
	v_add_f32_e32 v3, v3, v4
	v_mul_f32_e32 v4, v158, v18
	v_fma_f32 v4, v157, v16, -v4
	v_add_f32_e32 v3, v3, v4
	v_mul_f32_e32 v4, v160, v19
	v_fma_f32 v4, v159, v15, -v4
	v_add_f32_e32 v3, v3, v4
	v_mul_f32_e32 v4, v162, v20
	v_fma_f32 v4, v161, v14, -v4
	v_add_f32_e32 v3, v3, v4
	v_mul_f32_e32 v4, v164, v22
	v_fma_f32 v4, v163, v21, -v4
	v_add_f32_e32 v3, v3, v4
	v_mul_f32_e32 v4, v166, v24
	v_fma_f32 v4, v165, v23, -v4
	v_add_f32_e32 v3, v3, v4
	v_mul_f32_e32 v4, v168, v26
	v_fma_f32 v4, v167, v25, -v4
	v_add_f32_e32 v3, v3, v4
	v_mul_f32_e32 v4, v170, v28
	v_fma_f32 v4, v169, v27, -v4
	v_add_f32_e32 v3, v3, v4
	v_mul_f32_e32 v4, v172, v30
	v_fma_f32 v4, v171, v29, -v4
	v_add_f32_e32 v3, v3, v4
	v_mul_f32_e32 v4, v174, v32
	v_fma_f32 v4, v173, v31, -v4
	v_add_f32_e32 v3, v3, v4
	v_mul_f32_e32 v4, v176, v34
	v_fma_f32 v4, v175, v33, -v4
	v_add_f32_e32 v3, v3, v4
	v_mul_f32_e32 v4, v178, v36
	v_fma_f32 v4, v177, v35, -v4
	v_add_f32_e32 v3, v3, v4
	v_mul_f32_e32 v4, v180, v39
	v_fma_f32 v4, v179, v38, -v4
	v_add_f32_e32 v3, v3, v4
	v_mul_f32_e32 v4, v182, v42
	v_fma_f32 v4, v181, v41, -v4
	v_add_f32_e32 v3, v3, v4
	v_mul_f32_e32 v4, v184, v221
	v_fma_f32 v4, v183, v224, -v4
	v_add_f32_e32 v3, v3, v4
	v_mul_f32_e32 v4, v186, v223
	v_fma_f32 v4, v185, v222, -v4
	v_add_f32_e32 v3, v3, v4
	v_mul_f32_e32 v4, v188, v226
	v_fma_f32 v4, v187, v225, -v4
	v_add_f32_e32 v3, v3, v4
	v_mul_f32_e32 v4, v190, v228
	v_fma_f32 v4, v189, v227, -v4
	v_add_f32_e32 v3, v3, v4
	v_mul_f32_e32 v4, v192, v229
	v_fma_f32 v4, v191, v232, -v4
	v_add_f32_e32 v3, v3, v4
	v_mul_f32_e32 v4, v194, v231
	v_fma_f32 v4, v193, v230, -v4
	v_add_f32_e32 v3, v3, v4
	v_mul_f32_e32 v4, v196, v234
	v_fma_f32 v4, v195, v233, -v4
	v_add_f32_e32 v3, v3, v4
	v_mul_f32_e32 v4, v198, v235
	v_fma_f32 v4, v197, v40, -v4
	v_add_f32_e32 v3, v3, v4
	v_mul_f32_e32 v4, v200, v236
	v_fma_f32 v4, v199, v239, -v4
	v_add_f32_e32 v3, v3, v4
	v_mul_f32_e32 v4, v202, v238
	v_fma_f32 v4, v201, v237, -v4
	v_add_f32_e32 v3, v3, v4
	v_mul_f32_e32 v4, v204, v241
	v_fma_f32 v4, v203, v240, -v4
	v_add_f32_e32 v3, v3, v4
	v_mul_f32_e32 v4, v206, v243
	v_fma_f32 v4, v205, v242, -v4
	v_add_f32_e32 v3, v3, v4
	v_mul_f32_e32 v4, v208, v244
	v_fma_f32 v4, v207, v247, -v4
	v_add_f32_e32 v3, v3, v4
	v_mul_f32_e32 v4, v210, v246
	v_fma_f32 v4, v209, v245, -v4
	v_add_f32_e32 v3, v3, v4
	v_mul_f32_e32 v4, v212, v249
	v_fma_f32 v4, v211, v248, -v4
	v_add_f32_e32 v3, v3, v4
	v_mul_f32_e32 v4, v214, v251
	v_fma_f32 v4, v213, v250, -v4
	v_add_f32_e32 v3, v3, v4
	v_mul_f32_e32 v4, v216, v252
	v_fma_f32 v4, v215, v255, -v4
	v_add_f32_e32 v3, v3, v4
	v_mul_f32_e32 v4, v218, v254
	v_fma_f32 v4, v217, v253, -v4
	v_add_f32_e32 v3, v3, v4
	v_mul_f32_e32 v4, v220, v44
	v_fma_f32 v4, v219, v43, -v4
	v_add_f32_e32 v3, v3, v4
	v_sub_f32_e32 v3, v119, v3
	v_sub_f32_e32 v4, v120, v37
	buffer_store_dword v3, off, s[0:3], 0 offset:104
	buffer_store_dword v4, off, s[0:3], 0 offset:108
	s_and_saveexec_b64 s[4:5], vcc
	s_cbranch_execz .LBB121_337
; %bb.336:
	buffer_load_dword v3, off, s[0:3], 0 offset:96
	buffer_load_dword v4, off, s[0:3], 0 offset:100
	v_mov_b32_e32 v5, 0
	buffer_store_dword v5, off, s[0:3], 0 offset:96
	buffer_store_dword v5, off, s[0:3], 0 offset:100
	s_waitcnt vmcnt(2)
	ds_write_b64 v117, v[3:4]
.LBB121_337:
	s_or_b64 exec, exec, s[4:5]
	s_waitcnt lgkmcnt(0)
	; wave barrier
	buffer_load_dword v5, off, s[0:3], 0 offset:108
	buffer_load_dword v6, off, s[0:3], 0 offset:116
	;; [unrolled: 1-line block ×32, first 2 shown]
	v_mov_b32_e32 v118, 0
	buffer_load_dword v35, off, s[0:3], 0 offset:224
	buffer_load_dword v36, off, s[0:3], 0 offset:228
	;; [unrolled: 1-line block ×16, first 2 shown]
	ds_read2_b64 v[121:124], v118 offset0:71 offset1:72
	ds_read2_b64 v[125:128], v118 offset0:73 offset1:74
	;; [unrolled: 1-line block ×7, first 2 shown]
	v_cmp_lt_u32_e32 vcc, 11, v0
	s_waitcnt vmcnt(47) lgkmcnt(6)
	v_mul_f32_e32 v3, v121, v5
	s_waitcnt vmcnt(46)
	v_mul_f32_e32 v4, v123, v6
	s_waitcnt vmcnt(45) lgkmcnt(5)
	v_mul_f32_e32 v149, v125, v7
	s_waitcnt vmcnt(44)
	v_mul_f32_e32 v150, v127, v8
	;; [unrolled: 4-line block ×6, first 2 shown]
	s_waitcnt vmcnt(35)
	v_fmac_f32_e32 v149, v126, v17
	s_waitcnt vmcnt(34)
	v_fmac_f32_e32 v4, v124, v18
	;; [unrolled: 2-line block ×3, first 2 shown]
	v_add_f32_e32 v3, 0, v3
	v_add_f32_e32 v3, v3, v4
	;; [unrolled: 1-line block ×3, first 2 shown]
	s_waitcnt vmcnt(29)
	v_fmac_f32_e32 v150, v128, v23
	v_fmac_f32_e32 v151, v130, v22
	v_add_f32_e32 v3, v3, v150
	v_fmac_f32_e32 v152, v132, v21
	v_add_f32_e32 v3, v3, v151
	v_add_f32_e32 v3, v3, v152
	ds_read2_b64 v[149:152], v118 offset0:85 offset1:86
	buffer_load_dword v215, off, s[0:3], 0 offset:288
	buffer_load_dword v216, off, s[0:3], 0 offset:292
	;; [unrolled: 1-line block ×10, first 2 shown]
	v_fmac_f32_e32 v153, v134, v20
	s_waitcnt vmcnt(35)
	v_fmac_f32_e32 v154, v136, v27
	v_add_f32_e32 v3, v3, v153
	buffer_load_dword v225, off, s[0:3], 0 offset:328
	buffer_load_dword v226, off, s[0:3], 0 offset:332
	buffer_load_dword v227, off, s[0:3], 0 offset:340
	buffer_load_dword v228, off, s[0:3], 0 offset:344
	buffer_load_dword v229, off, s[0:3], 0 offset:348
	buffer_load_dword v230, off, s[0:3], 0 offset:336
	v_fmac_f32_e32 v155, v138, v26
	v_add_f32_e32 v3, v3, v154
	v_fmac_f32_e32 v156, v140, v25
	v_add_f32_e32 v3, v3, v155
	v_add_f32_e32 v3, v3, v156
	ds_read2_b64 v[153:156], v118 offset0:87 offset1:88
	buffer_load_dword v231, off, s[0:3], 0 offset:352
	buffer_load_dword v232, off, s[0:3], 0 offset:356
	v_fmac_f32_e32 v157, v142, v24
	s_waitcnt vmcnt(39)
	v_fmac_f32_e32 v158, v144, v31
	v_add_f32_e32 v3, v3, v157
	v_add_f32_e32 v3, v3, v158
	ds_read2_b64 v[157:160], v118 offset0:89 offset1:90
	buffer_load_dword v233, off, s[0:3], 0 offset:360
	buffer_load_dword v234, off, s[0:3], 0 offset:364
	;; [unrolled: 1-line block ×16, first 2 shown]
	ds_read2_b64 v[161:164], v118 offset0:91 offset1:92
	buffer_load_dword v249, off, s[0:3], 0 offset:424
	buffer_load_dword v250, off, s[0:3], 0 offset:428
	;; [unrolled: 1-line block ×6, first 2 shown]
	v_mul_f32_e32 v5, v122, v5
	v_fma_f32 v5, v121, v19, -v5
	v_mul_f32_e32 v6, v124, v6
	v_add_f32_e32 v5, 0, v5
	v_fma_f32 v6, v123, v18, -v6
	v_add_f32_e32 v5, v5, v6
	v_mul_f32_e32 v6, v126, v7
	ds_read2_b64 v[165:168], v118 offset0:93 offset1:94
	buffer_load_dword v255, off, s[0:3], 0 offset:452
	buffer_load_dword v45, off, s[0:3], 0 offset:456
	;; [unrolled: 1-line block ×4, first 2 shown]
	v_fma_f32 v6, v125, v17, -v6
	v_add_f32_e32 v5, v5, v6
	v_mul_f32_e32 v6, v128, v8
	v_fma_f32 v6, v127, v23, -v6
	v_add_f32_e32 v5, v5, v6
	v_mul_f32_e32 v6, v130, v9
	;; [unrolled: 3-line block ×8, first 2 shown]
	s_waitcnt vmcnt(62) lgkmcnt(5)
	v_mul_f32_e32 v4, v145, v32
	v_fma_f32 v6, v141, v24, -v6
	v_fmac_f32_e32 v4, v146, v30
	v_add_f32_e32 v5, v5, v6
	v_mul_f32_e32 v6, v144, v16
	v_add_f32_e32 v3, v3, v4
	v_mul_f32_e32 v4, v147, v33
	v_fma_f32 v6, v143, v31, -v6
	v_fmac_f32_e32 v4, v148, v29
	v_add_f32_e32 v5, v5, v6
	v_mul_f32_e32 v6, v146, v32
	v_add_f32_e32 v3, v3, v4
	s_waitcnt lgkmcnt(4)
	v_mul_f32_e32 v4, v149, v34
	v_fma_f32 v6, v145, v30, -v6
	v_fmac_f32_e32 v4, v150, v28
	v_add_f32_e32 v5, v5, v6
	v_mul_f32_e32 v6, v148, v33
	v_add_f32_e32 v3, v3, v4
	s_waitcnt vmcnt(58)
	v_mul_f32_e32 v4, v151, v36
	v_fma_f32 v6, v147, v29, -v6
	v_fmac_f32_e32 v4, v152, v35
	v_add_f32_e32 v5, v5, v6
	v_mul_f32_e32 v6, v150, v34
	v_add_f32_e32 v3, v3, v4
	s_waitcnt vmcnt(56) lgkmcnt(3)
	v_mul_f32_e32 v4, v153, v38
	v_fma_f32 v6, v149, v28, -v6
	v_fmac_f32_e32 v4, v154, v37
	v_add_f32_e32 v5, v5, v6
	v_mul_f32_e32 v6, v152, v36
	v_add_f32_e32 v3, v3, v4
	s_waitcnt vmcnt(54)
	v_mul_f32_e32 v4, v155, v40
	v_fma_f32 v6, v151, v35, -v6
	v_fmac_f32_e32 v4, v156, v39
	v_add_f32_e32 v5, v5, v6
	v_mul_f32_e32 v6, v154, v38
	v_add_f32_e32 v3, v3, v4
	s_waitcnt vmcnt(52) lgkmcnt(2)
	;; [unrolled: 14-line block ×3, first 2 shown]
	v_mul_f32_e32 v4, v161, v210
	v_fma_f32 v6, v157, v41, -v6
	v_fmac_f32_e32 v4, v162, v209
	v_add_f32_e32 v5, v5, v6
	v_mul_f32_e32 v6, v160, v44
	v_add_f32_e32 v3, v3, v4
	s_waitcnt vmcnt(46)
	v_mul_f32_e32 v4, v163, v212
	v_fma_f32 v6, v159, v43, -v6
	v_fmac_f32_e32 v4, v164, v211
	ds_read2_b64 v[169:172], v118 offset0:95 offset1:96
	ds_read2_b64 v[173:176], v118 offset0:97 offset1:98
	v_add_f32_e32 v5, v5, v6
	v_mul_f32_e32 v6, v162, v210
	v_add_f32_e32 v3, v3, v4
	s_waitcnt vmcnt(44) lgkmcnt(2)
	v_mul_f32_e32 v4, v165, v214
	v_fma_f32 v6, v161, v209, -v6
	v_fmac_f32_e32 v4, v166, v213
	v_add_f32_e32 v5, v5, v6
	v_mul_f32_e32 v6, v164, v212
	v_add_f32_e32 v3, v3, v4
	s_waitcnt vmcnt(42)
	v_mul_f32_e32 v4, v167, v216
	v_fma_f32 v6, v163, v211, -v6
	v_fmac_f32_e32 v4, v168, v215
	v_add_f32_e32 v5, v5, v6
	v_mul_f32_e32 v6, v166, v214
	v_add_f32_e32 v3, v3, v4
	s_waitcnt vmcnt(40) lgkmcnt(1)
	v_mul_f32_e32 v4, v169, v218
	v_fma_f32 v6, v165, v213, -v6
	v_fmac_f32_e32 v4, v170, v217
	v_add_f32_e32 v5, v5, v6
	v_mul_f32_e32 v6, v168, v216
	v_add_f32_e32 v3, v3, v4
	s_waitcnt vmcnt(39)
	v_mul_f32_e32 v4, v171, v219
	v_fma_f32 v6, v167, v215, -v6
	s_waitcnt vmcnt(36)
	v_fmac_f32_e32 v4, v172, v222
	ds_read2_b64 v[177:180], v118 offset0:99 offset1:100
	ds_read2_b64 v[181:184], v118 offset0:101 offset1:102
	v_add_f32_e32 v5, v5, v6
	v_mul_f32_e32 v6, v170, v218
	v_add_f32_e32 v3, v3, v4
	s_waitcnt lgkmcnt(2)
	v_mul_f32_e32 v4, v173, v221
	v_fma_f32 v6, v169, v217, -v6
	v_fmac_f32_e32 v4, v174, v220
	v_add_f32_e32 v5, v5, v6
	v_mul_f32_e32 v6, v172, v219
	v_add_f32_e32 v3, v3, v4
	s_waitcnt vmcnt(34)
	v_mul_f32_e32 v4, v175, v224
	v_fma_f32 v6, v171, v222, -v6
	v_fmac_f32_e32 v4, v176, v223
	v_add_f32_e32 v5, v5, v6
	v_mul_f32_e32 v6, v174, v221
	v_add_f32_e32 v3, v3, v4
	s_waitcnt vmcnt(32) lgkmcnt(1)
	v_mul_f32_e32 v4, v177, v226
	v_fma_f32 v6, v173, v220, -v6
	v_fmac_f32_e32 v4, v178, v225
	v_add_f32_e32 v5, v5, v6
	v_mul_f32_e32 v6, v176, v224
	v_add_f32_e32 v3, v3, v4
	s_waitcnt vmcnt(31)
	v_mul_f32_e32 v4, v179, v227
	v_fma_f32 v6, v175, v223, -v6
	s_waitcnt vmcnt(28)
	v_fmac_f32_e32 v4, v180, v230
	ds_read2_b64 v[185:188], v118 offset0:103 offset1:104
	ds_read2_b64 v[189:192], v118 offset0:105 offset1:106
	v_add_f32_e32 v5, v5, v6
	v_mul_f32_e32 v6, v178, v226
	v_add_f32_e32 v3, v3, v4
	s_waitcnt lgkmcnt(2)
	v_mul_f32_e32 v4, v181, v229
	v_fma_f32 v6, v177, v225, -v6
	v_fmac_f32_e32 v4, v182, v228
	v_add_f32_e32 v5, v5, v6
	v_mul_f32_e32 v6, v180, v227
	v_add_f32_e32 v3, v3, v4
	s_waitcnt vmcnt(26)
	v_mul_f32_e32 v4, v183, v232
	v_fma_f32 v6, v179, v230, -v6
	v_fmac_f32_e32 v4, v184, v231
	v_add_f32_e32 v5, v5, v6
	v_mul_f32_e32 v6, v182, v229
	v_add_f32_e32 v3, v3, v4
	s_waitcnt vmcnt(24) lgkmcnt(1)
	v_mul_f32_e32 v4, v185, v234
	v_fma_f32 v6, v181, v228, -v6
	v_fmac_f32_e32 v4, v186, v233
	v_add_f32_e32 v5, v5, v6
	v_mul_f32_e32 v6, v184, v232
	v_add_f32_e32 v3, v3, v4
	s_waitcnt vmcnt(23)
	v_mul_f32_e32 v4, v187, v235
	v_fma_f32 v6, v183, v231, -v6
	s_waitcnt vmcnt(20)
	v_fmac_f32_e32 v4, v188, v238
	ds_read2_b64 v[193:196], v118 offset0:107 offset1:108
	ds_read2_b64 v[197:200], v118 offset0:109 offset1:110
	v_add_f32_e32 v5, v5, v6
	v_mul_f32_e32 v6, v186, v234
	v_add_f32_e32 v3, v3, v4
	s_waitcnt lgkmcnt(2)
	v_mul_f32_e32 v4, v189, v237
	v_fma_f32 v6, v185, v233, -v6
	v_fmac_f32_e32 v4, v190, v236
	v_add_f32_e32 v5, v5, v6
	v_mul_f32_e32 v6, v188, v235
	v_add_f32_e32 v3, v3, v4
	s_waitcnt vmcnt(18)
	v_mul_f32_e32 v4, v191, v240
	v_fma_f32 v6, v187, v238, -v6
	v_fmac_f32_e32 v4, v192, v239
	v_add_f32_e32 v5, v5, v6
	v_mul_f32_e32 v6, v190, v237
	v_add_f32_e32 v3, v3, v4
	s_waitcnt vmcnt(16) lgkmcnt(1)
	v_mul_f32_e32 v4, v193, v242
	v_fma_f32 v6, v189, v236, -v6
	v_fmac_f32_e32 v4, v194, v241
	v_add_f32_e32 v5, v5, v6
	v_mul_f32_e32 v6, v192, v240
	v_add_f32_e32 v3, v3, v4
	s_waitcnt vmcnt(15)
	v_mul_f32_e32 v4, v195, v243
	v_fma_f32 v6, v191, v239, -v6
	s_waitcnt vmcnt(12)
	v_fmac_f32_e32 v4, v196, v246
	ds_read2_b64 v[201:204], v118 offset0:111 offset1:112
	ds_read2_b64 v[205:208], v118 offset0:113 offset1:114
	v_add_f32_e32 v5, v5, v6
	v_mul_f32_e32 v6, v194, v242
	v_add_f32_e32 v3, v3, v4
	s_waitcnt lgkmcnt(2)
	v_mul_f32_e32 v4, v197, v245
	v_fma_f32 v6, v193, v241, -v6
	v_fmac_f32_e32 v4, v198, v244
	v_add_f32_e32 v5, v5, v6
	v_mul_f32_e32 v6, v196, v243
	v_add_f32_e32 v3, v3, v4
	s_waitcnt vmcnt(10)
	v_mul_f32_e32 v4, v199, v248
	v_fma_f32 v6, v195, v246, -v6
	v_fmac_f32_e32 v4, v200, v247
	v_add_f32_e32 v5, v5, v6
	v_mul_f32_e32 v6, v198, v245
	v_add_f32_e32 v3, v3, v4
	s_waitcnt vmcnt(8) lgkmcnt(1)
	v_mul_f32_e32 v4, v201, v250
	v_fma_f32 v6, v197, v244, -v6
	v_fmac_f32_e32 v4, v202, v249
	v_add_f32_e32 v5, v5, v6
	v_mul_f32_e32 v6, v200, v248
	v_add_f32_e32 v3, v3, v4
	s_waitcnt vmcnt(7)
	v_mul_f32_e32 v4, v203, v251
	v_fma_f32 v6, v199, v247, -v6
	s_waitcnt vmcnt(4)
	v_fmac_f32_e32 v4, v204, v254
	v_add_f32_e32 v5, v5, v6
	v_mul_f32_e32 v6, v202, v250
	v_add_f32_e32 v48, v3, v4
	ds_read_b64 v[3:4], v118 offset:920
	v_fma_f32 v6, v201, v249, -v6
	s_waitcnt lgkmcnt(1)
	v_mul_f32_e32 v49, v205, v253
	v_add_f32_e32 v5, v5, v6
	v_mul_f32_e32 v6, v204, v251
	v_fmac_f32_e32 v49, v206, v252
	v_fma_f32 v6, v203, v254, -v6
	v_add_f32_e32 v48, v48, v49
	s_waitcnt vmcnt(3)
	v_mul_f32_e32 v49, v207, v255
	v_add_f32_e32 v5, v5, v6
	v_mul_f32_e32 v6, v206, v253
	s_waitcnt vmcnt(0)
	v_fmac_f32_e32 v49, v208, v47
	v_fma_f32 v6, v205, v252, -v6
	v_add_f32_e32 v48, v48, v49
	s_waitcnt lgkmcnt(0)
	v_mul_f32_e32 v49, v3, v46
	v_add_f32_e32 v5, v5, v6
	v_mul_f32_e32 v6, v208, v255
	v_fmac_f32_e32 v49, v4, v45
	v_fma_f32 v6, v207, v47, -v6
	v_mul_f32_e32 v4, v4, v46
	v_add_f32_e32 v5, v5, v6
	v_fma_f32 v3, v3, v45, -v4
	v_add_f32_e32 v3, v5, v3
	v_add_f32_e32 v48, v48, v49
	v_sub_f32_e32 v3, v119, v3
	v_sub_f32_e32 v4, v120, v48
	buffer_store_dword v3, off, s[0:3], 0 offset:96
	buffer_store_dword v4, off, s[0:3], 0 offset:100
	s_and_saveexec_b64 s[4:5], vcc
	s_cbranch_execz .LBB121_339
; %bb.338:
	buffer_load_dword v3, off, s[0:3], 0 offset:88
	buffer_load_dword v4, off, s[0:3], 0 offset:92
	s_waitcnt vmcnt(0)
	ds_write_b64 v117, v[3:4]
	buffer_store_dword v118, off, s[0:3], 0 offset:88
	buffer_store_dword v118, off, s[0:3], 0 offset:92
.LBB121_339:
	s_or_b64 exec, exec, s[4:5]
	s_waitcnt lgkmcnt(0)
	; wave barrier
	buffer_load_dword v127, off, s[0:3], 0 offset:100
	buffer_load_dword v126, off, s[0:3], 0 offset:108
	;; [unrolled: 1-line block ×33, first 2 shown]
	ds_read_b128 v[128:131], v118 offset:560
	ds_read_b128 v[132:135], v118 offset:576
	;; [unrolled: 1-line block ×6, first 2 shown]
	buffer_load_dword v27, off, s[0:3], 0 offset:216
	buffer_load_dword v28, off, s[0:3], 0 offset:228
	;; [unrolled: 1-line block ×7, first 2 shown]
	ds_read_b128 v[152:155], v118 offset:656
	ds_read_b128 v[156:159], v118 offset:672
	buffer_load_dword v34, off, s[0:3], 0 offset:248
	buffer_load_dword v35, off, s[0:3], 0 offset:252
	;; [unrolled: 1-line block ×8, first 2 shown]
	v_cmp_lt_u32_e32 vcc, 10, v0
	s_waitcnt vmcnt(47) lgkmcnt(7)
	v_mul_f32_e32 v42, v128, v127
	s_waitcnt vmcnt(46)
	v_mul_f32_e32 v43, v130, v126
	s_waitcnt vmcnt(45) lgkmcnt(6)
	v_mul_f32_e32 v44, v132, v125
	s_waitcnt vmcnt(44)
	v_mul_f32_e32 v45, v134, v124
	;; [unrolled: 4-line block ×6, first 2 shown]
	s_waitcnt vmcnt(35)
	v_fmac_f32_e32 v44, v133, v8
	s_waitcnt vmcnt(34)
	v_fmac_f32_e32 v43, v131, v9
	;; [unrolled: 2-line block ×3, first 2 shown]
	v_add_f32_e32 v42, 0, v42
	v_add_f32_e32 v42, v42, v43
	v_add_f32_e32 v42, v42, v44
	s_waitcnt vmcnt(29)
	v_fmac_f32_e32 v45, v135, v14
	v_fmac_f32_e32 v46, v137, v13
	v_add_f32_e32 v42, v42, v45
	v_fmac_f32_e32 v47, v139, v12
	v_add_f32_e32 v42, v42, v46
	;; [unrolled: 2-line block ×3, first 2 shown]
	s_waitcnt vmcnt(25)
	v_fmac_f32_e32 v49, v143, v18
	v_add_f32_e32 v42, v42, v48
	v_fmac_f32_e32 v50, v145, v17
	v_add_f32_e32 v42, v42, v49
	;; [unrolled: 2-line block ×4, first 2 shown]
	s_waitcnt vmcnt(21)
	v_fmac_f32_e32 v162, v151, v22
	v_add_f32_e32 v42, v42, v161
	s_waitcnt vmcnt(20) lgkmcnt(1)
	v_mul_f32_e32 v43, v152, v23
	v_add_f32_e32 v42, v42, v162
	v_fmac_f32_e32 v43, v153, v21
	v_add_f32_e32 v42, v42, v43
	buffer_load_dword v43, off, s[0:3], 0 offset:280
	buffer_load_dword v44, off, s[0:3], 0 offset:284
	;; [unrolled: 1-line block ×8, first 2 shown]
	s_waitcnt vmcnt(27)
	v_mul_f32_e32 v45, v154, v24
	v_fmac_f32_e32 v45, v155, v20
	v_add_f32_e32 v42, v42, v45
	s_waitcnt vmcnt(26) lgkmcnt(0)
	v_mul_f32_e32 v45, v156, v25
	v_fmac_f32_e32 v45, v157, v19
	v_add_f32_e32 v42, v42, v45
	buffer_load_dword v45, off, s[0:3], 0 offset:312
	buffer_load_dword v221, off, s[0:3], 0 offset:316
	ds_read_b128 v[160:163], v118 offset:688
	buffer_load_dword v222, off, s[0:3], 0 offset:320
	buffer_load_dword v223, off, s[0:3], 0 offset:324
	;; [unrolled: 1-line block ×6, first 2 shown]
	s_waitcnt vmcnt(33)
	v_mul_f32_e32 v164, v158, v26
	s_waitcnt vmcnt(30)
	v_fmac_f32_e32 v164, v159, v27
	v_add_f32_e32 v42, v42, v164
	ds_read_b128 v[164:167], v118 offset:704
	buffer_load_dword v228, off, s[0:3], 0 offset:344
	buffer_load_dword v229, off, s[0:3], 0 offset:348
	;; [unrolled: 1-line block ×10, first 2 shown]
	s_waitcnt vmcnt(39) lgkmcnt(1)
	v_mul_f32_e32 v168, v160, v28
	buffer_load_dword v238, off, s[0:3], 0 offset:384
	buffer_load_dword v239, off, s[0:3], 0 offset:388
	;; [unrolled: 1-line block ×6, first 2 shown]
	s_waitcnt vmcnt(40)
	v_fmac_f32_e32 v168, v161, v33
	v_add_f32_e32 v42, v42, v168
	v_mul_f32_e32 v168, v162, v30
	v_fmac_f32_e32 v168, v163, v29
	v_add_f32_e32 v42, v42, v168
	s_waitcnt lgkmcnt(0)
	v_mul_f32_e32 v168, v164, v32
	v_fmac_f32_e32 v168, v165, v31
	v_add_f32_e32 v42, v42, v168
	ds_read_b128 v[168:171], v118 offset:720
	buffer_load_dword v244, off, s[0:3], 0 offset:408
	buffer_load_dword v245, off, s[0:3], 0 offset:412
	s_waitcnt vmcnt(40)
	v_mul_f32_e32 v172, v166, v35
	v_fmac_f32_e32 v172, v167, v34
	v_add_f32_e32 v42, v42, v172
	ds_read_b128 v[172:175], v118 offset:736
	buffer_load_dword v246, off, s[0:3], 0 offset:416
	buffer_load_dword v247, off, s[0:3], 0 offset:420
	;; [unrolled: 1-line block ×12, first 2 shown]
	s_waitcnt vmcnt(50) lgkmcnt(1)
	v_mul_f32_e32 v176, v168, v37
	v_fmac_f32_e32 v176, v169, v36
	v_add_f32_e32 v42, v42, v176
	s_waitcnt vmcnt(48)
	v_mul_f32_e32 v176, v170, v39
	v_fmac_f32_e32 v176, v171, v38
	v_add_f32_e32 v42, v42, v176
	s_waitcnt vmcnt(46) lgkmcnt(0)
	v_mul_f32_e32 v176, v172, v41
	v_fmac_f32_e32 v176, v173, v40
	v_add_f32_e32 v42, v42, v176
	ds_read_b128 v[176:179], v118 offset:752
	v_mul_f32_e32 v3, v143, v3
	v_fma_f32 v3, v142, v18, -v3
	v_mul_f32_e32 v4, v145, v4
	v_fma_f32 v4, v144, v17, -v4
	s_waitcnt vmcnt(44)
	v_mul_f32_e32 v180, v174, v44
	v_fmac_f32_e32 v180, v175, v43
	v_add_f32_e32 v42, v42, v180
	ds_read_b128 v[180:183], v118 offset:768
	s_waitcnt vmcnt(42) lgkmcnt(1)
	v_mul_f32_e32 v184, v176, v47
	v_fmac_f32_e32 v184, v177, v46
	v_add_f32_e32 v42, v42, v184
	s_waitcnt vmcnt(41)
	v_mul_f32_e32 v184, v178, v48
	s_waitcnt vmcnt(38)
	v_fmac_f32_e32 v184, v179, v220
	v_add_f32_e32 v42, v42, v184
	s_waitcnt lgkmcnt(0)
	v_mul_f32_e32 v184, v180, v50
	v_fmac_f32_e32 v184, v181, v49
	v_add_f32_e32 v42, v42, v184
	ds_read_b128 v[184:187], v118 offset:784
	s_waitcnt vmcnt(36)
	v_mul_f32_e32 v188, v182, v221
	v_fmac_f32_e32 v188, v183, v45
	v_add_f32_e32 v42, v42, v188
	ds_read_b128 v[188:191], v118 offset:800
	s_waitcnt vmcnt(34) lgkmcnt(1)
	v_mul_f32_e32 v192, v184, v223
	v_fmac_f32_e32 v192, v185, v222
	v_add_f32_e32 v42, v42, v192
	s_waitcnt vmcnt(33)
	v_mul_f32_e32 v192, v186, v224
	s_waitcnt vmcnt(30)
	v_fmac_f32_e32 v192, v187, v227
	v_add_f32_e32 v42, v42, v192
	s_waitcnt lgkmcnt(0)
	v_mul_f32_e32 v192, v188, v226
	v_fmac_f32_e32 v192, v189, v225
	v_add_f32_e32 v42, v42, v192
	ds_read_b128 v[192:195], v118 offset:816
	;; [unrolled: 19-line block ×4, first 2 shown]
	s_waitcnt vmcnt(12)
	v_mul_f32_e32 v212, v206, v245
	v_fmac_f32_e32 v212, v207, v244
	v_add_f32_e32 v42, v42, v212
	ds_read_b128 v[212:215], v118 offset:896
	s_waitcnt vmcnt(10) lgkmcnt(1)
	v_mul_f32_e32 v216, v208, v247
	v_fmac_f32_e32 v216, v209, v246
	v_add_f32_e32 v42, v42, v216
	s_waitcnt vmcnt(9)
	v_mul_f32_e32 v216, v210, v248
	s_waitcnt vmcnt(6)
	v_fmac_f32_e32 v216, v211, v251
	v_add_f32_e32 v42, v42, v216
	ds_read_b128 v[216:219], v118 offset:912
	s_waitcnt lgkmcnt(1)
	v_mul_f32_e32 v53, v212, v250
	v_fmac_f32_e32 v53, v213, v249
	v_add_f32_e32 v42, v42, v53
	s_waitcnt vmcnt(4)
	v_mul_f32_e32 v53, v214, v253
	v_fmac_f32_e32 v53, v215, v252
	v_add_f32_e32 v42, v42, v53
	s_waitcnt vmcnt(3) lgkmcnt(0)
	v_mul_f32_e32 v53, v216, v254
	s_waitcnt vmcnt(0)
	v_fmac_f32_e32 v53, v217, v52
	v_add_f32_e32 v42, v42, v53
	v_mul_f32_e32 v53, v218, v51
	v_fmac_f32_e32 v53, v219, v255
	v_add_f32_e32 v42, v42, v53
	v_mul_f32_e32 v53, v129, v127
	v_fma_f32 v10, v128, v10, -v53
	v_mul_f32_e32 v53, v131, v126
	v_add_f32_e32 v10, 0, v10
	v_fma_f32 v9, v130, v9, -v53
	v_add_f32_e32 v9, v10, v9
	v_mul_f32_e32 v10, v133, v125
	v_fma_f32 v8, v132, v8, -v10
	v_add_f32_e32 v8, v9, v8
	v_mul_f32_e32 v9, v135, v124
	v_fma_f32 v9, v134, v14, -v9
	v_add_f32_e32 v8, v8, v9
	v_mul_f32_e32 v9, v137, v123
	v_fma_f32 v9, v136, v13, -v9
	v_add_f32_e32 v8, v8, v9
	v_mul_f32_e32 v9, v139, v122
	v_fma_f32 v9, v138, v12, -v9
	v_add_f32_e32 v8, v8, v9
	v_mul_f32_e32 v9, v141, v121
	v_fma_f32 v9, v140, v11, -v9
	v_add_f32_e32 v8, v8, v9
	v_add_f32_e32 v3, v8, v3
	;; [unrolled: 1-line block ×3, first 2 shown]
	v_mul_f32_e32 v4, v147, v5
	v_fma_f32 v4, v146, v16, -v4
	v_add_f32_e32 v3, v3, v4
	v_mul_f32_e32 v4, v149, v6
	v_fma_f32 v4, v148, v15, -v4
	v_add_f32_e32 v3, v3, v4
	;; [unrolled: 3-line block ×37, first 2 shown]
	v_sub_f32_e32 v3, v119, v3
	v_sub_f32_e32 v4, v120, v42
	buffer_store_dword v3, off, s[0:3], 0 offset:88
	buffer_store_dword v4, off, s[0:3], 0 offset:92
	s_and_saveexec_b64 s[4:5], vcc
	s_cbranch_execz .LBB121_341
; %bb.340:
	buffer_load_dword v3, off, s[0:3], 0 offset:80
	buffer_load_dword v4, off, s[0:3], 0 offset:84
	v_mov_b32_e32 v5, 0
	buffer_store_dword v5, off, s[0:3], 0 offset:80
	buffer_store_dword v5, off, s[0:3], 0 offset:84
	s_waitcnt vmcnt(2)
	ds_write_b64 v117, v[3:4]
.LBB121_341:
	s_or_b64 exec, exec, s[4:5]
	s_waitcnt lgkmcnt(0)
	; wave barrier
	buffer_load_dword v125, off, s[0:3], 0 offset:92
	buffer_load_dword v124, off, s[0:3], 0 offset:100
	buffer_load_dword v123, off, s[0:3], 0 offset:108
	buffer_load_dword v122, off, s[0:3], 0 offset:116
	buffer_load_dword v121, off, s[0:3], 0 offset:124
	buffer_load_dword v120, off, s[0:3], 0 offset:132
	buffer_load_dword v119, off, s[0:3], 0 offset:140
	buffer_load_dword v5, off, s[0:3], 0 offset:148
	buffer_load_dword v6, off, s[0:3], 0 offset:156
	buffer_load_dword v7, off, s[0:3], 0 offset:164
	buffer_load_dword v8, off, s[0:3], 0 offset:172
	buffer_load_dword v9, off, s[0:3], 0 offset:180
	buffer_load_dword v10, off, s[0:3], 0 offset:104
	buffer_load_dword v11, off, s[0:3], 0 offset:96
	buffer_load_dword v12, off, s[0:3], 0 offset:88
	buffer_load_dword v13, off, s[0:3], 0 offset:136
	buffer_load_dword v14, off, s[0:3], 0 offset:128
	buffer_load_dword v15, off, s[0:3], 0 offset:120
	buffer_load_dword v16, off, s[0:3], 0 offset:112
	buffer_load_dword v17, off, s[0:3], 0 offset:168
	buffer_load_dword v18, off, s[0:3], 0 offset:160
	buffer_load_dword v19, off, s[0:3], 0 offset:152
	buffer_load_dword v20, off, s[0:3], 0 offset:144
	buffer_load_dword v21, off, s[0:3], 0 offset:200
	buffer_load_dword v22, off, s[0:3], 0 offset:192
	buffer_load_dword v23, off, s[0:3], 0 offset:184
	buffer_load_dword v24, off, s[0:3], 0 offset:176
	buffer_load_dword v25, off, s[0:3], 0 offset:188
	buffer_load_dword v26, off, s[0:3], 0 offset:196
	buffer_load_dword v27, off, s[0:3], 0 offset:204
	buffer_load_dword v28, off, s[0:3], 0 offset:212
	buffer_load_dword v29, off, s[0:3], 0 offset:216
	buffer_load_dword v30, off, s[0:3], 0 offset:220
	buffer_load_dword v31, off, s[0:3], 0 offset:224
	buffer_load_dword v32, off, s[0:3], 0 offset:228
	buffer_load_dword v33, off, s[0:3], 0 offset:232
	buffer_load_dword v34, off, s[0:3], 0 offset:236
	buffer_load_dword v35, off, s[0:3], 0 offset:208
	buffer_load_dword v126, off, s[0:3], 0 offset:80
	buffer_load_dword v127, off, s[0:3], 0 offset:84
	v_mov_b32_e32 v118, 0
	buffer_load_dword v36, off, s[0:3], 0 offset:240
	buffer_load_dword v37, off, s[0:3], 0 offset:244
	;; [unrolled: 1-line block ×8, first 2 shown]
	ds_read2_b64 v[128:131], v118 offset0:69 offset1:70
	ds_read2_b64 v[132:135], v118 offset0:71 offset1:72
	ds_read2_b64 v[136:139], v118 offset0:73 offset1:74
	ds_read2_b64 v[140:143], v118 offset0:75 offset1:76
	ds_read2_b64 v[144:147], v118 offset0:77 offset1:78
	ds_read2_b64 v[148:151], v118 offset0:79 offset1:80
	ds_read2_b64 v[152:155], v118 offset0:81 offset1:82
	ds_read2_b64 v[156:159], v118 offset0:83 offset1:84
	v_cmp_lt_u32_e32 vcc, 9, v0
	s_waitcnt vmcnt(47) lgkmcnt(7)
	v_mul_f32_e32 v3, v128, v125
	s_waitcnt vmcnt(46)
	v_mul_f32_e32 v4, v130, v124
	s_waitcnt vmcnt(45) lgkmcnt(6)
	v_mul_f32_e32 v44, v132, v123
	s_waitcnt vmcnt(44)
	v_mul_f32_e32 v45, v134, v122
	;; [unrolled: 4-line block ×6, first 2 shown]
	s_waitcnt vmcnt(35)
	v_fmac_f32_e32 v44, v133, v10
	s_waitcnt vmcnt(34)
	v_fmac_f32_e32 v4, v131, v11
	;; [unrolled: 2-line block ×3, first 2 shown]
	v_add_f32_e32 v3, 0, v3
	v_add_f32_e32 v3, v3, v4
	;; [unrolled: 1-line block ×3, first 2 shown]
	s_waitcnt vmcnt(29)
	v_fmac_f32_e32 v45, v135, v16
	v_fmac_f32_e32 v46, v137, v15
	v_add_f32_e32 v3, v3, v45
	v_fmac_f32_e32 v47, v139, v14
	v_add_f32_e32 v3, v3, v46
	buffer_load_dword v44, off, s[0:3], 0 offset:272
	buffer_load_dword v45, off, s[0:3], 0 offset:276
	v_fmac_f32_e32 v48, v141, v13
	v_add_f32_e32 v3, v3, v47
	s_waitcnt vmcnt(27)
	v_fmac_f32_e32 v49, v143, v20
	v_add_f32_e32 v3, v3, v48
	v_fmac_f32_e32 v50, v145, v19
	v_add_f32_e32 v3, v3, v49
	;; [unrolled: 2-line block ×3, first 2 shown]
	v_add_f32_e32 v3, v3, v51
	buffer_load_dword v46, off, s[0:3], 0 offset:280
	buffer_load_dword v47, off, s[0:3], 0 offset:284
	;; [unrolled: 1-line block ×6, first 2 shown]
	v_fmac_f32_e32 v52, v149, v17
	s_waitcnt vmcnt(29)
	v_fmac_f32_e32 v53, v151, v24
	v_add_f32_e32 v3, v3, v52
	v_add_f32_e32 v3, v3, v53
	buffer_load_dword v52, off, s[0:3], 0 offset:304
	buffer_load_dword v53, off, s[0:3], 0 offset:308
	ds_read2_b64 v[160:163], v118 offset0:85 offset1:86
	buffer_load_dword v54, off, s[0:3], 0 offset:312
	buffer_load_dword v220, off, s[0:3], 0 offset:316
	;; [unrolled: 1-line block ×6, first 2 shown]
	ds_read2_b64 v[164:167], v118 offset0:87 offset1:88
	buffer_load_dword v225, off, s[0:3], 0 offset:336
	buffer_load_dword v226, off, s[0:3], 0 offset:340
	;; [unrolled: 1-line block ×10, first 2 shown]
	ds_read2_b64 v[168:171], v118 offset0:89 offset1:90
	buffer_load_dword v235, off, s[0:3], 0 offset:376
	buffer_load_dword v236, off, s[0:3], 0 offset:380
	buffer_load_dword v237, off, s[0:3], 0 offset:388
	buffer_load_dword v238, off, s[0:3], 0 offset:392
	buffer_load_dword v239, off, s[0:3], 0 offset:396
	buffer_load_dword v240, off, s[0:3], 0 offset:384
	ds_read2_b64 v[172:175], v118 offset0:91 offset1:92
	buffer_load_dword v241, off, s[0:3], 0 offset:400
	buffer_load_dword v242, off, s[0:3], 0 offset:404
	;; [unrolled: 1-line block ×16, first 2 shown]
	s_waitcnt vmcnt(62) lgkmcnt(5)
	v_mul_f32_e32 v4, v152, v25
	v_fmac_f32_e32 v4, v153, v23
	v_add_f32_e32 v3, v3, v4
	v_mul_f32_e32 v4, v154, v26
	v_fmac_f32_e32 v4, v155, v22
	v_add_f32_e32 v3, v3, v4
	s_waitcnt lgkmcnt(4)
	v_mul_f32_e32 v4, v156, v27
	v_fmac_f32_e32 v4, v157, v21
	v_add_f32_e32 v3, v3, v4
	v_mul_f32_e32 v4, v158, v28
	s_waitcnt vmcnt(58)
	v_fmac_f32_e32 v4, v159, v35
	v_add_f32_e32 v3, v3, v4
	s_waitcnt lgkmcnt(3)
	v_mul_f32_e32 v4, v160, v30
	v_fmac_f32_e32 v4, v161, v29
	v_add_f32_e32 v3, v3, v4
	v_mul_f32_e32 v4, v162, v32
	v_fmac_f32_e32 v4, v163, v31
	v_add_f32_e32 v3, v3, v4
	s_waitcnt lgkmcnt(2)
	v_mul_f32_e32 v4, v164, v34
	v_fmac_f32_e32 v4, v165, v33
	v_add_f32_e32 v3, v3, v4
	s_waitcnt vmcnt(54)
	v_mul_f32_e32 v4, v166, v37
	v_fmac_f32_e32 v4, v167, v36
	v_add_f32_e32 v3, v3, v4
	s_waitcnt vmcnt(52) lgkmcnt(1)
	v_mul_f32_e32 v4, v168, v39
	v_fmac_f32_e32 v4, v169, v38
	v_add_f32_e32 v3, v3, v4
	s_waitcnt vmcnt(50)
	v_mul_f32_e32 v4, v170, v41
	v_fmac_f32_e32 v4, v171, v40
	ds_read2_b64 v[176:179], v118 offset0:93 offset1:94
	ds_read2_b64 v[180:183], v118 offset0:95 offset1:96
	v_add_f32_e32 v3, v3, v4
	s_waitcnt vmcnt(48) lgkmcnt(2)
	v_mul_f32_e32 v4, v172, v43
	v_fmac_f32_e32 v4, v173, v42
	v_add_f32_e32 v3, v3, v4
	ds_read2_b64 v[184:187], v118 offset0:97 offset1:98
	ds_read2_b64 v[188:191], v118 offset0:99 offset1:100
	;; [unrolled: 1-line block ×9, first 2 shown]
	v_mul_f32_e32 v5, v143, v5
	v_fma_f32 v5, v142, v20, -v5
	v_mul_f32_e32 v6, v145, v6
	v_fma_f32 v6, v144, v19, -v6
	s_waitcnt vmcnt(46)
	v_mul_f32_e32 v4, v174, v45
	v_fmac_f32_e32 v4, v175, v44
	v_add_f32_e32 v3, v3, v4
	s_waitcnt vmcnt(44) lgkmcnt(10)
	v_mul_f32_e32 v4, v176, v47
	v_fmac_f32_e32 v4, v177, v46
	v_add_f32_e32 v3, v3, v4
	s_waitcnt vmcnt(43)
	v_mul_f32_e32 v4, v178, v48
	s_waitcnt vmcnt(40)
	v_fmac_f32_e32 v4, v179, v51
	v_add_f32_e32 v3, v3, v4
	s_waitcnt lgkmcnt(9)
	v_mul_f32_e32 v4, v180, v50
	v_fmac_f32_e32 v4, v181, v49
	v_add_f32_e32 v3, v3, v4
	s_waitcnt vmcnt(38)
	v_mul_f32_e32 v4, v182, v53
	v_fmac_f32_e32 v4, v183, v52
	v_add_f32_e32 v3, v3, v4
	s_waitcnt vmcnt(36) lgkmcnt(8)
	v_mul_f32_e32 v4, v184, v220
	v_fmac_f32_e32 v4, v185, v54
	v_add_f32_e32 v3, v3, v4
	s_waitcnt vmcnt(35)
	v_mul_f32_e32 v4, v186, v221
	s_waitcnt vmcnt(32)
	v_fmac_f32_e32 v4, v187, v224
	v_add_f32_e32 v3, v3, v4
	s_waitcnt lgkmcnt(7)
	v_mul_f32_e32 v4, v188, v223
	v_fmac_f32_e32 v4, v189, v222
	v_add_f32_e32 v3, v3, v4
	;; [unrolled: 17-line block ×5, first 2 shown]
	s_waitcnt vmcnt(6)
	v_mul_f32_e32 v4, v214, v250
	v_fmac_f32_e32 v4, v215, v249
	v_add_f32_e32 v56, v3, v4
	ds_read_b64 v[3:4], v118 offset:920
	s_waitcnt vmcnt(4) lgkmcnt(1)
	v_mul_f32_e32 v57, v216, v252
	v_fmac_f32_e32 v57, v217, v251
	v_add_f32_e32 v56, v56, v57
	s_waitcnt vmcnt(3)
	v_mul_f32_e32 v57, v218, v253
	s_waitcnt vmcnt(0)
	v_fmac_f32_e32 v57, v219, v55
	v_add_f32_e32 v56, v56, v57
	s_waitcnt lgkmcnt(0)
	v_mul_f32_e32 v57, v3, v255
	v_fmac_f32_e32 v57, v4, v254
	v_add_f32_e32 v56, v56, v57
	v_mul_f32_e32 v57, v129, v125
	v_fma_f32 v12, v128, v12, -v57
	v_mul_f32_e32 v57, v131, v124
	v_add_f32_e32 v12, 0, v12
	v_fma_f32 v11, v130, v11, -v57
	v_add_f32_e32 v11, v12, v11
	v_mul_f32_e32 v12, v133, v123
	v_fma_f32 v10, v132, v10, -v12
	v_add_f32_e32 v10, v11, v10
	v_mul_f32_e32 v11, v135, v122
	;; [unrolled: 3-line block ×5, first 2 shown]
	v_fma_f32 v11, v140, v13, -v11
	v_add_f32_e32 v10, v10, v11
	v_add_f32_e32 v5, v10, v5
	;; [unrolled: 1-line block ×3, first 2 shown]
	v_mul_f32_e32 v6, v147, v7
	v_fma_f32 v6, v146, v18, -v6
	v_add_f32_e32 v5, v5, v6
	v_mul_f32_e32 v6, v149, v8
	v_fma_f32 v6, v148, v17, -v6
	v_add_f32_e32 v5, v5, v6
	v_mul_f32_e32 v6, v151, v9
	v_fma_f32 v6, v150, v24, -v6
	v_add_f32_e32 v5, v5, v6
	v_mul_f32_e32 v6, v153, v25
	v_fma_f32 v6, v152, v23, -v6
	v_add_f32_e32 v5, v5, v6
	v_mul_f32_e32 v6, v155, v26
	v_fma_f32 v6, v154, v22, -v6
	v_add_f32_e32 v5, v5, v6
	v_mul_f32_e32 v6, v157, v27
	v_fma_f32 v6, v156, v21, -v6
	v_add_f32_e32 v5, v5, v6
	v_mul_f32_e32 v6, v159, v28
	v_fma_f32 v6, v158, v35, -v6
	v_add_f32_e32 v5, v5, v6
	v_mul_f32_e32 v6, v161, v30
	v_fma_f32 v6, v160, v29, -v6
	v_add_f32_e32 v5, v5, v6
	v_mul_f32_e32 v6, v163, v32
	v_fma_f32 v6, v162, v31, -v6
	v_add_f32_e32 v5, v5, v6
	v_mul_f32_e32 v6, v165, v34
	v_fma_f32 v6, v164, v33, -v6
	v_add_f32_e32 v5, v5, v6
	v_mul_f32_e32 v6, v167, v37
	v_fma_f32 v6, v166, v36, -v6
	v_add_f32_e32 v5, v5, v6
	v_mul_f32_e32 v6, v169, v39
	v_fma_f32 v6, v168, v38, -v6
	v_add_f32_e32 v5, v5, v6
	v_mul_f32_e32 v6, v171, v41
	v_fma_f32 v6, v170, v40, -v6
	v_add_f32_e32 v5, v5, v6
	v_mul_f32_e32 v6, v173, v43
	v_fma_f32 v6, v172, v42, -v6
	v_add_f32_e32 v5, v5, v6
	v_mul_f32_e32 v6, v175, v45
	v_fma_f32 v6, v174, v44, -v6
	v_add_f32_e32 v5, v5, v6
	v_mul_f32_e32 v6, v177, v47
	v_fma_f32 v6, v176, v46, -v6
	v_add_f32_e32 v5, v5, v6
	v_mul_f32_e32 v6, v179, v48
	v_fma_f32 v6, v178, v51, -v6
	v_add_f32_e32 v5, v5, v6
	v_mul_f32_e32 v6, v181, v50
	v_fma_f32 v6, v180, v49, -v6
	v_add_f32_e32 v5, v5, v6
	v_mul_f32_e32 v6, v183, v53
	v_fma_f32 v6, v182, v52, -v6
	v_add_f32_e32 v5, v5, v6
	v_mul_f32_e32 v6, v185, v220
	v_fma_f32 v6, v184, v54, -v6
	v_add_f32_e32 v5, v5, v6
	v_mul_f32_e32 v6, v187, v221
	v_fma_f32 v6, v186, v224, -v6
	v_add_f32_e32 v5, v5, v6
	v_mul_f32_e32 v6, v189, v223
	v_fma_f32 v6, v188, v222, -v6
	v_add_f32_e32 v5, v5, v6
	v_mul_f32_e32 v6, v191, v226
	v_fma_f32 v6, v190, v225, -v6
	v_add_f32_e32 v5, v5, v6
	v_mul_f32_e32 v6, v193, v228
	v_fma_f32 v6, v192, v227, -v6
	v_add_f32_e32 v5, v5, v6
	v_mul_f32_e32 v6, v195, v229
	v_fma_f32 v6, v194, v232, -v6
	v_add_f32_e32 v5, v5, v6
	v_mul_f32_e32 v6, v197, v231
	v_fma_f32 v6, v196, v230, -v6
	v_add_f32_e32 v5, v5, v6
	v_mul_f32_e32 v6, v199, v234
	v_fma_f32 v6, v198, v233, -v6
	v_add_f32_e32 v5, v5, v6
	v_mul_f32_e32 v6, v201, v236
	v_fma_f32 v6, v200, v235, -v6
	v_add_f32_e32 v5, v5, v6
	v_mul_f32_e32 v6, v203, v237
	v_fma_f32 v6, v202, v240, -v6
	v_add_f32_e32 v5, v5, v6
	v_mul_f32_e32 v6, v205, v239
	v_fma_f32 v6, v204, v238, -v6
	v_add_f32_e32 v5, v5, v6
	v_mul_f32_e32 v6, v207, v242
	v_fma_f32 v6, v206, v241, -v6
	v_add_f32_e32 v5, v5, v6
	v_mul_f32_e32 v6, v209, v244
	v_fma_f32 v6, v208, v243, -v6
	v_add_f32_e32 v5, v5, v6
	v_mul_f32_e32 v6, v211, v245
	v_fma_f32 v6, v210, v248, -v6
	v_add_f32_e32 v5, v5, v6
	v_mul_f32_e32 v6, v213, v247
	v_fma_f32 v6, v212, v246, -v6
	v_add_f32_e32 v5, v5, v6
	v_mul_f32_e32 v6, v215, v250
	v_fma_f32 v6, v214, v249, -v6
	v_add_f32_e32 v5, v5, v6
	v_mul_f32_e32 v6, v217, v252
	v_fma_f32 v6, v216, v251, -v6
	v_add_f32_e32 v5, v5, v6
	v_mul_f32_e32 v6, v219, v253
	v_fma_f32 v6, v218, v55, -v6
	v_mul_f32_e32 v4, v4, v255
	v_add_f32_e32 v5, v5, v6
	v_fma_f32 v3, v3, v254, -v4
	v_add_f32_e32 v3, v5, v3
	v_sub_f32_e32 v3, v126, v3
	v_sub_f32_e32 v4, v127, v56
	buffer_store_dword v3, off, s[0:3], 0 offset:80
	buffer_store_dword v4, off, s[0:3], 0 offset:84
	s_and_saveexec_b64 s[4:5], vcc
	s_cbranch_execz .LBB121_343
; %bb.342:
	buffer_load_dword v3, off, s[0:3], 0 offset:72
	buffer_load_dword v4, off, s[0:3], 0 offset:76
	s_waitcnt vmcnt(0)
	ds_write_b64 v117, v[3:4]
	buffer_store_dword v118, off, s[0:3], 0 offset:72
	buffer_store_dword v118, off, s[0:3], 0 offset:76
.LBB121_343:
	s_or_b64 exec, exec, s[4:5]
	s_waitcnt lgkmcnt(0)
	; wave barrier
	buffer_load_dword v125, off, s[0:3], 0 offset:84
	buffer_load_dword v124, off, s[0:3], 0 offset:92
	;; [unrolled: 1-line block ×40, first 2 shown]
	ds_read_b128 v[156:159], v118 offset:544
	ds_read_b128 v[160:163], v118 offset:560
	;; [unrolled: 1-line block ×7, first 2 shown]
	buffer_load_dword v6, off, s[0:3], 0 offset:232
	buffer_load_dword v7, off, s[0:3], 0 offset:236
	;; [unrolled: 1-line block ×8, first 2 shown]
	v_cmp_lt_u32_e32 vcc, 8, v0
	s_waitcnt vmcnt(47) lgkmcnt(6)
	v_mul_f32_e32 v14, v156, v125
	s_waitcnt vmcnt(46)
	v_mul_f32_e32 v15, v158, v124
	s_waitcnt vmcnt(45) lgkmcnt(5)
	v_mul_f32_e32 v16, v160, v123
	s_waitcnt vmcnt(44)
	v_mul_f32_e32 v17, v162, v122
	;; [unrolled: 4-line block ×6, first 2 shown]
	s_waitcnt vmcnt(35)
	v_fmac_f32_e32 v16, v161, v138
	s_waitcnt vmcnt(34)
	v_fmac_f32_e32 v15, v159, v141
	;; [unrolled: 2-line block ×3, first 2 shown]
	v_add_f32_e32 v14, 0, v14
	v_add_f32_e32 v14, v14, v15
	;; [unrolled: 1-line block ×3, first 2 shown]
	buffer_load_dword v15, off, s[0:3], 0 offset:264
	buffer_load_dword v16, off, s[0:3], 0 offset:268
	s_waitcnt vmcnt(31)
	v_fmac_f32_e32 v17, v163, v143
	v_fmac_f32_e32 v18, v165, v140
	v_add_f32_e32 v14, v14, v17
	v_fmac_f32_e32 v19, v167, v137
	v_add_f32_e32 v14, v14, v18
	;; [unrolled: 2-line block ×3, first 2 shown]
	s_waitcnt vmcnt(27)
	v_fmac_f32_e32 v21, v171, v139
	v_add_f32_e32 v14, v14, v20
	v_fmac_f32_e32 v22, v173, v136
	v_add_f32_e32 v14, v14, v21
	;; [unrolled: 2-line block ×4, first 2 shown]
	ds_read_b128 v[184:187], v118 offset:656
	s_waitcnt vmcnt(23)
	v_fmac_f32_e32 v25, v179, v151
	v_add_f32_e32 v14, v14, v24
	s_waitcnt vmcnt(22) lgkmcnt(1)
	v_mul_f32_e32 v17, v180, v150
	v_add_f32_e32 v14, v14, v25
	v_fmac_f32_e32 v17, v181, v147
	v_add_f32_e32 v14, v14, v17
	s_waitcnt vmcnt(21)
	v_mul_f32_e32 v17, v182, v148
	v_fmac_f32_e32 v17, v183, v145
	v_add_f32_e32 v14, v14, v17
	s_waitcnt vmcnt(20) lgkmcnt(0)
	v_mul_f32_e32 v17, v184, v146
	v_fmac_f32_e32 v17, v185, v142
	v_add_f32_e32 v14, v14, v17
	buffer_load_dword v17, off, s[0:3], 0 offset:272
	buffer_load_dword v18, off, s[0:3], 0 offset:276
	;; [unrolled: 1-line block ×6, first 2 shown]
	s_waitcnt vmcnt(25)
	v_mul_f32_e32 v23, v186, v149
	s_waitcnt vmcnt(18)
	v_fmac_f32_e32 v23, v187, v5
	ds_read_b128 v[188:191], v118 offset:672
	v_add_f32_e32 v14, v14, v23
	buffer_load_dword v23, off, s[0:3], 0 offset:296
	buffer_load_dword v24, off, s[0:3], 0 offset:300
	ds_read_b128 v[192:195], v118 offset:688
	buffer_load_dword v26, off, s[0:3], 0 offset:304
	buffer_load_dword v27, off, s[0:3], 0 offset:308
	;; [unrolled: 1-line block ×14, first 2 shown]
	s_waitcnt lgkmcnt(1)
	v_mul_f32_e32 v25, v188, v153
	v_fmac_f32_e32 v25, v189, v152
	v_add_f32_e32 v14, v14, v25
	v_mul_f32_e32 v25, v190, v155
	buffer_load_dword v40, off, s[0:3], 0 offset:360
	buffer_load_dword v41, off, s[0:3], 0 offset:364
	v_fmac_f32_e32 v25, v191, v154
	v_add_f32_e32 v14, v14, v25
	s_waitcnt lgkmcnt(0)
	v_mul_f32_e32 v25, v192, v4
	v_fmac_f32_e32 v25, v193, v3
	v_add_f32_e32 v14, v14, v25
	s_waitcnt vmcnt(32)
	v_mul_f32_e32 v25, v194, v7
	ds_read_b128 v[196:199], v118 offset:704
	v_fmac_f32_e32 v25, v195, v6
	v_add_f32_e32 v14, v14, v25
	buffer_load_dword v25, off, s[0:3], 0 offset:368
	buffer_load_dword v42, off, s[0:3], 0 offset:372
	;; [unrolled: 1-line block ×6, first 2 shown]
	ds_read_b128 v[200:203], v118 offset:720
	s_waitcnt vmcnt(36) lgkmcnt(1)
	v_mul_f32_e32 v47, v196, v9
	v_fmac_f32_e32 v47, v197, v8
	v_add_f32_e32 v14, v14, v47
	buffer_load_dword v47, off, s[0:3], 0 offset:392
	buffer_load_dword v48, off, s[0:3], 0 offset:396
	;; [unrolled: 1-line block ×8, first 2 shown]
	s_waitcnt vmcnt(42)
	v_mul_f32_e32 v49, v198, v11
	v_fmac_f32_e32 v49, v199, v10
	v_add_f32_e32 v14, v14, v49
	s_waitcnt vmcnt(40) lgkmcnt(0)
	v_mul_f32_e32 v49, v200, v13
	v_fmac_f32_e32 v49, v201, v12
	v_add_f32_e32 v14, v14, v49
	buffer_load_dword v49, off, s[0:3], 0 offset:424
	buffer_load_dword v56, off, s[0:3], 0 offset:428
	;; [unrolled: 1-line block ×8, first 2 shown]
	ds_read_b128 v[204:207], v118 offset:736
	ds_read_b128 v[208:211], v118 offset:752
	v_mul_f32_e32 v124, v159, v124
	v_fma_f32 v124, v158, v141, -v124
	v_mul_f32_e32 v123, v161, v123
	v_fma_f32 v123, v160, v138, -v123
	;; [unrolled: 2-line block ×5, first 2 shown]
	s_waitcnt vmcnt(46)
	v_mul_f32_e32 v57, v202, v16
	v_fmac_f32_e32 v57, v203, v15
	v_add_f32_e32 v14, v14, v57
	buffer_load_dword v57, off, s[0:3], 0 offset:456
	buffer_load_dword v60, off, s[0:3], 0 offset:460
	v_mul_f32_e32 v119, v169, v119
	v_fma_f32 v119, v168, v135, -v119
	v_mul_f32_e32 v4, v193, v4
	v_fma_f32 v3, v192, v3, -v4
	v_mul_f32_e32 v4, v195, v7
	v_fma_f32 v4, v194, v6, -v4
	s_waitcnt vmcnt(46) lgkmcnt(1)
	v_mul_f32_e32 v212, v204, v18
	v_fmac_f32_e32 v212, v205, v17
	v_add_f32_e32 v14, v14, v212
	s_waitcnt vmcnt(45)
	v_mul_f32_e32 v212, v206, v19
	s_waitcnt vmcnt(42)
	v_fmac_f32_e32 v212, v207, v22
	v_add_f32_e32 v14, v14, v212
	s_waitcnt lgkmcnt(0)
	v_mul_f32_e32 v212, v208, v21
	v_fmac_f32_e32 v212, v209, v20
	v_add_f32_e32 v14, v14, v212
	ds_read_b128 v[212:215], v118 offset:768
	s_waitcnt vmcnt(40)
	v_mul_f32_e32 v216, v210, v24
	v_fmac_f32_e32 v216, v211, v23
	v_add_f32_e32 v14, v14, v216
	ds_read_b128 v[216:219], v118 offset:784
	s_waitcnt vmcnt(38) lgkmcnt(1)
	v_mul_f32_e32 v220, v212, v27
	v_fmac_f32_e32 v220, v213, v26
	v_add_f32_e32 v14, v14, v220
	s_waitcnt vmcnt(37)
	v_mul_f32_e32 v220, v214, v28
	s_waitcnt vmcnt(34)
	v_fmac_f32_e32 v220, v215, v31
	v_add_f32_e32 v14, v14, v220
	s_waitcnt lgkmcnt(0)
	v_mul_f32_e32 v220, v216, v30
	v_fmac_f32_e32 v220, v217, v29
	v_add_f32_e32 v14, v14, v220
	ds_read_b128 v[220:223], v118 offset:800
	s_waitcnt vmcnt(32)
	v_mul_f32_e32 v224, v218, v33
	v_fmac_f32_e32 v224, v219, v32
	v_add_f32_e32 v14, v14, v224
	ds_read_b128 v[224:227], v118 offset:816
	;; [unrolled: 19-line block ×5, first 2 shown]
	s_waitcnt vmcnt(6) lgkmcnt(1)
	v_mul_f32_e32 v118, v244, v252
	v_fmac_f32_e32 v118, v245, v58
	v_add_f32_e32 v14, v14, v118
	s_waitcnt vmcnt(5)
	v_mul_f32_e32 v118, v246, v253
	s_waitcnt vmcnt(2)
	v_fmac_f32_e32 v118, v247, v59
	v_add_f32_e32 v14, v14, v118
	s_waitcnt lgkmcnt(0)
	v_mul_f32_e32 v118, v248, v255
	v_fmac_f32_e32 v118, v249, v254
	v_add_f32_e32 v14, v14, v118
	s_waitcnt vmcnt(0)
	v_mul_f32_e32 v118, v250, v60
	v_fmac_f32_e32 v118, v251, v57
	v_add_f32_e32 v14, v14, v118
	v_mul_f32_e32 v118, v157, v125
	v_fma_f32 v118, v156, v144, -v118
	v_add_f32_e32 v118, 0, v118
	v_add_f32_e32 v118, v118, v124
	;; [unrolled: 1-line block ×7, first 2 shown]
	v_mul_f32_e32 v119, v171, v128
	v_fma_f32 v119, v170, v139, -v119
	v_add_f32_e32 v118, v118, v119
	v_mul_f32_e32 v119, v173, v129
	v_fma_f32 v119, v172, v136, -v119
	v_add_f32_e32 v118, v118, v119
	;; [unrolled: 3-line block ×11, first 2 shown]
	v_add_f32_e32 v3, v5, v3
	v_add_f32_e32 v3, v3, v4
	v_mul_f32_e32 v4, v197, v9
	v_fma_f32 v4, v196, v8, -v4
	v_add_f32_e32 v3, v3, v4
	v_mul_f32_e32 v4, v199, v11
	v_fma_f32 v4, v198, v10, -v4
	;; [unrolled: 3-line block ×28, first 2 shown]
	v_add_f32_e32 v3, v3, v4
	v_sub_f32_e32 v3, v126, v3
	v_sub_f32_e32 v4, v127, v14
	buffer_store_dword v3, off, s[0:3], 0 offset:72
	buffer_store_dword v4, off, s[0:3], 0 offset:76
	s_and_saveexec_b64 s[4:5], vcc
	s_cbranch_execz .LBB121_345
; %bb.344:
	buffer_load_dword v3, off, s[0:3], 0 offset:64
	buffer_load_dword v4, off, s[0:3], 0 offset:68
	v_mov_b32_e32 v5, 0
	buffer_store_dword v5, off, s[0:3], 0 offset:64
	buffer_store_dword v5, off, s[0:3], 0 offset:68
	s_waitcnt vmcnt(2)
	ds_write_b64 v117, v[3:4]
.LBB121_345:
	s_or_b64 exec, exec, s[4:5]
	s_waitcnt lgkmcnt(0)
	; wave barrier
	buffer_load_dword v125, off, s[0:3], 0 offset:76
	buffer_load_dword v124, off, s[0:3], 0 offset:84
	;; [unrolled: 1-line block ×40, first 2 shown]
	v_mov_b32_e32 v118, 0
	buffer_load_dword v32, off, s[0:3], 0 offset:224
	buffer_load_dword v33, off, s[0:3], 0 offset:228
	;; [unrolled: 1-line block ×10, first 2 shown]
	ds_read2_b64 v[132:135], v118 offset0:67 offset1:68
	ds_read2_b64 v[136:139], v118 offset0:69 offset1:70
	ds_read2_b64 v[140:143], v118 offset0:71 offset1:72
	ds_read2_b64 v[144:147], v118 offset0:73 offset1:74
	ds_read2_b64 v[148:151], v118 offset0:75 offset1:76
	ds_read2_b64 v[152:155], v118 offset0:77 offset1:78
	ds_read2_b64 v[156:159], v118 offset0:79 offset1:80
	ds_read2_b64 v[160:163], v118 offset0:81 offset1:82
	v_cmp_lt_u32_e32 vcc, 7, v0
	s_waitcnt vmcnt(49) lgkmcnt(7)
	v_mul_f32_e32 v3, v132, v125
	s_waitcnt vmcnt(48)
	v_mul_f32_e32 v4, v134, v124
	s_waitcnt vmcnt(47) lgkmcnt(6)
	v_mul_f32_e32 v42, v136, v123
	s_waitcnt vmcnt(46)
	v_mul_f32_e32 v43, v138, v122
	;; [unrolled: 4-line block ×5, first 2 shown]
	s_waitcnt vmcnt(39) lgkmcnt(2)
	v_mul_f32_e32 v50, v152, v131
	s_waitcnt vmcnt(38)
	v_fmac_f32_e32 v42, v137, v5
	s_waitcnt vmcnt(37)
	v_fmac_f32_e32 v4, v135, v6
	;; [unrolled: 2-line block ×3, first 2 shown]
	v_add_f32_e32 v3, 0, v3
	v_add_f32_e32 v3, v3, v4
	;; [unrolled: 1-line block ×3, first 2 shown]
	s_waitcnt vmcnt(32)
	v_fmac_f32_e32 v43, v139, v11
	v_fmac_f32_e32 v44, v141, v10
	v_add_f32_e32 v3, v3, v43
	v_fmac_f32_e32 v45, v143, v9
	v_add_f32_e32 v3, v3, v44
	buffer_load_dword v42, off, s[0:3], 0 offset:264
	buffer_load_dword v43, off, s[0:3], 0 offset:268
	v_fmac_f32_e32 v46, v145, v8
	v_add_f32_e32 v3, v3, v45
	s_waitcnt vmcnt(30)
	v_fmac_f32_e32 v47, v147, v15
	v_add_f32_e32 v3, v3, v46
	v_add_f32_e32 v3, v3, v47
	ds_read2_b64 v[164:167], v118 offset0:83 offset1:84
	buffer_load_dword v44, off, s[0:3], 0 offset:276
	buffer_load_dword v45, off, s[0:3], 0 offset:280
	;; [unrolled: 1-line block ×4, first 2 shown]
	v_fmac_f32_e32 v48, v149, v14
	v_fmac_f32_e32 v49, v151, v13
	v_add_f32_e32 v3, v3, v48
	v_add_f32_e32 v3, v3, v49
	ds_read2_b64 v[168:171], v118 offset0:85 offset1:86
	buffer_load_dword v48, off, s[0:3], 0 offset:288
	buffer_load_dword v49, off, s[0:3], 0 offset:292
	v_fmac_f32_e32 v50, v153, v12
	v_add_f32_e32 v3, v3, v50
	buffer_load_dword v50, off, s[0:3], 0 offset:296
	buffer_load_dword v51, off, s[0:3], 0 offset:300
	;; [unrolled: 1-line block ×14, first 2 shown]
	ds_read2_b64 v[172:175], v118 offset0:87 offset1:88
	buffer_load_dword v231, off, s[0:3], 0 offset:352
	buffer_load_dword v232, off, s[0:3], 0 offset:356
	ds_read2_b64 v[176:179], v118 offset0:89 offset1:90
	buffer_load_dword v233, off, s[0:3], 0 offset:360
	buffer_load_dword v234, off, s[0:3], 0 offset:364
	;; [unrolled: 1-line block ×16, first 2 shown]
	ds_read2_b64 v[180:183], v118 offset0:91 offset1:92
	buffer_load_dword v249, off, s[0:3], 0 offset:424
	buffer_load_dword v250, off, s[0:3], 0 offset:428
	;; [unrolled: 1-line block ×6, first 2 shown]
	ds_read2_b64 v[184:187], v118 offset0:93 offset1:94
	buffer_load_dword v255, off, s[0:3], 0 offset:452
	buffer_load_dword v61, off, s[0:3], 0 offset:456
	;; [unrolled: 1-line block ×4, first 2 shown]
	s_waitcnt vmcnt(62)
	v_mul_f32_e32 v4, v154, v16
	v_fmac_f32_e32 v4, v155, v20
	v_add_f32_e32 v3, v3, v4
	s_waitcnt lgkmcnt(7)
	v_mul_f32_e32 v4, v156, v21
	v_fmac_f32_e32 v4, v157, v19
	v_add_f32_e32 v3, v3, v4
	v_mul_f32_e32 v4, v158, v22
	v_fmac_f32_e32 v4, v159, v18
	v_add_f32_e32 v3, v3, v4
	s_waitcnt lgkmcnt(6)
	v_mul_f32_e32 v4, v160, v23
	v_fmac_f32_e32 v4, v161, v17
	v_add_f32_e32 v3, v3, v4
	;; [unrolled: 7-line block ×4, first 2 shown]
	s_waitcnt vmcnt(58)
	v_mul_f32_e32 v4, v170, v33
	v_fmac_f32_e32 v4, v171, v32
	v_add_f32_e32 v3, v3, v4
	s_waitcnt vmcnt(56) lgkmcnt(3)
	v_mul_f32_e32 v4, v172, v35
	v_fmac_f32_e32 v4, v173, v34
	v_add_f32_e32 v3, v3, v4
	s_waitcnt vmcnt(54)
	v_mul_f32_e32 v4, v174, v37
	v_fmac_f32_e32 v4, v175, v36
	v_add_f32_e32 v3, v3, v4
	s_waitcnt vmcnt(52) lgkmcnt(2)
	v_mul_f32_e32 v4, v176, v39
	v_fmac_f32_e32 v4, v177, v38
	v_add_f32_e32 v3, v3, v4
	s_waitcnt vmcnt(50)
	v_mul_f32_e32 v4, v178, v41
	v_fmac_f32_e32 v4, v179, v40
	v_add_f32_e32 v3, v3, v4
	ds_read2_b64 v[188:191], v118 offset0:95 offset1:96
	ds_read2_b64 v[192:195], v118 offset0:97 offset1:98
	;; [unrolled: 1-line block ×10, first 2 shown]
	s_waitcnt vmcnt(48) lgkmcnt(11)
	v_mul_f32_e32 v4, v180, v43
	v_fmac_f32_e32 v4, v181, v42
	v_add_f32_e32 v3, v3, v4
	s_waitcnt vmcnt(47)
	v_mul_f32_e32 v4, v182, v44
	s_waitcnt vmcnt(44)
	v_fmac_f32_e32 v4, v183, v47
	v_add_f32_e32 v3, v3, v4
	s_waitcnt lgkmcnt(10)
	v_mul_f32_e32 v4, v184, v46
	v_fmac_f32_e32 v4, v185, v45
	v_add_f32_e32 v3, v3, v4
	s_waitcnt vmcnt(42)
	v_mul_f32_e32 v4, v186, v49
	v_fmac_f32_e32 v4, v187, v48
	v_add_f32_e32 v3, v3, v4
	s_waitcnt vmcnt(40) lgkmcnt(9)
	v_mul_f32_e32 v4, v188, v51
	v_fmac_f32_e32 v4, v189, v50
	v_add_f32_e32 v3, v3, v4
	s_waitcnt vmcnt(39)
	v_mul_f32_e32 v4, v190, v52
	s_waitcnt vmcnt(36)
	v_fmac_f32_e32 v4, v191, v55
	v_add_f32_e32 v3, v3, v4
	s_waitcnt lgkmcnt(8)
	v_mul_f32_e32 v4, v192, v54
	v_fmac_f32_e32 v4, v193, v53
	v_add_f32_e32 v3, v3, v4
	s_waitcnt vmcnt(34)
	v_mul_f32_e32 v4, v194, v57
	v_fmac_f32_e32 v4, v195, v56
	v_add_f32_e32 v3, v3, v4
	;; [unrolled: 17-line block ×5, first 2 shown]
	s_waitcnt vmcnt(8) lgkmcnt(1)
	v_mul_f32_e32 v4, v220, v250
	v_fmac_f32_e32 v4, v221, v249
	v_add_f32_e32 v3, v3, v4
	s_waitcnt vmcnt(7)
	v_mul_f32_e32 v4, v222, v251
	s_waitcnt vmcnt(4)
	v_fmac_f32_e32 v4, v223, v254
	v_add_f32_e32 v64, v3, v4
	ds_read_b64 v[3:4], v118 offset:920
	s_waitcnt lgkmcnt(1)
	v_mul_f32_e32 v65, v224, v253
	v_fmac_f32_e32 v65, v225, v252
	v_add_f32_e32 v64, v64, v65
	s_waitcnt vmcnt(3)
	v_mul_f32_e32 v65, v226, v255
	s_waitcnt vmcnt(0)
	v_fmac_f32_e32 v65, v227, v63
	v_add_f32_e32 v64, v64, v65
	s_waitcnt lgkmcnt(0)
	v_mul_f32_e32 v65, v3, v62
	v_fmac_f32_e32 v65, v4, v61
	v_add_f32_e32 v64, v64, v65
	v_mul_f32_e32 v65, v133, v125
	v_fma_f32 v7, v132, v7, -v65
	v_mul_f32_e32 v65, v135, v124
	v_add_f32_e32 v7, 0, v7
	v_fma_f32 v6, v134, v6, -v65
	v_add_f32_e32 v6, v7, v6
	v_mul_f32_e32 v7, v137, v123
	v_fma_f32 v5, v136, v5, -v7
	v_add_f32_e32 v5, v6, v5
	v_mul_f32_e32 v6, v139, v122
	;; [unrolled: 3-line block ×46, first 2 shown]
	v_fma_f32 v6, v226, v63, -v6
	v_mul_f32_e32 v4, v4, v62
	v_add_f32_e32 v5, v5, v6
	v_fma_f32 v3, v3, v61, -v4
	v_add_f32_e32 v3, v5, v3
	v_sub_f32_e32 v3, v126, v3
	v_sub_f32_e32 v4, v127, v64
	buffer_store_dword v3, off, s[0:3], 0 offset:64
	buffer_store_dword v4, off, s[0:3], 0 offset:68
	s_and_saveexec_b64 s[4:5], vcc
	s_cbranch_execz .LBB121_347
; %bb.346:
	buffer_load_dword v3, off, s[0:3], 0 offset:56
	buffer_load_dword v4, off, s[0:3], 0 offset:60
	s_waitcnt vmcnt(0)
	ds_write_b64 v117, v[3:4]
	buffer_store_dword v118, off, s[0:3], 0 offset:56
	buffer_store_dword v118, off, s[0:3], 0 offset:60
.LBB121_347:
	s_or_b64 exec, exec, s[4:5]
	s_waitcnt lgkmcnt(0)
	; wave barrier
	buffer_load_dword v125, off, s[0:3], 0 offset:68
	buffer_load_dword v124, off, s[0:3], 0 offset:76
	;; [unrolled: 1-line block ×40, first 2 shown]
	ds_read_b128 v[133:136], v118 offset:528
	ds_read_b128 v[137:140], v118 offset:544
	;; [unrolled: 1-line block ×7, first 2 shown]
	buffer_load_dword v29, off, s[0:3], 0 offset:216
	buffer_load_dword v30, off, s[0:3], 0 offset:220
	;; [unrolled: 1-line block ×10, first 2 shown]
	ds_read_b128 v[161:164], v118 offset:640
	v_cmp_lt_u32_e32 vcc, 6, v0
	s_waitcnt vmcnt(49) lgkmcnt(7)
	v_mul_f32_e32 v39, v133, v125
	s_waitcnt vmcnt(48)
	v_mul_f32_e32 v40, v135, v124
	s_waitcnt vmcnt(47) lgkmcnt(6)
	v_mul_f32_e32 v41, v137, v123
	s_waitcnt vmcnt(46)
	v_mul_f32_e32 v42, v139, v122
	;; [unrolled: 4-line block ×6, first 2 shown]
	s_waitcnt vmcnt(37)
	v_fmac_f32_e32 v41, v138, v3
	s_waitcnt vmcnt(36)
	v_fmac_f32_e32 v40, v136, v4
	;; [unrolled: 2-line block ×3, first 2 shown]
	v_add_f32_e32 v39, 0, v39
	v_add_f32_e32 v39, v39, v40
	;; [unrolled: 1-line block ×3, first 2 shown]
	s_waitcnt vmcnt(31)
	v_fmac_f32_e32 v42, v140, v9
	v_fmac_f32_e32 v43, v142, v8
	v_add_f32_e32 v39, v39, v42
	v_fmac_f32_e32 v44, v144, v7
	v_add_f32_e32 v39, v39, v43
	;; [unrolled: 2-line block ×3, first 2 shown]
	s_waitcnt vmcnt(27)
	v_fmac_f32_e32 v46, v148, v13
	v_add_f32_e32 v39, v39, v45
	v_fmac_f32_e32 v47, v150, v12
	v_add_f32_e32 v39, v39, v46
	;; [unrolled: 2-line block ×4, first 2 shown]
	v_add_f32_e32 v39, v39, v49
	s_waitcnt vmcnt(23)
	v_fmac_f32_e32 v50, v156, v17
	s_waitcnt vmcnt(22) lgkmcnt(1)
	v_mul_f32_e32 v40, v157, v18
	v_add_f32_e32 v39, v39, v50
	v_fmac_f32_e32 v40, v158, v16
	buffer_load_dword v41, off, s[0:3], 0 offset:260
	v_add_f32_e32 v39, v39, v40
	s_waitcnt vmcnt(22)
	v_mul_f32_e32 v40, v159, v19
	v_fmac_f32_e32 v40, v160, v15
	buffer_load_dword v42, off, s[0:3], 0 offset:256
	buffer_load_dword v43, off, s[0:3], 0 offset:264
	;; [unrolled: 1-line block ×3, first 2 shown]
	ds_read_b128 v[165:168], v118 offset:656
	v_add_f32_e32 v39, v39, v40
	s_waitcnt vmcnt(24) lgkmcnt(1)
	v_mul_f32_e32 v40, v161, v20
	v_fmac_f32_e32 v40, v162, v14
	v_add_f32_e32 v39, v39, v40
	s_waitcnt vmcnt(23)
	v_mul_f32_e32 v40, v163, v21
	buffer_load_dword v45, off, s[0:3], 0 offset:272
	buffer_load_dword v46, off, s[0:3], 0 offset:276
	s_waitcnt vmcnt(19)
	v_fmac_f32_e32 v40, v164, v27
	v_add_f32_e32 v39, v39, v40
	s_waitcnt vmcnt(18) lgkmcnt(0)
	v_mul_f32_e32 v40, v165, v28
	v_fmac_f32_e32 v40, v166, v26
	ds_read_b128 v[169:172], v118 offset:672
	v_add_f32_e32 v39, v39, v40
	buffer_load_dword v40, off, s[0:3], 0 offset:280
	buffer_load_dword v47, off, s[0:3], 0 offset:284
	;; [unrolled: 1-line block ×8, first 2 shown]
	v_mul_f32_e32 v48, v167, v23
	v_fmac_f32_e32 v48, v168, v22
	v_add_f32_e32 v39, v39, v48
	s_waitcnt lgkmcnt(0)
	v_mul_f32_e32 v48, v169, v25
	v_fmac_f32_e32 v48, v170, v24
	v_add_f32_e32 v39, v39, v48
	buffer_load_dword v48, off, s[0:3], 0 offset:312
	buffer_load_dword v55, off, s[0:3], 0 offset:316
	ds_read_b128 v[173:176], v118 offset:688
	buffer_load_dword v57, off, s[0:3], 0 offset:320
	buffer_load_dword v58, off, s[0:3], 0 offset:324
	;; [unrolled: 1-line block ×6, first 2 shown]
	ds_read_b128 v[177:180], v118 offset:704
	buffer_load_dword v63, off, s[0:3], 0 offset:344
	buffer_load_dword v64, off, s[0:3], 0 offset:348
	s_waitcnt vmcnt(32)
	v_mul_f32_e32 v56, v171, v30
	v_fmac_f32_e32 v56, v172, v29
	v_add_f32_e32 v39, v39, v56
	s_waitcnt vmcnt(30) lgkmcnt(1)
	v_mul_f32_e32 v56, v173, v32
	v_fmac_f32_e32 v56, v174, v31
	v_add_f32_e32 v39, v39, v56
	buffer_load_dword v56, off, s[0:3], 0 offset:352
	buffer_load_dword v65, off, s[0:3], 0 offset:356
	;; [unrolled: 1-line block ×14, first 2 shown]
	s_waitcnt vmcnt(42)
	v_mul_f32_e32 v181, v175, v34
	v_fmac_f32_e32 v181, v176, v33
	v_add_f32_e32 v39, v39, v181
	s_waitcnt vmcnt(40) lgkmcnt(0)
	v_mul_f32_e32 v181, v177, v36
	v_fmac_f32_e32 v181, v178, v35
	v_add_f32_e32 v39, v39, v181
	ds_read_b128 v[181:184], v118 offset:720
	buffer_load_dword v244, off, s[0:3], 0 offset:408
	buffer_load_dword v245, off, s[0:3], 0 offset:412
	s_waitcnt vmcnt(40)
	v_mul_f32_e32 v185, v179, v38
	v_fmac_f32_e32 v185, v180, v37
	v_add_f32_e32 v39, v39, v185
	ds_read_b128 v[185:188], v118 offset:736
	buffer_load_dword v246, off, s[0:3], 0 offset:416
	buffer_load_dword v247, off, s[0:3], 0 offset:420
	;; [unrolled: 1-line block ×12, first 2 shown]
	s_waitcnt vmcnt(51) lgkmcnt(1)
	v_mul_f32_e32 v189, v181, v41
	s_waitcnt vmcnt(50)
	v_fmac_f32_e32 v189, v182, v42
	v_add_f32_e32 v39, v39, v189
	s_waitcnt vmcnt(48)
	v_mul_f32_e32 v189, v183, v44
	v_fmac_f32_e32 v189, v184, v43
	v_add_f32_e32 v39, v39, v189
	s_waitcnt vmcnt(46) lgkmcnt(0)
	v_mul_f32_e32 v189, v185, v46
	v_fmac_f32_e32 v189, v186, v45
	v_add_f32_e32 v39, v39, v189
	ds_read_b128 v[189:192], v118 offset:752
	s_waitcnt vmcnt(44)
	v_mul_f32_e32 v193, v187, v47
	v_fmac_f32_e32 v193, v188, v40
	v_add_f32_e32 v39, v39, v193
	ds_read_b128 v[193:196], v118 offset:768
	s_waitcnt vmcnt(42) lgkmcnt(1)
	v_mul_f32_e32 v197, v189, v50
	v_fmac_f32_e32 v197, v190, v49
	v_add_f32_e32 v39, v39, v197
	s_waitcnt vmcnt(41)
	v_mul_f32_e32 v197, v191, v51
	s_waitcnt vmcnt(38)
	v_fmac_f32_e32 v197, v192, v54
	v_add_f32_e32 v39, v39, v197
	s_waitcnt lgkmcnt(0)
	v_mul_f32_e32 v197, v193, v53
	v_fmac_f32_e32 v197, v194, v52
	v_add_f32_e32 v39, v39, v197
	ds_read_b128 v[197:200], v118 offset:784
	s_waitcnt vmcnt(36)
	v_mul_f32_e32 v201, v195, v55
	v_fmac_f32_e32 v201, v196, v48
	v_add_f32_e32 v39, v39, v201
	ds_read_b128 v[201:204], v118 offset:800
	s_waitcnt vmcnt(34) lgkmcnt(1)
	v_mul_f32_e32 v205, v197, v58
	v_fmac_f32_e32 v205, v198, v57
	v_add_f32_e32 v39, v39, v205
	s_waitcnt vmcnt(33)
	v_mul_f32_e32 v205, v199, v59
	s_waitcnt vmcnt(30)
	v_fmac_f32_e32 v205, v200, v62
	v_add_f32_e32 v39, v39, v205
	s_waitcnt lgkmcnt(0)
	;; [unrolled: 19-line block ×4, first 2 shown]
	v_mul_f32_e32 v221, v217, v242
	v_fmac_f32_e32 v221, v218, v241
	v_add_f32_e32 v39, v39, v221
	ds_read_b128 v[221:224], v118 offset:880
	s_waitcnt vmcnt(12)
	v_mul_f32_e32 v225, v219, v245
	v_fmac_f32_e32 v225, v220, v244
	v_add_f32_e32 v39, v39, v225
	ds_read_b128 v[225:228], v118 offset:896
	s_waitcnt vmcnt(10) lgkmcnt(1)
	v_mul_f32_e32 v229, v221, v247
	v_fmac_f32_e32 v229, v222, v246
	v_add_f32_e32 v39, v39, v229
	s_waitcnt vmcnt(9)
	v_mul_f32_e32 v229, v223, v248
	s_waitcnt vmcnt(6)
	v_fmac_f32_e32 v229, v224, v251
	v_add_f32_e32 v39, v39, v229
	ds_read_b128 v[229:232], v118 offset:912
	s_waitcnt lgkmcnt(1)
	v_mul_f32_e32 v69, v225, v250
	v_fmac_f32_e32 v69, v226, v249
	v_add_f32_e32 v39, v39, v69
	s_waitcnt vmcnt(4)
	v_mul_f32_e32 v69, v227, v253
	v_fmac_f32_e32 v69, v228, v252
	v_add_f32_e32 v39, v39, v69
	s_waitcnt vmcnt(3) lgkmcnt(0)
	v_mul_f32_e32 v69, v229, v254
	s_waitcnt vmcnt(0)
	v_fmac_f32_e32 v69, v230, v68
	v_add_f32_e32 v39, v39, v69
	v_mul_f32_e32 v69, v231, v67
	v_fmac_f32_e32 v69, v232, v255
	v_add_f32_e32 v39, v39, v69
	v_mul_f32_e32 v69, v134, v125
	v_fma_f32 v5, v133, v5, -v69
	v_mul_f32_e32 v69, v136, v124
	v_add_f32_e32 v5, 0, v5
	v_fma_f32 v4, v135, v4, -v69
	v_add_f32_e32 v4, v5, v4
	v_mul_f32_e32 v5, v138, v123
	v_fma_f32 v3, v137, v3, -v5
	v_add_f32_e32 v3, v4, v3
	v_mul_f32_e32 v4, v140, v122
	v_fma_f32 v4, v139, v9, -v4
	v_add_f32_e32 v3, v3, v4
	v_mul_f32_e32 v4, v142, v121
	v_fma_f32 v4, v141, v8, -v4
	v_add_f32_e32 v3, v3, v4
	v_mul_f32_e32 v4, v144, v120
	v_fma_f32 v4, v143, v7, -v4
	v_add_f32_e32 v3, v3, v4
	v_mul_f32_e32 v4, v146, v119
	v_fma_f32 v4, v145, v6, -v4
	v_add_f32_e32 v3, v3, v4
	v_mul_f32_e32 v4, v148, v128
	v_fma_f32 v4, v147, v13, -v4
	v_add_f32_e32 v3, v3, v4
	v_mul_f32_e32 v4, v150, v129
	v_fma_f32 v4, v149, v12, -v4
	v_add_f32_e32 v3, v3, v4
	v_mul_f32_e32 v4, v152, v130
	v_fma_f32 v4, v151, v11, -v4
	v_add_f32_e32 v3, v3, v4
	v_mul_f32_e32 v4, v154, v131
	v_fma_f32 v4, v153, v10, -v4
	v_add_f32_e32 v3, v3, v4
	v_mul_f32_e32 v4, v156, v132
	v_fma_f32 v4, v155, v17, -v4
	v_add_f32_e32 v3, v3, v4
	v_mul_f32_e32 v4, v158, v18
	v_fma_f32 v4, v157, v16, -v4
	v_add_f32_e32 v3, v3, v4
	v_mul_f32_e32 v4, v160, v19
	v_fma_f32 v4, v159, v15, -v4
	v_add_f32_e32 v3, v3, v4
	v_mul_f32_e32 v4, v162, v20
	v_fma_f32 v4, v161, v14, -v4
	v_add_f32_e32 v3, v3, v4
	v_mul_f32_e32 v4, v164, v21
	v_fma_f32 v4, v163, v27, -v4
	v_add_f32_e32 v3, v3, v4
	v_mul_f32_e32 v4, v166, v28
	v_fma_f32 v4, v165, v26, -v4
	v_add_f32_e32 v3, v3, v4
	v_mul_f32_e32 v4, v168, v23
	v_fma_f32 v4, v167, v22, -v4
	v_add_f32_e32 v3, v3, v4
	v_mul_f32_e32 v4, v170, v25
	v_fma_f32 v4, v169, v24, -v4
	v_add_f32_e32 v3, v3, v4
	v_mul_f32_e32 v4, v172, v30
	v_fma_f32 v4, v171, v29, -v4
	v_add_f32_e32 v3, v3, v4
	v_mul_f32_e32 v4, v174, v32
	v_fma_f32 v4, v173, v31, -v4
	v_add_f32_e32 v3, v3, v4
	v_mul_f32_e32 v4, v176, v34
	v_fma_f32 v4, v175, v33, -v4
	v_add_f32_e32 v3, v3, v4
	v_mul_f32_e32 v4, v178, v36
	v_fma_f32 v4, v177, v35, -v4
	v_add_f32_e32 v3, v3, v4
	v_mul_f32_e32 v4, v180, v38
	v_fma_f32 v4, v179, v37, -v4
	v_add_f32_e32 v3, v3, v4
	v_mul_f32_e32 v4, v182, v41
	v_fma_f32 v4, v181, v42, -v4
	v_add_f32_e32 v3, v3, v4
	v_mul_f32_e32 v4, v184, v44
	v_fma_f32 v4, v183, v43, -v4
	v_add_f32_e32 v3, v3, v4
	v_mul_f32_e32 v4, v186, v46
	v_fma_f32 v4, v185, v45, -v4
	v_add_f32_e32 v3, v3, v4
	v_mul_f32_e32 v4, v188, v47
	v_fma_f32 v4, v187, v40, -v4
	v_add_f32_e32 v3, v3, v4
	v_mul_f32_e32 v4, v190, v50
	v_fma_f32 v4, v189, v49, -v4
	v_add_f32_e32 v3, v3, v4
	v_mul_f32_e32 v4, v192, v51
	v_fma_f32 v4, v191, v54, -v4
	v_add_f32_e32 v3, v3, v4
	v_mul_f32_e32 v4, v194, v53
	v_fma_f32 v4, v193, v52, -v4
	v_add_f32_e32 v3, v3, v4
	v_mul_f32_e32 v4, v196, v55
	v_fma_f32 v4, v195, v48, -v4
	v_add_f32_e32 v3, v3, v4
	v_mul_f32_e32 v4, v198, v58
	v_fma_f32 v4, v197, v57, -v4
	v_add_f32_e32 v3, v3, v4
	v_mul_f32_e32 v4, v200, v59
	v_fma_f32 v4, v199, v62, -v4
	v_add_f32_e32 v3, v3, v4
	v_mul_f32_e32 v4, v202, v61
	v_fma_f32 v4, v201, v60, -v4
	v_add_f32_e32 v3, v3, v4
	v_mul_f32_e32 v4, v204, v64
	v_fma_f32 v4, v203, v63, -v4
	v_add_f32_e32 v3, v3, v4
	v_mul_f32_e32 v4, v206, v65
	v_fma_f32 v4, v205, v56, -v4
	v_add_f32_e32 v3, v3, v4
	v_mul_f32_e32 v4, v208, v66
	v_fma_f32 v4, v207, v235, -v4
	v_add_f32_e32 v3, v3, v4
	v_mul_f32_e32 v4, v210, v234
	v_fma_f32 v4, v209, v233, -v4
	v_add_f32_e32 v3, v3, v4
	v_mul_f32_e32 v4, v212, v237
	v_fma_f32 v4, v211, v236, -v4
	v_add_f32_e32 v3, v3, v4
	v_mul_f32_e32 v4, v214, v239
	v_fma_f32 v4, v213, v238, -v4
	v_add_f32_e32 v3, v3, v4
	v_mul_f32_e32 v4, v216, v240
	v_fma_f32 v4, v215, v243, -v4
	v_add_f32_e32 v3, v3, v4
	v_mul_f32_e32 v4, v218, v242
	v_fma_f32 v4, v217, v241, -v4
	v_add_f32_e32 v3, v3, v4
	v_mul_f32_e32 v4, v220, v245
	v_fma_f32 v4, v219, v244, -v4
	v_add_f32_e32 v3, v3, v4
	v_mul_f32_e32 v4, v222, v247
	v_fma_f32 v4, v221, v246, -v4
	v_add_f32_e32 v3, v3, v4
	v_mul_f32_e32 v4, v224, v248
	v_fma_f32 v4, v223, v251, -v4
	v_add_f32_e32 v3, v3, v4
	v_mul_f32_e32 v4, v226, v250
	v_fma_f32 v4, v225, v249, -v4
	v_add_f32_e32 v3, v3, v4
	v_mul_f32_e32 v4, v228, v253
	v_fma_f32 v4, v227, v252, -v4
	v_add_f32_e32 v3, v3, v4
	v_mul_f32_e32 v4, v230, v254
	v_fma_f32 v4, v229, v68, -v4
	v_add_f32_e32 v3, v3, v4
	v_mul_f32_e32 v4, v232, v67
	v_fma_f32 v4, v231, v255, -v4
	v_add_f32_e32 v3, v3, v4
	v_sub_f32_e32 v3, v126, v3
	v_sub_f32_e32 v4, v127, v39
	buffer_store_dword v3, off, s[0:3], 0 offset:56
	buffer_store_dword v4, off, s[0:3], 0 offset:60
	s_and_saveexec_b64 s[4:5], vcc
	s_cbranch_execz .LBB121_349
; %bb.348:
	buffer_load_dword v3, off, s[0:3], 0 offset:48
	buffer_load_dword v4, off, s[0:3], 0 offset:52
	v_mov_b32_e32 v5, 0
	buffer_store_dword v5, off, s[0:3], 0 offset:48
	buffer_store_dword v5, off, s[0:3], 0 offset:52
	s_waitcnt vmcnt(2)
	ds_write_b64 v117, v[3:4]
.LBB121_349:
	s_or_b64 exec, exec, s[4:5]
	s_waitcnt lgkmcnt(0)
	; wave barrier
	buffer_load_dword v127, off, s[0:3], 0 offset:60
	buffer_load_dword v126, off, s[0:3], 0 offset:68
	;; [unrolled: 1-line block ×40, first 2 shown]
	v_mov_b32_e32 v118, 0
	buffer_load_dword v30, off, s[0:3], 0 offset:208
	buffer_load_dword v31, off, s[0:3], 0 offset:212
	;; [unrolled: 1-line block ×10, first 2 shown]
	ds_read2_b64 v[134:137], v118 offset0:65 offset1:66
	ds_read2_b64 v[138:141], v118 offset0:67 offset1:68
	;; [unrolled: 1-line block ×7, first 2 shown]
	v_cmp_lt_u32_e32 vcc, 5, v0
	s_waitcnt vmcnt(49) lgkmcnt(6)
	v_mul_f32_e32 v3, v134, v127
	s_waitcnt vmcnt(48)
	v_mul_f32_e32 v4, v136, v126
	s_waitcnt vmcnt(47) lgkmcnt(5)
	v_mul_f32_e32 v40, v138, v123
	s_waitcnt vmcnt(46)
	v_mul_f32_e32 v41, v140, v122
	;; [unrolled: 4-line block ×6, first 2 shown]
	s_waitcnt vmcnt(37)
	v_fmac_f32_e32 v40, v139, v5
	s_waitcnt vmcnt(36)
	v_fmac_f32_e32 v4, v137, v6
	;; [unrolled: 2-line block ×3, first 2 shown]
	v_add_f32_e32 v3, 0, v3
	v_add_f32_e32 v3, v3, v4
	;; [unrolled: 1-line block ×3, first 2 shown]
	s_waitcnt vmcnt(31)
	v_fmac_f32_e32 v41, v141, v11
	v_fmac_f32_e32 v42, v143, v10
	v_add_f32_e32 v3, v3, v41
	buffer_load_dword v40, off, s[0:3], 0 offset:248
	buffer_load_dword v41, off, s[0:3], 0 offset:252
	v_fmac_f32_e32 v43, v145, v9
	v_add_f32_e32 v3, v3, v42
	v_fmac_f32_e32 v44, v147, v8
	v_add_f32_e32 v3, v3, v43
	s_waitcnt vmcnt(29)
	v_fmac_f32_e32 v45, v149, v14
	v_add_f32_e32 v3, v3, v44
	v_fmac_f32_e32 v46, v151, v13
	v_add_f32_e32 v3, v3, v45
	ds_read2_b64 v[162:165], v118 offset0:79 offset1:80
	buffer_load_dword v42, off, s[0:3], 0 offset:260
	buffer_load_dword v43, off, s[0:3], 0 offset:256
	;; [unrolled: 1-line block ×4, first 2 shown]
	v_fmac_f32_e32 v47, v153, v12
	v_add_f32_e32 v3, v3, v46
	v_add_f32_e32 v3, v3, v47
	ds_read2_b64 v[166:169], v118 offset0:81 offset1:82
	ds_read2_b64 v[170:173], v118 offset0:83 offset1:84
	buffer_load_dword v46, off, s[0:3], 0 offset:272
	buffer_load_dword v47, off, s[0:3], 0 offset:276
	v_fmac_f32_e32 v48, v155, v133
	v_add_f32_e32 v3, v3, v48
	s_waitcnt vmcnt(31)
	v_fmac_f32_e32 v49, v157, v18
	v_add_f32_e32 v3, v3, v49
	buffer_load_dword v48, off, s[0:3], 0 offset:280
	buffer_load_dword v49, off, s[0:3], 0 offset:284
	;; [unrolled: 1-line block ×8, first 2 shown]
	ds_read2_b64 v[174:177], v118 offset0:85 offset1:86
	buffer_load_dword v56, off, s[0:3], 0 offset:312
	buffer_load_dword v57, off, s[0:3], 0 offset:316
	buffer_load_dword v58, off, s[0:3], 0 offset:324
	buffer_load_dword v59, off, s[0:3], 0 offset:328
	buffer_load_dword v60, off, s[0:3], 0 offset:332
	buffer_load_dword v61, off, s[0:3], 0 offset:320
	ds_read2_b64 v[178:181], v118 offset0:87 offset1:88
	buffer_load_dword v62, off, s[0:3], 0 offset:336
	buffer_load_dword v63, off, s[0:3], 0 offset:340
	;; [unrolled: 1-line block ×10, first 2 shown]
	ds_read2_b64 v[182:185], v118 offset0:89 offset1:90
	buffer_load_dword v235, off, s[0:3], 0 offset:376
	buffer_load_dword v236, off, s[0:3], 0 offset:380
	;; [unrolled: 1-line block ×6, first 2 shown]
	ds_read2_b64 v[186:189], v118 offset0:91 offset1:92
	buffer_load_dword v241, off, s[0:3], 0 offset:400
	buffer_load_dword v242, off, s[0:3], 0 offset:404
	;; [unrolled: 1-line block ×16, first 2 shown]
	s_waitcnt vmcnt(62) lgkmcnt(7)
	v_mul_f32_e32 v4, v158, v19
	v_fmac_f32_e32 v4, v159, v17
	v_add_f32_e32 v3, v3, v4
	v_mul_f32_e32 v4, v160, v20
	v_fmac_f32_e32 v4, v161, v16
	v_add_f32_e32 v3, v3, v4
	s_waitcnt lgkmcnt(6)
	v_mul_f32_e32 v4, v162, v21
	v_fmac_f32_e32 v4, v163, v15
	v_add_f32_e32 v3, v3, v4
	v_mul_f32_e32 v4, v164, v22
	v_fmac_f32_e32 v4, v165, v29
	v_add_f32_e32 v3, v3, v4
	s_waitcnt lgkmcnt(5)
	;; [unrolled: 7-line block ×3, first 2 shown]
	v_mul_f32_e32 v4, v170, v28
	v_fmac_f32_e32 v4, v171, v27
	v_add_f32_e32 v3, v3, v4
	v_mul_f32_e32 v4, v172, v31
	v_fmac_f32_e32 v4, v173, v30
	v_add_f32_e32 v3, v3, v4
	s_waitcnt vmcnt(60) lgkmcnt(3)
	v_mul_f32_e32 v4, v174, v33
	v_fmac_f32_e32 v4, v175, v32
	v_add_f32_e32 v3, v3, v4
	s_waitcnt vmcnt(58)
	v_mul_f32_e32 v4, v176, v35
	v_fmac_f32_e32 v4, v177, v34
	v_add_f32_e32 v3, v3, v4
	s_waitcnt vmcnt(56) lgkmcnt(2)
	v_mul_f32_e32 v4, v178, v37
	v_fmac_f32_e32 v4, v179, v36
	v_add_f32_e32 v3, v3, v4
	s_waitcnt vmcnt(54)
	v_mul_f32_e32 v4, v180, v39
	v_fmac_f32_e32 v4, v181, v38
	v_add_f32_e32 v3, v3, v4
	ds_read2_b64 v[190:193], v118 offset0:93 offset1:94
	ds_read2_b64 v[194:197], v118 offset0:95 offset1:96
	;; [unrolled: 1-line block ×8, first 2 shown]
	s_waitcnt vmcnt(52) lgkmcnt(9)
	v_mul_f32_e32 v4, v182, v41
	v_fmac_f32_e32 v4, v183, v40
	v_add_f32_e32 v3, v3, v4
	ds_read2_b64 v[222:225], v118 offset0:109 offset1:110
	ds_read2_b64 v[226:229], v118 offset0:111 offset1:112
	;; [unrolled: 1-line block ×3, first 2 shown]
	s_waitcnt vmcnt(51)
	v_mul_f32_e32 v4, v184, v42
	s_waitcnt vmcnt(50)
	v_fmac_f32_e32 v4, v185, v43
	v_add_f32_e32 v3, v3, v4
	s_waitcnt vmcnt(48) lgkmcnt(11)
	v_mul_f32_e32 v4, v186, v45
	v_fmac_f32_e32 v4, v187, v44
	v_add_f32_e32 v3, v3, v4
	s_waitcnt vmcnt(46)
	v_mul_f32_e32 v4, v188, v47
	v_fmac_f32_e32 v4, v189, v46
	v_add_f32_e32 v3, v3, v4
	s_waitcnt vmcnt(44) lgkmcnt(10)
	v_mul_f32_e32 v4, v190, v49
	v_fmac_f32_e32 v4, v191, v48
	v_add_f32_e32 v3, v3, v4
	s_waitcnt vmcnt(43)
	v_mul_f32_e32 v4, v192, v50
	s_waitcnt vmcnt(40)
	v_fmac_f32_e32 v4, v193, v53
	v_add_f32_e32 v3, v3, v4
	s_waitcnt lgkmcnt(9)
	v_mul_f32_e32 v4, v194, v52
	v_fmac_f32_e32 v4, v195, v51
	v_add_f32_e32 v3, v3, v4
	s_waitcnt vmcnt(38)
	v_mul_f32_e32 v4, v196, v55
	v_fmac_f32_e32 v4, v197, v54
	v_add_f32_e32 v3, v3, v4
	s_waitcnt vmcnt(36) lgkmcnt(8)
	v_mul_f32_e32 v4, v198, v57
	v_fmac_f32_e32 v4, v199, v56
	v_add_f32_e32 v3, v3, v4
	s_waitcnt vmcnt(35)
	v_mul_f32_e32 v4, v200, v58
	s_waitcnt vmcnt(32)
	v_fmac_f32_e32 v4, v201, v61
	v_add_f32_e32 v3, v3, v4
	s_waitcnt lgkmcnt(7)
	;; [unrolled: 17-line block ×5, first 2 shown]
	v_mul_f32_e32 v4, v226, v247
	v_fmac_f32_e32 v4, v227, v246
	v_add_f32_e32 v3, v3, v4
	s_waitcnt vmcnt(6)
	v_mul_f32_e32 v4, v228, v250
	v_fmac_f32_e32 v4, v229, v249
	v_add_f32_e32 v72, v3, v4
	ds_read_b64 v[3:4], v118 offset:920
	s_waitcnt vmcnt(4) lgkmcnt(1)
	v_mul_f32_e32 v73, v230, v252
	v_fmac_f32_e32 v73, v231, v251
	v_add_f32_e32 v72, v72, v73
	s_waitcnt vmcnt(3)
	v_mul_f32_e32 v73, v232, v253
	s_waitcnt vmcnt(0)
	v_fmac_f32_e32 v73, v233, v71
	v_add_f32_e32 v72, v72, v73
	s_waitcnt lgkmcnt(0)
	v_mul_f32_e32 v73, v3, v255
	v_fmac_f32_e32 v73, v4, v254
	v_add_f32_e32 v72, v72, v73
	v_mul_f32_e32 v73, v135, v127
	v_fma_f32 v7, v134, v7, -v73
	v_mul_f32_e32 v73, v137, v126
	v_add_f32_e32 v7, 0, v7
	v_fma_f32 v6, v136, v6, -v73
	v_add_f32_e32 v6, v7, v6
	v_mul_f32_e32 v7, v139, v123
	v_fma_f32 v5, v138, v5, -v7
	v_add_f32_e32 v5, v6, v5
	v_mul_f32_e32 v6, v141, v122
	;; [unrolled: 3-line block ×48, first 2 shown]
	v_fma_f32 v6, v232, v71, -v6
	v_mul_f32_e32 v4, v4, v255
	v_add_f32_e32 v5, v5, v6
	v_fma_f32 v3, v3, v254, -v4
	v_add_f32_e32 v3, v5, v3
	v_sub_f32_e32 v3, v124, v3
	v_sub_f32_e32 v4, v125, v72
	buffer_store_dword v3, off, s[0:3], 0 offset:48
	buffer_store_dword v4, off, s[0:3], 0 offset:52
	s_and_saveexec_b64 s[4:5], vcc
	s_cbranch_execz .LBB121_351
; %bb.350:
	buffer_load_dword v3, off, s[0:3], 0 offset:40
	buffer_load_dword v4, off, s[0:3], 0 offset:44
	s_waitcnt vmcnt(0)
	ds_write_b64 v117, v[3:4]
	buffer_store_dword v118, off, s[0:3], 0 offset:40
	buffer_store_dword v118, off, s[0:3], 0 offset:44
.LBB121_351:
	s_or_b64 exec, exec, s[4:5]
	s_waitcnt lgkmcnt(0)
	; wave barrier
	buffer_load_dword v127, off, s[0:3], 0 offset:52
	buffer_load_dword v124, off, s[0:3], 0 offset:60
	;; [unrolled: 1-line block ×40, first 2 shown]
	ds_read_b128 v[142:145], v118 offset:512
	ds_read_b128 v[146:149], v118 offset:528
	;; [unrolled: 1-line block ×6, first 2 shown]
	buffer_load_dword v20, off, s[0:3], 0 offset:200
	buffer_load_dword v21, off, s[0:3], 0 offset:204
	;; [unrolled: 1-line block ×12, first 2 shown]
	ds_read_b128 v[166:169], v118 offset:608
	ds_read_b128 v[170:173], v118 offset:624
	v_cmp_lt_u32_e32 vcc, 4, v0
	s_waitcnt vmcnt(51) lgkmcnt(7)
	v_mul_f32_e32 v32, v142, v127
	s_waitcnt vmcnt(50)
	v_mul_f32_e32 v33, v144, v124
	s_waitcnt vmcnt(49) lgkmcnt(6)
	v_mul_f32_e32 v34, v146, v123
	s_waitcnt vmcnt(48)
	v_mul_f32_e32 v35, v148, v122
	;; [unrolled: 4-line block ×5, first 2 shown]
	s_waitcnt vmcnt(41) lgkmcnt(2)
	v_mul_f32_e32 v42, v162, v131
	s_waitcnt vmcnt(40)
	v_fmac_f32_e32 v34, v147, v138
	s_waitcnt vmcnt(39)
	v_fmac_f32_e32 v33, v145, v141
	;; [unrolled: 2-line block ×3, first 2 shown]
	v_add_f32_e32 v32, 0, v32
	v_add_f32_e32 v32, v32, v33
	;; [unrolled: 1-line block ×3, first 2 shown]
	s_waitcnt vmcnt(34)
	v_fmac_f32_e32 v35, v149, v4
	v_fmac_f32_e32 v36, v151, v140
	v_add_f32_e32 v32, v32, v35
	buffer_load_dword v34, off, s[0:3], 0 offset:248
	buffer_load_dword v35, off, s[0:3], 0 offset:252
	v_fmac_f32_e32 v37, v153, v137
	v_add_f32_e32 v32, v32, v36
	v_add_f32_e32 v32, v32, v37
	buffer_load_dword v36, off, s[0:3], 0 offset:256
	buffer_load_dword v37, off, s[0:3], 0 offset:260
	v_fmac_f32_e32 v38, v155, v134
	s_waitcnt vmcnt(34)
	v_fmac_f32_e32 v39, v157, v139
	v_add_f32_e32 v32, v32, v38
	v_add_f32_e32 v32, v32, v39
	ds_read_b128 v[174:177], v118 offset:640
	buffer_load_dword v38, off, s[0:3], 0 offset:264
	buffer_load_dword v39, off, s[0:3], 0 offset:268
	v_fmac_f32_e32 v40, v159, v136
	v_fmac_f32_e32 v41, v161, v133
	v_add_f32_e32 v32, v32, v40
	v_fmac_f32_e32 v42, v163, v132
	v_add_f32_e32 v32, v32, v41
	s_waitcnt vmcnt(35)
	v_mul_f32_e32 v33, v164, v135
	v_add_f32_e32 v32, v32, v42
	s_waitcnt vmcnt(31)
	v_fmac_f32_e32 v33, v165, v8
	v_add_f32_e32 v32, v32, v33
	s_waitcnt vmcnt(30) lgkmcnt(2)
	v_mul_f32_e32 v33, v166, v9
	v_fmac_f32_e32 v33, v167, v7
	v_add_f32_e32 v32, v32, v33
	s_waitcnt vmcnt(29)
	v_mul_f32_e32 v33, v168, v10
	v_fmac_f32_e32 v33, v169, v6
	v_add_f32_e32 v32, v32, v33
	s_waitcnt vmcnt(28) lgkmcnt(1)
	v_mul_f32_e32 v33, v170, v11
	v_fmac_f32_e32 v33, v171, v5
	v_add_f32_e32 v32, v32, v33
	s_waitcnt vmcnt(27)
	v_mul_f32_e32 v33, v172, v12
	s_waitcnt vmcnt(21)
	v_fmac_f32_e32 v33, v173, v18
	ds_read_b128 v[178:181], v118 offset:656
	v_add_f32_e32 v32, v32, v33
	s_waitcnt vmcnt(20) lgkmcnt(1)
	v_mul_f32_e32 v33, v174, v19
	v_fmac_f32_e32 v33, v175, v17
	v_add_f32_e32 v32, v32, v33
	v_mul_f32_e32 v33, v176, v14
	v_fmac_f32_e32 v33, v177, v13
	v_add_f32_e32 v32, v32, v33
	s_waitcnt lgkmcnt(0)
	v_mul_f32_e32 v33, v178, v16
	v_fmac_f32_e32 v33, v179, v15
	v_add_f32_e32 v32, v32, v33
	buffer_load_dword v33, off, s[0:3], 0 offset:272
	buffer_load_dword v40, off, s[0:3], 0 offset:276
	;; [unrolled: 1-line block ×6, first 2 shown]
	s_waitcnt vmcnt(22)
	v_mul_f32_e32 v45, v180, v21
	v_fmac_f32_e32 v45, v181, v20
	ds_read_b128 v[182:185], v118 offset:672
	v_add_f32_e32 v32, v32, v45
	buffer_load_dword v45, off, s[0:3], 0 offset:296
	buffer_load_dword v46, off, s[0:3], 0 offset:300
	ds_read_b128 v[186:189], v118 offset:688
	buffer_load_dword v48, off, s[0:3], 0 offset:304
	buffer_load_dword v49, off, s[0:3], 0 offset:308
	;; [unrolled: 1-line block ×14, first 2 shown]
	s_waitcnt vmcnt(36) lgkmcnt(1)
	v_mul_f32_e32 v47, v182, v23
	v_fmac_f32_e32 v47, v183, v22
	v_add_f32_e32 v32, v32, v47
	s_waitcnt vmcnt(34)
	v_mul_f32_e32 v47, v184, v25
	buffer_load_dword v62, off, s[0:3], 0 offset:360
	buffer_load_dword v63, off, s[0:3], 0 offset:364
	v_fmac_f32_e32 v47, v185, v24
	v_add_f32_e32 v32, v32, v47
	s_waitcnt vmcnt(34) lgkmcnt(0)
	v_mul_f32_e32 v47, v186, v27
	v_fmac_f32_e32 v47, v187, v26
	v_add_f32_e32 v32, v32, v47
	s_waitcnt vmcnt(32)
	v_mul_f32_e32 v47, v188, v29
	ds_read_b128 v[190:193], v118 offset:704
	v_fmac_f32_e32 v47, v189, v28
	v_add_f32_e32 v32, v32, v47
	buffer_load_dword v47, off, s[0:3], 0 offset:368
	buffer_load_dword v64, off, s[0:3], 0 offset:372
	;; [unrolled: 1-line block ×6, first 2 shown]
	ds_read_b128 v[194:197], v118 offset:720
	s_waitcnt vmcnt(36) lgkmcnt(1)
	v_mul_f32_e32 v69, v190, v31
	v_fmac_f32_e32 v69, v191, v30
	v_add_f32_e32 v32, v32, v69
	buffer_load_dword v69, off, s[0:3], 0 offset:392
	buffer_load_dword v70, off, s[0:3], 0 offset:396
	;; [unrolled: 1-line block ×8, first 2 shown]
	s_waitcnt vmcnt(42)
	v_mul_f32_e32 v71, v192, v35
	v_fmac_f32_e32 v71, v193, v34
	v_add_f32_e32 v32, v32, v71
	s_waitcnt vmcnt(40) lgkmcnt(0)
	v_mul_f32_e32 v71, v194, v37
	v_fmac_f32_e32 v71, v195, v36
	v_add_f32_e32 v32, v32, v71
	buffer_load_dword v71, off, s[0:3], 0 offset:424
	buffer_load_dword v249, off, s[0:3], 0 offset:428
	buffer_load_dword v250, off, s[0:3], 0 offset:432
	buffer_load_dword v251, off, s[0:3], 0 offset:436
	buffer_load_dword v252, off, s[0:3], 0 offset:444
	buffer_load_dword v253, off, s[0:3], 0 offset:448
	buffer_load_dword v254, off, s[0:3], 0 offset:452
	buffer_load_dword v255, off, s[0:3], 0 offset:440
	ds_read_b128 v[198:201], v118 offset:736
	s_waitcnt vmcnt(46)
	v_mul_f32_e32 v202, v196, v39
	v_fmac_f32_e32 v202, v197, v38
	v_add_f32_e32 v32, v32, v202
	ds_read_b128 v[202:205], v118 offset:752
	buffer_load_dword v75, off, s[0:3], 0 offset:456
	buffer_load_dword v76, off, s[0:3], 0 offset:460
	s_waitcnt vmcnt(46) lgkmcnt(1)
	v_mul_f32_e32 v206, v198, v40
	v_fmac_f32_e32 v206, v199, v33
	v_add_f32_e32 v32, v32, v206
	s_waitcnt vmcnt(45)
	v_mul_f32_e32 v206, v200, v41
	s_waitcnt vmcnt(42)
	v_fmac_f32_e32 v206, v201, v44
	v_add_f32_e32 v32, v32, v206
	s_waitcnt lgkmcnt(0)
	v_mul_f32_e32 v206, v202, v43
	v_fmac_f32_e32 v206, v203, v42
	v_add_f32_e32 v32, v32, v206
	ds_read_b128 v[206:209], v118 offset:768
	s_waitcnt vmcnt(40)
	v_mul_f32_e32 v210, v204, v46
	v_fmac_f32_e32 v210, v205, v45
	v_add_f32_e32 v32, v32, v210
	ds_read_b128 v[210:213], v118 offset:784
	s_waitcnt vmcnt(38) lgkmcnt(1)
	v_mul_f32_e32 v214, v206, v49
	v_fmac_f32_e32 v214, v207, v48
	v_add_f32_e32 v32, v32, v214
	s_waitcnt vmcnt(37)
	v_mul_f32_e32 v214, v208, v50
	s_waitcnt vmcnt(34)
	v_fmac_f32_e32 v214, v209, v53
	v_add_f32_e32 v32, v32, v214
	s_waitcnt lgkmcnt(0)
	v_mul_f32_e32 v214, v210, v52
	v_fmac_f32_e32 v214, v211, v51
	v_add_f32_e32 v32, v32, v214
	ds_read_b128 v[214:217], v118 offset:800
	s_waitcnt vmcnt(32)
	v_mul_f32_e32 v218, v212, v55
	v_fmac_f32_e32 v218, v213, v54
	v_add_f32_e32 v32, v32, v218
	ds_read_b128 v[218:221], v118 offset:816
	;; [unrolled: 19-line block ×5, first 2 shown]
	s_waitcnt vmcnt(6) lgkmcnt(1)
	v_mul_f32_e32 v118, v238, v251
	v_fmac_f32_e32 v118, v239, v250
	v_add_f32_e32 v32, v32, v118
	s_waitcnt vmcnt(5)
	v_mul_f32_e32 v118, v240, v252
	s_waitcnt vmcnt(2)
	v_fmac_f32_e32 v118, v241, v255
	v_add_f32_e32 v32, v32, v118
	s_waitcnt lgkmcnt(0)
	v_mul_f32_e32 v118, v242, v254
	v_fmac_f32_e32 v118, v243, v253
	v_add_f32_e32 v32, v32, v118
	s_waitcnt vmcnt(0)
	v_mul_f32_e32 v118, v244, v76
	v_fmac_f32_e32 v118, v245, v75
	v_add_f32_e32 v32, v32, v118
	v_mul_f32_e32 v118, v143, v127
	v_fma_f32 v3, v142, v3, -v118
	v_mul_f32_e32 v118, v145, v124
	v_add_f32_e32 v3, 0, v3
	v_fma_f32 v118, v144, v141, -v118
	v_add_f32_e32 v3, v3, v118
	v_mul_f32_e32 v118, v147, v123
	v_fma_f32 v118, v146, v138, -v118
	v_add_f32_e32 v3, v3, v118
	v_mul_f32_e32 v118, v149, v122
	;; [unrolled: 3-line block ×50, first 2 shown]
	v_fma_f32 v4, v244, v75, -v4
	v_add_f32_e32 v3, v3, v4
	v_sub_f32_e32 v3, v125, v3
	v_sub_f32_e32 v4, v126, v32
	buffer_store_dword v3, off, s[0:3], 0 offset:40
	buffer_store_dword v4, off, s[0:3], 0 offset:44
	s_and_saveexec_b64 s[4:5], vcc
	s_cbranch_execz .LBB121_353
; %bb.352:
	buffer_load_dword v3, off, s[0:3], 0 offset:32
	buffer_load_dword v4, off, s[0:3], 0 offset:36
	v_mov_b32_e32 v5, 0
	buffer_store_dword v5, off, s[0:3], 0 offset:32
	buffer_store_dword v5, off, s[0:3], 0 offset:36
	s_waitcnt vmcnt(2)
	ds_write_b64 v117, v[3:4]
.LBB121_353:
	s_or_b64 exec, exec, s[4:5]
	s_waitcnt lgkmcnt(0)
	; wave barrier
	buffer_load_dword v127, off, s[0:3], 0 offset:44
	buffer_load_dword v126, off, s[0:3], 0 offset:52
	;; [unrolled: 1-line block ×40, first 2 shown]
	v_mov_b32_e32 v118, 0
	buffer_load_dword v13, off, s[0:3], 0 offset:192
	buffer_load_dword v14, off, s[0:3], 0 offset:196
	;; [unrolled: 1-line block ×11, first 2 shown]
	ds_read2_b64 v[155:158], v118 offset0:63 offset1:64
	ds_read2_b64 v[159:162], v118 offset0:65 offset1:66
	;; [unrolled: 1-line block ×8, first 2 shown]
	v_cmp_lt_u32_e32 vcc, 3, v0
	s_waitcnt vmcnt(50) lgkmcnt(7)
	v_mul_f32_e32 v3, v155, v127
	s_waitcnt vmcnt(49)
	v_mul_f32_e32 v4, v157, v126
	s_waitcnt vmcnt(48) lgkmcnt(6)
	v_mul_f32_e32 v5, v159, v125
	s_waitcnt vmcnt(47)
	v_mul_f32_e32 v6, v161, v124
	;; [unrolled: 4-line block ×5, first 2 shown]
	s_waitcnt vmcnt(40) lgkmcnt(2)
	v_mul_f32_e32 v28, v175, v131
	s_waitcnt vmcnt(39)
	v_fmac_f32_e32 v5, v160, v138
	s_waitcnt vmcnt(38)
	v_fmac_f32_e32 v4, v158, v141
	;; [unrolled: 2-line block ×3, first 2 shown]
	v_add_f32_e32 v3, 0, v3
	v_add_f32_e32 v3, v3, v4
	;; [unrolled: 1-line block ×3, first 2 shown]
	s_waitcnt vmcnt(33)
	v_fmac_f32_e32 v6, v162, v142
	v_fmac_f32_e32 v7, v164, v140
	v_add_f32_e32 v3, v3, v6
	v_fmac_f32_e32 v8, v166, v137
	v_add_f32_e32 v3, v3, v7
	;; [unrolled: 2-line block ×3, first 2 shown]
	s_waitcnt vmcnt(29)
	v_fmac_f32_e32 v25, v170, v139
	v_add_f32_e32 v3, v3, v24
	v_fmac_f32_e32 v26, v172, v136
	v_add_f32_e32 v3, v3, v25
	;; [unrolled: 2-line block ×3, first 2 shown]
	buffer_load_dword v24, off, s[0:3], 0 offset:232
	buffer_load_dword v25, off, s[0:3], 0 offset:240
	;; [unrolled: 1-line block ×3, first 2 shown]
	v_fmac_f32_e32 v28, v176, v132
	v_add_f32_e32 v3, v3, v27
	v_add_f32_e32 v3, v3, v28
	buffer_load_dword v27, off, s[0:3], 0 offset:248
	buffer_load_dword v28, off, s[0:3], 0 offset:252
	ds_read2_b64 v[187:190], v118 offset0:79 offset1:80
	buffer_load_dword v29, off, s[0:3], 0 offset:256
	buffer_load_dword v30, off, s[0:3], 0 offset:260
	ds_read2_b64 v[191:194], v118 offset0:81 offset1:82
	;; [unrolled: 3-line block ×3, first 2 shown]
	buffer_load_dword v33, off, s[0:3], 0 offset:276
	buffer_load_dword v34, off, s[0:3], 0 offset:280
	;; [unrolled: 1-line block ×4, first 2 shown]
	ds_read2_b64 v[199:202], v118 offset0:85 offset1:86
	buffer_load_dword v37, off, s[0:3], 0 offset:288
	buffer_load_dword v38, off, s[0:3], 0 offset:292
	;; [unrolled: 1-line block ×16, first 2 shown]
	ds_read2_b64 v[203:206], v118 offset0:87 offset1:88
	buffer_load_dword v53, off, s[0:3], 0 offset:352
	buffer_load_dword v54, off, s[0:3], 0 offset:356
	ds_read2_b64 v[207:210], v118 offset0:89 offset1:90
	buffer_load_dword v55, off, s[0:3], 0 offset:360
	buffer_load_dword v56, off, s[0:3], 0 offset:364
	;; [unrolled: 1-line block ×16, first 2 shown]
	ds_read2_b64 v[211:214], v118 offset0:91 offset1:92
	buffer_load_dword v71, off, s[0:3], 0 offset:424
	buffer_load_dword v72, off, s[0:3], 0 offset:428
	;; [unrolled: 1-line block ×6, first 2 shown]
	s_waitcnt vmcnt(62)
	v_mul_f32_e32 v4, v177, v135
	v_fmac_f32_e32 v4, v178, v150
	v_add_f32_e32 v3, v3, v4
	s_waitcnt lgkmcnt(8)
	v_mul_f32_e32 v4, v179, v149
	ds_read2_b64 v[215:218], v118 offset0:93 offset1:94
	buffer_load_dword v255, off, s[0:3], 0 offset:452
	buffer_load_dword v77, off, s[0:3], 0 offset:456
	;; [unrolled: 1-line block ×4, first 2 shown]
	v_fmac_f32_e32 v4, v180, v147
	v_add_f32_e32 v3, v3, v4
	v_mul_f32_e32 v4, v181, v148
	v_fmac_f32_e32 v4, v182, v145
	v_add_f32_e32 v3, v3, v4
	s_waitcnt lgkmcnt(8)
	v_mul_f32_e32 v4, v183, v146
	v_fmac_f32_e32 v4, v184, v144
	v_add_f32_e32 v3, v3, v4
	v_mul_f32_e32 v4, v185, v151
	v_fmac_f32_e32 v4, v186, v12
	v_add_f32_e32 v3, v3, v4
	s_waitcnt lgkmcnt(7)
	v_mul_f32_e32 v4, v187, v153
	;; [unrolled: 7-line block ×3, first 2 shown]
	v_fmac_f32_e32 v4, v192, v10
	v_add_f32_e32 v3, v3, v4
	v_mul_f32_e32 v4, v193, v14
	v_fmac_f32_e32 v4, v194, v13
	v_add_f32_e32 v3, v3, v4
	s_waitcnt vmcnt(62) lgkmcnt(5)
	v_mul_f32_e32 v4, v195, v16
	v_fmac_f32_e32 v4, v196, v15
	v_add_f32_e32 v3, v3, v4
	v_mul_f32_e32 v4, v197, v18
	v_fmac_f32_e32 v4, v198, v17
	v_add_f32_e32 v3, v3, v4
	s_waitcnt vmcnt(60) lgkmcnt(4)
	v_mul_f32_e32 v4, v199, v20
	v_fmac_f32_e32 v4, v200, v19
	v_add_f32_e32 v3, v3, v4
	s_waitcnt vmcnt(58)
	v_mul_f32_e32 v4, v201, v22
	v_fmac_f32_e32 v4, v202, v21
	v_add_f32_e32 v3, v3, v4
	s_waitcnt vmcnt(57) lgkmcnt(3)
	v_mul_f32_e32 v4, v203, v23
	ds_read2_b64 v[219:222], v118 offset0:95 offset1:96
	ds_read2_b64 v[223:226], v118 offset0:97 offset1:98
	;; [unrolled: 1-line block ×9, first 2 shown]
	v_mul_f32_e32 v82, v158, v126
	v_fma_f32 v82, v157, v141, -v82
	s_waitcnt vmcnt(56)
	v_fmac_f32_e32 v4, v204, v24
	v_add_f32_e32 v3, v3, v4
	s_waitcnt vmcnt(54)
	v_mul_f32_e32 v4, v205, v26
	v_fmac_f32_e32 v4, v206, v25
	v_add_f32_e32 v3, v3, v4
	v_mul_f32_e32 v9, v190, v9
	s_waitcnt vmcnt(52) lgkmcnt(11)
	v_mul_f32_e32 v4, v207, v28
	v_fmac_f32_e32 v4, v208, v27
	v_add_f32_e32 v3, v3, v4
	s_waitcnt vmcnt(50)
	v_mul_f32_e32 v4, v209, v30
	v_fmac_f32_e32 v4, v210, v29
	v_add_f32_e32 v3, v3, v4
	s_waitcnt vmcnt(48) lgkmcnt(10)
	v_mul_f32_e32 v4, v211, v32
	v_fmac_f32_e32 v4, v212, v31
	v_add_f32_e32 v3, v3, v4
	s_waitcnt vmcnt(47)
	v_mul_f32_e32 v4, v213, v33
	s_waitcnt vmcnt(44)
	v_fmac_f32_e32 v4, v214, v36
	v_add_f32_e32 v3, v3, v4
	s_waitcnt lgkmcnt(9)
	v_mul_f32_e32 v4, v215, v35
	v_fmac_f32_e32 v4, v216, v34
	v_add_f32_e32 v3, v3, v4
	s_waitcnt vmcnt(42)
	v_mul_f32_e32 v4, v217, v38
	v_fmac_f32_e32 v4, v218, v37
	v_add_f32_e32 v3, v3, v4
	s_waitcnt vmcnt(40) lgkmcnt(8)
	v_mul_f32_e32 v4, v219, v40
	v_fmac_f32_e32 v4, v220, v39
	v_add_f32_e32 v3, v3, v4
	s_waitcnt vmcnt(39)
	v_mul_f32_e32 v4, v221, v41
	s_waitcnt vmcnt(36)
	v_fmac_f32_e32 v4, v222, v44
	v_add_f32_e32 v3, v3, v4
	s_waitcnt lgkmcnt(7)
	;; [unrolled: 17-line block ×5, first 2 shown]
	v_mul_f32_e32 v4, v247, v67
	v_fmac_f32_e32 v4, v248, v66
	v_add_f32_e32 v3, v3, v4
	s_waitcnt vmcnt(10)
	v_mul_f32_e32 v4, v249, v70
	v_fmac_f32_e32 v4, v250, v69
	v_add_f32_e32 v7, v3, v4
	ds_read2_b64 v[3:6], v118 offset0:113 offset1:114
	s_waitcnt vmcnt(8) lgkmcnt(1)
	v_mul_f32_e32 v8, v251, v72
	v_fmac_f32_e32 v8, v252, v71
	v_add_f32_e32 v7, v7, v8
	s_waitcnt vmcnt(7)
	v_mul_f32_e32 v8, v253, v73
	s_waitcnt vmcnt(4)
	v_fmac_f32_e32 v8, v254, v76
	v_add_f32_e32 v80, v7, v8
	ds_read_b64 v[7:8], v118 offset:920
	s_waitcnt lgkmcnt(1)
	v_mul_f32_e32 v81, v3, v75
	v_fmac_f32_e32 v81, v4, v74
	v_add_f32_e32 v80, v80, v81
	s_waitcnt vmcnt(3)
	v_mul_f32_e32 v81, v5, v255
	s_waitcnt vmcnt(0)
	v_fmac_f32_e32 v81, v6, v79
	v_add_f32_e32 v80, v80, v81
	s_waitcnt lgkmcnt(0)
	v_mul_f32_e32 v81, v7, v78
	v_fmac_f32_e32 v81, v8, v77
	v_add_f32_e32 v80, v80, v81
	v_mul_f32_e32 v81, v156, v127
	v_fma_f32 v81, v155, v143, -v81
	v_add_f32_e32 v81, 0, v81
	v_add_f32_e32 v81, v81, v82
	v_mul_f32_e32 v82, v160, v125
	v_fma_f32 v82, v159, v138, -v82
	v_add_f32_e32 v81, v81, v82
	v_mul_f32_e32 v82, v162, v124
	v_fma_f32 v82, v161, v142, -v82
	;; [unrolled: 3-line block ×15, first 2 shown]
	v_add_f32_e32 v12, v12, v81
	v_fma_f32 v9, v189, v154, -v9
	v_mul_f32_e32 v11, v192, v11
	v_add_f32_e32 v9, v12, v9
	v_fma_f32 v10, v191, v10, -v11
	v_add_f32_e32 v9, v9, v10
	v_mul_f32_e32 v10, v194, v14
	v_fma_f32 v10, v193, v13, -v10
	v_add_f32_e32 v9, v9, v10
	v_mul_f32_e32 v10, v196, v16
	;; [unrolled: 3-line block ×31, first 2 shown]
	v_fma_f32 v10, v253, v76, -v10
	v_mul_f32_e32 v4, v4, v75
	v_add_f32_e32 v9, v9, v10
	v_fma_f32 v3, v3, v74, -v4
	v_mul_f32_e32 v4, v6, v255
	v_add_f32_e32 v3, v9, v3
	v_fma_f32 v4, v5, v79, -v4
	v_add_f32_e32 v3, v3, v4
	v_mul_f32_e32 v4, v8, v78
	v_fma_f32 v4, v7, v77, -v4
	v_add_f32_e32 v3, v3, v4
	v_sub_f32_e32 v3, v119, v3
	v_sub_f32_e32 v4, v120, v80
	buffer_store_dword v3, off, s[0:3], 0 offset:32
	buffer_store_dword v4, off, s[0:3], 0 offset:36
	s_and_saveexec_b64 s[4:5], vcc
	s_cbranch_execz .LBB121_355
; %bb.354:
	buffer_load_dword v3, off, s[0:3], 0 offset:24
	buffer_load_dword v4, off, s[0:3], 0 offset:28
	s_waitcnt vmcnt(0)
	ds_write_b64 v117, v[3:4]
	buffer_store_dword v118, off, s[0:3], 0 offset:24
	buffer_store_dword v118, off, s[0:3], 0 offset:28
.LBB121_355:
	s_or_b64 exec, exec, s[4:5]
	s_waitcnt lgkmcnt(0)
	; wave barrier
	buffer_load_dword v127, off, s[0:3], 0 offset:36
	buffer_load_dword v126, off, s[0:3], 0 offset:44
	;; [unrolled: 1-line block ×40, first 2 shown]
	ds_read_b128 v[3:6], v118 offset:496
	ds_read_b128 v[152:155], v118 offset:512
	;; [unrolled: 1-line block ×6, first 2 shown]
	buffer_load_dword v14, off, s[0:3], 0 offset:184
	buffer_load_dword v15, off, s[0:3], 0 offset:188
	;; [unrolled: 1-line block ×12, first 2 shown]
	ds_read_b128 v[172:175], v118 offset:592
	ds_read_b128 v[176:179], v118 offset:608
	v_cmp_lt_u32_e32 vcc, 2, v0
	s_waitcnt vmcnt(51) lgkmcnt(7)
	v_mul_f32_e32 v26, v3, v127
	s_waitcnt vmcnt(50)
	v_mul_f32_e32 v27, v5, v126
	s_waitcnt vmcnt(49) lgkmcnt(6)
	v_mul_f32_e32 v28, v152, v125
	s_waitcnt vmcnt(48)
	v_mul_f32_e32 v29, v154, v124
	;; [unrolled: 4-line block ×5, first 2 shown]
	s_waitcnt vmcnt(41) lgkmcnt(2)
	v_mul_f32_e32 v36, v168, v131
	s_waitcnt vmcnt(40)
	v_fmac_f32_e32 v28, v153, v138
	s_waitcnt vmcnt(39)
	v_fmac_f32_e32 v27, v6, v141
	;; [unrolled: 2-line block ×3, first 2 shown]
	v_add_f32_e32 v26, 0, v26
	v_add_f32_e32 v26, v26, v27
	;; [unrolled: 1-line block ×3, first 2 shown]
	s_waitcnt vmcnt(34)
	v_fmac_f32_e32 v29, v155, v142
	v_fmac_f32_e32 v30, v157, v140
	v_add_f32_e32 v26, v26, v29
	v_fmac_f32_e32 v31, v159, v137
	v_add_f32_e32 v26, v26, v30
	;; [unrolled: 2-line block ×3, first 2 shown]
	s_waitcnt vmcnt(30)
	v_fmac_f32_e32 v33, v163, v139
	v_add_f32_e32 v26, v26, v32
	v_fmac_f32_e32 v34, v165, v136
	v_add_f32_e32 v26, v26, v33
	;; [unrolled: 2-line block ×4, first 2 shown]
	s_waitcnt vmcnt(29)
	v_mul_f32_e32 v27, v170, v135
	v_add_f32_e32 v26, v26, v36
	s_waitcnt vmcnt(25)
	v_fmac_f32_e32 v27, v171, v150
	v_add_f32_e32 v26, v26, v27
	s_waitcnt vmcnt(24) lgkmcnt(1)
	v_mul_f32_e32 v27, v172, v149
	buffer_load_dword v28, off, s[0:3], 0 offset:236
	buffer_load_dword v29, off, s[0:3], 0 offset:232
	;; [unrolled: 1-line block ×4, first 2 shown]
	v_fmac_f32_e32 v27, v173, v147
	v_add_f32_e32 v26, v26, v27
	s_waitcnt vmcnt(27)
	v_mul_f32_e32 v27, v174, v148
	v_fmac_f32_e32 v27, v175, v145
	v_add_f32_e32 v26, v26, v27
	buffer_load_dword v27, off, s[0:3], 0 offset:248
	buffer_load_dword v32, off, s[0:3], 0 offset:252
	ds_read_b128 v[180:183], v118 offset:624
	ds_read_b128 v[184:187], v118 offset:640
	s_waitcnt vmcnt(28) lgkmcnt(2)
	v_mul_f32_e32 v33, v176, v146
	v_fmac_f32_e32 v33, v177, v144
	v_add_f32_e32 v26, v26, v33
	s_waitcnt vmcnt(27)
	v_mul_f32_e32 v33, v178, v151
	s_waitcnt vmcnt(21)
	v_fmac_f32_e32 v33, v179, v12
	v_add_f32_e32 v26, v26, v33
	s_waitcnt vmcnt(20) lgkmcnt(1)
	v_mul_f32_e32 v33, v180, v13
	v_fmac_f32_e32 v33, v181, v11
	v_add_f32_e32 v26, v26, v33
	v_mul_f32_e32 v33, v182, v8
	buffer_load_dword v34, off, s[0:3], 0 offset:260
	v_fmac_f32_e32 v33, v183, v7
	buffer_load_dword v35, off, s[0:3], 0 offset:256
	buffer_load_dword v36, off, s[0:3], 0 offset:264
	;; [unrolled: 1-line block ×3, first 2 shown]
	ds_read_b128 v[188:191], v118 offset:656
	v_add_f32_e32 v26, v26, v33
	s_waitcnt lgkmcnt(1)
	v_mul_f32_e32 v33, v184, v10
	v_fmac_f32_e32 v33, v185, v9
	v_add_f32_e32 v26, v26, v33
	s_waitcnt vmcnt(20)
	v_mul_f32_e32 v33, v186, v15
	v_fmac_f32_e32 v33, v187, v14
	buffer_load_dword v38, off, s[0:3], 0 offset:272
	buffer_load_dword v39, off, s[0:3], 0 offset:276
	v_add_f32_e32 v26, v26, v33
	s_waitcnt vmcnt(20) lgkmcnt(0)
	v_mul_f32_e32 v33, v188, v17
	v_fmac_f32_e32 v33, v189, v16
	ds_read_b128 v[192:195], v118 offset:672
	v_add_f32_e32 v26, v26, v33
	buffer_load_dword v33, off, s[0:3], 0 offset:280
	buffer_load_dword v40, off, s[0:3], 0 offset:284
	s_waitcnt vmcnt(20)
	v_mul_f32_e32 v41, v190, v19
	v_fmac_f32_e32 v41, v191, v18
	buffer_load_dword v42, off, s[0:3], 0 offset:288
	buffer_load_dword v43, off, s[0:3], 0 offset:292
	;; [unrolled: 1-line block ×6, first 2 shown]
	v_add_f32_e32 v26, v26, v41
	s_waitcnt vmcnt(24) lgkmcnt(0)
	v_mul_f32_e32 v41, v192, v21
	v_fmac_f32_e32 v41, v193, v20
	v_add_f32_e32 v26, v26, v41
	buffer_load_dword v41, off, s[0:3], 0 offset:312
	buffer_load_dword v48, off, s[0:3], 0 offset:316
	ds_read_b128 v[196:199], v118 offset:688
	buffer_load_dword v50, off, s[0:3], 0 offset:320
	buffer_load_dword v51, off, s[0:3], 0 offset:324
	;; [unrolled: 1-line block ×6, first 2 shown]
	ds_read_b128 v[200:203], v118 offset:704
	buffer_load_dword v56, off, s[0:3], 0 offset:344
	buffer_load_dword v57, off, s[0:3], 0 offset:348
	s_waitcnt vmcnt(32)
	v_mul_f32_e32 v49, v194, v23
	v_fmac_f32_e32 v49, v195, v22
	v_add_f32_e32 v26, v26, v49
	s_waitcnt vmcnt(30) lgkmcnt(1)
	v_mul_f32_e32 v49, v196, v25
	v_mul_f32_e32 v4, v4, v127
	v_fmac_f32_e32 v49, v197, v24
	v_fma_f32 v3, v3, v143, -v4
	v_mul_f32_e32 v4, v6, v126
	v_add_f32_e32 v26, v26, v49
	buffer_load_dword v49, off, s[0:3], 0 offset:352
	buffer_load_dword v58, off, s[0:3], 0 offset:356
	;; [unrolled: 1-line block ×6, first 2 shown]
	v_add_f32_e32 v3, 0, v3
	v_fma_f32 v4, v5, v141, -v4
	v_add_f32_e32 v3, v3, v4
	v_mul_f32_e32 v4, v153, v125
	v_fma_f32 v4, v152, v138, -v4
	buffer_load_dword v64, off, s[0:3], 0 offset:376
	buffer_load_dword v65, off, s[0:3], 0 offset:380
	v_add_f32_e32 v3, v3, v4
	v_mul_f32_e32 v4, v155, v124
	v_fma_f32 v4, v154, v142, -v4
	v_add_f32_e32 v3, v3, v4
	v_mul_f32_e32 v4, v157, v123
	v_fma_f32 v4, v156, v140, -v4
	;; [unrolled: 3-line block ×4, first 2 shown]
	v_add_f32_e32 v3, v3, v4
	s_waitcnt vmcnt(37)
	v_mul_f32_e32 v63, v198, v28
	s_waitcnt vmcnt(36)
	v_fmac_f32_e32 v63, v199, v29
	v_add_f32_e32 v26, v26, v63
	s_waitcnt vmcnt(34) lgkmcnt(0)
	v_mul_f32_e32 v63, v200, v31
	v_fmac_f32_e32 v63, v201, v30
	v_add_f32_e32 v26, v26, v63
	buffer_load_dword v63, off, s[0:3], 0 offset:384
	buffer_load_dword v66, off, s[0:3], 0 offset:388
	;; [unrolled: 1-line block ×6, first 2 shown]
	ds_read_b128 v[204:207], v118 offset:720
	v_mul_f32_e32 v4, v163, v128
	s_waitcnt vmcnt(38)
	v_mul_f32_e32 v71, v202, v32
	v_fmac_f32_e32 v71, v203, v27
	v_add_f32_e32 v26, v26, v71
	buffer_load_dword v71, off, s[0:3], 0 offset:408
	buffer_load_dword v72, off, s[0:3], 0 offset:412
	v_fma_f32 v4, v162, v139, -v4
	v_add_f32_e32 v3, v3, v4
	v_mul_f32_e32 v4, v165, v129
	v_fma_f32 v4, v164, v136, -v4
	v_add_f32_e32 v3, v3, v4
	v_mul_f32_e32 v4, v167, v130
	ds_read_b128 v[208:211], v118 offset:736
	buffer_load_dword v74, off, s[0:3], 0 offset:416
	buffer_load_dword v75, off, s[0:3], 0 offset:420
	;; [unrolled: 1-line block ×6, first 2 shown]
	v_fma_f32 v4, v166, v133, -v4
	v_add_f32_e32 v3, v3, v4
	v_mul_f32_e32 v4, v169, v131
	v_fma_f32 v4, v168, v132, -v4
	v_add_f32_e32 v3, v3, v4
	v_mul_f32_e32 v4, v171, v135
	;; [unrolled: 3-line block ×3, first 2 shown]
	buffer_load_dword v80, off, s[0:3], 0 offset:440
	buffer_load_dword v81, off, s[0:3], 0 offset:444
	;; [unrolled: 1-line block ×6, first 2 shown]
	v_fma_f32 v4, v172, v147, -v4
	v_add_f32_e32 v3, v3, v4
	v_mul_f32_e32 v4, v175, v148
	v_fma_f32 v4, v174, v145, -v4
	v_add_f32_e32 v3, v3, v4
	v_mul_f32_e32 v4, v177, v146
	v_fma_f32 v4, v176, v144, -v4
	v_add_f32_e32 v3, v3, v4
	v_mul_f32_e32 v4, v179, v151
	v_fma_f32 v4, v178, v12, -v4
	v_add_f32_e32 v3, v3, v4
	v_mul_f32_e32 v4, v181, v13
	v_fma_f32 v4, v180, v11, -v4
	v_add_f32_e32 v3, v3, v4
	v_mul_f32_e32 v4, v183, v8
	v_fma_f32 v4, v182, v7, -v4
	v_add_f32_e32 v3, v3, v4
	v_mul_f32_e32 v4, v185, v10
	v_fma_f32 v4, v184, v9, -v4
	v_add_f32_e32 v3, v3, v4
	v_mul_f32_e32 v4, v187, v15
	v_fma_f32 v4, v186, v14, -v4
	v_add_f32_e32 v3, v3, v4
	v_mul_f32_e32 v4, v189, v17
	v_fma_f32 v4, v188, v16, -v4
	v_add_f32_e32 v3, v3, v4
	v_mul_f32_e32 v4, v191, v19
	v_fma_f32 v4, v190, v18, -v4
	v_add_f32_e32 v3, v3, v4
	v_mul_f32_e32 v4, v193, v21
	v_fma_f32 v4, v192, v20, -v4
	v_add_f32_e32 v3, v3, v4
	v_mul_f32_e32 v4, v195, v23
	v_fma_f32 v4, v194, v22, -v4
	v_add_f32_e32 v3, v3, v4
	v_mul_f32_e32 v4, v197, v25
	v_fma_f32 v4, v196, v24, -v4
	v_add_f32_e32 v3, v3, v4
	v_mul_f32_e32 v4, v199, v28
	v_fma_f32 v4, v198, v29, -v4
	v_add_f32_e32 v3, v3, v4
	v_mul_f32_e32 v4, v201, v31
	v_fma_f32 v4, v200, v30, -v4
	v_add_f32_e32 v3, v3, v4
	v_mul_f32_e32 v4, v203, v32
	v_fma_f32 v4, v202, v27, -v4
	v_add_f32_e32 v3, v3, v4
	s_waitcnt vmcnt(51) lgkmcnt(1)
	v_mul_f32_e32 v4, v205, v34
	v_mul_f32_e32 v73, v204, v34
	s_waitcnt vmcnt(50)
	v_fma_f32 v4, v204, v35, -v4
	v_fmac_f32_e32 v73, v205, v35
	v_add_f32_e32 v3, v3, v4
	s_waitcnt vmcnt(48)
	v_mul_f32_e32 v4, v207, v37
	v_add_f32_e32 v26, v26, v73
	v_mul_f32_e32 v73, v206, v37
	ds_read_b128 v[212:215], v118 offset:752
	ds_read_b128 v[216:219], v118 offset:768
	v_fma_f32 v4, v206, v36, -v4
	v_fmac_f32_e32 v73, v207, v36
	v_add_f32_e32 v3, v3, v4
	s_waitcnt vmcnt(46) lgkmcnt(2)
	v_mul_f32_e32 v4, v209, v39
	v_add_f32_e32 v26, v26, v73
	v_mul_f32_e32 v73, v208, v39
	v_fma_f32 v4, v208, v38, -v4
	v_fmac_f32_e32 v73, v209, v38
	v_add_f32_e32 v3, v3, v4
	s_waitcnt vmcnt(44)
	v_mul_f32_e32 v4, v211, v40
	v_add_f32_e32 v26, v26, v73
	v_mul_f32_e32 v73, v210, v40
	v_fma_f32 v4, v210, v33, -v4
	v_fmac_f32_e32 v73, v211, v33
	v_add_f32_e32 v3, v3, v4
	s_waitcnt vmcnt(42) lgkmcnt(1)
	v_mul_f32_e32 v4, v213, v43
	v_add_f32_e32 v26, v26, v73
	v_mul_f32_e32 v73, v212, v43
	v_fma_f32 v4, v212, v42, -v4
	v_fmac_f32_e32 v73, v213, v42
	v_add_f32_e32 v3, v3, v4
	s_waitcnt vmcnt(41)
	v_mul_f32_e32 v4, v215, v44
	v_add_f32_e32 v26, v26, v73
	v_mul_f32_e32 v73, v214, v44
	ds_read_b128 v[220:223], v118 offset:784
	ds_read_b128 v[224:227], v118 offset:800
	s_waitcnt vmcnt(38)
	v_fma_f32 v4, v214, v47, -v4
	v_fmac_f32_e32 v73, v215, v47
	v_add_f32_e32 v3, v3, v4
	s_waitcnt lgkmcnt(2)
	v_mul_f32_e32 v4, v217, v46
	v_add_f32_e32 v26, v26, v73
	v_mul_f32_e32 v73, v216, v46
	v_fma_f32 v4, v216, v45, -v4
	v_fmac_f32_e32 v73, v217, v45
	v_add_f32_e32 v3, v3, v4
	s_waitcnt vmcnt(36)
	v_mul_f32_e32 v4, v219, v48
	v_add_f32_e32 v26, v26, v73
	v_mul_f32_e32 v73, v218, v48
	v_fma_f32 v4, v218, v41, -v4
	v_fmac_f32_e32 v73, v219, v41
	v_add_f32_e32 v3, v3, v4
	s_waitcnt vmcnt(34) lgkmcnt(1)
	v_mul_f32_e32 v4, v221, v51
	v_add_f32_e32 v26, v26, v73
	v_mul_f32_e32 v73, v220, v51
	v_fma_f32 v4, v220, v50, -v4
	v_fmac_f32_e32 v73, v221, v50
	v_add_f32_e32 v3, v3, v4
	s_waitcnt vmcnt(33)
	v_mul_f32_e32 v4, v223, v52
	v_add_f32_e32 v26, v26, v73
	v_mul_f32_e32 v73, v222, v52
	ds_read_b128 v[228:231], v118 offset:816
	ds_read_b128 v[232:235], v118 offset:832
	s_waitcnt vmcnt(30)
	v_fma_f32 v4, v222, v55, -v4
	v_fmac_f32_e32 v73, v223, v55
	v_add_f32_e32 v3, v3, v4
	s_waitcnt lgkmcnt(2)
	;; [unrolled: 31-line block ×4, first 2 shown]
	v_mul_f32_e32 v4, v241, v69
	v_add_f32_e32 v26, v26, v73
	v_mul_f32_e32 v73, v240, v69
	v_fma_f32 v4, v240, v68, -v4
	v_fmac_f32_e32 v73, v241, v68
	v_add_f32_e32 v3, v3, v4
	s_waitcnt vmcnt(12)
	v_mul_f32_e32 v4, v243, v72
	v_add_f32_e32 v26, v26, v73
	v_mul_f32_e32 v73, v242, v72
	v_fma_f32 v4, v242, v71, -v4
	v_fmac_f32_e32 v73, v243, v71
	v_add_f32_e32 v3, v3, v4
	s_waitcnt vmcnt(10) lgkmcnt(1)
	v_mul_f32_e32 v4, v245, v75
	v_add_f32_e32 v26, v26, v73
	v_mul_f32_e32 v73, v244, v75
	v_fma_f32 v4, v244, v74, -v4
	v_fmac_f32_e32 v73, v245, v74
	v_add_f32_e32 v3, v3, v4
	s_waitcnt vmcnt(9)
	v_mul_f32_e32 v4, v247, v76
	v_add_f32_e32 v26, v26, v73
	v_mul_f32_e32 v73, v246, v76
	ds_read_b128 v[252:255], v118 offset:912
	s_waitcnt vmcnt(6)
	v_fma_f32 v4, v246, v79, -v4
	v_fmac_f32_e32 v73, v247, v79
	v_add_f32_e32 v3, v3, v4
	s_waitcnt lgkmcnt(1)
	v_mul_f32_e32 v4, v249, v78
	v_add_f32_e32 v26, v26, v73
	v_mul_f32_e32 v73, v248, v78
	v_fma_f32 v4, v248, v77, -v4
	v_fmac_f32_e32 v73, v249, v77
	v_add_f32_e32 v3, v3, v4
	s_waitcnt vmcnt(4)
	v_mul_f32_e32 v4, v251, v81
	v_add_f32_e32 v26, v26, v73
	v_mul_f32_e32 v73, v250, v81
	v_fma_f32 v4, v250, v80, -v4
	v_fmac_f32_e32 v73, v251, v80
	v_add_f32_e32 v3, v3, v4
	s_waitcnt vmcnt(3) lgkmcnt(0)
	v_mul_f32_e32 v4, v253, v82
	v_add_f32_e32 v26, v26, v73
	v_mul_f32_e32 v73, v252, v82
	s_waitcnt vmcnt(0)
	v_fma_f32 v4, v252, v85, -v4
	v_fmac_f32_e32 v73, v253, v85
	v_add_f32_e32 v3, v3, v4
	v_mul_f32_e32 v4, v255, v84
	v_add_f32_e32 v26, v26, v73
	v_mul_f32_e32 v73, v254, v84
	v_fma_f32 v4, v254, v83, -v4
	v_fmac_f32_e32 v73, v255, v83
	v_add_f32_e32 v3, v3, v4
	v_add_f32_e32 v26, v26, v73
	v_sub_f32_e32 v3, v121, v3
	v_sub_f32_e32 v4, v122, v26
	buffer_store_dword v3, off, s[0:3], 0 offset:24
	buffer_store_dword v4, off, s[0:3], 0 offset:28
	s_and_saveexec_b64 s[4:5], vcc
	s_cbranch_execz .LBB121_357
; %bb.356:
	buffer_load_dword v3, off, s[0:3], 0 offset:16
	buffer_load_dword v4, off, s[0:3], 0 offset:20
	v_mov_b32_e32 v5, 0
	buffer_store_dword v5, off, s[0:3], 0 offset:16
	buffer_store_dword v5, off, s[0:3], 0 offset:20
	s_waitcnt vmcnt(2)
	ds_write_b64 v117, v[3:4]
.LBB121_357:
	s_or_b64 exec, exec, s[4:5]
	s_waitcnt lgkmcnt(0)
	; wave barrier
	buffer_load_dword v127, off, s[0:3], 0 offset:28
	buffer_load_dword v126, off, s[0:3], 0 offset:36
	;; [unrolled: 1-line block ×40, first 2 shown]
	v_mov_b32_e32 v118, 0
	buffer_load_dword v18, off, s[0:3], 0 offset:176
	buffer_load_dword v19, off, s[0:3], 0 offset:180
	;; [unrolled: 1-line block ×12, first 2 shown]
	ds_read2_b64 v[3:6], v118 offset0:61 offset1:62
	ds_read2_b64 v[158:161], v118 offset0:63 offset1:64
	;; [unrolled: 1-line block ×6, first 2 shown]
	buffer_load_dword v31, off, s[0:3], 0 offset:224
	buffer_load_dword v32, off, s[0:3], 0 offset:228
	ds_read2_b64 v[178:181], v118 offset0:73 offset1:74
	v_cmp_lt_u32_e32 vcc, 1, v0
	s_waitcnt vmcnt(53) lgkmcnt(6)
	v_mul_f32_e32 v7, v3, v127
	s_waitcnt vmcnt(52)
	v_mul_f32_e32 v8, v5, v126
	s_waitcnt vmcnt(51) lgkmcnt(5)
	v_mul_f32_e32 v9, v158, v125
	s_waitcnt vmcnt(50)
	v_mul_f32_e32 v10, v160, v124
	;; [unrolled: 4-line block ×5, first 2 shown]
	s_waitcnt vmcnt(43) lgkmcnt(1)
	v_mul_f32_e32 v30, v174, v131
	s_waitcnt vmcnt(42)
	v_fmac_f32_e32 v9, v159, v138
	s_waitcnt vmcnt(41)
	v_fmac_f32_e32 v8, v6, v141
	;; [unrolled: 2-line block ×3, first 2 shown]
	v_add_f32_e32 v7, 0, v7
	v_add_f32_e32 v7, v7, v8
	;; [unrolled: 1-line block ×3, first 2 shown]
	s_waitcnt vmcnt(36)
	v_fmac_f32_e32 v10, v161, v142
	v_fmac_f32_e32 v11, v163, v140
	v_add_f32_e32 v7, v7, v10
	v_fmac_f32_e32 v12, v165, v137
	v_add_f32_e32 v7, v7, v11
	;; [unrolled: 2-line block ×3, first 2 shown]
	s_waitcnt vmcnt(32)
	v_fmac_f32_e32 v14, v169, v139
	v_add_f32_e32 v7, v7, v13
	v_fmac_f32_e32 v15, v171, v136
	v_add_f32_e32 v7, v7, v14
	v_fmac_f32_e32 v16, v173, v133
	v_add_f32_e32 v7, v7, v15
	v_add_f32_e32 v7, v7, v16
	v_fmac_f32_e32 v30, v175, v132
	v_add_f32_e32 v7, v7, v30
	buffer_load_dword v30, off, s[0:3], 0 offset:232
	buffer_load_dword v33, off, s[0:3], 0 offset:236
	ds_read2_b64 v[182:185], v118 offset0:75 offset1:76
	buffer_load_dword v34, off, s[0:3], 0 offset:240
	buffer_load_dword v35, off, s[0:3], 0 offset:244
	ds_read2_b64 v[186:189], v118 offset0:77 offset1:78
	;; [unrolled: 3-line block ×3, first 2 shown]
	buffer_load_dword v38, off, s[0:3], 0 offset:260
	buffer_load_dword v39, off, s[0:3], 0 offset:256
	buffer_load_dword v40, off, s[0:3], 0 offset:264
	buffer_load_dword v41, off, s[0:3], 0 offset:268
	ds_read2_b64 v[194:197], v118 offset0:81 offset1:82
	ds_read2_b64 v[198:201], v118 offset0:83 offset1:84
	buffer_load_dword v42, off, s[0:3], 0 offset:272
	buffer_load_dword v43, off, s[0:3], 0 offset:276
	;; [unrolled: 1-line block ×10, first 2 shown]
	ds_read2_b64 v[202:205], v118 offset0:85 offset1:86
	buffer_load_dword v52, off, s[0:3], 0 offset:312
	buffer_load_dword v53, off, s[0:3], 0 offset:316
	;; [unrolled: 1-line block ×6, first 2 shown]
	ds_read2_b64 v[206:209], v118 offset0:87 offset1:88
	buffer_load_dword v58, off, s[0:3], 0 offset:336
	buffer_load_dword v59, off, s[0:3], 0 offset:340
	;; [unrolled: 1-line block ×8, first 2 shown]
	v_mul_f32_e32 v4, v4, v127
	buffer_load_dword v66, off, s[0:3], 0 offset:368
	buffer_load_dword v67, off, s[0:3], 0 offset:372
	v_fma_f32 v3, v3, v143, -v4
	v_mul_f32_e32 v4, v6, v126
	v_add_f32_e32 v3, 0, v3
	v_fma_f32 v4, v5, v141, -v4
	v_add_f32_e32 v3, v3, v4
	v_mul_f32_e32 v4, v159, v125
	v_fma_f32 v4, v158, v138, -v4
	v_add_f32_e32 v3, v3, v4
	v_mul_f32_e32 v4, v161, v124
	ds_read2_b64 v[210:213], v118 offset0:89 offset1:90
	buffer_load_dword v68, off, s[0:3], 0 offset:376
	buffer_load_dword v69, off, s[0:3], 0 offset:380
	;; [unrolled: 1-line block ×6, first 2 shown]
	v_fma_f32 v4, v160, v142, -v4
	v_add_f32_e32 v3, v3, v4
	v_mul_f32_e32 v4, v163, v123
	v_fma_f32 v4, v162, v140, -v4
	ds_read2_b64 v[214:217], v118 offset0:91 offset1:92
	buffer_load_dword v74, off, s[0:3], 0 offset:400
	buffer_load_dword v75, off, s[0:3], 0 offset:404
	v_add_f32_e32 v3, v3, v4
	v_mul_f32_e32 v4, v165, v122
	v_fma_f32 v4, v164, v137, -v4
	v_add_f32_e32 v3, v3, v4
	v_mul_f32_e32 v4, v167, v121
	v_fma_f32 v4, v166, v134, -v4
	;; [unrolled: 3-line block ×3, first 2 shown]
	buffer_load_dword v76, off, s[0:3], 0 offset:408
	buffer_load_dword v77, off, s[0:3], 0 offset:412
	;; [unrolled: 1-line block ×6, first 2 shown]
	v_add_f32_e32 v3, v3, v4
	v_mul_f32_e32 v4, v171, v129
	v_fma_f32 v4, v170, v136, -v4
	s_waitcnt vmcnt(62)
	v_mul_f32_e32 v8, v176, v135
	v_add_f32_e32 v3, v3, v4
	v_mul_f32_e32 v4, v173, v130
	v_fmac_f32_e32 v8, v177, v151
	v_fma_f32 v4, v172, v133, -v4
	v_add_f32_e32 v7, v7, v8
	s_waitcnt lgkmcnt(9)
	v_mul_f32_e32 v8, v178, v149
	v_add_f32_e32 v3, v3, v4
	v_mul_f32_e32 v4, v175, v131
	v_fmac_f32_e32 v8, v179, v147
	buffer_load_dword v82, off, s[0:3], 0 offset:432
	buffer_load_dword v83, off, s[0:3], 0 offset:436
	v_fma_f32 v4, v174, v132, -v4
	v_add_f32_e32 v7, v7, v8
	v_mul_f32_e32 v8, v180, v148
	v_add_f32_e32 v3, v3, v4
	v_mul_f32_e32 v4, v177, v135
	v_fmac_f32_e32 v8, v181, v146
	v_fma_f32 v4, v176, v151, -v4
	v_add_f32_e32 v7, v7, v8
	s_waitcnt lgkmcnt(8)
	v_mul_f32_e32 v8, v182, v145
	v_add_f32_e32 v3, v3, v4
	v_mul_f32_e32 v4, v179, v149
	v_fmac_f32_e32 v8, v183, v144
	v_fma_f32 v4, v178, v147, -v4
	v_add_f32_e32 v7, v7, v8
	v_mul_f32_e32 v8, v184, v150
	v_add_f32_e32 v3, v3, v4
	v_mul_f32_e32 v4, v181, v148
	v_fmac_f32_e32 v8, v185, v17
	buffer_load_dword v84, off, s[0:3], 0 offset:440
	buffer_load_dword v85, off, s[0:3], 0 offset:444
	;; [unrolled: 1-line block ×6, first 2 shown]
	v_fma_f32 v4, v180, v146, -v4
	v_add_f32_e32 v7, v7, v8
	s_waitcnt lgkmcnt(7)
	v_mul_f32_e32 v8, v186, v153
	v_add_f32_e32 v3, v3, v4
	v_mul_f32_e32 v4, v183, v145
	v_fmac_f32_e32 v8, v187, v152
	v_fma_f32 v4, v182, v144, -v4
	v_add_f32_e32 v7, v7, v8
	v_mul_f32_e32 v8, v188, v155
	v_add_f32_e32 v3, v3, v4
	v_mul_f32_e32 v4, v185, v150
	v_fmac_f32_e32 v8, v189, v154
	v_fma_f32 v4, v184, v17, -v4
	v_add_f32_e32 v7, v7, v8
	s_waitcnt lgkmcnt(6)
	v_mul_f32_e32 v8, v190, v157
	v_add_f32_e32 v3, v3, v4
	v_mul_f32_e32 v4, v187, v153
	v_fmac_f32_e32 v8, v191, v156
	v_fma_f32 v4, v186, v152, -v4
	v_add_f32_e32 v7, v7, v8
	v_mul_f32_e32 v8, v192, v19
	v_add_f32_e32 v3, v3, v4
	v_mul_f32_e32 v4, v189, v155
	v_fmac_f32_e32 v8, v193, v18
	v_fma_f32 v4, v188, v154, -v4
	v_add_f32_e32 v7, v7, v8
	s_waitcnt vmcnt(62) lgkmcnt(5)
	v_mul_f32_e32 v8, v194, v21
	v_add_f32_e32 v3, v3, v4
	v_mul_f32_e32 v4, v191, v157
	v_fmac_f32_e32 v8, v195, v20
	v_fma_f32 v4, v190, v156, -v4
	v_add_f32_e32 v7, v7, v8
	v_mul_f32_e32 v8, v196, v23
	v_add_f32_e32 v3, v3, v4
	v_mul_f32_e32 v4, v193, v19
	v_fmac_f32_e32 v8, v197, v22
	v_fma_f32 v4, v192, v18, -v4
	v_add_f32_e32 v7, v7, v8
	s_waitcnt lgkmcnt(4)
	v_mul_f32_e32 v8, v198, v25
	v_add_f32_e32 v3, v3, v4
	v_mul_f32_e32 v4, v195, v21
	v_fmac_f32_e32 v8, v199, v24
	v_fma_f32 v4, v194, v20, -v4
	v_add_f32_e32 v7, v7, v8
	v_mul_f32_e32 v8, v200, v27
	v_add_f32_e32 v3, v3, v4
	v_mul_f32_e32 v4, v197, v23
	v_fmac_f32_e32 v8, v201, v26
	v_fma_f32 v4, v196, v22, -v4
	v_add_f32_e32 v7, v7, v8
	s_waitcnt vmcnt(60) lgkmcnt(3)
	v_mul_f32_e32 v8, v202, v29
	v_add_f32_e32 v3, v3, v4
	v_mul_f32_e32 v4, v199, v25
	v_fmac_f32_e32 v8, v203, v28
	v_fma_f32 v4, v198, v24, -v4
	v_add_f32_e32 v7, v7, v8
	s_waitcnt vmcnt(58)
	v_mul_f32_e32 v8, v204, v32
	v_add_f32_e32 v3, v3, v4
	v_mul_f32_e32 v4, v201, v27
	v_fmac_f32_e32 v8, v205, v31
	v_fma_f32 v4, v200, v26, -v4
	v_add_f32_e32 v7, v7, v8
	s_waitcnt vmcnt(56) lgkmcnt(2)
	v_mul_f32_e32 v8, v206, v33
	v_add_f32_e32 v3, v3, v4
	v_mul_f32_e32 v4, v203, v29
	v_fmac_f32_e32 v8, v207, v30
	v_fma_f32 v4, v202, v28, -v4
	v_add_f32_e32 v7, v7, v8
	s_waitcnt vmcnt(54)
	;; [unrolled: 14-line block ×3, first 2 shown]
	v_mul_f32_e32 v8, v212, v38
	v_add_f32_e32 v3, v3, v4
	v_mul_f32_e32 v4, v209, v35
	s_waitcnt vmcnt(50)
	v_fmac_f32_e32 v8, v213, v39
	ds_read2_b64 v[218:221], v118 offset0:93 offset1:94
	ds_read2_b64 v[222:225], v118 offset0:95 offset1:96
	v_fma_f32 v4, v208, v34, -v4
	v_add_f32_e32 v7, v7, v8
	s_waitcnt vmcnt(48) lgkmcnt(2)
	v_mul_f32_e32 v8, v214, v41
	v_add_f32_e32 v3, v3, v4
	v_mul_f32_e32 v4, v211, v37
	v_fmac_f32_e32 v8, v215, v40
	v_fma_f32 v4, v210, v36, -v4
	v_add_f32_e32 v7, v7, v8
	s_waitcnt vmcnt(46)
	v_mul_f32_e32 v8, v216, v43
	v_add_f32_e32 v3, v3, v4
	v_mul_f32_e32 v4, v213, v38
	v_fmac_f32_e32 v8, v217, v42
	v_fma_f32 v4, v212, v39, -v4
	v_add_f32_e32 v7, v7, v8
	s_waitcnt vmcnt(44) lgkmcnt(1)
	v_mul_f32_e32 v8, v218, v45
	v_add_f32_e32 v3, v3, v4
	v_mul_f32_e32 v4, v215, v41
	v_fmac_f32_e32 v8, v219, v44
	v_fma_f32 v4, v214, v40, -v4
	v_add_f32_e32 v7, v7, v8
	s_waitcnt vmcnt(43)
	v_mul_f32_e32 v8, v220, v46
	v_add_f32_e32 v3, v3, v4
	v_mul_f32_e32 v4, v217, v43
	s_waitcnt vmcnt(40)
	v_fmac_f32_e32 v8, v221, v49
	ds_read2_b64 v[226:229], v118 offset0:97 offset1:98
	ds_read2_b64 v[230:233], v118 offset0:99 offset1:100
	v_fma_f32 v4, v216, v42, -v4
	v_add_f32_e32 v7, v7, v8
	s_waitcnt lgkmcnt(2)
	v_mul_f32_e32 v8, v222, v48
	v_add_f32_e32 v3, v3, v4
	v_mul_f32_e32 v4, v219, v45
	v_fmac_f32_e32 v8, v223, v47
	v_fma_f32 v4, v218, v44, -v4
	v_add_f32_e32 v7, v7, v8
	s_waitcnt vmcnt(38)
	v_mul_f32_e32 v8, v224, v51
	v_add_f32_e32 v3, v3, v4
	v_mul_f32_e32 v4, v221, v46
	v_fmac_f32_e32 v8, v225, v50
	v_fma_f32 v4, v220, v49, -v4
	v_add_f32_e32 v7, v7, v8
	s_waitcnt vmcnt(36) lgkmcnt(1)
	v_mul_f32_e32 v8, v226, v53
	v_add_f32_e32 v3, v3, v4
	v_mul_f32_e32 v4, v223, v48
	v_fmac_f32_e32 v8, v227, v52
	v_fma_f32 v4, v222, v47, -v4
	v_add_f32_e32 v7, v7, v8
	s_waitcnt vmcnt(35)
	v_mul_f32_e32 v8, v228, v54
	v_add_f32_e32 v3, v3, v4
	v_mul_f32_e32 v4, v225, v51
	s_waitcnt vmcnt(32)
	v_fmac_f32_e32 v8, v229, v57
	ds_read2_b64 v[234:237], v118 offset0:101 offset1:102
	ds_read2_b64 v[238:241], v118 offset0:103 offset1:104
	v_fma_f32 v4, v224, v50, -v4
	v_add_f32_e32 v7, v7, v8
	s_waitcnt lgkmcnt(2)
	;; [unrolled: 31-line block ×3, first 2 shown]
	v_mul_f32_e32 v8, v238, v64
	v_add_f32_e32 v3, v3, v4
	v_mul_f32_e32 v4, v235, v61
	v_fmac_f32_e32 v8, v239, v63
	v_fma_f32 v4, v234, v60, -v4
	v_add_f32_e32 v7, v7, v8
	s_waitcnt vmcnt(22)
	v_mul_f32_e32 v8, v240, v67
	v_add_f32_e32 v3, v3, v4
	v_mul_f32_e32 v4, v237, v62
	v_fmac_f32_e32 v8, v241, v66
	v_fma_f32 v4, v236, v65, -v4
	v_add_f32_e32 v7, v7, v8
	s_waitcnt vmcnt(20) lgkmcnt(1)
	v_mul_f32_e32 v8, v242, v69
	v_add_f32_e32 v3, v3, v4
	v_mul_f32_e32 v4, v239, v64
	v_fmac_f32_e32 v8, v243, v68
	v_fma_f32 v4, v238, v63, -v4
	v_add_f32_e32 v7, v7, v8
	s_waitcnt vmcnt(19)
	v_mul_f32_e32 v8, v244, v70
	v_add_f32_e32 v3, v3, v4
	v_mul_f32_e32 v4, v241, v67
	s_waitcnt vmcnt(16)
	v_fmac_f32_e32 v8, v245, v73
	v_fma_f32 v4, v240, v66, -v4
	v_add_f32_e32 v7, v7, v8
	s_waitcnt lgkmcnt(0)
	v_mul_f32_e32 v8, v246, v72
	ds_read2_b64 v[250:253], v118 offset0:109 offset1:110
	v_add_f32_e32 v3, v3, v4
	v_mul_f32_e32 v4, v243, v69
	v_fmac_f32_e32 v8, v247, v71
	v_fma_f32 v4, v242, v68, -v4
	v_add_f32_e32 v7, v7, v8
	s_waitcnt vmcnt(14)
	v_mul_f32_e32 v8, v248, v75
	v_add_f32_e32 v3, v3, v4
	v_mul_f32_e32 v4, v245, v70
	v_fmac_f32_e32 v8, v249, v74
	v_fma_f32 v4, v244, v73, -v4
	v_add_f32_e32 v11, v7, v8
	ds_read2_b64 v[7:10], v118 offset0:111 offset1:112
	v_add_f32_e32 v3, v3, v4
	v_mul_f32_e32 v4, v247, v72
	s_waitcnt vmcnt(12) lgkmcnt(1)
	v_mul_f32_e32 v12, v250, v77
	v_fma_f32 v4, v246, v71, -v4
	v_fmac_f32_e32 v12, v251, v76
	v_add_f32_e32 v3, v3, v4
	v_mul_f32_e32 v4, v249, v75
	v_add_f32_e32 v11, v11, v12
	s_waitcnt vmcnt(11)
	v_mul_f32_e32 v12, v252, v78
	v_fma_f32 v4, v248, v74, -v4
	s_waitcnt vmcnt(8)
	v_fmac_f32_e32 v12, v253, v81
	v_add_f32_e32 v3, v3, v4
	v_mul_f32_e32 v4, v251, v77
	v_add_f32_e32 v11, v11, v12
	s_waitcnt lgkmcnt(0)
	v_mul_f32_e32 v12, v7, v80
	v_fma_f32 v4, v250, v76, -v4
	v_fmac_f32_e32 v12, v8, v79
	v_add_f32_e32 v3, v3, v4
	v_mul_f32_e32 v4, v253, v78
	v_add_f32_e32 v15, v11, v12
	ds_read2_b64 v[11:14], v118 offset0:113 offset1:114
	v_fma_f32 v4, v252, v81, -v4
	v_add_f32_e32 v3, v3, v4
	v_mul_f32_e32 v4, v8, v80
	s_waitcnt vmcnt(6)
	v_mul_f32_e32 v16, v9, v83
	v_fma_f32 v4, v7, v79, -v4
	v_fmac_f32_e32 v16, v10, v82
	v_add_f32_e32 v3, v3, v4
	v_mul_f32_e32 v4, v10, v83
	v_add_f32_e32 v88, v15, v16
	ds_read_b64 v[15:16], v118 offset:920
	v_fma_f32 v4, v9, v82, -v4
	v_add_f32_e32 v3, v3, v4
	s_waitcnt vmcnt(4) lgkmcnt(1)
	v_mul_f32_e32 v4, v12, v85
	v_mul_f32_e32 v89, v11, v85
	v_fma_f32 v4, v11, v84, -v4
	v_fmac_f32_e32 v89, v12, v84
	v_add_f32_e32 v3, v3, v4
	s_waitcnt vmcnt(3)
	v_mul_f32_e32 v4, v14, v86
	v_add_f32_e32 v88, v88, v89
	v_mul_f32_e32 v89, v13, v86
	s_waitcnt vmcnt(0)
	v_fma_f32 v4, v13, v87, -v4
	v_fmac_f32_e32 v89, v14, v87
	v_add_f32_e32 v3, v3, v4
	s_waitcnt lgkmcnt(0)
	v_mul_f32_e32 v4, v16, v255
	v_add_f32_e32 v88, v88, v89
	v_mul_f32_e32 v89, v15, v255
	v_fma_f32 v4, v15, v254, -v4
	v_fmac_f32_e32 v89, v16, v254
	v_add_f32_e32 v3, v3, v4
	v_add_f32_e32 v88, v88, v89
	v_sub_f32_e32 v3, v119, v3
	v_sub_f32_e32 v4, v120, v88
	buffer_store_dword v3, off, s[0:3], 0 offset:16
	buffer_store_dword v4, off, s[0:3], 0 offset:20
	s_and_saveexec_b64 s[4:5], vcc
	s_cbranch_execz .LBB121_359
; %bb.358:
	buffer_load_dword v3, off, s[0:3], 0 offset:8
	buffer_load_dword v4, off, s[0:3], 0 offset:12
	s_waitcnt vmcnt(0)
	ds_write_b64 v117, v[3:4]
	buffer_store_dword v118, off, s[0:3], 0 offset:8
	buffer_store_dword v118, off, s[0:3], 0 offset:12
.LBB121_359:
	s_or_b64 exec, exec, s[4:5]
	s_waitcnt lgkmcnt(0)
	; wave barrier
	buffer_load_dword v127, off, s[0:3], 0 offset:20
	buffer_load_dword v126, off, s[0:3], 0 offset:28
	;; [unrolled: 1-line block ×40, first 2 shown]
	ds_read_b128 v[3:6], v118 offset:480
	ds_read_b128 v[7:10], v118 offset:496
	;; [unrolled: 1-line block ×6, first 2 shown]
	buffer_load_dword v20, off, s[0:3], 0 offset:168
	buffer_load_dword v21, off, s[0:3], 0 offset:172
	;; [unrolled: 1-line block ×14, first 2 shown]
	v_cmp_ne_u32_e32 vcc, 0, v0
	s_waitcnt vmcnt(53) lgkmcnt(5)
	v_mul_f32_e32 v15, v3, v127
	s_waitcnt vmcnt(52)
	v_mul_f32_e32 v16, v5, v126
	s_waitcnt vmcnt(51) lgkmcnt(4)
	v_mul_f32_e32 v17, v7, v125
	s_waitcnt vmcnt(50)
	v_mul_f32_e32 v18, v9, v124
	;; [unrolled: 4-line block ×5, first 2 shown]
	s_waitcnt vmcnt(43)
	v_fmac_f32_e32 v17, v8, v134
	s_waitcnt vmcnt(42)
	v_fmac_f32_e32 v16, v6, v138
	;; [unrolled: 2-line block ×3, first 2 shown]
	v_add_f32_e32 v15, 0, v15
	v_add_f32_e32 v15, v15, v16
	;; [unrolled: 1-line block ×3, first 2 shown]
	s_waitcnt vmcnt(37)
	v_fmac_f32_e32 v18, v10, v141
	v_fmac_f32_e32 v34, v12, v137
	v_add_f32_e32 v15, v15, v18
	v_fmac_f32_e32 v35, v14, v133
	v_add_f32_e32 v15, v15, v34
	;; [unrolled: 2-line block ×3, first 2 shown]
	buffer_load_dword v34, off, s[0:3], 0 offset:224
	buffer_load_dword v35, off, s[0:3], 0 offset:228
	s_waitcnt vmcnt(35)
	v_fmac_f32_e32 v37, v161, v143
	v_add_f32_e32 v15, v15, v36
	v_fmac_f32_e32 v38, v163, v139
	v_add_f32_e32 v15, v15, v37
	ds_read_b128 v[170:173], v118 offset:576
	ds_read_b128 v[174:177], v118 offset:592
	buffer_load_dword v36, off, s[0:3], 0 offset:232
	buffer_load_dword v37, off, s[0:3], 0 offset:236
	v_fmac_f32_e32 v39, v165, v135
	v_add_f32_e32 v15, v15, v38
	v_add_f32_e32 v15, v15, v39
	buffer_load_dword v38, off, s[0:3], 0 offset:240
	buffer_load_dword v39, off, s[0:3], 0 offset:244
	ds_read_b128 v[178:181], v118 offset:608
	ds_read_b128 v[182:185], v118 offset:624
	buffer_load_dword v40, off, s[0:3], 0 offset:248
	buffer_load_dword v41, off, s[0:3], 0 offset:252
	;; [unrolled: 1-line block ×4, first 2 shown]
	ds_read_b128 v[186:189], v118 offset:640
	buffer_load_dword v44, off, s[0:3], 0 offset:264
	buffer_load_dword v45, off, s[0:3], 0 offset:268
	ds_read_b128 v[190:193], v118 offset:656
	buffer_load_dword v46, off, s[0:3], 0 offset:272
	buffer_load_dword v47, off, s[0:3], 0 offset:276
	buffer_load_dword v48, off, s[0:3], 0 offset:284
	buffer_load_dword v49, off, s[0:3], 0 offset:288
	buffer_load_dword v50, off, s[0:3], 0 offset:292
	buffer_load_dword v51, off, s[0:3], 0 offset:280
	ds_read_b128 v[194:197], v118 offset:672
	buffer_load_dword v52, off, s[0:3], 0 offset:296
	buffer_load_dword v53, off, s[0:3], 0 offset:300
	ds_read_b128 v[198:201], v118 offset:688
	buffer_load_dword v54, off, s[0:3], 0 offset:304
	buffer_load_dword v55, off, s[0:3], 0 offset:308
	;; [unrolled: 1-line block ×8, first 2 shown]
	v_mul_f32_e32 v4, v4, v127
	buffer_load_dword v62, off, s[0:3], 0 offset:336
	buffer_load_dword v63, off, s[0:3], 0 offset:340
	;; [unrolled: 1-line block ×6, first 2 shown]
	v_fma_f32 v3, v3, v142, -v4
	v_mul_f32_e32 v4, v6, v126
	v_add_f32_e32 v3, 0, v3
	v_fma_f32 v4, v5, v138, -v4
	v_add_f32_e32 v3, v3, v4
	v_mul_f32_e32 v4, v8, v125
	buffer_load_dword v68, off, s[0:3], 0 offset:360
	buffer_load_dword v69, off, s[0:3], 0 offset:364
	v_fma_f32 v4, v7, v134, -v4
	v_add_f32_e32 v3, v3, v4
	v_mul_f32_e32 v4, v10, v124
	v_fma_f32 v4, v9, v141, -v4
	v_add_f32_e32 v3, v3, v4
	v_mul_f32_e32 v4, v12, v123
	v_fma_f32 v4, v11, v137, -v4
	ds_read_b128 v[202:205], v118 offset:704
	buffer_load_dword v70, off, s[0:3], 0 offset:368
	buffer_load_dword v71, off, s[0:3], 0 offset:372
	;; [unrolled: 1-line block ×6, first 2 shown]
	v_add_f32_e32 v3, v3, v4
	v_mul_f32_e32 v4, v14, v122
	v_fma_f32 v4, v13, v133, -v4
	v_add_f32_e32 v3, v3, v4
	v_mul_f32_e32 v4, v159, v121
	ds_read_b128 v[206:209], v118 offset:720
	buffer_load_dword v76, off, s[0:3], 0 offset:392
	buffer_load_dword v77, off, s[0:3], 0 offset:396
	v_fma_f32 v4, v158, v131, -v4
	v_add_f32_e32 v3, v3, v4
	v_mul_f32_e32 v4, v161, v128
	v_fma_f32 v4, v160, v143, -v4
	v_add_f32_e32 v3, v3, v4
	v_mul_f32_e32 v4, v163, v129
	v_fma_f32 v4, v162, v139, -v4
	buffer_load_dword v78, off, s[0:3], 0 offset:400
	buffer_load_dword v79, off, s[0:3], 0 offset:404
	;; [unrolled: 1-line block ×6, first 2 shown]
	v_add_f32_e32 v3, v3, v4
	v_mul_f32_e32 v4, v165, v130
	s_waitcnt vmcnt(62) lgkmcnt(10)
	v_mul_f32_e32 v16, v166, v136
	v_fma_f32 v4, v164, v135, -v4
	v_fmac_f32_e32 v16, v167, v132
	v_add_f32_e32 v3, v3, v4
	v_mul_f32_e32 v4, v167, v136
	v_add_f32_e32 v15, v15, v16
	v_mul_f32_e32 v16, v168, v140
	buffer_load_dword v84, off, s[0:3], 0 offset:424
	buffer_load_dword v85, off, s[0:3], 0 offset:428
	v_fma_f32 v4, v166, v132, -v4
	v_fmac_f32_e32 v16, v169, v150
	v_add_f32_e32 v3, v3, v4
	v_mul_f32_e32 v4, v169, v140
	v_add_f32_e32 v15, v15, v16
	s_waitcnt lgkmcnt(9)
	v_mul_f32_e32 v16, v170, v149
	v_fma_f32 v4, v168, v150, -v4
	v_fmac_f32_e32 v16, v171, v147
	v_add_f32_e32 v3, v3, v4
	v_mul_f32_e32 v4, v171, v149
	v_add_f32_e32 v15, v15, v16
	v_mul_f32_e32 v16, v172, v148
	v_fma_f32 v4, v170, v147, -v4
	v_fmac_f32_e32 v16, v173, v145
	v_add_f32_e32 v3, v3, v4
	v_mul_f32_e32 v4, v173, v148
	v_add_f32_e32 v15, v15, v16
	s_waitcnt lgkmcnt(8)
	v_mul_f32_e32 v16, v174, v146
	buffer_load_dword v86, off, s[0:3], 0 offset:432
	buffer_load_dword v87, off, s[0:3], 0 offset:436
	;; [unrolled: 1-line block ×6, first 2 shown]
	v_fma_f32 v4, v172, v145, -v4
	v_fmac_f32_e32 v16, v175, v144
	v_add_f32_e32 v3, v3, v4
	v_mul_f32_e32 v4, v175, v146
	v_add_f32_e32 v15, v15, v16
	v_mul_f32_e32 v16, v176, v151
	v_fma_f32 v4, v174, v144, -v4
	v_fmac_f32_e32 v16, v177, v19
	ds_read_b128 v[210:213], v118 offset:736
	ds_read_b128 v[214:217], v118 offset:752
	buffer_load_dword v255, off, s[0:3], 0 offset:456
	buffer_load_dword v91, off, s[0:3], 0 offset:460
	v_add_f32_e32 v3, v3, v4
	v_mul_f32_e32 v4, v177, v151
	v_add_f32_e32 v15, v15, v16
	s_waitcnt lgkmcnt(9)
	v_mul_f32_e32 v16, v178, v153
	v_fma_f32 v4, v176, v19, -v4
	v_fmac_f32_e32 v16, v179, v152
	v_add_f32_e32 v3, v3, v4
	v_mul_f32_e32 v4, v179, v153
	v_add_f32_e32 v15, v15, v16
	v_mul_f32_e32 v16, v180, v155
	v_fma_f32 v4, v178, v152, -v4
	v_fmac_f32_e32 v16, v181, v154
	v_add_f32_e32 v3, v3, v4
	v_mul_f32_e32 v4, v181, v155
	v_add_f32_e32 v15, v15, v16
	s_waitcnt lgkmcnt(8)
	v_mul_f32_e32 v16, v182, v157
	v_fma_f32 v4, v180, v154, -v4
	v_fmac_f32_e32 v16, v183, v156
	v_add_f32_e32 v3, v3, v4
	v_mul_f32_e32 v4, v183, v157
	v_add_f32_e32 v15, v15, v16
	v_mul_f32_e32 v16, v184, v21
	v_fma_f32 v4, v182, v156, -v4
	v_fmac_f32_e32 v16, v185, v20
	v_add_f32_e32 v3, v3, v4
	v_mul_f32_e32 v4, v185, v21
	v_add_f32_e32 v15, v15, v16
	s_waitcnt vmcnt(62) lgkmcnt(7)
	v_mul_f32_e32 v16, v186, v23
	v_fma_f32 v4, v184, v20, -v4
	v_fmac_f32_e32 v16, v187, v22
	v_add_f32_e32 v3, v3, v4
	v_mul_f32_e32 v4, v187, v23
	v_add_f32_e32 v15, v15, v16
	v_mul_f32_e32 v16, v188, v25
	v_fma_f32 v4, v186, v22, -v4
	v_fmac_f32_e32 v16, v189, v24
	v_add_f32_e32 v3, v3, v4
	v_mul_f32_e32 v4, v189, v25
	v_add_f32_e32 v15, v15, v16
	s_waitcnt lgkmcnt(6)
	v_mul_f32_e32 v16, v190, v27
	v_fma_f32 v4, v188, v24, -v4
	v_fmac_f32_e32 v16, v191, v26
	v_add_f32_e32 v3, v3, v4
	v_mul_f32_e32 v4, v191, v27
	v_add_f32_e32 v15, v15, v16
	v_mul_f32_e32 v16, v192, v29
	v_fma_f32 v4, v190, v26, -v4
	v_fmac_f32_e32 v16, v193, v28
	v_add_f32_e32 v3, v3, v4
	v_mul_f32_e32 v4, v193, v29
	v_add_f32_e32 v15, v15, v16
	s_waitcnt lgkmcnt(5)
	v_mul_f32_e32 v16, v194, v31
	v_fma_f32 v4, v192, v28, -v4
	v_fmac_f32_e32 v16, v195, v30
	v_add_f32_e32 v3, v3, v4
	v_mul_f32_e32 v4, v195, v31
	v_add_f32_e32 v15, v15, v16
	s_waitcnt vmcnt(60)
	v_mul_f32_e32 v16, v196, v33
	v_fma_f32 v4, v194, v30, -v4
	v_fmac_f32_e32 v16, v197, v32
	v_add_f32_e32 v3, v3, v4
	v_mul_f32_e32 v4, v197, v33
	v_add_f32_e32 v15, v15, v16
	s_waitcnt vmcnt(58) lgkmcnt(4)
	v_mul_f32_e32 v16, v198, v35
	v_fma_f32 v4, v196, v32, -v4
	v_fmac_f32_e32 v16, v199, v34
	v_add_f32_e32 v3, v3, v4
	v_mul_f32_e32 v4, v199, v35
	v_add_f32_e32 v15, v15, v16
	s_waitcnt vmcnt(56)
	v_mul_f32_e32 v16, v200, v37
	v_fma_f32 v4, v198, v34, -v4
	v_fmac_f32_e32 v16, v201, v36
	v_add_f32_e32 v3, v3, v4
	v_mul_f32_e32 v4, v201, v37
	v_add_f32_e32 v15, v15, v16
	s_waitcnt vmcnt(54) lgkmcnt(3)
	;; [unrolled: 14-line block ×4, first 2 shown]
	v_mul_f32_e32 v16, v210, v47
	v_fma_f32 v4, v208, v44, -v4
	v_fmac_f32_e32 v16, v211, v46
	v_add_f32_e32 v3, v3, v4
	v_mul_f32_e32 v4, v211, v47
	v_add_f32_e32 v15, v15, v16
	s_waitcnt vmcnt(45)
	v_mul_f32_e32 v16, v212, v48
	v_fma_f32 v4, v210, v46, -v4
	s_waitcnt vmcnt(42)
	v_fmac_f32_e32 v16, v213, v51
	ds_read_b128 v[218:221], v118 offset:768
	ds_read_b128 v[222:225], v118 offset:784
	v_add_f32_e32 v3, v3, v4
	v_mul_f32_e32 v4, v213, v48
	v_add_f32_e32 v15, v15, v16
	s_waitcnt lgkmcnt(2)
	v_mul_f32_e32 v16, v214, v50
	v_fma_f32 v4, v212, v51, -v4
	v_fmac_f32_e32 v16, v215, v49
	v_add_f32_e32 v3, v3, v4
	v_mul_f32_e32 v4, v215, v50
	v_add_f32_e32 v15, v15, v16
	s_waitcnt vmcnt(40)
	v_mul_f32_e32 v16, v216, v53
	v_fma_f32 v4, v214, v49, -v4
	v_fmac_f32_e32 v16, v217, v52
	v_add_f32_e32 v3, v3, v4
	v_mul_f32_e32 v4, v217, v53
	v_add_f32_e32 v15, v15, v16
	s_waitcnt vmcnt(38) lgkmcnt(1)
	v_mul_f32_e32 v16, v218, v55
	v_fma_f32 v4, v216, v52, -v4
	v_fmac_f32_e32 v16, v219, v54
	v_add_f32_e32 v3, v3, v4
	v_mul_f32_e32 v4, v219, v55
	v_add_f32_e32 v15, v15, v16
	s_waitcnt vmcnt(37)
	v_mul_f32_e32 v16, v220, v56
	v_fma_f32 v4, v218, v54, -v4
	s_waitcnt vmcnt(34)
	v_fmac_f32_e32 v16, v221, v59
	ds_read_b128 v[226:229], v118 offset:800
	ds_read_b128 v[230:233], v118 offset:816
	v_add_f32_e32 v3, v3, v4
	v_mul_f32_e32 v4, v221, v56
	v_add_f32_e32 v15, v15, v16
	s_waitcnt lgkmcnt(2)
	v_mul_f32_e32 v16, v222, v58
	v_fma_f32 v4, v220, v59, -v4
	v_fmac_f32_e32 v16, v223, v57
	v_add_f32_e32 v3, v3, v4
	v_mul_f32_e32 v4, v223, v58
	v_add_f32_e32 v15, v15, v16
	s_waitcnt vmcnt(32)
	v_mul_f32_e32 v16, v224, v61
	v_fma_f32 v4, v222, v57, -v4
	v_fmac_f32_e32 v16, v225, v60
	v_add_f32_e32 v3, v3, v4
	v_mul_f32_e32 v4, v225, v61
	v_add_f32_e32 v15, v15, v16
	s_waitcnt vmcnt(30) lgkmcnt(1)
	;; [unrolled: 31-line block ×4, first 2 shown]
	v_mul_f32_e32 v16, v242, v79
	v_fma_f32 v4, v240, v76, -v4
	v_fmac_f32_e32 v16, v243, v78
	v_add_f32_e32 v3, v3, v4
	v_mul_f32_e32 v4, v243, v79
	v_add_f32_e32 v15, v15, v16
	s_waitcnt vmcnt(13)
	v_mul_f32_e32 v16, v244, v80
	v_fma_f32 v4, v242, v78, -v4
	s_waitcnt vmcnt(10)
	v_fmac_f32_e32 v16, v245, v83
	v_add_f32_e32 v3, v3, v4
	v_mul_f32_e32 v4, v245, v80
	v_add_f32_e32 v15, v15, v16
	s_waitcnt lgkmcnt(0)
	v_mul_f32_e32 v16, v246, v82
	ds_read_b128 v[250:253], v118 offset:896
	v_fma_f32 v4, v244, v83, -v4
	v_fmac_f32_e32 v16, v247, v81
	v_add_f32_e32 v3, v3, v4
	v_mul_f32_e32 v4, v247, v82
	v_add_f32_e32 v15, v15, v16
	s_waitcnt vmcnt(8)
	v_mul_f32_e32 v16, v248, v85
	v_fma_f32 v4, v246, v81, -v4
	v_fmac_f32_e32 v16, v249, v84
	v_add_f32_e32 v3, v3, v4
	v_mul_f32_e32 v4, v249, v85
	v_add_f32_e32 v92, v15, v16
	ds_read_b128 v[15:18], v118 offset:912
	v_fma_f32 v4, v248, v84, -v4
	v_add_f32_e32 v3, v3, v4
	s_waitcnt vmcnt(6) lgkmcnt(1)
	v_mul_f32_e32 v4, v251, v87
	v_mul_f32_e32 v118, v250, v87
	v_fma_f32 v4, v250, v86, -v4
	v_fmac_f32_e32 v118, v251, v86
	v_add_f32_e32 v3, v3, v4
	s_waitcnt vmcnt(5)
	v_mul_f32_e32 v4, v253, v88
	v_add_f32_e32 v92, v92, v118
	v_mul_f32_e32 v118, v252, v88
	s_waitcnt vmcnt(2)
	v_fma_f32 v4, v252, v254, -v4
	v_fmac_f32_e32 v118, v253, v254
	v_add_f32_e32 v3, v3, v4
	s_waitcnt lgkmcnt(0)
	v_mul_f32_e32 v4, v16, v90
	v_add_f32_e32 v92, v92, v118
	v_mul_f32_e32 v118, v15, v90
	v_fma_f32 v4, v15, v89, -v4
	v_fmac_f32_e32 v118, v16, v89
	v_add_f32_e32 v3, v3, v4
	s_waitcnt vmcnt(0)
	v_mul_f32_e32 v4, v18, v91
	v_add_f32_e32 v92, v92, v118
	v_mul_f32_e32 v118, v17, v91
	v_fma_f32 v4, v17, v255, -v4
	v_fmac_f32_e32 v118, v18, v255
	v_add_f32_e32 v3, v3, v4
	v_add_f32_e32 v92, v92, v118
	v_sub_f32_e32 v3, v119, v3
	v_sub_f32_e32 v4, v120, v92
	buffer_store_dword v3, off, s[0:3], 0 offset:8
	buffer_store_dword v4, off, s[0:3], 0 offset:12
	s_and_saveexec_b64 s[4:5], vcc
	s_cbranch_execz .LBB121_361
; %bb.360:
	buffer_load_dword v3, off, s[0:3], 0
	buffer_load_dword v4, off, s[0:3], 0 offset:4
	v_mov_b32_e32 v0, 0
	buffer_store_dword v0, off, s[0:3], 0
	buffer_store_dword v0, off, s[0:3], 0 offset:4
	s_waitcnt vmcnt(2)
	ds_write_b64 v117, v[3:4]
.LBB121_361:
	s_or_b64 exec, exec, s[4:5]
	s_waitcnt lgkmcnt(0)
	; wave barrier
	buffer_load_dword v125, off, s[0:3], 0 offset:12
	buffer_load_dword v124, off, s[0:3], 0 offset:20
	;; [unrolled: 1-line block ×30, first 2 shown]
	buffer_load_dword v117, off, s[0:3], 0
	buffer_load_dword v118, off, s[0:3], 0 offset:4
	buffer_load_dword v150, off, s[0:3], 0 offset:132
	buffer_load_dword v149, off, s[0:3], 0 offset:128
	buffer_load_dword v151, off, s[0:3], 0 offset:136
	buffer_load_dword v152, off, s[0:3], 0 offset:140
	buffer_load_dword v153, off, s[0:3], 0 offset:144
	buffer_load_dword v154, off, s[0:3], 0 offset:148
	buffer_load_dword v155, off, s[0:3], 0 offset:152
	buffer_load_dword v156, off, s[0:3], 0 offset:156
	buffer_load_dword v157, off, s[0:3], 0 offset:160
	buffer_load_dword v158, off, s[0:3], 0 offset:164
	buffer_load_dword v159, off, s[0:3], 0 offset:168
	buffer_load_dword v160, off, s[0:3], 0 offset:172
	buffer_load_dword v161, off, s[0:3], 0 offset:176
	buffer_load_dword v162, off, s[0:3], 0 offset:180
	buffer_load_dword v163, off, s[0:3], 0 offset:184
	buffer_load_dword v164, off, s[0:3], 0 offset:188
	buffer_load_dword v165, off, s[0:3], 0 offset:192
	buffer_load_dword v166, off, s[0:3], 0 offset:196
	buffer_load_dword v167, off, s[0:3], 0 offset:200
	buffer_load_dword v168, off, s[0:3], 0 offset:204
	v_mov_b32_e32 v0, 0
	ds_read2_b64 v[3:6], v0 offset0:59 offset1:60
	ds_read2_b64 v[7:10], v0 offset0:61 offset1:62
	;; [unrolled: 1-line block ×6, first 2 shown]
	buffer_load_dword v31, off, s[0:3], 0 offset:212
	buffer_load_dword v32, off, s[0:3], 0 offset:208
	;; [unrolled: 1-line block ×4, first 2 shown]
	ds_read2_b64 v[177:180], v0 offset0:71 offset1:72
	buffer_load_dword v35, off, s[0:3], 0 offset:224
	buffer_load_dword v36, off, s[0:3], 0 offset:228
	;; [unrolled: 1-line block ×3, first 2 shown]
	ds_read2_b64 v[181:184], v0 offset0:73 offset1:74
	ds_read2_b64 v[185:188], v0 offset0:75 offset1:76
	;; [unrolled: 1-line block ×3, first 2 shown]
	buffer_load_dword v38, off, s[0:3], 0 offset:232
	buffer_load_dword v39, off, s[0:3], 0 offset:240
	;; [unrolled: 1-line block ×5, first 2 shown]
	ds_read2_b64 v[193:196], v0 offset0:79 offset1:80
	buffer_load_dword v43, off, s[0:3], 0 offset:256
	buffer_load_dword v44, off, s[0:3], 0 offset:260
	ds_read2_b64 v[197:200], v0 offset0:81 offset1:82
	buffer_load_dword v45, off, s[0:3], 0 offset:264
	buffer_load_dword v46, off, s[0:3], 0 offset:268
	;; [unrolled: 3-line block ×3, first 2 shown]
	buffer_load_dword v49, off, s[0:3], 0 offset:284
	buffer_load_dword v50, off, s[0:3], 0 offset:272
	ds_read2_b64 v[205:208], v0 offset0:85 offset1:86
	buffer_load_dword v51, off, s[0:3], 0 offset:288
	buffer_load_dword v52, off, s[0:3], 0 offset:292
	;; [unrolled: 1-line block ×16, first 2 shown]
	ds_read2_b64 v[209:212], v0 offset0:87 offset1:88
	buffer_load_dword v67, off, s[0:3], 0 offset:352
	buffer_load_dword v68, off, s[0:3], 0 offset:356
	ds_read2_b64 v[213:216], v0 offset0:89 offset1:90
	buffer_load_dword v69, off, s[0:3], 0 offset:360
	buffer_load_dword v70, off, s[0:3], 0 offset:364
	;; [unrolled: 1-line block ×16, first 2 shown]
	ds_read2_b64 v[217:220], v0 offset0:91 offset1:92
	buffer_load_dword v85, off, s[0:3], 0 offset:424
	buffer_load_dword v86, off, s[0:3], 0 offset:428
	;; [unrolled: 1-line block ×6, first 2 shown]
	ds_read2_b64 v[221:224], v0 offset0:93 offset1:94
	buffer_load_dword v91, off, s[0:3], 0 offset:452
	buffer_load_dword v92, off, s[0:3], 0 offset:456
	;; [unrolled: 1-line block ×4, first 2 shown]
	ds_read2_b64 v[225:228], v0 offset0:95 offset1:96
	ds_read2_b64 v[229:232], v0 offset0:97 offset1:98
	;; [unrolled: 1-line block ×7, first 2 shown]
	s_and_b64 vcc, exec, s[14:15]
	s_waitcnt vmcnt(62) lgkmcnt(14)
	v_mul_f32_e32 v19, v3, v125
	v_mul_f32_e32 v20, v5, v124
	;; [unrolled: 1-line block ×7, first 2 shown]
	v_fmac_f32_e32 v21, v8, v130
	v_fmac_f32_e32 v20, v6, v132
	;; [unrolled: 1-line block ×3, first 2 shown]
	v_mul_f32_e32 v4, v4, v125
	v_fma_f32 v3, v3, v135, -v4
	v_mul_f32_e32 v4, v6, v124
	v_add_f32_e32 v3, 0, v3
	v_fma_f32 v4, v5, v132, -v4
	v_add_f32_e32 v3, v3, v4
	v_mul_f32_e32 v4, v8, v123
	v_fma_f32 v4, v7, v130, -v4
	v_add_f32_e32 v3, v3, v4
	v_mul_f32_e32 v4, v10, v122
	v_fma_f32 v4, v9, v141, -v4
	v_add_f32_e32 v19, 0, v19
	v_add_f32_e32 v3, v3, v4
	v_mul_f32_e32 v4, v12, v121
	v_add_f32_e32 v19, v19, v20
	v_fma_f32 v4, v11, v140, -v4
	v_fmac_f32_e32 v22, v10, v141
	v_add_f32_e32 v19, v19, v21
	v_add_f32_e32 v3, v3, v4
	v_mul_f32_e32 v4, v14, v120
	v_fmac_f32_e32 v23, v12, v140
	v_add_f32_e32 v19, v19, v22
	v_fma_f32 v4, v13, v138, -v4
	v_fmac_f32_e32 v24, v14, v138
	v_add_f32_e32 v19, v19, v23
	v_add_f32_e32 v3, v3, v4
	v_mul_f32_e32 v4, v16, v119
	v_mul_f32_e32 v26, v17, v128
	v_fmac_f32_e32 v25, v16, v136
	v_add_f32_e32 v19, v19, v24
	v_fma_f32 v4, v15, v136, -v4
	v_mul_f32_e32 v27, v169, v127
	v_fmac_f32_e32 v26, v18, v139
	v_add_f32_e32 v19, v19, v25
	v_add_f32_e32 v3, v3, v4
	v_mul_f32_e32 v4, v18, v128
	v_mul_f32_e32 v28, v171, v126
	v_fmac_f32_e32 v27, v170, v137
	v_add_f32_e32 v19, v19, v26
	v_fma_f32 v4, v17, v139, -v4
	v_mul_f32_e32 v29, v173, v129
	v_fmac_f32_e32 v28, v172, v133
	v_add_f32_e32 v19, v19, v27
	v_add_f32_e32 v3, v3, v4
	v_mul_f32_e32 v4, v170, v127
	v_add_f32_e32 v19, v19, v28
	v_fmac_f32_e32 v29, v174, v131
	v_mul_f32_e32 v20, v175, v134
	v_fma_f32 v4, v169, v137, -v4
	v_add_f32_e32 v19, v19, v29
	v_fmac_f32_e32 v20, v176, v148
	v_add_f32_e32 v3, v3, v4
	v_mul_f32_e32 v4, v172, v126
	v_add_f32_e32 v19, v19, v20
	v_mul_f32_e32 v20, v177, v147
	v_fma_f32 v4, v171, v133, -v4
	v_fmac_f32_e32 v20, v178, v145
	v_add_f32_e32 v3, v3, v4
	v_mul_f32_e32 v4, v174, v129
	v_add_f32_e32 v19, v19, v20
	v_mul_f32_e32 v20, v179, v146
	v_fma_f32 v4, v173, v131, -v4
	;; [unrolled: 6-line block ×10, first 2 shown]
	v_fmac_f32_e32 v20, v196, v161
	v_add_f32_e32 v3, v3, v4
	v_mul_f32_e32 v4, v192, v158
	v_add_f32_e32 v19, v19, v20
	s_waitcnt lgkmcnt(13)
	v_mul_f32_e32 v20, v197, v164
	v_fma_f32 v4, v191, v157, -v4
	v_fmac_f32_e32 v20, v198, v163
	v_add_f32_e32 v3, v3, v4
	v_mul_f32_e32 v4, v194, v160
	v_add_f32_e32 v19, v19, v20
	v_mul_f32_e32 v20, v199, v166
	v_fma_f32 v4, v193, v159, -v4
	v_fmac_f32_e32 v20, v200, v165
	v_add_f32_e32 v3, v3, v4
	v_mul_f32_e32 v4, v196, v162
	v_add_f32_e32 v19, v19, v20
	s_waitcnt lgkmcnt(12)
	v_mul_f32_e32 v20, v201, v168
	v_fma_f32 v4, v195, v161, -v4
	v_fmac_f32_e32 v20, v202, v167
	v_add_f32_e32 v3, v3, v4
	v_mul_f32_e32 v4, v198, v164
	v_add_f32_e32 v19, v19, v20
	v_mul_f32_e32 v20, v203, v31
	v_fma_f32 v4, v197, v163, -v4
	v_fmac_f32_e32 v20, v204, v32
	v_add_f32_e32 v3, v3, v4
	v_mul_f32_e32 v4, v200, v166
	v_add_f32_e32 v19, v19, v20
	s_waitcnt vmcnt(60) lgkmcnt(11)
	v_mul_f32_e32 v20, v205, v34
	v_fma_f32 v4, v199, v165, -v4
	v_fmac_f32_e32 v20, v206, v33
	v_add_f32_e32 v3, v3, v4
	v_mul_f32_e32 v4, v202, v168
	v_add_f32_e32 v19, v19, v20
	s_waitcnt vmcnt(58)
	v_mul_f32_e32 v20, v207, v36
	v_fma_f32 v4, v201, v167, -v4
	v_fmac_f32_e32 v20, v208, v35
	v_add_f32_e32 v3, v3, v4
	v_mul_f32_e32 v4, v204, v31
	v_add_f32_e32 v19, v19, v20
	s_waitcnt vmcnt(57) lgkmcnt(10)
	v_mul_f32_e32 v20, v209, v37
	v_fma_f32 v4, v203, v32, -v4
	s_waitcnt vmcnt(56)
	v_fmac_f32_e32 v20, v210, v38
	v_add_f32_e32 v3, v3, v4
	v_mul_f32_e32 v4, v206, v34
	v_add_f32_e32 v19, v19, v20
	s_waitcnt vmcnt(54)
	v_mul_f32_e32 v20, v211, v40
	v_fma_f32 v4, v205, v33, -v4
	v_fmac_f32_e32 v20, v212, v39
	v_add_f32_e32 v3, v3, v4
	v_mul_f32_e32 v4, v208, v36
	v_add_f32_e32 v19, v19, v20
	s_waitcnt vmcnt(52) lgkmcnt(9)
	v_mul_f32_e32 v20, v213, v42
	v_fma_f32 v4, v207, v35, -v4
	v_fmac_f32_e32 v20, v214, v41
	v_add_f32_e32 v3, v3, v4
	v_mul_f32_e32 v4, v210, v37
	v_add_f32_e32 v19, v19, v20
	s_waitcnt vmcnt(50)
	v_mul_f32_e32 v20, v215, v44
	v_fma_f32 v4, v209, v38, -v4
	v_fmac_f32_e32 v20, v216, v43
	v_add_f32_e32 v3, v3, v4
	v_mul_f32_e32 v4, v212, v40
	v_add_f32_e32 v19, v19, v20
	s_waitcnt vmcnt(48) lgkmcnt(8)
	v_mul_f32_e32 v20, v217, v46
	v_fma_f32 v4, v211, v39, -v4
	v_fmac_f32_e32 v20, v218, v45
	v_add_f32_e32 v3, v3, v4
	v_mul_f32_e32 v4, v214, v42
	v_add_f32_e32 v19, v19, v20
	s_waitcnt vmcnt(47)
	v_mul_f32_e32 v20, v219, v47
	v_fma_f32 v4, v213, v41, -v4
	s_waitcnt vmcnt(44)
	v_fmac_f32_e32 v20, v220, v50
	v_add_f32_e32 v3, v3, v4
	v_mul_f32_e32 v4, v216, v44
	v_add_f32_e32 v19, v19, v20
	s_waitcnt lgkmcnt(7)
	v_mul_f32_e32 v20, v221, v49
	v_fma_f32 v4, v215, v43, -v4
	v_fmac_f32_e32 v20, v222, v48
	v_add_f32_e32 v3, v3, v4
	v_mul_f32_e32 v4, v218, v46
	v_add_f32_e32 v19, v19, v20
	s_waitcnt vmcnt(42)
	v_mul_f32_e32 v20, v223, v52
	v_fma_f32 v4, v217, v45, -v4
	v_fmac_f32_e32 v20, v224, v51
	v_add_f32_e32 v3, v3, v4
	v_mul_f32_e32 v4, v220, v47
	v_add_f32_e32 v19, v19, v20
	s_waitcnt vmcnt(40) lgkmcnt(6)
	v_mul_f32_e32 v20, v225, v54
	v_fma_f32 v4, v219, v50, -v4
	v_fmac_f32_e32 v20, v226, v53
	v_add_f32_e32 v3, v3, v4
	v_mul_f32_e32 v4, v222, v49
	v_add_f32_e32 v19, v19, v20
	s_waitcnt vmcnt(39)
	v_mul_f32_e32 v20, v227, v55
	v_fma_f32 v4, v221, v48, -v4
	s_waitcnt vmcnt(36)
	v_fmac_f32_e32 v20, v228, v58
	v_add_f32_e32 v3, v3, v4
	v_mul_f32_e32 v4, v224, v52
	v_add_f32_e32 v19, v19, v20
	s_waitcnt lgkmcnt(5)
	;; [unrolled: 29-line block ×4, first 2 shown]
	v_mul_f32_e32 v20, v245, v73
	v_fma_f32 v4, v239, v67, -v4
	v_fmac_f32_e32 v20, v246, v72
	v_add_f32_e32 v3, v3, v4
	v_mul_f32_e32 v4, v242, v70
	v_add_f32_e32 v19, v19, v20
	s_waitcnt vmcnt(18)
	v_mul_f32_e32 v20, v247, v76
	v_fma_f32 v4, v241, v69, -v4
	v_fmac_f32_e32 v20, v248, v75
	v_add_f32_e32 v3, v3, v4
	v_mul_f32_e32 v4, v244, v71
	v_add_f32_e32 v23, v19, v20
	ds_read2_b64 v[19:22], v0 offset0:109 offset1:110
	v_fma_f32 v4, v243, v74, -v4
	s_waitcnt vmcnt(16) lgkmcnt(1)
	v_mul_f32_e32 v24, v249, v78
	v_add_f32_e32 v3, v3, v4
	v_mul_f32_e32 v4, v246, v73
	v_fmac_f32_e32 v24, v250, v77
	v_fma_f32 v4, v245, v72, -v4
	v_add_f32_e32 v23, v23, v24
	s_waitcnt vmcnt(15)
	v_mul_f32_e32 v24, v251, v79
	v_add_f32_e32 v3, v3, v4
	v_mul_f32_e32 v4, v248, v76
	s_waitcnt vmcnt(12)
	v_fmac_f32_e32 v24, v252, v82
	v_fma_f32 v4, v247, v75, -v4
	v_add_f32_e32 v23, v23, v24
	s_waitcnt lgkmcnt(0)
	v_mul_f32_e32 v24, v19, v81
	v_add_f32_e32 v3, v3, v4
	v_mul_f32_e32 v4, v250, v78
	v_fmac_f32_e32 v24, v20, v80
	v_fma_f32 v4, v249, v77, -v4
	v_add_f32_e32 v27, v23, v24
	ds_read2_b64 v[23:26], v0 offset0:111 offset1:112
	v_add_f32_e32 v3, v3, v4
	v_mul_f32_e32 v4, v252, v79
	v_fma_f32 v4, v251, v82, -v4
	v_add_f32_e32 v3, v3, v4
	v_mul_f32_e32 v4, v20, v81
	s_waitcnt vmcnt(10)
	v_mul_f32_e32 v28, v21, v84
	v_fma_f32 v4, v19, v80, -v4
	v_fmac_f32_e32 v28, v22, v83
	v_add_f32_e32 v3, v3, v4
	v_mul_f32_e32 v4, v22, v84
	v_add_f32_e32 v94, v27, v28
	ds_read2_b64 v[27:30], v0 offset0:113 offset1:114
	s_waitcnt vmcnt(8) lgkmcnt(1)
	v_mul_f32_e32 v253, v23, v86
	v_fma_f32 v4, v21, v83, -v4
	v_fmac_f32_e32 v253, v24, v85
	v_add_f32_e32 v3, v3, v4
	v_mul_f32_e32 v4, v24, v86
	v_add_f32_e32 v94, v94, v253
	s_waitcnt vmcnt(7)
	v_mul_f32_e32 v253, v25, v87
	v_fma_f32 v4, v23, v85, -v4
	s_waitcnt vmcnt(4)
	v_fmac_f32_e32 v253, v26, v90
	v_add_f32_e32 v3, v3, v4
	v_mul_f32_e32 v4, v26, v87
	v_add_f32_e32 v94, v94, v253
	ds_read_b64 v[253:254], v0 offset:920
	v_fma_f32 v4, v25, v90, -v4
	v_add_f32_e32 v3, v3, v4
	s_waitcnt lgkmcnt(1)
	v_mul_f32_e32 v4, v28, v89
	v_mul_f32_e32 v95, v27, v89
	v_fma_f32 v4, v27, v88, -v4
	v_fmac_f32_e32 v95, v28, v88
	v_add_f32_e32 v3, v3, v4
	s_waitcnt vmcnt(3)
	v_mul_f32_e32 v4, v30, v91
	v_add_f32_e32 v94, v94, v95
	v_mul_f32_e32 v95, v29, v91
	s_waitcnt vmcnt(0)
	v_fma_f32 v4, v29, v93, -v4
	v_fmac_f32_e32 v95, v30, v93
	v_add_f32_e32 v3, v3, v4
	s_waitcnt lgkmcnt(0)
	v_mul_f32_e32 v4, v254, v255
	v_add_f32_e32 v94, v94, v95
	v_mul_f32_e32 v95, v253, v255
	v_fma_f32 v4, v253, v92, -v4
	v_fmac_f32_e32 v95, v254, v92
	v_add_f32_e32 v3, v3, v4
	v_add_f32_e32 v94, v94, v95
	v_sub_f32_e32 v3, v117, v3
	v_sub_f32_e32 v4, v118, v94
	buffer_store_dword v3, off, s[0:3], 0
	buffer_store_dword v4, off, s[0:3], 0 offset:4
	s_cbranch_vccz .LBB121_476
; %bb.362:
	global_load_dword v0, v0, s[12:13] offset:224
	s_waitcnt vmcnt(0)
	v_add_u32_e32 v0, -1, v0
	v_cmp_ne_u32_e32 vcc, 56, v0
	s_cbranch_vccz .LBB121_364
; %bb.363:
	v_lshlrev_b32_e32 v0, 3, v0
	buffer_load_dword v3, v0, s[0:3], 0 offen
	buffer_load_dword v4, v0, s[0:3], 0 offen offset:4
	buffer_load_dword v5, off, s[0:3], 0 offset:452
	buffer_load_dword v6, off, s[0:3], 0 offset:448
	s_waitcnt vmcnt(3)
	buffer_store_dword v3, off, s[0:3], 0 offset:448
	s_waitcnt vmcnt(3)
	buffer_store_dword v4, off, s[0:3], 0 offset:452
	s_waitcnt vmcnt(3)
	buffer_store_dword v5, v0, s[0:3], 0 offen offset:4
	s_waitcnt vmcnt(3)
	buffer_store_dword v6, v0, s[0:3], 0 offen
.LBB121_364:
	v_mov_b32_e32 v0, 0
	global_load_dword v3, v0, s[12:13] offset:220
	s_waitcnt vmcnt(0)
	v_add_u32_e32 v117, -1, v3
	v_cmp_eq_u32_e32 vcc, 55, v117
	s_cbranch_vccnz .LBB121_366
; %bb.365:
	v_lshlrev_b32_e32 v3, 3, v117
	buffer_load_dword v4, v3, s[0:3], 0 offen
	buffer_load_dword v5, v3, s[0:3], 0 offen offset:4
	buffer_load_dword v6, off, s[0:3], 0 offset:440
	buffer_load_dword v7, off, s[0:3], 0 offset:444
	s_waitcnt vmcnt(3)
	buffer_store_dword v4, off, s[0:3], 0 offset:440
	s_waitcnt vmcnt(3)
	buffer_store_dword v5, off, s[0:3], 0 offset:444
	s_waitcnt vmcnt(3)
	buffer_store_dword v6, v3, s[0:3], 0 offen
	s_waitcnt vmcnt(3)
	buffer_store_dword v7, v3, s[0:3], 0 offen offset:4
.LBB121_366:
	global_load_dword v0, v0, s[12:13] offset:216
	s_waitcnt vmcnt(0)
	v_add_u32_e32 v0, -1, v0
	v_cmp_eq_u32_e32 vcc, 54, v0
	s_cbranch_vccnz .LBB121_368
; %bb.367:
	v_lshlrev_b32_e32 v0, 3, v0
	buffer_load_dword v3, v0, s[0:3], 0 offen
	buffer_load_dword v4, v0, s[0:3], 0 offen offset:4
	buffer_load_dword v5, off, s[0:3], 0 offset:436
	buffer_load_dword v6, off, s[0:3], 0 offset:432
	s_waitcnt vmcnt(3)
	buffer_store_dword v3, off, s[0:3], 0 offset:432
	s_waitcnt vmcnt(3)
	buffer_store_dword v4, off, s[0:3], 0 offset:436
	s_waitcnt vmcnt(3)
	buffer_store_dword v5, v0, s[0:3], 0 offen offset:4
	s_waitcnt vmcnt(3)
	buffer_store_dword v6, v0, s[0:3], 0 offen
.LBB121_368:
	v_mov_b32_e32 v0, 0
	global_load_dword v3, v0, s[12:13] offset:212
	s_waitcnt vmcnt(0)
	v_add_u32_e32 v117, -1, v3
	v_cmp_eq_u32_e32 vcc, 53, v117
	s_cbranch_vccnz .LBB121_370
; %bb.369:
	v_lshlrev_b32_e32 v3, 3, v117
	buffer_load_dword v4, v3, s[0:3], 0 offen
	buffer_load_dword v5, v3, s[0:3], 0 offen offset:4
	buffer_load_dword v6, off, s[0:3], 0 offset:424
	buffer_load_dword v7, off, s[0:3], 0 offset:428
	s_waitcnt vmcnt(3)
	buffer_store_dword v4, off, s[0:3], 0 offset:424
	s_waitcnt vmcnt(3)
	buffer_store_dword v5, off, s[0:3], 0 offset:428
	s_waitcnt vmcnt(3)
	buffer_store_dword v6, v3, s[0:3], 0 offen
	s_waitcnt vmcnt(3)
	buffer_store_dword v7, v3, s[0:3], 0 offen offset:4
.LBB121_370:
	global_load_dword v0, v0, s[12:13] offset:208
	s_waitcnt vmcnt(0)
	v_add_u32_e32 v0, -1, v0
	v_cmp_eq_u32_e32 vcc, 52, v0
	s_cbranch_vccnz .LBB121_372
; %bb.371:
	v_lshlrev_b32_e32 v0, 3, v0
	buffer_load_dword v3, v0, s[0:3], 0 offen
	buffer_load_dword v4, v0, s[0:3], 0 offen offset:4
	buffer_load_dword v5, off, s[0:3], 0 offset:420
	buffer_load_dword v6, off, s[0:3], 0 offset:416
	s_waitcnt vmcnt(3)
	buffer_store_dword v3, off, s[0:3], 0 offset:416
	s_waitcnt vmcnt(3)
	buffer_store_dword v4, off, s[0:3], 0 offset:420
	s_waitcnt vmcnt(3)
	buffer_store_dword v5, v0, s[0:3], 0 offen offset:4
	s_waitcnt vmcnt(3)
	buffer_store_dword v6, v0, s[0:3], 0 offen
.LBB121_372:
	;; [unrolled: 41-line block ×27, first 2 shown]
	v_mov_b32_e32 v0, 0
	global_load_dword v3, v0, s[12:13] offset:4
	s_waitcnt vmcnt(0)
	v_add_u32_e32 v117, -1, v3
	v_cmp_eq_u32_e32 vcc, 1, v117
	s_cbranch_vccnz .LBB121_474
; %bb.473:
	v_lshlrev_b32_e32 v3, 3, v117
	buffer_load_dword v4, v3, s[0:3], 0 offen
	buffer_load_dword v5, v3, s[0:3], 0 offen offset:4
	buffer_load_dword v6, off, s[0:3], 0 offset:8
	buffer_load_dword v7, off, s[0:3], 0 offset:12
	s_waitcnt vmcnt(3)
	buffer_store_dword v4, off, s[0:3], 0 offset:8
	s_waitcnt vmcnt(3)
	buffer_store_dword v5, off, s[0:3], 0 offset:12
	s_waitcnt vmcnt(3)
	buffer_store_dword v6, v3, s[0:3], 0 offen
	s_waitcnt vmcnt(3)
	buffer_store_dword v7, v3, s[0:3], 0 offen offset:4
.LBB121_474:
	global_load_dword v0, v0, s[12:13]
	s_waitcnt vmcnt(0)
	v_add_u32_e32 v0, -1, v0
	v_cmp_eq_u32_e32 vcc, 0, v0
	s_cbranch_vccnz .LBB121_476
; %bb.475:
	v_lshlrev_b32_e32 v0, 3, v0
	buffer_load_dword v3, v0, s[0:3], 0 offen
	buffer_load_dword v4, v0, s[0:3], 0 offen offset:4
	buffer_load_dword v5, off, s[0:3], 0 offset:4
	buffer_load_dword v6, off, s[0:3], 0
	s_waitcnt vmcnt(3)
	buffer_store_dword v3, off, s[0:3], 0
	s_waitcnt vmcnt(3)
	buffer_store_dword v4, off, s[0:3], 0 offset:4
	s_waitcnt vmcnt(3)
	buffer_store_dword v5, v0, s[0:3], 0 offen offset:4
	s_waitcnt vmcnt(3)
	buffer_store_dword v6, v0, s[0:3], 0 offen
.LBB121_476:
	buffer_load_dword v3, off, s[0:3], 0
	buffer_load_dword v4, off, s[0:3], 0 offset:4
	s_waitcnt vmcnt(0)
	flat_store_dwordx2 v[1:2], v[3:4]
	buffer_load_dword v0, off, s[0:3], 0 offset:8
	s_nop 0
	buffer_load_dword v1, off, s[0:3], 0 offset:12
	buffer_load_dword v2, off, s[0:3], 0 offset:464 ; 4-byte Folded Reload
	buffer_load_dword v3, off, s[0:3], 0 offset:468 ; 4-byte Folded Reload
	s_waitcnt vmcnt(0)
	flat_store_dwordx2 v[2:3], v[0:1]
	buffer_load_dword v0, off, s[0:3], 0 offset:16
	s_nop 0
	buffer_load_dword v1, off, s[0:3], 0 offset:20
	buffer_load_dword v2, off, s[0:3], 0 offset:472 ; 4-byte Folded Reload
	buffer_load_dword v3, off, s[0:3], 0 offset:476 ; 4-byte Folded Reload
	;; [unrolled: 7-line block ×47, first 2 shown]
	s_waitcnt vmcnt(0)
	flat_store_dwordx2 v[2:3], v[0:1]
	buffer_load_dword v0, off, s[0:3], 0 offset:384
	s_nop 0
	buffer_load_dword v1, off, s[0:3], 0 offset:388
	s_waitcnt vmcnt(0)
	flat_store_dwordx2 v[97:98], v[0:1]
	buffer_load_dword v0, off, s[0:3], 0 offset:392
	s_nop 0
	buffer_load_dword v1, off, s[0:3], 0 offset:396
	;; [unrolled: 5-line block ×10, first 2 shown]
	s_waitcnt vmcnt(0)
	flat_store_dwordx2 v[115:116], v[0:1]
	s_endpgm
	.section	.rodata,"a",@progbits
	.p2align	6, 0x0
	.amdhsa_kernel _ZN9rocsolver6v33100L18getri_kernel_smallILi58E19rocblas_complex_numIfEPKPS3_EEvT1_iilPiilS8_bb
		.amdhsa_group_segment_fixed_size 932
		.amdhsa_private_segment_fixed_size 848
		.amdhsa_kernarg_size 60
		.amdhsa_user_sgpr_count 6
		.amdhsa_user_sgpr_private_segment_buffer 1
		.amdhsa_user_sgpr_dispatch_ptr 0
		.amdhsa_user_sgpr_queue_ptr 0
		.amdhsa_user_sgpr_kernarg_segment_ptr 1
		.amdhsa_user_sgpr_dispatch_id 0
		.amdhsa_user_sgpr_flat_scratch_init 0
		.amdhsa_user_sgpr_private_segment_size 0
		.amdhsa_uses_dynamic_stack 0
		.amdhsa_system_sgpr_private_segment_wavefront_offset 1
		.amdhsa_system_sgpr_workgroup_id_x 1
		.amdhsa_system_sgpr_workgroup_id_y 0
		.amdhsa_system_sgpr_workgroup_id_z 0
		.amdhsa_system_sgpr_workgroup_info 0
		.amdhsa_system_vgpr_workitem_id 0
		.amdhsa_next_free_vgpr 256
		.amdhsa_next_free_sgpr 21
		.amdhsa_reserve_vcc 1
		.amdhsa_reserve_flat_scratch 0
		.amdhsa_float_round_mode_32 0
		.amdhsa_float_round_mode_16_64 0
		.amdhsa_float_denorm_mode_32 3
		.amdhsa_float_denorm_mode_16_64 3
		.amdhsa_dx10_clamp 1
		.amdhsa_ieee_mode 1
		.amdhsa_fp16_overflow 0
		.amdhsa_exception_fp_ieee_invalid_op 0
		.amdhsa_exception_fp_denorm_src 0
		.amdhsa_exception_fp_ieee_div_zero 0
		.amdhsa_exception_fp_ieee_overflow 0
		.amdhsa_exception_fp_ieee_underflow 0
		.amdhsa_exception_fp_ieee_inexact 0
		.amdhsa_exception_int_div_zero 0
	.end_amdhsa_kernel
	.section	.text._ZN9rocsolver6v33100L18getri_kernel_smallILi58E19rocblas_complex_numIfEPKPS3_EEvT1_iilPiilS8_bb,"axG",@progbits,_ZN9rocsolver6v33100L18getri_kernel_smallILi58E19rocblas_complex_numIfEPKPS3_EEvT1_iilPiilS8_bb,comdat
.Lfunc_end121:
	.size	_ZN9rocsolver6v33100L18getri_kernel_smallILi58E19rocblas_complex_numIfEPKPS3_EEvT1_iilPiilS8_bb, .Lfunc_end121-_ZN9rocsolver6v33100L18getri_kernel_smallILi58E19rocblas_complex_numIfEPKPS3_EEvT1_iilPiilS8_bb
                                        ; -- End function
	.set _ZN9rocsolver6v33100L18getri_kernel_smallILi58E19rocblas_complex_numIfEPKPS3_EEvT1_iilPiilS8_bb.num_vgpr, 256
	.set _ZN9rocsolver6v33100L18getri_kernel_smallILi58E19rocblas_complex_numIfEPKPS3_EEvT1_iilPiilS8_bb.num_agpr, 0
	.set _ZN9rocsolver6v33100L18getri_kernel_smallILi58E19rocblas_complex_numIfEPKPS3_EEvT1_iilPiilS8_bb.numbered_sgpr, 21
	.set _ZN9rocsolver6v33100L18getri_kernel_smallILi58E19rocblas_complex_numIfEPKPS3_EEvT1_iilPiilS8_bb.num_named_barrier, 0
	.set _ZN9rocsolver6v33100L18getri_kernel_smallILi58E19rocblas_complex_numIfEPKPS3_EEvT1_iilPiilS8_bb.private_seg_size, 848
	.set _ZN9rocsolver6v33100L18getri_kernel_smallILi58E19rocblas_complex_numIfEPKPS3_EEvT1_iilPiilS8_bb.uses_vcc, 1
	.set _ZN9rocsolver6v33100L18getri_kernel_smallILi58E19rocblas_complex_numIfEPKPS3_EEvT1_iilPiilS8_bb.uses_flat_scratch, 0
	.set _ZN9rocsolver6v33100L18getri_kernel_smallILi58E19rocblas_complex_numIfEPKPS3_EEvT1_iilPiilS8_bb.has_dyn_sized_stack, 0
	.set _ZN9rocsolver6v33100L18getri_kernel_smallILi58E19rocblas_complex_numIfEPKPS3_EEvT1_iilPiilS8_bb.has_recursion, 0
	.set _ZN9rocsolver6v33100L18getri_kernel_smallILi58E19rocblas_complex_numIfEPKPS3_EEvT1_iilPiilS8_bb.has_indirect_call, 0
	.section	.AMDGPU.csdata,"",@progbits
; Kernel info:
; codeLenInByte = 120876
; TotalNumSgprs: 25
; NumVgprs: 256
; ScratchSize: 848
; MemoryBound: 0
; FloatMode: 240
; IeeeMode: 1
; LDSByteSize: 932 bytes/workgroup (compile time only)
; SGPRBlocks: 3
; VGPRBlocks: 63
; NumSGPRsForWavesPerEU: 25
; NumVGPRsForWavesPerEU: 256
; Occupancy: 1
; WaveLimiterHint : 1
; COMPUTE_PGM_RSRC2:SCRATCH_EN: 1
; COMPUTE_PGM_RSRC2:USER_SGPR: 6
; COMPUTE_PGM_RSRC2:TRAP_HANDLER: 0
; COMPUTE_PGM_RSRC2:TGID_X_EN: 1
; COMPUTE_PGM_RSRC2:TGID_Y_EN: 0
; COMPUTE_PGM_RSRC2:TGID_Z_EN: 0
; COMPUTE_PGM_RSRC2:TIDIG_COMP_CNT: 0
	.section	.text._ZN9rocsolver6v33100L18getri_kernel_smallILi59E19rocblas_complex_numIfEPKPS3_EEvT1_iilPiilS8_bb,"axG",@progbits,_ZN9rocsolver6v33100L18getri_kernel_smallILi59E19rocblas_complex_numIfEPKPS3_EEvT1_iilPiilS8_bb,comdat
	.globl	_ZN9rocsolver6v33100L18getri_kernel_smallILi59E19rocblas_complex_numIfEPKPS3_EEvT1_iilPiilS8_bb ; -- Begin function _ZN9rocsolver6v33100L18getri_kernel_smallILi59E19rocblas_complex_numIfEPKPS3_EEvT1_iilPiilS8_bb
	.p2align	8
	.type	_ZN9rocsolver6v33100L18getri_kernel_smallILi59E19rocblas_complex_numIfEPKPS3_EEvT1_iilPiilS8_bb,@function
_ZN9rocsolver6v33100L18getri_kernel_smallILi59E19rocblas_complex_numIfEPKPS3_EEvT1_iilPiilS8_bb: ; @_ZN9rocsolver6v33100L18getri_kernel_smallILi59E19rocblas_complex_numIfEPKPS3_EEvT1_iilPiilS8_bb
; %bb.0:
	s_add_u32 s0, s0, s7
	s_addc_u32 s1, s1, 0
	v_cmp_gt_u32_e32 vcc, 59, v0
	s_and_saveexec_b64 s[8:9], vcc
	s_cbranch_execz .LBB122_250
; %bb.1:
	s_load_dword s18, s[4:5], 0x38
	s_load_dwordx2 s[12:13], s[4:5], 0x0
	s_load_dwordx4 s[8:11], s[4:5], 0x28
	s_waitcnt lgkmcnt(0)
	s_bitcmp1_b32 s18, 8
	s_cselect_b64 s[14:15], -1, 0
	s_ashr_i32 s7, s6, 31
	s_lshl_b64 s[16:17], s[6:7], 3
	s_add_u32 s12, s12, s16
	s_addc_u32 s13, s13, s17
	s_load_dwordx2 s[16:17], s[12:13], 0x0
	s_bfe_u32 s12, s18, 0x10008
	s_cmp_eq_u32 s12, 0
                                        ; implicit-def: $sgpr12_sgpr13
	s_cbranch_scc1 .LBB122_3
; %bb.2:
	s_load_dword s12, s[4:5], 0x20
	s_load_dwordx2 s[18:19], s[4:5], 0x18
	s_mul_i32 s13, s8, s7
	s_mul_hi_u32 s20, s8, s6
	s_add_i32 s20, s20, s13
	s_mul_i32 s9, s9, s6
	s_add_i32 s9, s20, s9
	s_mul_i32 s8, s8, s6
	s_waitcnt lgkmcnt(0)
	s_ashr_i32 s13, s12, 31
	s_lshl_b64 s[8:9], s[8:9], 2
	s_add_u32 s18, s18, s8
	s_addc_u32 s19, s19, s9
	s_lshl_b64 s[8:9], s[12:13], 2
	s_add_u32 s12, s18, s8
	s_addc_u32 s13, s19, s9
.LBB122_3:
	s_load_dwordx2 s[8:9], s[4:5], 0x8
	s_load_dword s18, s[4:5], 0x38
	v_lshlrev_b32_e32 v3, 3, v0
	s_waitcnt lgkmcnt(0)
	s_ashr_i32 s5, s8, 31
	s_mov_b32 s4, s8
	s_lshl_b64 s[4:5], s[4:5], 3
	s_add_u32 s4, s16, s4
	s_addc_u32 s5, s17, s5
	v_mov_b32_e32 v1, s5
	v_add_co_u32_e32 v24, vcc, s4, v3
	v_addc_co_u32_e32 v25, vcc, 0, v1, vcc
	flat_load_dwordx2 v[1:2], v[24:25]
	s_mov_b32 s16, s9
	s_ashr_i32 s17, s9, 31
	s_lshl_b64 s[16:17], s[16:17], 3
	v_mov_b32_e32 v4, s17
	v_add_co_u32_e32 v5, vcc, s16, v24
	v_addc_co_u32_e32 v6, vcc, v25, v4, vcc
	s_add_i32 s8, s9, s9
	v_add_u32_e32 v4, s8, v0
	v_mov_b32_e32 v7, s5
	s_bitcmp0_b32 s18, 0
	s_waitcnt vmcnt(0) lgkmcnt(0)
	buffer_store_dword v2, off, s[0:3], 0 offset:4
	buffer_store_dword v1, off, s[0:3], 0
	buffer_store_dword v5, off, s[0:3], 0 offset:472 ; 4-byte Folded Spill
	s_nop 0
	buffer_store_dword v6, off, s[0:3], 0 offset:476 ; 4-byte Folded Spill
	flat_load_dwordx2 v[1:2], v[5:6]
	v_ashrrev_i32_e32 v5, 31, v4
	v_lshlrev_b64 v[5:6], 3, v[4:5]
	v_add_u32_e32 v4, s9, v4
	v_add_co_u32_e32 v5, vcc, s4, v5
	v_addc_co_u32_e32 v6, vcc, v7, v6, vcc
	s_waitcnt vmcnt(0) lgkmcnt(0)
	buffer_store_dword v2, off, s[0:3], 0 offset:12
	buffer_store_dword v1, off, s[0:3], 0 offset:8
	buffer_store_dword v5, off, s[0:3], 0 offset:480 ; 4-byte Folded Spill
	s_nop 0
	buffer_store_dword v6, off, s[0:3], 0 offset:484 ; 4-byte Folded Spill
	flat_load_dwordx2 v[1:2], v[5:6]
	v_ashrrev_i32_e32 v5, 31, v4
	v_lshlrev_b64 v[5:6], 3, v[4:5]
	v_add_u32_e32 v4, s9, v4
	v_add_co_u32_e32 v5, vcc, s4, v5
	v_addc_co_u32_e32 v6, vcc, v7, v6, vcc
	s_waitcnt vmcnt(0) lgkmcnt(0)
	buffer_store_dword v2, off, s[0:3], 0 offset:20
	buffer_store_dword v1, off, s[0:3], 0 offset:16
	buffer_store_dword v5, off, s[0:3], 0 offset:488 ; 4-byte Folded Spill
	s_nop 0
	buffer_store_dword v6, off, s[0:3], 0 offset:492 ; 4-byte Folded Spill
	flat_load_dwordx2 v[1:2], v[5:6]
	v_ashrrev_i32_e32 v5, 31, v4
	v_lshlrev_b64 v[5:6], 3, v[4:5]
	v_add_u32_e32 v4, s9, v4
	v_add_co_u32_e32 v5, vcc, s4, v5
	v_addc_co_u32_e32 v6, vcc, v7, v6, vcc
	s_waitcnt vmcnt(0) lgkmcnt(0)
	buffer_store_dword v2, off, s[0:3], 0 offset:28
	buffer_store_dword v1, off, s[0:3], 0 offset:24
	buffer_store_dword v5, off, s[0:3], 0 offset:496 ; 4-byte Folded Spill
	s_nop 0
	buffer_store_dword v6, off, s[0:3], 0 offset:500 ; 4-byte Folded Spill
	flat_load_dwordx2 v[1:2], v[5:6]
	v_ashrrev_i32_e32 v5, 31, v4
	v_lshlrev_b64 v[5:6], 3, v[4:5]
	v_add_u32_e32 v4, s9, v4
	v_add_co_u32_e32 v5, vcc, s4, v5
	v_addc_co_u32_e32 v6, vcc, v7, v6, vcc
	s_waitcnt vmcnt(0) lgkmcnt(0)
	buffer_store_dword v2, off, s[0:3], 0 offset:36
	buffer_store_dword v1, off, s[0:3], 0 offset:32
	buffer_store_dword v5, off, s[0:3], 0 offset:504 ; 4-byte Folded Spill
	s_nop 0
	buffer_store_dword v6, off, s[0:3], 0 offset:508 ; 4-byte Folded Spill
	flat_load_dwordx2 v[1:2], v[5:6]
	v_ashrrev_i32_e32 v5, 31, v4
	v_lshlrev_b64 v[5:6], 3, v[4:5]
	v_add_u32_e32 v4, s9, v4
	v_add_co_u32_e32 v5, vcc, s4, v5
	v_addc_co_u32_e32 v6, vcc, v7, v6, vcc
	s_waitcnt vmcnt(0) lgkmcnt(0)
	buffer_store_dword v2, off, s[0:3], 0 offset:44
	buffer_store_dword v1, off, s[0:3], 0 offset:40
	buffer_store_dword v5, off, s[0:3], 0 offset:512 ; 4-byte Folded Spill
	s_nop 0
	buffer_store_dword v6, off, s[0:3], 0 offset:516 ; 4-byte Folded Spill
	flat_load_dwordx2 v[1:2], v[5:6]
	v_ashrrev_i32_e32 v5, 31, v4
	v_lshlrev_b64 v[5:6], 3, v[4:5]
	v_add_u32_e32 v4, s9, v4
	v_add_co_u32_e32 v5, vcc, s4, v5
	v_addc_co_u32_e32 v6, vcc, v7, v6, vcc
	s_waitcnt vmcnt(0) lgkmcnt(0)
	buffer_store_dword v2, off, s[0:3], 0 offset:52
	buffer_store_dword v1, off, s[0:3], 0 offset:48
	buffer_store_dword v5, off, s[0:3], 0 offset:520 ; 4-byte Folded Spill
	s_nop 0
	buffer_store_dword v6, off, s[0:3], 0 offset:524 ; 4-byte Folded Spill
	flat_load_dwordx2 v[1:2], v[5:6]
	v_ashrrev_i32_e32 v5, 31, v4
	v_lshlrev_b64 v[5:6], 3, v[4:5]
	v_add_u32_e32 v4, s9, v4
	v_add_co_u32_e32 v5, vcc, s4, v5
	v_addc_co_u32_e32 v6, vcc, v7, v6, vcc
	s_waitcnt vmcnt(0) lgkmcnt(0)
	buffer_store_dword v2, off, s[0:3], 0 offset:60
	buffer_store_dword v1, off, s[0:3], 0 offset:56
	buffer_store_dword v5, off, s[0:3], 0 offset:528 ; 4-byte Folded Spill
	s_nop 0
	buffer_store_dword v6, off, s[0:3], 0 offset:532 ; 4-byte Folded Spill
	flat_load_dwordx2 v[1:2], v[5:6]
	v_ashrrev_i32_e32 v5, 31, v4
	v_lshlrev_b64 v[5:6], 3, v[4:5]
	v_add_u32_e32 v4, s9, v4
	v_add_co_u32_e32 v5, vcc, s4, v5
	v_addc_co_u32_e32 v6, vcc, v7, v6, vcc
	s_waitcnt vmcnt(0) lgkmcnt(0)
	buffer_store_dword v2, off, s[0:3], 0 offset:68
	buffer_store_dword v1, off, s[0:3], 0 offset:64
	buffer_store_dword v5, off, s[0:3], 0 offset:536 ; 4-byte Folded Spill
	s_nop 0
	buffer_store_dword v6, off, s[0:3], 0 offset:540 ; 4-byte Folded Spill
	flat_load_dwordx2 v[1:2], v[5:6]
	v_ashrrev_i32_e32 v5, 31, v4
	v_lshlrev_b64 v[5:6], 3, v[4:5]
	v_add_u32_e32 v4, s9, v4
	v_add_co_u32_e32 v5, vcc, s4, v5
	v_addc_co_u32_e32 v6, vcc, v7, v6, vcc
	s_waitcnt vmcnt(0) lgkmcnt(0)
	buffer_store_dword v2, off, s[0:3], 0 offset:76
	buffer_store_dword v1, off, s[0:3], 0 offset:72
	buffer_store_dword v5, off, s[0:3], 0 offset:544 ; 4-byte Folded Spill
	s_nop 0
	buffer_store_dword v6, off, s[0:3], 0 offset:548 ; 4-byte Folded Spill
	flat_load_dwordx2 v[1:2], v[5:6]
	v_ashrrev_i32_e32 v5, 31, v4
	v_lshlrev_b64 v[5:6], 3, v[4:5]
	v_add_u32_e32 v4, s9, v4
	v_add_co_u32_e32 v5, vcc, s4, v5
	v_addc_co_u32_e32 v6, vcc, v7, v6, vcc
	s_waitcnt vmcnt(0) lgkmcnt(0)
	buffer_store_dword v2, off, s[0:3], 0 offset:84
	buffer_store_dword v1, off, s[0:3], 0 offset:80
	buffer_store_dword v5, off, s[0:3], 0 offset:552 ; 4-byte Folded Spill
	s_nop 0
	buffer_store_dword v6, off, s[0:3], 0 offset:556 ; 4-byte Folded Spill
	flat_load_dwordx2 v[1:2], v[5:6]
	v_ashrrev_i32_e32 v5, 31, v4
	v_lshlrev_b64 v[5:6], 3, v[4:5]
	v_add_u32_e32 v4, s9, v4
	v_add_co_u32_e32 v5, vcc, s4, v5
	v_addc_co_u32_e32 v6, vcc, v7, v6, vcc
	s_waitcnt vmcnt(0) lgkmcnt(0)
	buffer_store_dword v2, off, s[0:3], 0 offset:92
	buffer_store_dword v1, off, s[0:3], 0 offset:88
	buffer_store_dword v5, off, s[0:3], 0 offset:560 ; 4-byte Folded Spill
	s_nop 0
	buffer_store_dword v6, off, s[0:3], 0 offset:564 ; 4-byte Folded Spill
	flat_load_dwordx2 v[1:2], v[5:6]
	v_ashrrev_i32_e32 v5, 31, v4
	v_lshlrev_b64 v[5:6], 3, v[4:5]
	v_add_u32_e32 v4, s9, v4
	v_add_co_u32_e32 v5, vcc, s4, v5
	v_addc_co_u32_e32 v6, vcc, v7, v6, vcc
	s_waitcnt vmcnt(0) lgkmcnt(0)
	buffer_store_dword v2, off, s[0:3], 0 offset:100
	buffer_store_dword v1, off, s[0:3], 0 offset:96
	buffer_store_dword v5, off, s[0:3], 0 offset:568 ; 4-byte Folded Spill
	s_nop 0
	buffer_store_dword v6, off, s[0:3], 0 offset:572 ; 4-byte Folded Spill
	flat_load_dwordx2 v[1:2], v[5:6]
	v_ashrrev_i32_e32 v5, 31, v4
	v_lshlrev_b64 v[5:6], 3, v[4:5]
	v_add_u32_e32 v4, s9, v4
	v_add_co_u32_e32 v5, vcc, s4, v5
	v_addc_co_u32_e32 v6, vcc, v7, v6, vcc
	s_waitcnt vmcnt(0) lgkmcnt(0)
	buffer_store_dword v2, off, s[0:3], 0 offset:108
	buffer_store_dword v1, off, s[0:3], 0 offset:104
	buffer_store_dword v5, off, s[0:3], 0 offset:576 ; 4-byte Folded Spill
	s_nop 0
	buffer_store_dword v6, off, s[0:3], 0 offset:580 ; 4-byte Folded Spill
	flat_load_dwordx2 v[1:2], v[5:6]
	v_ashrrev_i32_e32 v5, 31, v4
	v_lshlrev_b64 v[5:6], 3, v[4:5]
	v_add_u32_e32 v4, s9, v4
	v_add_co_u32_e32 v5, vcc, s4, v5
	v_addc_co_u32_e32 v6, vcc, v7, v6, vcc
	s_waitcnt vmcnt(0) lgkmcnt(0)
	buffer_store_dword v2, off, s[0:3], 0 offset:116
	buffer_store_dword v1, off, s[0:3], 0 offset:112
	buffer_store_dword v5, off, s[0:3], 0 offset:584 ; 4-byte Folded Spill
	s_nop 0
	buffer_store_dword v6, off, s[0:3], 0 offset:588 ; 4-byte Folded Spill
	flat_load_dwordx2 v[1:2], v[5:6]
	v_ashrrev_i32_e32 v5, 31, v4
	v_lshlrev_b64 v[5:6], 3, v[4:5]
	v_add_u32_e32 v4, s9, v4
	v_add_co_u32_e32 v5, vcc, s4, v5
	v_addc_co_u32_e32 v6, vcc, v7, v6, vcc
	s_waitcnt vmcnt(0) lgkmcnt(0)
	buffer_store_dword v2, off, s[0:3], 0 offset:124
	buffer_store_dword v1, off, s[0:3], 0 offset:120
	buffer_store_dword v5, off, s[0:3], 0 offset:592 ; 4-byte Folded Spill
	s_nop 0
	buffer_store_dword v6, off, s[0:3], 0 offset:596 ; 4-byte Folded Spill
	flat_load_dwordx2 v[1:2], v[5:6]
	v_ashrrev_i32_e32 v5, 31, v4
	v_lshlrev_b64 v[5:6], 3, v[4:5]
	v_add_u32_e32 v4, s9, v4
	v_add_co_u32_e32 v5, vcc, s4, v5
	v_addc_co_u32_e32 v6, vcc, v7, v6, vcc
	s_waitcnt vmcnt(0) lgkmcnt(0)
	buffer_store_dword v2, off, s[0:3], 0 offset:132
	buffer_store_dword v1, off, s[0:3], 0 offset:128
	buffer_store_dword v5, off, s[0:3], 0 offset:600 ; 4-byte Folded Spill
	s_nop 0
	buffer_store_dword v6, off, s[0:3], 0 offset:604 ; 4-byte Folded Spill
	flat_load_dwordx2 v[1:2], v[5:6]
	v_ashrrev_i32_e32 v5, 31, v4
	v_lshlrev_b64 v[5:6], 3, v[4:5]
	v_add_u32_e32 v4, s9, v4
	v_add_co_u32_e32 v5, vcc, s4, v5
	v_addc_co_u32_e32 v6, vcc, v7, v6, vcc
	s_waitcnt vmcnt(0) lgkmcnt(0)
	buffer_store_dword v2, off, s[0:3], 0 offset:140
	buffer_store_dword v1, off, s[0:3], 0 offset:136
	buffer_store_dword v5, off, s[0:3], 0 offset:608 ; 4-byte Folded Spill
	s_nop 0
	buffer_store_dword v6, off, s[0:3], 0 offset:612 ; 4-byte Folded Spill
	flat_load_dwordx2 v[1:2], v[5:6]
	v_ashrrev_i32_e32 v5, 31, v4
	v_lshlrev_b64 v[5:6], 3, v[4:5]
	v_add_u32_e32 v4, s9, v4
	v_add_co_u32_e32 v5, vcc, s4, v5
	v_addc_co_u32_e32 v6, vcc, v7, v6, vcc
	s_waitcnt vmcnt(0) lgkmcnt(0)
	buffer_store_dword v2, off, s[0:3], 0 offset:148
	buffer_store_dword v1, off, s[0:3], 0 offset:144
	buffer_store_dword v5, off, s[0:3], 0 offset:616 ; 4-byte Folded Spill
	s_nop 0
	buffer_store_dword v6, off, s[0:3], 0 offset:620 ; 4-byte Folded Spill
	flat_load_dwordx2 v[1:2], v[5:6]
	v_ashrrev_i32_e32 v5, 31, v4
	v_lshlrev_b64 v[5:6], 3, v[4:5]
	v_add_u32_e32 v4, s9, v4
	v_add_co_u32_e32 v5, vcc, s4, v5
	v_addc_co_u32_e32 v6, vcc, v7, v6, vcc
	s_waitcnt vmcnt(0) lgkmcnt(0)
	buffer_store_dword v2, off, s[0:3], 0 offset:156
	buffer_store_dword v1, off, s[0:3], 0 offset:152
	buffer_store_dword v5, off, s[0:3], 0 offset:624 ; 4-byte Folded Spill
	s_nop 0
	buffer_store_dword v6, off, s[0:3], 0 offset:628 ; 4-byte Folded Spill
	flat_load_dwordx2 v[1:2], v[5:6]
	v_ashrrev_i32_e32 v5, 31, v4
	v_lshlrev_b64 v[5:6], 3, v[4:5]
	v_add_u32_e32 v4, s9, v4
	v_add_co_u32_e32 v5, vcc, s4, v5
	v_addc_co_u32_e32 v6, vcc, v7, v6, vcc
	s_waitcnt vmcnt(0) lgkmcnt(0)
	buffer_store_dword v2, off, s[0:3], 0 offset:164
	buffer_store_dword v1, off, s[0:3], 0 offset:160
	buffer_store_dword v5, off, s[0:3], 0 offset:632 ; 4-byte Folded Spill
	s_nop 0
	buffer_store_dword v6, off, s[0:3], 0 offset:636 ; 4-byte Folded Spill
	flat_load_dwordx2 v[1:2], v[5:6]
	v_ashrrev_i32_e32 v5, 31, v4
	v_lshlrev_b64 v[5:6], 3, v[4:5]
	v_add_u32_e32 v4, s9, v4
	v_add_co_u32_e32 v5, vcc, s4, v5
	v_addc_co_u32_e32 v6, vcc, v7, v6, vcc
	s_waitcnt vmcnt(0) lgkmcnt(0)
	buffer_store_dword v2, off, s[0:3], 0 offset:172
	buffer_store_dword v1, off, s[0:3], 0 offset:168
	buffer_store_dword v5, off, s[0:3], 0 offset:640 ; 4-byte Folded Spill
	s_nop 0
	buffer_store_dword v6, off, s[0:3], 0 offset:644 ; 4-byte Folded Spill
	flat_load_dwordx2 v[1:2], v[5:6]
	v_ashrrev_i32_e32 v5, 31, v4
	v_lshlrev_b64 v[5:6], 3, v[4:5]
	v_add_u32_e32 v4, s9, v4
	v_add_co_u32_e32 v5, vcc, s4, v5
	v_addc_co_u32_e32 v6, vcc, v7, v6, vcc
	s_waitcnt vmcnt(0) lgkmcnt(0)
	buffer_store_dword v2, off, s[0:3], 0 offset:180
	buffer_store_dword v1, off, s[0:3], 0 offset:176
	buffer_store_dword v5, off, s[0:3], 0 offset:648 ; 4-byte Folded Spill
	s_nop 0
	buffer_store_dword v6, off, s[0:3], 0 offset:652 ; 4-byte Folded Spill
	flat_load_dwordx2 v[1:2], v[5:6]
	v_ashrrev_i32_e32 v5, 31, v4
	v_lshlrev_b64 v[5:6], 3, v[4:5]
	v_add_u32_e32 v4, s9, v4
	v_add_co_u32_e32 v5, vcc, s4, v5
	v_addc_co_u32_e32 v6, vcc, v7, v6, vcc
	s_waitcnt vmcnt(0) lgkmcnt(0)
	buffer_store_dword v2, off, s[0:3], 0 offset:188
	buffer_store_dword v1, off, s[0:3], 0 offset:184
	buffer_store_dword v5, off, s[0:3], 0 offset:656 ; 4-byte Folded Spill
	s_nop 0
	buffer_store_dword v6, off, s[0:3], 0 offset:660 ; 4-byte Folded Spill
	flat_load_dwordx2 v[1:2], v[5:6]
	v_ashrrev_i32_e32 v5, 31, v4
	v_lshlrev_b64 v[5:6], 3, v[4:5]
	v_add_u32_e32 v4, s9, v4
	v_add_co_u32_e32 v5, vcc, s4, v5
	v_addc_co_u32_e32 v6, vcc, v7, v6, vcc
	s_waitcnt vmcnt(0) lgkmcnt(0)
	buffer_store_dword v2, off, s[0:3], 0 offset:196
	buffer_store_dword v1, off, s[0:3], 0 offset:192
	buffer_store_dword v5, off, s[0:3], 0 offset:664 ; 4-byte Folded Spill
	s_nop 0
	buffer_store_dword v6, off, s[0:3], 0 offset:668 ; 4-byte Folded Spill
	flat_load_dwordx2 v[1:2], v[5:6]
	v_ashrrev_i32_e32 v5, 31, v4
	v_lshlrev_b64 v[5:6], 3, v[4:5]
	v_add_u32_e32 v4, s9, v4
	v_add_co_u32_e32 v5, vcc, s4, v5
	v_addc_co_u32_e32 v6, vcc, v7, v6, vcc
	s_waitcnt vmcnt(0) lgkmcnt(0)
	buffer_store_dword v2, off, s[0:3], 0 offset:204
	buffer_store_dword v1, off, s[0:3], 0 offset:200
	buffer_store_dword v5, off, s[0:3], 0 offset:672 ; 4-byte Folded Spill
	s_nop 0
	buffer_store_dword v6, off, s[0:3], 0 offset:676 ; 4-byte Folded Spill
	flat_load_dwordx2 v[1:2], v[5:6]
	v_ashrrev_i32_e32 v5, 31, v4
	v_lshlrev_b64 v[5:6], 3, v[4:5]
	v_add_u32_e32 v4, s9, v4
	v_add_co_u32_e32 v5, vcc, s4, v5
	v_addc_co_u32_e32 v6, vcc, v7, v6, vcc
	s_waitcnt vmcnt(0) lgkmcnt(0)
	buffer_store_dword v2, off, s[0:3], 0 offset:212
	buffer_store_dword v1, off, s[0:3], 0 offset:208
	buffer_store_dword v5, off, s[0:3], 0 offset:680 ; 4-byte Folded Spill
	s_nop 0
	buffer_store_dword v6, off, s[0:3], 0 offset:684 ; 4-byte Folded Spill
	flat_load_dwordx2 v[1:2], v[5:6]
	v_ashrrev_i32_e32 v5, 31, v4
	v_lshlrev_b64 v[5:6], 3, v[4:5]
	v_add_u32_e32 v4, s9, v4
	v_add_co_u32_e32 v5, vcc, s4, v5
	v_addc_co_u32_e32 v6, vcc, v7, v6, vcc
	s_waitcnt vmcnt(0) lgkmcnt(0)
	buffer_store_dword v2, off, s[0:3], 0 offset:220
	buffer_store_dword v1, off, s[0:3], 0 offset:216
	buffer_store_dword v5, off, s[0:3], 0 offset:688 ; 4-byte Folded Spill
	s_nop 0
	buffer_store_dword v6, off, s[0:3], 0 offset:692 ; 4-byte Folded Spill
	flat_load_dwordx2 v[1:2], v[5:6]
	v_ashrrev_i32_e32 v5, 31, v4
	v_lshlrev_b64 v[5:6], 3, v[4:5]
	v_add_u32_e32 v4, s9, v4
	v_add_co_u32_e32 v5, vcc, s4, v5
	v_addc_co_u32_e32 v6, vcc, v7, v6, vcc
	s_waitcnt vmcnt(0) lgkmcnt(0)
	buffer_store_dword v2, off, s[0:3], 0 offset:228
	buffer_store_dword v1, off, s[0:3], 0 offset:224
	buffer_store_dword v5, off, s[0:3], 0 offset:696 ; 4-byte Folded Spill
	s_nop 0
	buffer_store_dword v6, off, s[0:3], 0 offset:700 ; 4-byte Folded Spill
	flat_load_dwordx2 v[1:2], v[5:6]
	v_ashrrev_i32_e32 v5, 31, v4
	v_lshlrev_b64 v[5:6], 3, v[4:5]
	v_add_u32_e32 v4, s9, v4
	v_add_co_u32_e32 v5, vcc, s4, v5
	v_addc_co_u32_e32 v6, vcc, v7, v6, vcc
	s_waitcnt vmcnt(0) lgkmcnt(0)
	buffer_store_dword v2, off, s[0:3], 0 offset:236
	buffer_store_dword v1, off, s[0:3], 0 offset:232
	buffer_store_dword v5, off, s[0:3], 0 offset:704 ; 4-byte Folded Spill
	s_nop 0
	buffer_store_dword v6, off, s[0:3], 0 offset:708 ; 4-byte Folded Spill
	flat_load_dwordx2 v[1:2], v[5:6]
	v_ashrrev_i32_e32 v5, 31, v4
	v_lshlrev_b64 v[5:6], 3, v[4:5]
	v_add_u32_e32 v4, s9, v4
	v_add_co_u32_e32 v5, vcc, s4, v5
	v_addc_co_u32_e32 v6, vcc, v7, v6, vcc
	s_waitcnt vmcnt(0) lgkmcnt(0)
	buffer_store_dword v2, off, s[0:3], 0 offset:244
	buffer_store_dword v1, off, s[0:3], 0 offset:240
	buffer_store_dword v5, off, s[0:3], 0 offset:712 ; 4-byte Folded Spill
	s_nop 0
	buffer_store_dword v6, off, s[0:3], 0 offset:716 ; 4-byte Folded Spill
	flat_load_dwordx2 v[1:2], v[5:6]
	v_ashrrev_i32_e32 v5, 31, v4
	v_lshlrev_b64 v[5:6], 3, v[4:5]
	v_add_u32_e32 v4, s9, v4
	v_add_co_u32_e32 v5, vcc, s4, v5
	v_addc_co_u32_e32 v6, vcc, v7, v6, vcc
	s_waitcnt vmcnt(0) lgkmcnt(0)
	buffer_store_dword v2, off, s[0:3], 0 offset:252
	buffer_store_dword v1, off, s[0:3], 0 offset:248
	buffer_store_dword v5, off, s[0:3], 0 offset:720 ; 4-byte Folded Spill
	s_nop 0
	buffer_store_dword v6, off, s[0:3], 0 offset:724 ; 4-byte Folded Spill
	flat_load_dwordx2 v[1:2], v[5:6]
	v_ashrrev_i32_e32 v5, 31, v4
	v_lshlrev_b64 v[5:6], 3, v[4:5]
	v_add_u32_e32 v4, s9, v4
	v_add_co_u32_e32 v5, vcc, s4, v5
	v_addc_co_u32_e32 v6, vcc, v7, v6, vcc
	s_waitcnt vmcnt(0) lgkmcnt(0)
	buffer_store_dword v2, off, s[0:3], 0 offset:260
	buffer_store_dword v1, off, s[0:3], 0 offset:256
	buffer_store_dword v5, off, s[0:3], 0 offset:728 ; 4-byte Folded Spill
	s_nop 0
	buffer_store_dword v6, off, s[0:3], 0 offset:732 ; 4-byte Folded Spill
	flat_load_dwordx2 v[1:2], v[5:6]
	v_ashrrev_i32_e32 v5, 31, v4
	v_lshlrev_b64 v[5:6], 3, v[4:5]
	v_add_u32_e32 v4, s9, v4
	v_add_co_u32_e32 v5, vcc, s4, v5
	v_addc_co_u32_e32 v6, vcc, v7, v6, vcc
	s_waitcnt vmcnt(0) lgkmcnt(0)
	buffer_store_dword v2, off, s[0:3], 0 offset:268
	buffer_store_dword v1, off, s[0:3], 0 offset:264
	buffer_store_dword v5, off, s[0:3], 0 offset:736 ; 4-byte Folded Spill
	s_nop 0
	buffer_store_dword v6, off, s[0:3], 0 offset:740 ; 4-byte Folded Spill
	flat_load_dwordx2 v[1:2], v[5:6]
	v_ashrrev_i32_e32 v5, 31, v4
	v_lshlrev_b64 v[5:6], 3, v[4:5]
	v_add_u32_e32 v4, s9, v4
	v_add_co_u32_e32 v5, vcc, s4, v5
	v_addc_co_u32_e32 v6, vcc, v7, v6, vcc
	s_waitcnt vmcnt(0) lgkmcnt(0)
	buffer_store_dword v2, off, s[0:3], 0 offset:276
	buffer_store_dword v1, off, s[0:3], 0 offset:272
	buffer_store_dword v5, off, s[0:3], 0 offset:744 ; 4-byte Folded Spill
	s_nop 0
	buffer_store_dword v6, off, s[0:3], 0 offset:748 ; 4-byte Folded Spill
	flat_load_dwordx2 v[1:2], v[5:6]
	v_ashrrev_i32_e32 v5, 31, v4
	v_lshlrev_b64 v[5:6], 3, v[4:5]
	v_add_u32_e32 v4, s9, v4
	v_add_co_u32_e32 v5, vcc, s4, v5
	v_addc_co_u32_e32 v6, vcc, v7, v6, vcc
	s_waitcnt vmcnt(0) lgkmcnt(0)
	buffer_store_dword v2, off, s[0:3], 0 offset:284
	buffer_store_dword v1, off, s[0:3], 0 offset:280
	buffer_store_dword v5, off, s[0:3], 0 offset:752 ; 4-byte Folded Spill
	s_nop 0
	buffer_store_dword v6, off, s[0:3], 0 offset:756 ; 4-byte Folded Spill
	flat_load_dwordx2 v[1:2], v[5:6]
	v_ashrrev_i32_e32 v5, 31, v4
	v_lshlrev_b64 v[5:6], 3, v[4:5]
	v_add_u32_e32 v4, s9, v4
	v_add_co_u32_e32 v5, vcc, s4, v5
	v_addc_co_u32_e32 v6, vcc, v7, v6, vcc
	s_waitcnt vmcnt(0) lgkmcnt(0)
	buffer_store_dword v2, off, s[0:3], 0 offset:292
	buffer_store_dword v1, off, s[0:3], 0 offset:288
	buffer_store_dword v5, off, s[0:3], 0 offset:760 ; 4-byte Folded Spill
	s_nop 0
	buffer_store_dword v6, off, s[0:3], 0 offset:764 ; 4-byte Folded Spill
	flat_load_dwordx2 v[1:2], v[5:6]
	v_ashrrev_i32_e32 v5, 31, v4
	v_lshlrev_b64 v[5:6], 3, v[4:5]
	v_add_u32_e32 v4, s9, v4
	v_add_co_u32_e32 v5, vcc, s4, v5
	v_addc_co_u32_e32 v6, vcc, v7, v6, vcc
	s_waitcnt vmcnt(0) lgkmcnt(0)
	buffer_store_dword v2, off, s[0:3], 0 offset:300
	buffer_store_dword v1, off, s[0:3], 0 offset:296
	buffer_store_dword v5, off, s[0:3], 0 offset:768 ; 4-byte Folded Spill
	s_nop 0
	buffer_store_dword v6, off, s[0:3], 0 offset:772 ; 4-byte Folded Spill
	flat_load_dwordx2 v[1:2], v[5:6]
	v_ashrrev_i32_e32 v5, 31, v4
	v_lshlrev_b64 v[5:6], 3, v[4:5]
	v_add_u32_e32 v4, s9, v4
	v_add_co_u32_e32 v5, vcc, s4, v5
	v_addc_co_u32_e32 v6, vcc, v7, v6, vcc
	s_waitcnt vmcnt(0) lgkmcnt(0)
	buffer_store_dword v2, off, s[0:3], 0 offset:308
	buffer_store_dword v1, off, s[0:3], 0 offset:304
	buffer_store_dword v5, off, s[0:3], 0 offset:776 ; 4-byte Folded Spill
	s_nop 0
	buffer_store_dword v6, off, s[0:3], 0 offset:780 ; 4-byte Folded Spill
	flat_load_dwordx2 v[1:2], v[5:6]
	v_ashrrev_i32_e32 v5, 31, v4
	v_lshlrev_b64 v[5:6], 3, v[4:5]
	v_add_u32_e32 v4, s9, v4
	v_add_co_u32_e32 v5, vcc, s4, v5
	v_addc_co_u32_e32 v6, vcc, v7, v6, vcc
	s_waitcnt vmcnt(0) lgkmcnt(0)
	buffer_store_dword v2, off, s[0:3], 0 offset:316
	buffer_store_dword v1, off, s[0:3], 0 offset:312
	buffer_store_dword v5, off, s[0:3], 0 offset:784 ; 4-byte Folded Spill
	s_nop 0
	buffer_store_dword v6, off, s[0:3], 0 offset:788 ; 4-byte Folded Spill
	flat_load_dwordx2 v[1:2], v[5:6]
	v_ashrrev_i32_e32 v5, 31, v4
	v_lshlrev_b64 v[5:6], 3, v[4:5]
	v_add_u32_e32 v4, s9, v4
	v_add_co_u32_e32 v5, vcc, s4, v5
	v_addc_co_u32_e32 v6, vcc, v7, v6, vcc
	s_waitcnt vmcnt(0) lgkmcnt(0)
	buffer_store_dword v2, off, s[0:3], 0 offset:324
	buffer_store_dword v1, off, s[0:3], 0 offset:320
	buffer_store_dword v5, off, s[0:3], 0 offset:792 ; 4-byte Folded Spill
	s_nop 0
	buffer_store_dword v6, off, s[0:3], 0 offset:796 ; 4-byte Folded Spill
	flat_load_dwordx2 v[1:2], v[5:6]
	v_ashrrev_i32_e32 v5, 31, v4
	v_lshlrev_b64 v[5:6], 3, v[4:5]
	v_add_u32_e32 v4, s9, v4
	v_add_co_u32_e32 v5, vcc, s4, v5
	v_addc_co_u32_e32 v6, vcc, v7, v6, vcc
	s_waitcnt vmcnt(0) lgkmcnt(0)
	buffer_store_dword v2, off, s[0:3], 0 offset:332
	buffer_store_dword v1, off, s[0:3], 0 offset:328
	buffer_store_dword v5, off, s[0:3], 0 offset:800 ; 4-byte Folded Spill
	s_nop 0
	buffer_store_dword v6, off, s[0:3], 0 offset:804 ; 4-byte Folded Spill
	flat_load_dwordx2 v[1:2], v[5:6]
	v_ashrrev_i32_e32 v5, 31, v4
	v_lshlrev_b64 v[5:6], 3, v[4:5]
	v_add_u32_e32 v4, s9, v4
	v_add_co_u32_e32 v5, vcc, s4, v5
	v_addc_co_u32_e32 v6, vcc, v7, v6, vcc
	s_waitcnt vmcnt(0) lgkmcnt(0)
	buffer_store_dword v2, off, s[0:3], 0 offset:340
	buffer_store_dword v1, off, s[0:3], 0 offset:336
	buffer_store_dword v5, off, s[0:3], 0 offset:808 ; 4-byte Folded Spill
	s_nop 0
	buffer_store_dword v6, off, s[0:3], 0 offset:812 ; 4-byte Folded Spill
	flat_load_dwordx2 v[1:2], v[5:6]
	v_ashrrev_i32_e32 v5, 31, v4
	v_lshlrev_b64 v[5:6], 3, v[4:5]
	v_add_u32_e32 v4, s9, v4
	v_add_co_u32_e32 v5, vcc, s4, v5
	v_addc_co_u32_e32 v6, vcc, v7, v6, vcc
	s_waitcnt vmcnt(0) lgkmcnt(0)
	buffer_store_dword v2, off, s[0:3], 0 offset:348
	buffer_store_dword v1, off, s[0:3], 0 offset:344
	buffer_store_dword v5, off, s[0:3], 0 offset:816 ; 4-byte Folded Spill
	s_nop 0
	buffer_store_dword v6, off, s[0:3], 0 offset:820 ; 4-byte Folded Spill
	flat_load_dwordx2 v[1:2], v[5:6]
	v_ashrrev_i32_e32 v5, 31, v4
	v_lshlrev_b64 v[5:6], 3, v[4:5]
	v_add_u32_e32 v4, s9, v4
	v_add_co_u32_e32 v5, vcc, s4, v5
	v_addc_co_u32_e32 v6, vcc, v7, v6, vcc
	s_waitcnt vmcnt(0) lgkmcnt(0)
	buffer_store_dword v2, off, s[0:3], 0 offset:356
	buffer_store_dword v1, off, s[0:3], 0 offset:352
	buffer_store_dword v5, off, s[0:3], 0 offset:824 ; 4-byte Folded Spill
	s_nop 0
	buffer_store_dword v6, off, s[0:3], 0 offset:828 ; 4-byte Folded Spill
	flat_load_dwordx2 v[1:2], v[5:6]
	v_ashrrev_i32_e32 v5, 31, v4
	v_lshlrev_b64 v[5:6], 3, v[4:5]
	v_add_u32_e32 v4, s9, v4
	v_add_co_u32_e32 v5, vcc, s4, v5
	v_addc_co_u32_e32 v6, vcc, v7, v6, vcc
	s_waitcnt vmcnt(0) lgkmcnt(0)
	buffer_store_dword v2, off, s[0:3], 0 offset:364
	buffer_store_dword v1, off, s[0:3], 0 offset:360
	buffer_store_dword v5, off, s[0:3], 0 offset:832 ; 4-byte Folded Spill
	s_nop 0
	buffer_store_dword v6, off, s[0:3], 0 offset:836 ; 4-byte Folded Spill
	flat_load_dwordx2 v[1:2], v[5:6]
	v_ashrrev_i32_e32 v5, 31, v4
	v_lshlrev_b64 v[5:6], 3, v[4:5]
	v_add_u32_e32 v4, s9, v4
	v_add_co_u32_e32 v5, vcc, s4, v5
	v_addc_co_u32_e32 v6, vcc, v7, v6, vcc
	s_waitcnt vmcnt(0) lgkmcnt(0)
	buffer_store_dword v2, off, s[0:3], 0 offset:372
	buffer_store_dword v1, off, s[0:3], 0 offset:368
	buffer_store_dword v5, off, s[0:3], 0 offset:840 ; 4-byte Folded Spill
	s_nop 0
	buffer_store_dword v6, off, s[0:3], 0 offset:844 ; 4-byte Folded Spill
	flat_load_dwordx2 v[1:2], v[5:6]
	v_ashrrev_i32_e32 v5, 31, v4
	v_lshlrev_b64 v[5:6], 3, v[4:5]
	v_add_u32_e32 v4, s9, v4
	v_add_co_u32_e32 v5, vcc, s4, v5
	v_addc_co_u32_e32 v6, vcc, v7, v6, vcc
	s_waitcnt vmcnt(0) lgkmcnt(0)
	buffer_store_dword v2, off, s[0:3], 0 offset:380
	buffer_store_dword v1, off, s[0:3], 0 offset:376
	buffer_store_dword v5, off, s[0:3], 0 offset:848 ; 4-byte Folded Spill
	s_nop 0
	buffer_store_dword v6, off, s[0:3], 0 offset:852 ; 4-byte Folded Spill
	flat_load_dwordx2 v[1:2], v[5:6]
	v_ashrrev_i32_e32 v5, 31, v4
	v_lshlrev_b64 v[5:6], 3, v[4:5]
	v_add_u32_e32 v4, s9, v4
	v_add_co_u32_e32 v5, vcc, s4, v5
	v_addc_co_u32_e32 v6, vcc, v7, v6, vcc
	s_waitcnt vmcnt(0) lgkmcnt(0)
	buffer_store_dword v2, off, s[0:3], 0 offset:388
	buffer_store_dword v1, off, s[0:3], 0 offset:384
	buffer_store_dword v5, off, s[0:3], 0 offset:856 ; 4-byte Folded Spill
	s_nop 0
	buffer_store_dword v6, off, s[0:3], 0 offset:860 ; 4-byte Folded Spill
	flat_load_dwordx2 v[1:2], v[5:6]
	v_ashrrev_i32_e32 v5, 31, v4
	v_lshlrev_b64 v[5:6], 3, v[4:5]
	v_add_u32_e32 v4, s9, v4
	v_add_co_u32_e32 v5, vcc, s4, v5
	v_addc_co_u32_e32 v6, vcc, v7, v6, vcc
	s_waitcnt vmcnt(0) lgkmcnt(0)
	buffer_store_dword v2, off, s[0:3], 0 offset:396
	buffer_store_dword v1, off, s[0:3], 0 offset:392
	buffer_store_dword v5, off, s[0:3], 0 offset:864 ; 4-byte Folded Spill
	s_nop 0
	buffer_store_dword v6, off, s[0:3], 0 offset:868 ; 4-byte Folded Spill
	flat_load_dwordx2 v[1:2], v[5:6]
	v_ashrrev_i32_e32 v5, 31, v4
	v_lshlrev_b64 v[5:6], 3, v[4:5]
	v_add_u32_e32 v4, s9, v4
	v_add_co_u32_e32 v126, vcc, s4, v5
	v_addc_co_u32_e32 v127, vcc, v7, v6, vcc
	v_ashrrev_i32_e32 v5, 31, v4
	v_lshlrev_b64 v[5:6], 3, v[4:5]
	v_add_u32_e32 v4, s9, v4
	v_add_co_u32_e32 v128, vcc, s4, v5
	v_addc_co_u32_e32 v129, vcc, v7, v6, vcc
	;; [unrolled: 5-line block ×7, first 2 shown]
	v_ashrrev_i32_e32 v5, 31, v4
	v_lshlrev_b64 v[4:5], 3, v[4:5]
	v_mov_b32_e32 v6, s5
	v_add_co_u32_e32 v140, vcc, s4, v4
	v_addc_co_u32_e32 v141, vcc, v6, v5, vcc
	s_mov_b64 s[8:9], -1
	s_waitcnt vmcnt(0) lgkmcnt(0)
	buffer_store_dword v2, off, s[0:3], 0 offset:404
	buffer_store_dword v1, off, s[0:3], 0 offset:400
	flat_load_dwordx2 v[1:2], v[126:127]
	s_waitcnt vmcnt(0) lgkmcnt(0)
	buffer_store_dword v2, off, s[0:3], 0 offset:412
	buffer_store_dword v1, off, s[0:3], 0 offset:408
	flat_load_dwordx2 v[1:2], v[128:129]
	;; [unrolled: 4-line block ×8, first 2 shown]
	s_waitcnt vmcnt(0) lgkmcnt(0)
	buffer_store_dword v2, off, s[0:3], 0 offset:468
	buffer_store_dword v1, off, s[0:3], 0 offset:464
	s_cbranch_scc1 .LBB122_248
; %bb.4:
	v_cmp_eq_u32_e64 s[4:5], 0, v0
	s_and_saveexec_b64 s[8:9], s[4:5]
; %bb.5:
	v_mov_b32_e32 v1, 0
	ds_write_b32 v1, v1 offset:472
; %bb.6:
	s_or_b64 exec, exec, s[8:9]
	v_mov_b32_e32 v1, 0
	v_lshl_add_u32 v5, v0, 3, v1
	s_waitcnt lgkmcnt(0)
	; wave barrier
	buffer_load_dword v1, v5, s[0:3], 0 offen
	buffer_load_dword v2, v5, s[0:3], 0 offen offset:4
	s_waitcnt vmcnt(1)
	v_cmp_eq_f32_e32 vcc, 0, v1
	s_waitcnt vmcnt(0)
	v_cmp_eq_f32_e64 s[8:9], 0, v2
	s_and_b64 s[8:9], vcc, s[8:9]
	s_and_saveexec_b64 s[16:17], s[8:9]
	s_cbranch_execz .LBB122_10
; %bb.7:
	v_mov_b32_e32 v1, 0
	ds_read_b32 v4, v1 offset:472
	v_add_u32_e32 v2, 1, v0
	s_waitcnt lgkmcnt(0)
	v_readfirstlane_b32 s8, v4
	s_cmp_eq_u32 s8, 0
	s_cselect_b64 s[18:19], -1, 0
	v_cmp_gt_i32_e32 vcc, s8, v2
	s_or_b64 s[18:19], s[18:19], vcc
	s_and_b64 exec, exec, s[18:19]
	s_cbranch_execz .LBB122_10
; %bb.8:
	s_mov_b64 s[18:19], 0
	v_mov_b32_e32 v4, s8
.LBB122_9:                              ; =>This Inner Loop Header: Depth=1
	ds_cmpst_rtn_b32 v4, v1, v4, v2 offset:472
	s_waitcnt lgkmcnt(0)
	v_cmp_ne_u32_e32 vcc, 0, v4
	v_cmp_le_i32_e64 s[8:9], v4, v2
	s_and_b64 s[8:9], vcc, s[8:9]
	s_and_b64 s[8:9], exec, s[8:9]
	s_or_b64 s[18:19], s[8:9], s[18:19]
	s_andn2_b64 exec, exec, s[18:19]
	s_cbranch_execnz .LBB122_9
.LBB122_10:
	s_or_b64 exec, exec, s[16:17]
	v_mov_b32_e32 v2, 0
	; wave barrier
	ds_read_b32 v1, v2 offset:472
	s_and_saveexec_b64 s[8:9], s[4:5]
	s_cbranch_execz .LBB122_12
; %bb.11:
	s_lshl_b64 s[16:17], s[6:7], 2
	s_add_u32 s16, s10, s16
	s_addc_u32 s17, s11, s17
	s_waitcnt lgkmcnt(0)
	global_store_dword v2, v1, s[16:17]
.LBB122_12:
	s_or_b64 exec, exec, s[8:9]
	s_waitcnt lgkmcnt(0)
	v_cmp_ne_u32_e32 vcc, 0, v1
	s_mov_b64 s[8:9], 0
	s_cbranch_vccnz .LBB122_248
; %bb.13:
	buffer_load_dword v2, v5, s[0:3], 0 offen
	buffer_load_dword v4, v5, s[0:3], 0 offen offset:4
                                        ; implicit-def: $vgpr7
                                        ; implicit-def: $vgpr6
                                        ; implicit-def: $vgpr1
	s_waitcnt vmcnt(0)
	v_cmp_ngt_f32_e64 s[8:9], |v2|, |v4|
	s_and_saveexec_b64 s[16:17], s[8:9]
	s_xor_b64 s[8:9], exec, s[16:17]
	s_cbranch_execz .LBB122_15
; %bb.14:
	v_div_scale_f32 v1, s[16:17], v4, v4, v2
	v_div_scale_f32 v6, vcc, v2, v4, v2
	v_rcp_f32_e32 v7, v1
	v_fma_f32 v8, -v1, v7, 1.0
	v_fmac_f32_e32 v7, v8, v7
	v_mul_f32_e32 v8, v6, v7
	v_fma_f32 v9, -v1, v8, v6
	v_fmac_f32_e32 v8, v9, v7
	v_fma_f32 v1, -v1, v8, v6
	v_div_fmas_f32 v1, v1, v7, v8
	v_div_fixup_f32 v1, v1, v4, v2
	v_fmac_f32_e32 v4, v2, v1
	v_div_scale_f32 v2, s[16:17], v4, v4, 1.0
	v_div_scale_f32 v6, vcc, 1.0, v4, 1.0
	v_rcp_f32_e32 v7, v2
	v_fma_f32 v8, -v2, v7, 1.0
	v_fmac_f32_e32 v7, v8, v7
	v_mul_f32_e32 v8, v6, v7
	v_fma_f32 v9, -v2, v8, v6
	v_fmac_f32_e32 v8, v9, v7
	v_fma_f32 v2, -v2, v8, v6
	v_div_fmas_f32 v2, v2, v7, v8
	v_div_fixup_f32 v2, v2, v4, 1.0
	v_mul_f32_e32 v7, v1, v2
	v_xor_b32_e32 v6, 0x80000000, v2
	v_xor_b32_e32 v1, 0x80000000, v7
                                        ; implicit-def: $vgpr2
                                        ; implicit-def: $vgpr4
.LBB122_15:
	s_andn2_saveexec_b64 s[8:9], s[8:9]
	s_cbranch_execz .LBB122_17
; %bb.16:
	v_div_scale_f32 v1, s[16:17], v2, v2, v4
	v_div_scale_f32 v6, vcc, v4, v2, v4
	v_rcp_f32_e32 v7, v1
	v_fma_f32 v8, -v1, v7, 1.0
	v_fmac_f32_e32 v7, v8, v7
	v_mul_f32_e32 v8, v6, v7
	v_fma_f32 v9, -v1, v8, v6
	v_fmac_f32_e32 v8, v9, v7
	v_fma_f32 v1, -v1, v8, v6
	v_div_fmas_f32 v1, v1, v7, v8
	v_div_fixup_f32 v6, v1, v2, v4
	v_fmac_f32_e32 v2, v4, v6
	v_div_scale_f32 v1, s[16:17], v2, v2, 1.0
	v_div_scale_f32 v4, vcc, 1.0, v2, 1.0
	v_rcp_f32_e32 v7, v1
	v_fma_f32 v8, -v1, v7, 1.0
	v_fmac_f32_e32 v7, v8, v7
	v_mul_f32_e32 v8, v4, v7
	v_fma_f32 v9, -v1, v8, v4
	v_fmac_f32_e32 v8, v9, v7
	v_fma_f32 v1, -v1, v8, v4
	v_div_fmas_f32 v1, v1, v7, v8
	v_div_fixup_f32 v7, v1, v2, 1.0
	v_xor_b32_e32 v1, 0x80000000, v7
	v_mul_f32_e64 v6, v6, -v7
.LBB122_17:
	s_or_b64 exec, exec, s[8:9]
	buffer_store_dword v7, v5, s[0:3], 0 offen
	buffer_store_dword v6, v5, s[0:3], 0 offen offset:4
	buffer_load_dword v8, off, s[0:3], 0 offset:12
	s_nop 0
	buffer_load_dword v7, off, s[0:3], 0 offset:8
	v_xor_b32_e32 v2, 0x80000000, v6
	v_add_u32_e32 v4, 0x1e0, v3
	s_waitcnt vmcnt(0)
	ds_write2_b64 v3, v[1:2], v[7:8] offset1:60
	s_waitcnt lgkmcnt(0)
	; wave barrier
	s_and_saveexec_b64 s[8:9], s[4:5]
	s_cbranch_execz .LBB122_19
; %bb.18:
	buffer_load_dword v6, v5, s[0:3], 0 offen
	buffer_load_dword v7, v5, s[0:3], 0 offen offset:4
	ds_read_b64 v[1:2], v4
	s_waitcnt vmcnt(0) lgkmcnt(0)
	v_mul_f32_e32 v8, v2, v7
	v_fma_f32 v8, v1, v6, -v8
	v_mul_f32_e32 v1, v1, v7
	v_fmac_f32_e32 v1, v2, v6
	v_add_f32_e32 v7, 0, v1
	v_mov_b32_e32 v1, 0
	ds_read_b64 v[1:2], v1 offset:8
	v_add_f32_e32 v6, 0, v8
	s_waitcnt lgkmcnt(0)
	v_mul_f32_e32 v8, v7, v2
	v_fma_f32 v8, v6, v1, -v8
	v_mul_f32_e32 v2, v6, v2
	v_fmac_f32_e32 v2, v7, v1
	buffer_store_dword v8, off, s[0:3], 0 offset:8
	buffer_store_dword v2, off, s[0:3], 0 offset:12
.LBB122_19:
	s_or_b64 exec, exec, s[8:9]
	; wave barrier
	buffer_load_dword v1, off, s[0:3], 0 offset:16
	buffer_load_dword v2, off, s[0:3], 0 offset:20
	v_cmp_gt_u32_e32 vcc, 2, v0
	s_waitcnt vmcnt(0)
	ds_write_b64 v4, v[1:2]
	s_waitcnt lgkmcnt(0)
	; wave barrier
	s_and_saveexec_b64 s[8:9], vcc
	s_cbranch_execz .LBB122_23
; %bb.20:
	buffer_load_dword v6, v5, s[0:3], 0 offen offset:4
	buffer_load_dword v7, v5, s[0:3], 0 offen
	ds_read_b64 v[1:2], v4
	s_waitcnt vmcnt(1) lgkmcnt(0)
	v_mul_f32_e32 v5, v2, v6
	v_mul_f32_e32 v6, v1, v6
	s_waitcnt vmcnt(0)
	v_fma_f32 v1, v1, v7, -v5
	v_fmac_f32_e32 v6, v2, v7
	v_add_f32_e32 v2, 0, v1
	v_add_f32_e32 v1, 0, v6
	s_and_saveexec_b64 s[16:17], s[4:5]
	s_cbranch_execz .LBB122_22
; %bb.21:
	v_mov_b32_e32 v5, 0
	ds_read_b64 v[5:6], v5 offset:488
	buffer_load_dword v7, off, s[0:3], 0 offset:8
	buffer_load_dword v8, off, s[0:3], 0 offset:12
	s_waitcnt vmcnt(0) lgkmcnt(0)
	v_mul_f32_e32 v9, v5, v8
	v_fmac_f32_e32 v9, v6, v7
	v_mul_f32_e32 v6, v6, v8
	v_fma_f32 v5, v5, v7, -v6
	v_add_f32_e32 v1, v1, v9
	v_add_f32_e32 v2, v2, v5
.LBB122_22:
	s_or_b64 exec, exec, s[16:17]
	v_mov_b32_e32 v5, 0
	ds_read_b64 v[5:6], v5 offset:16
	s_waitcnt lgkmcnt(0)
	v_mul_f32_e32 v7, v1, v6
	v_mul_f32_e32 v6, v2, v6
	v_fma_f32 v2, v2, v5, -v7
	v_fmac_f32_e32 v6, v1, v5
	buffer_store_dword v2, off, s[0:3], 0 offset:16
	buffer_store_dword v6, off, s[0:3], 0 offset:20
.LBB122_23:
	s_or_b64 exec, exec, s[8:9]
	; wave barrier
	buffer_load_dword v1, off, s[0:3], 0 offset:24
	buffer_load_dword v2, off, s[0:3], 0 offset:28
	v_cmp_gt_u32_e32 vcc, 3, v0
	s_waitcnt vmcnt(0)
	ds_write_b64 v4, v[1:2]
	v_add_u32_e32 v1, -1, v0
	s_waitcnt lgkmcnt(0)
	; wave barrier
	s_and_saveexec_b64 s[4:5], vcc
	s_cbranch_execz .LBB122_27
; %bb.24:
	v_add_u32_e32 v5, -1, v0
	v_add_u32_e32 v6, 0x1e0, v3
	v_mov_b32_e32 v7, v3
	v_mov_b32_e32 v2, 0
	s_mov_b64 s[8:9], 0
	v_mov_b32_e32 v8, 0
.LBB122_25:                             ; =>This Inner Loop Header: Depth=1
	buffer_load_dword v11, v7, s[0:3], 0 offen offset:4
	buffer_load_dword v12, v7, s[0:3], 0 offen
	ds_read_b64 v[9:10], v6
	v_add_u32_e32 v5, 1, v5
	v_cmp_lt_u32_e32 vcc, 1, v5
	v_add_u32_e32 v6, 8, v6
	v_add_u32_e32 v7, 8, v7
	s_or_b64 s[8:9], vcc, s[8:9]
	s_waitcnt vmcnt(1) lgkmcnt(0)
	v_mul_f32_e32 v13, v10, v11
	v_mul_f32_e32 v11, v9, v11
	s_waitcnt vmcnt(0)
	v_fma_f32 v9, v9, v12, -v13
	v_fmac_f32_e32 v11, v10, v12
	v_add_f32_e32 v8, v8, v9
	v_add_f32_e32 v2, v2, v11
	s_andn2_b64 exec, exec, s[8:9]
	s_cbranch_execnz .LBB122_25
; %bb.26:
	s_or_b64 exec, exec, s[8:9]
	v_mov_b32_e32 v5, 0
	ds_read_b64 v[5:6], v5 offset:24
	s_waitcnt lgkmcnt(0)
	v_mul_f32_e32 v7, v2, v6
	v_mul_f32_e32 v6, v8, v6
	v_fma_f32 v7, v8, v5, -v7
	v_fmac_f32_e32 v6, v2, v5
	buffer_store_dword v7, off, s[0:3], 0 offset:24
	buffer_store_dword v6, off, s[0:3], 0 offset:28
.LBB122_27:
	s_or_b64 exec, exec, s[4:5]
	; wave barrier
	buffer_load_dword v5, off, s[0:3], 0 offset:32
	buffer_load_dword v6, off, s[0:3], 0 offset:36
	v_cmp_gt_u32_e32 vcc, 4, v0
	s_waitcnt vmcnt(0)
	ds_write_b64 v4, v[5:6]
	s_waitcnt lgkmcnt(0)
	; wave barrier
	s_and_saveexec_b64 s[4:5], vcc
	s_cbranch_execz .LBB122_31
; %bb.28:
	v_add_u32_e32 v5, -1, v0
	v_add_u32_e32 v6, 0x1e0, v3
	v_mov_b32_e32 v7, v3
	v_mov_b32_e32 v2, 0
	s_mov_b64 s[8:9], 0
	v_mov_b32_e32 v8, 0
.LBB122_29:                             ; =>This Inner Loop Header: Depth=1
	buffer_load_dword v11, v7, s[0:3], 0 offen offset:4
	buffer_load_dword v12, v7, s[0:3], 0 offen
	ds_read_b64 v[9:10], v6
	v_add_u32_e32 v5, 1, v5
	v_cmp_lt_u32_e32 vcc, 2, v5
	v_add_u32_e32 v6, 8, v6
	v_add_u32_e32 v7, 8, v7
	s_or_b64 s[8:9], vcc, s[8:9]
	s_waitcnt vmcnt(1) lgkmcnt(0)
	v_mul_f32_e32 v13, v10, v11
	v_mul_f32_e32 v11, v9, v11
	s_waitcnt vmcnt(0)
	v_fma_f32 v9, v9, v12, -v13
	v_fmac_f32_e32 v11, v10, v12
	v_add_f32_e32 v8, v8, v9
	v_add_f32_e32 v2, v2, v11
	s_andn2_b64 exec, exec, s[8:9]
	s_cbranch_execnz .LBB122_29
; %bb.30:
	s_or_b64 exec, exec, s[8:9]
	v_mov_b32_e32 v5, 0
	ds_read_b64 v[5:6], v5 offset:32
	s_waitcnt lgkmcnt(0)
	v_mul_f32_e32 v7, v2, v6
	v_mul_f32_e32 v6, v8, v6
	v_fma_f32 v7, v8, v5, -v7
	v_fmac_f32_e32 v6, v2, v5
	buffer_store_dword v7, off, s[0:3], 0 offset:32
	buffer_store_dword v6, off, s[0:3], 0 offset:36
.LBB122_31:
	s_or_b64 exec, exec, s[4:5]
	; wave barrier
	buffer_load_dword v5, off, s[0:3], 0 offset:40
	buffer_load_dword v6, off, s[0:3], 0 offset:44
	v_cmp_gt_u32_e32 vcc, 5, v0
	s_waitcnt vmcnt(0)
	ds_write_b64 v4, v[5:6]
	;; [unrolled: 49-line block ×19, first 2 shown]
	s_waitcnt lgkmcnt(0)
	; wave barrier
	s_and_saveexec_b64 s[4:5], vcc
	s_cbranch_execz .LBB122_103
; %bb.100:
	v_add_u32_e32 v5, -1, v0
	v_add_u32_e32 v6, 0x1e0, v3
	v_mov_b32_e32 v7, v3
	v_mov_b32_e32 v2, 0
	s_mov_b64 s[8:9], 0
	v_mov_b32_e32 v8, 0
.LBB122_101:                            ; =>This Inner Loop Header: Depth=1
	buffer_load_dword v11, v7, s[0:3], 0 offen offset:4
	buffer_load_dword v12, v7, s[0:3], 0 offen
	ds_read_b64 v[9:10], v6
	v_add_u32_e32 v5, 1, v5
	v_cmp_lt_u32_e32 vcc, 20, v5
	v_add_u32_e32 v6, 8, v6
	v_add_u32_e32 v7, 8, v7
	s_or_b64 s[8:9], vcc, s[8:9]
	s_waitcnt vmcnt(1) lgkmcnt(0)
	v_mul_f32_e32 v13, v10, v11
	v_mul_f32_e32 v11, v9, v11
	s_waitcnt vmcnt(0)
	v_fma_f32 v9, v9, v12, -v13
	v_fmac_f32_e32 v11, v10, v12
	v_add_f32_e32 v8, v8, v9
	v_add_f32_e32 v2, v2, v11
	s_andn2_b64 exec, exec, s[8:9]
	s_cbranch_execnz .LBB122_101
; %bb.102:
	s_or_b64 exec, exec, s[8:9]
	v_mov_b32_e32 v5, 0
	ds_read_b64 v[5:6], v5 offset:176
	s_waitcnt lgkmcnt(0)
	v_mul_f32_e32 v7, v2, v6
	v_mul_f32_e32 v6, v8, v6
	v_fma_f32 v7, v8, v5, -v7
	v_fmac_f32_e32 v6, v2, v5
	buffer_store_dword v7, off, s[0:3], 0 offset:176
	buffer_store_dword v6, off, s[0:3], 0 offset:180
.LBB122_103:
	s_or_b64 exec, exec, s[4:5]
	; wave barrier
	buffer_load_dword v5, off, s[0:3], 0 offset:184
	buffer_load_dword v6, off, s[0:3], 0 offset:188
	v_cmp_gt_u32_e32 vcc, 23, v0
	s_waitcnt vmcnt(0)
	ds_write_b64 v4, v[5:6]
	s_waitcnt lgkmcnt(0)
	; wave barrier
	s_and_saveexec_b64 s[4:5], vcc
	s_cbranch_execz .LBB122_107
; %bb.104:
	v_add_u32_e32 v5, -1, v0
	v_add_u32_e32 v6, 0x1e0, v3
	v_mov_b32_e32 v7, v3
	v_mov_b32_e32 v2, 0
	s_mov_b64 s[8:9], 0
	v_mov_b32_e32 v8, 0
.LBB122_105:                            ; =>This Inner Loop Header: Depth=1
	buffer_load_dword v11, v7, s[0:3], 0 offen offset:4
	buffer_load_dword v12, v7, s[0:3], 0 offen
	ds_read_b64 v[9:10], v6
	v_add_u32_e32 v5, 1, v5
	v_cmp_lt_u32_e32 vcc, 21, v5
	v_add_u32_e32 v6, 8, v6
	v_add_u32_e32 v7, 8, v7
	s_or_b64 s[8:9], vcc, s[8:9]
	s_waitcnt vmcnt(1) lgkmcnt(0)
	v_mul_f32_e32 v13, v10, v11
	v_mul_f32_e32 v11, v9, v11
	s_waitcnt vmcnt(0)
	v_fma_f32 v9, v9, v12, -v13
	v_fmac_f32_e32 v11, v10, v12
	v_add_f32_e32 v8, v8, v9
	v_add_f32_e32 v2, v2, v11
	s_andn2_b64 exec, exec, s[8:9]
	s_cbranch_execnz .LBB122_105
; %bb.106:
	s_or_b64 exec, exec, s[8:9]
	v_mov_b32_e32 v5, 0
	ds_read_b64 v[5:6], v5 offset:184
	s_waitcnt lgkmcnt(0)
	v_mul_f32_e32 v7, v2, v6
	v_mul_f32_e32 v6, v8, v6
	v_fma_f32 v7, v8, v5, -v7
	v_fmac_f32_e32 v6, v2, v5
	buffer_store_dword v7, off, s[0:3], 0 offset:184
	buffer_store_dword v6, off, s[0:3], 0 offset:188
.LBB122_107:
	s_or_b64 exec, exec, s[4:5]
	; wave barrier
	buffer_load_dword v5, off, s[0:3], 0 offset:192
	buffer_load_dword v6, off, s[0:3], 0 offset:196
	v_cmp_gt_u32_e32 vcc, 24, v0
	s_waitcnt vmcnt(0)
	ds_write_b64 v4, v[5:6]
	;; [unrolled: 49-line block ×35, first 2 shown]
	s_waitcnt lgkmcnt(0)
	; wave barrier
	s_and_saveexec_b64 s[4:5], vcc
	s_cbranch_execz .LBB122_243
; %bb.240:
	v_add_u32_e32 v5, -1, v0
	v_add_u32_e32 v6, 0x1e0, v3
	v_mov_b32_e32 v7, v3
	v_mov_b32_e32 v2, 0
	s_mov_b64 s[8:9], 0
	v_mov_b32_e32 v8, 0
.LBB122_241:                            ; =>This Inner Loop Header: Depth=1
	buffer_load_dword v11, v7, s[0:3], 0 offen offset:4
	buffer_load_dword v12, v7, s[0:3], 0 offen
	ds_read_b64 v[9:10], v6
	v_add_u32_e32 v5, 1, v5
	v_cmp_lt_u32_e32 vcc, 55, v5
	v_add_u32_e32 v6, 8, v6
	v_add_u32_e32 v7, 8, v7
	s_or_b64 s[8:9], vcc, s[8:9]
	s_waitcnt vmcnt(1) lgkmcnt(0)
	v_mul_f32_e32 v13, v10, v11
	v_mul_f32_e32 v11, v9, v11
	s_waitcnt vmcnt(0)
	v_fma_f32 v9, v9, v12, -v13
	v_fmac_f32_e32 v11, v10, v12
	v_add_f32_e32 v8, v8, v9
	v_add_f32_e32 v2, v2, v11
	s_andn2_b64 exec, exec, s[8:9]
	s_cbranch_execnz .LBB122_241
; %bb.242:
	s_or_b64 exec, exec, s[8:9]
	v_mov_b32_e32 v5, 0
	ds_read_b64 v[5:6], v5 offset:456
	s_waitcnt lgkmcnt(0)
	v_mul_f32_e32 v7, v2, v6
	v_mul_f32_e32 v6, v8, v6
	v_fma_f32 v7, v8, v5, -v7
	v_fmac_f32_e32 v6, v2, v5
	buffer_store_dword v7, off, s[0:3], 0 offset:456
	buffer_store_dword v6, off, s[0:3], 0 offset:460
.LBB122_243:
	s_or_b64 exec, exec, s[4:5]
	; wave barrier
	buffer_load_dword v5, off, s[0:3], 0 offset:464
	buffer_load_dword v6, off, s[0:3], 0 offset:468
	v_cmp_ne_u32_e32 vcc, 58, v0
	s_waitcnt vmcnt(0)
	ds_write_b64 v4, v[5:6]
	s_waitcnt lgkmcnt(0)
	; wave barrier
	s_and_saveexec_b64 s[4:5], vcc
	s_cbranch_execz .LBB122_247
; %bb.244:
	v_add_u32_e32 v4, 0x1e0, v3
	v_mov_b32_e32 v2, 0
	s_mov_b64 s[8:9], 0
	v_mov_b32_e32 v5, 0
.LBB122_245:                            ; =>This Inner Loop Header: Depth=1
	buffer_load_dword v8, v3, s[0:3], 0 offen offset:4
	buffer_load_dword v9, v3, s[0:3], 0 offen
	ds_read_b64 v[6:7], v4
	v_add_u32_e32 v1, 1, v1
	v_cmp_lt_u32_e32 vcc, 56, v1
	v_add_u32_e32 v4, 8, v4
	v_add_u32_e32 v3, 8, v3
	s_or_b64 s[8:9], vcc, s[8:9]
	s_waitcnt vmcnt(1) lgkmcnt(0)
	v_mul_f32_e32 v10, v7, v8
	v_mul_f32_e32 v8, v6, v8
	s_waitcnt vmcnt(0)
	v_fma_f32 v6, v6, v9, -v10
	v_fmac_f32_e32 v8, v7, v9
	v_add_f32_e32 v5, v5, v6
	v_add_f32_e32 v2, v2, v8
	s_andn2_b64 exec, exec, s[8:9]
	s_cbranch_execnz .LBB122_245
; %bb.246:
	s_or_b64 exec, exec, s[8:9]
	v_mov_b32_e32 v1, 0
	ds_read_b64 v[3:4], v1 offset:464
	s_waitcnt lgkmcnt(0)
	v_mul_f32_e32 v1, v2, v4
	v_mul_f32_e32 v4, v5, v4
	v_fma_f32 v1, v5, v3, -v1
	v_fmac_f32_e32 v4, v2, v3
	buffer_store_dword v1, off, s[0:3], 0 offset:464
	buffer_store_dword v4, off, s[0:3], 0 offset:468
.LBB122_247:
	s_or_b64 exec, exec, s[4:5]
	s_mov_b64 s[8:9], -1
	; wave barrier
.LBB122_248:
	s_and_b64 vcc, exec, s[8:9]
	s_cbranch_vccz .LBB122_250
; %bb.249:
	s_lshl_b64 s[4:5], s[6:7], 2
	s_add_u32 s4, s10, s4
	s_addc_u32 s5, s11, s5
	v_mov_b32_e32 v1, 0
	global_load_dword v1, v1, s[4:5]
	s_waitcnt vmcnt(0)
	v_cmp_ne_u32_e32 vcc, 0, v1
	s_cbranch_vccz .LBB122_251
.LBB122_250:
	s_endpgm
.LBB122_251:
	v_mov_b32_e32 v1, 0x1e0
	v_lshl_add_u32 v1, v0, 3, v1
	v_cmp_eq_u32_e32 vcc, 58, v0
	s_and_saveexec_b64 s[4:5], vcc
	s_cbranch_execz .LBB122_253
; %bb.252:
	buffer_load_dword v2, off, s[0:3], 0 offset:456
	buffer_load_dword v3, off, s[0:3], 0 offset:460
	v_mov_b32_e32 v4, 0
	buffer_store_dword v4, off, s[0:3], 0 offset:456
	buffer_store_dword v4, off, s[0:3], 0 offset:460
	s_waitcnt vmcnt(2)
	ds_write_b64 v1, v[2:3]
.LBB122_253:
	s_or_b64 exec, exec, s[4:5]
	s_waitcnt lgkmcnt(0)
	; wave barrier
	buffer_load_dword v5, off, s[0:3], 0 offset:468
	buffer_load_dword v6, off, s[0:3], 0 offset:464
	;; [unrolled: 1-line block ×4, first 2 shown]
	v_mov_b32_e32 v2, 0
	ds_read_b64 v[3:4], v2 offset:944
	v_cmp_lt_u32_e32 vcc, 56, v0
	s_waitcnt vmcnt(3) lgkmcnt(0)
	v_mul_f32_e32 v9, v3, v5
	v_mul_f32_e32 v5, v4, v5
	s_waitcnt vmcnt(2)
	v_fma_f32 v3, v3, v6, -v5
	v_fmac_f32_e32 v9, v4, v6
	v_add_f32_e32 v3, 0, v3
	v_add_f32_e32 v4, 0, v9
	s_waitcnt vmcnt(1)
	v_sub_f32_e32 v3, v7, v3
	s_waitcnt vmcnt(0)
	v_sub_f32_e32 v4, v8, v4
	buffer_store_dword v3, off, s[0:3], 0 offset:456
	buffer_store_dword v4, off, s[0:3], 0 offset:460
	s_and_saveexec_b64 s[4:5], vcc
	s_cbranch_execz .LBB122_255
; %bb.254:
	buffer_load_dword v3, off, s[0:3], 0 offset:448
	buffer_load_dword v4, off, s[0:3], 0 offset:452
	s_waitcnt vmcnt(0)
	ds_write_b64 v1, v[3:4]
	buffer_store_dword v2, off, s[0:3], 0 offset:448
	buffer_store_dword v2, off, s[0:3], 0 offset:452
.LBB122_255:
	s_or_b64 exec, exec, s[4:5]
	s_waitcnt lgkmcnt(0)
	; wave barrier
	buffer_load_dword v6, off, s[0:3], 0 offset:460
	buffer_load_dword v7, off, s[0:3], 0 offset:468
	;; [unrolled: 1-line block ×6, first 2 shown]
	ds_read2_b64 v[2:5], v2 offset0:117 offset1:118
	v_cmp_lt_u32_e32 vcc, 55, v0
	s_waitcnt vmcnt(5) lgkmcnt(0)
	v_mul_f32_e32 v12, v2, v6
	v_mul_f32_e32 v6, v3, v6
	s_waitcnt vmcnt(4)
	v_mul_f32_e32 v13, v4, v7
	v_mul_f32_e32 v7, v5, v7
	s_waitcnt vmcnt(3)
	v_fma_f32 v2, v2, v8, -v6
	v_fmac_f32_e32 v12, v3, v8
	s_waitcnt vmcnt(2)
	v_fma_f32 v3, v4, v9, -v7
	v_add_f32_e32 v2, 0, v2
	v_fmac_f32_e32 v13, v5, v9
	v_add_f32_e32 v4, 0, v12
	v_add_f32_e32 v2, v2, v3
	;; [unrolled: 1-line block ×3, first 2 shown]
	s_waitcnt vmcnt(1)
	v_sub_f32_e32 v2, v10, v2
	s_waitcnt vmcnt(0)
	v_sub_f32_e32 v3, v11, v4
	buffer_store_dword v2, off, s[0:3], 0 offset:448
	buffer_store_dword v3, off, s[0:3], 0 offset:452
	s_and_saveexec_b64 s[4:5], vcc
	s_cbranch_execz .LBB122_257
; %bb.256:
	buffer_load_dword v2, off, s[0:3], 0 offset:440
	buffer_load_dword v3, off, s[0:3], 0 offset:444
	v_mov_b32_e32 v4, 0
	buffer_store_dword v4, off, s[0:3], 0 offset:440
	buffer_store_dword v4, off, s[0:3], 0 offset:444
	s_waitcnt vmcnt(2)
	ds_write_b64 v1, v[2:3]
.LBB122_257:
	s_or_b64 exec, exec, s[4:5]
	s_waitcnt lgkmcnt(0)
	; wave barrier
	buffer_load_dword v9, off, s[0:3], 0 offset:452
	buffer_load_dword v10, off, s[0:3], 0 offset:460
	;; [unrolled: 1-line block ×8, first 2 shown]
	v_mov_b32_e32 v2, 0
	ds_read_b128 v[3:6], v2 offset:928
	ds_read_b64 v[7:8], v2 offset:944
	v_cmp_lt_u32_e32 vcc, 54, v0
	s_waitcnt vmcnt(7) lgkmcnt(1)
	v_mul_f32_e32 v17, v3, v9
	v_mul_f32_e32 v9, v4, v9
	s_waitcnt vmcnt(6)
	v_mul_f32_e32 v18, v5, v10
	v_mul_f32_e32 v10, v6, v10
	s_waitcnt vmcnt(4)
	v_fma_f32 v3, v3, v12, -v9
	s_waitcnt lgkmcnt(0)
	v_mul_f32_e32 v19, v7, v11
	v_mul_f32_e32 v11, v8, v11
	v_fmac_f32_e32 v17, v4, v12
	s_waitcnt vmcnt(3)
	v_fma_f32 v4, v5, v13, -v10
	v_add_f32_e32 v3, 0, v3
	v_fmac_f32_e32 v18, v6, v13
	s_waitcnt vmcnt(2)
	v_fma_f32 v5, v7, v14, -v11
	v_add_f32_e32 v6, 0, v17
	v_add_f32_e32 v3, v3, v4
	v_fmac_f32_e32 v19, v8, v14
	v_add_f32_e32 v6, v6, v18
	v_add_f32_e32 v3, v3, v5
	;; [unrolled: 1-line block ×3, first 2 shown]
	s_waitcnt vmcnt(1)
	v_sub_f32_e32 v3, v15, v3
	s_waitcnt vmcnt(0)
	v_sub_f32_e32 v4, v16, v4
	buffer_store_dword v3, off, s[0:3], 0 offset:440
	buffer_store_dword v4, off, s[0:3], 0 offset:444
	s_and_saveexec_b64 s[4:5], vcc
	s_cbranch_execz .LBB122_259
; %bb.258:
	buffer_load_dword v3, off, s[0:3], 0 offset:432
	buffer_load_dword v4, off, s[0:3], 0 offset:436
	s_waitcnt vmcnt(0)
	ds_write_b64 v1, v[3:4]
	buffer_store_dword v2, off, s[0:3], 0 offset:432
	buffer_store_dword v2, off, s[0:3], 0 offset:436
.LBB122_259:
	s_or_b64 exec, exec, s[4:5]
	s_waitcnt lgkmcnt(0)
	; wave barrier
	buffer_load_dword v11, off, s[0:3], 0 offset:444
	buffer_load_dword v12, off, s[0:3], 0 offset:452
	;; [unrolled: 1-line block ×10, first 2 shown]
	ds_read2_b64 v[3:6], v2 offset0:115 offset1:116
	ds_read2_b64 v[7:10], v2 offset0:117 offset1:118
	v_cmp_lt_u32_e32 vcc, 53, v0
	s_waitcnt vmcnt(9) lgkmcnt(1)
	v_mul_f32_e32 v2, v3, v11
	v_mul_f32_e32 v11, v4, v11
	s_waitcnt vmcnt(8)
	v_mul_f32_e32 v21, v5, v12
	v_mul_f32_e32 v12, v6, v12
	s_waitcnt vmcnt(5)
	v_fma_f32 v3, v3, v15, -v11
	s_waitcnt lgkmcnt(0)
	v_mul_f32_e32 v22, v7, v13
	v_mul_f32_e32 v13, v8, v13
	v_fmac_f32_e32 v2, v4, v15
	s_waitcnt vmcnt(4)
	v_fma_f32 v4, v5, v16, -v12
	v_add_f32_e32 v3, 0, v3
	v_mul_f32_e32 v23, v9, v14
	v_mul_f32_e32 v14, v10, v14
	v_fmac_f32_e32 v21, v6, v16
	s_waitcnt vmcnt(3)
	v_fma_f32 v5, v7, v17, -v13
	v_add_f32_e32 v2, 0, v2
	v_add_f32_e32 v3, v3, v4
	v_fmac_f32_e32 v22, v8, v17
	s_waitcnt vmcnt(2)
	v_fma_f32 v6, v9, v18, -v14
	v_add_f32_e32 v2, v2, v21
	v_add_f32_e32 v3, v3, v5
	v_fmac_f32_e32 v23, v10, v18
	v_add_f32_e32 v2, v2, v22
	v_add_f32_e32 v3, v3, v6
	;; [unrolled: 1-line block ×3, first 2 shown]
	s_waitcnt vmcnt(1)
	v_sub_f32_e32 v3, v19, v3
	s_waitcnt vmcnt(0)
	v_sub_f32_e32 v2, v20, v2
	buffer_store_dword v3, off, s[0:3], 0 offset:432
	buffer_store_dword v2, off, s[0:3], 0 offset:436
	s_and_saveexec_b64 s[4:5], vcc
	s_cbranch_execz .LBB122_261
; %bb.260:
	buffer_load_dword v2, off, s[0:3], 0 offset:424
	buffer_load_dword v3, off, s[0:3], 0 offset:428
	v_mov_b32_e32 v4, 0
	buffer_store_dword v4, off, s[0:3], 0 offset:424
	buffer_store_dword v4, off, s[0:3], 0 offset:428
	s_waitcnt vmcnt(2)
	ds_write_b64 v1, v[2:3]
.LBB122_261:
	s_or_b64 exec, exec, s[4:5]
	s_waitcnt lgkmcnt(0)
	; wave barrier
	buffer_load_dword v13, off, s[0:3], 0 offset:436
	buffer_load_dword v14, off, s[0:3], 0 offset:444
	;; [unrolled: 1-line block ×12, first 2 shown]
	v_mov_b32_e32 v2, 0
	ds_read_b128 v[3:6], v2 offset:912
	ds_read_b128 v[7:10], v2 offset:928
	ds_read_b64 v[11:12], v2 offset:944
	v_cmp_lt_u32_e32 vcc, 52, v0
	s_waitcnt vmcnt(11) lgkmcnt(2)
	v_mul_f32_e32 v27, v3, v13
	v_mul_f32_e32 v13, v4, v13
	s_waitcnt vmcnt(10)
	v_mul_f32_e32 v28, v5, v14
	v_mul_f32_e32 v14, v6, v14
	s_waitcnt vmcnt(9) lgkmcnt(1)
	v_mul_f32_e32 v29, v7, v15
	s_waitcnt vmcnt(6)
	v_fma_f32 v3, v3, v18, -v13
	v_mul_f32_e32 v15, v8, v15
	v_fmac_f32_e32 v27, v4, v18
	s_waitcnt vmcnt(5)
	v_fma_f32 v4, v5, v19, -v14
	v_add_f32_e32 v3, 0, v3
	v_mul_f32_e32 v30, v9, v16
	v_mul_f32_e32 v16, v10, v16
	v_fmac_f32_e32 v28, v6, v19
	s_waitcnt vmcnt(4)
	v_fmac_f32_e32 v29, v8, v20
	v_fma_f32 v5, v7, v20, -v15
	v_add_f32_e32 v8, 0, v27
	v_add_f32_e32 v3, v3, v4
	s_waitcnt lgkmcnt(0)
	v_mul_f32_e32 v31, v11, v17
	v_mul_f32_e32 v17, v12, v17
	s_waitcnt vmcnt(3)
	v_fma_f32 v6, v9, v21, -v16
	v_add_f32_e32 v8, v8, v28
	v_add_f32_e32 v3, v3, v5
	v_fmac_f32_e32 v30, v10, v21
	s_waitcnt vmcnt(2)
	v_fma_f32 v7, v11, v22, -v17
	v_add_f32_e32 v4, v8, v29
	v_add_f32_e32 v3, v3, v6
	v_fmac_f32_e32 v31, v12, v22
	v_add_f32_e32 v4, v4, v30
	v_add_f32_e32 v3, v3, v7
	;; [unrolled: 1-line block ×3, first 2 shown]
	s_waitcnt vmcnt(1)
	v_sub_f32_e32 v3, v23, v3
	s_waitcnt vmcnt(0)
	v_sub_f32_e32 v4, v26, v4
	buffer_store_dword v3, off, s[0:3], 0 offset:424
	buffer_store_dword v4, off, s[0:3], 0 offset:428
	s_and_saveexec_b64 s[4:5], vcc
	s_cbranch_execz .LBB122_263
; %bb.262:
	buffer_load_dword v3, off, s[0:3], 0 offset:416
	buffer_load_dword v4, off, s[0:3], 0 offset:420
	s_waitcnt vmcnt(0)
	ds_write_b64 v1, v[3:4]
	buffer_store_dword v2, off, s[0:3], 0 offset:416
	buffer_store_dword v2, off, s[0:3], 0 offset:420
.LBB122_263:
	s_or_b64 exec, exec, s[4:5]
	s_waitcnt lgkmcnt(0)
	; wave barrier
	buffer_load_dword v15, off, s[0:3], 0 offset:428
	buffer_load_dword v16, off, s[0:3], 0 offset:436
	buffer_load_dword v17, off, s[0:3], 0 offset:444
	buffer_load_dword v18, off, s[0:3], 0 offset:452
	buffer_load_dword v19, off, s[0:3], 0 offset:460
	buffer_load_dword v20, off, s[0:3], 0 offset:468
	buffer_load_dword v21, off, s[0:3], 0 offset:424
	buffer_load_dword v22, off, s[0:3], 0 offset:432
	buffer_load_dword v23, off, s[0:3], 0 offset:440
	buffer_load_dword v26, off, s[0:3], 0 offset:448
	buffer_load_dword v27, off, s[0:3], 0 offset:456
	buffer_load_dword v28, off, s[0:3], 0 offset:464
	buffer_load_dword v29, off, s[0:3], 0 offset:416
	buffer_load_dword v30, off, s[0:3], 0 offset:420
	ds_read2_b64 v[3:6], v2 offset0:113 offset1:114
	ds_read2_b64 v[7:10], v2 offset0:115 offset1:116
	;; [unrolled: 1-line block ×3, first 2 shown]
	v_cmp_lt_u32_e32 vcc, 51, v0
	s_waitcnt vmcnt(13) lgkmcnt(2)
	v_mul_f32_e32 v2, v3, v15
	v_mul_f32_e32 v15, v4, v15
	s_waitcnt vmcnt(12)
	v_mul_f32_e32 v31, v5, v16
	v_mul_f32_e32 v16, v6, v16
	s_waitcnt vmcnt(11) lgkmcnt(1)
	v_mul_f32_e32 v32, v7, v17
	v_mul_f32_e32 v17, v8, v17
	s_waitcnt vmcnt(7)
	v_fma_f32 v3, v3, v21, -v15
	v_fmac_f32_e32 v2, v4, v21
	s_waitcnt vmcnt(6)
	v_fma_f32 v4, v5, v22, -v16
	v_add_f32_e32 v3, 0, v3
	v_mul_f32_e32 v33, v9, v18
	v_mul_f32_e32 v18, v10, v18
	v_fmac_f32_e32 v31, v6, v22
	s_waitcnt vmcnt(5)
	v_fma_f32 v5, v7, v23, -v17
	v_add_f32_e32 v2, 0, v2
	v_add_f32_e32 v3, v3, v4
	s_waitcnt lgkmcnt(0)
	v_mul_f32_e32 v34, v11, v19
	v_mul_f32_e32 v19, v12, v19
	v_fmac_f32_e32 v32, v8, v23
	s_waitcnt vmcnt(4)
	v_fma_f32 v6, v9, v26, -v18
	v_add_f32_e32 v2, v2, v31
	v_add_f32_e32 v3, v3, v5
	v_mul_f32_e32 v35, v13, v20
	v_mul_f32_e32 v20, v14, v20
	v_fmac_f32_e32 v33, v10, v26
	s_waitcnt vmcnt(3)
	v_fma_f32 v7, v11, v27, -v19
	v_add_f32_e32 v2, v2, v32
	v_add_f32_e32 v3, v3, v6
	v_fmac_f32_e32 v34, v12, v27
	s_waitcnt vmcnt(2)
	v_fma_f32 v8, v13, v28, -v20
	v_add_f32_e32 v2, v2, v33
	v_add_f32_e32 v3, v3, v7
	v_fmac_f32_e32 v35, v14, v28
	v_add_f32_e32 v2, v2, v34
	v_add_f32_e32 v3, v3, v8
	;; [unrolled: 1-line block ×3, first 2 shown]
	s_waitcnt vmcnt(1)
	v_sub_f32_e32 v3, v29, v3
	s_waitcnt vmcnt(0)
	v_sub_f32_e32 v2, v30, v2
	buffer_store_dword v3, off, s[0:3], 0 offset:416
	buffer_store_dword v2, off, s[0:3], 0 offset:420
	s_and_saveexec_b64 s[4:5], vcc
	s_cbranch_execz .LBB122_265
; %bb.264:
	buffer_load_dword v2, off, s[0:3], 0 offset:408
	buffer_load_dword v3, off, s[0:3], 0 offset:412
	v_mov_b32_e32 v4, 0
	buffer_store_dword v4, off, s[0:3], 0 offset:408
	buffer_store_dword v4, off, s[0:3], 0 offset:412
	s_waitcnt vmcnt(2)
	ds_write_b64 v1, v[2:3]
.LBB122_265:
	s_or_b64 exec, exec, s[4:5]
	s_waitcnt lgkmcnt(0)
	; wave barrier
	buffer_load_dword v17, off, s[0:3], 0 offset:420
	buffer_load_dword v18, off, s[0:3], 0 offset:428
	;; [unrolled: 1-line block ×16, first 2 shown]
	v_mov_b32_e32 v2, 0
	ds_read_b128 v[3:6], v2 offset:896
	ds_read_b128 v[7:10], v2 offset:912
	;; [unrolled: 1-line block ×3, first 2 shown]
	ds_read_b64 v[15:16], v2 offset:944
	v_cmp_lt_u32_e32 vcc, 50, v0
	s_waitcnt vmcnt(15) lgkmcnt(3)
	v_mul_f32_e32 v35, v3, v17
	v_mul_f32_e32 v17, v4, v17
	s_waitcnt vmcnt(14)
	v_mul_f32_e32 v36, v5, v18
	v_mul_f32_e32 v18, v6, v18
	s_waitcnt vmcnt(13) lgkmcnt(2)
	v_mul_f32_e32 v37, v7, v19
	s_waitcnt vmcnt(12)
	v_mul_f32_e32 v38, v9, v20
	v_mul_f32_e32 v19, v8, v19
	s_waitcnt vmcnt(8)
	v_fma_f32 v3, v3, v26, -v17
	v_fmac_f32_e32 v35, v4, v26
	s_waitcnt vmcnt(7)
	v_fma_f32 v4, v5, v27, -v18
	v_add_f32_e32 v3, 0, v3
	v_mul_f32_e32 v20, v10, v20
	v_fmac_f32_e32 v36, v6, v27
	s_waitcnt vmcnt(5)
	v_fmac_f32_e32 v38, v10, v29
	v_fma_f32 v5, v7, v28, -v19
	v_add_f32_e32 v10, 0, v35
	v_add_f32_e32 v3, v3, v4
	s_waitcnt lgkmcnt(1)
	v_mul_f32_e32 v39, v11, v21
	v_mul_f32_e32 v21, v12, v21
	v_fmac_f32_e32 v37, v8, v28
	v_fma_f32 v6, v9, v29, -v20
	v_add_f32_e32 v10, v10, v36
	v_add_f32_e32 v3, v3, v5
	v_mul_f32_e32 v40, v13, v22
	v_mul_f32_e32 v22, v14, v22
	s_waitcnt vmcnt(4)
	v_fma_f32 v7, v11, v30, -v21
	v_add_f32_e32 v4, v10, v37
	v_add_f32_e32 v3, v3, v6
	s_waitcnt lgkmcnt(0)
	v_mul_f32_e32 v41, v15, v23
	v_mul_f32_e32 v23, v16, v23
	v_fmac_f32_e32 v39, v12, v30
	s_waitcnt vmcnt(3)
	v_fma_f32 v8, v13, v31, -v22
	v_add_f32_e32 v4, v4, v38
	v_add_f32_e32 v3, v3, v7
	v_fmac_f32_e32 v40, v14, v31
	s_waitcnt vmcnt(2)
	v_fma_f32 v9, v15, v32, -v23
	v_add_f32_e32 v4, v4, v39
	v_add_f32_e32 v3, v3, v8
	v_fmac_f32_e32 v41, v16, v32
	v_add_f32_e32 v4, v4, v40
	v_add_f32_e32 v3, v3, v9
	;; [unrolled: 1-line block ×3, first 2 shown]
	s_waitcnt vmcnt(1)
	v_sub_f32_e32 v3, v33, v3
	s_waitcnt vmcnt(0)
	v_sub_f32_e32 v4, v34, v4
	buffer_store_dword v3, off, s[0:3], 0 offset:408
	buffer_store_dword v4, off, s[0:3], 0 offset:412
	s_and_saveexec_b64 s[4:5], vcc
	s_cbranch_execz .LBB122_267
; %bb.266:
	buffer_load_dword v3, off, s[0:3], 0 offset:400
	buffer_load_dword v4, off, s[0:3], 0 offset:404
	s_waitcnt vmcnt(0)
	ds_write_b64 v1, v[3:4]
	buffer_store_dword v2, off, s[0:3], 0 offset:400
	buffer_store_dword v2, off, s[0:3], 0 offset:404
.LBB122_267:
	s_or_b64 exec, exec, s[4:5]
	s_waitcnt lgkmcnt(0)
	; wave barrier
	buffer_load_dword v19, off, s[0:3], 0 offset:412
	buffer_load_dword v20, off, s[0:3], 0 offset:420
	;; [unrolled: 1-line block ×18, first 2 shown]
	ds_read2_b64 v[3:6], v2 offset0:111 offset1:112
	ds_read2_b64 v[7:10], v2 offset0:113 offset1:114
	;; [unrolled: 1-line block ×4, first 2 shown]
	v_cmp_lt_u32_e32 vcc, 49, v0
	s_waitcnt vmcnt(17) lgkmcnt(3)
	v_mul_f32_e32 v2, v3, v19
	v_mul_f32_e32 v19, v4, v19
	s_waitcnt vmcnt(16)
	v_mul_f32_e32 v39, v5, v20
	v_mul_f32_e32 v20, v6, v20
	s_waitcnt vmcnt(15) lgkmcnt(2)
	v_mul_f32_e32 v40, v7, v21
	v_mul_f32_e32 v21, v8, v21
	s_waitcnt vmcnt(14)
	v_mul_f32_e32 v41, v9, v22
	v_mul_f32_e32 v22, v10, v22
	s_waitcnt vmcnt(9)
	v_fma_f32 v3, v3, v29, -v19
	v_fmac_f32_e32 v2, v4, v29
	s_waitcnt vmcnt(8)
	v_fma_f32 v4, v5, v30, -v20
	v_add_f32_e32 v3, 0, v3
	v_fmac_f32_e32 v39, v6, v30
	s_waitcnt vmcnt(7)
	v_fma_f32 v5, v7, v31, -v21
	v_add_f32_e32 v2, 0, v2
	v_add_f32_e32 v3, v3, v4
	s_waitcnt lgkmcnt(1)
	v_mul_f32_e32 v42, v11, v23
	v_mul_f32_e32 v23, v12, v23
	v_fmac_f32_e32 v40, v8, v31
	s_waitcnt vmcnt(6)
	v_fma_f32 v6, v9, v32, -v22
	v_add_f32_e32 v2, v2, v39
	v_add_f32_e32 v3, v3, v5
	v_mul_f32_e32 v43, v13, v26
	v_mul_f32_e32 v26, v14, v26
	v_fmac_f32_e32 v41, v10, v32
	s_waitcnt vmcnt(5)
	v_fma_f32 v7, v11, v33, -v23
	v_add_f32_e32 v2, v2, v40
	v_add_f32_e32 v3, v3, v6
	s_waitcnt lgkmcnt(0)
	v_mul_f32_e32 v44, v15, v27
	v_mul_f32_e32 v27, v16, v27
	v_fmac_f32_e32 v42, v12, v33
	s_waitcnt vmcnt(4)
	v_fma_f32 v8, v13, v34, -v26
	v_add_f32_e32 v2, v2, v41
	v_add_f32_e32 v3, v3, v7
	v_mul_f32_e32 v45, v17, v28
	v_mul_f32_e32 v28, v18, v28
	v_fmac_f32_e32 v43, v14, v34
	s_waitcnt vmcnt(3)
	v_fma_f32 v9, v15, v35, -v27
	v_add_f32_e32 v2, v2, v42
	v_add_f32_e32 v3, v3, v8
	v_fmac_f32_e32 v44, v16, v35
	s_waitcnt vmcnt(2)
	v_fma_f32 v10, v17, v36, -v28
	v_add_f32_e32 v2, v2, v43
	v_add_f32_e32 v3, v3, v9
	v_fmac_f32_e32 v45, v18, v36
	v_add_f32_e32 v2, v2, v44
	v_add_f32_e32 v3, v3, v10
	;; [unrolled: 1-line block ×3, first 2 shown]
	s_waitcnt vmcnt(1)
	v_sub_f32_e32 v3, v37, v3
	s_waitcnt vmcnt(0)
	v_sub_f32_e32 v2, v38, v2
	buffer_store_dword v3, off, s[0:3], 0 offset:400
	buffer_store_dword v2, off, s[0:3], 0 offset:404
	s_and_saveexec_b64 s[4:5], vcc
	s_cbranch_execz .LBB122_269
; %bb.268:
	buffer_load_dword v2, off, s[0:3], 0 offset:392
	buffer_load_dword v3, off, s[0:3], 0 offset:396
	v_mov_b32_e32 v4, 0
	buffer_store_dword v4, off, s[0:3], 0 offset:392
	buffer_store_dword v4, off, s[0:3], 0 offset:396
	s_waitcnt vmcnt(2)
	ds_write_b64 v1, v[2:3]
.LBB122_269:
	s_or_b64 exec, exec, s[4:5]
	s_waitcnt lgkmcnt(0)
	; wave barrier
	buffer_load_dword v21, off, s[0:3], 0 offset:404
	buffer_load_dword v22, off, s[0:3], 0 offset:412
	;; [unrolled: 1-line block ×20, first 2 shown]
	v_mov_b32_e32 v2, 0
	ds_read_b128 v[3:6], v2 offset:880
	ds_read_b128 v[7:10], v2 offset:896
	;; [unrolled: 1-line block ×4, first 2 shown]
	ds_read_b64 v[19:20], v2 offset:944
	v_cmp_lt_u32_e32 vcc, 48, v0
	s_waitcnt vmcnt(19) lgkmcnt(4)
	v_mul_f32_e32 v43, v3, v21
	v_mul_f32_e32 v21, v4, v21
	s_waitcnt vmcnt(18)
	v_mul_f32_e32 v44, v5, v22
	v_mul_f32_e32 v22, v6, v22
	s_waitcnt vmcnt(17) lgkmcnt(3)
	v_mul_f32_e32 v45, v7, v23
	s_waitcnt vmcnt(15) lgkmcnt(2)
	v_mul_f32_e32 v47, v11, v27
	v_mul_f32_e32 v23, v8, v23
	;; [unrolled: 1-line block ×4, first 2 shown]
	s_waitcnt vmcnt(10)
	v_fma_f32 v3, v3, v32, -v21
	v_fmac_f32_e32 v43, v4, v32
	s_waitcnt vmcnt(9)
	v_fma_f32 v4, v5, v33, -v22
	v_add_f32_e32 v3, 0, v3
	v_mul_f32_e32 v27, v12, v27
	v_fmac_f32_e32 v44, v6, v33
	s_waitcnt vmcnt(6)
	v_fmac_f32_e32 v47, v12, v36
	v_fma_f32 v5, v7, v34, -v23
	v_add_f32_e32 v12, 0, v43
	v_add_f32_e32 v3, v3, v4
	v_fmac_f32_e32 v45, v8, v34
	v_fma_f32 v6, v9, v35, -v26
	v_add_f32_e32 v12, v12, v44
	v_add_f32_e32 v3, v3, v5
	v_mul_f32_e32 v48, v13, v28
	v_mul_f32_e32 v28, v14, v28
	v_fmac_f32_e32 v46, v10, v35
	v_fma_f32 v7, v11, v36, -v27
	v_add_f32_e32 v4, v12, v45
	v_add_f32_e32 v3, v3, v6
	s_waitcnt lgkmcnt(1)
	v_mul_f32_e32 v49, v15, v29
	v_mul_f32_e32 v29, v16, v29
	s_waitcnt vmcnt(5)
	v_fma_f32 v8, v13, v37, -v28
	v_add_f32_e32 v4, v4, v46
	v_add_f32_e32 v3, v3, v7
	v_mul_f32_e32 v50, v17, v30
	v_mul_f32_e32 v30, v18, v30
	v_fmac_f32_e32 v48, v14, v37
	s_waitcnt vmcnt(4)
	v_fma_f32 v9, v15, v38, -v29
	v_add_f32_e32 v4, v4, v47
	v_add_f32_e32 v3, v3, v8
	s_waitcnt lgkmcnt(0)
	v_mul_f32_e32 v51, v19, v31
	v_mul_f32_e32 v31, v20, v31
	v_fmac_f32_e32 v49, v16, v38
	s_waitcnt vmcnt(3)
	v_fma_f32 v10, v17, v39, -v30
	v_add_f32_e32 v4, v4, v48
	v_add_f32_e32 v3, v3, v9
	v_fmac_f32_e32 v50, v18, v39
	s_waitcnt vmcnt(2)
	v_fma_f32 v11, v19, v40, -v31
	v_add_f32_e32 v4, v4, v49
	v_add_f32_e32 v3, v3, v10
	v_fmac_f32_e32 v51, v20, v40
	v_add_f32_e32 v4, v4, v50
	v_add_f32_e32 v3, v3, v11
	;; [unrolled: 1-line block ×3, first 2 shown]
	s_waitcnt vmcnt(1)
	v_sub_f32_e32 v3, v41, v3
	s_waitcnt vmcnt(0)
	v_sub_f32_e32 v4, v42, v4
	buffer_store_dword v3, off, s[0:3], 0 offset:392
	buffer_store_dword v4, off, s[0:3], 0 offset:396
	s_and_saveexec_b64 s[4:5], vcc
	s_cbranch_execz .LBB122_271
; %bb.270:
	buffer_load_dword v3, off, s[0:3], 0 offset:384
	buffer_load_dword v4, off, s[0:3], 0 offset:388
	s_waitcnt vmcnt(0)
	ds_write_b64 v1, v[3:4]
	buffer_store_dword v2, off, s[0:3], 0 offset:384
	buffer_store_dword v2, off, s[0:3], 0 offset:388
.LBB122_271:
	s_or_b64 exec, exec, s[4:5]
	s_waitcnt lgkmcnt(0)
	; wave barrier
	buffer_load_dword v23, off, s[0:3], 0 offset:396
	buffer_load_dword v26, off, s[0:3], 0 offset:404
	;; [unrolled: 1-line block ×22, first 2 shown]
	ds_read2_b64 v[3:6], v2 offset0:109 offset1:110
	ds_read2_b64 v[7:10], v2 offset0:111 offset1:112
	;; [unrolled: 1-line block ×5, first 2 shown]
	v_cmp_lt_u32_e32 vcc, 47, v0
	s_waitcnt vmcnt(21) lgkmcnt(4)
	v_mul_f32_e32 v2, v3, v23
	v_mul_f32_e32 v23, v4, v23
	s_waitcnt vmcnt(20)
	v_mul_f32_e32 v47, v5, v26
	v_mul_f32_e32 v26, v6, v26
	s_waitcnt vmcnt(19) lgkmcnt(3)
	v_mul_f32_e32 v48, v7, v27
	v_mul_f32_e32 v27, v8, v27
	s_waitcnt vmcnt(18)
	v_mul_f32_e32 v49, v9, v28
	v_mul_f32_e32 v28, v10, v28
	s_waitcnt vmcnt(17) lgkmcnt(2)
	v_mul_f32_e32 v50, v11, v29
	v_mul_f32_e32 v29, v12, v29
	s_waitcnt vmcnt(11)
	v_fma_f32 v3, v3, v35, -v23
	v_fmac_f32_e32 v2, v4, v35
	s_waitcnt vmcnt(10)
	v_fma_f32 v4, v5, v36, -v26
	v_add_f32_e32 v3, 0, v3
	v_fmac_f32_e32 v47, v6, v36
	s_waitcnt vmcnt(9)
	v_fma_f32 v5, v7, v37, -v27
	v_add_f32_e32 v2, 0, v2
	v_add_f32_e32 v3, v3, v4
	v_fmac_f32_e32 v48, v8, v37
	s_waitcnt vmcnt(8)
	v_fma_f32 v6, v9, v38, -v28
	v_add_f32_e32 v2, v2, v47
	v_add_f32_e32 v3, v3, v5
	v_mul_f32_e32 v51, v13, v30
	v_mul_f32_e32 v30, v14, v30
	v_fmac_f32_e32 v49, v10, v38
	s_waitcnt vmcnt(7)
	v_fma_f32 v7, v11, v39, -v29
	v_add_f32_e32 v2, v2, v48
	v_add_f32_e32 v3, v3, v6
	s_waitcnt lgkmcnt(1)
	v_mul_f32_e32 v52, v15, v31
	v_mul_f32_e32 v31, v16, v31
	v_fmac_f32_e32 v50, v12, v39
	s_waitcnt vmcnt(6)
	v_fma_f32 v8, v13, v40, -v30
	v_add_f32_e32 v2, v2, v49
	v_add_f32_e32 v3, v3, v7
	v_mul_f32_e32 v53, v17, v32
	v_mul_f32_e32 v32, v18, v32
	v_fmac_f32_e32 v51, v14, v40
	s_waitcnt vmcnt(5)
	v_fma_f32 v9, v15, v41, -v31
	v_add_f32_e32 v2, v2, v50
	v_add_f32_e32 v3, v3, v8
	s_waitcnt lgkmcnt(0)
	v_mul_f32_e32 v54, v19, v33
	v_mul_f32_e32 v33, v20, v33
	v_fmac_f32_e32 v52, v16, v41
	s_waitcnt vmcnt(4)
	v_fma_f32 v10, v17, v42, -v32
	v_add_f32_e32 v2, v2, v51
	v_add_f32_e32 v3, v3, v9
	v_mul_f32_e32 v55, v21, v34
	v_mul_f32_e32 v34, v22, v34
	v_fmac_f32_e32 v53, v18, v42
	s_waitcnt vmcnt(3)
	v_fma_f32 v11, v19, v43, -v33
	v_add_f32_e32 v2, v2, v52
	v_add_f32_e32 v3, v3, v10
	v_fmac_f32_e32 v54, v20, v43
	s_waitcnt vmcnt(2)
	v_fma_f32 v12, v21, v44, -v34
	v_add_f32_e32 v2, v2, v53
	v_add_f32_e32 v3, v3, v11
	v_fmac_f32_e32 v55, v22, v44
	v_add_f32_e32 v2, v2, v54
	v_add_f32_e32 v3, v3, v12
	;; [unrolled: 1-line block ×3, first 2 shown]
	s_waitcnt vmcnt(1)
	v_sub_f32_e32 v3, v45, v3
	s_waitcnt vmcnt(0)
	v_sub_f32_e32 v2, v46, v2
	buffer_store_dword v3, off, s[0:3], 0 offset:384
	buffer_store_dword v2, off, s[0:3], 0 offset:388
	s_and_saveexec_b64 s[4:5], vcc
	s_cbranch_execz .LBB122_273
; %bb.272:
	buffer_load_dword v2, off, s[0:3], 0 offset:376
	buffer_load_dword v3, off, s[0:3], 0 offset:380
	v_mov_b32_e32 v4, 0
	buffer_store_dword v4, off, s[0:3], 0 offset:376
	buffer_store_dword v4, off, s[0:3], 0 offset:380
	s_waitcnt vmcnt(2)
	ds_write_b64 v1, v[2:3]
.LBB122_273:
	s_or_b64 exec, exec, s[4:5]
	s_waitcnt lgkmcnt(0)
	; wave barrier
	buffer_load_dword v23, off, s[0:3], 0 offset:388
	buffer_load_dword v28, off, s[0:3], 0 offset:396
	;; [unrolled: 1-line block ×24, first 2 shown]
	v_mov_b32_e32 v2, 0
	ds_read_b128 v[3:6], v2 offset:864
	ds_read_b128 v[7:10], v2 offset:880
	;; [unrolled: 1-line block ×5, first 2 shown]
	ds_read_b64 v[26:27], v2 offset:944
	v_cmp_lt_u32_e32 vcc, 46, v0
	s_waitcnt vmcnt(23) lgkmcnt(5)
	v_mul_f32_e32 v51, v3, v23
	v_mul_f32_e32 v23, v4, v23
	s_waitcnt vmcnt(22)
	v_mul_f32_e32 v52, v5, v28
	v_mul_f32_e32 v28, v6, v28
	s_waitcnt vmcnt(21) lgkmcnt(4)
	v_mul_f32_e32 v53, v7, v29
	v_mul_f32_e32 v29, v8, v29
	s_waitcnt vmcnt(20)
	v_mul_f32_e32 v54, v9, v30
	s_waitcnt vmcnt(19) lgkmcnt(3)
	v_mul_f32_e32 v55, v11, v31
	v_mul_f32_e32 v30, v10, v30
	;; [unrolled: 1-line block ×3, first 2 shown]
	s_waitcnt vmcnt(18)
	v_mul_f32_e32 v56, v13, v32
	s_waitcnt vmcnt(12)
	v_fma_f32 v3, v3, v38, -v23
	v_fmac_f32_e32 v51, v4, v38
	s_waitcnt vmcnt(11)
	v_fma_f32 v4, v5, v39, -v28
	v_add_f32_e32 v3, 0, v3
	s_waitcnt vmcnt(10)
	v_fma_f32 v5, v7, v40, -v29
	v_add_f32_e32 v3, v3, v4
	v_fmac_f32_e32 v52, v6, v39
	s_waitcnt vmcnt(8)
	v_fmac_f32_e32 v55, v12, v42
	v_fma_f32 v6, v9, v41, -v30
	v_add_f32_e32 v12, 0, v51
	v_add_f32_e32 v3, v3, v5
	v_mul_f32_e32 v32, v14, v32
	v_fmac_f32_e32 v53, v8, v40
	v_fma_f32 v7, v11, v42, -v31
	v_add_f32_e32 v12, v12, v52
	v_add_f32_e32 v3, v3, v6
	s_waitcnt lgkmcnt(2)
	v_mul_f32_e32 v57, v15, v33
	v_mul_f32_e32 v33, v16, v33
	v_fmac_f32_e32 v54, v10, v41
	s_waitcnt vmcnt(7)
	v_fma_f32 v8, v13, v43, -v32
	v_add_f32_e32 v4, v12, v53
	v_add_f32_e32 v3, v3, v7
	v_mul_f32_e32 v142, v17, v34
	v_mul_f32_e32 v34, v18, v34
	s_waitcnt vmcnt(6)
	v_fma_f32 v9, v15, v44, -v33
	v_add_f32_e32 v4, v4, v54
	v_add_f32_e32 v3, v3, v8
	s_waitcnt lgkmcnt(1)
	v_mul_f32_e32 v143, v19, v35
	v_mul_f32_e32 v35, v20, v35
	v_fmac_f32_e32 v56, v14, v43
	s_waitcnt vmcnt(5)
	v_fma_f32 v10, v17, v45, -v34
	v_add_f32_e32 v4, v4, v55
	v_add_f32_e32 v3, v3, v9
	v_fmac_f32_e32 v57, v16, v44
	s_waitcnt vmcnt(4)
	v_fma_f32 v11, v19, v46, -v35
	v_add_f32_e32 v4, v4, v56
	v_add_f32_e32 v3, v3, v10
	v_mul_f32_e32 v5, v22, v36
	v_fmac_f32_e32 v142, v18, v45
	v_add_f32_e32 v4, v4, v57
	v_add_f32_e32 v3, v3, v11
	s_waitcnt vmcnt(3)
	v_fma_f32 v5, v21, v47, -v5
	v_mul_f32_e32 v144, v21, v36
	v_fmac_f32_e32 v143, v20, v46
	v_add_f32_e32 v4, v4, v142
	v_add_f32_e32 v3, v3, v5
	s_waitcnt lgkmcnt(0)
	v_mul_f32_e32 v5, v27, v37
	v_mul_f32_e32 v145, v26, v37
	v_fmac_f32_e32 v144, v22, v47
	v_add_f32_e32 v4, v4, v143
	s_waitcnt vmcnt(2)
	v_fma_f32 v5, v26, v48, -v5
	v_fmac_f32_e32 v145, v27, v48
	v_add_f32_e32 v4, v4, v144
	v_add_f32_e32 v3, v3, v5
	;; [unrolled: 1-line block ×3, first 2 shown]
	s_waitcnt vmcnt(1)
	v_sub_f32_e32 v3, v49, v3
	s_waitcnt vmcnt(0)
	v_sub_f32_e32 v4, v50, v4
	buffer_store_dword v3, off, s[0:3], 0 offset:376
	buffer_store_dword v4, off, s[0:3], 0 offset:380
	s_and_saveexec_b64 s[4:5], vcc
	s_cbranch_execz .LBB122_275
; %bb.274:
	buffer_load_dword v3, off, s[0:3], 0 offset:368
	buffer_load_dword v4, off, s[0:3], 0 offset:372
	s_waitcnt vmcnt(0)
	ds_write_b64 v1, v[3:4]
	buffer_store_dword v2, off, s[0:3], 0 offset:368
	buffer_store_dword v2, off, s[0:3], 0 offset:372
.LBB122_275:
	s_or_b64 exec, exec, s[4:5]
	s_waitcnt lgkmcnt(0)
	; wave barrier
	buffer_load_dword v23, off, s[0:3], 0 offset:380
	buffer_load_dword v26, off, s[0:3], 0 offset:388
	;; [unrolled: 1-line block ×26, first 2 shown]
	ds_read2_b64 v[3:6], v2 offset0:107 offset1:108
	ds_read2_b64 v[7:10], v2 offset0:109 offset1:110
	;; [unrolled: 1-line block ×6, first 2 shown]
	v_cmp_lt_u32_e32 vcc, 45, v0
	s_waitcnt vmcnt(25) lgkmcnt(5)
	v_mul_f32_e32 v2, v3, v23
	v_mul_f32_e32 v23, v4, v23
	s_waitcnt vmcnt(24)
	v_mul_f32_e32 v51, v5, v26
	v_mul_f32_e32 v26, v6, v26
	s_waitcnt vmcnt(23) lgkmcnt(4)
	v_mul_f32_e32 v52, v7, v27
	v_mul_f32_e32 v27, v8, v27
	s_waitcnt vmcnt(22)
	v_mul_f32_e32 v53, v9, v28
	v_mul_f32_e32 v28, v10, v28
	;; [unrolled: 6-line block ×3, first 2 shown]
	s_waitcnt vmcnt(13)
	v_fma_f32 v3, v3, v37, -v23
	v_fmac_f32_e32 v2, v4, v37
	s_waitcnt vmcnt(12)
	v_fma_f32 v4, v5, v38, -v26
	v_add_f32_e32 v3, 0, v3
	s_waitcnt vmcnt(11)
	v_fma_f32 v5, v7, v39, -v27
	v_add_f32_e32 v3, v3, v4
	v_fmac_f32_e32 v51, v6, v38
	s_waitcnt vmcnt(10)
	v_fma_f32 v6, v9, v40, -v28
	v_add_f32_e32 v3, v3, v5
	s_waitcnt vmcnt(9)
	v_fma_f32 v7, v11, v41, -v29
	v_add_f32_e32 v3, v3, v6
	s_waitcnt lgkmcnt(2)
	v_mul_f32_e32 v56, v15, v31
	v_mul_f32_e32 v31, v16, v31
	v_fmac_f32_e32 v52, v8, v39
	s_waitcnt vmcnt(8)
	v_fma_f32 v8, v13, v42, -v30
	v_add_f32_e32 v2, 0, v2
	v_add_f32_e32 v3, v3, v7
	v_mul_f32_e32 v57, v17, v32
	v_mul_f32_e32 v32, v18, v32
	s_waitcnt vmcnt(7)
	v_fma_f32 v9, v15, v43, -v31
	v_add_f32_e32 v2, v2, v51
	v_add_f32_e32 v3, v3, v8
	v_fmac_f32_e32 v53, v10, v40
	s_waitcnt vmcnt(6)
	v_fma_f32 v10, v17, v44, -v32
	v_add_f32_e32 v2, v2, v52
	v_add_f32_e32 v3, v3, v9
	s_waitcnt lgkmcnt(1)
	v_mul_f32_e32 v4, v20, v33
	v_fmac_f32_e32 v54, v12, v41
	v_add_f32_e32 v2, v2, v53
	v_add_f32_e32 v3, v3, v10
	s_waitcnt vmcnt(5)
	v_fma_f32 v4, v19, v45, -v4
	v_fmac_f32_e32 v55, v14, v42
	v_add_f32_e32 v2, v2, v54
	v_add_f32_e32 v3, v3, v4
	v_mul_f32_e32 v4, v22, v34
	v_fmac_f32_e32 v56, v16, v43
	v_add_f32_e32 v2, v2, v55
	s_waitcnt vmcnt(4)
	v_fma_f32 v4, v21, v46, -v4
	v_mul_f32_e32 v146, v19, v33
	v_fmac_f32_e32 v57, v18, v44
	v_add_f32_e32 v2, v2, v56
	v_add_f32_e32 v3, v3, v4
	s_waitcnt lgkmcnt(0)
	v_mul_f32_e32 v4, v143, v35
	v_mul_f32_e32 v147, v21, v34
	v_fmac_f32_e32 v146, v20, v45
	v_add_f32_e32 v2, v2, v57
	s_waitcnt vmcnt(3)
	v_fma_f32 v4, v142, v47, -v4
	v_mul_f32_e32 v148, v142, v35
	v_fmac_f32_e32 v147, v22, v46
	v_add_f32_e32 v2, v2, v146
	v_add_f32_e32 v3, v3, v4
	v_mul_f32_e32 v4, v145, v36
	v_mul_f32_e32 v149, v144, v36
	v_fmac_f32_e32 v148, v143, v47
	v_add_f32_e32 v2, v2, v147
	s_waitcnt vmcnt(2)
	v_fma_f32 v4, v144, v48, -v4
	v_fmac_f32_e32 v149, v145, v48
	v_add_f32_e32 v2, v2, v148
	v_add_f32_e32 v3, v3, v4
	;; [unrolled: 1-line block ×3, first 2 shown]
	s_waitcnt vmcnt(1)
	v_sub_f32_e32 v3, v49, v3
	s_waitcnt vmcnt(0)
	v_sub_f32_e32 v2, v50, v2
	buffer_store_dword v3, off, s[0:3], 0 offset:368
	buffer_store_dword v2, off, s[0:3], 0 offset:372
	s_and_saveexec_b64 s[4:5], vcc
	s_cbranch_execz .LBB122_277
; %bb.276:
	buffer_load_dword v2, off, s[0:3], 0 offset:360
	buffer_load_dword v3, off, s[0:3], 0 offset:364
	v_mov_b32_e32 v4, 0
	buffer_store_dword v4, off, s[0:3], 0 offset:360
	buffer_store_dword v4, off, s[0:3], 0 offset:364
	s_waitcnt vmcnt(2)
	ds_write_b64 v1, v[2:3]
.LBB122_277:
	s_or_b64 exec, exec, s[4:5]
	s_waitcnt lgkmcnt(0)
	; wave barrier
	buffer_load_dword v23, off, s[0:3], 0 offset:372
	buffer_load_dword v28, off, s[0:3], 0 offset:380
	;; [unrolled: 1-line block ×28, first 2 shown]
	v_mov_b32_e32 v2, 0
	ds_read_b128 v[3:6], v2 offset:848
	ds_read_b128 v[7:10], v2 offset:864
	;; [unrolled: 1-line block ×6, first 2 shown]
	ds_read_b64 v[26:27], v2 offset:944
	v_cmp_lt_u32_e32 vcc, 44, v0
	s_waitcnt vmcnt(27) lgkmcnt(6)
	v_mul_f32_e32 v55, v3, v23
	v_mul_f32_e32 v23, v4, v23
	s_waitcnt vmcnt(26)
	v_mul_f32_e32 v56, v5, v28
	v_mul_f32_e32 v28, v6, v28
	s_waitcnt vmcnt(25) lgkmcnt(5)
	v_mul_f32_e32 v57, v7, v29
	v_mul_f32_e32 v29, v8, v29
	s_waitcnt vmcnt(24)
	v_mul_f32_e32 v146, v9, v30
	v_mul_f32_e32 v30, v10, v30
	;; [unrolled: 6-line block ×3, first 2 shown]
	s_waitcnt vmcnt(21) lgkmcnt(3)
	v_mul_f32_e32 v149, v15, v33
	s_waitcnt vmcnt(14)
	v_fma_f32 v3, v3, v40, -v23
	v_fmac_f32_e32 v55, v4, v40
	s_waitcnt vmcnt(13)
	v_fma_f32 v4, v5, v41, -v28
	v_add_f32_e32 v3, 0, v3
	s_waitcnt vmcnt(12)
	v_fma_f32 v5, v7, v42, -v29
	v_add_f32_e32 v3, v3, v4
	v_fmac_f32_e32 v56, v6, v41
	s_waitcnt vmcnt(11)
	v_fma_f32 v6, v9, v43, -v30
	v_add_f32_e32 v3, v3, v5
	s_waitcnt vmcnt(10)
	v_fma_f32 v7, v11, v44, -v31
	v_add_f32_e32 v3, v3, v6
	v_fmac_f32_e32 v57, v8, v42
	s_waitcnt vmcnt(9)
	v_fma_f32 v8, v13, v45, -v32
	v_add_f32_e32 v3, v3, v7
	v_mul_f32_e32 v5, v16, v33
	v_add_f32_e32 v3, v3, v8
	s_waitcnt vmcnt(8)
	v_fma_f32 v5, v15, v46, -v5
	v_add_f32_e32 v3, v3, v5
	v_mul_f32_e32 v5, v18, v34
	v_add_f32_e32 v9, 0, v55
	s_waitcnt vmcnt(7)
	v_fma_f32 v5, v17, v47, -v5
	v_add_f32_e32 v9, v9, v56
	v_add_f32_e32 v3, v3, v5
	s_waitcnt lgkmcnt(2)
	v_mul_f32_e32 v5, v20, v35
	v_fmac_f32_e32 v146, v10, v43
	v_add_f32_e32 v4, v9, v57
	s_waitcnt vmcnt(6)
	v_fma_f32 v5, v19, v48, -v5
	v_fmac_f32_e32 v147, v12, v44
	v_add_f32_e32 v4, v4, v146
	v_add_f32_e32 v3, v3, v5
	v_mul_f32_e32 v5, v22, v36
	v_fmac_f32_e32 v148, v14, v45
	v_add_f32_e32 v4, v4, v147
	s_waitcnt vmcnt(5)
	v_fma_f32 v5, v21, v49, -v5
	v_mul_f32_e32 v150, v17, v34
	v_fmac_f32_e32 v149, v16, v46
	v_add_f32_e32 v4, v4, v148
	v_add_f32_e32 v3, v3, v5
	s_waitcnt lgkmcnt(1)
	v_mul_f32_e32 v5, v143, v37
	v_mul_f32_e32 v151, v19, v35
	v_fmac_f32_e32 v150, v18, v47
	v_add_f32_e32 v4, v4, v149
	s_waitcnt vmcnt(4)
	v_fma_f32 v5, v142, v50, -v5
	v_mul_f32_e32 v152, v21, v36
	v_fmac_f32_e32 v151, v20, v48
	v_add_f32_e32 v4, v4, v150
	v_add_f32_e32 v3, v3, v5
	v_mul_f32_e32 v5, v145, v38
	v_mul_f32_e32 v153, v142, v37
	v_fmac_f32_e32 v152, v22, v49
	v_add_f32_e32 v4, v4, v151
	s_waitcnt vmcnt(3)
	v_fma_f32 v5, v144, v51, -v5
	v_mul_f32_e32 v154, v144, v38
	v_fmac_f32_e32 v153, v143, v50
	v_add_f32_e32 v4, v4, v152
	v_add_f32_e32 v3, v3, v5
	s_waitcnt lgkmcnt(0)
	v_mul_f32_e32 v5, v27, v39
	v_mul_f32_e32 v155, v26, v39
	v_fmac_f32_e32 v154, v145, v51
	v_add_f32_e32 v4, v4, v153
	s_waitcnt vmcnt(2)
	v_fma_f32 v5, v26, v52, -v5
	v_fmac_f32_e32 v155, v27, v52
	v_add_f32_e32 v4, v4, v154
	v_add_f32_e32 v3, v3, v5
	;; [unrolled: 1-line block ×3, first 2 shown]
	s_waitcnt vmcnt(1)
	v_sub_f32_e32 v3, v53, v3
	s_waitcnt vmcnt(0)
	v_sub_f32_e32 v4, v54, v4
	buffer_store_dword v3, off, s[0:3], 0 offset:360
	buffer_store_dword v4, off, s[0:3], 0 offset:364
	s_and_saveexec_b64 s[4:5], vcc
	s_cbranch_execz .LBB122_279
; %bb.278:
	buffer_load_dword v3, off, s[0:3], 0 offset:352
	buffer_load_dword v4, off, s[0:3], 0 offset:356
	s_waitcnt vmcnt(0)
	ds_write_b64 v1, v[3:4]
	buffer_store_dword v2, off, s[0:3], 0 offset:352
	buffer_store_dword v2, off, s[0:3], 0 offset:356
.LBB122_279:
	s_or_b64 exec, exec, s[4:5]
	s_waitcnt lgkmcnt(0)
	; wave barrier
	buffer_load_dword v23, off, s[0:3], 0 offset:364
	buffer_load_dword v26, off, s[0:3], 0 offset:372
	;; [unrolled: 1-line block ×30, first 2 shown]
	ds_read2_b64 v[3:6], v2 offset0:105 offset1:106
	ds_read2_b64 v[7:10], v2 offset0:107 offset1:108
	;; [unrolled: 1-line block ×7, first 2 shown]
	v_cmp_lt_u32_e32 vcc, 43, v0
	s_waitcnt vmcnt(29) lgkmcnt(6)
	v_mul_f32_e32 v2, v3, v23
	v_mul_f32_e32 v23, v4, v23
	s_waitcnt vmcnt(28)
	v_mul_f32_e32 v55, v5, v26
	v_mul_f32_e32 v26, v6, v26
	s_waitcnt vmcnt(27) lgkmcnt(5)
	v_mul_f32_e32 v56, v7, v27
	v_mul_f32_e32 v27, v8, v27
	s_waitcnt vmcnt(26)
	v_mul_f32_e32 v57, v9, v28
	v_mul_f32_e32 v28, v10, v28
	s_waitcnt vmcnt(25) lgkmcnt(4)
	v_mul_f32_e32 v150, v11, v29
	v_mul_f32_e32 v29, v12, v29
	s_waitcnt vmcnt(24)
	v_mul_f32_e32 v151, v13, v30
	s_waitcnt vmcnt(23) lgkmcnt(3)
	v_mul_f32_e32 v152, v15, v31
	s_waitcnt vmcnt(22)
	v_mul_f32_e32 v153, v17, v32
	s_waitcnt vmcnt(21) lgkmcnt(2)
	v_mul_f32_e32 v154, v19, v33
	s_waitcnt vmcnt(15)
	v_fma_f32 v3, v3, v39, -v23
	v_fmac_f32_e32 v2, v4, v39
	s_waitcnt vmcnt(14)
	v_fma_f32 v4, v5, v40, -v26
	v_add_f32_e32 v3, 0, v3
	s_waitcnt vmcnt(13)
	v_fma_f32 v5, v7, v41, -v27
	v_add_f32_e32 v3, v3, v4
	v_fmac_f32_e32 v55, v6, v40
	s_waitcnt vmcnt(12)
	v_fma_f32 v6, v9, v42, -v28
	v_add_f32_e32 v3, v3, v5
	s_waitcnt vmcnt(11)
	v_fma_f32 v7, v11, v43, -v29
	v_add_f32_e32 v3, v3, v6
	v_mul_f32_e32 v4, v14, v30
	v_add_f32_e32 v3, v3, v7
	s_waitcnt vmcnt(10)
	v_fma_f32 v4, v13, v44, -v4
	v_add_f32_e32 v3, v3, v4
	v_mul_f32_e32 v4, v16, v31
	s_waitcnt vmcnt(9)
	v_fma_f32 v4, v15, v45, -v4
	v_add_f32_e32 v3, v3, v4
	v_mul_f32_e32 v4, v18, v32
	s_waitcnt vmcnt(8)
	v_fma_f32 v4, v17, v46, -v4
	v_add_f32_e32 v2, 0, v2
	v_add_f32_e32 v3, v3, v4
	v_mul_f32_e32 v4, v20, v33
	v_fmac_f32_e32 v56, v8, v41
	v_add_f32_e32 v2, v2, v55
	s_waitcnt vmcnt(7)
	v_fma_f32 v4, v19, v47, -v4
	v_fmac_f32_e32 v57, v10, v42
	v_add_f32_e32 v2, v2, v56
	v_add_f32_e32 v3, v3, v4
	v_mul_f32_e32 v4, v22, v34
	v_fmac_f32_e32 v150, v12, v43
	v_add_f32_e32 v2, v2, v57
	s_waitcnt vmcnt(6)
	v_fma_f32 v4, v21, v48, -v4
	v_fmac_f32_e32 v151, v14, v44
	v_add_f32_e32 v2, v2, v150
	v_add_f32_e32 v3, v3, v4
	s_waitcnt lgkmcnt(1)
	v_mul_f32_e32 v4, v143, v35
	v_fmac_f32_e32 v152, v16, v45
	v_add_f32_e32 v2, v2, v151
	s_waitcnt vmcnt(5)
	v_fma_f32 v4, v142, v49, -v4
	v_fmac_f32_e32 v153, v18, v46
	v_add_f32_e32 v2, v2, v152
	v_add_f32_e32 v3, v3, v4
	v_mul_f32_e32 v4, v145, v36
	v_mul_f32_e32 v155, v21, v34
	v_fmac_f32_e32 v154, v20, v47
	v_add_f32_e32 v2, v2, v153
	s_waitcnt vmcnt(4)
	v_fma_f32 v4, v144, v50, -v4
	v_mul_f32_e32 v156, v142, v35
	v_fmac_f32_e32 v155, v22, v48
	v_add_f32_e32 v2, v2, v154
	v_add_f32_e32 v3, v3, v4
	s_waitcnt lgkmcnt(0)
	v_mul_f32_e32 v4, v147, v37
	v_mul_f32_e32 v157, v144, v36
	v_fmac_f32_e32 v156, v143, v49
	v_add_f32_e32 v2, v2, v155
	s_waitcnt vmcnt(3)
	v_fma_f32 v4, v146, v51, -v4
	v_mul_f32_e32 v158, v146, v37
	v_fmac_f32_e32 v157, v145, v50
	v_add_f32_e32 v2, v2, v156
	v_add_f32_e32 v3, v3, v4
	v_mul_f32_e32 v4, v149, v38
	v_mul_f32_e32 v159, v148, v38
	v_fmac_f32_e32 v158, v147, v51
	v_add_f32_e32 v2, v2, v157
	s_waitcnt vmcnt(2)
	v_fma_f32 v4, v148, v52, -v4
	v_fmac_f32_e32 v159, v149, v52
	v_add_f32_e32 v2, v2, v158
	v_add_f32_e32 v3, v3, v4
	;; [unrolled: 1-line block ×3, first 2 shown]
	s_waitcnt vmcnt(1)
	v_sub_f32_e32 v3, v53, v3
	s_waitcnt vmcnt(0)
	v_sub_f32_e32 v2, v54, v2
	buffer_store_dword v3, off, s[0:3], 0 offset:352
	buffer_store_dword v2, off, s[0:3], 0 offset:356
	s_and_saveexec_b64 s[4:5], vcc
	s_cbranch_execz .LBB122_281
; %bb.280:
	buffer_load_dword v2, off, s[0:3], 0 offset:344
	buffer_load_dword v3, off, s[0:3], 0 offset:348
	v_mov_b32_e32 v4, 0
	buffer_store_dword v4, off, s[0:3], 0 offset:344
	buffer_store_dword v4, off, s[0:3], 0 offset:348
	s_waitcnt vmcnt(2)
	ds_write_b64 v1, v[2:3]
.LBB122_281:
	s_or_b64 exec, exec, s[4:5]
	s_waitcnt lgkmcnt(0)
	; wave barrier
	buffer_load_dword v23, off, s[0:3], 0 offset:356
	buffer_load_dword v28, off, s[0:3], 0 offset:364
	;; [unrolled: 1-line block ×32, first 2 shown]
	v_mov_b32_e32 v2, 0
	ds_read_b128 v[3:6], v2 offset:832
	ds_read_b128 v[7:10], v2 offset:848
	;; [unrolled: 1-line block ×7, first 2 shown]
	ds_read_b64 v[26:27], v2 offset:944
	v_cmp_lt_u32_e32 vcc, 42, v0
	s_waitcnt vmcnt(31) lgkmcnt(7)
	v_mul_f32_e32 v151, v3, v23
	v_mul_f32_e32 v23, v4, v23
	s_waitcnt vmcnt(30)
	v_mul_f32_e32 v152, v5, v28
	v_mul_f32_e32 v28, v6, v28
	s_waitcnt vmcnt(29) lgkmcnt(6)
	v_mul_f32_e32 v153, v7, v29
	v_mul_f32_e32 v29, v8, v29
	s_waitcnt vmcnt(28)
	v_mul_f32_e32 v154, v9, v30
	s_waitcnt vmcnt(27) lgkmcnt(5)
	v_mul_f32_e32 v155, v11, v31
	s_waitcnt vmcnt(26)
	v_mul_f32_e32 v156, v13, v32
	s_waitcnt vmcnt(25) lgkmcnt(4)
	;; [unrolled: 4-line block ×4, first 2 shown]
	v_mul_f32_e32 v161, v142, v37
	s_waitcnt vmcnt(20)
	v_mul_f32_e32 v162, v144, v38
	s_waitcnt vmcnt(16)
	v_fma_f32 v3, v3, v42, -v23
	v_fmac_f32_e32 v151, v4, v42
	s_waitcnt vmcnt(15)
	v_fma_f32 v4, v5, v43, -v28
	v_add_f32_e32 v3, 0, v3
	s_waitcnt vmcnt(14)
	v_fma_f32 v5, v7, v44, -v29
	v_add_f32_e32 v3, v3, v4
	v_add_f32_e32 v3, v3, v5
	v_mul_f32_e32 v5, v10, v30
	s_waitcnt vmcnt(13)
	v_fma_f32 v5, v9, v45, -v5
	v_add_f32_e32 v3, v3, v5
	v_mul_f32_e32 v5, v12, v31
	s_waitcnt vmcnt(12)
	v_fma_f32 v5, v11, v46, -v5
	;; [unrolled: 4-line block ×5, first 2 shown]
	v_add_f32_e32 v3, v3, v5
	v_mul_f32_e32 v5, v20, v35
	v_fmac_f32_e32 v152, v6, v43
	v_add_f32_e32 v6, 0, v151
	s_waitcnt vmcnt(8)
	v_fma_f32 v5, v19, v50, -v5
	v_fmac_f32_e32 v153, v8, v44
	v_add_f32_e32 v6, v6, v152
	v_add_f32_e32 v3, v3, v5
	v_mul_f32_e32 v5, v22, v36
	v_fmac_f32_e32 v154, v10, v45
	v_add_f32_e32 v4, v6, v153
	s_waitcnt vmcnt(7)
	v_fma_f32 v5, v21, v51, -v5
	v_fmac_f32_e32 v155, v12, v46
	v_add_f32_e32 v4, v4, v154
	;; [unrolled: 8-line block ×4, first 2 shown]
	v_add_f32_e32 v3, v3, v5
	s_waitcnt lgkmcnt(1)
	v_mul_f32_e32 v5, v147, v39
	v_fmac_f32_e32 v160, v22, v51
	v_add_f32_e32 v4, v4, v159
	s_waitcnt vmcnt(4)
	v_fma_f32 v5, v146, v54, -v5
	v_fmac_f32_e32 v161, v143, v52
	v_add_f32_e32 v4, v4, v160
	v_add_f32_e32 v3, v3, v5
	v_mul_f32_e32 v5, v149, v40
	v_mul_f32_e32 v163, v146, v39
	v_fmac_f32_e32 v162, v145, v53
	v_add_f32_e32 v4, v4, v161
	s_waitcnt vmcnt(3)
	v_fma_f32 v5, v148, v55, -v5
	v_mul_f32_e32 v164, v148, v40
	v_fmac_f32_e32 v163, v147, v54
	v_add_f32_e32 v4, v4, v162
	v_add_f32_e32 v3, v3, v5
	s_waitcnt lgkmcnt(0)
	v_mul_f32_e32 v5, v27, v41
	v_mul_f32_e32 v165, v26, v41
	v_fmac_f32_e32 v164, v149, v55
	v_add_f32_e32 v4, v4, v163
	s_waitcnt vmcnt(2)
	v_fma_f32 v5, v26, v56, -v5
	v_fmac_f32_e32 v165, v27, v56
	v_add_f32_e32 v4, v4, v164
	v_add_f32_e32 v3, v3, v5
	;; [unrolled: 1-line block ×3, first 2 shown]
	s_waitcnt vmcnt(1)
	v_sub_f32_e32 v3, v57, v3
	s_waitcnt vmcnt(0)
	v_sub_f32_e32 v4, v150, v4
	buffer_store_dword v3, off, s[0:3], 0 offset:344
	buffer_store_dword v4, off, s[0:3], 0 offset:348
	s_and_saveexec_b64 s[4:5], vcc
	s_cbranch_execz .LBB122_283
; %bb.282:
	buffer_load_dword v3, off, s[0:3], 0 offset:336
	buffer_load_dword v4, off, s[0:3], 0 offset:340
	s_waitcnt vmcnt(0)
	ds_write_b64 v1, v[3:4]
	buffer_store_dword v2, off, s[0:3], 0 offset:336
	buffer_store_dword v2, off, s[0:3], 0 offset:340
.LBB122_283:
	s_or_b64 exec, exec, s[4:5]
	s_waitcnt lgkmcnt(0)
	; wave barrier
	buffer_load_dword v23, off, s[0:3], 0 offset:348
	buffer_load_dword v26, off, s[0:3], 0 offset:356
	;; [unrolled: 1-line block ×34, first 2 shown]
	ds_read2_b64 v[3:6], v2 offset0:103 offset1:104
	ds_read2_b64 v[7:10], v2 offset0:105 offset1:106
	;; [unrolled: 1-line block ×8, first 2 shown]
	v_cmp_lt_u32_e32 vcc, 41, v0
	s_waitcnt vmcnt(33) lgkmcnt(7)
	v_mul_f32_e32 v2, v3, v23
	v_mul_f32_e32 v23, v4, v23
	s_waitcnt vmcnt(32)
	v_mul_f32_e32 v155, v5, v26
	v_mul_f32_e32 v26, v6, v26
	s_waitcnt vmcnt(31) lgkmcnt(6)
	v_mul_f32_e32 v156, v7, v27
	s_waitcnt vmcnt(30)
	v_mul_f32_e32 v157, v9, v28
	s_waitcnt vmcnt(29) lgkmcnt(5)
	v_mul_f32_e32 v158, v11, v29
	s_waitcnt vmcnt(28)
	;; [unrolled: 4-line block ×6, first 2 shown]
	v_mul_f32_e32 v167, v148, v38
	s_waitcnt vmcnt(17)
	v_fma_f32 v3, v3, v41, -v23
	v_fmac_f32_e32 v2, v4, v41
	s_waitcnt vmcnt(16)
	v_fma_f32 v4, v5, v42, -v26
	v_add_f32_e32 v3, 0, v3
	v_add_f32_e32 v3, v3, v4
	v_mul_f32_e32 v4, v8, v27
	s_waitcnt vmcnt(15)
	v_fma_f32 v4, v7, v43, -v4
	v_add_f32_e32 v3, v3, v4
	v_mul_f32_e32 v4, v10, v28
	s_waitcnt vmcnt(14)
	v_fma_f32 v4, v9, v44, -v4
	;; [unrolled: 4-line block ×7, first 2 shown]
	v_fmac_f32_e32 v155, v6, v42
	v_add_f32_e32 v2, 0, v2
	v_add_f32_e32 v3, v3, v4
	v_mul_f32_e32 v4, v22, v34
	v_fmac_f32_e32 v156, v8, v43
	v_add_f32_e32 v2, v2, v155
	s_waitcnt vmcnt(8)
	v_fma_f32 v4, v21, v50, -v4
	v_fmac_f32_e32 v157, v10, v44
	v_add_f32_e32 v2, v2, v156
	v_add_f32_e32 v3, v3, v4
	v_mul_f32_e32 v4, v143, v35
	v_fmac_f32_e32 v158, v12, v45
	v_add_f32_e32 v2, v2, v157
	s_waitcnt vmcnt(7)
	v_fma_f32 v4, v142, v51, -v4
	;; [unrolled: 8-line block ×5, first 2 shown]
	v_fmac_f32_e32 v165, v145, v52
	v_add_f32_e32 v2, v2, v164
	v_add_f32_e32 v3, v3, v4
	s_waitcnt lgkmcnt(0)
	v_mul_f32_e32 v4, v151, v39
	v_fmac_f32_e32 v166, v147, v53
	v_add_f32_e32 v2, v2, v165
	s_waitcnt vmcnt(3)
	v_fma_f32 v4, v150, v55, -v4
	v_mul_f32_e32 v168, v150, v39
	v_fmac_f32_e32 v167, v149, v54
	v_add_f32_e32 v2, v2, v166
	v_add_f32_e32 v3, v3, v4
	v_mul_f32_e32 v4, v153, v40
	v_mul_f32_e32 v169, v152, v40
	v_fmac_f32_e32 v168, v151, v55
	v_add_f32_e32 v2, v2, v167
	s_waitcnt vmcnt(2)
	v_fma_f32 v4, v152, v56, -v4
	v_fmac_f32_e32 v169, v153, v56
	v_add_f32_e32 v2, v2, v168
	v_add_f32_e32 v3, v3, v4
	;; [unrolled: 1-line block ×3, first 2 shown]
	s_waitcnt vmcnt(1)
	v_sub_f32_e32 v3, v57, v3
	s_waitcnt vmcnt(0)
	v_sub_f32_e32 v2, v154, v2
	buffer_store_dword v3, off, s[0:3], 0 offset:336
	buffer_store_dword v2, off, s[0:3], 0 offset:340
	s_and_saveexec_b64 s[4:5], vcc
	s_cbranch_execz .LBB122_285
; %bb.284:
	buffer_load_dword v2, off, s[0:3], 0 offset:328
	buffer_load_dword v3, off, s[0:3], 0 offset:332
	v_mov_b32_e32 v4, 0
	buffer_store_dword v4, off, s[0:3], 0 offset:328
	buffer_store_dword v4, off, s[0:3], 0 offset:332
	s_waitcnt vmcnt(2)
	ds_write_b64 v1, v[2:3]
.LBB122_285:
	s_or_b64 exec, exec, s[4:5]
	s_waitcnt lgkmcnt(0)
	; wave barrier
	buffer_load_dword v23, off, s[0:3], 0 offset:340
	buffer_load_dword v28, off, s[0:3], 0 offset:348
	;; [unrolled: 1-line block ×36, first 2 shown]
	v_mov_b32_e32 v2, 0
	ds_read_b128 v[3:6], v2 offset:816
	ds_read_b128 v[7:10], v2 offset:832
	;; [unrolled: 1-line block ×8, first 2 shown]
	ds_read_b64 v[26:27], v2 offset:944
	v_cmp_lt_u32_e32 vcc, 40, v0
	s_waitcnt vmcnt(35) lgkmcnt(8)
	v_mul_f32_e32 v159, v3, v23
	s_waitcnt vmcnt(34)
	v_mul_f32_e32 v160, v5, v28
	s_waitcnt vmcnt(33) lgkmcnt(7)
	v_mul_f32_e32 v161, v7, v29
	s_waitcnt vmcnt(32)
	v_mul_f32_e32 v162, v9, v30
	;; [unrolled: 4-line block ×8, first 2 shown]
	s_waitcnt vmcnt(19) lgkmcnt(0)
	v_mul_f32_e32 v175, v26, v43
	s_waitcnt vmcnt(18)
	v_fmac_f32_e32 v159, v4, v44
	v_mul_f32_e32 v4, v4, v23
	v_fma_f32 v3, v3, v44, -v4
	v_mul_f32_e32 v4, v6, v28
	v_add_f32_e32 v3, 0, v3
	s_waitcnt vmcnt(17)
	v_fma_f32 v4, v5, v45, -v4
	v_add_f32_e32 v3, v3, v4
	v_mul_f32_e32 v4, v8, v29
	s_waitcnt vmcnt(16)
	v_fma_f32 v4, v7, v46, -v4
	v_add_f32_e32 v3, v3, v4
	v_mul_f32_e32 v4, v10, v30
	;; [unrolled: 4-line block ×8, first 2 shown]
	v_fmac_f32_e32 v160, v6, v45
	v_add_f32_e32 v159, 0, v159
	s_waitcnt vmcnt(9)
	v_fma_f32 v4, v21, v53, -v4
	v_fmac_f32_e32 v161, v8, v46
	v_add_f32_e32 v159, v159, v160
	v_add_f32_e32 v3, v3, v4
	v_mul_f32_e32 v4, v143, v37
	v_fmac_f32_e32 v162, v10, v47
	v_add_f32_e32 v159, v159, v161
	s_waitcnt vmcnt(8)
	v_fma_f32 v4, v142, v54, -v4
	v_fmac_f32_e32 v163, v12, v48
	v_add_f32_e32 v159, v159, v162
	v_add_f32_e32 v3, v3, v4
	v_mul_f32_e32 v4, v145, v38
	;; [unrolled: 8-line block ×7, first 2 shown]
	v_fmac_f32_e32 v174, v153, v155
	v_add_f32_e32 v159, v159, v173
	s_waitcnt vmcnt(2)
	v_fma_f32 v4, v26, v156, -v4
	v_fmac_f32_e32 v175, v27, v156
	v_add_f32_e32 v159, v159, v174
	v_add_f32_e32 v3, v3, v4
	;; [unrolled: 1-line block ×3, first 2 shown]
	s_waitcnt vmcnt(1)
	v_sub_f32_e32 v3, v157, v3
	s_waitcnt vmcnt(0)
	v_sub_f32_e32 v4, v158, v159
	buffer_store_dword v3, off, s[0:3], 0 offset:328
	buffer_store_dword v4, off, s[0:3], 0 offset:332
	s_and_saveexec_b64 s[4:5], vcc
	s_cbranch_execz .LBB122_287
; %bb.286:
	buffer_load_dword v3, off, s[0:3], 0 offset:320
	buffer_load_dword v4, off, s[0:3], 0 offset:324
	s_waitcnt vmcnt(0)
	ds_write_b64 v1, v[3:4]
	buffer_store_dword v2, off, s[0:3], 0 offset:320
	buffer_store_dword v2, off, s[0:3], 0 offset:324
.LBB122_287:
	s_or_b64 exec, exec, s[4:5]
	s_waitcnt lgkmcnt(0)
	; wave barrier
	buffer_load_dword v23, off, s[0:3], 0 offset:332
	buffer_load_dword v26, off, s[0:3], 0 offset:340
	;; [unrolled: 1-line block ×38, first 2 shown]
	ds_read2_b64 v[3:6], v2 offset0:101 offset1:102
	ds_read2_b64 v[7:10], v2 offset0:103 offset1:104
	;; [unrolled: 1-line block ×9, first 2 shown]
	v_cmp_lt_u32_e32 vcc, 39, v0
	s_waitcnt vmcnt(37) lgkmcnt(8)
	v_mul_f32_e32 v2, v3, v23
	s_waitcnt vmcnt(36)
	v_mul_f32_e32 v163, v5, v26
	s_waitcnt vmcnt(35) lgkmcnt(7)
	v_mul_f32_e32 v164, v7, v27
	s_waitcnt vmcnt(34)
	v_mul_f32_e32 v165, v9, v28
	;; [unrolled: 4-line block ×8, first 2 shown]
	s_waitcnt vmcnt(21) lgkmcnt(0)
	v_mul_f32_e32 v178, v154, v41
	s_waitcnt vmcnt(20)
	v_fmac_f32_e32 v2, v4, v42
	v_mul_f32_e32 v4, v4, v23
	v_fma_f32 v3, v3, v42, -v4
	v_mul_f32_e32 v4, v6, v26
	v_add_f32_e32 v3, 0, v3
	s_waitcnt vmcnt(19)
	v_fma_f32 v4, v5, v43, -v4
	v_add_f32_e32 v3, v3, v4
	v_mul_f32_e32 v4, v8, v27
	s_waitcnt vmcnt(18)
	v_fma_f32 v4, v7, v44, -v4
	v_add_f32_e32 v3, v3, v4
	v_mul_f32_e32 v4, v10, v28
	;; [unrolled: 4-line block ×8, first 2 shown]
	s_waitcnt vmcnt(11)
	v_fma_f32 v4, v21, v51, -v4
	v_fmac_f32_e32 v163, v6, v43
	v_add_f32_e32 v2, 0, v2
	v_add_f32_e32 v3, v3, v4
	v_mul_f32_e32 v4, v143, v35
	v_fmac_f32_e32 v164, v8, v44
	v_add_f32_e32 v2, v2, v163
	s_waitcnt vmcnt(10)
	v_fma_f32 v4, v142, v52, -v4
	v_fmac_f32_e32 v165, v10, v45
	v_add_f32_e32 v2, v2, v164
	v_add_f32_e32 v3, v3, v4
	v_mul_f32_e32 v4, v145, v36
	v_fmac_f32_e32 v166, v12, v46
	v_add_f32_e32 v2, v2, v165
	s_waitcnt vmcnt(9)
	v_fma_f32 v4, v144, v53, -v4
	v_fmac_f32_e32 v167, v14, v47
	v_add_f32_e32 v2, v2, v166
	v_add_f32_e32 v3, v3, v4
	v_mul_f32_e32 v4, v147, v37
	v_fmac_f32_e32 v168, v16, v48
	v_add_f32_e32 v2, v2, v167
	s_waitcnt vmcnt(8)
	v_fma_f32 v4, v146, v54, -v4
	v_fmac_f32_e32 v169, v18, v49
	v_add_f32_e32 v2, v2, v168
	v_add_f32_e32 v3, v3, v4
	v_mul_f32_e32 v4, v149, v38
	v_fmac_f32_e32 v170, v20, v50
	v_add_f32_e32 v2, v2, v169
	s_waitcnt vmcnt(7)
	v_fma_f32 v4, v148, v55, -v4
	v_fmac_f32_e32 v171, v22, v51
	v_add_f32_e32 v2, v2, v170
	v_add_f32_e32 v3, v3, v4
	v_mul_f32_e32 v4, v151, v39
	v_fmac_f32_e32 v172, v143, v52
	v_add_f32_e32 v2, v2, v171
	s_waitcnt vmcnt(6)
	v_fma_f32 v4, v150, v56, -v4
	v_fmac_f32_e32 v173, v145, v53
	v_add_f32_e32 v2, v2, v172
	v_add_f32_e32 v3, v3, v4
	v_mul_f32_e32 v4, v153, v40
	v_fmac_f32_e32 v174, v147, v54
	v_add_f32_e32 v2, v2, v173
	s_waitcnt vmcnt(5)
	v_fma_f32 v4, v152, v57, -v4
	v_fmac_f32_e32 v175, v149, v55
	v_add_f32_e32 v2, v2, v174
	v_add_f32_e32 v3, v3, v4
	v_mul_f32_e32 v4, v155, v41
	v_fmac_f32_e32 v176, v151, v56
	v_add_f32_e32 v2, v2, v175
	s_waitcnt vmcnt(4)
	v_fma_f32 v4, v154, v158, -v4
	v_fmac_f32_e32 v177, v153, v57
	v_add_f32_e32 v2, v2, v176
	v_add_f32_e32 v3, v3, v4
	s_waitcnt vmcnt(3)
	v_mul_f32_e32 v4, v157, v159
	v_add_f32_e32 v2, v2, v177
	v_fmac_f32_e32 v178, v155, v158
	v_mul_f32_e32 v163, v156, v159
	s_waitcnt vmcnt(2)
	v_fma_f32 v4, v156, v160, -v4
	v_add_f32_e32 v2, v2, v178
	v_fmac_f32_e32 v163, v157, v160
	v_add_f32_e32 v3, v3, v4
	v_add_f32_e32 v2, v2, v163
	s_waitcnt vmcnt(1)
	v_sub_f32_e32 v3, v161, v3
	s_waitcnt vmcnt(0)
	v_sub_f32_e32 v2, v162, v2
	buffer_store_dword v3, off, s[0:3], 0 offset:320
	buffer_store_dword v2, off, s[0:3], 0 offset:324
	s_and_saveexec_b64 s[4:5], vcc
	s_cbranch_execz .LBB122_289
; %bb.288:
	buffer_load_dword v2, off, s[0:3], 0 offset:312
	buffer_load_dword v3, off, s[0:3], 0 offset:316
	v_mov_b32_e32 v4, 0
	buffer_store_dword v4, off, s[0:3], 0 offset:312
	buffer_store_dword v4, off, s[0:3], 0 offset:316
	s_waitcnt vmcnt(2)
	ds_write_b64 v1, v[2:3]
.LBB122_289:
	s_or_b64 exec, exec, s[4:5]
	s_waitcnt lgkmcnt(0)
	; wave barrier
	buffer_load_dword v23, off, s[0:3], 0 offset:324
	buffer_load_dword v28, off, s[0:3], 0 offset:332
	;; [unrolled: 1-line block ×40, first 2 shown]
	v_mov_b32_e32 v2, 0
	ds_read_b128 v[3:6], v2 offset:800
	ds_read_b128 v[7:10], v2 offset:816
	;; [unrolled: 1-line block ×9, first 2 shown]
	v_cmp_lt_u32_e32 vcc, 38, v0
	s_waitcnt vmcnt(39) lgkmcnt(8)
	v_mul_f32_e32 v26, v3, v23
	s_waitcnt vmcnt(38)
	v_mul_f32_e32 v27, v5, v28
	s_waitcnt vmcnt(37) lgkmcnt(7)
	v_mul_f32_e32 v167, v7, v29
	s_waitcnt vmcnt(36)
	v_mul_f32_e32 v168, v9, v30
	;; [unrolled: 4-line block ×7, first 2 shown]
	s_waitcnt vmcnt(25) lgkmcnt(1)
	v_mul_f32_e32 v179, v150, v41
	s_waitcnt vmcnt(24)
	v_fmac_f32_e32 v26, v4, v42
	v_mul_f32_e32 v4, v4, v23
	v_fma_f32 v3, v3, v42, -v4
	v_mul_f32_e32 v4, v6, v28
	v_add_f32_e32 v3, 0, v3
	s_waitcnt vmcnt(23)
	v_fma_f32 v4, v5, v43, -v4
	v_add_f32_e32 v3, v3, v4
	v_mul_f32_e32 v4, v8, v29
	s_waitcnt vmcnt(22)
	v_fma_f32 v4, v7, v44, -v4
	v_add_f32_e32 v3, v3, v4
	v_mul_f32_e32 v4, v10, v30
	;; [unrolled: 4-line block ×6, first 2 shown]
	s_waitcnt vmcnt(17)
	v_fma_f32 v4, v17, v49, -v4
	v_fmac_f32_e32 v27, v6, v43
	v_add_f32_e32 v26, 0, v26
	v_add_f32_e32 v3, v3, v4
	v_mul_f32_e32 v4, v20, v35
	v_fmac_f32_e32 v167, v8, v44
	v_add_f32_e32 v26, v26, v27
	s_waitcnt vmcnt(16)
	v_fma_f32 v4, v19, v50, -v4
	v_fmac_f32_e32 v168, v10, v45
	v_add_f32_e32 v26, v26, v167
	v_add_f32_e32 v3, v3, v4
	v_mul_f32_e32 v4, v22, v36
	v_fmac_f32_e32 v169, v12, v46
	v_add_f32_e32 v26, v26, v168
	;; [unrolled: 8-line block ×6, first 2 shown]
	s_waitcnt vmcnt(11)
	v_fma_f32 v4, v148, v55, -v4
	v_fmac_f32_e32 v178, v149, v55
	v_add_f32_e32 v26, v26, v177
	v_add_f32_e32 v3, v3, v4
	v_mul_f32_e32 v4, v151, v41
	s_waitcnt vmcnt(10)
	v_fmac_f32_e32 v179, v151, v56
	v_add_f32_e32 v26, v26, v178
	s_waitcnt vmcnt(9)
	v_mul_f32_e32 v27, v152, v57
	v_fma_f32 v4, v150, v56, -v4
	v_add_f32_e32 v26, v26, v179
	s_waitcnt vmcnt(8)
	v_fmac_f32_e32 v27, v153, v158
	v_add_f32_e32 v3, v3, v4
	v_mul_f32_e32 v4, v153, v57
	v_add_f32_e32 v167, v26, v27
	ds_read_b64 v[26:27], v2 offset:944
	v_fma_f32 v4, v152, v158, -v4
	v_add_f32_e32 v3, v3, v4
	s_waitcnt vmcnt(7) lgkmcnt(1)
	v_mul_f32_e32 v4, v155, v159
	v_mul_f32_e32 v168, v154, v159
	s_waitcnt vmcnt(6)
	v_fma_f32 v4, v154, v160, -v4
	v_fmac_f32_e32 v168, v155, v160
	v_add_f32_e32 v3, v3, v4
	s_waitcnt vmcnt(5)
	v_mul_f32_e32 v4, v157, v161
	v_add_f32_e32 v167, v167, v168
	v_mul_f32_e32 v168, v156, v161
	s_waitcnt vmcnt(4)
	v_fma_f32 v4, v156, v162, -v4
	v_fmac_f32_e32 v168, v157, v162
	v_add_f32_e32 v3, v3, v4
	s_waitcnt vmcnt(3) lgkmcnt(0)
	v_mul_f32_e32 v4, v27, v163
	v_add_f32_e32 v167, v167, v168
	v_mul_f32_e32 v168, v26, v163
	s_waitcnt vmcnt(2)
	v_fma_f32 v4, v26, v164, -v4
	v_fmac_f32_e32 v168, v27, v164
	v_add_f32_e32 v3, v3, v4
	v_add_f32_e32 v167, v167, v168
	s_waitcnt vmcnt(1)
	v_sub_f32_e32 v3, v165, v3
	s_waitcnt vmcnt(0)
	v_sub_f32_e32 v4, v166, v167
	buffer_store_dword v3, off, s[0:3], 0 offset:312
	buffer_store_dword v4, off, s[0:3], 0 offset:316
	s_and_saveexec_b64 s[4:5], vcc
	s_cbranch_execz .LBB122_291
; %bb.290:
	buffer_load_dword v3, off, s[0:3], 0 offset:304
	buffer_load_dword v4, off, s[0:3], 0 offset:308
	s_waitcnt vmcnt(0)
	ds_write_b64 v1, v[3:4]
	buffer_store_dword v2, off, s[0:3], 0 offset:304
	buffer_store_dword v2, off, s[0:3], 0 offset:308
.LBB122_291:
	s_or_b64 exec, exec, s[4:5]
	s_waitcnt lgkmcnt(0)
	; wave barrier
	buffer_load_dword v23, off, s[0:3], 0 offset:316
	buffer_load_dword v26, off, s[0:3], 0 offset:324
	;; [unrolled: 1-line block ×42, first 2 shown]
	ds_read2_b64 v[3:6], v2 offset0:99 offset1:100
	ds_read2_b64 v[7:10], v2 offset0:101 offset1:102
	;; [unrolled: 1-line block ×8, first 2 shown]
	v_cmp_lt_u32_e32 vcc, 37, v0
	s_waitcnt vmcnt(41) lgkmcnt(7)
	v_mul_f32_e32 v154, v3, v23
	s_waitcnt vmcnt(40)
	v_mul_f32_e32 v155, v5, v26
	s_waitcnt vmcnt(39) lgkmcnt(6)
	v_mul_f32_e32 v156, v7, v27
	s_waitcnt vmcnt(38)
	v_mul_f32_e32 v157, v9, v28
	;; [unrolled: 4-line block ×7, first 2 shown]
	s_waitcnt vmcnt(27) lgkmcnt(0)
	v_mul_f32_e32 v177, v150, v39
	s_waitcnt vmcnt(26)
	v_fmac_f32_e32 v154, v4, v40
	v_mul_f32_e32 v4, v4, v23
	v_fma_f32 v3, v3, v40, -v4
	v_mul_f32_e32 v4, v6, v26
	v_add_f32_e32 v3, 0, v3
	s_waitcnt vmcnt(25)
	v_fma_f32 v4, v5, v41, -v4
	v_add_f32_e32 v3, v3, v4
	v_mul_f32_e32 v4, v8, v27
	s_waitcnt vmcnt(24)
	v_fma_f32 v4, v7, v42, -v4
	v_add_f32_e32 v3, v3, v4
	v_mul_f32_e32 v4, v10, v28
	;; [unrolled: 4-line block ×5, first 2 shown]
	v_fmac_f32_e32 v155, v6, v41
	v_add_f32_e32 v154, 0, v154
	s_waitcnt vmcnt(20)
	v_fma_f32 v4, v15, v46, -v4
	v_fmac_f32_e32 v156, v8, v42
	v_add_f32_e32 v154, v154, v155
	v_add_f32_e32 v3, v3, v4
	v_mul_f32_e32 v4, v18, v32
	v_fmac_f32_e32 v157, v10, v43
	v_add_f32_e32 v154, v154, v156
	s_waitcnt vmcnt(19)
	v_fma_f32 v4, v17, v47, -v4
	v_fmac_f32_e32 v158, v12, v44
	v_add_f32_e32 v154, v154, v157
	v_add_f32_e32 v3, v3, v4
	v_mul_f32_e32 v4, v20, v33
	;; [unrolled: 8-line block ×5, first 2 shown]
	s_waitcnt vmcnt(15)
	v_fmac_f32_e32 v174, v145, v51
	v_add_f32_e32 v154, v154, v173
	v_fma_f32 v4, v144, v51, -v4
	s_waitcnt vmcnt(14)
	v_fmac_f32_e32 v175, v147, v52
	v_add_f32_e32 v154, v154, v174
	v_add_f32_e32 v3, v3, v4
	v_mul_f32_e32 v4, v147, v37
	s_waitcnt vmcnt(13)
	v_fmac_f32_e32 v176, v149, v53
	v_add_f32_e32 v154, v154, v175
	v_fma_f32 v4, v146, v52, -v4
	s_waitcnt vmcnt(12)
	v_fmac_f32_e32 v177, v151, v54
	v_add_f32_e32 v154, v154, v176
	v_add_f32_e32 v3, v3, v4
	v_mul_f32_e32 v4, v149, v38
	v_add_f32_e32 v158, v154, v177
	ds_read2_b64 v[154:157], v2 offset0:115 offset1:116
	v_fma_f32 v4, v148, v53, -v4
	v_add_f32_e32 v3, v3, v4
	v_mul_f32_e32 v4, v151, v39
	s_waitcnt vmcnt(11)
	v_mul_f32_e32 v159, v152, v55
	v_fma_f32 v4, v150, v54, -v4
	s_waitcnt vmcnt(10)
	v_fmac_f32_e32 v159, v153, v56
	v_add_f32_e32 v3, v3, v4
	v_mul_f32_e32 v4, v153, v55
	v_add_f32_e32 v171, v158, v159
	ds_read2_b64 v[158:161], v2 offset0:117 offset1:118
	v_fma_f32 v4, v152, v56, -v4
	v_add_f32_e32 v3, v3, v4
	s_waitcnt vmcnt(9) lgkmcnt(1)
	v_mul_f32_e32 v4, v155, v57
	v_mul_f32_e32 v2, v154, v57
	s_waitcnt vmcnt(8)
	v_fma_f32 v4, v154, v162, -v4
	v_fmac_f32_e32 v2, v155, v162
	v_add_f32_e32 v3, v3, v4
	s_waitcnt vmcnt(7)
	v_mul_f32_e32 v4, v157, v163
	v_add_f32_e32 v2, v171, v2
	v_mul_f32_e32 v171, v156, v163
	s_waitcnt vmcnt(6)
	v_fma_f32 v4, v156, v164, -v4
	v_fmac_f32_e32 v171, v157, v164
	v_add_f32_e32 v3, v3, v4
	s_waitcnt vmcnt(5) lgkmcnt(0)
	v_mul_f32_e32 v4, v159, v165
	v_add_f32_e32 v2, v2, v171
	v_mul_f32_e32 v171, v158, v165
	s_waitcnt vmcnt(4)
	v_fma_f32 v4, v158, v166, -v4
	v_fmac_f32_e32 v171, v159, v166
	v_add_f32_e32 v3, v3, v4
	s_waitcnt vmcnt(3)
	v_mul_f32_e32 v4, v161, v167
	v_add_f32_e32 v2, v2, v171
	v_mul_f32_e32 v171, v160, v167
	s_waitcnt vmcnt(2)
	v_fma_f32 v4, v160, v168, -v4
	v_fmac_f32_e32 v171, v161, v168
	v_add_f32_e32 v3, v3, v4
	v_add_f32_e32 v2, v2, v171
	s_waitcnt vmcnt(1)
	v_sub_f32_e32 v3, v169, v3
	s_waitcnt vmcnt(0)
	v_sub_f32_e32 v2, v170, v2
	buffer_store_dword v3, off, s[0:3], 0 offset:304
	buffer_store_dword v2, off, s[0:3], 0 offset:308
	s_and_saveexec_b64 s[4:5], vcc
	s_cbranch_execz .LBB122_293
; %bb.292:
	buffer_load_dword v2, off, s[0:3], 0 offset:296
	buffer_load_dword v3, off, s[0:3], 0 offset:300
	v_mov_b32_e32 v4, 0
	buffer_store_dword v4, off, s[0:3], 0 offset:296
	buffer_store_dword v4, off, s[0:3], 0 offset:300
	s_waitcnt vmcnt(2)
	ds_write_b64 v1, v[2:3]
.LBB122_293:
	s_or_b64 exec, exec, s[4:5]
	s_waitcnt lgkmcnt(0)
	; wave barrier
	buffer_load_dword v23, off, s[0:3], 0 offset:308
	buffer_load_dword v28, off, s[0:3], 0 offset:316
	;; [unrolled: 1-line block ×44, first 2 shown]
	v_mov_b32_e32 v2, 0
	ds_read_b128 v[3:6], v2 offset:784
	ds_read_b128 v[7:10], v2 offset:800
	;; [unrolled: 1-line block ×8, first 2 shown]
	v_cmp_lt_u32_e32 vcc, 36, v0
	s_waitcnt vmcnt(43) lgkmcnt(7)
	v_mul_f32_e32 v26, v3, v23
	s_waitcnt vmcnt(42)
	v_mul_f32_e32 v27, v5, v28
	s_waitcnt vmcnt(41) lgkmcnt(6)
	v_mul_f32_e32 v154, v7, v29
	s_waitcnt vmcnt(40)
	v_mul_f32_e32 v155, v9, v30
	;; [unrolled: 4-line block ×7, first 2 shown]
	s_waitcnt vmcnt(29)
	v_fmac_f32_e32 v26, v4, v41
	v_mul_f32_e32 v4, v4, v23
	v_fma_f32 v3, v3, v41, -v4
	v_mul_f32_e32 v4, v6, v28
	v_add_f32_e32 v3, 0, v3
	s_waitcnt vmcnt(28)
	v_fma_f32 v4, v5, v42, -v4
	v_add_f32_e32 v3, v3, v4
	v_mul_f32_e32 v4, v8, v29
	s_waitcnt vmcnt(27)
	v_fma_f32 v4, v7, v43, -v4
	v_add_f32_e32 v3, v3, v4
	v_mul_f32_e32 v4, v10, v30
	;; [unrolled: 4-line block ×6, first 2 shown]
	v_fmac_f32_e32 v27, v6, v42
	v_add_f32_e32 v26, 0, v26
	s_waitcnt vmcnt(22)
	v_fma_f32 v4, v17, v48, -v4
	v_fmac_f32_e32 v154, v8, v43
	v_add_f32_e32 v26, v26, v27
	v_add_f32_e32 v3, v3, v4
	v_mul_f32_e32 v4, v20, v35
	v_fmac_f32_e32 v155, v10, v44
	v_add_f32_e32 v26, v26, v154
	s_waitcnt vmcnt(21)
	v_fma_f32 v4, v19, v49, -v4
	v_fmac_f32_e32 v156, v12, v45
	v_add_f32_e32 v26, v26, v155
	v_add_f32_e32 v3, v3, v4
	v_mul_f32_e32 v4, v22, v36
	;; [unrolled: 8-line block ×5, first 2 shown]
	v_fmac_f32_e32 v176, v145, v52
	v_add_f32_e32 v26, v26, v175
	s_waitcnt vmcnt(17)
	v_fma_f32 v4, v146, v53, -v4
	v_fmac_f32_e32 v177, v147, v53
	v_add_f32_e32 v26, v26, v176
	ds_read_b128 v[154:157], v2 offset:912
	ds_read_b128 v[158:161], v2 offset:928
	v_add_f32_e32 v3, v3, v4
	v_mul_f32_e32 v4, v149, v40
	v_add_f32_e32 v26, v26, v177
	s_waitcnt vmcnt(16)
	v_fmac_f32_e32 v178, v149, v54
	s_waitcnt vmcnt(15) lgkmcnt(2)
	v_mul_f32_e32 v27, v150, v55
	v_fma_f32 v4, v148, v54, -v4
	v_add_f32_e32 v26, v26, v178
	s_waitcnt vmcnt(14)
	v_fmac_f32_e32 v27, v151, v56
	v_add_f32_e32 v3, v3, v4
	v_mul_f32_e32 v4, v151, v55
	v_add_f32_e32 v26, v26, v27
	s_waitcnt vmcnt(13)
	v_mul_f32_e32 v27, v152, v57
	v_fma_f32 v4, v150, v56, -v4
	s_waitcnt vmcnt(12)
	v_fmac_f32_e32 v27, v153, v162
	v_add_f32_e32 v3, v3, v4
	v_mul_f32_e32 v4, v153, v57
	v_add_f32_e32 v26, v26, v27
	s_waitcnt vmcnt(11) lgkmcnt(1)
	v_mul_f32_e32 v27, v154, v163
	v_fma_f32 v4, v152, v162, -v4
	s_waitcnt vmcnt(10)
	v_fmac_f32_e32 v27, v155, v164
	v_add_f32_e32 v3, v3, v4
	v_mul_f32_e32 v4, v155, v163
	v_add_f32_e32 v26, v26, v27
	s_waitcnt vmcnt(9)
	v_mul_f32_e32 v27, v156, v165
	v_fma_f32 v4, v154, v164, -v4
	s_waitcnt vmcnt(8)
	v_fmac_f32_e32 v27, v157, v166
	v_add_f32_e32 v3, v3, v4
	v_mul_f32_e32 v4, v157, v165
	v_add_f32_e32 v175, v26, v27
	ds_read_b64 v[26:27], v2 offset:944
	v_fma_f32 v4, v156, v166, -v4
	v_add_f32_e32 v3, v3, v4
	s_waitcnt vmcnt(7) lgkmcnt(1)
	v_mul_f32_e32 v4, v159, v167
	v_mul_f32_e32 v176, v158, v167
	s_waitcnt vmcnt(6)
	v_fma_f32 v4, v158, v168, -v4
	v_fmac_f32_e32 v176, v159, v168
	v_add_f32_e32 v3, v3, v4
	s_waitcnt vmcnt(5)
	v_mul_f32_e32 v4, v161, v169
	v_add_f32_e32 v175, v175, v176
	v_mul_f32_e32 v176, v160, v169
	s_waitcnt vmcnt(4)
	v_fma_f32 v4, v160, v170, -v4
	v_fmac_f32_e32 v176, v161, v170
	v_add_f32_e32 v3, v3, v4
	s_waitcnt vmcnt(3) lgkmcnt(0)
	v_mul_f32_e32 v4, v27, v171
	v_add_f32_e32 v175, v175, v176
	v_mul_f32_e32 v176, v26, v171
	s_waitcnt vmcnt(2)
	v_fma_f32 v4, v26, v172, -v4
	v_fmac_f32_e32 v176, v27, v172
	v_add_f32_e32 v3, v3, v4
	v_add_f32_e32 v175, v175, v176
	s_waitcnt vmcnt(1)
	v_sub_f32_e32 v3, v173, v3
	s_waitcnt vmcnt(0)
	v_sub_f32_e32 v4, v174, v175
	buffer_store_dword v3, off, s[0:3], 0 offset:296
	buffer_store_dword v4, off, s[0:3], 0 offset:300
	s_and_saveexec_b64 s[4:5], vcc
	s_cbranch_execz .LBB122_295
; %bb.294:
	buffer_load_dword v3, off, s[0:3], 0 offset:288
	buffer_load_dword v4, off, s[0:3], 0 offset:292
	s_waitcnt vmcnt(0)
	ds_write_b64 v1, v[3:4]
	buffer_store_dword v2, off, s[0:3], 0 offset:288
	buffer_store_dword v2, off, s[0:3], 0 offset:292
.LBB122_295:
	s_or_b64 exec, exec, s[4:5]
	s_waitcnt lgkmcnt(0)
	; wave barrier
	buffer_load_dword v23, off, s[0:3], 0 offset:300
	buffer_load_dword v26, off, s[0:3], 0 offset:308
	;; [unrolled: 1-line block ×46, first 2 shown]
	ds_read2_b64 v[3:6], v2 offset0:97 offset1:98
	ds_read2_b64 v[7:10], v2 offset0:99 offset1:100
	;; [unrolled: 1-line block ×8, first 2 shown]
	v_cmp_lt_u32_e32 vcc, 35, v0
	s_waitcnt vmcnt(45) lgkmcnt(7)
	v_mul_f32_e32 v154, v3, v23
	s_waitcnt vmcnt(44)
	v_mul_f32_e32 v155, v5, v26
	s_waitcnt vmcnt(43) lgkmcnt(6)
	v_mul_f32_e32 v156, v7, v27
	s_waitcnt vmcnt(42)
	v_mul_f32_e32 v157, v9, v28
	;; [unrolled: 4-line block ×6, first 2 shown]
	s_waitcnt vmcnt(33) lgkmcnt(1)
	v_mul_f32_e32 v179, v146, v37
	s_waitcnt vmcnt(32)
	v_fmac_f32_e32 v154, v4, v38
	v_mul_f32_e32 v4, v4, v23
	v_fma_f32 v3, v3, v38, -v4
	v_mul_f32_e32 v4, v6, v26
	v_add_f32_e32 v3, 0, v3
	s_waitcnt vmcnt(31)
	v_fma_f32 v4, v5, v39, -v4
	v_add_f32_e32 v3, v3, v4
	v_mul_f32_e32 v4, v8, v27
	s_waitcnt vmcnt(30)
	v_fma_f32 v4, v7, v40, -v4
	v_add_f32_e32 v3, v3, v4
	v_mul_f32_e32 v4, v10, v28
	;; [unrolled: 4-line block ×4, first 2 shown]
	v_fmac_f32_e32 v155, v6, v39
	v_add_f32_e32 v154, 0, v154
	s_waitcnt vmcnt(27)
	v_fma_f32 v4, v13, v43, -v4
	v_fmac_f32_e32 v156, v8, v40
	v_add_f32_e32 v154, v154, v155
	v_add_f32_e32 v3, v3, v4
	v_mul_f32_e32 v4, v16, v31
	v_fmac_f32_e32 v157, v10, v41
	v_add_f32_e32 v154, v154, v156
	s_waitcnt vmcnt(26)
	v_fma_f32 v4, v15, v44, -v4
	v_fmac_f32_e32 v158, v12, v42
	v_add_f32_e32 v154, v154, v157
	v_add_f32_e32 v3, v3, v4
	v_mul_f32_e32 v4, v18, v32
	;; [unrolled: 8-line block ×4, first 2 shown]
	s_waitcnt vmcnt(23)
	v_fmac_f32_e32 v163, v22, v47
	v_add_f32_e32 v154, v154, v162
	v_fma_f32 v4, v21, v47, -v4
	s_waitcnt vmcnt(22)
	v_fmac_f32_e32 v164, v143, v48
	v_add_f32_e32 v154, v154, v163
	v_add_f32_e32 v3, v3, v4
	v_mul_f32_e32 v4, v143, v35
	s_waitcnt vmcnt(21)
	v_fmac_f32_e32 v165, v145, v49
	v_add_f32_e32 v154, v154, v164
	v_fma_f32 v4, v142, v48, -v4
	s_waitcnt vmcnt(20)
	v_fmac_f32_e32 v179, v147, v50
	v_add_f32_e32 v154, v154, v165
	s_waitcnt vmcnt(19)
	v_mul_f32_e32 v155, v148, v51
	v_add_f32_e32 v3, v3, v4
	v_mul_f32_e32 v4, v145, v36
	v_add_f32_e32 v154, v154, v179
	s_waitcnt vmcnt(18)
	v_fmac_f32_e32 v155, v149, v52
	v_fma_f32 v4, v144, v49, -v4
	v_add_f32_e32 v154, v154, v155
	s_waitcnt vmcnt(17) lgkmcnt(0)
	v_mul_f32_e32 v155, v150, v53
	v_add_f32_e32 v3, v3, v4
	v_mul_f32_e32 v4, v147, v37
	s_waitcnt vmcnt(16)
	v_fmac_f32_e32 v155, v151, v54
	v_fma_f32 v4, v146, v50, -v4
	v_add_f32_e32 v158, v154, v155
	ds_read2_b64 v[154:157], v2 offset0:113 offset1:114
	v_add_f32_e32 v3, v3, v4
	v_mul_f32_e32 v4, v149, v51
	v_fma_f32 v4, v148, v52, -v4
	v_add_f32_e32 v3, v3, v4
	v_mul_f32_e32 v4, v151, v53
	s_waitcnt vmcnt(15)
	v_mul_f32_e32 v159, v152, v55
	v_fma_f32 v4, v150, v54, -v4
	s_waitcnt vmcnt(14)
	v_fmac_f32_e32 v159, v153, v56
	v_add_f32_e32 v3, v3, v4
	v_mul_f32_e32 v4, v153, v55
	v_add_f32_e32 v162, v158, v159
	ds_read2_b64 v[158:161], v2 offset0:115 offset1:116
	s_waitcnt vmcnt(13) lgkmcnt(1)
	v_mul_f32_e32 v163, v154, v57
	v_fma_f32 v4, v152, v56, -v4
	s_waitcnt vmcnt(12)
	v_fmac_f32_e32 v163, v155, v166
	v_add_f32_e32 v3, v3, v4
	v_mul_f32_e32 v4, v155, v57
	v_add_f32_e32 v162, v162, v163
	s_waitcnt vmcnt(11)
	v_mul_f32_e32 v163, v156, v167
	v_fma_f32 v4, v154, v166, -v4
	s_waitcnt vmcnt(10)
	v_fmac_f32_e32 v163, v157, v168
	v_add_f32_e32 v3, v3, v4
	v_mul_f32_e32 v4, v157, v167
	v_add_f32_e32 v179, v162, v163
	ds_read2_b64 v[162:165], v2 offset0:117 offset1:118
	v_fma_f32 v4, v156, v168, -v4
	v_add_f32_e32 v3, v3, v4
	s_waitcnt vmcnt(9) lgkmcnt(1)
	v_mul_f32_e32 v4, v159, v169
	v_mul_f32_e32 v180, v158, v169
	s_waitcnt vmcnt(8)
	v_fma_f32 v4, v158, v170, -v4
	v_fmac_f32_e32 v180, v159, v170
	v_add_f32_e32 v3, v3, v4
	s_waitcnt vmcnt(7)
	v_mul_f32_e32 v4, v161, v171
	v_add_f32_e32 v2, v179, v180
	v_mul_f32_e32 v179, v160, v171
	s_waitcnt vmcnt(6)
	v_fma_f32 v4, v160, v172, -v4
	v_fmac_f32_e32 v179, v161, v172
	v_add_f32_e32 v3, v3, v4
	s_waitcnt vmcnt(5) lgkmcnt(0)
	v_mul_f32_e32 v4, v163, v173
	v_add_f32_e32 v2, v2, v179
	v_mul_f32_e32 v179, v162, v173
	s_waitcnt vmcnt(4)
	v_fma_f32 v4, v162, v174, -v4
	v_fmac_f32_e32 v179, v163, v174
	v_add_f32_e32 v3, v3, v4
	s_waitcnt vmcnt(3)
	v_mul_f32_e32 v4, v165, v175
	v_add_f32_e32 v2, v2, v179
	v_mul_f32_e32 v179, v164, v175
	s_waitcnt vmcnt(2)
	v_fma_f32 v4, v164, v176, -v4
	v_fmac_f32_e32 v179, v165, v176
	v_add_f32_e32 v3, v3, v4
	v_add_f32_e32 v2, v2, v179
	s_waitcnt vmcnt(1)
	v_sub_f32_e32 v3, v177, v3
	s_waitcnt vmcnt(0)
	v_sub_f32_e32 v2, v178, v2
	buffer_store_dword v3, off, s[0:3], 0 offset:288
	buffer_store_dword v2, off, s[0:3], 0 offset:292
	s_and_saveexec_b64 s[4:5], vcc
	s_cbranch_execz .LBB122_297
; %bb.296:
	buffer_load_dword v2, off, s[0:3], 0 offset:280
	buffer_load_dword v3, off, s[0:3], 0 offset:284
	v_mov_b32_e32 v4, 0
	buffer_store_dword v4, off, s[0:3], 0 offset:280
	buffer_store_dword v4, off, s[0:3], 0 offset:284
	s_waitcnt vmcnt(2)
	ds_write_b64 v1, v[2:3]
.LBB122_297:
	s_or_b64 exec, exec, s[4:5]
	s_waitcnt lgkmcnt(0)
	; wave barrier
	buffer_load_dword v23, off, s[0:3], 0 offset:292
	buffer_load_dword v28, off, s[0:3], 0 offset:300
	;; [unrolled: 1-line block ×48, first 2 shown]
	v_mov_b32_e32 v2, 0
	ds_read_b128 v[3:6], v2 offset:768
	ds_read_b128 v[7:10], v2 offset:784
	;; [unrolled: 1-line block ×7, first 2 shown]
	v_cmp_lt_u32_e32 vcc, 34, v0
	ds_read_b128 v[162:165], v2 offset:928
	s_waitcnt vmcnt(47) lgkmcnt(7)
	v_mul_f32_e32 v26, v3, v23
	s_waitcnt vmcnt(46)
	v_mul_f32_e32 v27, v5, v28
	s_waitcnt vmcnt(45) lgkmcnt(6)
	v_mul_f32_e32 v150, v7, v29
	s_waitcnt vmcnt(44)
	v_mul_f32_e32 v151, v9, v30
	;; [unrolled: 4-line block ×6, first 2 shown]
	s_waitcnt vmcnt(35)
	v_fmac_f32_e32 v26, v4, v39
	v_mul_f32_e32 v4, v4, v23
	v_fma_f32 v3, v3, v39, -v4
	v_mul_f32_e32 v4, v6, v28
	v_add_f32_e32 v3, 0, v3
	s_waitcnt vmcnt(34)
	v_fma_f32 v4, v5, v40, -v4
	v_add_f32_e32 v3, v3, v4
	v_mul_f32_e32 v4, v8, v29
	s_waitcnt vmcnt(33)
	v_fma_f32 v4, v7, v41, -v4
	v_add_f32_e32 v3, v3, v4
	v_mul_f32_e32 v4, v10, v30
	s_waitcnt vmcnt(32)
	v_fma_f32 v4, v9, v42, -v4
	v_add_f32_e32 v3, v3, v4
	v_mul_f32_e32 v4, v12, v31
	s_waitcnt vmcnt(31)
	v_fma_f32 v4, v11, v43, -v4
	v_add_f32_e32 v3, v3, v4
	v_mul_f32_e32 v4, v14, v32
	s_waitcnt vmcnt(30)
	v_fma_f32 v4, v13, v44, -v4
	v_add_f32_e32 v3, v3, v4
	v_mul_f32_e32 v4, v16, v33
	v_fmac_f32_e32 v27, v6, v40
	v_add_f32_e32 v26, 0, v26
	s_waitcnt vmcnt(29)
	v_fma_f32 v4, v15, v45, -v4
	v_fmac_f32_e32 v150, v8, v41
	v_add_f32_e32 v26, v26, v27
	v_add_f32_e32 v3, v3, v4
	v_mul_f32_e32 v4, v18, v34
	v_fmac_f32_e32 v151, v10, v42
	v_add_f32_e32 v26, v26, v150
	s_waitcnt vmcnt(28)
	v_fma_f32 v4, v17, v46, -v4
	v_fmac_f32_e32 v152, v12, v43
	v_add_f32_e32 v26, v26, v151
	v_add_f32_e32 v3, v3, v4
	v_mul_f32_e32 v4, v20, v35
	v_fmac_f32_e32 v153, v14, v44
	v_add_f32_e32 v26, v26, v152
	s_waitcnt vmcnt(27)
	v_fma_f32 v4, v19, v47, -v4
	v_fmac_f32_e32 v154, v16, v45
	v_add_f32_e32 v26, v26, v153
	v_add_f32_e32 v3, v3, v4
	v_mul_f32_e32 v4, v22, v36
	v_fmac_f32_e32 v155, v18, v46
	v_add_f32_e32 v26, v26, v154
	s_waitcnt vmcnt(26)
	v_fma_f32 v4, v21, v48, -v4
	v_fmac_f32_e32 v156, v20, v47
	v_add_f32_e32 v26, v26, v155
	v_add_f32_e32 v3, v3, v4
	v_mul_f32_e32 v4, v143, v37
	v_fmac_f32_e32 v157, v22, v48
	v_add_f32_e32 v26, v26, v156
	s_waitcnt vmcnt(25)
	v_fma_f32 v4, v142, v49, -v4
	v_fmac_f32_e32 v158, v143, v49
	v_add_f32_e32 v26, v26, v157
	ds_read_b128 v[150:153], v2 offset:880
	ds_read_b128 v[154:157], v2 offset:896
	v_add_f32_e32 v3, v3, v4
	v_mul_f32_e32 v4, v145, v38
	s_waitcnt vmcnt(24)
	v_fmac_f32_e32 v159, v145, v50
	v_add_f32_e32 v26, v26, v158
	s_waitcnt vmcnt(23) lgkmcnt(3)
	v_mul_f32_e32 v27, v146, v51
	v_fma_f32 v4, v144, v50, -v4
	v_add_f32_e32 v26, v26, v159
	s_waitcnt vmcnt(22)
	v_fmac_f32_e32 v27, v147, v52
	v_add_f32_e32 v3, v3, v4
	v_mul_f32_e32 v4, v147, v51
	v_add_f32_e32 v26, v26, v27
	s_waitcnt vmcnt(21)
	v_mul_f32_e32 v27, v148, v53
	v_fma_f32 v4, v146, v52, -v4
	s_waitcnt vmcnt(20)
	v_fmac_f32_e32 v27, v149, v54
	v_add_f32_e32 v3, v3, v4
	v_mul_f32_e32 v4, v149, v53
	v_add_f32_e32 v26, v26, v27
	s_waitcnt vmcnt(19) lgkmcnt(1)
	v_mul_f32_e32 v27, v150, v55
	v_fma_f32 v4, v148, v54, -v4
	s_waitcnt vmcnt(18)
	v_fmac_f32_e32 v27, v151, v56
	v_add_f32_e32 v3, v3, v4
	v_mul_f32_e32 v4, v151, v55
	v_add_f32_e32 v26, v26, v27
	s_waitcnt vmcnt(17)
	v_mul_f32_e32 v27, v152, v57
	v_fma_f32 v4, v150, v56, -v4
	s_waitcnt vmcnt(16)
	v_fmac_f32_e32 v27, v153, v166
	ds_read_b128 v[158:161], v2 offset:912
	v_add_f32_e32 v3, v3, v4
	v_mul_f32_e32 v4, v153, v57
	v_add_f32_e32 v26, v26, v27
	s_waitcnt vmcnt(15) lgkmcnt(1)
	v_mul_f32_e32 v27, v154, v167
	v_fma_f32 v4, v152, v166, -v4
	s_waitcnt vmcnt(14)
	v_fmac_f32_e32 v27, v155, v168
	v_add_f32_e32 v3, v3, v4
	v_mul_f32_e32 v4, v155, v167
	v_add_f32_e32 v26, v26, v27
	s_waitcnt vmcnt(13)
	v_mul_f32_e32 v27, v156, v169
	v_fma_f32 v4, v154, v168, -v4
	s_waitcnt vmcnt(12)
	v_fmac_f32_e32 v27, v157, v170
	v_add_f32_e32 v3, v3, v4
	v_mul_f32_e32 v4, v157, v169
	v_add_f32_e32 v26, v26, v27
	s_waitcnt vmcnt(11) lgkmcnt(0)
	v_mul_f32_e32 v27, v158, v171
	v_fma_f32 v4, v156, v170, -v4
	s_waitcnt vmcnt(10)
	v_fmac_f32_e32 v27, v159, v172
	v_add_f32_e32 v3, v3, v4
	v_mul_f32_e32 v4, v159, v171
	v_add_f32_e32 v26, v26, v27
	s_waitcnt vmcnt(9)
	v_mul_f32_e32 v27, v160, v173
	v_fma_f32 v4, v158, v172, -v4
	s_waitcnt vmcnt(8)
	v_fmac_f32_e32 v27, v161, v174
	v_add_f32_e32 v3, v3, v4
	v_mul_f32_e32 v4, v161, v173
	v_add_f32_e32 v183, v26, v27
	ds_read_b64 v[26:27], v2 offset:944
	v_fma_f32 v4, v160, v174, -v4
	v_add_f32_e32 v3, v3, v4
	s_waitcnt vmcnt(6)
	v_mul_f32_e32 v4, v163, v176
	v_mul_f32_e32 v184, v162, v176
	v_fma_f32 v4, v162, v175, -v4
	v_fmac_f32_e32 v184, v163, v175
	v_add_f32_e32 v3, v3, v4
	s_waitcnt vmcnt(3)
	v_mul_f32_e32 v4, v165, v179
	v_add_f32_e32 v183, v183, v184
	v_mul_f32_e32 v184, v164, v179
	s_waitcnt vmcnt(2)
	v_fma_f32 v4, v164, v180, -v4
	v_fmac_f32_e32 v184, v165, v180
	v_add_f32_e32 v3, v3, v4
	s_waitcnt vmcnt(0) lgkmcnt(0)
	v_mul_f32_e32 v4, v27, v182
	v_add_f32_e32 v183, v183, v184
	v_mul_f32_e32 v184, v26, v182
	v_fma_f32 v4, v26, v181, -v4
	v_fmac_f32_e32 v184, v27, v181
	v_add_f32_e32 v3, v3, v4
	v_add_f32_e32 v183, v183, v184
	v_sub_f32_e32 v3, v177, v3
	v_sub_f32_e32 v4, v178, v183
	buffer_store_dword v3, off, s[0:3], 0 offset:280
	buffer_store_dword v4, off, s[0:3], 0 offset:284
	s_and_saveexec_b64 s[4:5], vcc
	s_cbranch_execz .LBB122_299
; %bb.298:
	buffer_load_dword v3, off, s[0:3], 0 offset:272
	buffer_load_dword v4, off, s[0:3], 0 offset:276
	s_waitcnt vmcnt(0)
	ds_write_b64 v1, v[3:4]
	buffer_store_dword v2, off, s[0:3], 0 offset:272
	buffer_store_dword v2, off, s[0:3], 0 offset:276
.LBB122_299:
	s_or_b64 exec, exec, s[4:5]
	s_waitcnt lgkmcnt(0)
	; wave barrier
	buffer_load_dword v23, off, s[0:3], 0 offset:284
	buffer_load_dword v26, off, s[0:3], 0 offset:292
	buffer_load_dword v27, off, s[0:3], 0 offset:300
	buffer_load_dword v28, off, s[0:3], 0 offset:308
	buffer_load_dword v29, off, s[0:3], 0 offset:316
	buffer_load_dword v30, off, s[0:3], 0 offset:324
	buffer_load_dword v31, off, s[0:3], 0 offset:332
	buffer_load_dword v32, off, s[0:3], 0 offset:340
	buffer_load_dword v33, off, s[0:3], 0 offset:348
	buffer_load_dword v34, off, s[0:3], 0 offset:356
	buffer_load_dword v35, off, s[0:3], 0 offset:364
	buffer_load_dword v36, off, s[0:3], 0 offset:372
	buffer_load_dword v37, off, s[0:3], 0 offset:280
	buffer_load_dword v38, off, s[0:3], 0 offset:288
	buffer_load_dword v39, off, s[0:3], 0 offset:296
	buffer_load_dword v40, off, s[0:3], 0 offset:304
	buffer_load_dword v41, off, s[0:3], 0 offset:312
	buffer_load_dword v42, off, s[0:3], 0 offset:320
	buffer_load_dword v43, off, s[0:3], 0 offset:328
	buffer_load_dword v44, off, s[0:3], 0 offset:336
	buffer_load_dword v45, off, s[0:3], 0 offset:344
	buffer_load_dword v46, off, s[0:3], 0 offset:352
	buffer_load_dword v47, off, s[0:3], 0 offset:360
	buffer_load_dword v48, off, s[0:3], 0 offset:368
	buffer_load_dword v49, off, s[0:3], 0 offset:380
	buffer_load_dword v50, off, s[0:3], 0 offset:376
	buffer_load_dword v51, off, s[0:3], 0 offset:388
	buffer_load_dword v52, off, s[0:3], 0 offset:384
	buffer_load_dword v53, off, s[0:3], 0 offset:396
	buffer_load_dword v54, off, s[0:3], 0 offset:392
	buffer_load_dword v55, off, s[0:3], 0 offset:404
	buffer_load_dword v56, off, s[0:3], 0 offset:400
	buffer_load_dword v57, off, s[0:3], 0 offset:412
	buffer_load_dword v170, off, s[0:3], 0 offset:408
	buffer_load_dword v171, off, s[0:3], 0 offset:420
	buffer_load_dword v172, off, s[0:3], 0 offset:416
	buffer_load_dword v173, off, s[0:3], 0 offset:428
	buffer_load_dword v174, off, s[0:3], 0 offset:424
	buffer_load_dword v175, off, s[0:3], 0 offset:436
	buffer_load_dword v176, off, s[0:3], 0 offset:432
	buffer_load_dword v177, off, s[0:3], 0 offset:272
	buffer_load_dword v178, off, s[0:3], 0 offset:276
	buffer_load_dword v179, off, s[0:3], 0 offset:444
	buffer_load_dword v180, off, s[0:3], 0 offset:440
	buffer_load_dword v181, off, s[0:3], 0 offset:448
	buffer_load_dword v182, off, s[0:3], 0 offset:452
	buffer_load_dword v183, off, s[0:3], 0 offset:456
	buffer_load_dword v184, off, s[0:3], 0 offset:460
	ds_read2_b64 v[3:6], v2 offset0:95 offset1:96
	ds_read2_b64 v[7:10], v2 offset0:97 offset1:98
	buffer_load_dword v185, off, s[0:3], 0 offset:464
	buffer_load_dword v186, off, s[0:3], 0 offset:468
	ds_read2_b64 v[11:14], v2 offset0:99 offset1:100
	ds_read2_b64 v[15:18], v2 offset0:101 offset1:102
	;; [unrolled: 1-line block ×5, first 2 shown]
	v_cmp_lt_u32_e32 vcc, 33, v0
	s_waitcnt vmcnt(49) lgkmcnt(6)
	v_mul_f32_e32 v150, v3, v23
	s_waitcnt vmcnt(48)
	v_mul_f32_e32 v151, v5, v26
	s_waitcnt vmcnt(47) lgkmcnt(5)
	v_mul_f32_e32 v152, v7, v27
	s_waitcnt vmcnt(46)
	v_mul_f32_e32 v153, v9, v28
	s_waitcnt vmcnt(45) lgkmcnt(4)
	v_mul_f32_e32 v154, v11, v29
	s_waitcnt vmcnt(44)
	v_mul_f32_e32 v155, v13, v30
	s_waitcnt vmcnt(43) lgkmcnt(3)
	v_mul_f32_e32 v156, v15, v31
	s_waitcnt vmcnt(42)
	v_mul_f32_e32 v157, v17, v32
	s_waitcnt vmcnt(41) lgkmcnt(2)
	v_mul_f32_e32 v158, v19, v33
	s_waitcnt vmcnt(40)
	v_mul_f32_e32 v159, v21, v34
	s_waitcnt vmcnt(39) lgkmcnt(1)
	v_mul_f32_e32 v160, v142, v35
	s_waitcnt vmcnt(38)
	v_mul_f32_e32 v161, v144, v36
	s_waitcnt vmcnt(37)
	v_fmac_f32_e32 v150, v4, v37
	v_mul_f32_e32 v4, v4, v23
	v_fma_f32 v3, v3, v37, -v4
	v_mul_f32_e32 v4, v6, v26
	v_add_f32_e32 v3, 0, v3
	s_waitcnt vmcnt(36)
	v_fma_f32 v4, v5, v38, -v4
	v_add_f32_e32 v3, v3, v4
	v_mul_f32_e32 v4, v8, v27
	s_waitcnt vmcnt(35)
	v_fma_f32 v4, v7, v39, -v4
	v_fmac_f32_e32 v151, v6, v38
	v_add_f32_e32 v150, 0, v150
	v_add_f32_e32 v3, v3, v4
	v_mul_f32_e32 v4, v10, v28
	v_fmac_f32_e32 v152, v8, v39
	v_add_f32_e32 v150, v150, v151
	s_waitcnt vmcnt(34)
	v_fma_f32 v4, v9, v40, -v4
	v_fmac_f32_e32 v153, v10, v40
	v_add_f32_e32 v150, v150, v152
	v_add_f32_e32 v3, v3, v4
	v_mul_f32_e32 v4, v12, v29
	s_waitcnt vmcnt(33)
	v_fmac_f32_e32 v154, v12, v41
	v_add_f32_e32 v150, v150, v153
	v_fma_f32 v4, v11, v41, -v4
	s_waitcnt vmcnt(32)
	v_fmac_f32_e32 v155, v14, v42
	v_add_f32_e32 v150, v150, v154
	v_add_f32_e32 v3, v3, v4
	v_mul_f32_e32 v4, v14, v30
	s_waitcnt vmcnt(31)
	v_fmac_f32_e32 v156, v16, v43
	v_add_f32_e32 v150, v150, v155
	v_fma_f32 v4, v13, v42, -v4
	s_waitcnt vmcnt(30)
	;; [unrolled: 9-line block ×3, first 2 shown]
	v_fmac_f32_e32 v159, v22, v46
	v_add_f32_e32 v150, v150, v158
	v_add_f32_e32 v3, v3, v4
	v_mul_f32_e32 v4, v18, v32
	s_waitcnt vmcnt(27)
	v_fmac_f32_e32 v160, v143, v47
	v_add_f32_e32 v150, v150, v159
	v_fma_f32 v4, v17, v44, -v4
	v_add_f32_e32 v150, v150, v160
	s_waitcnt vmcnt(26)
	v_fmac_f32_e32 v161, v145, v48
	v_add_f32_e32 v3, v3, v4
	v_mul_f32_e32 v4, v20, v33
	v_add_f32_e32 v154, v150, v161
	ds_read2_b64 v[150:153], v2 offset0:109 offset1:110
	v_fma_f32 v4, v19, v45, -v4
	s_waitcnt vmcnt(25) lgkmcnt(1)
	v_mul_f32_e32 v155, v146, v49
	v_add_f32_e32 v3, v3, v4
	v_mul_f32_e32 v4, v22, v34
	s_waitcnt vmcnt(24)
	v_fmac_f32_e32 v155, v147, v50
	v_fma_f32 v4, v21, v46, -v4
	v_add_f32_e32 v154, v154, v155
	s_waitcnt vmcnt(23)
	v_mul_f32_e32 v155, v148, v51
	v_add_f32_e32 v3, v3, v4
	v_mul_f32_e32 v4, v143, v35
	s_waitcnt vmcnt(22)
	v_fmac_f32_e32 v155, v149, v52
	v_fma_f32 v4, v142, v47, -v4
	v_add_f32_e32 v154, v154, v155
	s_waitcnt vmcnt(21) lgkmcnt(0)
	v_mul_f32_e32 v155, v150, v53
	v_add_f32_e32 v3, v3, v4
	v_mul_f32_e32 v4, v145, v36
	s_waitcnt vmcnt(20)
	v_fmac_f32_e32 v155, v151, v54
	v_fma_f32 v4, v144, v48, -v4
	v_add_f32_e32 v158, v154, v155
	ds_read2_b64 v[154:157], v2 offset0:111 offset1:112
	v_add_f32_e32 v3, v3, v4
	v_mul_f32_e32 v4, v147, v49
	v_fma_f32 v4, v146, v50, -v4
	s_waitcnt vmcnt(19)
	v_mul_f32_e32 v159, v152, v55
	v_add_f32_e32 v3, v3, v4
	v_mul_f32_e32 v4, v149, v51
	s_waitcnt vmcnt(18)
	v_fmac_f32_e32 v159, v153, v56
	v_fma_f32 v4, v148, v52, -v4
	v_add_f32_e32 v162, v158, v159
	ds_read2_b64 v[158:161], v2 offset0:113 offset1:114
	v_add_f32_e32 v3, v3, v4
	v_mul_f32_e32 v4, v151, v53
	s_waitcnt vmcnt(17) lgkmcnt(1)
	v_mul_f32_e32 v163, v154, v57
	v_fma_f32 v4, v150, v54, -v4
	s_waitcnt vmcnt(16)
	v_fmac_f32_e32 v163, v155, v170
	v_add_f32_e32 v3, v3, v4
	v_mul_f32_e32 v4, v153, v55
	v_add_f32_e32 v162, v162, v163
	s_waitcnt vmcnt(15)
	v_mul_f32_e32 v163, v156, v171
	v_fma_f32 v4, v152, v56, -v4
	s_waitcnt vmcnt(14)
	v_fmac_f32_e32 v163, v157, v172
	v_add_f32_e32 v3, v3, v4
	v_mul_f32_e32 v4, v155, v57
	v_add_f32_e32 v162, v162, v163
	s_waitcnt vmcnt(13) lgkmcnt(0)
	v_mul_f32_e32 v163, v158, v173
	v_fma_f32 v4, v154, v170, -v4
	s_waitcnt vmcnt(12)
	v_fmac_f32_e32 v163, v159, v174
	v_add_f32_e32 v3, v3, v4
	v_mul_f32_e32 v4, v157, v171
	v_add_f32_e32 v166, v162, v163
	ds_read2_b64 v[162:165], v2 offset0:115 offset1:116
	v_fma_f32 v4, v156, v172, -v4
	v_add_f32_e32 v3, v3, v4
	v_mul_f32_e32 v4, v159, v173
	s_waitcnt vmcnt(11)
	v_mul_f32_e32 v167, v160, v175
	v_fma_f32 v4, v158, v174, -v4
	s_waitcnt vmcnt(10)
	v_fmac_f32_e32 v167, v161, v176
	v_add_f32_e32 v3, v3, v4
	v_mul_f32_e32 v4, v161, v175
	v_add_f32_e32 v187, v166, v167
	ds_read2_b64 v[166:169], v2 offset0:117 offset1:118
	v_fma_f32 v4, v160, v176, -v4
	v_add_f32_e32 v3, v3, v4
	s_waitcnt vmcnt(7) lgkmcnt(1)
	v_mul_f32_e32 v4, v163, v179
	v_mul_f32_e32 v2, v162, v179
	s_waitcnt vmcnt(6)
	v_fma_f32 v4, v162, v180, -v4
	v_fmac_f32_e32 v2, v163, v180
	v_add_f32_e32 v3, v3, v4
	s_waitcnt vmcnt(4)
	v_mul_f32_e32 v4, v165, v182
	v_add_f32_e32 v2, v187, v2
	v_mul_f32_e32 v187, v164, v182
	v_fma_f32 v4, v164, v181, -v4
	v_fmac_f32_e32 v187, v165, v181
	v_add_f32_e32 v3, v3, v4
	s_waitcnt vmcnt(2) lgkmcnt(0)
	v_mul_f32_e32 v4, v167, v184
	v_add_f32_e32 v2, v2, v187
	v_mul_f32_e32 v187, v166, v184
	v_fma_f32 v4, v166, v183, -v4
	v_fmac_f32_e32 v187, v167, v183
	v_add_f32_e32 v3, v3, v4
	s_waitcnt vmcnt(0)
	v_mul_f32_e32 v4, v169, v186
	v_add_f32_e32 v2, v2, v187
	v_mul_f32_e32 v187, v168, v186
	v_fma_f32 v4, v168, v185, -v4
	v_fmac_f32_e32 v187, v169, v185
	v_add_f32_e32 v3, v3, v4
	v_add_f32_e32 v2, v2, v187
	v_sub_f32_e32 v3, v177, v3
	v_sub_f32_e32 v2, v178, v2
	buffer_store_dword v3, off, s[0:3], 0 offset:272
	buffer_store_dword v2, off, s[0:3], 0 offset:276
	s_and_saveexec_b64 s[4:5], vcc
	s_cbranch_execz .LBB122_301
; %bb.300:
	buffer_load_dword v2, off, s[0:3], 0 offset:264
	buffer_load_dword v3, off, s[0:3], 0 offset:268
	v_mov_b32_e32 v4, 0
	buffer_store_dword v4, off, s[0:3], 0 offset:264
	buffer_store_dword v4, off, s[0:3], 0 offset:268
	s_waitcnt vmcnt(2)
	ds_write_b64 v1, v[2:3]
.LBB122_301:
	s_or_b64 exec, exec, s[4:5]
	s_waitcnt lgkmcnt(0)
	; wave barrier
	buffer_load_dword v23, off, s[0:3], 0 offset:276
	buffer_load_dword v28, off, s[0:3], 0 offset:284
	;; [unrolled: 1-line block ×52, first 2 shown]
	v_mov_b32_e32 v2, 0
	ds_read_b128 v[3:6], v2 offset:752
	ds_read_b128 v[7:10], v2 offset:768
	;; [unrolled: 1-line block ×8, first 2 shown]
	v_cmp_lt_u32_e32 vcc, 32, v0
	ds_read_b128 v[158:161], v2 offset:896
	s_waitcnt vmcnt(51) lgkmcnt(8)
	v_mul_f32_e32 v26, v3, v23
	s_waitcnt vmcnt(50)
	v_mul_f32_e32 v27, v5, v28
	s_waitcnt vmcnt(49) lgkmcnt(7)
	v_mul_f32_e32 v146, v7, v29
	s_waitcnt vmcnt(48)
	v_mul_f32_e32 v147, v9, v30
	;; [unrolled: 4-line block ×5, first 2 shown]
	s_waitcnt vmcnt(41) lgkmcnt(3)
	v_mul_f32_e32 v154, v142, v37
	s_waitcnt vmcnt(40)
	v_fmac_f32_e32 v26, v4, v38
	v_mul_f32_e32 v4, v4, v23
	v_fma_f32 v3, v3, v38, -v4
	v_mul_f32_e32 v4, v6, v28
	v_add_f32_e32 v3, 0, v3
	s_waitcnt vmcnt(39)
	v_fma_f32 v4, v5, v39, -v4
	v_add_f32_e32 v3, v3, v4
	v_mul_f32_e32 v4, v8, v29
	s_waitcnt vmcnt(38)
	v_fma_f32 v4, v7, v40, -v4
	v_add_f32_e32 v3, v3, v4
	v_mul_f32_e32 v4, v10, v30
	;; [unrolled: 4-line block ×4, first 2 shown]
	s_waitcnt vmcnt(35)
	v_fma_f32 v4, v13, v43, -v4
	v_fmac_f32_e32 v27, v6, v39
	v_add_f32_e32 v26, 0, v26
	v_add_f32_e32 v3, v3, v4
	v_mul_f32_e32 v4, v16, v33
	v_fmac_f32_e32 v146, v8, v40
	v_add_f32_e32 v26, v26, v27
	s_waitcnt vmcnt(34)
	v_fma_f32 v4, v15, v44, -v4
	v_fmac_f32_e32 v147, v10, v41
	v_add_f32_e32 v26, v26, v146
	v_add_f32_e32 v3, v3, v4
	v_mul_f32_e32 v4, v18, v34
	v_fmac_f32_e32 v148, v12, v42
	v_add_f32_e32 v26, v26, v147
	;; [unrolled: 8-line block ×3, first 2 shown]
	s_waitcnt vmcnt(32)
	v_fma_f32 v4, v19, v46, -v4
	v_fmac_f32_e32 v151, v18, v45
	v_add_f32_e32 v26, v26, v150
	ds_read_b128 v[146:149], v2 offset:848
	v_add_f32_e32 v3, v3, v4
	v_mul_f32_e32 v4, v22, v36
	v_fmac_f32_e32 v152, v20, v46
	v_add_f32_e32 v26, v26, v151
	s_waitcnt vmcnt(31)
	v_fma_f32 v4, v21, v47, -v4
	v_fmac_f32_e32 v153, v22, v47
	v_add_f32_e32 v26, v26, v152
	v_add_f32_e32 v3, v3, v4
	v_mul_f32_e32 v4, v143, v37
	v_add_f32_e32 v26, v26, v153
	s_waitcnt vmcnt(30)
	v_fmac_f32_e32 v154, v143, v48
	s_waitcnt vmcnt(29)
	v_mul_f32_e32 v27, v144, v49
	v_fma_f32 v4, v142, v48, -v4
	v_add_f32_e32 v26, v26, v154
	s_waitcnt vmcnt(28)
	v_fmac_f32_e32 v27, v145, v50
	ds_read_b128 v[150:153], v2 offset:864
	v_add_f32_e32 v3, v3, v4
	v_mul_f32_e32 v4, v145, v49
	v_add_f32_e32 v26, v26, v27
	s_waitcnt vmcnt(27) lgkmcnt(1)
	v_mul_f32_e32 v27, v146, v51
	v_fma_f32 v4, v144, v50, -v4
	s_waitcnt vmcnt(26)
	v_fmac_f32_e32 v27, v147, v52
	v_add_f32_e32 v3, v3, v4
	v_mul_f32_e32 v4, v147, v51
	v_add_f32_e32 v26, v26, v27
	s_waitcnt vmcnt(25)
	v_mul_f32_e32 v27, v148, v53
	v_fma_f32 v4, v146, v52, -v4
	s_waitcnt vmcnt(24)
	v_fmac_f32_e32 v27, v149, v54
	ds_read_b128 v[154:157], v2 offset:880
	v_add_f32_e32 v3, v3, v4
	v_mul_f32_e32 v4, v149, v53
	v_add_f32_e32 v26, v26, v27
	s_waitcnt vmcnt(23) lgkmcnt(1)
	v_mul_f32_e32 v27, v150, v55
	v_fma_f32 v4, v148, v54, -v4
	s_waitcnt vmcnt(22)
	v_fmac_f32_e32 v27, v151, v56
	v_add_f32_e32 v3, v3, v4
	v_mul_f32_e32 v4, v151, v55
	v_add_f32_e32 v26, v26, v27
	s_waitcnt vmcnt(21)
	v_mul_f32_e32 v27, v152, v57
	v_fma_f32 v4, v150, v56, -v4
	s_waitcnt vmcnt(20)
	v_fmac_f32_e32 v27, v153, v170
	v_add_f32_e32 v3, v3, v4
	v_mul_f32_e32 v4, v153, v57
	v_add_f32_e32 v26, v26, v27
	s_waitcnt vmcnt(19) lgkmcnt(0)
	v_mul_f32_e32 v27, v154, v171
	v_fma_f32 v4, v152, v170, -v4
	s_waitcnt vmcnt(18)
	v_fmac_f32_e32 v27, v155, v172
	v_add_f32_e32 v3, v3, v4
	v_mul_f32_e32 v4, v155, v171
	v_add_f32_e32 v26, v26, v27
	s_waitcnt vmcnt(17)
	v_mul_f32_e32 v27, v156, v173
	v_fma_f32 v4, v154, v172, -v4
	s_waitcnt vmcnt(16)
	v_fmac_f32_e32 v27, v157, v174
	v_add_f32_e32 v3, v3, v4
	v_mul_f32_e32 v4, v157, v173
	v_add_f32_e32 v26, v26, v27
	s_waitcnt vmcnt(14)
	v_mul_f32_e32 v27, v158, v176
	v_fma_f32 v4, v156, v174, -v4
	v_fmac_f32_e32 v27, v159, v175
	v_add_f32_e32 v3, v3, v4
	v_mul_f32_e32 v4, v159, v176
	v_add_f32_e32 v26, v26, v27
	s_waitcnt vmcnt(11)
	v_mul_f32_e32 v27, v160, v179
	v_fma_f32 v4, v158, v175, -v4
	s_waitcnt vmcnt(10)
	v_fmac_f32_e32 v27, v161, v180
	v_add_f32_e32 v3, v3, v4
	v_mul_f32_e32 v4, v161, v179
	v_add_f32_e32 v26, v26, v27
	s_waitcnt vmcnt(8)
	v_mul_f32_e32 v27, v162, v182
	v_fma_f32 v4, v160, v180, -v4
	v_fmac_f32_e32 v27, v163, v181
	v_add_f32_e32 v3, v3, v4
	v_mul_f32_e32 v4, v163, v182
	v_add_f32_e32 v26, v26, v27
	s_waitcnt vmcnt(6)
	v_mul_f32_e32 v27, v164, v184
	v_fma_f32 v4, v162, v181, -v4
	v_fmac_f32_e32 v27, v165, v183
	v_add_f32_e32 v3, v3, v4
	v_mul_f32_e32 v4, v165, v184
	v_add_f32_e32 v191, v26, v27
	ds_read_b64 v[26:27], v2 offset:944
	v_fma_f32 v4, v164, v183, -v4
	v_add_f32_e32 v3, v3, v4
	s_waitcnt vmcnt(4)
	v_mul_f32_e32 v4, v167, v186
	v_mul_f32_e32 v192, v166, v186
	v_fma_f32 v4, v166, v185, -v4
	v_fmac_f32_e32 v192, v167, v185
	v_add_f32_e32 v3, v3, v4
	s_waitcnt vmcnt(2)
	v_mul_f32_e32 v4, v169, v188
	v_add_f32_e32 v191, v191, v192
	v_mul_f32_e32 v192, v168, v188
	v_fma_f32 v4, v168, v187, -v4
	v_fmac_f32_e32 v192, v169, v187
	v_add_f32_e32 v3, v3, v4
	s_waitcnt vmcnt(0) lgkmcnt(0)
	v_mul_f32_e32 v4, v27, v190
	v_add_f32_e32 v191, v191, v192
	v_mul_f32_e32 v192, v26, v190
	v_fma_f32 v4, v26, v189, -v4
	v_fmac_f32_e32 v192, v27, v189
	v_add_f32_e32 v3, v3, v4
	v_add_f32_e32 v191, v191, v192
	v_sub_f32_e32 v3, v177, v3
	v_sub_f32_e32 v4, v178, v191
	buffer_store_dword v3, off, s[0:3], 0 offset:264
	buffer_store_dword v4, off, s[0:3], 0 offset:268
	s_and_saveexec_b64 s[4:5], vcc
	s_cbranch_execz .LBB122_303
; %bb.302:
	buffer_load_dword v3, off, s[0:3], 0 offset:256
	buffer_load_dword v4, off, s[0:3], 0 offset:260
	s_waitcnt vmcnt(0)
	ds_write_b64 v1, v[3:4]
	buffer_store_dword v2, off, s[0:3], 0 offset:256
	buffer_store_dword v2, off, s[0:3], 0 offset:260
.LBB122_303:
	s_or_b64 exec, exec, s[4:5]
	s_waitcnt lgkmcnt(0)
	; wave barrier
	buffer_load_dword v23, off, s[0:3], 0 offset:268
	buffer_load_dword v26, off, s[0:3], 0 offset:276
	;; [unrolled: 1-line block ×42, first 2 shown]
	ds_read2_b64 v[3:6], v2 offset0:93 offset1:94
	ds_read2_b64 v[7:10], v2 offset0:95 offset1:96
	ds_read2_b64 v[11:14], v2 offset0:97 offset1:98
	ds_read2_b64 v[15:18], v2 offset0:99 offset1:100
	buffer_load_dword v183, off, s[0:3], 0 offset:428
	buffer_load_dword v184, off, s[0:3], 0 offset:424
	;; [unrolled: 1-line block ×6, first 2 shown]
	ds_read2_b64 v[19:22], v2 offset0:101 offset1:102
	ds_read2_b64 v[142:145], v2 offset0:103 offset1:104
	buffer_load_dword v189, off, s[0:3], 0 offset:448
	buffer_load_dword v190, off, s[0:3], 0 offset:452
	;; [unrolled: 1-line block ×6, first 2 shown]
	v_cmp_lt_u32_e32 vcc, 31, v0
	s_waitcnt vmcnt(53) lgkmcnt(5)
	v_mul_f32_e32 v146, v3, v23
	s_waitcnt vmcnt(52)
	v_mul_f32_e32 v147, v5, v26
	s_waitcnt vmcnt(51) lgkmcnt(4)
	v_mul_f32_e32 v148, v7, v27
	s_waitcnt vmcnt(50)
	v_mul_f32_e32 v149, v9, v28
	;; [unrolled: 4-line block ×5, first 2 shown]
	s_waitcnt vmcnt(43)
	v_fmac_f32_e32 v146, v4, v35
	v_mul_f32_e32 v4, v4, v23
	s_waitcnt vmcnt(42)
	v_fmac_f32_e32 v147, v6, v36
	v_add_f32_e32 v146, 0, v146
	v_fma_f32 v3, v3, v35, -v4
	v_mul_f32_e32 v4, v6, v26
	s_waitcnt vmcnt(41)
	v_fmac_f32_e32 v148, v8, v37
	v_add_f32_e32 v146, v146, v147
	v_add_f32_e32 v3, 0, v3
	v_fma_f32 v4, v5, v36, -v4
	s_waitcnt vmcnt(40)
	v_fmac_f32_e32 v149, v10, v38
	v_add_f32_e32 v146, v146, v148
	v_add_f32_e32 v3, v3, v4
	v_mul_f32_e32 v4, v8, v27
	s_waitcnt vmcnt(39)
	v_fmac_f32_e32 v150, v12, v39
	v_add_f32_e32 v146, v146, v149
	v_fma_f32 v4, v7, v37, -v4
	s_waitcnt vmcnt(38)
	v_fmac_f32_e32 v151, v14, v40
	v_add_f32_e32 v146, v146, v150
	v_add_f32_e32 v3, v3, v4
	v_mul_f32_e32 v4, v10, v28
	s_waitcnt vmcnt(37)
	v_fmac_f32_e32 v152, v16, v41
	;; [unrolled: 9-line block ×3, first 2 shown]
	v_add_f32_e32 v146, v146, v153
	v_fma_f32 v4, v11, v39, -v4
	s_waitcnt vmcnt(34)
	v_fmac_f32_e32 v155, v22, v44
	v_add_f32_e32 v146, v146, v154
	s_waitcnt vmcnt(33) lgkmcnt(0)
	v_mul_f32_e32 v147, v142, v45
	v_add_f32_e32 v3, v3, v4
	v_mul_f32_e32 v4, v14, v30
	v_add_f32_e32 v146, v146, v155
	s_waitcnt vmcnt(32)
	v_fmac_f32_e32 v147, v143, v46
	v_fma_f32 v4, v13, v40, -v4
	v_add_f32_e32 v150, v146, v147
	ds_read2_b64 v[146:149], v2 offset0:105 offset1:106
	v_add_f32_e32 v3, v3, v4
	v_mul_f32_e32 v4, v16, v31
	v_fma_f32 v4, v15, v41, -v4
	s_waitcnt vmcnt(31)
	v_mul_f32_e32 v151, v144, v47
	v_add_f32_e32 v3, v3, v4
	v_mul_f32_e32 v4, v18, v32
	s_waitcnt vmcnt(30)
	v_fmac_f32_e32 v151, v145, v48
	v_fma_f32 v4, v17, v42, -v4
	v_add_f32_e32 v154, v150, v151
	ds_read2_b64 v[150:153], v2 offset0:107 offset1:108
	v_add_f32_e32 v3, v3, v4
	v_mul_f32_e32 v4, v20, v33
	s_waitcnt vmcnt(29) lgkmcnt(1)
	v_mul_f32_e32 v155, v146, v49
	v_fma_f32 v4, v19, v43, -v4
	s_waitcnt vmcnt(28)
	v_fmac_f32_e32 v155, v147, v50
	v_add_f32_e32 v3, v3, v4
	v_mul_f32_e32 v4, v22, v34
	v_add_f32_e32 v154, v154, v155
	s_waitcnt vmcnt(27)
	v_mul_f32_e32 v155, v148, v51
	v_fma_f32 v4, v21, v44, -v4
	s_waitcnt vmcnt(26)
	v_fmac_f32_e32 v155, v149, v52
	v_add_f32_e32 v3, v3, v4
	v_mul_f32_e32 v4, v143, v45
	v_add_f32_e32 v154, v154, v155
	s_waitcnt vmcnt(25) lgkmcnt(0)
	v_mul_f32_e32 v155, v150, v53
	v_fma_f32 v4, v142, v46, -v4
	s_waitcnt vmcnt(24)
	v_fmac_f32_e32 v155, v151, v54
	v_add_f32_e32 v3, v3, v4
	v_mul_f32_e32 v4, v145, v47
	v_add_f32_e32 v158, v154, v155
	ds_read2_b64 v[154:157], v2 offset0:109 offset1:110
	v_fma_f32 v4, v144, v48, -v4
	v_add_f32_e32 v3, v3, v4
	v_mul_f32_e32 v4, v147, v49
	s_waitcnt vmcnt(23)
	v_mul_f32_e32 v159, v152, v55
	v_fma_f32 v4, v146, v50, -v4
	s_waitcnt vmcnt(22)
	v_fmac_f32_e32 v159, v153, v56
	v_add_f32_e32 v3, v3, v4
	v_mul_f32_e32 v4, v149, v51
	v_add_f32_e32 v162, v158, v159
	ds_read2_b64 v[158:161], v2 offset0:111 offset1:112
	v_fma_f32 v4, v148, v52, -v4
	s_waitcnt vmcnt(21) lgkmcnt(1)
	v_mul_f32_e32 v163, v154, v57
	v_add_f32_e32 v3, v3, v4
	v_mul_f32_e32 v4, v151, v53
	s_waitcnt vmcnt(20)
	v_fmac_f32_e32 v163, v155, v174
	v_fma_f32 v4, v150, v54, -v4
	v_add_f32_e32 v162, v162, v163
	s_waitcnt vmcnt(18)
	v_mul_f32_e32 v163, v156, v176
	v_add_f32_e32 v3, v3, v4
	v_mul_f32_e32 v4, v153, v55
	v_fmac_f32_e32 v163, v157, v175
	v_fma_f32 v4, v152, v56, -v4
	v_add_f32_e32 v162, v162, v163
	s_waitcnt vmcnt(15) lgkmcnt(0)
	v_mul_f32_e32 v163, v158, v179
	v_add_f32_e32 v3, v3, v4
	v_mul_f32_e32 v4, v155, v57
	s_waitcnt vmcnt(14)
	v_fmac_f32_e32 v163, v159, v180
	v_fma_f32 v4, v154, v174, -v4
	v_add_f32_e32 v166, v162, v163
	ds_read2_b64 v[162:165], v2 offset0:113 offset1:114
	v_add_f32_e32 v3, v3, v4
	v_mul_f32_e32 v4, v157, v176
	v_fma_f32 v4, v156, v175, -v4
	v_add_f32_e32 v3, v3, v4
	v_mul_f32_e32 v4, v159, v179
	s_waitcnt vmcnt(12)
	v_mul_f32_e32 v167, v160, v182
	v_fma_f32 v4, v158, v180, -v4
	v_fmac_f32_e32 v167, v161, v181
	v_add_f32_e32 v3, v3, v4
	v_mul_f32_e32 v4, v161, v182
	v_add_f32_e32 v170, v166, v167
	ds_read2_b64 v[166:169], v2 offset0:115 offset1:116
	s_waitcnt vmcnt(11) lgkmcnt(1)
	v_mul_f32_e32 v171, v162, v183
	v_fma_f32 v4, v160, v181, -v4
	s_waitcnt vmcnt(10)
	v_fmac_f32_e32 v171, v163, v184
	v_add_f32_e32 v3, v3, v4
	v_mul_f32_e32 v4, v163, v183
	v_add_f32_e32 v170, v170, v171
	s_waitcnt vmcnt(8)
	v_mul_f32_e32 v171, v164, v186
	v_fma_f32 v4, v162, v184, -v4
	v_fmac_f32_e32 v171, v165, v185
	v_add_f32_e32 v3, v3, v4
	v_mul_f32_e32 v4, v165, v186
	v_add_f32_e32 v195, v170, v171
	ds_read2_b64 v[170:173], v2 offset0:117 offset1:118
	v_fma_f32 v4, v164, v185, -v4
	v_add_f32_e32 v3, v3, v4
	s_waitcnt vmcnt(6) lgkmcnt(1)
	v_mul_f32_e32 v4, v167, v188
	v_mul_f32_e32 v196, v166, v188
	v_fma_f32 v4, v166, v187, -v4
	v_fmac_f32_e32 v196, v167, v187
	v_add_f32_e32 v3, v3, v4
	s_waitcnt vmcnt(4)
	v_mul_f32_e32 v4, v169, v190
	v_add_f32_e32 v2, v195, v196
	v_mul_f32_e32 v195, v168, v190
	v_fma_f32 v4, v168, v189, -v4
	v_fmac_f32_e32 v195, v169, v189
	v_add_f32_e32 v3, v3, v4
	s_waitcnt vmcnt(2) lgkmcnt(0)
	v_mul_f32_e32 v4, v171, v192
	v_add_f32_e32 v2, v2, v195
	v_mul_f32_e32 v195, v170, v192
	v_fma_f32 v4, v170, v191, -v4
	v_fmac_f32_e32 v195, v171, v191
	v_add_f32_e32 v3, v3, v4
	s_waitcnt vmcnt(0)
	v_mul_f32_e32 v4, v173, v194
	v_add_f32_e32 v2, v2, v195
	v_mul_f32_e32 v195, v172, v194
	v_fma_f32 v4, v172, v193, -v4
	v_fmac_f32_e32 v195, v173, v193
	v_add_f32_e32 v3, v3, v4
	v_add_f32_e32 v2, v2, v195
	v_sub_f32_e32 v3, v177, v3
	v_sub_f32_e32 v2, v178, v2
	buffer_store_dword v3, off, s[0:3], 0 offset:256
	buffer_store_dword v2, off, s[0:3], 0 offset:260
	s_and_saveexec_b64 s[4:5], vcc
	s_cbranch_execz .LBB122_305
; %bb.304:
	buffer_load_dword v2, off, s[0:3], 0 offset:248
	buffer_load_dword v3, off, s[0:3], 0 offset:252
	v_mov_b32_e32 v4, 0
	buffer_store_dword v4, off, s[0:3], 0 offset:248
	buffer_store_dword v4, off, s[0:3], 0 offset:252
	s_waitcnt vmcnt(2)
	ds_write_b64 v1, v[2:3]
.LBB122_305:
	s_or_b64 exec, exec, s[4:5]
	s_waitcnt lgkmcnt(0)
	; wave barrier
	buffer_load_dword v23, off, s[0:3], 0 offset:260
	buffer_load_dword v28, off, s[0:3], 0 offset:268
	;; [unrolled: 1-line block ×56, first 2 shown]
	v_mov_b32_e32 v2, 0
	ds_read_b128 v[3:6], v2 offset:736
	ds_read_b128 v[7:10], v2 offset:752
	;; [unrolled: 1-line block ×11, first 2 shown]
	v_cmp_lt_u32_e32 vcc, 30, v0
	s_waitcnt vmcnt(55) lgkmcnt(10)
	v_mul_f32_e32 v26, v3, v23
	s_waitcnt vmcnt(54)
	v_mul_f32_e32 v27, v5, v28
	s_waitcnt vmcnt(53) lgkmcnt(9)
	v_mul_f32_e32 v146, v7, v29
	s_waitcnt vmcnt(52)
	v_mul_f32_e32 v147, v9, v30
	;; [unrolled: 4-line block ×4, first 2 shown]
	s_waitcnt vmcnt(47) lgkmcnt(6)
	v_mul_f32_e32 v152, v19, v35
	s_waitcnt vmcnt(46)
	v_fmac_f32_e32 v26, v4, v36
	v_mul_f32_e32 v4, v4, v23
	v_fma_f32 v3, v3, v36, -v4
	v_mul_f32_e32 v4, v6, v28
	v_add_f32_e32 v3, 0, v3
	s_waitcnt vmcnt(45)
	v_fma_f32 v4, v5, v37, -v4
	v_add_f32_e32 v3, v3, v4
	v_mul_f32_e32 v4, v8, v29
	s_waitcnt vmcnt(44)
	v_fma_f32 v4, v7, v38, -v4
	v_add_f32_e32 v3, v3, v4
	v_mul_f32_e32 v4, v10, v30
	;; [unrolled: 4-line block ×3, first 2 shown]
	s_waitcnt vmcnt(42)
	v_fma_f32 v4, v11, v40, -v4
	v_fmac_f32_e32 v27, v6, v37
	v_add_f32_e32 v26, 0, v26
	v_add_f32_e32 v3, v3, v4
	v_mul_f32_e32 v4, v14, v32
	v_fmac_f32_e32 v146, v8, v38
	v_add_f32_e32 v26, v26, v27
	s_waitcnt vmcnt(41)
	v_fma_f32 v4, v13, v41, -v4
	v_fmac_f32_e32 v147, v10, v39
	v_add_f32_e32 v26, v26, v146
	v_add_f32_e32 v3, v3, v4
	v_mul_f32_e32 v4, v16, v33
	v_fmac_f32_e32 v148, v12, v40
	v_add_f32_e32 v26, v26, v147
	;; [unrolled: 8-line block ×3, first 2 shown]
	s_waitcnt vmcnt(39)
	v_fma_f32 v4, v17, v43, -v4
	v_fmac_f32_e32 v151, v18, v43
	v_add_f32_e32 v26, v26, v150
	v_add_f32_e32 v3, v3, v4
	v_mul_f32_e32 v4, v20, v35
	v_add_f32_e32 v26, v26, v151
	s_waitcnt vmcnt(38)
	v_fmac_f32_e32 v152, v20, v44
	s_waitcnt vmcnt(37)
	v_mul_f32_e32 v27, v21, v45
	v_fma_f32 v4, v19, v44, -v4
	v_add_f32_e32 v26, v26, v152
	s_waitcnt vmcnt(36)
	v_fmac_f32_e32 v27, v22, v46
	ds_read_b128 v[146:149], v2 offset:832
	ds_read_b128 v[150:153], v2 offset:848
	v_add_f32_e32 v3, v3, v4
	v_mul_f32_e32 v4, v22, v45
	v_add_f32_e32 v26, v26, v27
	s_waitcnt vmcnt(35) lgkmcnt(7)
	v_mul_f32_e32 v27, v142, v47
	v_fma_f32 v4, v21, v46, -v4
	s_waitcnt vmcnt(34)
	v_fmac_f32_e32 v27, v143, v48
	v_add_f32_e32 v3, v3, v4
	v_mul_f32_e32 v4, v143, v47
	v_add_f32_e32 v26, v26, v27
	s_waitcnt vmcnt(33)
	v_mul_f32_e32 v27, v144, v49
	v_fma_f32 v4, v142, v48, -v4
	s_waitcnt vmcnt(32)
	v_fmac_f32_e32 v27, v145, v50
	v_add_f32_e32 v3, v3, v4
	v_mul_f32_e32 v4, v145, v49
	v_add_f32_e32 v26, v26, v27
	s_waitcnt vmcnt(31) lgkmcnt(1)
	v_mul_f32_e32 v27, v146, v51
	v_fma_f32 v4, v144, v50, -v4
	s_waitcnt vmcnt(30)
	v_fmac_f32_e32 v27, v147, v52
	v_add_f32_e32 v3, v3, v4
	v_mul_f32_e32 v4, v147, v51
	v_add_f32_e32 v26, v26, v27
	s_waitcnt vmcnt(29)
	v_mul_f32_e32 v27, v148, v53
	v_fma_f32 v4, v146, v52, -v4
	s_waitcnt vmcnt(28)
	v_fmac_f32_e32 v27, v149, v54
	v_add_f32_e32 v3, v3, v4
	v_mul_f32_e32 v4, v149, v53
	v_add_f32_e32 v26, v26, v27
	s_waitcnt vmcnt(27) lgkmcnt(0)
	v_mul_f32_e32 v27, v150, v55
	v_fma_f32 v4, v148, v54, -v4
	s_waitcnt vmcnt(26)
	v_fmac_f32_e32 v27, v151, v56
	v_add_f32_e32 v3, v3, v4
	v_mul_f32_e32 v4, v151, v55
	v_add_f32_e32 v26, v26, v27
	s_waitcnt vmcnt(24)
	v_mul_f32_e32 v27, v152, v174
	v_fma_f32 v4, v150, v56, -v4
	v_fmac_f32_e32 v27, v153, v57
	v_add_f32_e32 v3, v3, v4
	v_mul_f32_e32 v4, v153, v174
	v_add_f32_e32 v26, v26, v27
	s_waitcnt vmcnt(21)
	v_mul_f32_e32 v27, v154, v177
	v_fma_f32 v4, v152, v57, -v4
	s_waitcnt vmcnt(20)
	v_fmac_f32_e32 v27, v155, v178
	v_add_f32_e32 v3, v3, v4
	v_mul_f32_e32 v4, v155, v177
	v_add_f32_e32 v26, v26, v27
	s_waitcnt vmcnt(18)
	v_mul_f32_e32 v27, v156, v180
	v_fma_f32 v4, v154, v178, -v4
	v_fmac_f32_e32 v27, v157, v179
	v_add_f32_e32 v3, v3, v4
	v_mul_f32_e32 v4, v157, v180
	v_add_f32_e32 v26, v26, v27
	s_waitcnt vmcnt(16)
	v_mul_f32_e32 v27, v158, v182
	v_fma_f32 v4, v156, v179, -v4
	;; [unrolled: 7-line block ×7, first 2 shown]
	v_fmac_f32_e32 v27, v169, v191
	v_add_f32_e32 v3, v3, v4
	v_mul_f32_e32 v4, v169, v192
	v_add_f32_e32 v199, v26, v27
	ds_read_b64 v[26:27], v2 offset:944
	v_fma_f32 v4, v168, v191, -v4
	v_add_f32_e32 v3, v3, v4
	s_waitcnt vmcnt(4)
	v_mul_f32_e32 v4, v171, v194
	v_mul_f32_e32 v200, v170, v194
	v_fma_f32 v4, v170, v193, -v4
	v_fmac_f32_e32 v200, v171, v193
	v_add_f32_e32 v3, v3, v4
	s_waitcnt vmcnt(2)
	v_mul_f32_e32 v4, v173, v196
	v_add_f32_e32 v199, v199, v200
	v_mul_f32_e32 v200, v172, v196
	v_fma_f32 v4, v172, v195, -v4
	v_fmac_f32_e32 v200, v173, v195
	v_add_f32_e32 v3, v3, v4
	s_waitcnt vmcnt(0) lgkmcnt(0)
	v_mul_f32_e32 v4, v27, v198
	v_add_f32_e32 v199, v199, v200
	v_mul_f32_e32 v200, v26, v198
	v_fma_f32 v4, v26, v197, -v4
	v_fmac_f32_e32 v200, v27, v197
	v_add_f32_e32 v3, v3, v4
	v_add_f32_e32 v199, v199, v200
	v_sub_f32_e32 v3, v175, v3
	v_sub_f32_e32 v4, v176, v199
	buffer_store_dword v3, off, s[0:3], 0 offset:248
	buffer_store_dword v4, off, s[0:3], 0 offset:252
	s_and_saveexec_b64 s[4:5], vcc
	s_cbranch_execz .LBB122_307
; %bb.306:
	buffer_load_dword v3, off, s[0:3], 0 offset:240
	buffer_load_dword v4, off, s[0:3], 0 offset:244
	s_waitcnt vmcnt(0)
	ds_write_b64 v1, v[3:4]
	buffer_store_dword v2, off, s[0:3], 0 offset:240
	buffer_store_dword v2, off, s[0:3], 0 offset:244
.LBB122_307:
	s_or_b64 exec, exec, s[4:5]
	s_waitcnt lgkmcnt(0)
	; wave barrier
	buffer_load_dword v23, off, s[0:3], 0 offset:252
	buffer_load_dword v26, off, s[0:3], 0 offset:260
	;; [unrolled: 1-line block ×34, first 2 shown]
	ds_read2_b64 v[3:6], v2 offset0:91 offset1:92
	ds_read2_b64 v[7:10], v2 offset0:93 offset1:94
	buffer_load_dword v179, off, s[0:3], 0 offset:380
	buffer_load_dword v180, off, s[0:3], 0 offset:376
	;; [unrolled: 1-line block ×6, first 2 shown]
	ds_read2_b64 v[11:14], v2 offset0:95 offset1:96
	ds_read2_b64 v[15:18], v2 offset0:97 offset1:98
	;; [unrolled: 1-line block ×4, first 2 shown]
	buffer_load_dword v185, off, s[0:3], 0 offset:404
	buffer_load_dword v186, off, s[0:3], 0 offset:400
	;; [unrolled: 1-line block ×18, first 2 shown]
	v_cmp_lt_u32_e32 vcc, 29, v0
	s_waitcnt vmcnt(57) lgkmcnt(5)
	v_mul_f32_e32 v146, v3, v23
	s_waitcnt vmcnt(56)
	v_mul_f32_e32 v147, v5, v26
	s_waitcnt vmcnt(55) lgkmcnt(4)
	v_mul_f32_e32 v148, v7, v27
	s_waitcnt vmcnt(54)
	v_mul_f32_e32 v149, v9, v28
	;; [unrolled: 4-line block ×4, first 2 shown]
	s_waitcnt vmcnt(49)
	v_fmac_f32_e32 v146, v4, v33
	s_waitcnt vmcnt(48)
	v_fmac_f32_e32 v147, v6, v34
	v_add_f32_e32 v146, 0, v146
	s_waitcnt vmcnt(47)
	v_fmac_f32_e32 v148, v8, v35
	v_add_f32_e32 v146, v146, v147
	;; [unrolled: 3-line block ×4, first 2 shown]
	v_mul_f32_e32 v4, v4, v23
	s_waitcnt vmcnt(44)
	v_fmac_f32_e32 v151, v14, v38
	v_add_f32_e32 v146, v146, v150
	v_fma_f32 v3, v3, v33, -v4
	v_mul_f32_e32 v4, v6, v26
	s_waitcnt vmcnt(43)
	v_fmac_f32_e32 v152, v16, v39
	v_add_f32_e32 v146, v146, v151
	v_add_f32_e32 v3, 0, v3
	v_fma_f32 v4, v5, v34, -v4
	s_waitcnt vmcnt(42)
	v_fmac_f32_e32 v153, v18, v40
	v_add_f32_e32 v146, v146, v152
	s_waitcnt vmcnt(41) lgkmcnt(1)
	v_mul_f32_e32 v147, v19, v41
	v_add_f32_e32 v3, v3, v4
	v_mul_f32_e32 v4, v8, v27
	v_add_f32_e32 v146, v146, v153
	s_waitcnt vmcnt(40)
	v_fmac_f32_e32 v147, v20, v42
	v_fma_f32 v4, v7, v35, -v4
	v_add_f32_e32 v146, v146, v147
	s_waitcnt vmcnt(39)
	v_mul_f32_e32 v147, v21, v43
	v_add_f32_e32 v3, v3, v4
	v_mul_f32_e32 v4, v10, v28
	s_waitcnt vmcnt(38)
	v_fmac_f32_e32 v147, v22, v44
	v_fma_f32 v4, v9, v36, -v4
	v_add_f32_e32 v146, v146, v147
	s_waitcnt vmcnt(37) lgkmcnt(0)
	v_mul_f32_e32 v147, v142, v45
	v_add_f32_e32 v3, v3, v4
	v_mul_f32_e32 v4, v12, v29
	s_waitcnt vmcnt(36)
	v_fmac_f32_e32 v147, v143, v46
	v_fma_f32 v4, v11, v37, -v4
	v_add_f32_e32 v150, v146, v147
	ds_read2_b64 v[146:149], v2 offset0:103 offset1:104
	v_add_f32_e32 v3, v3, v4
	v_mul_f32_e32 v4, v14, v30
	v_fma_f32 v4, v13, v38, -v4
	s_waitcnt vmcnt(35)
	v_mul_f32_e32 v151, v144, v47
	v_add_f32_e32 v3, v3, v4
	v_mul_f32_e32 v4, v16, v31
	s_waitcnt vmcnt(34)
	v_fmac_f32_e32 v151, v145, v48
	v_fma_f32 v4, v15, v39, -v4
	v_add_f32_e32 v154, v150, v151
	ds_read2_b64 v[150:153], v2 offset0:105 offset1:106
	v_add_f32_e32 v3, v3, v4
	v_mul_f32_e32 v4, v18, v32
	s_waitcnt vmcnt(33) lgkmcnt(1)
	v_mul_f32_e32 v155, v146, v49
	v_fma_f32 v4, v17, v40, -v4
	s_waitcnt vmcnt(32)
	v_fmac_f32_e32 v155, v147, v50
	v_add_f32_e32 v3, v3, v4
	v_mul_f32_e32 v4, v20, v41
	v_add_f32_e32 v154, v154, v155
	s_waitcnt vmcnt(31)
	v_mul_f32_e32 v155, v148, v51
	v_fma_f32 v4, v19, v42, -v4
	s_waitcnt vmcnt(30)
	v_fmac_f32_e32 v155, v149, v52
	v_add_f32_e32 v3, v3, v4
	v_mul_f32_e32 v4, v22, v43
	v_add_f32_e32 v154, v154, v155
	s_waitcnt vmcnt(29) lgkmcnt(0)
	v_mul_f32_e32 v155, v150, v53
	v_fma_f32 v4, v21, v44, -v4
	s_waitcnt vmcnt(28)
	v_fmac_f32_e32 v155, v151, v54
	v_add_f32_e32 v3, v3, v4
	v_mul_f32_e32 v4, v143, v45
	v_add_f32_e32 v158, v154, v155
	ds_read2_b64 v[154:157], v2 offset0:107 offset1:108
	v_fma_f32 v4, v142, v46, -v4
	v_add_f32_e32 v3, v3, v4
	v_mul_f32_e32 v4, v145, v47
	s_waitcnt vmcnt(25)
	v_mul_f32_e32 v159, v152, v57
	v_fma_f32 v4, v144, v48, -v4
	s_waitcnt vmcnt(24)
	v_fmac_f32_e32 v159, v153, v178
	v_add_f32_e32 v3, v3, v4
	v_mul_f32_e32 v4, v147, v49
	v_add_f32_e32 v162, v158, v159
	ds_read2_b64 v[158:161], v2 offset0:109 offset1:110
	v_fma_f32 v4, v146, v50, -v4
	s_waitcnt vmcnt(23) lgkmcnt(1)
	v_mul_f32_e32 v163, v154, v179
	v_add_f32_e32 v3, v3, v4
	v_mul_f32_e32 v4, v149, v51
	s_waitcnt vmcnt(22)
	v_fmac_f32_e32 v163, v155, v180
	v_fma_f32 v4, v148, v52, -v4
	v_add_f32_e32 v162, v162, v163
	s_waitcnt vmcnt(20)
	v_mul_f32_e32 v163, v156, v182
	v_add_f32_e32 v3, v3, v4
	v_mul_f32_e32 v4, v151, v53
	v_fmac_f32_e32 v163, v157, v181
	v_fma_f32 v4, v150, v54, -v4
	v_add_f32_e32 v162, v162, v163
	s_waitcnt vmcnt(18) lgkmcnt(0)
	v_mul_f32_e32 v163, v158, v184
	v_add_f32_e32 v3, v3, v4
	v_mul_f32_e32 v4, v153, v57
	v_fmac_f32_e32 v163, v159, v183
	v_fma_f32 v4, v152, v178, -v4
	v_add_f32_e32 v166, v162, v163
	ds_read2_b64 v[162:165], v2 offset0:111 offset1:112
	v_add_f32_e32 v3, v3, v4
	v_mul_f32_e32 v4, v155, v179
	v_fma_f32 v4, v154, v180, -v4
	s_waitcnt vmcnt(17)
	v_mul_f32_e32 v167, v160, v185
	v_add_f32_e32 v3, v3, v4
	v_mul_f32_e32 v4, v157, v182
	s_waitcnt vmcnt(16)
	v_fmac_f32_e32 v167, v161, v186
	v_fma_f32 v4, v156, v181, -v4
	v_add_f32_e32 v170, v166, v167
	ds_read2_b64 v[166:169], v2 offset0:113 offset1:114
	v_add_f32_e32 v3, v3, v4
	v_mul_f32_e32 v4, v159, v184
	s_waitcnt vmcnt(14) lgkmcnt(1)
	v_mul_f32_e32 v171, v162, v188
	v_fma_f32 v4, v158, v183, -v4
	v_fmac_f32_e32 v171, v163, v187
	v_add_f32_e32 v3, v3, v4
	v_mul_f32_e32 v4, v161, v185
	v_add_f32_e32 v170, v170, v171
	s_waitcnt vmcnt(12)
	v_mul_f32_e32 v171, v164, v190
	v_fma_f32 v4, v160, v186, -v4
	v_fmac_f32_e32 v171, v165, v189
	v_add_f32_e32 v3, v3, v4
	v_mul_f32_e32 v4, v163, v188
	v_add_f32_e32 v170, v170, v171
	s_waitcnt vmcnt(10) lgkmcnt(0)
	v_mul_f32_e32 v171, v166, v192
	v_fma_f32 v4, v162, v187, -v4
	v_fmac_f32_e32 v171, v167, v191
	v_add_f32_e32 v3, v3, v4
	v_mul_f32_e32 v4, v165, v190
	v_add_f32_e32 v174, v170, v171
	ds_read2_b64 v[170:173], v2 offset0:115 offset1:116
	v_fma_f32 v4, v164, v189, -v4
	v_add_f32_e32 v3, v3, v4
	v_mul_f32_e32 v4, v167, v192
	s_waitcnt vmcnt(8)
	v_mul_f32_e32 v175, v168, v194
	v_fma_f32 v4, v166, v191, -v4
	v_fmac_f32_e32 v175, v169, v193
	v_add_f32_e32 v3, v3, v4
	v_mul_f32_e32 v4, v169, v194
	v_add_f32_e32 v203, v174, v175
	ds_read2_b64 v[174:177], v2 offset0:117 offset1:118
	v_fma_f32 v4, v168, v193, -v4
	v_add_f32_e32 v3, v3, v4
	s_waitcnt vmcnt(6) lgkmcnt(1)
	v_mul_f32_e32 v4, v171, v196
	v_mul_f32_e32 v2, v170, v196
	v_fma_f32 v4, v170, v195, -v4
	v_fmac_f32_e32 v2, v171, v195
	v_add_f32_e32 v3, v3, v4
	s_waitcnt vmcnt(4)
	v_mul_f32_e32 v4, v173, v198
	v_add_f32_e32 v2, v203, v2
	v_mul_f32_e32 v203, v172, v198
	v_fma_f32 v4, v172, v197, -v4
	v_fmac_f32_e32 v203, v173, v197
	v_add_f32_e32 v3, v3, v4
	s_waitcnt vmcnt(2) lgkmcnt(0)
	v_mul_f32_e32 v4, v175, v200
	v_add_f32_e32 v2, v2, v203
	v_mul_f32_e32 v203, v174, v200
	v_fma_f32 v4, v174, v199, -v4
	v_fmac_f32_e32 v203, v175, v199
	v_add_f32_e32 v3, v3, v4
	s_waitcnt vmcnt(0)
	v_mul_f32_e32 v4, v177, v202
	v_add_f32_e32 v2, v2, v203
	v_mul_f32_e32 v203, v176, v202
	v_fma_f32 v4, v176, v201, -v4
	v_fmac_f32_e32 v203, v177, v201
	v_add_f32_e32 v3, v3, v4
	v_add_f32_e32 v2, v2, v203
	v_sub_f32_e32 v3, v55, v3
	v_sub_f32_e32 v2, v56, v2
	buffer_store_dword v3, off, s[0:3], 0 offset:240
	buffer_store_dword v2, off, s[0:3], 0 offset:244
	s_and_saveexec_b64 s[4:5], vcc
	s_cbranch_execz .LBB122_309
; %bb.308:
	buffer_load_dword v2, off, s[0:3], 0 offset:232
	buffer_load_dword v3, off, s[0:3], 0 offset:236
	v_mov_b32_e32 v4, 0
	buffer_store_dword v4, off, s[0:3], 0 offset:232
	buffer_store_dword v4, off, s[0:3], 0 offset:236
	s_waitcnt vmcnt(2)
	ds_write_b64 v1, v[2:3]
.LBB122_309:
	s_or_b64 exec, exec, s[4:5]
	s_waitcnt lgkmcnt(0)
	; wave barrier
	buffer_load_dword v23, off, s[0:3], 0 offset:244
	buffer_load_dword v28, off, s[0:3], 0 offset:252
	buffer_load_dword v29, off, s[0:3], 0 offset:260
	buffer_load_dword v30, off, s[0:3], 0 offset:268
	buffer_load_dword v31, off, s[0:3], 0 offset:276
	buffer_load_dword v32, off, s[0:3], 0 offset:284
	buffer_load_dword v33, off, s[0:3], 0 offset:292
	buffer_load_dword v34, off, s[0:3], 0 offset:240
	buffer_load_dword v35, off, s[0:3], 0 offset:248
	buffer_load_dword v36, off, s[0:3], 0 offset:256
	buffer_load_dword v37, off, s[0:3], 0 offset:264
	buffer_load_dword v38, off, s[0:3], 0 offset:272
	buffer_load_dword v39, off, s[0:3], 0 offset:280
	buffer_load_dword v40, off, s[0:3], 0 offset:288
	buffer_load_dword v41, off, s[0:3], 0 offset:300
	buffer_load_dword v42, off, s[0:3], 0 offset:296
	buffer_load_dword v43, off, s[0:3], 0 offset:308
	buffer_load_dword v44, off, s[0:3], 0 offset:304
	buffer_load_dword v45, off, s[0:3], 0 offset:316
	buffer_load_dword v46, off, s[0:3], 0 offset:312
	buffer_load_dword v47, off, s[0:3], 0 offset:324
	buffer_load_dword v48, off, s[0:3], 0 offset:320
	buffer_load_dword v49, off, s[0:3], 0 offset:332
	buffer_load_dword v50, off, s[0:3], 0 offset:328
	buffer_load_dword v51, off, s[0:3], 0 offset:336
	buffer_load_dword v52, off, s[0:3], 0 offset:340
	buffer_load_dword v53, off, s[0:3], 0 offset:232
	buffer_load_dword v54, off, s[0:3], 0 offset:236
	buffer_load_dword v55, off, s[0:3], 0 offset:348
	buffer_load_dword v56, off, s[0:3], 0 offset:344
	buffer_load_dword v57, off, s[0:3], 0 offset:352
	buffer_load_dword v178, off, s[0:3], 0 offset:356
	buffer_load_dword v179, off, s[0:3], 0 offset:360
	buffer_load_dword v180, off, s[0:3], 0 offset:364
	buffer_load_dword v181, off, s[0:3], 0 offset:368
	buffer_load_dword v182, off, s[0:3], 0 offset:372
	buffer_load_dword v183, off, s[0:3], 0 offset:376
	buffer_load_dword v184, off, s[0:3], 0 offset:380
	buffer_load_dword v185, off, s[0:3], 0 offset:384
	buffer_load_dword v186, off, s[0:3], 0 offset:388
	buffer_load_dword v187, off, s[0:3], 0 offset:392
	buffer_load_dword v188, off, s[0:3], 0 offset:396
	buffer_load_dword v189, off, s[0:3], 0 offset:400
	buffer_load_dword v190, off, s[0:3], 0 offset:404
	buffer_load_dword v191, off, s[0:3], 0 offset:408
	buffer_load_dword v192, off, s[0:3], 0 offset:412
	buffer_load_dword v193, off, s[0:3], 0 offset:416
	buffer_load_dword v194, off, s[0:3], 0 offset:420
	buffer_load_dword v195, off, s[0:3], 0 offset:424
	buffer_load_dword v196, off, s[0:3], 0 offset:428
	buffer_load_dword v197, off, s[0:3], 0 offset:432
	buffer_load_dword v198, off, s[0:3], 0 offset:436
	buffer_load_dword v199, off, s[0:3], 0 offset:440
	buffer_load_dword v200, off, s[0:3], 0 offset:444
	buffer_load_dword v201, off, s[0:3], 0 offset:448
	buffer_load_dword v202, off, s[0:3], 0 offset:452
	buffer_load_dword v203, off, s[0:3], 0 offset:456
	buffer_load_dword v204, off, s[0:3], 0 offset:460
	buffer_load_dword v205, off, s[0:3], 0 offset:464
	buffer_load_dword v206, off, s[0:3], 0 offset:468
	v_mov_b32_e32 v2, 0
	ds_read_b128 v[3:6], v2 offset:720
	ds_read_b128 v[7:10], v2 offset:736
	;; [unrolled: 1-line block ×12, first 2 shown]
	v_cmp_lt_u32_e32 vcc, 28, v0
	s_waitcnt vmcnt(59) lgkmcnt(11)
	v_mul_f32_e32 v26, v3, v23
	s_waitcnt vmcnt(58)
	v_mul_f32_e32 v27, v5, v28
	s_waitcnt vmcnt(57) lgkmcnt(10)
	v_mul_f32_e32 v142, v7, v29
	s_waitcnt vmcnt(56)
	v_mul_f32_e32 v143, v9, v30
	;; [unrolled: 4-line block ×3, first 2 shown]
	s_waitcnt vmcnt(53) lgkmcnt(8)
	v_mul_f32_e32 v146, v15, v33
	s_waitcnt vmcnt(52)
	v_fmac_f32_e32 v26, v4, v34
	v_mul_f32_e32 v4, v4, v23
	v_fma_f32 v3, v3, v34, -v4
	v_mul_f32_e32 v4, v6, v28
	v_add_f32_e32 v3, 0, v3
	s_waitcnt vmcnt(51)
	v_fma_f32 v4, v5, v35, -v4
	v_add_f32_e32 v3, v3, v4
	v_mul_f32_e32 v4, v8, v29
	s_waitcnt vmcnt(50)
	v_fma_f32 v4, v7, v36, -v4
	v_add_f32_e32 v3, v3, v4
	v_mul_f32_e32 v4, v10, v30
	s_waitcnt vmcnt(49)
	v_fma_f32 v4, v9, v37, -v4
	v_fmac_f32_e32 v27, v6, v35
	v_add_f32_e32 v26, 0, v26
	v_add_f32_e32 v3, v3, v4
	v_mul_f32_e32 v4, v12, v31
	v_fmac_f32_e32 v142, v8, v36
	v_add_f32_e32 v26, v26, v27
	s_waitcnt vmcnt(48)
	v_fma_f32 v4, v11, v38, -v4
	v_fmac_f32_e32 v143, v10, v37
	v_add_f32_e32 v26, v26, v142
	v_add_f32_e32 v3, v3, v4
	v_mul_f32_e32 v4, v14, v32
	v_fmac_f32_e32 v144, v12, v38
	v_add_f32_e32 v26, v26, v143
	s_waitcnt vmcnt(47)
	v_fma_f32 v4, v13, v39, -v4
	v_fmac_f32_e32 v145, v14, v39
	v_add_f32_e32 v26, v26, v144
	v_add_f32_e32 v3, v3, v4
	v_mul_f32_e32 v4, v16, v33
	s_waitcnt vmcnt(46)
	v_fmac_f32_e32 v146, v16, v40
	v_add_f32_e32 v26, v26, v145
	s_waitcnt vmcnt(45)
	v_mul_f32_e32 v27, v17, v41
	v_fma_f32 v4, v15, v40, -v4
	v_add_f32_e32 v26, v26, v146
	s_waitcnt vmcnt(44)
	v_fmac_f32_e32 v27, v18, v42
	ds_read_b128 v[142:145], v2 offset:800
	ds_read_b128 v[146:149], v2 offset:816
	v_add_f32_e32 v3, v3, v4
	v_mul_f32_e32 v4, v18, v41
	v_add_f32_e32 v26, v26, v27
	s_waitcnt vmcnt(43) lgkmcnt(9)
	v_mul_f32_e32 v27, v19, v43
	v_fma_f32 v4, v17, v42, -v4
	s_waitcnt vmcnt(42)
	v_fmac_f32_e32 v27, v20, v44
	v_add_f32_e32 v3, v3, v4
	v_mul_f32_e32 v4, v20, v43
	v_add_f32_e32 v26, v26, v27
	s_waitcnt vmcnt(41)
	v_mul_f32_e32 v27, v21, v45
	v_fma_f32 v4, v19, v44, -v4
	s_waitcnt vmcnt(40)
	v_fmac_f32_e32 v27, v22, v46
	v_add_f32_e32 v3, v3, v4
	v_mul_f32_e32 v4, v22, v45
	v_add_f32_e32 v26, v26, v27
	s_waitcnt vmcnt(39) lgkmcnt(1)
	v_mul_f32_e32 v27, v142, v47
	v_fma_f32 v4, v21, v46, -v4
	s_waitcnt vmcnt(38)
	v_fmac_f32_e32 v27, v143, v48
	v_add_f32_e32 v3, v3, v4
	v_mul_f32_e32 v4, v143, v47
	v_add_f32_e32 v26, v26, v27
	s_waitcnt vmcnt(37)
	v_mul_f32_e32 v27, v144, v49
	v_fma_f32 v4, v142, v48, -v4
	s_waitcnt vmcnt(36)
	v_fmac_f32_e32 v27, v145, v50
	v_add_f32_e32 v3, v3, v4
	v_mul_f32_e32 v4, v145, v49
	v_add_f32_e32 v26, v26, v27
	s_waitcnt vmcnt(34) lgkmcnt(0)
	v_mul_f32_e32 v27, v146, v52
	v_fma_f32 v4, v144, v50, -v4
	v_fmac_f32_e32 v27, v147, v51
	v_add_f32_e32 v3, v3, v4
	v_mul_f32_e32 v4, v147, v52
	v_add_f32_e32 v26, v26, v27
	s_waitcnt vmcnt(31)
	v_mul_f32_e32 v27, v148, v55
	v_fma_f32 v4, v146, v51, -v4
	s_waitcnt vmcnt(30)
	v_fmac_f32_e32 v27, v149, v56
	v_add_f32_e32 v3, v3, v4
	v_mul_f32_e32 v4, v149, v55
	v_add_f32_e32 v26, v26, v27
	s_waitcnt vmcnt(28)
	v_mul_f32_e32 v27, v150, v178
	v_fma_f32 v4, v148, v56, -v4
	v_fmac_f32_e32 v27, v151, v57
	v_add_f32_e32 v3, v3, v4
	v_mul_f32_e32 v4, v151, v178
	v_add_f32_e32 v26, v26, v27
	s_waitcnt vmcnt(26)
	v_mul_f32_e32 v27, v152, v180
	v_fma_f32 v4, v150, v57, -v4
	;; [unrolled: 7-line block ×12, first 2 shown]
	v_fmac_f32_e32 v27, v173, v199
	v_add_f32_e32 v3, v3, v4
	v_mul_f32_e32 v4, v173, v200
	v_add_f32_e32 v207, v26, v27
	ds_read_b64 v[26:27], v2 offset:944
	v_fma_f32 v4, v172, v199, -v4
	v_add_f32_e32 v3, v3, v4
	s_waitcnt vmcnt(4)
	v_mul_f32_e32 v4, v175, v202
	v_mul_f32_e32 v208, v174, v202
	v_fma_f32 v4, v174, v201, -v4
	v_fmac_f32_e32 v208, v175, v201
	v_add_f32_e32 v3, v3, v4
	s_waitcnt vmcnt(2)
	v_mul_f32_e32 v4, v177, v204
	v_add_f32_e32 v207, v207, v208
	v_mul_f32_e32 v208, v176, v204
	v_fma_f32 v4, v176, v203, -v4
	v_fmac_f32_e32 v208, v177, v203
	v_add_f32_e32 v3, v3, v4
	s_waitcnt vmcnt(0) lgkmcnt(0)
	v_mul_f32_e32 v4, v27, v206
	v_add_f32_e32 v207, v207, v208
	v_mul_f32_e32 v208, v26, v206
	v_fma_f32 v4, v26, v205, -v4
	v_fmac_f32_e32 v208, v27, v205
	v_add_f32_e32 v3, v3, v4
	v_add_f32_e32 v207, v207, v208
	v_sub_f32_e32 v3, v53, v3
	v_sub_f32_e32 v4, v54, v207
	buffer_store_dword v3, off, s[0:3], 0 offset:232
	buffer_store_dword v4, off, s[0:3], 0 offset:236
	s_and_saveexec_b64 s[4:5], vcc
	s_cbranch_execz .LBB122_311
; %bb.310:
	buffer_load_dword v3, off, s[0:3], 0 offset:224
	buffer_load_dword v4, off, s[0:3], 0 offset:228
	s_waitcnt vmcnt(0)
	ds_write_b64 v1, v[3:4]
	buffer_store_dword v2, off, s[0:3], 0 offset:224
	buffer_store_dword v2, off, s[0:3], 0 offset:228
.LBB122_311:
	s_or_b64 exec, exec, s[4:5]
	s_waitcnt lgkmcnt(0)
	; wave barrier
	buffer_load_dword v23, off, s[0:3], 0 offset:236
	buffer_load_dword v26, off, s[0:3], 0 offset:244
	;; [unrolled: 1-line block ×32, first 2 shown]
	ds_read2_b64 v[3:6], v2 offset0:89 offset1:90
	ds_read2_b64 v[7:10], v2 offset0:91 offset1:92
	;; [unrolled: 1-line block ×4, first 2 shown]
	buffer_load_dword v57, off, s[0:3], 0 offset:356
	buffer_load_dword v182, off, s[0:3], 0 offset:352
	;; [unrolled: 1-line block ×30, first 2 shown]
	v_cmp_lt_u32_e32 vcc, 27, v0
	s_waitcnt vmcnt(61) lgkmcnt(3)
	v_mul_f32_e32 v19, v3, v23
	s_waitcnt vmcnt(60)
	v_mul_f32_e32 v20, v5, v26
	s_waitcnt vmcnt(59) lgkmcnt(2)
	v_mul_f32_e32 v21, v7, v27
	s_waitcnt vmcnt(58)
	v_mul_f32_e32 v22, v9, v28
	;; [unrolled: 4-line block ×3, first 2 shown]
	s_waitcnt vmcnt(55) lgkmcnt(0)
	v_mul_f32_e32 v144, v15, v31
	s_waitcnt vmcnt(54)
	v_fmac_f32_e32 v19, v4, v32
	s_waitcnt vmcnt(53)
	v_fmac_f32_e32 v20, v6, v33
	v_add_f32_e32 v19, 0, v19
	s_waitcnt vmcnt(52)
	v_fmac_f32_e32 v21, v8, v34
	v_add_f32_e32 v19, v19, v20
	;; [unrolled: 3-line block ×6, first 2 shown]
	v_add_f32_e32 v142, v19, v144
	ds_read2_b64 v[19:22], v2 offset0:97 offset1:98
	s_waitcnt vmcnt(47)
	v_mul_f32_e32 v143, v17, v39
	s_waitcnt vmcnt(46)
	v_fmac_f32_e32 v143, v18, v40
	v_mul_f32_e32 v4, v4, v23
	v_add_f32_e32 v146, v142, v143
	ds_read2_b64 v[142:145], v2 offset0:99 offset1:100
	v_fma_f32 v3, v3, v32, -v4
	v_mul_f32_e32 v4, v6, v26
	s_waitcnt vmcnt(45) lgkmcnt(1)
	v_mul_f32_e32 v147, v19, v41
	v_add_f32_e32 v3, 0, v3
	v_fma_f32 v4, v5, v33, -v4
	s_waitcnt vmcnt(44)
	v_fmac_f32_e32 v147, v20, v42
	v_add_f32_e32 v3, v3, v4
	v_mul_f32_e32 v4, v8, v27
	v_add_f32_e32 v146, v146, v147
	s_waitcnt vmcnt(43)
	v_mul_f32_e32 v147, v21, v43
	v_fma_f32 v4, v7, v34, -v4
	s_waitcnt vmcnt(42)
	v_fmac_f32_e32 v147, v22, v44
	v_add_f32_e32 v3, v3, v4
	v_mul_f32_e32 v4, v10, v28
	v_add_f32_e32 v146, v146, v147
	s_waitcnt vmcnt(41) lgkmcnt(0)
	v_mul_f32_e32 v147, v142, v45
	v_fma_f32 v4, v9, v35, -v4
	s_waitcnt vmcnt(40)
	v_fmac_f32_e32 v147, v143, v46
	v_add_f32_e32 v3, v3, v4
	v_mul_f32_e32 v4, v12, v29
	v_add_f32_e32 v150, v146, v147
	ds_read2_b64 v[146:149], v2 offset0:101 offset1:102
	v_fma_f32 v4, v11, v36, -v4
	v_add_f32_e32 v3, v3, v4
	v_mul_f32_e32 v4, v14, v30
	s_waitcnt vmcnt(39)
	v_mul_f32_e32 v151, v144, v47
	v_fma_f32 v4, v13, v37, -v4
	s_waitcnt vmcnt(38)
	v_fmac_f32_e32 v151, v145, v48
	v_add_f32_e32 v3, v3, v4
	v_mul_f32_e32 v4, v16, v31
	v_add_f32_e32 v154, v150, v151
	ds_read2_b64 v[150:153], v2 offset0:103 offset1:104
	v_fma_f32 v4, v15, v38, -v4
	s_waitcnt vmcnt(35) lgkmcnt(1)
	v_mul_f32_e32 v155, v146, v51
	v_add_f32_e32 v3, v3, v4
	v_mul_f32_e32 v4, v18, v39
	s_waitcnt vmcnt(34)
	v_fmac_f32_e32 v155, v147, v52
	v_fma_f32 v4, v17, v40, -v4
	v_add_f32_e32 v154, v154, v155
	s_waitcnt vmcnt(32)
	v_mul_f32_e32 v155, v148, v54
	v_add_f32_e32 v3, v3, v4
	v_mul_f32_e32 v4, v20, v41
	v_fmac_f32_e32 v155, v149, v53
	v_fma_f32 v4, v19, v42, -v4
	v_add_f32_e32 v154, v154, v155
	s_waitcnt vmcnt(30) lgkmcnt(0)
	v_mul_f32_e32 v155, v150, v56
	v_add_f32_e32 v3, v3, v4
	v_mul_f32_e32 v4, v22, v43
	v_fmac_f32_e32 v155, v151, v55
	v_fma_f32 v4, v21, v44, -v4
	v_add_f32_e32 v158, v154, v155
	ds_read2_b64 v[154:157], v2 offset0:105 offset1:106
	v_add_f32_e32 v3, v3, v4
	v_mul_f32_e32 v4, v143, v45
	v_fma_f32 v4, v142, v46, -v4
	s_waitcnt vmcnt(29)
	v_mul_f32_e32 v159, v152, v57
	v_add_f32_e32 v3, v3, v4
	v_mul_f32_e32 v4, v145, v47
	s_waitcnt vmcnt(28)
	v_fmac_f32_e32 v159, v153, v182
	v_fma_f32 v4, v144, v48, -v4
	v_add_f32_e32 v162, v158, v159
	ds_read2_b64 v[158:161], v2 offset0:107 offset1:108
	v_add_f32_e32 v3, v3, v4
	v_mul_f32_e32 v4, v147, v51
	s_waitcnt vmcnt(26) lgkmcnt(1)
	v_mul_f32_e32 v163, v154, v184
	v_fma_f32 v4, v146, v52, -v4
	v_fmac_f32_e32 v163, v155, v183
	v_add_f32_e32 v3, v3, v4
	v_mul_f32_e32 v4, v149, v54
	v_add_f32_e32 v162, v162, v163
	s_waitcnt vmcnt(24)
	v_mul_f32_e32 v163, v156, v186
	v_fma_f32 v4, v148, v53, -v4
	v_fmac_f32_e32 v163, v157, v185
	v_add_f32_e32 v3, v3, v4
	v_mul_f32_e32 v4, v151, v56
	v_add_f32_e32 v162, v162, v163
	s_waitcnt vmcnt(22) lgkmcnt(0)
	v_mul_f32_e32 v163, v158, v188
	v_fma_f32 v4, v150, v55, -v4
	v_fmac_f32_e32 v163, v159, v187
	v_add_f32_e32 v3, v3, v4
	v_mul_f32_e32 v4, v153, v57
	v_add_f32_e32 v166, v162, v163
	ds_read2_b64 v[162:165], v2 offset0:109 offset1:110
	v_fma_f32 v4, v152, v182, -v4
	v_add_f32_e32 v3, v3, v4
	v_mul_f32_e32 v4, v155, v184
	s_waitcnt vmcnt(20)
	v_mul_f32_e32 v167, v160, v190
	v_fma_f32 v4, v154, v183, -v4
	v_fmac_f32_e32 v167, v161, v189
	v_add_f32_e32 v3, v3, v4
	v_mul_f32_e32 v4, v157, v186
	v_add_f32_e32 v170, v166, v167
	ds_read2_b64 v[166:169], v2 offset0:111 offset1:112
	v_fma_f32 v4, v156, v185, -v4
	s_waitcnt vmcnt(18) lgkmcnt(1)
	v_mul_f32_e32 v171, v162, v192
	v_add_f32_e32 v3, v3, v4
	v_mul_f32_e32 v4, v159, v188
	v_fmac_f32_e32 v171, v163, v191
	v_fma_f32 v4, v158, v187, -v4
	v_add_f32_e32 v170, v170, v171
	s_waitcnt vmcnt(16)
	v_mul_f32_e32 v171, v164, v194
	v_add_f32_e32 v3, v3, v4
	v_mul_f32_e32 v4, v161, v190
	v_fmac_f32_e32 v171, v165, v193
	v_fma_f32 v4, v160, v189, -v4
	v_add_f32_e32 v170, v170, v171
	s_waitcnt vmcnt(14) lgkmcnt(0)
	v_mul_f32_e32 v171, v166, v196
	v_add_f32_e32 v3, v3, v4
	v_mul_f32_e32 v4, v163, v192
	v_fmac_f32_e32 v171, v167, v195
	v_fma_f32 v4, v162, v191, -v4
	v_add_f32_e32 v174, v170, v171
	ds_read2_b64 v[170:173], v2 offset0:113 offset1:114
	v_add_f32_e32 v3, v3, v4
	v_mul_f32_e32 v4, v165, v194
	v_fma_f32 v4, v164, v193, -v4
	v_add_f32_e32 v3, v3, v4
	v_mul_f32_e32 v4, v167, v196
	s_waitcnt vmcnt(12)
	v_mul_f32_e32 v175, v168, v198
	v_fma_f32 v4, v166, v195, -v4
	v_fmac_f32_e32 v175, v169, v197
	v_add_f32_e32 v3, v3, v4
	v_mul_f32_e32 v4, v169, v198
	v_add_f32_e32 v178, v174, v175
	ds_read2_b64 v[174:177], v2 offset0:115 offset1:116
	s_waitcnt vmcnt(10) lgkmcnt(1)
	v_mul_f32_e32 v179, v170, v200
	v_fma_f32 v4, v168, v197, -v4
	v_fmac_f32_e32 v179, v171, v199
	v_add_f32_e32 v3, v3, v4
	v_mul_f32_e32 v4, v171, v200
	v_add_f32_e32 v178, v178, v179
	s_waitcnt vmcnt(8)
	v_mul_f32_e32 v179, v172, v202
	v_fma_f32 v4, v170, v199, -v4
	v_fmac_f32_e32 v179, v173, v201
	v_add_f32_e32 v3, v3, v4
	v_mul_f32_e32 v4, v173, v202
	v_add_f32_e32 v211, v178, v179
	ds_read2_b64 v[178:181], v2 offset0:117 offset1:118
	v_fma_f32 v4, v172, v201, -v4
	v_add_f32_e32 v3, v3, v4
	s_waitcnt vmcnt(6) lgkmcnt(1)
	v_mul_f32_e32 v4, v175, v204
	v_mul_f32_e32 v212, v174, v204
	v_fma_f32 v4, v174, v203, -v4
	v_fmac_f32_e32 v212, v175, v203
	v_add_f32_e32 v3, v3, v4
	s_waitcnt vmcnt(4)
	v_mul_f32_e32 v4, v177, v206
	v_add_f32_e32 v2, v211, v212
	v_mul_f32_e32 v211, v176, v206
	v_fma_f32 v4, v176, v205, -v4
	v_fmac_f32_e32 v211, v177, v205
	v_add_f32_e32 v3, v3, v4
	s_waitcnt vmcnt(2) lgkmcnt(0)
	v_mul_f32_e32 v4, v179, v208
	v_add_f32_e32 v2, v2, v211
	v_mul_f32_e32 v211, v178, v208
	v_fma_f32 v4, v178, v207, -v4
	v_fmac_f32_e32 v211, v179, v207
	v_add_f32_e32 v3, v3, v4
	s_waitcnt vmcnt(0)
	v_mul_f32_e32 v4, v181, v210
	v_add_f32_e32 v2, v2, v211
	v_mul_f32_e32 v211, v180, v210
	v_fma_f32 v4, v180, v209, -v4
	v_fmac_f32_e32 v211, v181, v209
	v_add_f32_e32 v3, v3, v4
	v_add_f32_e32 v2, v2, v211
	v_sub_f32_e32 v3, v49, v3
	v_sub_f32_e32 v2, v50, v2
	buffer_store_dword v3, off, s[0:3], 0 offset:224
	buffer_store_dword v2, off, s[0:3], 0 offset:228
	s_and_saveexec_b64 s[4:5], vcc
	s_cbranch_execz .LBB122_313
; %bb.312:
	buffer_load_dword v2, off, s[0:3], 0 offset:216
	buffer_load_dword v3, off, s[0:3], 0 offset:220
	v_mov_b32_e32 v4, 0
	buffer_store_dword v4, off, s[0:3], 0 offset:216
	buffer_store_dword v4, off, s[0:3], 0 offset:220
	s_waitcnt vmcnt(2)
	ds_write_b64 v1, v[2:3]
.LBB122_313:
	s_or_b64 exec, exec, s[4:5]
	s_waitcnt lgkmcnt(0)
	; wave barrier
	buffer_load_dword v23, off, s[0:3], 0 offset:228
	buffer_load_dword v28, off, s[0:3], 0 offset:236
	;; [unrolled: 1-line block ×24, first 2 shown]
	v_mov_b32_e32 v2, 0
	buffer_load_dword v51, off, s[0:3], 0 offset:316
	buffer_load_dword v52, off, s[0:3], 0 offset:312
	;; [unrolled: 1-line block ×32, first 2 shown]
	ds_read_b128 v[3:6], v2 offset:704
	buffer_load_dword v207, off, s[0:3], 0 offset:440
	buffer_load_dword v208, off, s[0:3], 0 offset:444
	;; [unrolled: 1-line block ×4, first 2 shown]
	ds_read_b128 v[7:10], v2 offset:720
	ds_read_b128 v[11:14], v2 offset:736
	;; [unrolled: 1-line block ×3, first 2 shown]
	v_cmp_lt_u32_e32 vcc, 26, v0
	s_waitcnt vmcnt(59) lgkmcnt(3)
	v_mul_f32_e32 v19, v3, v23
	s_waitcnt vmcnt(58)
	v_mul_f32_e32 v20, v5, v28
	s_waitcnt vmcnt(57) lgkmcnt(2)
	v_mul_f32_e32 v21, v7, v29
	s_waitcnt vmcnt(56)
	v_mul_f32_e32 v22, v9, v30
	;; [unrolled: 4-line block ×4, first 2 shown]
	s_waitcnt vmcnt(51)
	v_fmac_f32_e32 v19, v4, v35
	s_waitcnt vmcnt(50)
	v_fmac_f32_e32 v20, v6, v36
	v_add_f32_e32 v19, 0, v19
	s_waitcnt vmcnt(49)
	v_fmac_f32_e32 v21, v8, v37
	v_add_f32_e32 v19, v19, v20
	;; [unrolled: 3-line block ×6, first 2 shown]
	v_add_f32_e32 v26, v19, v142
	ds_read_b128 v[19:22], v2 offset:768
	buffer_load_dword v211, off, s[0:3], 0 offset:460
	buffer_load_dword v212, off, s[0:3], 0 offset:456
	;; [unrolled: 1-line block ×4, first 2 shown]
	v_mul_f32_e32 v4, v4, v23
	v_fma_f32 v3, v3, v35, -v4
	v_mul_f32_e32 v4, v6, v28
	v_add_f32_e32 v3, 0, v3
	v_fma_f32 v4, v5, v36, -v4
	v_add_f32_e32 v3, v3, v4
	v_mul_f32_e32 v4, v8, v29
	v_fma_f32 v4, v7, v37, -v4
	v_add_f32_e32 v3, v3, v4
	v_mul_f32_e32 v4, v10, v30
	;; [unrolled: 3-line block ×5, first 2 shown]
	s_waitcnt vmcnt(48)
	v_fmac_f32_e32 v143, v18, v42
	v_fma_f32 v4, v15, v41, -v4
	v_add_f32_e32 v26, v26, v143
	ds_read_b128 v[142:145], v2 offset:784
	ds_read_b128 v[146:149], v2 offset:800
	v_add_f32_e32 v3, v3, v4
	v_mul_f32_e32 v4, v18, v34
	s_waitcnt vmcnt(47) lgkmcnt(2)
	v_mul_f32_e32 v27, v19, v43
	v_fma_f32 v4, v17, v42, -v4
	s_waitcnt vmcnt(46)
	v_fmac_f32_e32 v27, v20, v44
	v_add_f32_e32 v3, v3, v4
	v_mul_f32_e32 v4, v20, v43
	v_add_f32_e32 v26, v26, v27
	s_waitcnt vmcnt(45)
	v_mul_f32_e32 v27, v21, v45
	v_fma_f32 v4, v19, v44, -v4
	s_waitcnt vmcnt(44)
	v_fmac_f32_e32 v27, v22, v46
	v_add_f32_e32 v3, v3, v4
	v_mul_f32_e32 v4, v22, v45
	v_add_f32_e32 v26, v26, v27
	s_waitcnt vmcnt(42) lgkmcnt(1)
	v_mul_f32_e32 v27, v142, v48
	v_fma_f32 v4, v21, v46, -v4
	v_fmac_f32_e32 v27, v143, v47
	v_add_f32_e32 v3, v3, v4
	v_mul_f32_e32 v4, v143, v48
	v_add_f32_e32 v26, v26, v27
	s_waitcnt vmcnt(39)
	v_mul_f32_e32 v27, v144, v51
	v_fma_f32 v4, v142, v47, -v4
	s_waitcnt vmcnt(38)
	v_fmac_f32_e32 v27, v145, v52
	ds_read_b128 v[150:153], v2 offset:816
	ds_read_b128 v[154:157], v2 offset:832
	v_add_f32_e32 v3, v3, v4
	v_mul_f32_e32 v4, v145, v51
	v_add_f32_e32 v26, v26, v27
	s_waitcnt vmcnt(36) lgkmcnt(2)
	v_mul_f32_e32 v27, v146, v54
	v_fma_f32 v4, v144, v52, -v4
	v_fmac_f32_e32 v27, v147, v53
	v_add_f32_e32 v3, v3, v4
	v_mul_f32_e32 v4, v147, v54
	v_add_f32_e32 v26, v26, v27
	s_waitcnt vmcnt(34)
	v_mul_f32_e32 v27, v148, v56
	v_fma_f32 v4, v146, v53, -v4
	v_fmac_f32_e32 v27, v149, v55
	v_add_f32_e32 v3, v3, v4
	v_mul_f32_e32 v4, v149, v56
	v_add_f32_e32 v26, v26, v27
	s_waitcnt vmcnt(32) lgkmcnt(1)
	v_mul_f32_e32 v27, v150, v182
	v_fma_f32 v4, v148, v55, -v4
	v_fmac_f32_e32 v27, v151, v57
	v_add_f32_e32 v3, v3, v4
	v_mul_f32_e32 v4, v151, v182
	v_add_f32_e32 v26, v26, v27
	s_waitcnt vmcnt(30)
	v_mul_f32_e32 v27, v152, v184
	v_fma_f32 v4, v150, v57, -v4
	v_fmac_f32_e32 v27, v153, v183
	ds_read_b128 v[158:161], v2 offset:848
	ds_read_b128 v[162:165], v2 offset:864
	v_add_f32_e32 v3, v3, v4
	v_mul_f32_e32 v4, v153, v184
	v_add_f32_e32 v26, v26, v27
	s_waitcnt vmcnt(28) lgkmcnt(2)
	v_mul_f32_e32 v27, v154, v186
	v_fma_f32 v4, v152, v183, -v4
	v_fmac_f32_e32 v27, v155, v185
	v_add_f32_e32 v3, v3, v4
	v_mul_f32_e32 v4, v155, v186
	v_add_f32_e32 v26, v26, v27
	s_waitcnt vmcnt(26)
	v_mul_f32_e32 v27, v156, v188
	v_fma_f32 v4, v154, v185, -v4
	v_fmac_f32_e32 v27, v157, v187
	v_add_f32_e32 v3, v3, v4
	v_mul_f32_e32 v4, v157, v188
	v_add_f32_e32 v26, v26, v27
	s_waitcnt vmcnt(24) lgkmcnt(1)
	v_mul_f32_e32 v27, v158, v190
	v_fma_f32 v4, v156, v187, -v4
	v_fmac_f32_e32 v27, v159, v189
	v_add_f32_e32 v3, v3, v4
	v_mul_f32_e32 v4, v159, v190
	v_add_f32_e32 v26, v26, v27
	s_waitcnt vmcnt(22)
	v_mul_f32_e32 v27, v160, v192
	v_fma_f32 v4, v158, v189, -v4
	;; [unrolled: 30-line block ×4, first 2 shown]
	v_fmac_f32_e32 v27, v177, v207
	v_add_f32_e32 v3, v3, v4
	v_mul_f32_e32 v4, v177, v208
	v_add_f32_e32 v215, v26, v27
	ds_read_b64 v[26:27], v2 offset:944
	v_fma_f32 v4, v176, v207, -v4
	v_add_f32_e32 v3, v3, v4
	s_waitcnt vmcnt(4) lgkmcnt(1)
	v_mul_f32_e32 v4, v179, v210
	v_mul_f32_e32 v216, v178, v210
	v_fma_f32 v4, v178, v209, -v4
	v_fmac_f32_e32 v216, v179, v209
	v_add_f32_e32 v3, v3, v4
	s_waitcnt vmcnt(3)
	v_mul_f32_e32 v4, v181, v211
	v_add_f32_e32 v215, v215, v216
	v_mul_f32_e32 v216, v180, v211
	s_waitcnt vmcnt(2)
	v_fma_f32 v4, v180, v212, -v4
	v_fmac_f32_e32 v216, v181, v212
	v_add_f32_e32 v3, v3, v4
	s_waitcnt vmcnt(0) lgkmcnt(0)
	v_mul_f32_e32 v4, v27, v214
	v_add_f32_e32 v215, v215, v216
	v_mul_f32_e32 v216, v26, v214
	v_fma_f32 v4, v26, v213, -v4
	v_fmac_f32_e32 v216, v27, v213
	v_add_f32_e32 v3, v3, v4
	v_add_f32_e32 v215, v215, v216
	v_sub_f32_e32 v3, v49, v3
	v_sub_f32_e32 v4, v50, v215
	buffer_store_dword v3, off, s[0:3], 0 offset:216
	buffer_store_dword v4, off, s[0:3], 0 offset:220
	s_and_saveexec_b64 s[4:5], vcc
	s_cbranch_execz .LBB122_315
; %bb.314:
	buffer_load_dword v3, off, s[0:3], 0 offset:208
	buffer_load_dword v4, off, s[0:3], 0 offset:212
	s_waitcnt vmcnt(0)
	ds_write_b64 v1, v[3:4]
	buffer_store_dword v2, off, s[0:3], 0 offset:208
	buffer_store_dword v2, off, s[0:3], 0 offset:212
.LBB122_315:
	s_or_b64 exec, exec, s[4:5]
	s_waitcnt lgkmcnt(0)
	; wave barrier
	buffer_load_dword v23, off, s[0:3], 0 offset:220
	buffer_load_dword v26, off, s[0:3], 0 offset:228
	;; [unrolled: 1-line block ×26, first 2 shown]
	ds_read2_b64 v[3:6], v2 offset0:87 offset1:88
	ds_read2_b64 v[7:10], v2 offset0:89 offset1:90
	;; [unrolled: 1-line block ×4, first 2 shown]
	buffer_load_dword v51, off, s[0:3], 0 offset:316
	buffer_load_dword v52, off, s[0:3], 0 offset:312
	;; [unrolled: 1-line block ×34, first 2 shown]
	v_cmp_lt_u32_e32 vcc, 25, v0
	s_waitcnt vmcnt(59) lgkmcnt(3)
	v_mul_f32_e32 v19, v3, v23
	s_waitcnt vmcnt(58)
	v_mul_f32_e32 v20, v5, v26
	s_waitcnt vmcnt(57) lgkmcnt(2)
	v_mul_f32_e32 v21, v7, v27
	s_waitcnt vmcnt(56)
	v_mul_f32_e32 v22, v9, v28
	;; [unrolled: 4-line block ×4, first 2 shown]
	s_waitcnt vmcnt(51)
	v_fmac_f32_e32 v19, v4, v33
	s_waitcnt vmcnt(50)
	v_fmac_f32_e32 v20, v6, v34
	v_add_f32_e32 v19, 0, v19
	s_waitcnt vmcnt(49)
	v_fmac_f32_e32 v21, v8, v35
	v_add_f32_e32 v19, v19, v20
	;; [unrolled: 3-line block ×7, first 2 shown]
	v_add_f32_e32 v146, v19, v145
	ds_read2_b64 v[19:22], v2 offset0:95 offset1:96
	buffer_load_dword v213, off, s[0:3], 0 offset:452
	buffer_load_dword v214, off, s[0:3], 0 offset:448
	;; [unrolled: 1-line block ×4, first 2 shown]
	ds_read2_b64 v[142:145], v2 offset0:97 offset1:98
	buffer_load_dword v217, off, s[0:3], 0 offset:464
	buffer_load_dword v218, off, s[0:3], 0 offset:468
	v_mul_f32_e32 v4, v4, v23
	s_waitcnt vmcnt(49) lgkmcnt(1)
	v_mul_f32_e32 v147, v19, v41
	s_waitcnt vmcnt(48)
	v_fmac_f32_e32 v147, v20, v42
	v_fma_f32 v3, v3, v33, -v4
	v_mul_f32_e32 v4, v6, v26
	v_add_f32_e32 v146, v146, v147
	s_waitcnt vmcnt(46)
	v_mul_f32_e32 v147, v21, v44
	v_add_f32_e32 v3, 0, v3
	v_fma_f32 v4, v5, v34, -v4
	v_fmac_f32_e32 v147, v22, v43
	v_add_f32_e32 v3, v3, v4
	v_mul_f32_e32 v4, v8, v27
	v_add_f32_e32 v146, v146, v147
	s_waitcnt vmcnt(43) lgkmcnt(0)
	v_mul_f32_e32 v147, v142, v47
	v_fma_f32 v4, v7, v35, -v4
	s_waitcnt vmcnt(42)
	v_fmac_f32_e32 v147, v143, v48
	v_add_f32_e32 v3, v3, v4
	v_mul_f32_e32 v4, v10, v28
	v_add_f32_e32 v150, v146, v147
	ds_read2_b64 v[146:149], v2 offset0:99 offset1:100
	v_fma_f32 v4, v9, v36, -v4
	v_add_f32_e32 v3, v3, v4
	v_mul_f32_e32 v4, v12, v29
	s_waitcnt vmcnt(40)
	v_mul_f32_e32 v151, v144, v50
	v_fma_f32 v4, v11, v37, -v4
	v_fmac_f32_e32 v151, v145, v49
	v_add_f32_e32 v3, v3, v4
	v_mul_f32_e32 v4, v14, v30
	v_add_f32_e32 v154, v150, v151
	ds_read2_b64 v[150:153], v2 offset0:101 offset1:102
	v_fma_f32 v4, v13, v38, -v4
	s_waitcnt vmcnt(39) lgkmcnt(1)
	v_mul_f32_e32 v155, v146, v51
	v_add_f32_e32 v3, v3, v4
	v_mul_f32_e32 v4, v16, v31
	s_waitcnt vmcnt(38)
	v_fmac_f32_e32 v155, v147, v52
	v_fma_f32 v4, v15, v39, -v4
	v_add_f32_e32 v154, v154, v155
	s_waitcnt vmcnt(36)
	v_mul_f32_e32 v155, v148, v54
	v_add_f32_e32 v3, v3, v4
	v_mul_f32_e32 v4, v18, v32
	v_fmac_f32_e32 v155, v149, v53
	v_fma_f32 v4, v17, v40, -v4
	v_add_f32_e32 v154, v154, v155
	s_waitcnt vmcnt(34) lgkmcnt(0)
	v_mul_f32_e32 v155, v150, v56
	v_add_f32_e32 v3, v3, v4
	v_mul_f32_e32 v4, v20, v41
	v_fmac_f32_e32 v155, v151, v55
	v_fma_f32 v4, v19, v42, -v4
	v_add_f32_e32 v158, v154, v155
	ds_read2_b64 v[154:157], v2 offset0:103 offset1:104
	v_add_f32_e32 v3, v3, v4
	v_mul_f32_e32 v4, v22, v44
	v_fma_f32 v4, v21, v43, -v4
	s_waitcnt vmcnt(32)
	v_mul_f32_e32 v159, v152, v186
	v_add_f32_e32 v3, v3, v4
	v_mul_f32_e32 v4, v143, v47
	v_fmac_f32_e32 v159, v153, v57
	v_fma_f32 v4, v142, v48, -v4
	v_add_f32_e32 v162, v158, v159
	ds_read2_b64 v[158:161], v2 offset0:105 offset1:106
	v_add_f32_e32 v3, v3, v4
	v_mul_f32_e32 v4, v145, v50
	s_waitcnt vmcnt(30) lgkmcnt(1)
	v_mul_f32_e32 v163, v154, v188
	v_fma_f32 v4, v144, v49, -v4
	v_fmac_f32_e32 v163, v155, v187
	v_add_f32_e32 v3, v3, v4
	v_mul_f32_e32 v4, v147, v51
	v_add_f32_e32 v162, v162, v163
	s_waitcnt vmcnt(28)
	v_mul_f32_e32 v163, v156, v190
	v_fma_f32 v4, v146, v52, -v4
	v_fmac_f32_e32 v163, v157, v189
	v_add_f32_e32 v3, v3, v4
	v_mul_f32_e32 v4, v149, v54
	v_add_f32_e32 v162, v162, v163
	s_waitcnt vmcnt(26) lgkmcnt(0)
	v_mul_f32_e32 v163, v158, v192
	v_fma_f32 v4, v148, v53, -v4
	v_fmac_f32_e32 v163, v159, v191
	v_add_f32_e32 v3, v3, v4
	v_mul_f32_e32 v4, v151, v56
	v_add_f32_e32 v166, v162, v163
	ds_read2_b64 v[162:165], v2 offset0:107 offset1:108
	v_fma_f32 v4, v150, v55, -v4
	v_add_f32_e32 v3, v3, v4
	v_mul_f32_e32 v4, v153, v186
	s_waitcnt vmcnt(24)
	v_mul_f32_e32 v167, v160, v194
	v_fma_f32 v4, v152, v57, -v4
	v_fmac_f32_e32 v167, v161, v193
	v_add_f32_e32 v3, v3, v4
	v_mul_f32_e32 v4, v155, v188
	v_add_f32_e32 v170, v166, v167
	ds_read2_b64 v[166:169], v2 offset0:109 offset1:110
	v_fma_f32 v4, v154, v187, -v4
	s_waitcnt vmcnt(22) lgkmcnt(1)
	v_mul_f32_e32 v171, v162, v196
	v_add_f32_e32 v3, v3, v4
	v_mul_f32_e32 v4, v157, v190
	v_fmac_f32_e32 v171, v163, v195
	v_fma_f32 v4, v156, v189, -v4
	v_add_f32_e32 v170, v170, v171
	s_waitcnt vmcnt(20)
	v_mul_f32_e32 v171, v164, v198
	v_add_f32_e32 v3, v3, v4
	v_mul_f32_e32 v4, v159, v192
	v_fmac_f32_e32 v171, v165, v197
	v_fma_f32 v4, v158, v191, -v4
	v_add_f32_e32 v170, v170, v171
	s_waitcnt vmcnt(18) lgkmcnt(0)
	v_mul_f32_e32 v171, v166, v200
	v_add_f32_e32 v3, v3, v4
	v_mul_f32_e32 v4, v161, v194
	v_fmac_f32_e32 v171, v167, v199
	v_fma_f32 v4, v160, v193, -v4
	v_add_f32_e32 v174, v170, v171
	ds_read2_b64 v[170:173], v2 offset0:111 offset1:112
	v_add_f32_e32 v3, v3, v4
	v_mul_f32_e32 v4, v163, v196
	v_fma_f32 v4, v162, v195, -v4
	s_waitcnt vmcnt(16)
	v_mul_f32_e32 v175, v168, v202
	v_add_f32_e32 v3, v3, v4
	v_mul_f32_e32 v4, v165, v198
	v_fmac_f32_e32 v175, v169, v201
	v_fma_f32 v4, v164, v197, -v4
	v_add_f32_e32 v178, v174, v175
	ds_read2_b64 v[174:177], v2 offset0:113 offset1:114
	v_add_f32_e32 v3, v3, v4
	v_mul_f32_e32 v4, v167, v200
	s_waitcnt vmcnt(14) lgkmcnt(1)
	v_mul_f32_e32 v179, v170, v204
	v_fma_f32 v4, v166, v199, -v4
	v_fmac_f32_e32 v179, v171, v203
	v_add_f32_e32 v3, v3, v4
	v_mul_f32_e32 v4, v169, v202
	v_add_f32_e32 v178, v178, v179
	s_waitcnt vmcnt(12)
	v_mul_f32_e32 v179, v172, v206
	v_fma_f32 v4, v168, v201, -v4
	v_fmac_f32_e32 v179, v173, v205
	v_add_f32_e32 v3, v3, v4
	v_mul_f32_e32 v4, v171, v204
	v_add_f32_e32 v178, v178, v179
	s_waitcnt vmcnt(10) lgkmcnt(0)
	v_mul_f32_e32 v179, v174, v208
	v_fma_f32 v4, v170, v203, -v4
	v_fmac_f32_e32 v179, v175, v207
	v_add_f32_e32 v3, v3, v4
	v_mul_f32_e32 v4, v173, v206
	v_add_f32_e32 v182, v178, v179
	ds_read2_b64 v[178:181], v2 offset0:115 offset1:116
	v_fma_f32 v4, v172, v205, -v4
	v_add_f32_e32 v3, v3, v4
	v_mul_f32_e32 v4, v175, v208
	s_waitcnt vmcnt(8)
	v_mul_f32_e32 v183, v176, v210
	v_fma_f32 v4, v174, v207, -v4
	v_fmac_f32_e32 v183, v177, v209
	v_add_f32_e32 v3, v3, v4
	v_mul_f32_e32 v4, v177, v210
	v_add_f32_e32 v219, v182, v183
	ds_read2_b64 v[182:185], v2 offset0:117 offset1:118
	v_fma_f32 v4, v176, v209, -v4
	v_add_f32_e32 v3, v3, v4
	s_waitcnt vmcnt(6) lgkmcnt(1)
	v_mul_f32_e32 v4, v179, v212
	v_mul_f32_e32 v2, v178, v212
	v_fma_f32 v4, v178, v211, -v4
	v_fmac_f32_e32 v2, v179, v211
	v_add_f32_e32 v3, v3, v4
	s_waitcnt vmcnt(5)
	v_mul_f32_e32 v4, v181, v213
	v_add_f32_e32 v2, v219, v2
	v_mul_f32_e32 v219, v180, v213
	s_waitcnt vmcnt(4)
	v_fma_f32 v4, v180, v214, -v4
	v_fmac_f32_e32 v219, v181, v214
	v_add_f32_e32 v3, v3, v4
	s_waitcnt vmcnt(2) lgkmcnt(0)
	v_mul_f32_e32 v4, v183, v216
	v_add_f32_e32 v2, v2, v219
	v_mul_f32_e32 v219, v182, v216
	v_fma_f32 v4, v182, v215, -v4
	v_fmac_f32_e32 v219, v183, v215
	v_add_f32_e32 v3, v3, v4
	s_waitcnt vmcnt(0)
	v_mul_f32_e32 v4, v185, v218
	v_add_f32_e32 v2, v2, v219
	v_mul_f32_e32 v219, v184, v218
	v_fma_f32 v4, v184, v217, -v4
	v_fmac_f32_e32 v219, v185, v217
	v_add_f32_e32 v3, v3, v4
	v_add_f32_e32 v2, v2, v219
	v_sub_f32_e32 v3, v45, v3
	v_sub_f32_e32 v2, v46, v2
	buffer_store_dword v3, off, s[0:3], 0 offset:208
	buffer_store_dword v2, off, s[0:3], 0 offset:212
	s_and_saveexec_b64 s[4:5], vcc
	s_cbranch_execz .LBB122_317
; %bb.316:
	buffer_load_dword v2, off, s[0:3], 0 offset:200
	buffer_load_dword v3, off, s[0:3], 0 offset:204
	v_mov_b32_e32 v4, 0
	buffer_store_dword v4, off, s[0:3], 0 offset:200
	buffer_store_dword v4, off, s[0:3], 0 offset:204
	s_waitcnt vmcnt(2)
	ds_write_b64 v1, v[2:3]
.LBB122_317:
	s_or_b64 exec, exec, s[4:5]
	s_waitcnt lgkmcnt(0)
	; wave barrier
	buffer_load_dword v23, off, s[0:3], 0 offset:268
	buffer_load_dword v28, off, s[0:3], 0 offset:212
	;; [unrolled: 1-line block ×58, first 2 shown]
	v_mov_b32_e32 v2, 0
	ds_read_b128 v[3:6], v2 offset:688
	ds_read_b128 v[7:10], v2 offset:704
	;; [unrolled: 1-line block ×5, first 2 shown]
	buffer_load_dword v213, off, s[0:3], 0 offset:432
	buffer_load_dword v214, off, s[0:3], 0 offset:436
	;; [unrolled: 1-line block ×6, first 2 shown]
	v_cmp_lt_u32_e32 vcc, 24, v0
	s_waitcnt vmcnt(62) lgkmcnt(1)
	v_mul_f32_e32 v147, v17, v23
	v_mul_f32_e32 v26, v3, v28
	s_waitcnt vmcnt(61)
	v_mul_f32_e32 v27, v5, v29
	s_waitcnt vmcnt(60)
	;; [unrolled: 2-line block ×3, first 2 shown]
	v_fmac_f32_e32 v142, v8, v31
	s_waitcnt vmcnt(58)
	v_fmac_f32_e32 v27, v6, v32
	s_waitcnt vmcnt(57)
	v_fmac_f32_e32 v26, v4, v33
	v_add_f32_e32 v26, 0, v26
	s_waitcnt vmcnt(56)
	v_mul_f32_e32 v143, v9, v34
	v_add_f32_e32 v26, v26, v27
	s_waitcnt vmcnt(55)
	v_mul_f32_e32 v144, v11, v35
	;; [unrolled: 3-line block ×3, first 2 shown]
	s_waitcnt vmcnt(50)
	v_fmac_f32_e32 v144, v12, v40
	s_waitcnt vmcnt(49)
	v_fmac_f32_e32 v143, v10, v41
	v_add_f32_e32 v26, v26, v143
	v_fmac_f32_e32 v145, v14, v39
	v_add_f32_e32 v26, v26, v144
	v_add_f32_e32 v26, v26, v145
	ds_read_b128 v[142:145], v2 offset:768
	buffer_load_dword v219, off, s[0:3], 0 offset:460
	buffer_load_dword v220, off, s[0:3], 0 offset:464
	;; [unrolled: 1-line block ×4, first 2 shown]
	v_mul_f32_e32 v4, v4, v28
	v_fma_f32 v3, v3, v33, -v4
	v_mul_f32_e32 v4, v6, v29
	v_add_f32_e32 v3, 0, v3
	v_fma_f32 v4, v5, v32, -v4
	v_add_f32_e32 v3, v3, v4
	v_mul_f32_e32 v4, v8, v30
	v_fma_f32 v4, v7, v31, -v4
	v_add_f32_e32 v3, v3, v4
	v_mul_f32_e32 v4, v10, v34
	;; [unrolled: 3-line block ×5, first 2 shown]
	v_mul_f32_e32 v146, v15, v37
	v_fma_f32 v4, v15, v38, -v4
	v_fmac_f32_e32 v146, v16, v38
	v_add_f32_e32 v3, v3, v4
	v_mul_f32_e32 v4, v18, v23
	s_waitcnt vmcnt(48)
	v_fmac_f32_e32 v147, v18, v46
	v_add_f32_e32 v26, v26, v146
	s_waitcnt vmcnt(47) lgkmcnt(1)
	v_mul_f32_e32 v27, v19, v47
	v_fma_f32 v4, v17, v46, -v4
	v_add_f32_e32 v26, v26, v147
	v_fmac_f32_e32 v27, v20, v45
	v_add_f32_e32 v3, v3, v4
	v_mul_f32_e32 v4, v20, v47
	v_add_f32_e32 v26, v26, v27
	s_waitcnt vmcnt(46)
	v_mul_f32_e32 v27, v21, v48
	v_fma_f32 v4, v19, v45, -v4
	v_fmac_f32_e32 v27, v22, v44
	ds_read_b128 v[146:149], v2 offset:784
	ds_read_b128 v[150:153], v2 offset:800
	v_add_f32_e32 v3, v3, v4
	v_mul_f32_e32 v4, v22, v48
	v_add_f32_e32 v26, v26, v27
	s_waitcnt lgkmcnt(2)
	v_mul_f32_e32 v27, v142, v43
	v_fma_f32 v4, v21, v44, -v4
	v_fmac_f32_e32 v27, v143, v42
	v_add_f32_e32 v3, v3, v4
	v_mul_f32_e32 v4, v143, v43
	v_add_f32_e32 v26, v26, v27
	s_waitcnt vmcnt(42)
	v_mul_f32_e32 v27, v144, v52
	v_fma_f32 v4, v142, v42, -v4
	v_fmac_f32_e32 v27, v145, v51
	v_add_f32_e32 v3, v3, v4
	v_mul_f32_e32 v4, v145, v52
	v_add_f32_e32 v26, v26, v27
	s_waitcnt vmcnt(40) lgkmcnt(1)
	v_mul_f32_e32 v27, v146, v54
	v_fma_f32 v4, v144, v51, -v4
	v_fmac_f32_e32 v27, v147, v53
	v_add_f32_e32 v3, v3, v4
	v_mul_f32_e32 v4, v147, v54
	v_add_f32_e32 v26, v26, v27
	s_waitcnt vmcnt(38)
	v_mul_f32_e32 v27, v148, v56
	v_fma_f32 v4, v146, v53, -v4
	v_fmac_f32_e32 v27, v149, v55
	ds_read_b128 v[154:157], v2 offset:816
	ds_read_b128 v[158:161], v2 offset:832
	v_add_f32_e32 v3, v3, v4
	v_mul_f32_e32 v4, v149, v56
	v_add_f32_e32 v26, v26, v27
	s_waitcnt vmcnt(36) lgkmcnt(2)
	v_mul_f32_e32 v27, v150, v186
	v_fma_f32 v4, v148, v55, -v4
	v_fmac_f32_e32 v27, v151, v57
	v_add_f32_e32 v3, v3, v4
	v_mul_f32_e32 v4, v151, v186
	v_add_f32_e32 v26, v26, v27
	s_waitcnt vmcnt(34)
	v_mul_f32_e32 v27, v152, v188
	v_fma_f32 v4, v150, v57, -v4
	v_fmac_f32_e32 v27, v153, v187
	v_add_f32_e32 v3, v3, v4
	v_mul_f32_e32 v4, v153, v188
	v_add_f32_e32 v26, v26, v27
	s_waitcnt vmcnt(32) lgkmcnt(1)
	v_mul_f32_e32 v27, v154, v190
	v_fma_f32 v4, v152, v187, -v4
	v_fmac_f32_e32 v27, v155, v189
	v_add_f32_e32 v3, v3, v4
	v_mul_f32_e32 v4, v155, v190
	v_add_f32_e32 v26, v26, v27
	s_waitcnt vmcnt(30)
	v_mul_f32_e32 v27, v156, v192
	v_fma_f32 v4, v154, v189, -v4
	v_fmac_f32_e32 v27, v157, v191
	ds_read_b128 v[162:165], v2 offset:848
	ds_read_b128 v[166:169], v2 offset:864
	v_add_f32_e32 v3, v3, v4
	v_mul_f32_e32 v4, v157, v192
	v_add_f32_e32 v26, v26, v27
	s_waitcnt vmcnt(28) lgkmcnt(2)
	v_mul_f32_e32 v27, v158, v194
	v_fma_f32 v4, v156, v191, -v4
	v_fmac_f32_e32 v27, v159, v193
	v_add_f32_e32 v3, v3, v4
	v_mul_f32_e32 v4, v159, v194
	v_add_f32_e32 v26, v26, v27
	s_waitcnt vmcnt(26)
	v_mul_f32_e32 v27, v160, v196
	v_fma_f32 v4, v158, v193, -v4
	v_fmac_f32_e32 v27, v161, v195
	v_add_f32_e32 v3, v3, v4
	v_mul_f32_e32 v4, v161, v196
	v_add_f32_e32 v26, v26, v27
	s_waitcnt vmcnt(24) lgkmcnt(1)
	v_mul_f32_e32 v27, v162, v198
	v_fma_f32 v4, v160, v195, -v4
	v_fmac_f32_e32 v27, v163, v197
	v_add_f32_e32 v3, v3, v4
	v_mul_f32_e32 v4, v163, v198
	v_add_f32_e32 v26, v26, v27
	s_waitcnt vmcnt(22)
	v_mul_f32_e32 v27, v164, v200
	v_fma_f32 v4, v162, v197, -v4
	v_fmac_f32_e32 v27, v165, v199
	ds_read_b128 v[170:173], v2 offset:880
	ds_read_b128 v[174:177], v2 offset:896
	v_add_f32_e32 v3, v3, v4
	v_mul_f32_e32 v4, v165, v200
	v_add_f32_e32 v26, v26, v27
	s_waitcnt vmcnt(20) lgkmcnt(2)
	v_mul_f32_e32 v27, v166, v202
	v_fma_f32 v4, v164, v199, -v4
	v_fmac_f32_e32 v27, v167, v201
	v_add_f32_e32 v3, v3, v4
	v_mul_f32_e32 v4, v167, v202
	v_add_f32_e32 v26, v26, v27
	s_waitcnt vmcnt(18)
	v_mul_f32_e32 v27, v168, v204
	v_fma_f32 v4, v166, v201, -v4
	v_fmac_f32_e32 v27, v169, v203
	v_add_f32_e32 v3, v3, v4
	v_mul_f32_e32 v4, v169, v204
	v_add_f32_e32 v26, v26, v27
	s_waitcnt vmcnt(16) lgkmcnt(1)
	v_mul_f32_e32 v27, v170, v206
	v_fma_f32 v4, v168, v203, -v4
	v_fmac_f32_e32 v27, v171, v205
	v_add_f32_e32 v3, v3, v4
	v_mul_f32_e32 v4, v171, v206
	v_add_f32_e32 v26, v26, v27
	s_waitcnt vmcnt(14)
	v_mul_f32_e32 v27, v172, v208
	v_fma_f32 v4, v170, v205, -v4
	v_fmac_f32_e32 v27, v173, v207
	ds_read_b128 v[178:181], v2 offset:912
	ds_read_b128 v[182:185], v2 offset:928
	v_add_f32_e32 v3, v3, v4
	v_mul_f32_e32 v4, v173, v208
	v_add_f32_e32 v26, v26, v27
	s_waitcnt vmcnt(12) lgkmcnt(2)
	v_mul_f32_e32 v27, v174, v210
	v_fma_f32 v4, v172, v207, -v4
	v_fmac_f32_e32 v27, v175, v209
	v_add_f32_e32 v3, v3, v4
	v_mul_f32_e32 v4, v175, v210
	v_add_f32_e32 v26, v26, v27
	s_waitcnt vmcnt(10)
	v_mul_f32_e32 v27, v176, v212
	v_fma_f32 v4, v174, v209, -v4
	v_fmac_f32_e32 v27, v177, v211
	v_add_f32_e32 v3, v3, v4
	v_mul_f32_e32 v4, v177, v212
	v_add_f32_e32 v26, v26, v27
	s_waitcnt vmcnt(8) lgkmcnt(1)
	v_mul_f32_e32 v27, v178, v214
	v_fma_f32 v4, v176, v211, -v4
	v_fmac_f32_e32 v27, v179, v213
	v_add_f32_e32 v3, v3, v4
	v_mul_f32_e32 v4, v179, v214
	v_add_f32_e32 v26, v26, v27
	s_waitcnt vmcnt(7)
	v_mul_f32_e32 v27, v180, v215
	v_fma_f32 v4, v178, v213, -v4
	s_waitcnt vmcnt(4)
	v_fmac_f32_e32 v27, v181, v218
	v_add_f32_e32 v3, v3, v4
	v_mul_f32_e32 v4, v181, v215
	v_add_f32_e32 v223, v26, v27
	ds_read_b64 v[26:27], v2 offset:944
	v_fma_f32 v4, v180, v218, -v4
	v_add_f32_e32 v3, v3, v4
	s_waitcnt lgkmcnt(1)
	v_mul_f32_e32 v4, v183, v217
	v_mul_f32_e32 v224, v182, v217
	v_fma_f32 v4, v182, v216, -v4
	v_fmac_f32_e32 v224, v183, v216
	v_add_f32_e32 v3, v3, v4
	s_waitcnt vmcnt(3)
	v_mul_f32_e32 v4, v185, v219
	v_add_f32_e32 v223, v223, v224
	v_mul_f32_e32 v224, v184, v219
	s_waitcnt vmcnt(0)
	v_fma_f32 v4, v184, v222, -v4
	v_fmac_f32_e32 v224, v185, v222
	v_add_f32_e32 v3, v3, v4
	s_waitcnt lgkmcnt(0)
	v_mul_f32_e32 v4, v27, v221
	v_add_f32_e32 v223, v223, v224
	v_mul_f32_e32 v224, v26, v221
	v_fma_f32 v4, v26, v220, -v4
	v_fmac_f32_e32 v224, v27, v220
	v_add_f32_e32 v3, v3, v4
	v_add_f32_e32 v223, v223, v224
	v_sub_f32_e32 v3, v49, v3
	v_sub_f32_e32 v4, v50, v223
	buffer_store_dword v3, off, s[0:3], 0 offset:200
	buffer_store_dword v4, off, s[0:3], 0 offset:204
	s_and_saveexec_b64 s[4:5], vcc
	s_cbranch_execz .LBB122_319
; %bb.318:
	buffer_load_dword v3, off, s[0:3], 0 offset:192
	buffer_load_dword v4, off, s[0:3], 0 offset:196
	s_waitcnt vmcnt(0)
	ds_write_b64 v1, v[3:4]
	buffer_store_dword v2, off, s[0:3], 0 offset:192
	buffer_store_dword v2, off, s[0:3], 0 offset:196
.LBB122_319:
	s_or_b64 exec, exec, s[4:5]
	s_waitcnt lgkmcnt(0)
	; wave barrier
	buffer_load_dword v23, off, s[0:3], 0 offset:204
	buffer_load_dword v26, off, s[0:3], 0 offset:212
	;; [unrolled: 1-line block ×32, first 2 shown]
	ds_read2_b64 v[3:6], v2 offset0:85 offset1:86
	ds_read2_b64 v[7:10], v2 offset0:87 offset1:88
	ds_read2_b64 v[11:14], v2 offset0:89 offset1:90
	ds_read2_b64 v[15:18], v2 offset0:91 offset1:92
	ds_read2_b64 v[19:22], v2 offset0:93 offset1:94
	ds_read2_b64 v[142:145], v2 offset0:95 offset1:96
	buffer_load_dword v57, off, s[0:3], 0 offset:320
	buffer_load_dword v190, off, s[0:3], 0 offset:324
	;; [unrolled: 1-line block ×38, first 2 shown]
	v_cmp_lt_u32_e32 vcc, 23, v0
	s_waitcnt vmcnt(62) lgkmcnt(5)
	v_mul_f32_e32 v146, v3, v23
	v_mul_f32_e32 v147, v5, v26
	s_waitcnt lgkmcnt(4)
	v_mul_f32_e32 v148, v7, v27
	v_mul_f32_e32 v149, v9, v28
	s_waitcnt lgkmcnt(3)
	;; [unrolled: 3-line block ×3, first 2 shown]
	v_mul_f32_e32 v152, v15, v31
	v_mul_f32_e32 v153, v17, v32
	s_waitcnt vmcnt(61)
	v_fmac_f32_e32 v148, v8, v33
	s_waitcnt vmcnt(60)
	v_fmac_f32_e32 v147, v6, v34
	;; [unrolled: 2-line block ×3, first 2 shown]
	v_add_f32_e32 v146, 0, v146
	v_add_f32_e32 v146, v146, v147
	;; [unrolled: 1-line block ×3, first 2 shown]
	s_waitcnt vmcnt(55)
	v_fmac_f32_e32 v149, v10, v39
	v_fmac_f32_e32 v150, v12, v38
	v_add_f32_e32 v146, v146, v149
	v_fmac_f32_e32 v151, v14, v37
	v_add_f32_e32 v146, v146, v150
	;; [unrolled: 2-line block ×3, first 2 shown]
	s_waitcnt vmcnt(51)
	v_fmac_f32_e32 v153, v18, v43
	v_add_f32_e32 v146, v146, v152
	s_waitcnt vmcnt(50) lgkmcnt(1)
	v_mul_f32_e32 v147, v19, v44
	v_add_f32_e32 v146, v146, v153
	v_fmac_f32_e32 v147, v20, v42
	v_mul_f32_e32 v4, v4, v23
	v_add_f32_e32 v146, v146, v147
	s_waitcnt vmcnt(49)
	v_mul_f32_e32 v147, v21, v45
	v_fma_f32 v3, v3, v35, -v4
	v_mul_f32_e32 v4, v6, v26
	v_fmac_f32_e32 v147, v22, v41
	v_add_f32_e32 v3, 0, v3
	v_fma_f32 v4, v5, v34, -v4
	v_add_f32_e32 v146, v146, v147
	s_waitcnt vmcnt(48) lgkmcnt(0)
	v_mul_f32_e32 v147, v142, v46
	v_add_f32_e32 v3, v3, v4
	v_mul_f32_e32 v4, v8, v27
	v_fmac_f32_e32 v147, v143, v40
	v_fma_f32 v4, v7, v33, -v4
	v_add_f32_e32 v150, v146, v147
	ds_read2_b64 v[146:149], v2 offset0:97 offset1:98
	v_add_f32_e32 v3, v3, v4
	v_mul_f32_e32 v4, v10, v28
	v_fma_f32 v4, v9, v39, -v4
	s_waitcnt vmcnt(45)
	v_mul_f32_e32 v151, v144, v49
	v_add_f32_e32 v3, v3, v4
	v_mul_f32_e32 v4, v12, v29
	s_waitcnt vmcnt(38)
	v_fmac_f32_e32 v151, v145, v56
	v_fma_f32 v4, v11, v38, -v4
	v_add_f32_e32 v154, v150, v151
	ds_read2_b64 v[150:153], v2 offset0:99 offset1:100
	v_add_f32_e32 v3, v3, v4
	v_mul_f32_e32 v4, v14, v30
	s_waitcnt lgkmcnt(1)
	v_mul_f32_e32 v155, v146, v51
	v_fma_f32 v4, v13, v37, -v4
	v_fmac_f32_e32 v155, v147, v50
	v_add_f32_e32 v3, v3, v4
	v_mul_f32_e32 v4, v16, v31
	v_add_f32_e32 v154, v154, v155
	v_mul_f32_e32 v155, v148, v53
	v_fma_f32 v4, v15, v36, -v4
	v_fmac_f32_e32 v155, v149, v52
	v_add_f32_e32 v3, v3, v4
	v_mul_f32_e32 v4, v18, v32
	v_add_f32_e32 v154, v154, v155
	s_waitcnt lgkmcnt(0)
	v_mul_f32_e32 v155, v150, v55
	v_fma_f32 v4, v17, v43, -v4
	v_fmac_f32_e32 v155, v151, v54
	v_add_f32_e32 v3, v3, v4
	v_mul_f32_e32 v4, v20, v44
	v_add_f32_e32 v158, v154, v155
	ds_read2_b64 v[154:157], v2 offset0:101 offset1:102
	v_fma_f32 v4, v19, v42, -v4
	v_add_f32_e32 v3, v3, v4
	v_mul_f32_e32 v4, v22, v45
	s_waitcnt vmcnt(36)
	v_mul_f32_e32 v159, v152, v190
	v_fma_f32 v4, v21, v41, -v4
	v_fmac_f32_e32 v159, v153, v57
	v_add_f32_e32 v3, v3, v4
	v_mul_f32_e32 v4, v143, v46
	v_add_f32_e32 v162, v158, v159
	ds_read2_b64 v[158:161], v2 offset0:103 offset1:104
	v_fma_f32 v4, v142, v40, -v4
	s_waitcnt vmcnt(34) lgkmcnt(1)
	v_mul_f32_e32 v163, v154, v192
	v_add_f32_e32 v3, v3, v4
	v_mul_f32_e32 v4, v145, v49
	v_fmac_f32_e32 v163, v155, v191
	v_fma_f32 v4, v144, v56, -v4
	v_add_f32_e32 v162, v162, v163
	s_waitcnt vmcnt(32)
	v_mul_f32_e32 v163, v156, v194
	v_add_f32_e32 v3, v3, v4
	v_mul_f32_e32 v4, v147, v51
	v_fmac_f32_e32 v163, v157, v193
	v_fma_f32 v4, v146, v50, -v4
	v_add_f32_e32 v162, v162, v163
	s_waitcnt vmcnt(30) lgkmcnt(0)
	v_mul_f32_e32 v163, v158, v196
	v_add_f32_e32 v3, v3, v4
	v_mul_f32_e32 v4, v149, v53
	v_fmac_f32_e32 v163, v159, v195
	v_fma_f32 v4, v148, v52, -v4
	v_add_f32_e32 v166, v162, v163
	ds_read2_b64 v[162:165], v2 offset0:105 offset1:106
	v_add_f32_e32 v3, v3, v4
	v_mul_f32_e32 v4, v151, v55
	v_fma_f32 v4, v150, v54, -v4
	s_waitcnt vmcnt(28)
	v_mul_f32_e32 v167, v160, v198
	v_add_f32_e32 v3, v3, v4
	v_mul_f32_e32 v4, v153, v190
	v_fmac_f32_e32 v167, v161, v197
	v_fma_f32 v4, v152, v57, -v4
	v_add_f32_e32 v170, v166, v167
	ds_read2_b64 v[166:169], v2 offset0:107 offset1:108
	v_add_f32_e32 v3, v3, v4
	v_mul_f32_e32 v4, v155, v192
	s_waitcnt vmcnt(26) lgkmcnt(1)
	v_mul_f32_e32 v171, v162, v200
	v_fma_f32 v4, v154, v191, -v4
	v_fmac_f32_e32 v171, v163, v199
	v_add_f32_e32 v3, v3, v4
	v_mul_f32_e32 v4, v157, v194
	v_add_f32_e32 v170, v170, v171
	s_waitcnt vmcnt(24)
	v_mul_f32_e32 v171, v164, v202
	v_fma_f32 v4, v156, v193, -v4
	v_fmac_f32_e32 v171, v165, v201
	v_add_f32_e32 v3, v3, v4
	v_mul_f32_e32 v4, v159, v196
	v_add_f32_e32 v170, v170, v171
	s_waitcnt vmcnt(22) lgkmcnt(0)
	v_mul_f32_e32 v171, v166, v204
	v_fma_f32 v4, v158, v195, -v4
	v_fmac_f32_e32 v171, v167, v203
	v_add_f32_e32 v3, v3, v4
	v_mul_f32_e32 v4, v161, v198
	v_add_f32_e32 v174, v170, v171
	ds_read2_b64 v[170:173], v2 offset0:109 offset1:110
	v_fma_f32 v4, v160, v197, -v4
	v_add_f32_e32 v3, v3, v4
	v_mul_f32_e32 v4, v163, v200
	s_waitcnt vmcnt(20)
	v_mul_f32_e32 v175, v168, v206
	v_fma_f32 v4, v162, v199, -v4
	v_fmac_f32_e32 v175, v169, v205
	v_add_f32_e32 v3, v3, v4
	v_mul_f32_e32 v4, v165, v202
	v_add_f32_e32 v178, v174, v175
	ds_read2_b64 v[174:177], v2 offset0:111 offset1:112
	v_fma_f32 v4, v164, v201, -v4
	s_waitcnt vmcnt(18) lgkmcnt(1)
	v_mul_f32_e32 v179, v170, v208
	v_add_f32_e32 v3, v3, v4
	v_mul_f32_e32 v4, v167, v204
	v_fmac_f32_e32 v179, v171, v207
	v_fma_f32 v4, v166, v203, -v4
	v_add_f32_e32 v178, v178, v179
	s_waitcnt vmcnt(16)
	v_mul_f32_e32 v179, v172, v210
	v_add_f32_e32 v3, v3, v4
	v_mul_f32_e32 v4, v169, v206
	v_fmac_f32_e32 v179, v173, v209
	v_fma_f32 v4, v168, v205, -v4
	v_add_f32_e32 v178, v178, v179
	s_waitcnt vmcnt(14) lgkmcnt(0)
	v_mul_f32_e32 v179, v174, v212
	v_add_f32_e32 v3, v3, v4
	v_mul_f32_e32 v4, v171, v208
	v_fmac_f32_e32 v179, v175, v211
	v_fma_f32 v4, v170, v207, -v4
	v_add_f32_e32 v182, v178, v179
	ds_read2_b64 v[178:181], v2 offset0:113 offset1:114
	v_add_f32_e32 v3, v3, v4
	v_mul_f32_e32 v4, v173, v210
	v_fma_f32 v4, v172, v209, -v4
	v_add_f32_e32 v3, v3, v4
	v_mul_f32_e32 v4, v175, v212
	s_waitcnt vmcnt(12)
	v_mul_f32_e32 v183, v176, v214
	v_fma_f32 v4, v174, v211, -v4
	v_fmac_f32_e32 v183, v177, v213
	v_add_f32_e32 v3, v3, v4
	v_mul_f32_e32 v4, v177, v214
	v_add_f32_e32 v186, v182, v183
	ds_read2_b64 v[182:185], v2 offset0:115 offset1:116
	s_waitcnt vmcnt(10) lgkmcnt(1)
	v_mul_f32_e32 v187, v178, v216
	v_fma_f32 v4, v176, v213, -v4
	v_fmac_f32_e32 v187, v179, v215
	v_add_f32_e32 v3, v3, v4
	v_mul_f32_e32 v4, v179, v216
	v_add_f32_e32 v186, v186, v187
	s_waitcnt vmcnt(9)
	v_mul_f32_e32 v187, v180, v217
	v_fma_f32 v4, v178, v215, -v4
	s_waitcnt vmcnt(6)
	v_fmac_f32_e32 v187, v181, v220
	v_add_f32_e32 v3, v3, v4
	v_mul_f32_e32 v4, v181, v217
	v_add_f32_e32 v227, v186, v187
	ds_read2_b64 v[186:189], v2 offset0:117 offset1:118
	v_fma_f32 v4, v180, v220, -v4
	v_add_f32_e32 v3, v3, v4
	s_waitcnt lgkmcnt(1)
	v_mul_f32_e32 v4, v183, v219
	v_mul_f32_e32 v228, v182, v219
	v_fma_f32 v4, v182, v218, -v4
	v_fmac_f32_e32 v228, v183, v218
	v_add_f32_e32 v3, v3, v4
	s_waitcnt vmcnt(4)
	v_mul_f32_e32 v4, v185, v222
	v_add_f32_e32 v2, v227, v228
	v_mul_f32_e32 v227, v184, v222
	v_fma_f32 v4, v184, v221, -v4
	v_fmac_f32_e32 v227, v185, v221
	v_add_f32_e32 v3, v3, v4
	s_waitcnt vmcnt(3) lgkmcnt(0)
	v_mul_f32_e32 v4, v187, v223
	v_add_f32_e32 v2, v2, v227
	v_mul_f32_e32 v227, v186, v223
	s_waitcnt vmcnt(0)
	v_fma_f32 v4, v186, v226, -v4
	v_fmac_f32_e32 v227, v187, v226
	v_add_f32_e32 v3, v3, v4
	v_mul_f32_e32 v4, v189, v225
	v_add_f32_e32 v2, v2, v227
	v_mul_f32_e32 v227, v188, v225
	v_fma_f32 v4, v188, v224, -v4
	v_fmac_f32_e32 v227, v189, v224
	v_add_f32_e32 v3, v3, v4
	v_add_f32_e32 v2, v2, v227
	v_sub_f32_e32 v3, v47, v3
	v_sub_f32_e32 v2, v48, v2
	buffer_store_dword v3, off, s[0:3], 0 offset:192
	buffer_store_dword v2, off, s[0:3], 0 offset:196
	s_and_saveexec_b64 s[4:5], vcc
	s_cbranch_execz .LBB122_321
; %bb.320:
	buffer_load_dword v2, off, s[0:3], 0 offset:184
	buffer_load_dword v3, off, s[0:3], 0 offset:188
	v_mov_b32_e32 v4, 0
	buffer_store_dword v4, off, s[0:3], 0 offset:184
	buffer_store_dword v4, off, s[0:3], 0 offset:188
	s_waitcnt vmcnt(2)
	ds_write_b64 v1, v[2:3]
.LBB122_321:
	s_or_b64 exec, exec, s[4:5]
	s_waitcnt lgkmcnt(0)
	; wave barrier
	buffer_load_dword v23, off, s[0:3], 0 offset:196
	buffer_load_dword v28, off, s[0:3], 0 offset:204
	buffer_load_dword v29, off, s[0:3], 0 offset:212
	buffer_load_dword v30, off, s[0:3], 0 offset:220
	buffer_load_dword v31, off, s[0:3], 0 offset:228
	buffer_load_dword v32, off, s[0:3], 0 offset:236
	buffer_load_dword v33, off, s[0:3], 0 offset:244
	buffer_load_dword v34, off, s[0:3], 0 offset:252
	buffer_load_dword v35, off, s[0:3], 0 offset:260
	buffer_load_dword v36, off, s[0:3], 0 offset:208
	buffer_load_dword v37, off, s[0:3], 0 offset:200
	buffer_load_dword v38, off, s[0:3], 0 offset:192
	buffer_load_dword v39, off, s[0:3], 0 offset:240
	buffer_load_dword v40, off, s[0:3], 0 offset:232
	buffer_load_dword v41, off, s[0:3], 0 offset:224
	buffer_load_dword v42, off, s[0:3], 0 offset:216
	buffer_load_dword v43, off, s[0:3], 0 offset:272
	buffer_load_dword v44, off, s[0:3], 0 offset:264
	buffer_load_dword v45, off, s[0:3], 0 offset:256
	buffer_load_dword v46, off, s[0:3], 0 offset:248
	buffer_load_dword v47, off, s[0:3], 0 offset:268
	buffer_load_dword v48, off, s[0:3], 0 offset:276
	buffer_load_dword v49, off, s[0:3], 0 offset:184
	buffer_load_dword v50, off, s[0:3], 0 offset:188
	buffer_load_dword v51, off, s[0:3], 0 offset:280
	buffer_load_dword v52, off, s[0:3], 0 offset:284
	buffer_load_dword v53, off, s[0:3], 0 offset:288
	buffer_load_dword v54, off, s[0:3], 0 offset:292
	buffer_load_dword v55, off, s[0:3], 0 offset:296
	buffer_load_dword v56, off, s[0:3], 0 offset:300
	buffer_load_dword v57, off, s[0:3], 0 offset:304
	buffer_load_dword v190, off, s[0:3], 0 offset:308
	buffer_load_dword v191, off, s[0:3], 0 offset:312
	buffer_load_dword v192, off, s[0:3], 0 offset:316
	buffer_load_dword v193, off, s[0:3], 0 offset:320
	buffer_load_dword v194, off, s[0:3], 0 offset:324
	buffer_load_dword v195, off, s[0:3], 0 offset:328
	buffer_load_dword v196, off, s[0:3], 0 offset:332
	buffer_load_dword v197, off, s[0:3], 0 offset:336
	buffer_load_dword v198, off, s[0:3], 0 offset:340
	buffer_load_dword v199, off, s[0:3], 0 offset:344
	buffer_load_dword v200, off, s[0:3], 0 offset:348
	buffer_load_dword v201, off, s[0:3], 0 offset:352
	buffer_load_dword v202, off, s[0:3], 0 offset:356
	buffer_load_dword v203, off, s[0:3], 0 offset:360
	buffer_load_dword v204, off, s[0:3], 0 offset:364
	buffer_load_dword v205, off, s[0:3], 0 offset:368
	buffer_load_dword v206, off, s[0:3], 0 offset:372
	buffer_load_dword v207, off, s[0:3], 0 offset:376
	buffer_load_dword v208, off, s[0:3], 0 offset:380
	buffer_load_dword v209, off, s[0:3], 0 offset:384
	buffer_load_dword v210, off, s[0:3], 0 offset:388
	buffer_load_dword v211, off, s[0:3], 0 offset:392
	buffer_load_dword v212, off, s[0:3], 0 offset:396
	buffer_load_dword v213, off, s[0:3], 0 offset:400
	buffer_load_dword v214, off, s[0:3], 0 offset:404
	v_mov_b32_e32 v2, 0
	ds_read_b128 v[3:6], v2 offset:672
	ds_read_b128 v[7:10], v2 offset:688
	;; [unrolled: 1-line block ×6, first 2 shown]
	buffer_load_dword v215, off, s[0:3], 0 offset:408
	buffer_load_dword v216, off, s[0:3], 0 offset:412
	;; [unrolled: 1-line block ×16, first 2 shown]
	ds_read_b128 v[154:157], v2 offset:800
	ds_read_b128 v[158:161], v2 offset:816
	;; [unrolled: 1-line block ×9, first 2 shown]
	v_cmp_lt_u32_e32 vcc, 22, v0
	s_waitcnt vmcnt(62) lgkmcnt(14)
	v_mul_f32_e32 v26, v3, v23
	v_mul_f32_e32 v27, v5, v28
	s_waitcnt lgkmcnt(13)
	v_mul_f32_e32 v146, v7, v29
	v_mul_f32_e32 v147, v9, v30
	s_waitcnt lgkmcnt(12)
	;; [unrolled: 3-line block ×4, first 2 shown]
	v_mul_f32_e32 v152, v19, v35
	v_fmac_f32_e32 v146, v8, v36
	s_waitcnt vmcnt(61)
	v_fmac_f32_e32 v27, v6, v37
	s_waitcnt vmcnt(60)
	v_fmac_f32_e32 v26, v4, v38
	v_mul_f32_e32 v4, v4, v23
	v_fma_f32 v3, v3, v38, -v4
	v_mul_f32_e32 v4, v6, v28
	v_add_f32_e32 v3, 0, v3
	v_fma_f32 v4, v5, v37, -v4
	v_add_f32_e32 v3, v3, v4
	v_mul_f32_e32 v4, v8, v29
	v_fma_f32 v4, v7, v36, -v4
	v_add_f32_e32 v3, v3, v4
	v_mul_f32_e32 v4, v10, v30
	s_waitcnt vmcnt(56)
	v_fma_f32 v4, v9, v42, -v4
	v_add_f32_e32 v3, v3, v4
	v_mul_f32_e32 v4, v12, v31
	v_fma_f32 v4, v11, v41, -v4
	v_add_f32_e32 v26, 0, v26
	v_add_f32_e32 v3, v3, v4
	v_mul_f32_e32 v4, v14, v32
	v_add_f32_e32 v26, v26, v27
	v_fma_f32 v4, v13, v40, -v4
	v_fmac_f32_e32 v147, v10, v42
	v_add_f32_e32 v26, v26, v146
	v_add_f32_e32 v3, v3, v4
	v_mul_f32_e32 v4, v16, v33
	v_fmac_f32_e32 v148, v12, v41
	v_add_f32_e32 v26, v26, v147
	v_fma_f32 v4, v15, v39, -v4
	v_fmac_f32_e32 v149, v14, v40
	v_add_f32_e32 v26, v26, v148
	v_add_f32_e32 v3, v3, v4
	v_mul_f32_e32 v4, v18, v34
	v_fmac_f32_e32 v150, v16, v39
	v_add_f32_e32 v26, v26, v149
	s_waitcnt vmcnt(52)
	v_fma_f32 v4, v17, v46, -v4
	v_fmac_f32_e32 v151, v18, v46
	v_add_f32_e32 v26, v26, v150
	v_add_f32_e32 v3, v3, v4
	v_mul_f32_e32 v4, v20, v35
	v_add_f32_e32 v26, v26, v151
	v_fmac_f32_e32 v152, v20, v45
	s_waitcnt vmcnt(51)
	v_mul_f32_e32 v27, v21, v47
	v_fma_f32 v4, v19, v45, -v4
	v_add_f32_e32 v26, v26, v152
	v_fmac_f32_e32 v27, v22, v44
	ds_read_b128 v[146:149], v2 offset:768
	ds_read_b128 v[150:153], v2 offset:784
	v_add_f32_e32 v3, v3, v4
	v_mul_f32_e32 v4, v22, v47
	v_add_f32_e32 v26, v26, v27
	s_waitcnt vmcnt(50) lgkmcnt(11)
	v_mul_f32_e32 v27, v142, v48
	v_fma_f32 v4, v21, v44, -v4
	v_fmac_f32_e32 v27, v143, v43
	v_add_f32_e32 v3, v3, v4
	v_mul_f32_e32 v4, v143, v48
	v_add_f32_e32 v26, v26, v27
	s_waitcnt vmcnt(46)
	v_mul_f32_e32 v27, v144, v52
	v_fma_f32 v4, v142, v43, -v4
	v_fmac_f32_e32 v27, v145, v51
	v_add_f32_e32 v3, v3, v4
	v_mul_f32_e32 v4, v145, v52
	v_add_f32_e32 v26, v26, v27
	s_waitcnt vmcnt(44) lgkmcnt(1)
	v_mul_f32_e32 v27, v146, v54
	v_fma_f32 v4, v144, v51, -v4
	v_fmac_f32_e32 v27, v147, v53
	v_add_f32_e32 v3, v3, v4
	v_mul_f32_e32 v4, v147, v54
	v_add_f32_e32 v26, v26, v27
	s_waitcnt vmcnt(42)
	v_mul_f32_e32 v27, v148, v56
	v_fma_f32 v4, v146, v53, -v4
	v_fmac_f32_e32 v27, v149, v55
	;; [unrolled: 14-line block ×3, first 2 shown]
	v_add_f32_e32 v3, v3, v4
	v_mul_f32_e32 v4, v153, v192
	v_add_f32_e32 v26, v26, v27
	s_waitcnt vmcnt(36)
	v_mul_f32_e32 v27, v154, v194
	v_fma_f32 v4, v152, v191, -v4
	v_fmac_f32_e32 v27, v155, v193
	v_add_f32_e32 v3, v3, v4
	v_mul_f32_e32 v4, v155, v194
	v_add_f32_e32 v26, v26, v27
	s_waitcnt vmcnt(34)
	v_mul_f32_e32 v27, v156, v196
	v_fma_f32 v4, v154, v193, -v4
	v_fmac_f32_e32 v27, v157, v195
	;; [unrolled: 7-line block ×13, first 2 shown]
	v_add_f32_e32 v3, v3, v4
	v_mul_f32_e32 v4, v179, v218
	v_add_f32_e32 v26, v26, v27
	s_waitcnt vmcnt(11)
	v_mul_f32_e32 v27, v180, v219
	v_fma_f32 v4, v178, v217, -v4
	s_waitcnt vmcnt(8)
	v_fmac_f32_e32 v27, v181, v222
	v_add_f32_e32 v3, v3, v4
	v_mul_f32_e32 v4, v181, v219
	v_add_f32_e32 v26, v26, v27
	v_mul_f32_e32 v27, v182, v221
	v_fma_f32 v4, v180, v222, -v4
	v_fmac_f32_e32 v27, v183, v220
	v_add_f32_e32 v3, v3, v4
	v_mul_f32_e32 v4, v183, v221
	v_add_f32_e32 v26, v26, v27
	s_waitcnt vmcnt(6)
	v_mul_f32_e32 v27, v184, v224
	v_fma_f32 v4, v182, v220, -v4
	v_fmac_f32_e32 v27, v185, v223
	v_add_f32_e32 v3, v3, v4
	v_mul_f32_e32 v4, v185, v224
	v_add_f32_e32 v231, v26, v27
	ds_read_b64 v[26:27], v2 offset:944
	v_fma_f32 v4, v184, v223, -v4
	v_add_f32_e32 v3, v3, v4
	s_waitcnt vmcnt(4)
	v_mul_f32_e32 v4, v187, v226
	v_mul_f32_e32 v232, v186, v226
	v_fma_f32 v4, v186, v225, -v4
	v_fmac_f32_e32 v232, v187, v225
	v_add_f32_e32 v3, v3, v4
	s_waitcnt vmcnt(3)
	v_mul_f32_e32 v4, v189, v227
	v_add_f32_e32 v231, v231, v232
	v_mul_f32_e32 v232, v188, v227
	s_waitcnt vmcnt(0)
	v_fma_f32 v4, v188, v230, -v4
	v_fmac_f32_e32 v232, v189, v230
	v_add_f32_e32 v3, v3, v4
	s_waitcnt lgkmcnt(0)
	v_mul_f32_e32 v4, v27, v229
	v_add_f32_e32 v231, v231, v232
	v_mul_f32_e32 v232, v26, v229
	v_fma_f32 v4, v26, v228, -v4
	v_fmac_f32_e32 v232, v27, v228
	v_add_f32_e32 v3, v3, v4
	v_add_f32_e32 v231, v231, v232
	v_sub_f32_e32 v3, v49, v3
	v_sub_f32_e32 v4, v50, v231
	buffer_store_dword v3, off, s[0:3], 0 offset:184
	buffer_store_dword v4, off, s[0:3], 0 offset:188
	s_and_saveexec_b64 s[4:5], vcc
	s_cbranch_execz .LBB122_323
; %bb.322:
	buffer_load_dword v3, off, s[0:3], 0 offset:176
	buffer_load_dword v4, off, s[0:3], 0 offset:180
	s_waitcnt vmcnt(0)
	ds_write_b64 v1, v[3:4]
	buffer_store_dword v2, off, s[0:3], 0 offset:176
	buffer_store_dword v2, off, s[0:3], 0 offset:180
.LBB122_323:
	s_or_b64 exec, exec, s[4:5]
	s_waitcnt lgkmcnt(0)
	; wave barrier
	buffer_load_dword v23, off, s[0:3], 0 offset:188
	buffer_load_dword v26, off, s[0:3], 0 offset:196
	;; [unrolled: 1-line block ×26, first 2 shown]
	ds_read2_b64 v[3:6], v2 offset0:83 offset1:84
	ds_read2_b64 v[7:10], v2 offset0:85 offset1:86
	;; [unrolled: 1-line block ×6, first 2 shown]
	buffer_load_dword v51, off, s[0:3], 0 offset:280
	buffer_load_dword v52, off, s[0:3], 0 offset:284
	;; [unrolled: 1-line block ×46, first 2 shown]
	v_cmp_lt_u32_e32 vcc, 21, v0
	s_waitcnt vmcnt(62) lgkmcnt(5)
	v_mul_f32_e32 v146, v3, v23
	v_mul_f32_e32 v147, v5, v26
	s_waitcnt lgkmcnt(4)
	v_mul_f32_e32 v148, v7, v27
	v_mul_f32_e32 v149, v9, v28
	s_waitcnt lgkmcnt(3)
	;; [unrolled: 3-line block ×4, first 2 shown]
	v_mul_f32_e32 v154, v19, v33
	v_fmac_f32_e32 v148, v8, v34
	s_waitcnt vmcnt(61)
	v_fmac_f32_e32 v147, v6, v35
	s_waitcnt vmcnt(60)
	v_fmac_f32_e32 v146, v4, v36
	v_add_f32_e32 v146, 0, v146
	v_add_f32_e32 v146, v146, v147
	;; [unrolled: 1-line block ×3, first 2 shown]
	s_waitcnt vmcnt(56)
	v_fmac_f32_e32 v149, v10, v40
	v_fmac_f32_e32 v150, v12, v39
	v_add_f32_e32 v146, v146, v149
	v_fmac_f32_e32 v151, v14, v38
	v_add_f32_e32 v146, v146, v150
	;; [unrolled: 2-line block ×3, first 2 shown]
	s_waitcnt vmcnt(52)
	v_fmac_f32_e32 v153, v18, v44
	v_add_f32_e32 v146, v146, v152
	v_fmac_f32_e32 v154, v20, v43
	v_add_f32_e32 v146, v146, v153
	s_waitcnt vmcnt(51)
	v_mul_f32_e32 v147, v21, v45
	v_add_f32_e32 v146, v146, v154
	v_fmac_f32_e32 v147, v22, v42
	v_add_f32_e32 v146, v146, v147
	s_waitcnt vmcnt(50) lgkmcnt(0)
	v_mul_f32_e32 v147, v142, v46
	v_fmac_f32_e32 v147, v143, v41
	s_waitcnt vmcnt(46)
	v_mul_f32_e32 v151, v144, v50
	v_add_f32_e32 v150, v146, v147
	v_fmac_f32_e32 v151, v145, v49
	ds_read2_b64 v[146:149], v2 offset0:95 offset1:96
	v_add_f32_e32 v154, v150, v151
	ds_read2_b64 v[150:153], v2 offset0:97 offset1:98
	buffer_load_dword v233, off, s[0:3], 0 offset:464
	buffer_load_dword v234, off, s[0:3], 0 offset:468
	v_mul_f32_e32 v4, v4, v23
	v_fma_f32 v3, v3, v36, -v4
	v_mul_f32_e32 v4, v6, v26
	v_add_f32_e32 v3, 0, v3
	v_fma_f32 v4, v5, v35, -v4
	v_add_f32_e32 v3, v3, v4
	v_mul_f32_e32 v4, v8, v27
	v_fma_f32 v4, v7, v34, -v4
	v_add_f32_e32 v3, v3, v4
	v_mul_f32_e32 v4, v10, v28
	;; [unrolled: 3-line block ×3, first 2 shown]
	s_waitcnt vmcnt(46) lgkmcnt(1)
	v_mul_f32_e32 v155, v146, v52
	v_fma_f32 v4, v11, v39, -v4
	v_fmac_f32_e32 v155, v147, v51
	v_add_f32_e32 v3, v3, v4
	v_mul_f32_e32 v4, v14, v30
	v_add_f32_e32 v154, v154, v155
	s_waitcnt vmcnt(44)
	v_mul_f32_e32 v155, v148, v54
	v_fma_f32 v4, v13, v38, -v4
	v_fmac_f32_e32 v155, v149, v53
	v_add_f32_e32 v3, v3, v4
	v_mul_f32_e32 v4, v16, v31
	v_add_f32_e32 v154, v154, v155
	s_waitcnt vmcnt(42) lgkmcnt(0)
	v_mul_f32_e32 v155, v150, v56
	v_fma_f32 v4, v15, v37, -v4
	v_fmac_f32_e32 v155, v151, v55
	v_add_f32_e32 v3, v3, v4
	v_mul_f32_e32 v4, v18, v32
	v_add_f32_e32 v158, v154, v155
	ds_read2_b64 v[154:157], v2 offset0:99 offset1:100
	v_fma_f32 v4, v17, v44, -v4
	v_add_f32_e32 v3, v3, v4
	v_mul_f32_e32 v4, v20, v33
	s_waitcnt vmcnt(40)
	v_mul_f32_e32 v159, v152, v194
	v_fma_f32 v4, v19, v43, -v4
	v_fmac_f32_e32 v159, v153, v57
	v_add_f32_e32 v3, v3, v4
	v_mul_f32_e32 v4, v22, v45
	v_add_f32_e32 v162, v158, v159
	ds_read2_b64 v[158:161], v2 offset0:101 offset1:102
	v_fma_f32 v4, v21, v42, -v4
	s_waitcnt vmcnt(38) lgkmcnt(1)
	v_mul_f32_e32 v163, v154, v196
	v_add_f32_e32 v3, v3, v4
	v_mul_f32_e32 v4, v143, v46
	v_fmac_f32_e32 v163, v155, v195
	v_fma_f32 v4, v142, v41, -v4
	v_add_f32_e32 v162, v162, v163
	s_waitcnt vmcnt(36)
	v_mul_f32_e32 v163, v156, v198
	v_add_f32_e32 v3, v3, v4
	v_mul_f32_e32 v4, v145, v50
	v_fmac_f32_e32 v163, v157, v197
	v_fma_f32 v4, v144, v49, -v4
	v_add_f32_e32 v162, v162, v163
	s_waitcnt vmcnt(34) lgkmcnt(0)
	v_mul_f32_e32 v163, v158, v200
	v_add_f32_e32 v3, v3, v4
	v_mul_f32_e32 v4, v147, v52
	v_fmac_f32_e32 v163, v159, v199
	v_fma_f32 v4, v146, v51, -v4
	v_add_f32_e32 v166, v162, v163
	ds_read2_b64 v[162:165], v2 offset0:103 offset1:104
	v_add_f32_e32 v3, v3, v4
	v_mul_f32_e32 v4, v149, v54
	v_fma_f32 v4, v148, v53, -v4
	s_waitcnt vmcnt(32)
	v_mul_f32_e32 v167, v160, v202
	v_add_f32_e32 v3, v3, v4
	v_mul_f32_e32 v4, v151, v56
	v_fmac_f32_e32 v167, v161, v201
	v_fma_f32 v4, v150, v55, -v4
	v_add_f32_e32 v170, v166, v167
	ds_read2_b64 v[166:169], v2 offset0:105 offset1:106
	v_add_f32_e32 v3, v3, v4
	v_mul_f32_e32 v4, v153, v194
	s_waitcnt vmcnt(30) lgkmcnt(1)
	v_mul_f32_e32 v171, v162, v204
	v_fma_f32 v4, v152, v57, -v4
	v_fmac_f32_e32 v171, v163, v203
	v_add_f32_e32 v3, v3, v4
	v_mul_f32_e32 v4, v155, v196
	v_add_f32_e32 v170, v170, v171
	s_waitcnt vmcnt(28)
	v_mul_f32_e32 v171, v164, v206
	v_fma_f32 v4, v154, v195, -v4
	v_fmac_f32_e32 v171, v165, v205
	v_add_f32_e32 v3, v3, v4
	v_mul_f32_e32 v4, v157, v198
	v_add_f32_e32 v170, v170, v171
	s_waitcnt vmcnt(26) lgkmcnt(0)
	v_mul_f32_e32 v171, v166, v208
	v_fma_f32 v4, v156, v197, -v4
	v_fmac_f32_e32 v171, v167, v207
	v_add_f32_e32 v3, v3, v4
	v_mul_f32_e32 v4, v159, v200
	v_add_f32_e32 v174, v170, v171
	ds_read2_b64 v[170:173], v2 offset0:107 offset1:108
	v_fma_f32 v4, v158, v199, -v4
	v_add_f32_e32 v3, v3, v4
	v_mul_f32_e32 v4, v161, v202
	s_waitcnt vmcnt(24)
	v_mul_f32_e32 v175, v168, v210
	v_fma_f32 v4, v160, v201, -v4
	v_fmac_f32_e32 v175, v169, v209
	v_add_f32_e32 v3, v3, v4
	v_mul_f32_e32 v4, v163, v204
	v_add_f32_e32 v178, v174, v175
	ds_read2_b64 v[174:177], v2 offset0:109 offset1:110
	v_fma_f32 v4, v162, v203, -v4
	s_waitcnt vmcnt(22) lgkmcnt(1)
	v_mul_f32_e32 v179, v170, v212
	v_add_f32_e32 v3, v3, v4
	v_mul_f32_e32 v4, v165, v206
	v_fmac_f32_e32 v179, v171, v211
	v_fma_f32 v4, v164, v205, -v4
	v_add_f32_e32 v178, v178, v179
	s_waitcnt vmcnt(20)
	v_mul_f32_e32 v179, v172, v214
	v_add_f32_e32 v3, v3, v4
	v_mul_f32_e32 v4, v167, v208
	v_fmac_f32_e32 v179, v173, v213
	v_fma_f32 v4, v166, v207, -v4
	v_add_f32_e32 v178, v178, v179
	s_waitcnt vmcnt(18) lgkmcnt(0)
	v_mul_f32_e32 v179, v174, v216
	v_add_f32_e32 v3, v3, v4
	v_mul_f32_e32 v4, v169, v210
	v_fmac_f32_e32 v179, v175, v215
	v_fma_f32 v4, v168, v209, -v4
	v_add_f32_e32 v182, v178, v179
	ds_read2_b64 v[178:181], v2 offset0:111 offset1:112
	v_add_f32_e32 v3, v3, v4
	v_mul_f32_e32 v4, v171, v212
	v_fma_f32 v4, v170, v211, -v4
	s_waitcnt vmcnt(16)
	v_mul_f32_e32 v183, v176, v218
	v_add_f32_e32 v3, v3, v4
	v_mul_f32_e32 v4, v173, v214
	v_fmac_f32_e32 v183, v177, v217
	v_fma_f32 v4, v172, v213, -v4
	v_add_f32_e32 v186, v182, v183
	ds_read2_b64 v[182:185], v2 offset0:113 offset1:114
	v_add_f32_e32 v3, v3, v4
	v_mul_f32_e32 v4, v175, v216
	s_waitcnt vmcnt(14) lgkmcnt(1)
	v_mul_f32_e32 v187, v178, v220
	v_fma_f32 v4, v174, v215, -v4
	v_fmac_f32_e32 v187, v179, v219
	v_add_f32_e32 v3, v3, v4
	v_mul_f32_e32 v4, v177, v218
	v_add_f32_e32 v186, v186, v187
	s_waitcnt vmcnt(13)
	v_mul_f32_e32 v187, v180, v221
	v_fma_f32 v4, v176, v217, -v4
	s_waitcnt vmcnt(10)
	v_fmac_f32_e32 v187, v181, v224
	v_add_f32_e32 v3, v3, v4
	v_mul_f32_e32 v4, v179, v220
	v_add_f32_e32 v186, v186, v187
	s_waitcnt lgkmcnt(0)
	v_mul_f32_e32 v187, v182, v223
	v_fma_f32 v4, v178, v219, -v4
	v_fmac_f32_e32 v187, v183, v222
	v_add_f32_e32 v3, v3, v4
	v_mul_f32_e32 v4, v181, v221
	v_add_f32_e32 v190, v186, v187
	ds_read2_b64 v[186:189], v2 offset0:115 offset1:116
	v_fma_f32 v4, v180, v224, -v4
	v_add_f32_e32 v3, v3, v4
	v_mul_f32_e32 v4, v183, v223
	s_waitcnt vmcnt(8)
	v_mul_f32_e32 v191, v184, v226
	v_fma_f32 v4, v182, v222, -v4
	v_fmac_f32_e32 v191, v185, v225
	v_add_f32_e32 v3, v3, v4
	v_mul_f32_e32 v4, v185, v226
	v_add_f32_e32 v235, v190, v191
	ds_read2_b64 v[190:193], v2 offset0:117 offset1:118
	v_fma_f32 v4, v184, v225, -v4
	v_add_f32_e32 v3, v3, v4
	s_waitcnt vmcnt(6) lgkmcnt(1)
	v_mul_f32_e32 v4, v187, v228
	v_mul_f32_e32 v2, v186, v228
	v_fma_f32 v4, v186, v227, -v4
	v_fmac_f32_e32 v2, v187, v227
	v_add_f32_e32 v3, v3, v4
	s_waitcnt vmcnt(5)
	v_mul_f32_e32 v4, v189, v229
	v_add_f32_e32 v2, v235, v2
	v_mul_f32_e32 v235, v188, v229
	s_waitcnt vmcnt(2)
	v_fma_f32 v4, v188, v232, -v4
	v_fmac_f32_e32 v235, v189, v232
	v_add_f32_e32 v3, v3, v4
	s_waitcnt lgkmcnt(0)
	v_mul_f32_e32 v4, v191, v231
	v_add_f32_e32 v2, v2, v235
	v_mul_f32_e32 v235, v190, v231
	v_fma_f32 v4, v190, v230, -v4
	v_fmac_f32_e32 v235, v191, v230
	v_add_f32_e32 v3, v3, v4
	s_waitcnt vmcnt(0)
	v_mul_f32_e32 v4, v193, v234
	v_add_f32_e32 v2, v2, v235
	v_mul_f32_e32 v235, v192, v234
	v_fma_f32 v4, v192, v233, -v4
	v_fmac_f32_e32 v235, v193, v233
	v_add_f32_e32 v3, v3, v4
	v_add_f32_e32 v2, v2, v235
	v_sub_f32_e32 v3, v47, v3
	v_sub_f32_e32 v2, v48, v2
	buffer_store_dword v3, off, s[0:3], 0 offset:176
	buffer_store_dword v2, off, s[0:3], 0 offset:180
	s_and_saveexec_b64 s[4:5], vcc
	s_cbranch_execz .LBB122_325
; %bb.324:
	buffer_load_dword v2, off, s[0:3], 0 offset:168
	buffer_load_dword v3, off, s[0:3], 0 offset:172
	v_mov_b32_e32 v4, 0
	buffer_store_dword v4, off, s[0:3], 0 offset:168
	buffer_store_dword v4, off, s[0:3], 0 offset:172
	s_waitcnt vmcnt(2)
	ds_write_b64 v1, v[2:3]
.LBB122_325:
	s_or_b64 exec, exec, s[4:5]
	s_waitcnt lgkmcnt(0)
	; wave barrier
	buffer_load_dword v23, off, s[0:3], 0 offset:180
	buffer_load_dword v28, off, s[0:3], 0 offset:188
	;; [unrolled: 1-line block ×50, first 2 shown]
	v_mov_b32_e32 v2, 0
	ds_read_b128 v[3:6], v2 offset:656
	ds_read_b128 v[7:10], v2 offset:672
	;; [unrolled: 1-line block ×6, first 2 shown]
	buffer_load_dword v213, off, s[0:3], 0 offset:368
	buffer_load_dword v214, off, s[0:3], 0 offset:372
	buffer_load_dword v215, off, s[0:3], 0 offset:380
	buffer_load_dword v216, off, s[0:3], 0 offset:384
	buffer_load_dword v217, off, s[0:3], 0 offset:388
	buffer_load_dword v218, off, s[0:3], 0 offset:376
	buffer_load_dword v219, off, s[0:3], 0 offset:392
	buffer_load_dword v220, off, s[0:3], 0 offset:396
	buffer_load_dword v221, off, s[0:3], 0 offset:400
	buffer_load_dword v222, off, s[0:3], 0 offset:404
	buffer_load_dword v223, off, s[0:3], 0 offset:412
	buffer_load_dword v224, off, s[0:3], 0 offset:416
	buffer_load_dword v225, off, s[0:3], 0 offset:420
	buffer_load_dword v226, off, s[0:3], 0 offset:408
	buffer_load_dword v227, off, s[0:3], 0 offset:424
	buffer_load_dword v228, off, s[0:3], 0 offset:428
	v_cmp_lt_u32_e32 vcc, 20, v0
	s_waitcnt vmcnt(62) lgkmcnt(5)
	v_mul_f32_e32 v26, v3, v23
	v_mul_f32_e32 v27, v5, v28
	s_waitcnt lgkmcnt(4)
	v_mul_f32_e32 v146, v7, v29
	v_mul_f32_e32 v147, v9, v30
	s_waitcnt vmcnt(61) lgkmcnt(3)
	v_mul_f32_e32 v148, v11, v31
	s_waitcnt vmcnt(60)
	v_mul_f32_e32 v149, v13, v32
	s_waitcnt vmcnt(59) lgkmcnt(2)
	v_mul_f32_e32 v150, v15, v33
	s_waitcnt vmcnt(58)
	;; [unrolled: 4-line block ×3, first 2 shown]
	v_fmac_f32_e32 v146, v8, v36
	s_waitcnt vmcnt(55)
	v_fmac_f32_e32 v27, v6, v37
	s_waitcnt vmcnt(54)
	v_fmac_f32_e32 v26, v4, v38
	v_add_f32_e32 v26, 0, v26
	v_add_f32_e32 v26, v26, v27
	;; [unrolled: 1-line block ×3, first 2 shown]
	s_waitcnt vmcnt(50)
	v_fmac_f32_e32 v147, v10, v42
	v_fmac_f32_e32 v148, v12, v41
	v_add_f32_e32 v26, v26, v147
	v_fmac_f32_e32 v149, v14, v40
	v_add_f32_e32 v26, v26, v148
	v_add_f32_e32 v26, v26, v149
	ds_read_b128 v[146:149], v2 offset:752
	buffer_load_dword v229, off, s[0:3], 0 offset:432
	buffer_load_dword v230, off, s[0:3], 0 offset:436
	;; [unrolled: 1-line block ×6, first 2 shown]
	v_fmac_f32_e32 v150, v16, v39
	s_waitcnt vmcnt(52)
	v_fmac_f32_e32 v151, v18, v46
	v_add_f32_e32 v26, v26, v150
	v_fmac_f32_e32 v152, v20, v45
	v_add_f32_e32 v26, v26, v151
	v_add_f32_e32 v26, v26, v152
	ds_read_b128 v[150:153], v2 offset:768
	buffer_load_dword v235, off, s[0:3], 0 offset:460
	buffer_load_dword v236, off, s[0:3], 0 offset:464
	;; [unrolled: 1-line block ×4, first 2 shown]
	v_mul_f32_e32 v4, v4, v23
	v_fma_f32 v3, v3, v38, -v4
	v_mul_f32_e32 v4, v6, v28
	v_add_f32_e32 v3, 0, v3
	v_fma_f32 v4, v5, v37, -v4
	v_add_f32_e32 v3, v3, v4
	v_mul_f32_e32 v4, v8, v29
	v_fma_f32 v4, v7, v36, -v4
	v_add_f32_e32 v3, v3, v4
	v_mul_f32_e32 v4, v10, v30
	;; [unrolled: 3-line block ×7, first 2 shown]
	s_waitcnt vmcnt(55)
	v_mul_f32_e32 v27, v21, v47
	v_fma_f32 v4, v19, v45, -v4
	v_fmac_f32_e32 v27, v22, v44
	v_add_f32_e32 v3, v3, v4
	v_mul_f32_e32 v4, v22, v47
	v_add_f32_e32 v26, v26, v27
	s_waitcnt vmcnt(54) lgkmcnt(2)
	v_mul_f32_e32 v27, v142, v48
	v_fma_f32 v4, v21, v44, -v4
	v_fmac_f32_e32 v27, v143, v43
	v_add_f32_e32 v3, v3, v4
	v_mul_f32_e32 v4, v143, v48
	v_add_f32_e32 v26, v26, v27
	s_waitcnt vmcnt(53)
	v_mul_f32_e32 v27, v144, v49
	v_fma_f32 v4, v142, v43, -v4
	s_waitcnt vmcnt(46)
	v_fmac_f32_e32 v27, v145, v56
	v_add_f32_e32 v3, v3, v4
	v_mul_f32_e32 v4, v145, v49
	v_add_f32_e32 v26, v26, v27
	s_waitcnt lgkmcnt(1)
	v_mul_f32_e32 v27, v146, v51
	v_fma_f32 v4, v144, v56, -v4
	v_fmac_f32_e32 v27, v147, v50
	v_add_f32_e32 v3, v3, v4
	v_mul_f32_e32 v4, v147, v51
	v_add_f32_e32 v26, v26, v27
	v_mul_f32_e32 v27, v148, v53
	v_fma_f32 v4, v146, v50, -v4
	v_fmac_f32_e32 v27, v149, v52
	ds_read_b128 v[154:157], v2 offset:784
	ds_read_b128 v[158:161], v2 offset:800
	v_add_f32_e32 v3, v3, v4
	v_mul_f32_e32 v4, v149, v53
	v_add_f32_e32 v26, v26, v27
	s_waitcnt lgkmcnt(2)
	v_mul_f32_e32 v27, v150, v55
	v_fma_f32 v4, v148, v52, -v4
	v_fmac_f32_e32 v27, v151, v54
	v_add_f32_e32 v3, v3, v4
	v_mul_f32_e32 v4, v151, v55
	v_add_f32_e32 v26, v26, v27
	s_waitcnt vmcnt(42)
	v_mul_f32_e32 v27, v152, v196
	v_fma_f32 v4, v150, v54, -v4
	v_fmac_f32_e32 v27, v153, v195
	v_add_f32_e32 v3, v3, v4
	v_mul_f32_e32 v4, v153, v196
	v_add_f32_e32 v26, v26, v27
	s_waitcnt vmcnt(40) lgkmcnt(1)
	v_mul_f32_e32 v27, v154, v198
	v_fma_f32 v4, v152, v195, -v4
	v_fmac_f32_e32 v27, v155, v197
	v_add_f32_e32 v3, v3, v4
	v_mul_f32_e32 v4, v155, v198
	v_add_f32_e32 v26, v26, v27
	s_waitcnt vmcnt(38)
	v_mul_f32_e32 v27, v156, v200
	v_fma_f32 v4, v154, v197, -v4
	v_fmac_f32_e32 v27, v157, v199
	ds_read_b128 v[162:165], v2 offset:816
	ds_read_b128 v[166:169], v2 offset:832
	v_add_f32_e32 v3, v3, v4
	v_mul_f32_e32 v4, v157, v200
	v_add_f32_e32 v26, v26, v27
	s_waitcnt vmcnt(36) lgkmcnt(2)
	v_mul_f32_e32 v27, v158, v202
	v_fma_f32 v4, v156, v199, -v4
	v_fmac_f32_e32 v27, v159, v201
	v_add_f32_e32 v3, v3, v4
	v_mul_f32_e32 v4, v159, v202
	v_add_f32_e32 v26, v26, v27
	s_waitcnt vmcnt(34)
	v_mul_f32_e32 v27, v160, v204
	v_fma_f32 v4, v158, v201, -v4
	v_fmac_f32_e32 v27, v161, v203
	v_add_f32_e32 v3, v3, v4
	v_mul_f32_e32 v4, v161, v204
	v_add_f32_e32 v26, v26, v27
	s_waitcnt vmcnt(32) lgkmcnt(1)
	v_mul_f32_e32 v27, v162, v206
	v_fma_f32 v4, v160, v203, -v4
	v_fmac_f32_e32 v27, v163, v205
	v_add_f32_e32 v3, v3, v4
	v_mul_f32_e32 v4, v163, v206
	v_add_f32_e32 v26, v26, v27
	s_waitcnt vmcnt(30)
	v_mul_f32_e32 v27, v164, v208
	v_fma_f32 v4, v162, v205, -v4
	v_fmac_f32_e32 v27, v165, v207
	ds_read_b128 v[170:173], v2 offset:848
	ds_read_b128 v[174:177], v2 offset:864
	v_add_f32_e32 v3, v3, v4
	v_mul_f32_e32 v4, v165, v208
	v_add_f32_e32 v26, v26, v27
	s_waitcnt vmcnt(28) lgkmcnt(2)
	v_mul_f32_e32 v27, v166, v210
	v_fma_f32 v4, v164, v207, -v4
	v_fmac_f32_e32 v27, v167, v209
	v_add_f32_e32 v3, v3, v4
	v_mul_f32_e32 v4, v167, v210
	v_add_f32_e32 v26, v26, v27
	s_waitcnt vmcnt(26)
	v_mul_f32_e32 v27, v168, v212
	v_fma_f32 v4, v166, v209, -v4
	v_fmac_f32_e32 v27, v169, v211
	v_add_f32_e32 v3, v3, v4
	v_mul_f32_e32 v4, v169, v212
	v_add_f32_e32 v26, v26, v27
	s_waitcnt vmcnt(24) lgkmcnt(1)
	v_mul_f32_e32 v27, v170, v214
	v_fma_f32 v4, v168, v211, -v4
	v_fmac_f32_e32 v27, v171, v213
	v_add_f32_e32 v3, v3, v4
	v_mul_f32_e32 v4, v171, v214
	v_add_f32_e32 v26, v26, v27
	s_waitcnt vmcnt(23)
	v_mul_f32_e32 v27, v172, v215
	v_fma_f32 v4, v170, v213, -v4
	s_waitcnt vmcnt(20)
	v_fmac_f32_e32 v27, v173, v218
	ds_read_b128 v[178:181], v2 offset:880
	ds_read_b128 v[182:185], v2 offset:896
	v_add_f32_e32 v3, v3, v4
	v_mul_f32_e32 v4, v173, v215
	v_add_f32_e32 v26, v26, v27
	s_waitcnt lgkmcnt(2)
	v_mul_f32_e32 v27, v174, v217
	v_fma_f32 v4, v172, v218, -v4
	v_fmac_f32_e32 v27, v175, v216
	v_add_f32_e32 v3, v3, v4
	v_mul_f32_e32 v4, v175, v217
	v_add_f32_e32 v26, v26, v27
	s_waitcnt vmcnt(18)
	v_mul_f32_e32 v27, v176, v220
	v_fma_f32 v4, v174, v216, -v4
	v_fmac_f32_e32 v27, v177, v219
	v_add_f32_e32 v3, v3, v4
	v_mul_f32_e32 v4, v177, v220
	v_add_f32_e32 v26, v26, v27
	s_waitcnt vmcnt(16) lgkmcnt(1)
	v_mul_f32_e32 v27, v178, v222
	v_fma_f32 v4, v176, v219, -v4
	v_fmac_f32_e32 v27, v179, v221
	v_add_f32_e32 v3, v3, v4
	v_mul_f32_e32 v4, v179, v222
	v_add_f32_e32 v26, v26, v27
	s_waitcnt vmcnt(15)
	v_mul_f32_e32 v27, v180, v223
	v_fma_f32 v4, v178, v221, -v4
	s_waitcnt vmcnt(12)
	v_fmac_f32_e32 v27, v181, v226
	ds_read_b128 v[186:189], v2 offset:912
	ds_read_b128 v[190:193], v2 offset:928
	v_add_f32_e32 v3, v3, v4
	v_mul_f32_e32 v4, v181, v223
	v_add_f32_e32 v26, v26, v27
	s_waitcnt lgkmcnt(2)
	v_mul_f32_e32 v27, v182, v225
	v_fma_f32 v4, v180, v226, -v4
	v_fmac_f32_e32 v27, v183, v224
	v_add_f32_e32 v3, v3, v4
	v_mul_f32_e32 v4, v183, v225
	v_add_f32_e32 v26, v26, v27
	s_waitcnt vmcnt(10)
	v_mul_f32_e32 v27, v184, v228
	v_fma_f32 v4, v182, v224, -v4
	v_fmac_f32_e32 v27, v185, v227
	v_add_f32_e32 v3, v3, v4
	v_mul_f32_e32 v4, v185, v228
	v_add_f32_e32 v26, v26, v27
	s_waitcnt vmcnt(8) lgkmcnt(1)
	v_mul_f32_e32 v27, v186, v230
	v_fma_f32 v4, v184, v227, -v4
	v_fmac_f32_e32 v27, v187, v229
	v_add_f32_e32 v3, v3, v4
	v_mul_f32_e32 v4, v187, v230
	v_add_f32_e32 v26, v26, v27
	s_waitcnt vmcnt(7)
	v_mul_f32_e32 v27, v188, v231
	v_fma_f32 v4, v186, v229, -v4
	s_waitcnt vmcnt(4)
	v_fmac_f32_e32 v27, v189, v234
	v_add_f32_e32 v3, v3, v4
	v_mul_f32_e32 v4, v189, v231
	v_add_f32_e32 v239, v26, v27
	ds_read_b64 v[26:27], v2 offset:944
	v_fma_f32 v4, v188, v234, -v4
	v_add_f32_e32 v3, v3, v4
	s_waitcnt lgkmcnt(1)
	v_mul_f32_e32 v4, v191, v233
	v_mul_f32_e32 v240, v190, v233
	v_fma_f32 v4, v190, v232, -v4
	v_fmac_f32_e32 v240, v191, v232
	v_add_f32_e32 v3, v3, v4
	s_waitcnt vmcnt(3)
	v_mul_f32_e32 v4, v193, v235
	v_add_f32_e32 v239, v239, v240
	v_mul_f32_e32 v240, v192, v235
	s_waitcnt vmcnt(0)
	v_fma_f32 v4, v192, v238, -v4
	v_fmac_f32_e32 v240, v193, v238
	v_add_f32_e32 v3, v3, v4
	s_waitcnt lgkmcnt(0)
	v_mul_f32_e32 v4, v27, v237
	v_add_f32_e32 v239, v239, v240
	v_mul_f32_e32 v240, v26, v237
	v_fma_f32 v4, v26, v236, -v4
	v_fmac_f32_e32 v240, v27, v236
	v_add_f32_e32 v3, v3, v4
	v_add_f32_e32 v239, v239, v240
	v_sub_f32_e32 v3, v57, v3
	v_sub_f32_e32 v4, v194, v239
	buffer_store_dword v3, off, s[0:3], 0 offset:168
	buffer_store_dword v4, off, s[0:3], 0 offset:172
	s_and_saveexec_b64 s[4:5], vcc
	s_cbranch_execz .LBB122_327
; %bb.326:
	buffer_load_dword v3, off, s[0:3], 0 offset:160
	buffer_load_dword v4, off, s[0:3], 0 offset:164
	s_waitcnt vmcnt(0)
	ds_write_b64 v1, v[3:4]
	buffer_store_dword v2, off, s[0:3], 0 offset:160
	buffer_store_dword v2, off, s[0:3], 0 offset:164
.LBB122_327:
	s_or_b64 exec, exec, s[4:5]
	s_waitcnt lgkmcnt(0)
	; wave barrier
	buffer_load_dword v23, off, s[0:3], 0 offset:172
	buffer_load_dword v26, off, s[0:3], 0 offset:180
	;; [unrolled: 1-line block ×32, first 2 shown]
	ds_read2_b64 v[3:6], v2 offset0:81 offset1:82
	ds_read2_b64 v[7:10], v2 offset0:83 offset1:84
	;; [unrolled: 1-line block ×6, first 2 shown]
	buffer_load_dword v57, off, s[0:3], 0 offset:288
	buffer_load_dword v198, off, s[0:3], 0 offset:292
	;; [unrolled: 1-line block ×32, first 2 shown]
	v_cmp_lt_u32_e32 vcc, 19, v0
	s_waitcnt vmcnt(62) lgkmcnt(5)
	v_mul_f32_e32 v146, v3, v23
	v_mul_f32_e32 v147, v5, v26
	s_waitcnt vmcnt(61) lgkmcnt(4)
	v_mul_f32_e32 v148, v7, v27
	s_waitcnt vmcnt(60)
	v_mul_f32_e32 v149, v9, v28
	s_waitcnt vmcnt(59) lgkmcnt(3)
	v_mul_f32_e32 v150, v11, v29
	s_waitcnt vmcnt(58)
	;; [unrolled: 4-line block ×4, first 2 shown]
	v_mul_f32_e32 v155, v21, v34
	s_waitcnt vmcnt(53)
	v_fmac_f32_e32 v148, v8, v35
	s_waitcnt vmcnt(52)
	v_fmac_f32_e32 v147, v6, v36
	;; [unrolled: 2-line block ×3, first 2 shown]
	v_add_f32_e32 v146, 0, v146
	v_add_f32_e32 v146, v146, v147
	;; [unrolled: 1-line block ×3, first 2 shown]
	s_waitcnt vmcnt(47)
	v_fmac_f32_e32 v149, v10, v41
	v_fmac_f32_e32 v150, v12, v40
	v_add_f32_e32 v146, v146, v149
	v_fmac_f32_e32 v151, v14, v39
	v_add_f32_e32 v146, v146, v150
	v_fmac_f32_e32 v152, v16, v38
	v_add_f32_e32 v146, v146, v151
	s_waitcnt vmcnt(43)
	v_fmac_f32_e32 v153, v18, v45
	v_add_f32_e32 v146, v146, v152
	v_fmac_f32_e32 v154, v20, v44
	v_add_f32_e32 v146, v146, v153
	;; [unrolled: 2-line block ×3, first 2 shown]
	s_waitcnt vmcnt(42) lgkmcnt(0)
	v_mul_f32_e32 v147, v142, v46
	v_add_f32_e32 v146, v146, v155
	v_fmac_f32_e32 v147, v143, v42
	v_add_f32_e32 v150, v146, v147
	ds_read2_b64 v[146:149], v2 offset0:93 offset1:94
	buffer_load_dword v229, off, s[0:3], 0 offset:416
	buffer_load_dword v230, off, s[0:3], 0 offset:420
	s_waitcnt vmcnt(43)
	v_mul_f32_e32 v151, v144, v47
	s_waitcnt vmcnt(37)
	v_fmac_f32_e32 v151, v145, v53
	v_add_f32_e32 v154, v150, v151
	ds_read2_b64 v[150:153], v2 offset0:95 offset1:96
	buffer_load_dword v231, off, s[0:3], 0 offset:424
	buffer_load_dword v232, off, s[0:3], 0 offset:428
	;; [unrolled: 1-line block ×12, first 2 shown]
	v_mul_f32_e32 v4, v4, v23
	v_fma_f32 v3, v3, v37, -v4
	v_mul_f32_e32 v4, v6, v26
	v_add_f32_e32 v3, 0, v3
	v_fma_f32 v4, v5, v36, -v4
	v_add_f32_e32 v3, v3, v4
	v_mul_f32_e32 v4, v8, v27
	v_fma_f32 v4, v7, v35, -v4
	v_add_f32_e32 v3, v3, v4
	v_mul_f32_e32 v4, v10, v28
	v_fma_f32 v4, v9, v41, -v4
	s_waitcnt vmcnt(48) lgkmcnt(1)
	v_mul_f32_e32 v155, v146, v54
	v_add_f32_e32 v3, v3, v4
	v_mul_f32_e32 v4, v12, v29
	v_fmac_f32_e32 v155, v147, v52
	v_fma_f32 v4, v11, v40, -v4
	v_add_f32_e32 v154, v154, v155
	v_mul_f32_e32 v155, v148, v49
	v_add_f32_e32 v3, v3, v4
	v_mul_f32_e32 v4, v14, v30
	v_fmac_f32_e32 v155, v149, v48
	v_fma_f32 v4, v13, v39, -v4
	v_add_f32_e32 v154, v154, v155
	s_waitcnt lgkmcnt(0)
	v_mul_f32_e32 v155, v150, v51
	v_add_f32_e32 v3, v3, v4
	v_mul_f32_e32 v4, v16, v31
	v_fmac_f32_e32 v155, v151, v50
	v_fma_f32 v4, v15, v38, -v4
	v_add_f32_e32 v158, v154, v155
	ds_read2_b64 v[154:157], v2 offset0:97 offset1:98
	v_add_f32_e32 v3, v3, v4
	v_mul_f32_e32 v4, v18, v32
	v_fma_f32 v4, v17, v45, -v4
	s_waitcnt vmcnt(44)
	v_mul_f32_e32 v159, v152, v198
	v_add_f32_e32 v3, v3, v4
	v_mul_f32_e32 v4, v20, v33
	v_fmac_f32_e32 v159, v153, v57
	v_fma_f32 v4, v19, v44, -v4
	v_add_f32_e32 v162, v158, v159
	ds_read2_b64 v[158:161], v2 offset0:99 offset1:100
	v_add_f32_e32 v3, v3, v4
	v_mul_f32_e32 v4, v22, v34
	s_waitcnt vmcnt(42) lgkmcnt(1)
	v_mul_f32_e32 v163, v154, v200
	v_fma_f32 v4, v21, v43, -v4
	v_fmac_f32_e32 v163, v155, v199
	v_add_f32_e32 v3, v3, v4
	v_mul_f32_e32 v4, v143, v46
	v_add_f32_e32 v162, v162, v163
	s_waitcnt vmcnt(40)
	v_mul_f32_e32 v163, v156, v202
	v_fma_f32 v4, v142, v42, -v4
	v_fmac_f32_e32 v163, v157, v201
	v_add_f32_e32 v3, v3, v4
	v_mul_f32_e32 v4, v145, v47
	v_add_f32_e32 v162, v162, v163
	s_waitcnt vmcnt(38) lgkmcnt(0)
	v_mul_f32_e32 v163, v158, v204
	v_fma_f32 v4, v144, v53, -v4
	v_fmac_f32_e32 v163, v159, v203
	v_add_f32_e32 v3, v3, v4
	v_mul_f32_e32 v4, v147, v54
	v_add_f32_e32 v166, v162, v163
	ds_read2_b64 v[162:165], v2 offset0:101 offset1:102
	v_fma_f32 v4, v146, v52, -v4
	v_add_f32_e32 v3, v3, v4
	v_mul_f32_e32 v4, v149, v49
	s_waitcnt vmcnt(36)
	v_mul_f32_e32 v167, v160, v206
	v_fma_f32 v4, v148, v48, -v4
	v_fmac_f32_e32 v167, v161, v205
	v_add_f32_e32 v3, v3, v4
	v_mul_f32_e32 v4, v151, v51
	v_add_f32_e32 v170, v166, v167
	ds_read2_b64 v[166:169], v2 offset0:103 offset1:104
	v_fma_f32 v4, v150, v50, -v4
	s_waitcnt vmcnt(34) lgkmcnt(1)
	v_mul_f32_e32 v171, v162, v208
	v_add_f32_e32 v3, v3, v4
	v_mul_f32_e32 v4, v153, v198
	v_fmac_f32_e32 v171, v163, v207
	v_fma_f32 v4, v152, v57, -v4
	v_add_f32_e32 v170, v170, v171
	s_waitcnt vmcnt(32)
	v_mul_f32_e32 v171, v164, v210
	v_add_f32_e32 v3, v3, v4
	v_mul_f32_e32 v4, v155, v200
	v_fmac_f32_e32 v171, v165, v209
	v_fma_f32 v4, v154, v199, -v4
	v_add_f32_e32 v170, v170, v171
	s_waitcnt vmcnt(30) lgkmcnt(0)
	v_mul_f32_e32 v171, v166, v212
	v_add_f32_e32 v3, v3, v4
	v_mul_f32_e32 v4, v157, v202
	v_fmac_f32_e32 v171, v167, v211
	v_fma_f32 v4, v156, v201, -v4
	v_add_f32_e32 v174, v170, v171
	ds_read2_b64 v[170:173], v2 offset0:105 offset1:106
	v_add_f32_e32 v3, v3, v4
	v_mul_f32_e32 v4, v159, v204
	v_fma_f32 v4, v158, v203, -v4
	s_waitcnt vmcnt(28)
	v_mul_f32_e32 v175, v168, v214
	v_add_f32_e32 v3, v3, v4
	v_mul_f32_e32 v4, v161, v206
	v_fmac_f32_e32 v175, v169, v213
	v_fma_f32 v4, v160, v205, -v4
	v_add_f32_e32 v178, v174, v175
	ds_read2_b64 v[174:177], v2 offset0:107 offset1:108
	v_add_f32_e32 v3, v3, v4
	v_mul_f32_e32 v4, v163, v208
	s_waitcnt vmcnt(26) lgkmcnt(1)
	v_mul_f32_e32 v179, v170, v216
	v_fma_f32 v4, v162, v207, -v4
	v_fmac_f32_e32 v179, v171, v215
	v_add_f32_e32 v3, v3, v4
	v_mul_f32_e32 v4, v165, v210
	v_add_f32_e32 v178, v178, v179
	s_waitcnt vmcnt(25)
	v_mul_f32_e32 v179, v172, v217
	v_fma_f32 v4, v164, v209, -v4
	s_waitcnt vmcnt(22)
	v_fmac_f32_e32 v179, v173, v220
	v_add_f32_e32 v3, v3, v4
	v_mul_f32_e32 v4, v167, v212
	v_add_f32_e32 v178, v178, v179
	s_waitcnt lgkmcnt(0)
	v_mul_f32_e32 v179, v174, v219
	v_fma_f32 v4, v166, v211, -v4
	v_fmac_f32_e32 v179, v175, v218
	v_add_f32_e32 v3, v3, v4
	v_mul_f32_e32 v4, v169, v214
	v_add_f32_e32 v182, v178, v179
	ds_read2_b64 v[178:181], v2 offset0:109 offset1:110
	v_fma_f32 v4, v168, v213, -v4
	v_add_f32_e32 v3, v3, v4
	v_mul_f32_e32 v4, v171, v216
	s_waitcnt vmcnt(20)
	v_mul_f32_e32 v183, v176, v222
	v_fma_f32 v4, v170, v215, -v4
	v_fmac_f32_e32 v183, v177, v221
	v_add_f32_e32 v3, v3, v4
	v_mul_f32_e32 v4, v173, v217
	v_add_f32_e32 v186, v182, v183
	ds_read2_b64 v[182:185], v2 offset0:111 offset1:112
	v_fma_f32 v4, v172, v220, -v4
	s_waitcnt vmcnt(18) lgkmcnt(1)
	v_mul_f32_e32 v187, v178, v224
	v_add_f32_e32 v3, v3, v4
	v_mul_f32_e32 v4, v175, v219
	v_fmac_f32_e32 v187, v179, v223
	v_fma_f32 v4, v174, v218, -v4
	v_add_f32_e32 v186, v186, v187
	s_waitcnt vmcnt(17)
	v_mul_f32_e32 v187, v180, v225
	v_add_f32_e32 v3, v3, v4
	v_mul_f32_e32 v4, v177, v222
	s_waitcnt vmcnt(14)
	v_fmac_f32_e32 v187, v181, v228
	v_fma_f32 v4, v176, v221, -v4
	v_add_f32_e32 v186, v186, v187
	s_waitcnt lgkmcnt(0)
	v_mul_f32_e32 v187, v182, v227
	v_add_f32_e32 v3, v3, v4
	v_mul_f32_e32 v4, v179, v224
	v_fmac_f32_e32 v187, v183, v226
	v_fma_f32 v4, v178, v223, -v4
	v_add_f32_e32 v190, v186, v187
	ds_read2_b64 v[186:189], v2 offset0:113 offset1:114
	v_add_f32_e32 v3, v3, v4
	v_mul_f32_e32 v4, v181, v225
	v_fma_f32 v4, v180, v228, -v4
	v_add_f32_e32 v3, v3, v4
	v_mul_f32_e32 v4, v183, v227
	s_waitcnt vmcnt(12)
	v_mul_f32_e32 v191, v184, v230
	v_fma_f32 v4, v182, v226, -v4
	v_fmac_f32_e32 v191, v185, v229
	v_add_f32_e32 v3, v3, v4
	v_mul_f32_e32 v4, v185, v230
	v_add_f32_e32 v194, v190, v191
	ds_read2_b64 v[190:193], v2 offset0:115 offset1:116
	s_waitcnt vmcnt(10) lgkmcnt(1)
	v_mul_f32_e32 v195, v186, v232
	v_fma_f32 v4, v184, v229, -v4
	v_fmac_f32_e32 v195, v187, v231
	v_add_f32_e32 v3, v3, v4
	v_mul_f32_e32 v4, v187, v232
	v_add_f32_e32 v194, v194, v195
	s_waitcnt vmcnt(9)
	v_mul_f32_e32 v195, v188, v233
	v_fma_f32 v4, v186, v231, -v4
	s_waitcnt vmcnt(6)
	v_fmac_f32_e32 v195, v189, v236
	v_add_f32_e32 v3, v3, v4
	v_mul_f32_e32 v4, v189, v233
	v_add_f32_e32 v243, v194, v195
	ds_read2_b64 v[194:197], v2 offset0:117 offset1:118
	v_fma_f32 v4, v188, v236, -v4
	v_add_f32_e32 v3, v3, v4
	s_waitcnt lgkmcnt(1)
	v_mul_f32_e32 v4, v191, v235
	v_mul_f32_e32 v244, v190, v235
	v_fma_f32 v4, v190, v234, -v4
	v_fmac_f32_e32 v244, v191, v234
	v_add_f32_e32 v3, v3, v4
	s_waitcnt vmcnt(4)
	v_mul_f32_e32 v4, v193, v238
	v_add_f32_e32 v2, v243, v244
	v_mul_f32_e32 v243, v192, v238
	v_fma_f32 v4, v192, v237, -v4
	v_fmac_f32_e32 v243, v193, v237
	v_add_f32_e32 v3, v3, v4
	s_waitcnt vmcnt(3) lgkmcnt(0)
	v_mul_f32_e32 v4, v195, v239
	v_add_f32_e32 v2, v2, v243
	v_mul_f32_e32 v243, v194, v239
	s_waitcnt vmcnt(0)
	v_fma_f32 v4, v194, v242, -v4
	v_fmac_f32_e32 v243, v195, v242
	v_add_f32_e32 v3, v3, v4
	v_mul_f32_e32 v4, v197, v241
	v_add_f32_e32 v2, v2, v243
	v_mul_f32_e32 v243, v196, v241
	v_fma_f32 v4, v196, v240, -v4
	v_fmac_f32_e32 v243, v197, v240
	v_add_f32_e32 v3, v3, v4
	v_add_f32_e32 v2, v2, v243
	v_sub_f32_e32 v3, v55, v3
	v_sub_f32_e32 v2, v56, v2
	buffer_store_dword v3, off, s[0:3], 0 offset:160
	buffer_store_dword v2, off, s[0:3], 0 offset:164
	s_and_saveexec_b64 s[4:5], vcc
	s_cbranch_execz .LBB122_329
; %bb.328:
	buffer_load_dword v2, off, s[0:3], 0 offset:152
	buffer_load_dword v3, off, s[0:3], 0 offset:156
	v_mov_b32_e32 v4, 0
	buffer_store_dword v4, off, s[0:3], 0 offset:152
	buffer_store_dword v4, off, s[0:3], 0 offset:156
	s_waitcnt vmcnt(2)
	ds_write_b64 v1, v[2:3]
.LBB122_329:
	s_or_b64 exec, exec, s[4:5]
	s_waitcnt lgkmcnt(0)
	; wave barrier
	buffer_load_dword v23, off, s[0:3], 0 offset:164
	buffer_load_dword v28, off, s[0:3], 0 offset:172
	;; [unrolled: 1-line block ×50, first 2 shown]
	v_mov_b32_e32 v2, 0
	ds_read_b128 v[3:6], v2 offset:640
	ds_read_b128 v[7:10], v2 offset:656
	;; [unrolled: 1-line block ×6, first 2 shown]
	buffer_load_dword v217, off, s[0:3], 0 offset:352
	buffer_load_dword v218, off, s[0:3], 0 offset:356
	;; [unrolled: 1-line block ×8, first 2 shown]
	v_cmp_lt_u32_e32 vcc, 18, v0
	s_waitcnt vmcnt(57) lgkmcnt(5)
	v_mul_f32_e32 v26, v3, v23
	s_waitcnt vmcnt(56)
	v_mul_f32_e32 v27, v5, v28
	s_waitcnt vmcnt(55) lgkmcnt(4)
	v_mul_f32_e32 v146, v7, v29
	s_waitcnt vmcnt(54)
	v_mul_f32_e32 v147, v9, v30
	;; [unrolled: 4-line block ×5, first 2 shown]
	s_waitcnt vmcnt(47) lgkmcnt(0)
	v_mul_f32_e32 v154, v142, v37
	s_waitcnt vmcnt(46)
	v_fmac_f32_e32 v146, v8, v38
	s_waitcnt vmcnt(45)
	v_fmac_f32_e32 v27, v6, v39
	;; [unrolled: 2-line block ×3, first 2 shown]
	v_add_f32_e32 v26, 0, v26
	v_add_f32_e32 v26, v26, v27
	;; [unrolled: 1-line block ×3, first 2 shown]
	s_waitcnt vmcnt(40)
	v_fmac_f32_e32 v147, v10, v44
	v_fmac_f32_e32 v148, v12, v43
	v_add_f32_e32 v26, v26, v147
	v_fmac_f32_e32 v149, v14, v42
	v_add_f32_e32 v26, v26, v148
	;; [unrolled: 2-line block ×3, first 2 shown]
	s_waitcnt vmcnt(36)
	v_fmac_f32_e32 v151, v18, v48
	v_add_f32_e32 v26, v26, v150
	ds_read_b128 v[146:149], v2 offset:736
	buffer_load_dword v225, off, s[0:3], 0 offset:384
	buffer_load_dword v226, off, s[0:3], 0 offset:388
	;; [unrolled: 1-line block ×6, first 2 shown]
	v_fmac_f32_e32 v152, v20, v47
	v_add_f32_e32 v26, v26, v151
	v_fmac_f32_e32 v153, v22, v46
	v_add_f32_e32 v26, v26, v152
	v_add_f32_e32 v26, v26, v153
	ds_read_b128 v[150:153], v2 offset:752
	buffer_load_dword v231, off, s[0:3], 0 offset:408
	buffer_load_dword v232, off, s[0:3], 0 offset:412
	;; [unrolled: 1-line block ×16, first 2 shown]
	v_mul_f32_e32 v4, v4, v23
	v_fma_f32 v3, v3, v40, -v4
	v_mul_f32_e32 v4, v6, v28
	v_add_f32_e32 v3, 0, v3
	v_fma_f32 v4, v5, v39, -v4
	v_add_f32_e32 v3, v3, v4
	v_mul_f32_e32 v4, v8, v29
	v_fma_f32 v4, v7, v38, -v4
	v_add_f32_e32 v3, v3, v4
	v_mul_f32_e32 v4, v10, v30
	;; [unrolled: 3-line block ×9, first 2 shown]
	v_fmac_f32_e32 v154, v143, v45
	s_waitcnt vmcnt(57)
	v_mul_f32_e32 v27, v144, v49
	v_fma_f32 v4, v142, v45, -v4
	v_add_f32_e32 v26, v26, v154
	s_waitcnt vmcnt(50)
	v_fmac_f32_e32 v27, v145, v56
	v_add_f32_e32 v3, v3, v4
	v_mul_f32_e32 v4, v145, v49
	v_add_f32_e32 v26, v26, v27
	s_waitcnt lgkmcnt(1)
	v_mul_f32_e32 v27, v146, v51
	v_fma_f32 v4, v144, v56, -v4
	v_fmac_f32_e32 v27, v147, v50
	v_add_f32_e32 v3, v3, v4
	v_mul_f32_e32 v4, v147, v51
	v_add_f32_e32 v26, v26, v27
	v_mul_f32_e32 v27, v148, v53
	v_fma_f32 v4, v146, v50, -v4
	v_fmac_f32_e32 v27, v149, v52
	ds_read_b128 v[154:157], v2 offset:768
	ds_read_b128 v[158:161], v2 offset:784
	v_add_f32_e32 v3, v3, v4
	v_mul_f32_e32 v4, v149, v53
	v_add_f32_e32 v26, v26, v27
	s_waitcnt lgkmcnt(2)
	v_mul_f32_e32 v27, v150, v55
	v_fma_f32 v4, v148, v52, -v4
	v_fmac_f32_e32 v27, v151, v54
	v_add_f32_e32 v3, v3, v4
	v_mul_f32_e32 v4, v151, v55
	v_add_f32_e32 v26, v26, v27
	s_waitcnt vmcnt(46)
	v_mul_f32_e32 v27, v152, v200
	v_fma_f32 v4, v150, v54, -v4
	v_fmac_f32_e32 v27, v153, v199
	v_add_f32_e32 v3, v3, v4
	v_mul_f32_e32 v4, v153, v200
	v_add_f32_e32 v26, v26, v27
	s_waitcnt vmcnt(44) lgkmcnt(1)
	v_mul_f32_e32 v27, v154, v202
	v_fma_f32 v4, v152, v199, -v4
	v_fmac_f32_e32 v27, v155, v201
	v_add_f32_e32 v3, v3, v4
	v_mul_f32_e32 v4, v155, v202
	v_add_f32_e32 v26, v26, v27
	s_waitcnt vmcnt(42)
	v_mul_f32_e32 v27, v156, v204
	v_fma_f32 v4, v154, v201, -v4
	v_fmac_f32_e32 v27, v157, v203
	ds_read_b128 v[162:165], v2 offset:800
	ds_read_b128 v[166:169], v2 offset:816
	v_add_f32_e32 v3, v3, v4
	v_mul_f32_e32 v4, v157, v204
	v_add_f32_e32 v26, v26, v27
	s_waitcnt vmcnt(40) lgkmcnt(2)
	v_mul_f32_e32 v27, v158, v206
	v_fma_f32 v4, v156, v203, -v4
	v_fmac_f32_e32 v27, v159, v205
	v_add_f32_e32 v3, v3, v4
	v_mul_f32_e32 v4, v159, v206
	v_add_f32_e32 v26, v26, v27
	s_waitcnt vmcnt(38)
	v_mul_f32_e32 v27, v160, v208
	v_fma_f32 v4, v158, v205, -v4
	v_fmac_f32_e32 v27, v161, v207
	v_add_f32_e32 v3, v3, v4
	v_mul_f32_e32 v4, v161, v208
	v_add_f32_e32 v26, v26, v27
	s_waitcnt vmcnt(36) lgkmcnt(1)
	v_mul_f32_e32 v27, v162, v210
	v_fma_f32 v4, v160, v207, -v4
	v_fmac_f32_e32 v27, v163, v209
	v_add_f32_e32 v3, v3, v4
	v_mul_f32_e32 v4, v163, v210
	v_add_f32_e32 v26, v26, v27
	s_waitcnt vmcnt(34)
	v_mul_f32_e32 v27, v164, v212
	v_fma_f32 v4, v162, v209, -v4
	v_fmac_f32_e32 v27, v165, v211
	ds_read_b128 v[170:173], v2 offset:832
	ds_read_b128 v[174:177], v2 offset:848
	v_add_f32_e32 v3, v3, v4
	v_mul_f32_e32 v4, v165, v212
	v_add_f32_e32 v26, v26, v27
	s_waitcnt vmcnt(32) lgkmcnt(2)
	v_mul_f32_e32 v27, v166, v214
	v_fma_f32 v4, v164, v211, -v4
	v_fmac_f32_e32 v27, v167, v213
	v_add_f32_e32 v3, v3, v4
	v_mul_f32_e32 v4, v167, v214
	v_add_f32_e32 v26, v26, v27
	s_waitcnt vmcnt(30)
	v_mul_f32_e32 v27, v168, v216
	v_fma_f32 v4, v166, v213, -v4
	v_fmac_f32_e32 v27, v169, v215
	v_add_f32_e32 v3, v3, v4
	v_mul_f32_e32 v4, v169, v216
	v_add_f32_e32 v26, v26, v27
	s_waitcnt vmcnt(28) lgkmcnt(1)
	v_mul_f32_e32 v27, v170, v218
	v_fma_f32 v4, v168, v215, -v4
	v_fmac_f32_e32 v27, v171, v217
	v_add_f32_e32 v3, v3, v4
	v_mul_f32_e32 v4, v171, v218
	v_add_f32_e32 v26, v26, v27
	s_waitcnt vmcnt(27)
	v_mul_f32_e32 v27, v172, v219
	v_fma_f32 v4, v170, v217, -v4
	s_waitcnt vmcnt(24)
	v_fmac_f32_e32 v27, v173, v222
	ds_read_b128 v[178:181], v2 offset:864
	ds_read_b128 v[182:185], v2 offset:880
	v_add_f32_e32 v3, v3, v4
	v_mul_f32_e32 v4, v173, v219
	v_add_f32_e32 v26, v26, v27
	s_waitcnt lgkmcnt(2)
	v_mul_f32_e32 v27, v174, v221
	v_fma_f32 v4, v172, v222, -v4
	v_fmac_f32_e32 v27, v175, v220
	v_add_f32_e32 v3, v3, v4
	v_mul_f32_e32 v4, v175, v221
	v_add_f32_e32 v26, v26, v27
	s_waitcnt vmcnt(22)
	v_mul_f32_e32 v27, v176, v224
	v_fma_f32 v4, v174, v220, -v4
	v_fmac_f32_e32 v27, v177, v223
	v_add_f32_e32 v3, v3, v4
	v_mul_f32_e32 v4, v177, v224
	v_add_f32_e32 v26, v26, v27
	s_waitcnt vmcnt(20) lgkmcnt(1)
	v_mul_f32_e32 v27, v178, v226
	v_fma_f32 v4, v176, v223, -v4
	v_fmac_f32_e32 v27, v179, v225
	v_add_f32_e32 v3, v3, v4
	v_mul_f32_e32 v4, v179, v226
	v_add_f32_e32 v26, v26, v27
	s_waitcnt vmcnt(19)
	v_mul_f32_e32 v27, v180, v227
	v_fma_f32 v4, v178, v225, -v4
	s_waitcnt vmcnt(16)
	v_fmac_f32_e32 v27, v181, v230
	ds_read_b128 v[186:189], v2 offset:896
	ds_read_b128 v[190:193], v2 offset:912
	v_add_f32_e32 v3, v3, v4
	v_mul_f32_e32 v4, v181, v227
	v_add_f32_e32 v26, v26, v27
	s_waitcnt lgkmcnt(2)
	v_mul_f32_e32 v27, v182, v229
	v_fma_f32 v4, v180, v230, -v4
	v_fmac_f32_e32 v27, v183, v228
	v_add_f32_e32 v3, v3, v4
	v_mul_f32_e32 v4, v183, v229
	v_add_f32_e32 v26, v26, v27
	s_waitcnt vmcnt(14)
	v_mul_f32_e32 v27, v184, v232
	v_fma_f32 v4, v182, v228, -v4
	v_fmac_f32_e32 v27, v185, v231
	v_add_f32_e32 v3, v3, v4
	v_mul_f32_e32 v4, v185, v232
	v_add_f32_e32 v26, v26, v27
	s_waitcnt vmcnt(12) lgkmcnt(1)
	v_mul_f32_e32 v27, v186, v234
	v_fma_f32 v4, v184, v231, -v4
	v_fmac_f32_e32 v27, v187, v233
	v_add_f32_e32 v3, v3, v4
	v_mul_f32_e32 v4, v187, v234
	v_add_f32_e32 v26, v26, v27
	s_waitcnt vmcnt(11)
	v_mul_f32_e32 v27, v188, v235
	v_fma_f32 v4, v186, v233, -v4
	s_waitcnt vmcnt(8)
	v_fmac_f32_e32 v27, v189, v238
	v_add_f32_e32 v3, v3, v4
	v_mul_f32_e32 v4, v189, v235
	v_add_f32_e32 v26, v26, v27
	s_waitcnt lgkmcnt(0)
	v_mul_f32_e32 v27, v190, v237
	ds_read_b128 v[194:197], v2 offset:928
	v_fma_f32 v4, v188, v238, -v4
	v_fmac_f32_e32 v27, v191, v236
	v_add_f32_e32 v3, v3, v4
	v_mul_f32_e32 v4, v191, v237
	v_add_f32_e32 v26, v26, v27
	s_waitcnt vmcnt(6)
	v_mul_f32_e32 v27, v192, v240
	v_fma_f32 v4, v190, v236, -v4
	v_fmac_f32_e32 v27, v193, v239
	v_add_f32_e32 v3, v3, v4
	v_mul_f32_e32 v4, v193, v240
	v_add_f32_e32 v247, v26, v27
	ds_read_b64 v[26:27], v2 offset:944
	v_fma_f32 v4, v192, v239, -v4
	v_add_f32_e32 v3, v3, v4
	s_waitcnt vmcnt(4) lgkmcnt(1)
	v_mul_f32_e32 v4, v195, v242
	v_mul_f32_e32 v248, v194, v242
	v_fma_f32 v4, v194, v241, -v4
	v_fmac_f32_e32 v248, v195, v241
	v_add_f32_e32 v3, v3, v4
	s_waitcnt vmcnt(3)
	v_mul_f32_e32 v4, v197, v243
	v_add_f32_e32 v247, v247, v248
	v_mul_f32_e32 v248, v196, v243
	s_waitcnt vmcnt(0)
	v_fma_f32 v4, v196, v246, -v4
	v_fmac_f32_e32 v248, v197, v246
	v_add_f32_e32 v3, v3, v4
	s_waitcnt lgkmcnt(0)
	v_mul_f32_e32 v4, v27, v245
	v_add_f32_e32 v247, v247, v248
	v_mul_f32_e32 v248, v26, v245
	v_fma_f32 v4, v26, v244, -v4
	v_fmac_f32_e32 v248, v27, v244
	v_add_f32_e32 v3, v3, v4
	v_add_f32_e32 v247, v247, v248
	v_sub_f32_e32 v3, v57, v3
	v_sub_f32_e32 v4, v198, v247
	buffer_store_dword v3, off, s[0:3], 0 offset:152
	buffer_store_dword v4, off, s[0:3], 0 offset:156
	s_and_saveexec_b64 s[4:5], vcc
	s_cbranch_execz .LBB122_331
; %bb.330:
	buffer_load_dword v3, off, s[0:3], 0 offset:144
	buffer_load_dword v4, off, s[0:3], 0 offset:148
	s_waitcnt vmcnt(0)
	ds_write_b64 v1, v[3:4]
	buffer_store_dword v2, off, s[0:3], 0 offset:144
	buffer_store_dword v2, off, s[0:3], 0 offset:148
.LBB122_331:
	s_or_b64 exec, exec, s[4:5]
	s_waitcnt lgkmcnt(0)
	; wave barrier
	buffer_load_dword v23, off, s[0:3], 0 offset:156
	buffer_load_dword v26, off, s[0:3], 0 offset:164
	;; [unrolled: 1-line block ×32, first 2 shown]
	ds_read2_b64 v[3:6], v2 offset0:79 offset1:80
	ds_read2_b64 v[7:10], v2 offset0:81 offset1:82
	;; [unrolled: 1-line block ×6, first 2 shown]
	buffer_load_dword v57, off, s[0:3], 0 offset:272
	buffer_load_dword v202, off, s[0:3], 0 offset:276
	;; [unrolled: 1-line block ×26, first 2 shown]
	v_cmp_lt_u32_e32 vcc, 17, v0
	s_waitcnt vmcnt(57) lgkmcnt(5)
	v_mul_f32_e32 v146, v3, v23
	s_waitcnt vmcnt(56)
	v_mul_f32_e32 v147, v5, v26
	s_waitcnt vmcnt(55) lgkmcnt(4)
	v_mul_f32_e32 v148, v7, v27
	s_waitcnt vmcnt(54)
	v_mul_f32_e32 v149, v9, v28
	;; [unrolled: 4-line block ×5, first 2 shown]
	s_waitcnt vmcnt(47) lgkmcnt(0)
	v_mul_f32_e32 v156, v142, v35
	s_waitcnt vmcnt(46)
	v_fmac_f32_e32 v148, v8, v36
	s_waitcnt vmcnt(45)
	v_fmac_f32_e32 v147, v6, v37
	s_waitcnt vmcnt(44)
	v_fmac_f32_e32 v146, v4, v38
	v_add_f32_e32 v146, 0, v146
	v_add_f32_e32 v146, v146, v147
	;; [unrolled: 1-line block ×3, first 2 shown]
	s_waitcnt vmcnt(40)
	v_fmac_f32_e32 v149, v10, v42
	v_fmac_f32_e32 v150, v12, v41
	v_add_f32_e32 v146, v146, v149
	v_fmac_f32_e32 v151, v14, v40
	v_add_f32_e32 v146, v146, v150
	;; [unrolled: 2-line block ×3, first 2 shown]
	s_waitcnt vmcnt(36)
	v_fmac_f32_e32 v153, v18, v46
	v_add_f32_e32 v146, v146, v152
	v_fmac_f32_e32 v154, v20, v45
	v_add_f32_e32 v146, v146, v153
	;; [unrolled: 2-line block ×4, first 2 shown]
	v_add_f32_e32 v150, v146, v156
	ds_read2_b64 v[146:149], v2 offset0:91 offset1:92
	buffer_load_dword v227, off, s[0:3], 0 offset:376
	buffer_load_dword v228, off, s[0:3], 0 offset:380
	;; [unrolled: 1-line block ×6, first 2 shown]
	s_waitcnt vmcnt(41)
	v_mul_f32_e32 v151, v144, v47
	s_waitcnt vmcnt(35)
	v_fmac_f32_e32 v151, v145, v53
	v_add_f32_e32 v154, v150, v151
	ds_read2_b64 v[150:153], v2 offset0:93 offset1:94
	buffer_load_dword v233, off, s[0:3], 0 offset:400
	buffer_load_dword v234, off, s[0:3], 0 offset:404
	;; [unrolled: 1-line block ×10, first 2 shown]
	s_waitcnt vmcnt(44) lgkmcnt(1)
	v_mul_f32_e32 v155, v146, v54
	v_fmac_f32_e32 v155, v147, v52
	v_add_f32_e32 v154, v154, v155
	v_mul_f32_e32 v155, v148, v49
	v_fmac_f32_e32 v155, v149, v48
	v_add_f32_e32 v154, v154, v155
	s_waitcnt lgkmcnt(0)
	v_mul_f32_e32 v155, v150, v51
	buffer_load_dword v243, off, s[0:3], 0 offset:440
	buffer_load_dword v244, off, s[0:3], 0 offset:444
	;; [unrolled: 1-line block ×6, first 2 shown]
	v_fmac_f32_e32 v155, v151, v50
	s_waitcnt vmcnt(46)
	v_mul_f32_e32 v159, v152, v202
	v_add_f32_e32 v158, v154, v155
	v_fmac_f32_e32 v159, v153, v57
	ds_read2_b64 v[154:157], v2 offset0:95 offset1:96
	v_add_f32_e32 v162, v158, v159
	ds_read2_b64 v[158:161], v2 offset0:97 offset1:98
	buffer_load_dword v249, off, s[0:3], 0 offset:464
	buffer_load_dword v250, off, s[0:3], 0 offset:468
	v_mul_f32_e32 v4, v4, v23
	v_fma_f32 v3, v3, v38, -v4
	v_mul_f32_e32 v4, v6, v26
	v_add_f32_e32 v3, 0, v3
	v_fma_f32 v4, v5, v37, -v4
	v_add_f32_e32 v3, v3, v4
	v_mul_f32_e32 v4, v8, v27
	v_fma_f32 v4, v7, v36, -v4
	v_add_f32_e32 v3, v3, v4
	v_mul_f32_e32 v4, v10, v28
	v_fma_f32 v4, v9, v42, -v4
	v_add_f32_e32 v3, v3, v4
	v_mul_f32_e32 v4, v12, v29
	v_fma_f32 v4, v11, v41, -v4
	v_add_f32_e32 v3, v3, v4
	v_mul_f32_e32 v4, v14, v30
	v_fma_f32 v4, v13, v40, -v4
	v_add_f32_e32 v3, v3, v4
	v_mul_f32_e32 v4, v16, v31
	v_fma_f32 v4, v15, v39, -v4
	v_add_f32_e32 v3, v3, v4
	v_mul_f32_e32 v4, v18, v32
	v_fma_f32 v4, v17, v46, -v4
	v_add_f32_e32 v3, v3, v4
	v_mul_f32_e32 v4, v20, v33
	s_waitcnt vmcnt(46) lgkmcnt(1)
	v_mul_f32_e32 v163, v154, v204
	v_fma_f32 v4, v19, v45, -v4
	v_fmac_f32_e32 v163, v155, v203
	v_add_f32_e32 v3, v3, v4
	v_mul_f32_e32 v4, v22, v34
	v_add_f32_e32 v162, v162, v163
	s_waitcnt vmcnt(44)
	v_mul_f32_e32 v163, v156, v206
	v_fma_f32 v4, v21, v44, -v4
	v_fmac_f32_e32 v163, v157, v205
	v_add_f32_e32 v3, v3, v4
	v_mul_f32_e32 v4, v143, v35
	v_add_f32_e32 v162, v162, v163
	s_waitcnt vmcnt(42) lgkmcnt(0)
	v_mul_f32_e32 v163, v158, v208
	v_fma_f32 v4, v142, v43, -v4
	v_fmac_f32_e32 v163, v159, v207
	v_add_f32_e32 v3, v3, v4
	v_mul_f32_e32 v4, v145, v47
	v_add_f32_e32 v166, v162, v163
	ds_read2_b64 v[162:165], v2 offset0:99 offset1:100
	v_fma_f32 v4, v144, v53, -v4
	v_add_f32_e32 v3, v3, v4
	v_mul_f32_e32 v4, v147, v54
	s_waitcnt vmcnt(40)
	v_mul_f32_e32 v167, v160, v210
	v_fma_f32 v4, v146, v52, -v4
	v_fmac_f32_e32 v167, v161, v209
	v_add_f32_e32 v3, v3, v4
	v_mul_f32_e32 v4, v149, v49
	v_add_f32_e32 v170, v166, v167
	ds_read2_b64 v[166:169], v2 offset0:101 offset1:102
	v_fma_f32 v4, v148, v48, -v4
	s_waitcnt vmcnt(38) lgkmcnt(1)
	v_mul_f32_e32 v171, v162, v212
	v_add_f32_e32 v3, v3, v4
	v_mul_f32_e32 v4, v151, v51
	v_fmac_f32_e32 v171, v163, v211
	v_fma_f32 v4, v150, v50, -v4
	v_add_f32_e32 v170, v170, v171
	s_waitcnt vmcnt(36)
	v_mul_f32_e32 v171, v164, v214
	v_add_f32_e32 v3, v3, v4
	v_mul_f32_e32 v4, v153, v202
	v_fmac_f32_e32 v171, v165, v213
	v_fma_f32 v4, v152, v57, -v4
	v_add_f32_e32 v170, v170, v171
	s_waitcnt vmcnt(34) lgkmcnt(0)
	v_mul_f32_e32 v171, v166, v216
	v_add_f32_e32 v3, v3, v4
	v_mul_f32_e32 v4, v155, v204
	v_fmac_f32_e32 v171, v167, v215
	v_fma_f32 v4, v154, v203, -v4
	v_add_f32_e32 v174, v170, v171
	ds_read2_b64 v[170:173], v2 offset0:103 offset1:104
	v_add_f32_e32 v3, v3, v4
	v_mul_f32_e32 v4, v157, v206
	v_fma_f32 v4, v156, v205, -v4
	s_waitcnt vmcnt(32)
	v_mul_f32_e32 v175, v168, v218
	v_add_f32_e32 v3, v3, v4
	v_mul_f32_e32 v4, v159, v208
	v_fmac_f32_e32 v175, v169, v217
	v_fma_f32 v4, v158, v207, -v4
	v_add_f32_e32 v178, v174, v175
	ds_read2_b64 v[174:177], v2 offset0:105 offset1:106
	v_add_f32_e32 v3, v3, v4
	v_mul_f32_e32 v4, v161, v210
	s_waitcnt vmcnt(30) lgkmcnt(1)
	v_mul_f32_e32 v179, v170, v220
	v_fma_f32 v4, v160, v209, -v4
	v_fmac_f32_e32 v179, v171, v219
	v_add_f32_e32 v3, v3, v4
	v_mul_f32_e32 v4, v163, v212
	v_add_f32_e32 v178, v178, v179
	s_waitcnt vmcnt(29)
	v_mul_f32_e32 v179, v172, v221
	v_fma_f32 v4, v162, v211, -v4
	s_waitcnt vmcnt(26)
	v_fmac_f32_e32 v179, v173, v224
	v_add_f32_e32 v3, v3, v4
	v_mul_f32_e32 v4, v165, v214
	v_add_f32_e32 v178, v178, v179
	s_waitcnt lgkmcnt(0)
	v_mul_f32_e32 v179, v174, v223
	v_fma_f32 v4, v164, v213, -v4
	v_fmac_f32_e32 v179, v175, v222
	v_add_f32_e32 v3, v3, v4
	v_mul_f32_e32 v4, v167, v216
	v_add_f32_e32 v182, v178, v179
	ds_read2_b64 v[178:181], v2 offset0:107 offset1:108
	v_fma_f32 v4, v166, v215, -v4
	v_add_f32_e32 v3, v3, v4
	v_mul_f32_e32 v4, v169, v218
	s_waitcnt vmcnt(24)
	v_mul_f32_e32 v183, v176, v226
	v_fma_f32 v4, v168, v217, -v4
	v_fmac_f32_e32 v183, v177, v225
	v_add_f32_e32 v3, v3, v4
	v_mul_f32_e32 v4, v171, v220
	v_add_f32_e32 v186, v182, v183
	ds_read2_b64 v[182:185], v2 offset0:109 offset1:110
	v_fma_f32 v4, v170, v219, -v4
	s_waitcnt vmcnt(22) lgkmcnt(1)
	v_mul_f32_e32 v187, v178, v228
	v_add_f32_e32 v3, v3, v4
	v_mul_f32_e32 v4, v173, v221
	v_fmac_f32_e32 v187, v179, v227
	v_fma_f32 v4, v172, v224, -v4
	v_add_f32_e32 v186, v186, v187
	s_waitcnt vmcnt(21)
	v_mul_f32_e32 v187, v180, v229
	v_add_f32_e32 v3, v3, v4
	v_mul_f32_e32 v4, v175, v223
	s_waitcnt vmcnt(18)
	v_fmac_f32_e32 v187, v181, v232
	v_fma_f32 v4, v174, v222, -v4
	v_add_f32_e32 v186, v186, v187
	s_waitcnt lgkmcnt(0)
	v_mul_f32_e32 v187, v182, v231
	v_add_f32_e32 v3, v3, v4
	v_mul_f32_e32 v4, v177, v226
	v_fmac_f32_e32 v187, v183, v230
	v_fma_f32 v4, v176, v225, -v4
	v_add_f32_e32 v190, v186, v187
	ds_read2_b64 v[186:189], v2 offset0:111 offset1:112
	v_add_f32_e32 v3, v3, v4
	v_mul_f32_e32 v4, v179, v228
	v_fma_f32 v4, v178, v227, -v4
	s_waitcnt vmcnt(16)
	v_mul_f32_e32 v191, v184, v234
	v_add_f32_e32 v3, v3, v4
	v_mul_f32_e32 v4, v181, v229
	v_fmac_f32_e32 v191, v185, v233
	v_fma_f32 v4, v180, v232, -v4
	v_add_f32_e32 v194, v190, v191
	ds_read2_b64 v[190:193], v2 offset0:113 offset1:114
	v_add_f32_e32 v3, v3, v4
	v_mul_f32_e32 v4, v183, v231
	s_waitcnt vmcnt(14) lgkmcnt(1)
	v_mul_f32_e32 v195, v186, v236
	v_fma_f32 v4, v182, v230, -v4
	v_fmac_f32_e32 v195, v187, v235
	v_add_f32_e32 v3, v3, v4
	v_mul_f32_e32 v4, v185, v234
	v_add_f32_e32 v194, v194, v195
	s_waitcnt vmcnt(13)
	v_mul_f32_e32 v195, v188, v237
	v_fma_f32 v4, v184, v233, -v4
	s_waitcnt vmcnt(10)
	v_fmac_f32_e32 v195, v189, v240
	v_add_f32_e32 v3, v3, v4
	v_mul_f32_e32 v4, v187, v236
	v_add_f32_e32 v194, v194, v195
	s_waitcnt lgkmcnt(0)
	v_mul_f32_e32 v195, v190, v239
	v_fma_f32 v4, v186, v235, -v4
	v_fmac_f32_e32 v195, v191, v238
	v_add_f32_e32 v3, v3, v4
	v_mul_f32_e32 v4, v189, v237
	v_add_f32_e32 v198, v194, v195
	ds_read2_b64 v[194:197], v2 offset0:115 offset1:116
	v_fma_f32 v4, v188, v240, -v4
	v_add_f32_e32 v3, v3, v4
	v_mul_f32_e32 v4, v191, v239
	s_waitcnt vmcnt(8)
	v_mul_f32_e32 v199, v192, v242
	v_fma_f32 v4, v190, v238, -v4
	v_fmac_f32_e32 v199, v193, v241
	v_add_f32_e32 v3, v3, v4
	v_mul_f32_e32 v4, v193, v242
	v_add_f32_e32 v251, v198, v199
	ds_read2_b64 v[198:201], v2 offset0:117 offset1:118
	v_fma_f32 v4, v192, v241, -v4
	v_add_f32_e32 v3, v3, v4
	s_waitcnt vmcnt(6) lgkmcnt(1)
	v_mul_f32_e32 v4, v195, v244
	v_mul_f32_e32 v2, v194, v244
	v_fma_f32 v4, v194, v243, -v4
	v_fmac_f32_e32 v2, v195, v243
	v_add_f32_e32 v3, v3, v4
	s_waitcnt vmcnt(5)
	v_mul_f32_e32 v4, v197, v245
	v_add_f32_e32 v2, v251, v2
	v_mul_f32_e32 v251, v196, v245
	s_waitcnt vmcnt(2)
	v_fma_f32 v4, v196, v248, -v4
	v_fmac_f32_e32 v251, v197, v248
	v_add_f32_e32 v3, v3, v4
	s_waitcnt lgkmcnt(0)
	v_mul_f32_e32 v4, v199, v247
	v_add_f32_e32 v2, v2, v251
	v_mul_f32_e32 v251, v198, v247
	v_fma_f32 v4, v198, v246, -v4
	v_fmac_f32_e32 v251, v199, v246
	v_add_f32_e32 v3, v3, v4
	s_waitcnt vmcnt(0)
	v_mul_f32_e32 v4, v201, v250
	v_add_f32_e32 v2, v2, v251
	v_mul_f32_e32 v251, v200, v250
	v_fma_f32 v4, v200, v249, -v4
	v_fmac_f32_e32 v251, v201, v249
	v_add_f32_e32 v3, v3, v4
	v_add_f32_e32 v2, v2, v251
	v_sub_f32_e32 v3, v55, v3
	v_sub_f32_e32 v2, v56, v2
	buffer_store_dword v3, off, s[0:3], 0 offset:144
	buffer_store_dword v2, off, s[0:3], 0 offset:148
	s_and_saveexec_b64 s[4:5], vcc
	s_cbranch_execz .LBB122_333
; %bb.332:
	buffer_load_dword v2, off, s[0:3], 0 offset:136
	buffer_load_dword v3, off, s[0:3], 0 offset:140
	v_mov_b32_e32 v4, 0
	buffer_store_dword v4, off, s[0:3], 0 offset:136
	buffer_store_dword v4, off, s[0:3], 0 offset:140
	s_waitcnt vmcnt(2)
	ds_write_b64 v1, v[2:3]
.LBB122_333:
	s_or_b64 exec, exec, s[4:5]
	s_waitcnt lgkmcnt(0)
	; wave barrier
	buffer_load_dword v11, off, s[0:3], 0 offset:148
	buffer_load_dword v10, off, s[0:3], 0 offset:156
	;; [unrolled: 1-line block ×32, first 2 shown]
	v_mov_b32_e32 v2, 0
	buffer_load_dword v51, off, s[0:3], 0 offset:264
	buffer_load_dword v52, off, s[0:3], 0 offset:268
	;; [unrolled: 1-line block ×18, first 2 shown]
	ds_read_b128 v[12:15], v2 offset:624
	ds_read_b128 v[16:19], v2 offset:640
	;; [unrolled: 1-line block ×6, first 2 shown]
	buffer_load_dword v221, off, s[0:3], 0 offset:336
	buffer_load_dword v222, off, s[0:3], 0 offset:340
	;; [unrolled: 1-line block ×6, first 2 shown]
	v_cmp_lt_u32_e32 vcc, 16, v0
	s_waitcnt vmcnt(55) lgkmcnt(5)
	v_mul_f32_e32 v26, v12, v11
	s_waitcnt vmcnt(54)
	v_mul_f32_e32 v27, v14, v10
	s_waitcnt vmcnt(53) lgkmcnt(4)
	v_mul_f32_e32 v154, v16, v9
	s_waitcnt vmcnt(52)
	v_mul_f32_e32 v155, v18, v8
	s_waitcnt vmcnt(51) lgkmcnt(3)
	v_mul_f32_e32 v156, v20, v7
	s_waitcnt vmcnt(50)
	v_mul_f32_e32 v157, v22, v6
	s_waitcnt vmcnt(49) lgkmcnt(2)
	v_mul_f32_e32 v158, v142, v5
	s_waitcnt vmcnt(48)
	v_mul_f32_e32 v159, v144, v28
	s_waitcnt vmcnt(47) lgkmcnt(1)
	v_mul_f32_e32 v160, v146, v29
	s_waitcnt vmcnt(46)
	v_mul_f32_e32 v161, v148, v30
	s_waitcnt vmcnt(45) lgkmcnt(0)
	v_mul_f32_e32 v162, v150, v31
	s_waitcnt vmcnt(44)
	v_fmac_f32_e32 v154, v17, v32
	s_waitcnt vmcnt(43)
	v_fmac_f32_e32 v27, v15, v33
	;; [unrolled: 2-line block ×3, first 2 shown]
	v_add_f32_e32 v26, 0, v26
	v_add_f32_e32 v26, v26, v27
	;; [unrolled: 1-line block ×3, first 2 shown]
	s_waitcnt vmcnt(38)
	v_fmac_f32_e32 v155, v19, v38
	v_fmac_f32_e32 v156, v21, v37
	v_add_f32_e32 v26, v26, v155
	v_fmac_f32_e32 v157, v23, v36
	v_add_f32_e32 v26, v26, v156
	v_add_f32_e32 v26, v26, v157
	ds_read_b128 v[154:157], v2 offset:720
	buffer_load_dword v227, off, s[0:3], 0 offset:360
	buffer_load_dword v228, off, s[0:3], 0 offset:364
	v_fmac_f32_e32 v158, v143, v35
	s_waitcnt vmcnt(36)
	v_fmac_f32_e32 v159, v145, v42
	v_add_f32_e32 v26, v26, v158
	v_fmac_f32_e32 v160, v147, v41
	v_add_f32_e32 v26, v26, v159
	;; [unrolled: 2-line block ×3, first 2 shown]
	v_add_f32_e32 v26, v26, v161
	ds_read_b128 v[158:161], v2 offset:736
	buffer_load_dword v229, off, s[0:3], 0 offset:368
	buffer_load_dword v230, off, s[0:3], 0 offset:372
	;; [unrolled: 1-line block ×16, first 2 shown]
	v_fmac_f32_e32 v162, v151, v39
	v_add_f32_e32 v26, v26, v162
	ds_read_b128 v[162:165], v2 offset:752
	buffer_load_dword v245, off, s[0:3], 0 offset:432
	buffer_load_dword v246, off, s[0:3], 0 offset:436
	;; [unrolled: 1-line block ×6, first 2 shown]
	ds_read_b128 v[166:169], v2 offset:768
	buffer_load_dword v251, off, s[0:3], 0 offset:460
	buffer_load_dword v252, off, s[0:3], 0 offset:464
	;; [unrolled: 1-line block ×4, first 2 shown]
	v_mul_f32_e32 v11, v13, v11
	v_fma_f32 v11, v12, v34, -v11
	v_mul_f32_e32 v10, v15, v10
	v_add_f32_e32 v11, 0, v11
	v_fma_f32 v10, v14, v33, -v10
	v_mul_f32_e32 v9, v17, v9
	v_add_f32_e32 v10, v11, v10
	;; [unrolled: 3-line block ×6, first 2 shown]
	v_fma_f32 v5, v142, v35, -v5
	v_add_f32_e32 v5, v6, v5
	v_mul_f32_e32 v6, v145, v28
	v_fma_f32 v6, v144, v42, -v6
	v_add_f32_e32 v5, v5, v6
	v_mul_f32_e32 v6, v147, v29
	;; [unrolled: 3-line block ×4, first 2 shown]
	s_waitcnt vmcnt(61)
	v_mul_f32_e32 v27, v152, v43
	v_fma_f32 v6, v150, v39, -v6
	s_waitcnt vmcnt(55)
	v_fmac_f32_e32 v27, v153, v49
	v_add_f32_e32 v5, v5, v6
	v_mul_f32_e32 v6, v153, v43
	v_add_f32_e32 v26, v26, v27
	s_waitcnt vmcnt(54) lgkmcnt(3)
	v_mul_f32_e32 v27, v154, v50
	v_fma_f32 v6, v152, v49, -v6
	v_fmac_f32_e32 v27, v155, v48
	v_add_f32_e32 v5, v5, v6
	v_mul_f32_e32 v6, v155, v50
	v_add_f32_e32 v26, v26, v27
	v_mul_f32_e32 v27, v156, v45
	v_fma_f32 v6, v154, v48, -v6
	v_fmac_f32_e32 v27, v157, v44
	v_add_f32_e32 v5, v5, v6
	v_mul_f32_e32 v6, v157, v45
	v_add_f32_e32 v26, v26, v27
	s_waitcnt lgkmcnt(2)
	v_mul_f32_e32 v27, v158, v47
	v_fma_f32 v6, v156, v44, -v6
	v_fmac_f32_e32 v27, v159, v46
	v_add_f32_e32 v5, v5, v6
	v_mul_f32_e32 v6, v159, v47
	v_add_f32_e32 v26, v26, v27
	s_waitcnt vmcnt(50)
	v_mul_f32_e32 v27, v160, v52
	v_fma_f32 v6, v158, v46, -v6
	v_fmac_f32_e32 v27, v161, v51
	v_add_f32_e32 v5, v5, v6
	v_mul_f32_e32 v6, v161, v52
	v_add_f32_e32 v26, v26, v27
	s_waitcnt vmcnt(48) lgkmcnt(1)
	v_mul_f32_e32 v27, v162, v54
	v_fma_f32 v6, v160, v51, -v6
	v_fmac_f32_e32 v27, v163, v53
	v_add_f32_e32 v5, v5, v6
	v_mul_f32_e32 v6, v163, v54
	v_add_f32_e32 v26, v26, v27
	s_waitcnt vmcnt(46)
	v_mul_f32_e32 v27, v164, v56
	v_fma_f32 v6, v162, v53, -v6
	v_fmac_f32_e32 v27, v165, v55
	ds_read_b128 v[170:173], v2 offset:784
	ds_read_b128 v[174:177], v2 offset:800
	v_add_f32_e32 v5, v5, v6
	v_mul_f32_e32 v6, v165, v56
	v_add_f32_e32 v26, v26, v27
	s_waitcnt vmcnt(44) lgkmcnt(2)
	v_mul_f32_e32 v27, v166, v210
	v_fma_f32 v6, v164, v55, -v6
	v_fmac_f32_e32 v27, v167, v57
	v_add_f32_e32 v5, v5, v6
	v_mul_f32_e32 v6, v167, v210
	v_add_f32_e32 v26, v26, v27
	s_waitcnt vmcnt(42)
	v_mul_f32_e32 v27, v168, v212
	v_fma_f32 v6, v166, v57, -v6
	v_fmac_f32_e32 v27, v169, v211
	v_add_f32_e32 v5, v5, v6
	v_mul_f32_e32 v6, v169, v212
	v_add_f32_e32 v26, v26, v27
	s_waitcnt vmcnt(40) lgkmcnt(1)
	v_mul_f32_e32 v27, v170, v214
	v_fma_f32 v6, v168, v211, -v6
	v_fmac_f32_e32 v27, v171, v213
	v_add_f32_e32 v5, v5, v6
	v_mul_f32_e32 v6, v171, v214
	v_add_f32_e32 v26, v26, v27
	s_waitcnt vmcnt(38)
	v_mul_f32_e32 v27, v172, v216
	v_fma_f32 v6, v170, v213, -v6
	v_fmac_f32_e32 v27, v173, v215
	ds_read_b128 v[178:181], v2 offset:816
	ds_read_b128 v[182:185], v2 offset:832
	v_add_f32_e32 v5, v5, v6
	v_mul_f32_e32 v6, v173, v216
	v_add_f32_e32 v26, v26, v27
	s_waitcnt vmcnt(36) lgkmcnt(2)
	v_mul_f32_e32 v27, v174, v218
	v_fma_f32 v6, v172, v215, -v6
	v_fmac_f32_e32 v27, v175, v217
	v_add_f32_e32 v5, v5, v6
	v_mul_f32_e32 v6, v175, v218
	v_add_f32_e32 v26, v26, v27
	s_waitcnt vmcnt(34)
	v_mul_f32_e32 v27, v176, v220
	v_fma_f32 v6, v174, v217, -v6
	v_fmac_f32_e32 v27, v177, v219
	v_add_f32_e32 v5, v5, v6
	v_mul_f32_e32 v6, v177, v220
	v_add_f32_e32 v26, v26, v27
	s_waitcnt vmcnt(32) lgkmcnt(1)
	v_mul_f32_e32 v27, v178, v222
	v_fma_f32 v6, v176, v219, -v6
	v_fmac_f32_e32 v27, v179, v221
	v_add_f32_e32 v5, v5, v6
	v_mul_f32_e32 v6, v179, v222
	v_add_f32_e32 v26, v26, v27
	s_waitcnt vmcnt(31)
	v_mul_f32_e32 v27, v180, v223
	v_fma_f32 v6, v178, v221, -v6
	s_waitcnt vmcnt(28)
	v_fmac_f32_e32 v27, v181, v226
	ds_read_b128 v[186:189], v2 offset:848
	ds_read_b128 v[190:193], v2 offset:864
	v_add_f32_e32 v5, v5, v6
	v_mul_f32_e32 v6, v181, v223
	v_add_f32_e32 v26, v26, v27
	s_waitcnt lgkmcnt(2)
	v_mul_f32_e32 v27, v182, v225
	v_fma_f32 v6, v180, v226, -v6
	v_fmac_f32_e32 v27, v183, v224
	v_add_f32_e32 v5, v5, v6
	v_mul_f32_e32 v6, v183, v225
	v_add_f32_e32 v26, v26, v27
	s_waitcnt vmcnt(26)
	v_mul_f32_e32 v27, v184, v228
	v_fma_f32 v6, v182, v224, -v6
	v_fmac_f32_e32 v27, v185, v227
	v_add_f32_e32 v5, v5, v6
	v_mul_f32_e32 v6, v185, v228
	v_add_f32_e32 v26, v26, v27
	s_waitcnt vmcnt(24) lgkmcnt(1)
	v_mul_f32_e32 v27, v186, v230
	v_fma_f32 v6, v184, v227, -v6
	v_fmac_f32_e32 v27, v187, v229
	v_add_f32_e32 v5, v5, v6
	v_mul_f32_e32 v6, v187, v230
	v_add_f32_e32 v26, v26, v27
	s_waitcnt vmcnt(23)
	v_mul_f32_e32 v27, v188, v231
	v_fma_f32 v6, v186, v229, -v6
	s_waitcnt vmcnt(20)
	v_fmac_f32_e32 v27, v189, v234
	ds_read_b128 v[194:197], v2 offset:880
	ds_read_b128 v[198:201], v2 offset:896
	v_add_f32_e32 v5, v5, v6
	v_mul_f32_e32 v6, v189, v231
	v_add_f32_e32 v26, v26, v27
	s_waitcnt lgkmcnt(2)
	v_mul_f32_e32 v27, v190, v233
	v_fma_f32 v6, v188, v234, -v6
	v_fmac_f32_e32 v27, v191, v232
	v_add_f32_e32 v5, v5, v6
	v_mul_f32_e32 v6, v191, v233
	v_add_f32_e32 v26, v26, v27
	s_waitcnt vmcnt(18)
	v_mul_f32_e32 v27, v192, v236
	v_fma_f32 v6, v190, v232, -v6
	v_fmac_f32_e32 v27, v193, v235
	v_add_f32_e32 v5, v5, v6
	v_mul_f32_e32 v6, v193, v236
	v_add_f32_e32 v26, v26, v27
	s_waitcnt vmcnt(16) lgkmcnt(1)
	v_mul_f32_e32 v27, v194, v238
	v_fma_f32 v6, v192, v235, -v6
	v_fmac_f32_e32 v27, v195, v237
	v_add_f32_e32 v5, v5, v6
	v_mul_f32_e32 v6, v195, v238
	v_add_f32_e32 v26, v26, v27
	s_waitcnt vmcnt(15)
	v_mul_f32_e32 v27, v196, v239
	v_fma_f32 v6, v194, v237, -v6
	s_waitcnt vmcnt(12)
	v_fmac_f32_e32 v27, v197, v242
	ds_read_b128 v[202:205], v2 offset:912
	ds_read_b128 v[206:209], v2 offset:928
	v_add_f32_e32 v5, v5, v6
	v_mul_f32_e32 v6, v197, v239
	v_add_f32_e32 v26, v26, v27
	s_waitcnt lgkmcnt(2)
	v_mul_f32_e32 v27, v198, v241
	v_fma_f32 v6, v196, v242, -v6
	v_fmac_f32_e32 v27, v199, v240
	v_add_f32_e32 v5, v5, v6
	v_mul_f32_e32 v6, v199, v241
	v_add_f32_e32 v26, v26, v27
	s_waitcnt vmcnt(10)
	v_mul_f32_e32 v27, v200, v244
	v_fma_f32 v6, v198, v240, -v6
	v_fmac_f32_e32 v27, v201, v243
	v_add_f32_e32 v5, v5, v6
	v_mul_f32_e32 v6, v201, v244
	v_add_f32_e32 v26, v26, v27
	s_waitcnt vmcnt(8) lgkmcnt(1)
	v_mul_f32_e32 v27, v202, v246
	v_fma_f32 v6, v200, v243, -v6
	v_fmac_f32_e32 v27, v203, v245
	v_add_f32_e32 v5, v5, v6
	v_mul_f32_e32 v6, v203, v246
	v_add_f32_e32 v26, v26, v27
	s_waitcnt vmcnt(7)
	v_mul_f32_e32 v27, v204, v247
	v_fma_f32 v6, v202, v245, -v6
	s_waitcnt vmcnt(4)
	v_fmac_f32_e32 v27, v205, v250
	v_add_f32_e32 v5, v5, v6
	v_mul_f32_e32 v6, v205, v247
	v_add_f32_e32 v255, v26, v27
	ds_read_b64 v[26:27], v2 offset:944
	v_fma_f32 v6, v204, v250, -v6
	v_add_f32_e32 v5, v5, v6
	s_waitcnt lgkmcnt(1)
	v_mul_f32_e32 v6, v207, v249
	v_fma_f32 v6, v206, v248, -v6
	v_mul_f32_e32 v58, v206, v249
	v_add_f32_e32 v5, v5, v6
	s_waitcnt vmcnt(3)
	v_mul_f32_e32 v6, v209, v251
	v_fmac_f32_e32 v58, v207, v248
	v_mul_f32_e32 v59, v208, v251
	s_waitcnt vmcnt(0)
	v_fma_f32 v6, v208, v254, -v6
	v_add_f32_e32 v58, v255, v58
	v_fmac_f32_e32 v59, v209, v254
	v_add_f32_e32 v5, v5, v6
	s_waitcnt lgkmcnt(0)
	v_mul_f32_e32 v6, v27, v253
	v_add_f32_e32 v58, v58, v59
	v_mul_f32_e32 v59, v26, v253
	v_fma_f32 v6, v26, v252, -v6
	v_fmac_f32_e32 v59, v27, v252
	v_add_f32_e32 v5, v5, v6
	v_add_f32_e32 v58, v58, v59
	v_sub_f32_e32 v3, v3, v5
	v_sub_f32_e32 v4, v4, v58
	buffer_store_dword v3, off, s[0:3], 0 offset:136
	buffer_store_dword v4, off, s[0:3], 0 offset:140
	s_and_saveexec_b64 s[4:5], vcc
	s_cbranch_execz .LBB122_335
; %bb.334:
	buffer_load_dword v3, off, s[0:3], 0 offset:128
	buffer_load_dword v4, off, s[0:3], 0 offset:132
	s_waitcnt vmcnt(0)
	ds_write_b64 v1, v[3:4]
	buffer_store_dword v2, off, s[0:3], 0 offset:128
	buffer_store_dword v2, off, s[0:3], 0 offset:132
.LBB122_335:
	s_or_b64 exec, exec, s[4:5]
	s_waitcnt lgkmcnt(0)
	; wave barrier
	buffer_load_dword v23, off, s[0:3], 0 offset:140
	buffer_load_dword v26, off, s[0:3], 0 offset:148
	;; [unrolled: 1-line block ×32, first 2 shown]
	ds_read2_b64 v[3:6], v2 offset0:77 offset1:78
	ds_read2_b64 v[7:10], v2 offset0:79 offset1:80
	;; [unrolled: 1-line block ×6, first 2 shown]
	buffer_load_dword v57, off, s[0:3], 0 offset:256
	buffer_load_dword v58, off, s[0:3], 0 offset:260
	;; [unrolled: 1-line block ×18, first 2 shown]
	v_cmp_lt_u32_e32 vcc, 15, v0
	s_waitcnt vmcnt(49) lgkmcnt(5)
	v_mul_f32_e32 v146, v3, v23
	s_waitcnt vmcnt(48)
	v_mul_f32_e32 v147, v5, v26
	s_waitcnt vmcnt(47) lgkmcnt(4)
	v_mul_f32_e32 v148, v7, v27
	s_waitcnt vmcnt(46)
	v_mul_f32_e32 v149, v9, v28
	;; [unrolled: 4-line block ×6, first 2 shown]
	s_waitcnt vmcnt(37)
	v_fmac_f32_e32 v148, v8, v37
	s_waitcnt vmcnt(36)
	v_fmac_f32_e32 v147, v6, v38
	;; [unrolled: 2-line block ×3, first 2 shown]
	v_add_f32_e32 v146, 0, v146
	v_add_f32_e32 v146, v146, v147
	;; [unrolled: 1-line block ×3, first 2 shown]
	s_waitcnt vmcnt(31)
	v_fmac_f32_e32 v149, v10, v43
	v_fmac_f32_e32 v150, v12, v42
	v_add_f32_e32 v146, v146, v149
	v_fmac_f32_e32 v151, v14, v41
	v_add_f32_e32 v146, v146, v150
	;; [unrolled: 2-line block ×3, first 2 shown]
	s_waitcnt vmcnt(27)
	v_fmac_f32_e32 v153, v18, v47
	v_add_f32_e32 v146, v146, v152
	v_fmac_f32_e32 v154, v20, v46
	v_add_f32_e32 v146, v146, v153
	;; [unrolled: 2-line block ×3, first 2 shown]
	v_add_f32_e32 v150, v146, v155
	ds_read2_b64 v[146:149], v2 offset0:89 offset1:90
	buffer_load_dword v221, off, s[0:3], 0 offset:328
	buffer_load_dword v222, off, s[0:3], 0 offset:332
	;; [unrolled: 1-line block ×6, first 2 shown]
	v_fmac_f32_e32 v156, v143, v44
	s_waitcnt vmcnt(27)
	v_fmac_f32_e32 v157, v145, v53
	v_add_f32_e32 v150, v150, v156
	v_add_f32_e32 v154, v150, v157
	ds_read2_b64 v[150:153], v2 offset0:91 offset1:92
	buffer_load_dword v227, off, s[0:3], 0 offset:352
	buffer_load_dword v228, off, s[0:3], 0 offset:356
	;; [unrolled: 1-line block ×10, first 2 shown]
	s_waitcnt vmcnt(36) lgkmcnt(1)
	v_mul_f32_e32 v155, v146, v54
	buffer_load_dword v237, off, s[0:3], 0 offset:392
	buffer_load_dword v238, off, s[0:3], 0 offset:396
	;; [unrolled: 1-line block ×6, first 2 shown]
	v_fmac_f32_e32 v155, v147, v52
	v_add_f32_e32 v154, v154, v155
	v_mul_f32_e32 v155, v148, v49
	v_fmac_f32_e32 v155, v149, v48
	v_add_f32_e32 v154, v154, v155
	s_waitcnt lgkmcnt(0)
	v_mul_f32_e32 v155, v150, v51
	v_fmac_f32_e32 v155, v151, v50
	v_add_f32_e32 v158, v154, v155
	ds_read2_b64 v[154:157], v2 offset0:93 offset1:94
	buffer_load_dword v243, off, s[0:3], 0 offset:416
	buffer_load_dword v244, off, s[0:3], 0 offset:420
	s_waitcnt vmcnt(40)
	v_mul_f32_e32 v159, v152, v58
	v_fmac_f32_e32 v159, v153, v57
	v_add_f32_e32 v162, v158, v159
	ds_read2_b64 v[158:161], v2 offset0:95 offset1:96
	buffer_load_dword v245, off, s[0:3], 0 offset:424
	buffer_load_dword v246, off, s[0:3], 0 offset:428
	;; [unrolled: 1-line block ×12, first 2 shown]
	v_mul_f32_e32 v4, v4, v23
	v_fma_f32 v3, v3, v39, -v4
	v_mul_f32_e32 v4, v6, v26
	v_add_f32_e32 v3, 0, v3
	v_fma_f32 v4, v5, v38, -v4
	v_add_f32_e32 v3, v3, v4
	v_mul_f32_e32 v4, v8, v27
	v_fma_f32 v4, v7, v37, -v4
	v_add_f32_e32 v3, v3, v4
	v_mul_f32_e32 v4, v10, v28
	;; [unrolled: 3-line block ×6, first 2 shown]
	v_fma_f32 v4, v17, v47, -v4
	s_waitcnt vmcnt(50) lgkmcnt(1)
	v_mul_f32_e32 v163, v154, v206
	v_add_f32_e32 v3, v3, v4
	v_mul_f32_e32 v4, v20, v33
	v_fmac_f32_e32 v163, v155, v59
	v_fma_f32 v4, v19, v46, -v4
	v_add_f32_e32 v162, v162, v163
	s_waitcnt vmcnt(48)
	v_mul_f32_e32 v163, v156, v208
	v_add_f32_e32 v3, v3, v4
	v_mul_f32_e32 v4, v22, v34
	v_fmac_f32_e32 v163, v157, v207
	v_fma_f32 v4, v21, v45, -v4
	v_add_f32_e32 v61, v162, v163
	s_waitcnt vmcnt(46) lgkmcnt(0)
	v_mul_f32_e32 v162, v158, v210
	v_add_f32_e32 v3, v3, v4
	v_mul_f32_e32 v4, v143, v35
	v_fmac_f32_e32 v162, v159, v209
	v_fma_f32 v4, v142, v44, -v4
	v_add_f32_e32 v61, v61, v162
	ds_read2_b64 v[162:165], v2 offset0:97 offset1:98
	v_add_f32_e32 v3, v3, v4
	v_mul_f32_e32 v4, v145, v36
	v_fma_f32 v4, v144, v53, -v4
	s_waitcnt vmcnt(44)
	v_mul_f32_e32 v166, v160, v212
	v_add_f32_e32 v3, v3, v4
	v_mul_f32_e32 v4, v147, v54
	v_fmac_f32_e32 v166, v161, v211
	v_fma_f32 v4, v146, v52, -v4
	v_add_f32_e32 v61, v61, v166
	ds_read2_b64 v[166:169], v2 offset0:99 offset1:100
	v_add_f32_e32 v3, v3, v4
	v_mul_f32_e32 v4, v149, v49
	s_waitcnt vmcnt(42) lgkmcnt(1)
	v_mul_f32_e32 v170, v162, v214
	v_fma_f32 v4, v148, v48, -v4
	v_fmac_f32_e32 v170, v163, v213
	v_add_f32_e32 v3, v3, v4
	v_mul_f32_e32 v4, v151, v51
	v_add_f32_e32 v61, v61, v170
	s_waitcnt vmcnt(40)
	v_mul_f32_e32 v170, v164, v216
	v_fma_f32 v4, v150, v50, -v4
	v_fmac_f32_e32 v170, v165, v215
	v_add_f32_e32 v3, v3, v4
	v_mul_f32_e32 v4, v153, v58
	v_add_f32_e32 v61, v61, v170
	s_waitcnt vmcnt(38) lgkmcnt(0)
	v_mul_f32_e32 v170, v166, v218
	v_fma_f32 v4, v152, v57, -v4
	v_fmac_f32_e32 v170, v167, v217
	v_add_f32_e32 v3, v3, v4
	v_mul_f32_e32 v4, v155, v206
	v_add_f32_e32 v61, v61, v170
	ds_read2_b64 v[170:173], v2 offset0:101 offset1:102
	v_fma_f32 v4, v154, v59, -v4
	v_add_f32_e32 v3, v3, v4
	v_mul_f32_e32 v4, v157, v208
	s_waitcnt vmcnt(36)
	v_mul_f32_e32 v174, v168, v220
	v_fma_f32 v4, v156, v207, -v4
	v_fmac_f32_e32 v174, v169, v219
	v_add_f32_e32 v3, v3, v4
	v_mul_f32_e32 v4, v159, v210
	v_add_f32_e32 v61, v61, v174
	ds_read2_b64 v[174:177], v2 offset0:103 offset1:104
	v_fma_f32 v4, v158, v209, -v4
	s_waitcnt vmcnt(34) lgkmcnt(1)
	v_mul_f32_e32 v178, v170, v222
	v_add_f32_e32 v3, v3, v4
	v_mul_f32_e32 v4, v161, v212
	v_fmac_f32_e32 v178, v171, v221
	v_fma_f32 v4, v160, v211, -v4
	v_add_f32_e32 v61, v61, v178
	s_waitcnt vmcnt(33)
	v_mul_f32_e32 v178, v172, v223
	v_add_f32_e32 v3, v3, v4
	v_mul_f32_e32 v4, v163, v214
	s_waitcnt vmcnt(30)
	v_fmac_f32_e32 v178, v173, v226
	v_fma_f32 v4, v162, v213, -v4
	v_add_f32_e32 v61, v61, v178
	s_waitcnt lgkmcnt(0)
	v_mul_f32_e32 v178, v174, v225
	v_add_f32_e32 v3, v3, v4
	v_mul_f32_e32 v4, v165, v216
	v_fmac_f32_e32 v178, v175, v224
	v_fma_f32 v4, v164, v215, -v4
	v_add_f32_e32 v61, v61, v178
	ds_read2_b64 v[178:181], v2 offset0:105 offset1:106
	v_add_f32_e32 v3, v3, v4
	v_mul_f32_e32 v4, v167, v218
	v_fma_f32 v4, v166, v217, -v4
	s_waitcnt vmcnt(28)
	v_mul_f32_e32 v182, v176, v228
	v_add_f32_e32 v3, v3, v4
	v_mul_f32_e32 v4, v169, v220
	v_fmac_f32_e32 v182, v177, v227
	v_fma_f32 v4, v168, v219, -v4
	v_add_f32_e32 v61, v61, v182
	ds_read2_b64 v[182:185], v2 offset0:107 offset1:108
	v_add_f32_e32 v3, v3, v4
	v_mul_f32_e32 v4, v171, v222
	s_waitcnt vmcnt(26) lgkmcnt(1)
	v_mul_f32_e32 v186, v178, v230
	v_fma_f32 v4, v170, v221, -v4
	v_fmac_f32_e32 v186, v179, v229
	v_add_f32_e32 v3, v3, v4
	v_mul_f32_e32 v4, v173, v223
	v_add_f32_e32 v61, v61, v186
	s_waitcnt vmcnt(25)
	v_mul_f32_e32 v186, v180, v231
	v_fma_f32 v4, v172, v226, -v4
	s_waitcnt vmcnt(22)
	v_fmac_f32_e32 v186, v181, v234
	v_add_f32_e32 v3, v3, v4
	v_mul_f32_e32 v4, v175, v225
	v_add_f32_e32 v61, v61, v186
	s_waitcnt lgkmcnt(0)
	v_mul_f32_e32 v186, v182, v233
	v_fma_f32 v4, v174, v224, -v4
	v_fmac_f32_e32 v186, v183, v232
	v_add_f32_e32 v3, v3, v4
	v_mul_f32_e32 v4, v177, v228
	v_add_f32_e32 v61, v61, v186
	ds_read2_b64 v[186:189], v2 offset0:109 offset1:110
	v_fma_f32 v4, v176, v227, -v4
	v_add_f32_e32 v3, v3, v4
	v_mul_f32_e32 v4, v179, v230
	s_waitcnt vmcnt(20)
	v_mul_f32_e32 v190, v184, v236
	v_fma_f32 v4, v178, v229, -v4
	v_fmac_f32_e32 v190, v185, v235
	v_add_f32_e32 v3, v3, v4
	v_mul_f32_e32 v4, v181, v231
	v_add_f32_e32 v61, v61, v190
	ds_read2_b64 v[190:193], v2 offset0:111 offset1:112
	v_fma_f32 v4, v180, v234, -v4
	s_waitcnt vmcnt(18) lgkmcnt(1)
	v_mul_f32_e32 v194, v186, v238
	v_add_f32_e32 v3, v3, v4
	v_mul_f32_e32 v4, v183, v233
	v_fmac_f32_e32 v194, v187, v237
	v_fma_f32 v4, v182, v232, -v4
	v_add_f32_e32 v61, v61, v194
	s_waitcnt vmcnt(17)
	v_mul_f32_e32 v194, v188, v239
	v_add_f32_e32 v3, v3, v4
	v_mul_f32_e32 v4, v185, v236
	s_waitcnt vmcnt(14)
	v_fmac_f32_e32 v194, v189, v242
	v_fma_f32 v4, v184, v235, -v4
	v_add_f32_e32 v61, v61, v194
	s_waitcnt lgkmcnt(0)
	v_mul_f32_e32 v194, v190, v241
	v_add_f32_e32 v3, v3, v4
	v_mul_f32_e32 v4, v187, v238
	v_fmac_f32_e32 v194, v191, v240
	v_fma_f32 v4, v186, v237, -v4
	v_add_f32_e32 v61, v61, v194
	ds_read2_b64 v[194:197], v2 offset0:113 offset1:114
	v_add_f32_e32 v3, v3, v4
	v_mul_f32_e32 v4, v189, v239
	v_fma_f32 v4, v188, v242, -v4
	v_add_f32_e32 v3, v3, v4
	v_mul_f32_e32 v4, v191, v241
	s_waitcnt vmcnt(12)
	v_mul_f32_e32 v198, v192, v244
	v_fma_f32 v4, v190, v240, -v4
	v_fmac_f32_e32 v198, v193, v243
	v_add_f32_e32 v3, v3, v4
	v_mul_f32_e32 v4, v193, v244
	v_add_f32_e32 v61, v61, v198
	ds_read2_b64 v[198:201], v2 offset0:115 offset1:116
	s_waitcnt vmcnt(10) lgkmcnt(1)
	v_mul_f32_e32 v202, v194, v246
	v_fma_f32 v4, v192, v243, -v4
	v_fmac_f32_e32 v202, v195, v245
	v_add_f32_e32 v3, v3, v4
	v_mul_f32_e32 v4, v195, v246
	v_add_f32_e32 v61, v61, v202
	s_waitcnt vmcnt(9)
	v_mul_f32_e32 v202, v196, v247
	v_fma_f32 v4, v194, v245, -v4
	s_waitcnt vmcnt(6)
	v_fmac_f32_e32 v202, v197, v250
	v_add_f32_e32 v3, v3, v4
	v_mul_f32_e32 v4, v197, v247
	v_add_f32_e32 v61, v61, v202
	ds_read2_b64 v[202:205], v2 offset0:117 offset1:118
	v_fma_f32 v4, v196, v250, -v4
	v_add_f32_e32 v3, v3, v4
	s_waitcnt lgkmcnt(1)
	v_mul_f32_e32 v4, v199, v249
	v_mul_f32_e32 v62, v198, v249
	v_fma_f32 v4, v198, v248, -v4
	v_fmac_f32_e32 v62, v199, v248
	v_add_f32_e32 v3, v3, v4
	s_waitcnt vmcnt(4)
	v_mul_f32_e32 v4, v201, v252
	v_add_f32_e32 v2, v61, v62
	v_mul_f32_e32 v61, v200, v252
	v_fma_f32 v4, v200, v251, -v4
	v_fmac_f32_e32 v61, v201, v251
	v_add_f32_e32 v3, v3, v4
	s_waitcnt vmcnt(3) lgkmcnt(0)
	v_mul_f32_e32 v4, v203, v253
	v_add_f32_e32 v2, v2, v61
	v_mul_f32_e32 v61, v202, v253
	s_waitcnt vmcnt(0)
	v_fma_f32 v4, v202, v60, -v4
	v_fmac_f32_e32 v61, v203, v60
	v_add_f32_e32 v3, v3, v4
	v_mul_f32_e32 v4, v205, v255
	v_add_f32_e32 v2, v2, v61
	v_mul_f32_e32 v61, v204, v255
	v_fma_f32 v4, v204, v254, -v4
	v_fmac_f32_e32 v61, v205, v254
	v_add_f32_e32 v3, v3, v4
	v_add_f32_e32 v2, v2, v61
	v_sub_f32_e32 v3, v55, v3
	v_sub_f32_e32 v2, v56, v2
	buffer_store_dword v3, off, s[0:3], 0 offset:128
	buffer_store_dword v2, off, s[0:3], 0 offset:132
	s_and_saveexec_b64 s[4:5], vcc
	s_cbranch_execz .LBB122_337
; %bb.336:
	buffer_load_dword v2, off, s[0:3], 0 offset:120
	buffer_load_dword v3, off, s[0:3], 0 offset:124
	v_mov_b32_e32 v4, 0
	buffer_store_dword v4, off, s[0:3], 0 offset:120
	buffer_store_dword v4, off, s[0:3], 0 offset:124
	s_waitcnt vmcnt(2)
	ds_write_b64 v1, v[2:3]
.LBB122_337:
	s_or_b64 exec, exec, s[4:5]
	s_waitcnt lgkmcnt(0)
	; wave barrier
	buffer_load_dword v11, off, s[0:3], 0 offset:132
	buffer_load_dword v10, off, s[0:3], 0 offset:140
	;; [unrolled: 1-line block ×32, first 2 shown]
	v_mov_b32_e32 v2, 0
	buffer_load_dword v43, off, s[0:3], 0 offset:248
	buffer_load_dword v44, off, s[0:3], 0 offset:252
	;; [unrolled: 1-line block ×16, first 2 shown]
	ds_read_b128 v[17:20], v2 offset:608
	ds_read_b128 v[142:145], v2 offset:624
	;; [unrolled: 1-line block ×6, first 2 shown]
	v_cmp_lt_u32_e32 vcc, 14, v0
	s_waitcnt vmcnt(47) lgkmcnt(5)
	v_mul_f32_e32 v21, v17, v11
	s_waitcnt vmcnt(46)
	v_mul_f32_e32 v22, v19, v10
	s_waitcnt vmcnt(45) lgkmcnt(4)
	v_mul_f32_e32 v59, v142, v9
	s_waitcnt vmcnt(44)
	v_mul_f32_e32 v60, v144, v8
	;; [unrolled: 4-line block ×6, first 2 shown]
	s_waitcnt vmcnt(35)
	v_fmac_f32_e32 v59, v143, v23
	s_waitcnt vmcnt(34)
	v_fmac_f32_e32 v22, v20, v26
	s_waitcnt vmcnt(33)
	v_fmac_f32_e32 v21, v18, v27
	v_add_f32_e32 v21, 0, v21
	v_add_f32_e32 v21, v21, v22
	;; [unrolled: 1-line block ×3, first 2 shown]
	s_waitcnt vmcnt(29)
	v_fmac_f32_e32 v60, v145, v31
	v_fmac_f32_e32 v61, v147, v30
	v_add_f32_e32 v21, v21, v60
	v_fmac_f32_e32 v62, v149, v29
	v_add_f32_e32 v21, v21, v61
	v_fmac_f32_e32 v63, v151, v28
	v_add_f32_e32 v21, v21, v62
	buffer_load_dword v59, off, s[0:3], 0 offset:312
	buffer_load_dword v60, off, s[0:3], 0 offset:316
	s_waitcnt vmcnt(27)
	v_fmac_f32_e32 v162, v153, v35
	v_add_f32_e32 v21, v21, v63
	v_fmac_f32_e32 v163, v155, v34
	v_add_f32_e32 v21, v21, v162
	v_fmac_f32_e32 v164, v157, v33
	v_add_f32_e32 v21, v21, v163
	v_fmac_f32_e32 v165, v159, v32
	v_add_f32_e32 v21, v21, v164
	v_add_f32_e32 v21, v21, v165
	ds_read_b128 v[162:165], v2 offset:704
	buffer_load_dword v61, off, s[0:3], 0 offset:320
	buffer_load_dword v62, off, s[0:3], 0 offset:324
	;; [unrolled: 1-line block ×6, first 2 shown]
	s_waitcnt vmcnt(28)
	v_fmac_f32_e32 v166, v161, v40
	v_add_f32_e32 v21, v21, v166
	ds_read_b128 v[166:169], v2 offset:720
	buffer_load_dword v225, off, s[0:3], 0 offset:344
	buffer_load_dword v226, off, s[0:3], 0 offset:348
	;; [unrolled: 1-line block ×10, first 2 shown]
	ds_read_b128 v[170:173], v2 offset:736
	buffer_load_dword v235, off, s[0:3], 0 offset:384
	buffer_load_dword v236, off, s[0:3], 0 offset:388
	;; [unrolled: 1-line block ×6, first 2 shown]
	ds_read_b128 v[174:177], v2 offset:752
	buffer_load_dword v241, off, s[0:3], 0 offset:408
	buffer_load_dword v242, off, s[0:3], 0 offset:412
	;; [unrolled: 1-line block ×16, first 2 shown]
	v_mul_f32_e32 v11, v18, v11
	v_fma_f32 v11, v17, v27, -v11
	v_mul_f32_e32 v10, v20, v10
	v_add_f32_e32 v11, 0, v11
	v_fma_f32 v10, v19, v26, -v10
	v_mul_f32_e32 v9, v143, v9
	v_add_f32_e32 v10, v11, v10
	;; [unrolled: 3-line block ×6, first 2 shown]
	v_fma_f32 v5, v150, v28, -v5
	v_add_f32_e32 v5, v6, v5
	v_mul_f32_e32 v6, v153, v12
	v_fma_f32 v6, v152, v35, -v6
	v_add_f32_e32 v5, v5, v6
	v_mul_f32_e32 v6, v155, v13
	;; [unrolled: 3-line block ×5, first 2 shown]
	s_waitcnt vmcnt(59) lgkmcnt(3)
	v_mul_f32_e32 v22, v162, v41
	v_fma_f32 v6, v160, v40, -v6
	v_fmac_f32_e32 v22, v163, v39
	v_add_f32_e32 v5, v5, v6
	v_mul_f32_e32 v6, v163, v41
	v_add_f32_e32 v21, v21, v22
	s_waitcnt vmcnt(58)
	v_mul_f32_e32 v22, v164, v42
	v_fma_f32 v6, v162, v39, -v6
	v_fmac_f32_e32 v22, v165, v38
	v_add_f32_e32 v5, v5, v6
	v_mul_f32_e32 v6, v165, v42
	v_add_f32_e32 v21, v21, v22
	s_waitcnt lgkmcnt(2)
	v_mul_f32_e32 v22, v166, v37
	v_fma_f32 v6, v164, v38, -v6
	v_fmac_f32_e32 v22, v167, v36
	v_add_f32_e32 v5, v5, v6
	v_mul_f32_e32 v6, v167, v37
	v_add_f32_e32 v21, v21, v22
	s_waitcnt vmcnt(54)
	v_mul_f32_e32 v22, v168, v44
	v_fma_f32 v6, v166, v36, -v6
	v_fmac_f32_e32 v22, v169, v43
	v_add_f32_e32 v5, v5, v6
	v_mul_f32_e32 v6, v169, v44
	v_add_f32_e32 v21, v21, v22
	s_waitcnt vmcnt(52) lgkmcnt(1)
	v_mul_f32_e32 v22, v170, v46
	v_fma_f32 v6, v168, v43, -v6
	v_fmac_f32_e32 v22, v171, v45
	v_add_f32_e32 v5, v5, v6
	v_mul_f32_e32 v6, v171, v46
	v_add_f32_e32 v21, v21, v22
	s_waitcnt vmcnt(50)
	v_mul_f32_e32 v22, v172, v48
	v_fma_f32 v6, v170, v45, -v6
	v_fmac_f32_e32 v22, v173, v47
	ds_read_b128 v[178:181], v2 offset:768
	ds_read_b128 v[182:185], v2 offset:784
	v_add_f32_e32 v5, v5, v6
	v_mul_f32_e32 v6, v173, v48
	v_add_f32_e32 v21, v21, v22
	s_waitcnt vmcnt(48) lgkmcnt(2)
	v_mul_f32_e32 v22, v174, v50
	v_fma_f32 v6, v172, v47, -v6
	v_fmac_f32_e32 v22, v175, v49
	v_add_f32_e32 v5, v5, v6
	v_mul_f32_e32 v6, v175, v50
	v_add_f32_e32 v21, v21, v22
	s_waitcnt vmcnt(46)
	v_mul_f32_e32 v22, v176, v52
	v_fma_f32 v6, v174, v49, -v6
	v_fmac_f32_e32 v22, v177, v51
	v_add_f32_e32 v5, v5, v6
	v_mul_f32_e32 v6, v177, v52
	v_add_f32_e32 v21, v21, v22
	s_waitcnt vmcnt(44) lgkmcnt(1)
	v_mul_f32_e32 v22, v178, v54
	v_fma_f32 v6, v176, v51, -v6
	v_fmac_f32_e32 v22, v179, v53
	v_add_f32_e32 v5, v5, v6
	v_mul_f32_e32 v6, v179, v54
	v_add_f32_e32 v21, v21, v22
	s_waitcnt vmcnt(42)
	v_mul_f32_e32 v22, v180, v56
	v_fma_f32 v6, v178, v53, -v6
	v_fmac_f32_e32 v22, v181, v55
	ds_read_b128 v[186:189], v2 offset:800
	ds_read_b128 v[190:193], v2 offset:816
	v_add_f32_e32 v5, v5, v6
	v_mul_f32_e32 v6, v181, v56
	v_add_f32_e32 v21, v21, v22
	s_waitcnt vmcnt(40) lgkmcnt(2)
	v_mul_f32_e32 v22, v182, v58
	v_fma_f32 v6, v180, v55, -v6
	v_fmac_f32_e32 v22, v183, v57
	v_add_f32_e32 v5, v5, v6
	v_mul_f32_e32 v6, v183, v58
	v_add_f32_e32 v21, v21, v22
	s_waitcnt vmcnt(38)
	v_mul_f32_e32 v22, v184, v60
	v_fma_f32 v6, v182, v57, -v6
	v_fmac_f32_e32 v22, v185, v59
	v_add_f32_e32 v5, v5, v6
	v_mul_f32_e32 v6, v185, v60
	v_add_f32_e32 v21, v21, v22
	s_waitcnt vmcnt(36) lgkmcnt(1)
	v_mul_f32_e32 v22, v186, v62
	v_fma_f32 v6, v184, v59, -v6
	v_fmac_f32_e32 v22, v187, v61
	v_add_f32_e32 v5, v5, v6
	v_mul_f32_e32 v6, v187, v62
	v_add_f32_e32 v21, v21, v22
	s_waitcnt vmcnt(35)
	v_mul_f32_e32 v22, v188, v63
	v_fma_f32 v6, v186, v61, -v6
	s_waitcnt vmcnt(32)
	v_fmac_f32_e32 v22, v189, v224
	ds_read_b128 v[194:197], v2 offset:832
	ds_read_b128 v[198:201], v2 offset:848
	v_add_f32_e32 v5, v5, v6
	v_mul_f32_e32 v6, v189, v63
	v_add_f32_e32 v21, v21, v22
	s_waitcnt lgkmcnt(2)
	v_mul_f32_e32 v22, v190, v223
	v_fma_f32 v6, v188, v224, -v6
	v_fmac_f32_e32 v22, v191, v222
	v_add_f32_e32 v5, v5, v6
	v_mul_f32_e32 v6, v191, v223
	v_add_f32_e32 v21, v21, v22
	s_waitcnt vmcnt(30)
	v_mul_f32_e32 v22, v192, v226
	v_fma_f32 v6, v190, v222, -v6
	v_fmac_f32_e32 v22, v193, v225
	v_add_f32_e32 v5, v5, v6
	v_mul_f32_e32 v6, v193, v226
	v_add_f32_e32 v21, v21, v22
	s_waitcnt vmcnt(28) lgkmcnt(1)
	v_mul_f32_e32 v22, v194, v228
	v_fma_f32 v6, v192, v225, -v6
	v_fmac_f32_e32 v22, v195, v227
	v_add_f32_e32 v5, v5, v6
	v_mul_f32_e32 v6, v195, v228
	v_add_f32_e32 v21, v21, v22
	s_waitcnt vmcnt(27)
	v_mul_f32_e32 v22, v196, v229
	v_fma_f32 v6, v194, v227, -v6
	s_waitcnt vmcnt(24)
	v_fmac_f32_e32 v22, v197, v232
	ds_read_b128 v[202:205], v2 offset:864
	ds_read_b128 v[206:209], v2 offset:880
	v_add_f32_e32 v5, v5, v6
	v_mul_f32_e32 v6, v197, v229
	v_add_f32_e32 v21, v21, v22
	s_waitcnt lgkmcnt(2)
	;; [unrolled: 31-line block ×3, first 2 shown]
	v_mul_f32_e32 v22, v206, v239
	v_fma_f32 v6, v204, v240, -v6
	v_fmac_f32_e32 v22, v207, v238
	v_add_f32_e32 v5, v5, v6
	v_mul_f32_e32 v6, v207, v239
	v_add_f32_e32 v21, v21, v22
	s_waitcnt vmcnt(14)
	v_mul_f32_e32 v22, v208, v242
	v_fma_f32 v6, v206, v238, -v6
	v_fmac_f32_e32 v22, v209, v241
	v_add_f32_e32 v5, v5, v6
	v_mul_f32_e32 v6, v209, v242
	v_add_f32_e32 v21, v21, v22
	s_waitcnt vmcnt(12) lgkmcnt(1)
	v_mul_f32_e32 v22, v210, v244
	v_fma_f32 v6, v208, v241, -v6
	v_fmac_f32_e32 v22, v211, v243
	v_add_f32_e32 v5, v5, v6
	v_mul_f32_e32 v6, v211, v244
	v_add_f32_e32 v21, v21, v22
	s_waitcnt vmcnt(11)
	v_mul_f32_e32 v22, v212, v245
	v_fma_f32 v6, v210, v243, -v6
	s_waitcnt vmcnt(8)
	v_fmac_f32_e32 v22, v213, v248
	v_add_f32_e32 v5, v5, v6
	v_mul_f32_e32 v6, v213, v245
	v_add_f32_e32 v21, v21, v22
	s_waitcnt lgkmcnt(0)
	v_mul_f32_e32 v22, v214, v247
	ds_read_b128 v[218:221], v2 offset:928
	v_fma_f32 v6, v212, v248, -v6
	v_fmac_f32_e32 v22, v215, v246
	v_add_f32_e32 v5, v5, v6
	v_mul_f32_e32 v6, v215, v247
	v_add_f32_e32 v21, v21, v22
	s_waitcnt vmcnt(6)
	v_mul_f32_e32 v22, v216, v250
	v_fma_f32 v6, v214, v246, -v6
	v_fmac_f32_e32 v22, v217, v249
	v_add_f32_e32 v5, v5, v6
	v_mul_f32_e32 v6, v217, v250
	v_add_f32_e32 v65, v21, v22
	ds_read_b64 v[21:22], v2 offset:944
	v_fma_f32 v6, v216, v249, -v6
	v_add_f32_e32 v5, v5, v6
	s_waitcnt vmcnt(4) lgkmcnt(1)
	v_mul_f32_e32 v6, v219, v252
	v_mul_f32_e32 v66, v218, v252
	v_fma_f32 v6, v218, v251, -v6
	v_fmac_f32_e32 v66, v219, v251
	v_add_f32_e32 v5, v5, v6
	s_waitcnt vmcnt(3)
	v_mul_f32_e32 v6, v221, v253
	v_add_f32_e32 v65, v65, v66
	v_mul_f32_e32 v66, v220, v253
	s_waitcnt vmcnt(0)
	v_fma_f32 v6, v220, v64, -v6
	v_fmac_f32_e32 v66, v221, v64
	v_add_f32_e32 v5, v5, v6
	s_waitcnt lgkmcnt(0)
	v_mul_f32_e32 v6, v22, v255
	v_add_f32_e32 v65, v65, v66
	v_mul_f32_e32 v66, v21, v255
	v_fma_f32 v6, v21, v254, -v6
	v_fmac_f32_e32 v66, v22, v254
	v_add_f32_e32 v5, v5, v6
	v_add_f32_e32 v65, v65, v66
	v_sub_f32_e32 v3, v3, v5
	v_sub_f32_e32 v4, v4, v65
	buffer_store_dword v3, off, s[0:3], 0 offset:120
	buffer_store_dword v4, off, s[0:3], 0 offset:124
	s_and_saveexec_b64 s[4:5], vcc
	s_cbranch_execz .LBB122_339
; %bb.338:
	buffer_load_dword v3, off, s[0:3], 0 offset:112
	buffer_load_dword v4, off, s[0:3], 0 offset:116
	s_waitcnt vmcnt(0)
	ds_write_b64 v1, v[3:4]
	buffer_store_dword v2, off, s[0:3], 0 offset:112
	buffer_store_dword v2, off, s[0:3], 0 offset:116
.LBB122_339:
	s_or_b64 exec, exec, s[4:5]
	s_waitcnt lgkmcnt(0)
	; wave barrier
	buffer_load_dword v11, off, s[0:3], 0 offset:124
	buffer_load_dword v10, off, s[0:3], 0 offset:132
	;; [unrolled: 1-line block ×32, first 2 shown]
	ds_read2_b64 v[17:20], v2 offset0:75 offset1:76
	ds_read2_b64 v[142:145], v2 offset0:77 offset1:78
	;; [unrolled: 1-line block ×4, first 2 shown]
	buffer_load_dword v41, off, s[0:3], 0 offset:240
	buffer_load_dword v42, off, s[0:3], 0 offset:244
	ds_read2_b64 v[154:157], v2 offset0:83 offset1:84
	ds_read2_b64 v[158:161], v2 offset0:85 offset1:86
	;; [unrolled: 1-line block ×3, first 2 shown]
	buffer_load_dword v43, off, s[0:3], 0 offset:248
	buffer_load_dword v44, off, s[0:3], 0 offset:252
	;; [unrolled: 1-line block ×14, first 2 shown]
	v_cmp_lt_u32_e32 vcc, 13, v0
	s_waitcnt vmcnt(47) lgkmcnt(6)
	v_mul_f32_e32 v57, v17, v11
	s_waitcnt vmcnt(46)
	v_mul_f32_e32 v58, v19, v10
	s_waitcnt vmcnt(45) lgkmcnt(5)
	v_mul_f32_e32 v59, v142, v9
	s_waitcnt vmcnt(44)
	v_mul_f32_e32 v60, v144, v8
	;; [unrolled: 4-line block ×6, first 2 shown]
	s_waitcnt vmcnt(35)
	v_fmac_f32_e32 v59, v143, v21
	s_waitcnt vmcnt(34)
	v_fmac_f32_e32 v58, v20, v22
	;; [unrolled: 2-line block ×3, first 2 shown]
	v_add_f32_e32 v57, 0, v57
	v_add_f32_e32 v57, v57, v58
	;; [unrolled: 1-line block ×3, first 2 shown]
	s_waitcnt vmcnt(29)
	v_fmac_f32_e32 v60, v145, v29
	v_fmac_f32_e32 v61, v147, v28
	v_add_f32_e32 v57, v57, v60
	v_fmac_f32_e32 v62, v149, v27
	v_add_f32_e32 v57, v57, v61
	;; [unrolled: 2-line block ×3, first 2 shown]
	buffer_load_dword v58, off, s[0:3], 0 offset:304
	buffer_load_dword v59, off, s[0:3], 0 offset:308
	s_waitcnt vmcnt(27)
	v_fmac_f32_e32 v64, v153, v33
	v_add_f32_e32 v57, v57, v63
	v_fmac_f32_e32 v65, v155, v32
	v_add_f32_e32 v57, v57, v64
	;; [unrolled: 2-line block ×4, first 2 shown]
	s_waitcnt vmcnt(23)
	v_fmac_f32_e32 v166, v161, v37
	v_add_f32_e32 v57, v57, v67
	v_add_f32_e32 v57, v57, v166
	ds_read2_b64 v[166:169], v2 offset0:89 offset1:90
	buffer_load_dword v61, off, s[0:3], 0 offset:312
	buffer_load_dword v62, off, s[0:3], 0 offset:316
	;; [unrolled: 1-line block ×14, first 2 shown]
	s_waitcnt vmcnt(36) lgkmcnt(1)
	v_mul_f32_e32 v60, v162, v38
	v_fmac_f32_e32 v60, v163, v36
	v_add_f32_e32 v57, v57, v60
	s_waitcnt vmcnt(35)
	v_mul_f32_e32 v60, v164, v39
	buffer_load_dword v233, off, s[0:3], 0 offset:368
	buffer_load_dword v234, off, s[0:3], 0 offset:372
	v_fmac_f32_e32 v60, v165, v35
	v_add_f32_e32 v57, v57, v60
	s_waitcnt vmcnt(36) lgkmcnt(0)
	v_mul_f32_e32 v60, v166, v40
	v_fmac_f32_e32 v60, v167, v34
	v_add_f32_e32 v57, v57, v60
	s_waitcnt vmcnt(32)
	v_mul_f32_e32 v60, v168, v42
	v_fmac_f32_e32 v60, v169, v41
	ds_read2_b64 v[170:173], v2 offset0:91 offset1:92
	v_add_f32_e32 v57, v57, v60
	buffer_load_dword v60, off, s[0:3], 0 offset:376
	buffer_load_dword v235, off, s[0:3], 0 offset:380
	;; [unrolled: 1-line block ×6, first 2 shown]
	ds_read2_b64 v[174:177], v2 offset0:93 offset1:94
	buffer_load_dword v240, off, s[0:3], 0 offset:400
	buffer_load_dword v241, off, s[0:3], 0 offset:404
	;; [unrolled: 1-line block ×10, first 2 shown]
	s_waitcnt vmcnt(46) lgkmcnt(1)
	v_mul_f32_e32 v178, v170, v44
	v_fmac_f32_e32 v178, v171, v43
	v_add_f32_e32 v57, v57, v178
	s_waitcnt vmcnt(44)
	v_mul_f32_e32 v178, v172, v46
	v_fmac_f32_e32 v178, v173, v45
	v_add_f32_e32 v57, v57, v178
	s_waitcnt vmcnt(42) lgkmcnt(0)
	v_mul_f32_e32 v178, v174, v48
	buffer_load_dword v250, off, s[0:3], 0 offset:440
	buffer_load_dword v251, off, s[0:3], 0 offset:444
	;; [unrolled: 1-line block ×6, first 2 shown]
	v_fmac_f32_e32 v178, v175, v47
	s_waitcnt vmcnt(46)
	v_mul_f32_e32 v182, v176, v50
	v_add_f32_e32 v57, v57, v178
	v_fmac_f32_e32 v182, v177, v49
	ds_read2_b64 v[178:181], v2 offset0:95 offset1:96
	v_add_f32_e32 v57, v57, v182
	ds_read2_b64 v[182:185], v2 offset0:97 offset1:98
	buffer_load_dword v68, off, s[0:3], 0 offset:464
	buffer_load_dword v69, off, s[0:3], 0 offset:468
	v_mul_f32_e32 v11, v18, v11
	v_fma_f32 v11, v17, v23, -v11
	v_mul_f32_e32 v10, v20, v10
	v_add_f32_e32 v11, 0, v11
	v_fma_f32 v10, v19, v22, -v10
	v_mul_f32_e32 v9, v143, v9
	v_add_f32_e32 v10, v11, v10
	;; [unrolled: 3-line block ×6, first 2 shown]
	v_fma_f32 v5, v150, v26, -v5
	v_add_f32_e32 v5, v6, v5
	v_mul_f32_e32 v6, v153, v12
	v_fma_f32 v6, v152, v33, -v6
	v_add_f32_e32 v5, v5, v6
	v_mul_f32_e32 v6, v155, v13
	;; [unrolled: 3-line block ×6, first 2 shown]
	s_waitcnt vmcnt(46) lgkmcnt(1)
	v_mul_f32_e32 v186, v178, v52
	v_fma_f32 v6, v162, v36, -v6
	v_fmac_f32_e32 v186, v179, v51
	v_add_f32_e32 v5, v5, v6
	v_mul_f32_e32 v6, v165, v39
	v_add_f32_e32 v57, v57, v186
	s_waitcnt vmcnt(44)
	v_mul_f32_e32 v186, v180, v54
	v_fma_f32 v6, v164, v35, -v6
	v_fmac_f32_e32 v186, v181, v53
	v_add_f32_e32 v5, v5, v6
	v_mul_f32_e32 v6, v167, v40
	v_add_f32_e32 v57, v57, v186
	s_waitcnt vmcnt(42) lgkmcnt(0)
	v_mul_f32_e32 v186, v182, v56
	v_fma_f32 v6, v166, v34, -v6
	v_fmac_f32_e32 v186, v183, v55
	v_add_f32_e32 v5, v5, v6
	v_mul_f32_e32 v6, v169, v42
	v_add_f32_e32 v57, v57, v186
	ds_read2_b64 v[186:189], v2 offset0:99 offset1:100
	v_fma_f32 v6, v168, v41, -v6
	v_add_f32_e32 v5, v5, v6
	v_mul_f32_e32 v6, v171, v44
	s_waitcnt vmcnt(40)
	v_mul_f32_e32 v190, v184, v59
	v_fma_f32 v6, v170, v43, -v6
	v_fmac_f32_e32 v190, v185, v58
	v_add_f32_e32 v5, v5, v6
	v_mul_f32_e32 v6, v173, v46
	v_add_f32_e32 v57, v57, v190
	ds_read2_b64 v[190:193], v2 offset0:101 offset1:102
	v_fma_f32 v6, v172, v45, -v6
	s_waitcnt vmcnt(38) lgkmcnt(1)
	v_mul_f32_e32 v194, v186, v62
	v_add_f32_e32 v5, v5, v6
	v_mul_f32_e32 v6, v175, v48
	v_fmac_f32_e32 v194, v187, v61
	v_fma_f32 v6, v174, v47, -v6
	v_add_f32_e32 v57, v57, v194
	s_waitcnt vmcnt(37)
	v_mul_f32_e32 v194, v188, v63
	v_add_f32_e32 v5, v5, v6
	v_mul_f32_e32 v6, v177, v50
	s_waitcnt vmcnt(34)
	v_fmac_f32_e32 v194, v189, v66
	v_fma_f32 v6, v176, v49, -v6
	v_add_f32_e32 v57, v57, v194
	s_waitcnt lgkmcnt(0)
	v_mul_f32_e32 v194, v190, v65
	v_add_f32_e32 v5, v5, v6
	v_mul_f32_e32 v6, v179, v52
	v_fmac_f32_e32 v194, v191, v64
	v_fma_f32 v6, v178, v51, -v6
	v_add_f32_e32 v57, v57, v194
	ds_read2_b64 v[194:197], v2 offset0:103 offset1:104
	v_add_f32_e32 v5, v5, v6
	v_mul_f32_e32 v6, v181, v54
	v_fma_f32 v6, v180, v53, -v6
	s_waitcnt vmcnt(32)
	v_mul_f32_e32 v198, v192, v226
	v_add_f32_e32 v5, v5, v6
	v_mul_f32_e32 v6, v183, v56
	v_fmac_f32_e32 v198, v193, v67
	v_fma_f32 v6, v182, v55, -v6
	v_add_f32_e32 v57, v57, v198
	ds_read2_b64 v[198:201], v2 offset0:105 offset1:106
	v_add_f32_e32 v5, v5, v6
	v_mul_f32_e32 v6, v185, v59
	s_waitcnt vmcnt(30) lgkmcnt(1)
	v_mul_f32_e32 v202, v194, v228
	v_fma_f32 v6, v184, v58, -v6
	v_fmac_f32_e32 v202, v195, v227
	v_add_f32_e32 v5, v5, v6
	v_mul_f32_e32 v6, v187, v62
	v_add_f32_e32 v57, v57, v202
	s_waitcnt vmcnt(29)
	v_mul_f32_e32 v202, v196, v229
	v_fma_f32 v6, v186, v61, -v6
	s_waitcnt vmcnt(26)
	v_fmac_f32_e32 v202, v197, v232
	v_add_f32_e32 v5, v5, v6
	v_mul_f32_e32 v6, v189, v63
	v_add_f32_e32 v57, v57, v202
	s_waitcnt lgkmcnt(0)
	v_mul_f32_e32 v202, v198, v231
	v_fma_f32 v6, v188, v66, -v6
	v_fmac_f32_e32 v202, v199, v230
	v_add_f32_e32 v5, v5, v6
	v_mul_f32_e32 v6, v191, v65
	v_add_f32_e32 v57, v57, v202
	ds_read2_b64 v[202:205], v2 offset0:107 offset1:108
	v_fma_f32 v6, v190, v64, -v6
	v_add_f32_e32 v5, v5, v6
	v_mul_f32_e32 v6, v193, v226
	s_waitcnt vmcnt(24)
	v_mul_f32_e32 v206, v200, v234
	v_fma_f32 v6, v192, v67, -v6
	v_fmac_f32_e32 v206, v201, v233
	v_add_f32_e32 v5, v5, v6
	v_mul_f32_e32 v6, v195, v228
	v_add_f32_e32 v57, v57, v206
	ds_read2_b64 v[206:209], v2 offset0:109 offset1:110
	v_fma_f32 v6, v194, v227, -v6
	s_waitcnt vmcnt(22) lgkmcnt(1)
	v_mul_f32_e32 v210, v202, v235
	v_add_f32_e32 v5, v5, v6
	v_mul_f32_e32 v6, v197, v229
	v_fmac_f32_e32 v210, v203, v60
	v_fma_f32 v6, v196, v232, -v6
	v_add_f32_e32 v57, v57, v210
	s_waitcnt vmcnt(21)
	v_mul_f32_e32 v210, v204, v236
	v_add_f32_e32 v5, v5, v6
	v_mul_f32_e32 v6, v199, v231
	s_waitcnt vmcnt(18)
	v_fmac_f32_e32 v210, v205, v239
	v_fma_f32 v6, v198, v230, -v6
	v_add_f32_e32 v57, v57, v210
	s_waitcnt lgkmcnt(0)
	v_mul_f32_e32 v210, v206, v238
	v_add_f32_e32 v5, v5, v6
	v_mul_f32_e32 v6, v201, v234
	v_fmac_f32_e32 v210, v207, v237
	v_fma_f32 v6, v200, v233, -v6
	v_add_f32_e32 v57, v57, v210
	ds_read2_b64 v[210:213], v2 offset0:111 offset1:112
	v_add_f32_e32 v5, v5, v6
	v_mul_f32_e32 v6, v203, v235
	v_fma_f32 v6, v202, v60, -v6
	s_waitcnt vmcnt(16)
	v_mul_f32_e32 v214, v208, v241
	v_add_f32_e32 v5, v5, v6
	v_mul_f32_e32 v6, v205, v236
	v_fmac_f32_e32 v214, v209, v240
	v_fma_f32 v6, v204, v239, -v6
	v_add_f32_e32 v57, v57, v214
	ds_read2_b64 v[214:217], v2 offset0:113 offset1:114
	v_add_f32_e32 v5, v5, v6
	v_mul_f32_e32 v6, v207, v238
	s_waitcnt vmcnt(14) lgkmcnt(1)
	v_mul_f32_e32 v218, v210, v243
	v_fma_f32 v6, v206, v237, -v6
	v_fmac_f32_e32 v218, v211, v242
	v_add_f32_e32 v5, v5, v6
	v_mul_f32_e32 v6, v209, v241
	v_add_f32_e32 v57, v57, v218
	s_waitcnt vmcnt(13)
	v_mul_f32_e32 v218, v212, v244
	v_fma_f32 v6, v208, v240, -v6
	s_waitcnt vmcnt(10)
	v_fmac_f32_e32 v218, v213, v247
	v_add_f32_e32 v5, v5, v6
	v_mul_f32_e32 v6, v211, v243
	v_add_f32_e32 v57, v57, v218
	s_waitcnt lgkmcnt(0)
	v_mul_f32_e32 v218, v214, v246
	v_fma_f32 v6, v210, v242, -v6
	v_fmac_f32_e32 v218, v215, v245
	v_add_f32_e32 v5, v5, v6
	v_mul_f32_e32 v6, v213, v244
	v_add_f32_e32 v57, v57, v218
	ds_read2_b64 v[218:221], v2 offset0:115 offset1:116
	v_fma_f32 v6, v212, v247, -v6
	v_add_f32_e32 v5, v5, v6
	v_mul_f32_e32 v6, v215, v246
	s_waitcnt vmcnt(8)
	v_mul_f32_e32 v222, v216, v249
	v_fma_f32 v6, v214, v245, -v6
	v_fmac_f32_e32 v222, v217, v248
	v_add_f32_e32 v5, v5, v6
	v_mul_f32_e32 v6, v217, v249
	v_add_f32_e32 v57, v57, v222
	ds_read2_b64 v[222:225], v2 offset0:117 offset1:118
	v_fma_f32 v6, v216, v248, -v6
	v_add_f32_e32 v5, v5, v6
	s_waitcnt vmcnt(6) lgkmcnt(1)
	v_mul_f32_e32 v6, v219, v251
	v_mul_f32_e32 v2, v218, v251
	v_fma_f32 v6, v218, v250, -v6
	v_fmac_f32_e32 v2, v219, v250
	v_add_f32_e32 v5, v5, v6
	s_waitcnt vmcnt(5)
	v_mul_f32_e32 v6, v221, v252
	v_add_f32_e32 v2, v57, v2
	v_mul_f32_e32 v57, v220, v252
	s_waitcnt vmcnt(2)
	v_fma_f32 v6, v220, v255, -v6
	v_fmac_f32_e32 v57, v221, v255
	v_add_f32_e32 v5, v5, v6
	s_waitcnt lgkmcnt(0)
	v_mul_f32_e32 v6, v223, v254
	v_add_f32_e32 v2, v2, v57
	v_mul_f32_e32 v57, v222, v254
	v_fma_f32 v6, v222, v253, -v6
	v_fmac_f32_e32 v57, v223, v253
	v_add_f32_e32 v5, v5, v6
	s_waitcnt vmcnt(0)
	v_mul_f32_e32 v6, v225, v69
	v_add_f32_e32 v2, v2, v57
	v_mul_f32_e32 v57, v224, v69
	v_fma_f32 v6, v224, v68, -v6
	v_fmac_f32_e32 v57, v225, v68
	v_add_f32_e32 v5, v5, v6
	v_add_f32_e32 v2, v2, v57
	v_sub_f32_e32 v3, v3, v5
	v_sub_f32_e32 v2, v4, v2
	buffer_store_dword v3, off, s[0:3], 0 offset:112
	buffer_store_dword v2, off, s[0:3], 0 offset:116
	s_and_saveexec_b64 s[4:5], vcc
	s_cbranch_execz .LBB122_341
; %bb.340:
	buffer_load_dword v2, off, s[0:3], 0 offset:104
	buffer_load_dword v3, off, s[0:3], 0 offset:108
	v_mov_b32_e32 v4, 0
	buffer_store_dword v4, off, s[0:3], 0 offset:104
	buffer_store_dword v4, off, s[0:3], 0 offset:108
	s_waitcnt vmcnt(2)
	ds_write_b64 v1, v[2:3]
.LBB122_341:
	s_or_b64 exec, exec, s[4:5]
	s_waitcnt lgkmcnt(0)
	; wave barrier
	buffer_load_dword v23, off, s[0:3], 0 offset:116
	buffer_load_dword v26, off, s[0:3], 0 offset:124
	buffer_load_dword v27, off, s[0:3], 0 offset:132
	buffer_load_dword v28, off, s[0:3], 0 offset:140
	buffer_load_dword v29, off, s[0:3], 0 offset:148
	buffer_load_dword v30, off, s[0:3], 0 offset:156
	buffer_load_dword v31, off, s[0:3], 0 offset:164
	buffer_load_dword v32, off, s[0:3], 0 offset:172
	buffer_load_dword v33, off, s[0:3], 0 offset:180
	buffer_load_dword v34, off, s[0:3], 0 offset:188
	buffer_load_dword v35, off, s[0:3], 0 offset:196
	buffer_load_dword v36, off, s[0:3], 0 offset:204
	buffer_load_dword v37, off, s[0:3], 0 offset:128
	buffer_load_dword v38, off, s[0:3], 0 offset:120
	buffer_load_dword v39, off, s[0:3], 0 offset:112
	buffer_load_dword v40, off, s[0:3], 0 offset:160
	buffer_load_dword v41, off, s[0:3], 0 offset:152
	buffer_load_dword v42, off, s[0:3], 0 offset:144
	buffer_load_dword v43, off, s[0:3], 0 offset:136
	buffer_load_dword v44, off, s[0:3], 0 offset:192
	buffer_load_dword v45, off, s[0:3], 0 offset:184
	buffer_load_dword v46, off, s[0:3], 0 offset:176
	buffer_load_dword v47, off, s[0:3], 0 offset:168
	buffer_load_dword v48, off, s[0:3], 0 offset:224
	buffer_load_dword v49, off, s[0:3], 0 offset:216
	buffer_load_dword v50, off, s[0:3], 0 offset:208
	buffer_load_dword v51, off, s[0:3], 0 offset:200
	buffer_load_dword v52, off, s[0:3], 0 offset:212
	buffer_load_dword v53, off, s[0:3], 0 offset:220
	buffer_load_dword v54, off, s[0:3], 0 offset:228
	buffer_load_dword v3, off, s[0:3], 0 offset:104
	buffer_load_dword v4, off, s[0:3], 0 offset:108
	v_mov_b32_e32 v2, 0
	buffer_load_dword v55, off, s[0:3], 0 offset:232
	buffer_load_dword v56, off, s[0:3], 0 offset:236
	;; [unrolled: 1-line block ×16, first 2 shown]
	ds_read_b128 v[5:8], v2 offset:592
	ds_read_b128 v[9:12], v2 offset:608
	;; [unrolled: 1-line block ×7, first 2 shown]
	v_cmp_lt_u32_e32 vcc, 12, v0
	s_waitcnt vmcnt(47) lgkmcnt(6)
	v_mul_f32_e32 v21, v5, v23
	s_waitcnt vmcnt(46)
	v_mul_f32_e32 v22, v7, v26
	s_waitcnt vmcnt(45) lgkmcnt(5)
	v_mul_f32_e32 v154, v9, v27
	s_waitcnt vmcnt(44)
	v_mul_f32_e32 v155, v11, v28
	;; [unrolled: 4-line block ×6, first 2 shown]
	s_waitcnt vmcnt(35)
	v_fmac_f32_e32 v154, v10, v37
	s_waitcnt vmcnt(34)
	v_fmac_f32_e32 v22, v8, v38
	;; [unrolled: 2-line block ×3, first 2 shown]
	v_add_f32_e32 v21, 0, v21
	v_add_f32_e32 v21, v21, v22
	;; [unrolled: 1-line block ×3, first 2 shown]
	s_waitcnt vmcnt(29)
	v_fmac_f32_e32 v155, v12, v43
	v_fmac_f32_e32 v156, v14, v42
	v_add_f32_e32 v21, v21, v155
	v_fmac_f32_e32 v157, v16, v41
	v_add_f32_e32 v21, v21, v156
	v_add_f32_e32 v21, v21, v157
	ds_read_b128 v[154:157], v2 offset:704
	buffer_load_dword v215, off, s[0:3], 0 offset:296
	buffer_load_dword v216, off, s[0:3], 0 offset:300
	;; [unrolled: 1-line block ×10, first 2 shown]
	v_fmac_f32_e32 v158, v18, v40
	s_waitcnt vmcnt(35)
	v_fmac_f32_e32 v159, v20, v47
	v_add_f32_e32 v21, v21, v158
	buffer_load_dword v225, off, s[0:3], 0 offset:336
	buffer_load_dword v226, off, s[0:3], 0 offset:340
	buffer_load_dword v227, off, s[0:3], 0 offset:348
	buffer_load_dword v228, off, s[0:3], 0 offset:352
	buffer_load_dword v229, off, s[0:3], 0 offset:356
	buffer_load_dword v230, off, s[0:3], 0 offset:344
	v_fmac_f32_e32 v160, v143, v46
	v_add_f32_e32 v21, v21, v159
	v_fmac_f32_e32 v161, v145, v45
	v_add_f32_e32 v21, v21, v160
	v_add_f32_e32 v21, v21, v161
	ds_read_b128 v[158:161], v2 offset:720
	buffer_load_dword v231, off, s[0:3], 0 offset:360
	buffer_load_dword v232, off, s[0:3], 0 offset:364
	v_fmac_f32_e32 v162, v147, v44
	s_waitcnt vmcnt(39)
	v_fmac_f32_e32 v163, v149, v51
	v_add_f32_e32 v21, v21, v162
	v_add_f32_e32 v21, v21, v163
	ds_read_b128 v[162:165], v2 offset:736
	buffer_load_dword v233, off, s[0:3], 0 offset:368
	buffer_load_dword v234, off, s[0:3], 0 offset:372
	;; [unrolled: 1-line block ×16, first 2 shown]
	v_mul_f32_e32 v6, v6, v23
	ds_read_b128 v[166:169], v2 offset:752
	buffer_load_dword v249, off, s[0:3], 0 offset:432
	buffer_load_dword v250, off, s[0:3], 0 offset:436
	;; [unrolled: 1-line block ×6, first 2 shown]
	v_fma_f32 v5, v5, v39, -v6
	v_mul_f32_e32 v6, v8, v26
	v_add_f32_e32 v5, 0, v5
	v_fma_f32 v6, v7, v38, -v6
	v_add_f32_e32 v5, v5, v6
	v_mul_f32_e32 v6, v10, v27
	v_fma_f32 v6, v9, v37, -v6
	v_add_f32_e32 v5, v5, v6
	v_mul_f32_e32 v6, v12, v28
	ds_read_b128 v[170:173], v2 offset:768
	buffer_load_dword v255, off, s[0:3], 0 offset:460
	buffer_load_dword v70, off, s[0:3], 0 offset:464
	;; [unrolled: 1-line block ×4, first 2 shown]
	v_fma_f32 v6, v11, v43, -v6
	v_add_f32_e32 v5, v5, v6
	v_mul_f32_e32 v6, v14, v29
	v_fma_f32 v6, v13, v42, -v6
	v_add_f32_e32 v5, v5, v6
	v_mul_f32_e32 v6, v16, v30
	;; [unrolled: 3-line block ×8, first 2 shown]
	s_waitcnt vmcnt(62) lgkmcnt(5)
	v_mul_f32_e32 v22, v150, v52
	v_fma_f32 v6, v148, v51, -v6
	v_fmac_f32_e32 v22, v151, v50
	v_add_f32_e32 v5, v5, v6
	v_mul_f32_e32 v6, v151, v52
	v_add_f32_e32 v21, v21, v22
	v_mul_f32_e32 v22, v152, v53
	v_fma_f32 v6, v150, v50, -v6
	v_fmac_f32_e32 v22, v153, v49
	v_add_f32_e32 v5, v5, v6
	v_mul_f32_e32 v6, v153, v53
	v_add_f32_e32 v21, v21, v22
	s_waitcnt lgkmcnt(4)
	v_mul_f32_e32 v22, v154, v54
	v_fma_f32 v6, v152, v49, -v6
	v_fmac_f32_e32 v22, v155, v48
	v_add_f32_e32 v5, v5, v6
	v_mul_f32_e32 v6, v155, v54
	v_add_f32_e32 v21, v21, v22
	s_waitcnt vmcnt(58)
	v_mul_f32_e32 v22, v156, v56
	v_fma_f32 v6, v154, v48, -v6
	v_fmac_f32_e32 v22, v157, v55
	v_add_f32_e32 v5, v5, v6
	v_mul_f32_e32 v6, v157, v56
	v_add_f32_e32 v21, v21, v22
	s_waitcnt vmcnt(56) lgkmcnt(3)
	v_mul_f32_e32 v22, v158, v58
	v_fma_f32 v6, v156, v55, -v6
	v_fmac_f32_e32 v22, v159, v57
	v_add_f32_e32 v5, v5, v6
	v_mul_f32_e32 v6, v159, v58
	v_add_f32_e32 v21, v21, v22
	s_waitcnt vmcnt(54)
	v_mul_f32_e32 v22, v160, v60
	v_fma_f32 v6, v158, v57, -v6
	v_fmac_f32_e32 v22, v161, v59
	v_add_f32_e32 v5, v5, v6
	v_mul_f32_e32 v6, v161, v60
	v_add_f32_e32 v21, v21, v22
	s_waitcnt vmcnt(52) lgkmcnt(2)
	;; [unrolled: 14-line block ×3, first 2 shown]
	v_mul_f32_e32 v22, v166, v66
	v_fma_f32 v6, v164, v63, -v6
	v_fmac_f32_e32 v22, v167, v65
	v_add_f32_e32 v5, v5, v6
	v_mul_f32_e32 v6, v167, v66
	v_add_f32_e32 v21, v21, v22
	s_waitcnt vmcnt(46)
	v_mul_f32_e32 v22, v168, v68
	v_fma_f32 v6, v166, v65, -v6
	v_fmac_f32_e32 v22, v169, v67
	ds_read_b128 v[174:177], v2 offset:784
	ds_read_b128 v[178:181], v2 offset:800
	v_add_f32_e32 v5, v5, v6
	v_mul_f32_e32 v6, v169, v68
	v_add_f32_e32 v21, v21, v22
	s_waitcnt vmcnt(44) lgkmcnt(2)
	v_mul_f32_e32 v22, v170, v214
	v_fma_f32 v6, v168, v67, -v6
	v_fmac_f32_e32 v22, v171, v69
	v_add_f32_e32 v5, v5, v6
	v_mul_f32_e32 v6, v171, v214
	v_add_f32_e32 v21, v21, v22
	s_waitcnt vmcnt(42)
	v_mul_f32_e32 v22, v172, v216
	v_fma_f32 v6, v170, v69, -v6
	v_fmac_f32_e32 v22, v173, v215
	v_add_f32_e32 v5, v5, v6
	v_mul_f32_e32 v6, v173, v216
	v_add_f32_e32 v21, v21, v22
	s_waitcnt vmcnt(40) lgkmcnt(1)
	v_mul_f32_e32 v22, v174, v218
	v_fma_f32 v6, v172, v215, -v6
	v_fmac_f32_e32 v22, v175, v217
	v_add_f32_e32 v5, v5, v6
	v_mul_f32_e32 v6, v175, v218
	v_add_f32_e32 v21, v21, v22
	s_waitcnt vmcnt(39)
	v_mul_f32_e32 v22, v176, v219
	v_fma_f32 v6, v174, v217, -v6
	s_waitcnt vmcnt(36)
	v_fmac_f32_e32 v22, v177, v222
	ds_read_b128 v[182:185], v2 offset:816
	ds_read_b128 v[186:189], v2 offset:832
	v_add_f32_e32 v5, v5, v6
	v_mul_f32_e32 v6, v177, v219
	v_add_f32_e32 v21, v21, v22
	s_waitcnt lgkmcnt(2)
	v_mul_f32_e32 v22, v178, v221
	v_fma_f32 v6, v176, v222, -v6
	v_fmac_f32_e32 v22, v179, v220
	v_add_f32_e32 v5, v5, v6
	v_mul_f32_e32 v6, v179, v221
	v_add_f32_e32 v21, v21, v22
	s_waitcnt vmcnt(34)
	v_mul_f32_e32 v22, v180, v224
	v_fma_f32 v6, v178, v220, -v6
	v_fmac_f32_e32 v22, v181, v223
	v_add_f32_e32 v5, v5, v6
	v_mul_f32_e32 v6, v181, v224
	v_add_f32_e32 v21, v21, v22
	s_waitcnt vmcnt(32) lgkmcnt(1)
	v_mul_f32_e32 v22, v182, v226
	v_fma_f32 v6, v180, v223, -v6
	v_fmac_f32_e32 v22, v183, v225
	v_add_f32_e32 v5, v5, v6
	v_mul_f32_e32 v6, v183, v226
	v_add_f32_e32 v21, v21, v22
	s_waitcnt vmcnt(31)
	v_mul_f32_e32 v22, v184, v227
	v_fma_f32 v6, v182, v225, -v6
	s_waitcnt vmcnt(28)
	v_fmac_f32_e32 v22, v185, v230
	ds_read_b128 v[190:193], v2 offset:848
	ds_read_b128 v[194:197], v2 offset:864
	v_add_f32_e32 v5, v5, v6
	v_mul_f32_e32 v6, v185, v227
	v_add_f32_e32 v21, v21, v22
	s_waitcnt lgkmcnt(2)
	v_mul_f32_e32 v22, v186, v229
	v_fma_f32 v6, v184, v230, -v6
	v_fmac_f32_e32 v22, v187, v228
	v_add_f32_e32 v5, v5, v6
	v_mul_f32_e32 v6, v187, v229
	v_add_f32_e32 v21, v21, v22
	s_waitcnt vmcnt(26)
	v_mul_f32_e32 v22, v188, v232
	v_fma_f32 v6, v186, v228, -v6
	v_fmac_f32_e32 v22, v189, v231
	v_add_f32_e32 v5, v5, v6
	v_mul_f32_e32 v6, v189, v232
	v_add_f32_e32 v21, v21, v22
	s_waitcnt vmcnt(24) lgkmcnt(1)
	v_mul_f32_e32 v22, v190, v234
	v_fma_f32 v6, v188, v231, -v6
	v_fmac_f32_e32 v22, v191, v233
	v_add_f32_e32 v5, v5, v6
	v_mul_f32_e32 v6, v191, v234
	v_add_f32_e32 v21, v21, v22
	s_waitcnt vmcnt(23)
	v_mul_f32_e32 v22, v192, v235
	v_fma_f32 v6, v190, v233, -v6
	s_waitcnt vmcnt(20)
	v_fmac_f32_e32 v22, v193, v238
	ds_read_b128 v[198:201], v2 offset:880
	ds_read_b128 v[202:205], v2 offset:896
	v_add_f32_e32 v5, v5, v6
	v_mul_f32_e32 v6, v193, v235
	v_add_f32_e32 v21, v21, v22
	s_waitcnt lgkmcnt(2)
	v_mul_f32_e32 v22, v194, v237
	v_fma_f32 v6, v192, v238, -v6
	v_fmac_f32_e32 v22, v195, v236
	v_add_f32_e32 v5, v5, v6
	v_mul_f32_e32 v6, v195, v237
	v_add_f32_e32 v21, v21, v22
	s_waitcnt vmcnt(18)
	v_mul_f32_e32 v22, v196, v240
	v_fma_f32 v6, v194, v236, -v6
	v_fmac_f32_e32 v22, v197, v239
	v_add_f32_e32 v5, v5, v6
	v_mul_f32_e32 v6, v197, v240
	v_add_f32_e32 v21, v21, v22
	s_waitcnt vmcnt(16) lgkmcnt(1)
	v_mul_f32_e32 v22, v198, v242
	v_fma_f32 v6, v196, v239, -v6
	v_fmac_f32_e32 v22, v199, v241
	v_add_f32_e32 v5, v5, v6
	v_mul_f32_e32 v6, v199, v242
	v_add_f32_e32 v21, v21, v22
	s_waitcnt vmcnt(15)
	v_mul_f32_e32 v22, v200, v243
	v_fma_f32 v6, v198, v241, -v6
	s_waitcnt vmcnt(12)
	v_fmac_f32_e32 v22, v201, v246
	ds_read_b128 v[206:209], v2 offset:912
	ds_read_b128 v[210:213], v2 offset:928
	v_add_f32_e32 v5, v5, v6
	v_mul_f32_e32 v6, v201, v243
	v_add_f32_e32 v21, v21, v22
	s_waitcnt lgkmcnt(2)
	v_mul_f32_e32 v22, v202, v245
	v_fma_f32 v6, v200, v246, -v6
	v_fmac_f32_e32 v22, v203, v244
	v_add_f32_e32 v5, v5, v6
	v_mul_f32_e32 v6, v203, v245
	v_add_f32_e32 v21, v21, v22
	s_waitcnt vmcnt(10)
	v_mul_f32_e32 v22, v204, v248
	v_fma_f32 v6, v202, v244, -v6
	v_fmac_f32_e32 v22, v205, v247
	v_add_f32_e32 v5, v5, v6
	v_mul_f32_e32 v6, v205, v248
	v_add_f32_e32 v21, v21, v22
	s_waitcnt vmcnt(8) lgkmcnt(1)
	v_mul_f32_e32 v22, v206, v250
	v_fma_f32 v6, v204, v247, -v6
	v_fmac_f32_e32 v22, v207, v249
	v_add_f32_e32 v5, v5, v6
	v_mul_f32_e32 v6, v207, v250
	v_add_f32_e32 v21, v21, v22
	s_waitcnt vmcnt(7)
	v_mul_f32_e32 v22, v208, v251
	v_fma_f32 v6, v206, v249, -v6
	s_waitcnt vmcnt(4)
	v_fmac_f32_e32 v22, v209, v254
	v_add_f32_e32 v5, v5, v6
	v_mul_f32_e32 v6, v209, v251
	v_add_f32_e32 v73, v21, v22
	ds_read_b64 v[21:22], v2 offset:944
	v_fma_f32 v6, v208, v254, -v6
	v_add_f32_e32 v5, v5, v6
	s_waitcnt lgkmcnt(1)
	v_mul_f32_e32 v6, v211, v253
	v_mul_f32_e32 v74, v210, v253
	v_fma_f32 v6, v210, v252, -v6
	v_fmac_f32_e32 v74, v211, v252
	v_add_f32_e32 v5, v5, v6
	s_waitcnt vmcnt(3)
	v_mul_f32_e32 v6, v213, v255
	v_add_f32_e32 v73, v73, v74
	v_mul_f32_e32 v74, v212, v255
	s_waitcnt vmcnt(0)
	v_fma_f32 v6, v212, v72, -v6
	v_fmac_f32_e32 v74, v213, v72
	v_add_f32_e32 v5, v5, v6
	s_waitcnt lgkmcnt(0)
	v_mul_f32_e32 v6, v22, v71
	v_add_f32_e32 v73, v73, v74
	v_mul_f32_e32 v74, v21, v71
	v_fma_f32 v6, v21, v70, -v6
	v_fmac_f32_e32 v74, v22, v70
	v_add_f32_e32 v5, v5, v6
	v_add_f32_e32 v73, v73, v74
	v_sub_f32_e32 v3, v3, v5
	v_sub_f32_e32 v4, v4, v73
	buffer_store_dword v3, off, s[0:3], 0 offset:104
	buffer_store_dword v4, off, s[0:3], 0 offset:108
	s_and_saveexec_b64 s[4:5], vcc
	s_cbranch_execz .LBB122_343
; %bb.342:
	buffer_load_dword v3, off, s[0:3], 0 offset:96
	buffer_load_dword v4, off, s[0:3], 0 offset:100
	s_waitcnt vmcnt(0)
	ds_write_b64 v1, v[3:4]
	buffer_store_dword v2, off, s[0:3], 0 offset:96
	buffer_store_dword v2, off, s[0:3], 0 offset:100
.LBB122_343:
	s_or_b64 exec, exec, s[4:5]
	s_waitcnt lgkmcnt(0)
	; wave barrier
	buffer_load_dword v11, off, s[0:3], 0 offset:108
	buffer_load_dword v10, off, s[0:3], 0 offset:116
	;; [unrolled: 1-line block ×33, first 2 shown]
	ds_read2_b64 v[12:15], v2 offset0:73 offset1:74
	ds_read2_b64 v[16:19], v2 offset0:75 offset1:76
	ds_read2_b64 v[20:23], v2 offset0:77 offset1:78
	ds_read2_b64 v[142:145], v2 offset0:79 offset1:80
	ds_read2_b64 v[146:149], v2 offset0:81 offset1:82
	ds_read2_b64 v[150:153], v2 offset0:83 offset1:84
	buffer_load_dword v50, off, s[0:3], 0 offset:224
	buffer_load_dword v51, off, s[0:3], 0 offset:236
	;; [unrolled: 1-line block ×7, first 2 shown]
	ds_read2_b64 v[154:157], v2 offset0:85 offset1:86
	ds_read2_b64 v[158:161], v2 offset0:87 offset1:88
	buffer_load_dword v57, off, s[0:3], 0 offset:256
	buffer_load_dword v58, off, s[0:3], 0 offset:260
	buffer_load_dword v59, off, s[0:3], 0 offset:264
	buffer_load_dword v60, off, s[0:3], 0 offset:268
	buffer_load_dword v61, off, s[0:3], 0 offset:272
	buffer_load_dword v62, off, s[0:3], 0 offset:276
	buffer_load_dword v63, off, s[0:3], 0 offset:280
	buffer_load_dword v64, off, s[0:3], 0 offset:284
	v_cmp_lt_u32_e32 vcc, 11, v0
	s_waitcnt vmcnt(47) lgkmcnt(7)
	v_mul_f32_e32 v65, v12, v11
	s_waitcnt vmcnt(46)
	v_mul_f32_e32 v66, v14, v10
	s_waitcnt vmcnt(45) lgkmcnt(6)
	v_mul_f32_e32 v67, v16, v9
	s_waitcnt vmcnt(44)
	v_mul_f32_e32 v68, v18, v8
	;; [unrolled: 4-line block ×6, first 2 shown]
	s_waitcnt vmcnt(35)
	v_fmac_f32_e32 v67, v17, v31
	s_waitcnt vmcnt(34)
	v_fmac_f32_e32 v66, v15, v32
	;; [unrolled: 2-line block ×3, first 2 shown]
	v_add_f32_e32 v65, 0, v65
	v_add_f32_e32 v65, v65, v66
	;; [unrolled: 1-line block ×3, first 2 shown]
	s_waitcnt vmcnt(29)
	v_fmac_f32_e32 v68, v19, v37
	v_fmac_f32_e32 v69, v21, v36
	v_add_f32_e32 v65, v65, v68
	v_fmac_f32_e32 v70, v23, v35
	v_add_f32_e32 v65, v65, v69
	v_fmac_f32_e32 v71, v143, v34
	v_add_f32_e32 v65, v65, v70
	s_waitcnt vmcnt(25)
	v_fmac_f32_e32 v72, v145, v41
	v_add_f32_e32 v65, v65, v71
	v_fmac_f32_e32 v73, v147, v40
	v_add_f32_e32 v65, v65, v72
	;; [unrolled: 2-line block ×4, first 2 shown]
	s_waitcnt vmcnt(21)
	v_fmac_f32_e32 v162, v153, v45
	v_add_f32_e32 v65, v65, v75
	s_waitcnt vmcnt(20) lgkmcnt(1)
	v_mul_f32_e32 v66, v154, v46
	v_add_f32_e32 v65, v65, v162
	v_fmac_f32_e32 v66, v155, v44
	v_add_f32_e32 v65, v65, v66
	buffer_load_dword v66, off, s[0:3], 0 offset:288
	buffer_load_dword v67, off, s[0:3], 0 offset:292
	;; [unrolled: 1-line block ×8, first 2 shown]
	s_waitcnt vmcnt(27)
	v_mul_f32_e32 v68, v156, v47
	v_fmac_f32_e32 v68, v157, v43
	v_add_f32_e32 v65, v65, v68
	s_waitcnt vmcnt(26) lgkmcnt(0)
	v_mul_f32_e32 v68, v158, v48
	v_fmac_f32_e32 v68, v159, v42
	v_add_f32_e32 v65, v65, v68
	buffer_load_dword v68, off, s[0:3], 0 offset:320
	buffer_load_dword v75, off, s[0:3], 0 offset:324
	ds_read2_b64 v[162:165], v2 offset0:89 offset1:90
	buffer_load_dword v222, off, s[0:3], 0 offset:328
	buffer_load_dword v223, off, s[0:3], 0 offset:332
	;; [unrolled: 1-line block ×6, first 2 shown]
	s_waitcnt vmcnt(33)
	v_mul_f32_e32 v166, v160, v49
	s_waitcnt vmcnt(30)
	v_fmac_f32_e32 v166, v161, v50
	v_add_f32_e32 v65, v65, v166
	ds_read2_b64 v[166:169], v2 offset0:91 offset1:92
	buffer_load_dword v228, off, s[0:3], 0 offset:352
	buffer_load_dword v229, off, s[0:3], 0 offset:356
	;; [unrolled: 1-line block ×10, first 2 shown]
	s_waitcnt vmcnt(39) lgkmcnt(1)
	v_mul_f32_e32 v170, v162, v51
	buffer_load_dword v238, off, s[0:3], 0 offset:392
	buffer_load_dword v239, off, s[0:3], 0 offset:396
	;; [unrolled: 1-line block ×6, first 2 shown]
	s_waitcnt vmcnt(40)
	v_fmac_f32_e32 v170, v163, v56
	v_add_f32_e32 v65, v65, v170
	v_mul_f32_e32 v170, v164, v53
	v_fmac_f32_e32 v170, v165, v52
	v_add_f32_e32 v65, v65, v170
	s_waitcnt lgkmcnt(0)
	v_mul_f32_e32 v170, v166, v55
	v_fmac_f32_e32 v170, v167, v54
	v_add_f32_e32 v65, v65, v170
	ds_read2_b64 v[170:173], v2 offset0:93 offset1:94
	buffer_load_dword v244, off, s[0:3], 0 offset:416
	buffer_load_dword v245, off, s[0:3], 0 offset:420
	s_waitcnt vmcnt(40)
	v_mul_f32_e32 v174, v168, v58
	v_fmac_f32_e32 v174, v169, v57
	v_add_f32_e32 v65, v65, v174
	ds_read2_b64 v[174:177], v2 offset0:95 offset1:96
	buffer_load_dword v246, off, s[0:3], 0 offset:424
	buffer_load_dword v247, off, s[0:3], 0 offset:428
	;; [unrolled: 1-line block ×6, first 2 shown]
	v_mul_f32_e32 v11, v13, v11
	v_fma_f32 v11, v12, v33, -v11
	v_mul_f32_e32 v10, v15, v10
	v_add_f32_e32 v11, 0, v11
	v_fma_f32 v10, v14, v32, -v10
	v_mul_f32_e32 v9, v17, v9
	buffer_load_dword v252, off, s[0:3], 0 offset:448
	buffer_load_dword v253, off, s[0:3], 0 offset:452
	buffer_load_dword v254, off, s[0:3], 0 offset:460
	buffer_load_dword v255, off, s[0:3], 0 offset:464
	buffer_load_dword v76, off, s[0:3], 0 offset:468
	buffer_load_dword v77, off, s[0:3], 0 offset:456
	v_add_f32_e32 v10, v11, v10
	v_fma_f32 v9, v16, v31, -v9
	v_mul_f32_e32 v8, v19, v8
	v_add_f32_e32 v9, v10, v9
	v_fma_f32 v8, v18, v37, -v8
	v_mul_f32_e32 v7, v21, v7
	;; [unrolled: 3-line block ×4, first 2 shown]
	v_add_f32_e32 v6, v7, v6
	v_fma_f32 v5, v142, v34, -v5
	v_add_f32_e32 v5, v6, v5
	v_mul_f32_e32 v6, v145, v26
	v_fma_f32 v6, v144, v41, -v6
	v_add_f32_e32 v5, v5, v6
	v_mul_f32_e32 v6, v147, v27
	v_fma_f32 v6, v146, v40, -v6
	v_add_f32_e32 v5, v5, v6
	v_mul_f32_e32 v6, v149, v28
	v_fma_f32 v6, v148, v39, -v6
	v_add_f32_e32 v5, v5, v6
	v_mul_f32_e32 v6, v151, v29
	v_fma_f32 v6, v150, v38, -v6
	v_add_f32_e32 v5, v5, v6
	v_mul_f32_e32 v6, v153, v30
	v_fma_f32 v6, v152, v45, -v6
	s_waitcnt vmcnt(50) lgkmcnt(1)
	v_mul_f32_e32 v178, v170, v60
	v_add_f32_e32 v5, v5, v6
	v_mul_f32_e32 v6, v155, v46
	v_fmac_f32_e32 v178, v171, v59
	v_fma_f32 v6, v154, v44, -v6
	v_add_f32_e32 v65, v65, v178
	s_waitcnt vmcnt(48)
	v_mul_f32_e32 v178, v172, v62
	v_add_f32_e32 v5, v5, v6
	v_mul_f32_e32 v6, v157, v47
	v_fmac_f32_e32 v178, v173, v61
	v_fma_f32 v6, v156, v43, -v6
	v_add_f32_e32 v65, v65, v178
	s_waitcnt vmcnt(46) lgkmcnt(0)
	v_mul_f32_e32 v178, v174, v64
	v_add_f32_e32 v5, v5, v6
	v_mul_f32_e32 v6, v159, v48
	v_fmac_f32_e32 v178, v175, v63
	v_fma_f32 v6, v158, v42, -v6
	v_add_f32_e32 v65, v65, v178
	ds_read2_b64 v[178:181], v2 offset0:97 offset1:98
	v_add_f32_e32 v5, v5, v6
	v_mul_f32_e32 v6, v161, v49
	v_fma_f32 v6, v160, v50, -v6
	s_waitcnt vmcnt(44)
	v_mul_f32_e32 v182, v176, v67
	v_add_f32_e32 v5, v5, v6
	v_mul_f32_e32 v6, v163, v51
	v_fmac_f32_e32 v182, v177, v66
	v_fma_f32 v6, v162, v56, -v6
	v_add_f32_e32 v65, v65, v182
	ds_read2_b64 v[182:185], v2 offset0:99 offset1:100
	v_add_f32_e32 v5, v5, v6
	v_mul_f32_e32 v6, v165, v53
	s_waitcnt vmcnt(42) lgkmcnt(1)
	v_mul_f32_e32 v186, v178, v70
	v_fma_f32 v6, v164, v52, -v6
	v_fmac_f32_e32 v186, v179, v69
	v_add_f32_e32 v5, v5, v6
	v_mul_f32_e32 v6, v167, v55
	v_add_f32_e32 v65, v65, v186
	s_waitcnt vmcnt(41)
	v_mul_f32_e32 v186, v180, v71
	v_fma_f32 v6, v166, v54, -v6
	s_waitcnt vmcnt(38)
	v_fmac_f32_e32 v186, v181, v74
	v_add_f32_e32 v5, v5, v6
	v_mul_f32_e32 v6, v169, v58
	v_add_f32_e32 v65, v65, v186
	s_waitcnt lgkmcnt(0)
	v_mul_f32_e32 v186, v182, v73
	v_fma_f32 v6, v168, v57, -v6
	v_fmac_f32_e32 v186, v183, v72
	v_add_f32_e32 v5, v5, v6
	v_mul_f32_e32 v6, v171, v60
	v_add_f32_e32 v65, v65, v186
	ds_read2_b64 v[186:189], v2 offset0:101 offset1:102
	v_fma_f32 v6, v170, v59, -v6
	v_add_f32_e32 v5, v5, v6
	v_mul_f32_e32 v6, v173, v62
	s_waitcnt vmcnt(36)
	v_mul_f32_e32 v190, v184, v75
	v_fma_f32 v6, v172, v61, -v6
	v_fmac_f32_e32 v190, v185, v68
	v_add_f32_e32 v5, v5, v6
	v_mul_f32_e32 v6, v175, v64
	v_add_f32_e32 v65, v65, v190
	ds_read2_b64 v[190:193], v2 offset0:103 offset1:104
	v_fma_f32 v6, v174, v63, -v6
	s_waitcnt vmcnt(34) lgkmcnt(1)
	v_mul_f32_e32 v194, v186, v223
	v_add_f32_e32 v5, v5, v6
	v_mul_f32_e32 v6, v177, v67
	v_fmac_f32_e32 v194, v187, v222
	v_fma_f32 v6, v176, v66, -v6
	v_add_f32_e32 v65, v65, v194
	s_waitcnt vmcnt(33)
	v_mul_f32_e32 v194, v188, v224
	v_add_f32_e32 v5, v5, v6
	v_mul_f32_e32 v6, v179, v70
	s_waitcnt vmcnt(30)
	v_fmac_f32_e32 v194, v189, v227
	v_fma_f32 v6, v178, v69, -v6
	v_add_f32_e32 v65, v65, v194
	s_waitcnt lgkmcnt(0)
	v_mul_f32_e32 v194, v190, v226
	v_add_f32_e32 v5, v5, v6
	v_mul_f32_e32 v6, v181, v71
	v_fmac_f32_e32 v194, v191, v225
	v_fma_f32 v6, v180, v74, -v6
	v_add_f32_e32 v65, v65, v194
	ds_read2_b64 v[194:197], v2 offset0:105 offset1:106
	v_add_f32_e32 v5, v5, v6
	v_mul_f32_e32 v6, v183, v73
	v_fma_f32 v6, v182, v72, -v6
	s_waitcnt vmcnt(28)
	v_mul_f32_e32 v198, v192, v229
	v_add_f32_e32 v5, v5, v6
	v_mul_f32_e32 v6, v185, v75
	v_fmac_f32_e32 v198, v193, v228
	v_fma_f32 v6, v184, v68, -v6
	v_add_f32_e32 v65, v65, v198
	ds_read2_b64 v[198:201], v2 offset0:107 offset1:108
	v_add_f32_e32 v5, v5, v6
	v_mul_f32_e32 v6, v187, v223
	s_waitcnt vmcnt(26) lgkmcnt(1)
	v_mul_f32_e32 v202, v194, v231
	v_fma_f32 v6, v186, v222, -v6
	v_fmac_f32_e32 v202, v195, v230
	v_add_f32_e32 v5, v5, v6
	v_mul_f32_e32 v6, v189, v224
	v_add_f32_e32 v65, v65, v202
	s_waitcnt vmcnt(25)
	v_mul_f32_e32 v202, v196, v232
	v_fma_f32 v6, v188, v227, -v6
	s_waitcnt vmcnt(22)
	v_fmac_f32_e32 v202, v197, v235
	v_add_f32_e32 v5, v5, v6
	v_mul_f32_e32 v6, v191, v226
	v_add_f32_e32 v65, v65, v202
	s_waitcnt lgkmcnt(0)
	v_mul_f32_e32 v202, v198, v234
	v_fma_f32 v6, v190, v225, -v6
	v_fmac_f32_e32 v202, v199, v233
	v_add_f32_e32 v5, v5, v6
	v_mul_f32_e32 v6, v193, v229
	v_add_f32_e32 v65, v65, v202
	ds_read2_b64 v[202:205], v2 offset0:109 offset1:110
	v_fma_f32 v6, v192, v228, -v6
	v_add_f32_e32 v5, v5, v6
	v_mul_f32_e32 v6, v195, v231
	s_waitcnt vmcnt(20)
	v_mul_f32_e32 v206, v200, v237
	v_fma_f32 v6, v194, v230, -v6
	v_fmac_f32_e32 v206, v201, v236
	v_add_f32_e32 v5, v5, v6
	v_mul_f32_e32 v6, v197, v232
	v_add_f32_e32 v65, v65, v206
	ds_read2_b64 v[206:209], v2 offset0:111 offset1:112
	v_fma_f32 v6, v196, v235, -v6
	s_waitcnt vmcnt(18) lgkmcnt(1)
	v_mul_f32_e32 v210, v202, v239
	v_add_f32_e32 v5, v5, v6
	v_mul_f32_e32 v6, v199, v234
	v_fmac_f32_e32 v210, v203, v238
	v_fma_f32 v6, v198, v233, -v6
	v_add_f32_e32 v65, v65, v210
	s_waitcnt vmcnt(17)
	v_mul_f32_e32 v210, v204, v240
	v_add_f32_e32 v5, v5, v6
	v_mul_f32_e32 v6, v201, v237
	s_waitcnt vmcnt(14)
	v_fmac_f32_e32 v210, v205, v243
	v_fma_f32 v6, v200, v236, -v6
	v_add_f32_e32 v65, v65, v210
	s_waitcnt lgkmcnt(0)
	v_mul_f32_e32 v210, v206, v242
	v_add_f32_e32 v5, v5, v6
	v_mul_f32_e32 v6, v203, v239
	v_fmac_f32_e32 v210, v207, v241
	v_fma_f32 v6, v202, v238, -v6
	v_add_f32_e32 v65, v65, v210
	ds_read2_b64 v[210:213], v2 offset0:113 offset1:114
	v_add_f32_e32 v5, v5, v6
	v_mul_f32_e32 v6, v205, v240
	v_fma_f32 v6, v204, v243, -v6
	v_add_f32_e32 v5, v5, v6
	v_mul_f32_e32 v6, v207, v242
	s_waitcnt vmcnt(12)
	v_mul_f32_e32 v214, v208, v245
	v_fma_f32 v6, v206, v241, -v6
	v_fmac_f32_e32 v214, v209, v244
	v_add_f32_e32 v5, v5, v6
	v_mul_f32_e32 v6, v209, v245
	v_add_f32_e32 v65, v65, v214
	ds_read2_b64 v[214:217], v2 offset0:115 offset1:116
	s_waitcnt vmcnt(10) lgkmcnt(1)
	v_mul_f32_e32 v218, v210, v247
	v_fma_f32 v6, v208, v244, -v6
	v_fmac_f32_e32 v218, v211, v246
	v_add_f32_e32 v5, v5, v6
	v_mul_f32_e32 v6, v211, v247
	v_add_f32_e32 v65, v65, v218
	s_waitcnt vmcnt(9)
	v_mul_f32_e32 v218, v212, v248
	v_fma_f32 v6, v210, v246, -v6
	s_waitcnt vmcnt(6)
	v_fmac_f32_e32 v218, v213, v251
	v_add_f32_e32 v5, v5, v6
	v_mul_f32_e32 v6, v213, v248
	v_add_f32_e32 v65, v65, v218
	ds_read2_b64 v[218:221], v2 offset0:117 offset1:118
	v_fma_f32 v6, v212, v251, -v6
	v_add_f32_e32 v5, v5, v6
	s_waitcnt lgkmcnt(1)
	v_mul_f32_e32 v6, v215, v250
	v_mul_f32_e32 v78, v214, v250
	v_fma_f32 v6, v214, v249, -v6
	v_fmac_f32_e32 v78, v215, v249
	v_add_f32_e32 v5, v5, v6
	s_waitcnt vmcnt(4)
	v_mul_f32_e32 v6, v217, v253
	v_add_f32_e32 v2, v65, v78
	v_mul_f32_e32 v65, v216, v253
	v_fma_f32 v6, v216, v252, -v6
	v_fmac_f32_e32 v65, v217, v252
	v_add_f32_e32 v5, v5, v6
	s_waitcnt vmcnt(3) lgkmcnt(0)
	v_mul_f32_e32 v6, v219, v254
	v_add_f32_e32 v2, v2, v65
	v_mul_f32_e32 v65, v218, v254
	s_waitcnt vmcnt(0)
	v_fma_f32 v6, v218, v77, -v6
	v_fmac_f32_e32 v65, v219, v77
	v_add_f32_e32 v5, v5, v6
	v_mul_f32_e32 v6, v221, v76
	v_add_f32_e32 v2, v2, v65
	v_mul_f32_e32 v65, v220, v76
	v_fma_f32 v6, v220, v255, -v6
	v_fmac_f32_e32 v65, v221, v255
	v_add_f32_e32 v5, v5, v6
	v_add_f32_e32 v2, v2, v65
	v_sub_f32_e32 v3, v3, v5
	v_sub_f32_e32 v2, v4, v2
	buffer_store_dword v3, off, s[0:3], 0 offset:96
	buffer_store_dword v2, off, s[0:3], 0 offset:100
	s_and_saveexec_b64 s[4:5], vcc
	s_cbranch_execz .LBB122_345
; %bb.344:
	buffer_load_dword v2, off, s[0:3], 0 offset:88
	buffer_load_dword v3, off, s[0:3], 0 offset:92
	v_mov_b32_e32 v4, 0
	buffer_store_dword v4, off, s[0:3], 0 offset:88
	buffer_store_dword v4, off, s[0:3], 0 offset:92
	s_waitcnt vmcnt(2)
	ds_write_b64 v1, v[2:3]
.LBB122_345:
	s_or_b64 exec, exec, s[4:5]
	s_waitcnt lgkmcnt(0)
	; wave barrier
	buffer_load_dword v9, off, s[0:3], 0 offset:100
	buffer_load_dword v8, off, s[0:3], 0 offset:108
	buffer_load_dword v7, off, s[0:3], 0 offset:116
	buffer_load_dword v6, off, s[0:3], 0 offset:124
	buffer_load_dword v5, off, s[0:3], 0 offset:132
	buffer_load_dword v4, off, s[0:3], 0 offset:140
	buffer_load_dword v3, off, s[0:3], 0 offset:148
	buffer_load_dword v28, off, s[0:3], 0 offset:156
	buffer_load_dword v29, off, s[0:3], 0 offset:164
	buffer_load_dword v30, off, s[0:3], 0 offset:172
	buffer_load_dword v31, off, s[0:3], 0 offset:180
	buffer_load_dword v32, off, s[0:3], 0 offset:188
	buffer_load_dword v33, off, s[0:3], 0 offset:112
	buffer_load_dword v34, off, s[0:3], 0 offset:104
	buffer_load_dword v35, off, s[0:3], 0 offset:96
	buffer_load_dword v36, off, s[0:3], 0 offset:144
	buffer_load_dword v37, off, s[0:3], 0 offset:136
	buffer_load_dword v38, off, s[0:3], 0 offset:128
	buffer_load_dword v39, off, s[0:3], 0 offset:120
	buffer_load_dword v40, off, s[0:3], 0 offset:176
	buffer_load_dword v41, off, s[0:3], 0 offset:168
	buffer_load_dword v42, off, s[0:3], 0 offset:160
	buffer_load_dword v43, off, s[0:3], 0 offset:152
	buffer_load_dword v44, off, s[0:3], 0 offset:208
	buffer_load_dword v45, off, s[0:3], 0 offset:200
	buffer_load_dword v46, off, s[0:3], 0 offset:192
	buffer_load_dword v47, off, s[0:3], 0 offset:184
	buffer_load_dword v48, off, s[0:3], 0 offset:196
	buffer_load_dword v49, off, s[0:3], 0 offset:204
	buffer_load_dword v50, off, s[0:3], 0 offset:212
	buffer_load_dword v51, off, s[0:3], 0 offset:220
	buffer_load_dword v52, off, s[0:3], 0 offset:224
	buffer_load_dword v53, off, s[0:3], 0 offset:228
	buffer_load_dword v54, off, s[0:3], 0 offset:232
	buffer_load_dword v55, off, s[0:3], 0 offset:236
	buffer_load_dword v56, off, s[0:3], 0 offset:240
	buffer_load_dword v57, off, s[0:3], 0 offset:244
	buffer_load_dword v58, off, s[0:3], 0 offset:216
	buffer_load_dword v10, off, s[0:3], 0 offset:88
	buffer_load_dword v11, off, s[0:3], 0 offset:92
	v_mov_b32_e32 v2, 0
	buffer_load_dword v59, off, s[0:3], 0 offset:248
	buffer_load_dword v60, off, s[0:3], 0 offset:252
	;; [unrolled: 1-line block ×8, first 2 shown]
	ds_read_b128 v[12:15], v2 offset:576
	ds_read_b128 v[16:19], v2 offset:592
	;; [unrolled: 1-line block ×8, first 2 shown]
	v_cmp_lt_u32_e32 vcc, 10, v0
	s_waitcnt vmcnt(47) lgkmcnt(7)
	v_mul_f32_e32 v26, v12, v9
	s_waitcnt vmcnt(46)
	v_mul_f32_e32 v27, v14, v8
	s_waitcnt vmcnt(45) lgkmcnt(6)
	v_mul_f32_e32 v67, v16, v7
	s_waitcnt vmcnt(44)
	v_mul_f32_e32 v68, v18, v6
	;; [unrolled: 4-line block ×6, first 2 shown]
	s_waitcnt vmcnt(35)
	v_fmac_f32_e32 v67, v17, v33
	s_waitcnt vmcnt(34)
	v_fmac_f32_e32 v27, v15, v34
	;; [unrolled: 2-line block ×3, first 2 shown]
	v_add_f32_e32 v26, 0, v26
	v_add_f32_e32 v26, v26, v27
	;; [unrolled: 1-line block ×3, first 2 shown]
	s_waitcnt vmcnt(29)
	v_fmac_f32_e32 v68, v19, v39
	v_fmac_f32_e32 v69, v21, v38
	v_add_f32_e32 v26, v26, v68
	v_fmac_f32_e32 v70, v23, v37
	v_add_f32_e32 v26, v26, v69
	buffer_load_dword v67, off, s[0:3], 0 offset:280
	buffer_load_dword v68, off, s[0:3], 0 offset:284
	v_fmac_f32_e32 v71, v143, v36
	v_add_f32_e32 v26, v26, v70
	s_waitcnt vmcnt(27)
	v_fmac_f32_e32 v72, v145, v43
	v_add_f32_e32 v26, v26, v71
	v_fmac_f32_e32 v73, v147, v42
	v_add_f32_e32 v26, v26, v72
	;; [unrolled: 2-line block ×3, first 2 shown]
	v_add_f32_e32 v26, v26, v74
	buffer_load_dword v69, off, s[0:3], 0 offset:288
	buffer_load_dword v70, off, s[0:3], 0 offset:292
	;; [unrolled: 1-line block ×6, first 2 shown]
	v_fmac_f32_e32 v75, v151, v40
	s_waitcnt vmcnt(29)
	v_fmac_f32_e32 v76, v153, v47
	v_add_f32_e32 v26, v26, v75
	v_add_f32_e32 v26, v26, v76
	buffer_load_dword v75, off, s[0:3], 0 offset:312
	buffer_load_dword v76, off, s[0:3], 0 offset:316
	ds_read_b128 v[162:165], v2 offset:704
	buffer_load_dword v77, off, s[0:3], 0 offset:320
	buffer_load_dword v78, off, s[0:3], 0 offset:324
	;; [unrolled: 1-line block ×6, first 2 shown]
	ds_read_b128 v[166:169], v2 offset:720
	buffer_load_dword v225, off, s[0:3], 0 offset:344
	buffer_load_dword v226, off, s[0:3], 0 offset:348
	;; [unrolled: 1-line block ×10, first 2 shown]
	ds_read_b128 v[170:173], v2 offset:736
	buffer_load_dword v235, off, s[0:3], 0 offset:384
	buffer_load_dword v236, off, s[0:3], 0 offset:388
	;; [unrolled: 1-line block ×6, first 2 shown]
	ds_read_b128 v[174:177], v2 offset:752
	buffer_load_dword v241, off, s[0:3], 0 offset:408
	buffer_load_dword v242, off, s[0:3], 0 offset:412
	buffer_load_dword v243, off, s[0:3], 0 offset:416
	buffer_load_dword v244, off, s[0:3], 0 offset:420
	buffer_load_dword v245, off, s[0:3], 0 offset:428
	buffer_load_dword v246, off, s[0:3], 0 offset:432
	buffer_load_dword v247, off, s[0:3], 0 offset:436
	buffer_load_dword v248, off, s[0:3], 0 offset:424
	buffer_load_dword v249, off, s[0:3], 0 offset:440
	buffer_load_dword v250, off, s[0:3], 0 offset:444
	v_mul_f32_e32 v9, v13, v9
	v_fma_f32 v9, v12, v35, -v9
	v_mul_f32_e32 v8, v15, v8
	v_add_f32_e32 v9, 0, v9
	v_fma_f32 v8, v14, v34, -v8
	v_mul_f32_e32 v7, v17, v7
	v_add_f32_e32 v8, v9, v8
	;; [unrolled: 3-line block ×3, first 2 shown]
	v_fma_f32 v6, v18, v39, -v6
	v_mul_f32_e32 v5, v21, v5
	buffer_load_dword v251, off, s[0:3], 0 offset:448
	buffer_load_dword v252, off, s[0:3], 0 offset:452
	;; [unrolled: 1-line block ×6, first 2 shown]
	v_add_f32_e32 v6, v7, v6
	v_fma_f32 v5, v20, v38, -v5
	v_mul_f32_e32 v4, v23, v4
	v_add_f32_e32 v5, v6, v5
	v_fma_f32 v4, v22, v37, -v4
	v_mul_f32_e32 v3, v143, v3
	v_add_f32_e32 v4, v5, v4
	v_fma_f32 v3, v142, v36, -v3
	v_add_f32_e32 v3, v4, v3
	v_mul_f32_e32 v4, v145, v28
	v_fma_f32 v4, v144, v43, -v4
	v_add_f32_e32 v3, v3, v4
	v_mul_f32_e32 v4, v147, v29
	;; [unrolled: 3-line block ×5, first 2 shown]
	s_waitcnt vmcnt(62) lgkmcnt(5)
	v_mul_f32_e32 v27, v154, v48
	v_fma_f32 v4, v152, v47, -v4
	v_fmac_f32_e32 v27, v155, v46
	v_add_f32_e32 v3, v3, v4
	v_mul_f32_e32 v4, v155, v48
	v_add_f32_e32 v26, v26, v27
	v_mul_f32_e32 v27, v156, v49
	v_fma_f32 v4, v154, v46, -v4
	v_fmac_f32_e32 v27, v157, v45
	v_add_f32_e32 v3, v3, v4
	v_mul_f32_e32 v4, v157, v49
	v_add_f32_e32 v26, v26, v27
	s_waitcnt lgkmcnt(4)
	v_mul_f32_e32 v27, v158, v50
	v_fma_f32 v4, v156, v45, -v4
	v_fmac_f32_e32 v27, v159, v44
	v_add_f32_e32 v3, v3, v4
	v_mul_f32_e32 v4, v159, v50
	v_add_f32_e32 v26, v26, v27
	v_mul_f32_e32 v27, v160, v51
	v_fma_f32 v4, v158, v44, -v4
	s_waitcnt vmcnt(58)
	v_fmac_f32_e32 v27, v161, v58
	v_add_f32_e32 v3, v3, v4
	v_mul_f32_e32 v4, v161, v51
	v_add_f32_e32 v26, v26, v27
	s_waitcnt lgkmcnt(3)
	v_mul_f32_e32 v27, v162, v53
	v_fma_f32 v4, v160, v58, -v4
	v_fmac_f32_e32 v27, v163, v52
	v_add_f32_e32 v3, v3, v4
	v_mul_f32_e32 v4, v163, v53
	v_add_f32_e32 v26, v26, v27
	v_mul_f32_e32 v27, v164, v55
	v_fma_f32 v4, v162, v52, -v4
	v_fmac_f32_e32 v27, v165, v54
	v_add_f32_e32 v3, v3, v4
	v_mul_f32_e32 v4, v165, v55
	v_add_f32_e32 v26, v26, v27
	s_waitcnt lgkmcnt(2)
	v_mul_f32_e32 v27, v166, v57
	v_fma_f32 v4, v164, v54, -v4
	v_fmac_f32_e32 v27, v167, v56
	v_add_f32_e32 v3, v3, v4
	v_mul_f32_e32 v4, v167, v57
	v_add_f32_e32 v26, v26, v27
	s_waitcnt vmcnt(54)
	v_mul_f32_e32 v27, v168, v60
	v_fma_f32 v4, v166, v56, -v4
	v_fmac_f32_e32 v27, v169, v59
	v_add_f32_e32 v3, v3, v4
	v_mul_f32_e32 v4, v169, v60
	v_add_f32_e32 v26, v26, v27
	s_waitcnt vmcnt(52) lgkmcnt(1)
	v_mul_f32_e32 v27, v170, v62
	v_fma_f32 v4, v168, v59, -v4
	v_fmac_f32_e32 v27, v171, v61
	v_add_f32_e32 v3, v3, v4
	v_mul_f32_e32 v4, v171, v62
	v_add_f32_e32 v26, v26, v27
	s_waitcnt vmcnt(50)
	v_mul_f32_e32 v27, v172, v64
	v_fma_f32 v4, v170, v61, -v4
	v_fmac_f32_e32 v27, v173, v63
	ds_read_b128 v[178:181], v2 offset:768
	ds_read_b128 v[182:185], v2 offset:784
	v_add_f32_e32 v3, v3, v4
	v_mul_f32_e32 v4, v173, v64
	v_add_f32_e32 v26, v26, v27
	s_waitcnt vmcnt(48) lgkmcnt(2)
	v_mul_f32_e32 v27, v174, v66
	v_fma_f32 v4, v172, v63, -v4
	v_fmac_f32_e32 v27, v175, v65
	v_add_f32_e32 v3, v3, v4
	v_mul_f32_e32 v4, v175, v66
	v_add_f32_e32 v26, v26, v27
	s_waitcnt vmcnt(46)
	v_mul_f32_e32 v27, v176, v68
	v_fma_f32 v4, v174, v65, -v4
	v_fmac_f32_e32 v27, v177, v67
	v_add_f32_e32 v3, v3, v4
	v_mul_f32_e32 v4, v177, v68
	v_add_f32_e32 v26, v26, v27
	s_waitcnt vmcnt(44) lgkmcnt(1)
	v_mul_f32_e32 v27, v178, v70
	v_fma_f32 v4, v176, v67, -v4
	v_fmac_f32_e32 v27, v179, v69
	v_add_f32_e32 v3, v3, v4
	v_mul_f32_e32 v4, v179, v70
	v_add_f32_e32 v26, v26, v27
	s_waitcnt vmcnt(43)
	v_mul_f32_e32 v27, v180, v71
	v_fma_f32 v4, v178, v69, -v4
	s_waitcnt vmcnt(40)
	v_fmac_f32_e32 v27, v181, v74
	ds_read_b128 v[186:189], v2 offset:800
	ds_read_b128 v[190:193], v2 offset:816
	v_add_f32_e32 v3, v3, v4
	v_mul_f32_e32 v4, v181, v71
	v_add_f32_e32 v26, v26, v27
	s_waitcnt lgkmcnt(2)
	v_mul_f32_e32 v27, v182, v73
	v_fma_f32 v4, v180, v74, -v4
	v_fmac_f32_e32 v27, v183, v72
	v_add_f32_e32 v3, v3, v4
	v_mul_f32_e32 v4, v183, v73
	v_add_f32_e32 v26, v26, v27
	s_waitcnt vmcnt(38)
	v_mul_f32_e32 v27, v184, v76
	v_fma_f32 v4, v182, v72, -v4
	v_fmac_f32_e32 v27, v185, v75
	v_add_f32_e32 v3, v3, v4
	v_mul_f32_e32 v4, v185, v76
	v_add_f32_e32 v26, v26, v27
	s_waitcnt vmcnt(36) lgkmcnt(1)
	v_mul_f32_e32 v27, v186, v78
	v_fma_f32 v4, v184, v75, -v4
	v_fmac_f32_e32 v27, v187, v77
	v_add_f32_e32 v3, v3, v4
	v_mul_f32_e32 v4, v187, v78
	v_add_f32_e32 v26, v26, v27
	s_waitcnt vmcnt(35)
	v_mul_f32_e32 v27, v188, v79
	v_fma_f32 v4, v186, v77, -v4
	s_waitcnt vmcnt(32)
	v_fmac_f32_e32 v27, v189, v224
	ds_read_b128 v[194:197], v2 offset:832
	ds_read_b128 v[198:201], v2 offset:848
	v_add_f32_e32 v3, v3, v4
	v_mul_f32_e32 v4, v189, v79
	v_add_f32_e32 v26, v26, v27
	s_waitcnt lgkmcnt(2)
	;; [unrolled: 31-line block ×4, first 2 shown]
	v_mul_f32_e32 v27, v206, v239
	v_fma_f32 v4, v204, v240, -v4
	v_fmac_f32_e32 v27, v207, v238
	v_add_f32_e32 v3, v3, v4
	v_mul_f32_e32 v4, v207, v239
	v_add_f32_e32 v26, v26, v27
	s_waitcnt vmcnt(14)
	v_mul_f32_e32 v27, v208, v242
	v_fma_f32 v4, v206, v238, -v4
	v_fmac_f32_e32 v27, v209, v241
	v_add_f32_e32 v3, v3, v4
	v_mul_f32_e32 v4, v209, v242
	v_add_f32_e32 v26, v26, v27
	s_waitcnt vmcnt(12) lgkmcnt(1)
	v_mul_f32_e32 v27, v210, v244
	v_fma_f32 v4, v208, v241, -v4
	v_fmac_f32_e32 v27, v211, v243
	v_add_f32_e32 v3, v3, v4
	v_mul_f32_e32 v4, v211, v244
	v_add_f32_e32 v26, v26, v27
	s_waitcnt vmcnt(11)
	v_mul_f32_e32 v27, v212, v245
	v_fma_f32 v4, v210, v243, -v4
	s_waitcnt vmcnt(8)
	v_fmac_f32_e32 v27, v213, v248
	v_add_f32_e32 v3, v3, v4
	v_mul_f32_e32 v4, v213, v245
	v_add_f32_e32 v26, v26, v27
	s_waitcnt lgkmcnt(0)
	v_mul_f32_e32 v27, v214, v247
	ds_read_b128 v[218:221], v2 offset:928
	v_fma_f32 v4, v212, v248, -v4
	v_fmac_f32_e32 v27, v215, v246
	v_add_f32_e32 v3, v3, v4
	v_mul_f32_e32 v4, v215, v247
	v_add_f32_e32 v26, v26, v27
	s_waitcnt vmcnt(6)
	v_mul_f32_e32 v27, v216, v250
	v_fma_f32 v4, v214, v246, -v4
	v_fmac_f32_e32 v27, v217, v249
	v_add_f32_e32 v3, v3, v4
	v_mul_f32_e32 v4, v217, v250
	v_add_f32_e32 v81, v26, v27
	ds_read_b64 v[26:27], v2 offset:944
	v_fma_f32 v4, v216, v249, -v4
	v_add_f32_e32 v3, v3, v4
	s_waitcnt vmcnt(4) lgkmcnt(1)
	v_mul_f32_e32 v4, v219, v252
	v_mul_f32_e32 v82, v218, v252
	v_fma_f32 v4, v218, v251, -v4
	v_fmac_f32_e32 v82, v219, v251
	v_add_f32_e32 v3, v3, v4
	s_waitcnt vmcnt(3)
	v_mul_f32_e32 v4, v221, v253
	v_add_f32_e32 v81, v81, v82
	v_mul_f32_e32 v82, v220, v253
	s_waitcnt vmcnt(0)
	v_fma_f32 v4, v220, v80, -v4
	v_fmac_f32_e32 v82, v221, v80
	v_add_f32_e32 v3, v3, v4
	s_waitcnt lgkmcnt(0)
	v_mul_f32_e32 v4, v27, v255
	v_add_f32_e32 v81, v81, v82
	v_mul_f32_e32 v82, v26, v255
	v_fma_f32 v4, v26, v254, -v4
	v_fmac_f32_e32 v82, v27, v254
	v_add_f32_e32 v3, v3, v4
	v_add_f32_e32 v81, v81, v82
	v_sub_f32_e32 v3, v10, v3
	v_sub_f32_e32 v4, v11, v81
	buffer_store_dword v3, off, s[0:3], 0 offset:88
	buffer_store_dword v4, off, s[0:3], 0 offset:92
	s_and_saveexec_b64 s[4:5], vcc
	s_cbranch_execz .LBB122_347
; %bb.346:
	buffer_load_dword v3, off, s[0:3], 0 offset:80
	buffer_load_dword v4, off, s[0:3], 0 offset:84
	s_waitcnt vmcnt(0)
	ds_write_b64 v1, v[3:4]
	buffer_store_dword v2, off, s[0:3], 0 offset:80
	buffer_store_dword v2, off, s[0:3], 0 offset:84
.LBB122_347:
	s_or_b64 exec, exec, s[4:5]
	s_waitcnt lgkmcnt(0)
	; wave barrier
	buffer_load_dword v9, off, s[0:3], 0 offset:92
	buffer_load_dword v8, off, s[0:3], 0 offset:100
	;; [unrolled: 1-line block ×40, first 2 shown]
	ds_read2_b64 v[158:161], v2 offset0:71 offset1:72
	ds_read2_b64 v[162:165], v2 offset0:73 offset1:74
	;; [unrolled: 1-line block ×7, first 2 shown]
	buffer_load_dword v29, off, s[0:3], 0 offset:240
	buffer_load_dword v30, off, s[0:3], 0 offset:244
	;; [unrolled: 1-line block ×8, first 2 shown]
	v_cmp_lt_u32_e32 vcc, 9, v0
	s_waitcnt vmcnt(47) lgkmcnt(6)
	v_mul_f32_e32 v37, v158, v9
	s_waitcnt vmcnt(46)
	v_mul_f32_e32 v38, v160, v8
	s_waitcnt vmcnt(45) lgkmcnt(5)
	v_mul_f32_e32 v39, v162, v7
	s_waitcnt vmcnt(44)
	v_mul_f32_e32 v40, v164, v6
	;; [unrolled: 4-line block ×6, first 2 shown]
	s_waitcnt vmcnt(35)
	v_fmac_f32_e32 v39, v163, v22
	s_waitcnt vmcnt(34)
	v_fmac_f32_e32 v38, v161, v143
	;; [unrolled: 2-line block ×3, first 2 shown]
	v_add_f32_e32 v37, 0, v37
	v_add_f32_e32 v37, v37, v38
	;; [unrolled: 1-line block ×3, first 2 shown]
	buffer_load_dword v38, off, s[0:3], 0 offset:272
	buffer_load_dword v39, off, s[0:3], 0 offset:276
	s_waitcnt vmcnt(31)
	v_fmac_f32_e32 v40, v165, v145
	v_fmac_f32_e32 v41, v167, v142
	v_add_f32_e32 v37, v37, v40
	v_fmac_f32_e32 v42, v169, v21
	v_add_f32_e32 v37, v37, v41
	;; [unrolled: 2-line block ×3, first 2 shown]
	s_waitcnt vmcnt(27)
	v_fmac_f32_e32 v44, v173, v23
	v_add_f32_e32 v37, v37, v43
	v_fmac_f32_e32 v45, v175, v20
	v_add_f32_e32 v37, v37, v44
	;; [unrolled: 2-line block ×4, first 2 shown]
	ds_read2_b64 v[186:189], v2 offset0:85 offset1:86
	s_waitcnt vmcnt(23)
	v_fmac_f32_e32 v48, v181, v153
	v_add_f32_e32 v37, v37, v47
	s_waitcnt vmcnt(22) lgkmcnt(1)
	v_mul_f32_e32 v40, v182, v152
	v_add_f32_e32 v37, v37, v48
	v_fmac_f32_e32 v40, v183, v149
	v_add_f32_e32 v37, v37, v40
	s_waitcnt vmcnt(21)
	v_mul_f32_e32 v40, v184, v150
	v_fmac_f32_e32 v40, v185, v147
	v_add_f32_e32 v37, v37, v40
	s_waitcnt vmcnt(20) lgkmcnt(0)
	v_mul_f32_e32 v40, v186, v148
	v_fmac_f32_e32 v40, v187, v144
	v_add_f32_e32 v37, v37, v40
	buffer_load_dword v40, off, s[0:3], 0 offset:280
	buffer_load_dword v41, off, s[0:3], 0 offset:284
	;; [unrolled: 1-line block ×6, first 2 shown]
	s_waitcnt vmcnt(25)
	v_mul_f32_e32 v46, v188, v151
	s_waitcnt vmcnt(18)
	v_fmac_f32_e32 v46, v189, v28
	ds_read2_b64 v[190:193], v2 offset0:87 offset1:88
	v_add_f32_e32 v37, v37, v46
	buffer_load_dword v46, off, s[0:3], 0 offset:304
	buffer_load_dword v47, off, s[0:3], 0 offset:308
	ds_read2_b64 v[194:197], v2 offset0:89 offset1:90
	buffer_load_dword v49, off, s[0:3], 0 offset:312
	buffer_load_dword v50, off, s[0:3], 0 offset:316
	;; [unrolled: 1-line block ×14, first 2 shown]
	s_waitcnt lgkmcnt(1)
	v_mul_f32_e32 v48, v190, v155
	v_fmac_f32_e32 v48, v191, v154
	v_add_f32_e32 v37, v37, v48
	v_mul_f32_e32 v48, v192, v157
	buffer_load_dword v63, off, s[0:3], 0 offset:368
	buffer_load_dword v64, off, s[0:3], 0 offset:372
	v_fmac_f32_e32 v48, v193, v156
	v_add_f32_e32 v37, v37, v48
	s_waitcnt lgkmcnt(0)
	v_mul_f32_e32 v48, v194, v27
	v_fmac_f32_e32 v48, v195, v26
	v_add_f32_e32 v37, v37, v48
	s_waitcnt vmcnt(32)
	v_mul_f32_e32 v48, v196, v30
	ds_read2_b64 v[198:201], v2 offset0:91 offset1:92
	v_fmac_f32_e32 v48, v197, v29
	v_add_f32_e32 v37, v37, v48
	buffer_load_dword v48, off, s[0:3], 0 offset:376
	buffer_load_dword v65, off, s[0:3], 0 offset:380
	;; [unrolled: 1-line block ×6, first 2 shown]
	ds_read2_b64 v[202:205], v2 offset0:93 offset1:94
	s_waitcnt vmcnt(36) lgkmcnt(1)
	v_mul_f32_e32 v70, v198, v32
	v_fmac_f32_e32 v70, v199, v31
	v_add_f32_e32 v37, v37, v70
	buffer_load_dword v70, off, s[0:3], 0 offset:400
	buffer_load_dword v71, off, s[0:3], 0 offset:404
	;; [unrolled: 1-line block ×8, first 2 shown]
	s_waitcnt vmcnt(42)
	v_mul_f32_e32 v72, v200, v34
	v_fmac_f32_e32 v72, v201, v33
	v_add_f32_e32 v37, v37, v72
	s_waitcnt vmcnt(40) lgkmcnt(0)
	v_mul_f32_e32 v72, v202, v36
	v_fmac_f32_e32 v72, v203, v35
	v_add_f32_e32 v37, v37, v72
	buffer_load_dword v72, off, s[0:3], 0 offset:432
	buffer_load_dword v79, off, s[0:3], 0 offset:436
	v_mul_f32_e32 v9, v159, v9
	v_fma_f32 v9, v158, v146, -v9
	v_mul_f32_e32 v8, v161, v8
	v_add_f32_e32 v9, 0, v9
	v_fma_f32 v8, v160, v143, -v8
	v_mul_f32_e32 v7, v163, v7
	v_add_f32_e32 v8, v9, v8
	;; [unrolled: 3-line block ×3, first 2 shown]
	v_fma_f32 v6, v164, v145, -v6
	v_mul_f32_e32 v5, v167, v5
	buffer_load_dword v81, off, s[0:3], 0 offset:440
	buffer_load_dword v82, off, s[0:3], 0 offset:444
	;; [unrolled: 1-line block ×6, first 2 shown]
	v_add_f32_e32 v6, v7, v6
	v_fma_f32 v5, v166, v142, -v5
	v_mul_f32_e32 v4, v169, v4
	s_waitcnt vmcnt(46)
	v_mul_f32_e32 v80, v204, v39
	v_add_f32_e32 v5, v6, v5
	v_fma_f32 v4, v168, v21, -v4
	v_mul_f32_e32 v3, v171, v3
	v_fmac_f32_e32 v80, v205, v38
	v_add_f32_e32 v4, v5, v4
	v_fma_f32 v3, v170, v19, -v3
	ds_read2_b64 v[206:209], v2 offset0:95 offset1:96
	ds_read2_b64 v[210:213], v2 offset0:97 offset1:98
	v_add_f32_e32 v37, v37, v80
	buffer_load_dword v80, off, s[0:3], 0 offset:464
	buffer_load_dword v85, off, s[0:3], 0 offset:468
	v_add_f32_e32 v3, v4, v3
	v_mul_f32_e32 v4, v173, v12
	v_fma_f32 v4, v172, v23, -v4
	v_add_f32_e32 v3, v3, v4
	v_mul_f32_e32 v4, v175, v13
	v_fma_f32 v4, v174, v20, -v4
	;; [unrolled: 3-line block ×9, first 2 shown]
	v_add_f32_e32 v3, v3, v4
	v_mul_f32_e32 v4, v191, v155
	s_waitcnt vmcnt(46) lgkmcnt(1)
	v_mul_f32_e32 v214, v206, v41
	v_fma_f32 v4, v190, v154, -v4
	v_fmac_f32_e32 v214, v207, v40
	v_add_f32_e32 v3, v3, v4
	v_mul_f32_e32 v4, v193, v157
	v_add_f32_e32 v37, v37, v214
	s_waitcnt vmcnt(45)
	v_mul_f32_e32 v214, v208, v42
	v_fma_f32 v4, v192, v156, -v4
	s_waitcnt vmcnt(42)
	v_fmac_f32_e32 v214, v209, v45
	v_add_f32_e32 v3, v3, v4
	v_mul_f32_e32 v4, v195, v27
	v_add_f32_e32 v37, v37, v214
	s_waitcnt lgkmcnt(0)
	v_mul_f32_e32 v214, v210, v44
	v_fma_f32 v4, v194, v26, -v4
	v_fmac_f32_e32 v214, v211, v43
	v_add_f32_e32 v3, v3, v4
	v_mul_f32_e32 v4, v197, v30
	v_add_f32_e32 v37, v37, v214
	ds_read2_b64 v[214:217], v2 offset0:99 offset1:100
	v_fma_f32 v4, v196, v29, -v4
	v_add_f32_e32 v3, v3, v4
	v_mul_f32_e32 v4, v199, v32
	s_waitcnt vmcnt(40)
	v_mul_f32_e32 v218, v212, v47
	v_fma_f32 v4, v198, v31, -v4
	v_fmac_f32_e32 v218, v213, v46
	v_add_f32_e32 v3, v3, v4
	v_mul_f32_e32 v4, v201, v34
	v_add_f32_e32 v37, v37, v218
	ds_read2_b64 v[218:221], v2 offset0:101 offset1:102
	v_fma_f32 v4, v200, v33, -v4
	s_waitcnt vmcnt(38) lgkmcnt(1)
	v_mul_f32_e32 v222, v214, v50
	v_add_f32_e32 v3, v3, v4
	v_mul_f32_e32 v4, v203, v36
	v_fmac_f32_e32 v222, v215, v49
	v_fma_f32 v4, v202, v35, -v4
	v_add_f32_e32 v37, v37, v222
	s_waitcnt vmcnt(37)
	v_mul_f32_e32 v222, v216, v51
	v_add_f32_e32 v3, v3, v4
	v_mul_f32_e32 v4, v205, v39
	s_waitcnt vmcnt(34)
	v_fmac_f32_e32 v222, v217, v54
	v_fma_f32 v4, v204, v38, -v4
	v_add_f32_e32 v37, v37, v222
	s_waitcnt lgkmcnt(0)
	v_mul_f32_e32 v222, v218, v53
	v_add_f32_e32 v3, v3, v4
	v_mul_f32_e32 v4, v207, v41
	v_fmac_f32_e32 v222, v219, v52
	v_fma_f32 v4, v206, v40, -v4
	v_add_f32_e32 v37, v37, v222
	ds_read2_b64 v[222:225], v2 offset0:103 offset1:104
	v_add_f32_e32 v3, v3, v4
	v_mul_f32_e32 v4, v209, v42
	v_fma_f32 v4, v208, v45, -v4
	s_waitcnt vmcnt(32)
	v_mul_f32_e32 v226, v220, v56
	v_add_f32_e32 v3, v3, v4
	v_mul_f32_e32 v4, v211, v44
	v_fmac_f32_e32 v226, v221, v55
	v_fma_f32 v4, v210, v43, -v4
	v_add_f32_e32 v37, v37, v226
	ds_read2_b64 v[226:229], v2 offset0:105 offset1:106
	v_add_f32_e32 v3, v3, v4
	v_mul_f32_e32 v4, v213, v47
	s_waitcnt vmcnt(30) lgkmcnt(1)
	v_mul_f32_e32 v230, v222, v58
	v_fma_f32 v4, v212, v46, -v4
	v_fmac_f32_e32 v230, v223, v57
	v_add_f32_e32 v3, v3, v4
	v_mul_f32_e32 v4, v215, v50
	v_add_f32_e32 v37, v37, v230
	s_waitcnt vmcnt(29)
	v_mul_f32_e32 v230, v224, v59
	v_fma_f32 v4, v214, v49, -v4
	s_waitcnt vmcnt(26)
	v_fmac_f32_e32 v230, v225, v62
	v_add_f32_e32 v3, v3, v4
	v_mul_f32_e32 v4, v217, v51
	v_add_f32_e32 v37, v37, v230
	s_waitcnt lgkmcnt(0)
	v_mul_f32_e32 v230, v226, v61
	v_fma_f32 v4, v216, v54, -v4
	v_fmac_f32_e32 v230, v227, v60
	v_add_f32_e32 v3, v3, v4
	v_mul_f32_e32 v4, v219, v53
	v_add_f32_e32 v37, v37, v230
	ds_read2_b64 v[230:233], v2 offset0:107 offset1:108
	v_fma_f32 v4, v218, v52, -v4
	v_add_f32_e32 v3, v3, v4
	v_mul_f32_e32 v4, v221, v56
	s_waitcnt vmcnt(24)
	v_mul_f32_e32 v234, v228, v64
	v_fma_f32 v4, v220, v55, -v4
	v_fmac_f32_e32 v234, v229, v63
	v_add_f32_e32 v3, v3, v4
	v_mul_f32_e32 v4, v223, v58
	v_add_f32_e32 v37, v37, v234
	ds_read2_b64 v[234:237], v2 offset0:109 offset1:110
	v_fma_f32 v4, v222, v57, -v4
	s_waitcnt vmcnt(22) lgkmcnt(1)
	v_mul_f32_e32 v238, v230, v65
	v_add_f32_e32 v3, v3, v4
	v_mul_f32_e32 v4, v225, v59
	v_fmac_f32_e32 v238, v231, v48
	v_fma_f32 v4, v224, v62, -v4
	v_add_f32_e32 v37, v37, v238
	s_waitcnt vmcnt(21)
	v_mul_f32_e32 v238, v232, v66
	v_add_f32_e32 v3, v3, v4
	v_mul_f32_e32 v4, v227, v61
	s_waitcnt vmcnt(18)
	v_fmac_f32_e32 v238, v233, v69
	v_fma_f32 v4, v226, v60, -v4
	v_add_f32_e32 v37, v37, v238
	s_waitcnt lgkmcnt(0)
	v_mul_f32_e32 v238, v234, v68
	v_add_f32_e32 v3, v3, v4
	v_mul_f32_e32 v4, v229, v64
	v_fmac_f32_e32 v238, v235, v67
	v_fma_f32 v4, v228, v63, -v4
	v_add_f32_e32 v37, v37, v238
	ds_read2_b64 v[238:241], v2 offset0:111 offset1:112
	v_add_f32_e32 v3, v3, v4
	v_mul_f32_e32 v4, v231, v65
	v_fma_f32 v4, v230, v48, -v4
	s_waitcnt vmcnt(16)
	v_mul_f32_e32 v242, v236, v71
	v_add_f32_e32 v3, v3, v4
	v_mul_f32_e32 v4, v233, v66
	v_fmac_f32_e32 v242, v237, v70
	v_fma_f32 v4, v232, v69, -v4
	v_add_f32_e32 v37, v37, v242
	ds_read2_b64 v[242:245], v2 offset0:113 offset1:114
	v_add_f32_e32 v3, v3, v4
	v_mul_f32_e32 v4, v235, v68
	s_waitcnt vmcnt(14) lgkmcnt(1)
	v_mul_f32_e32 v246, v238, v74
	v_fma_f32 v4, v234, v67, -v4
	v_fmac_f32_e32 v246, v239, v73
	v_add_f32_e32 v3, v3, v4
	v_mul_f32_e32 v4, v237, v71
	v_add_f32_e32 v37, v37, v246
	s_waitcnt vmcnt(13)
	v_mul_f32_e32 v246, v240, v75
	v_fma_f32 v4, v236, v70, -v4
	s_waitcnt vmcnt(10)
	v_fmac_f32_e32 v246, v241, v78
	v_add_f32_e32 v3, v3, v4
	v_mul_f32_e32 v4, v239, v74
	v_add_f32_e32 v37, v37, v246
	s_waitcnt lgkmcnt(0)
	v_mul_f32_e32 v246, v242, v77
	v_fma_f32 v4, v238, v73, -v4
	v_fmac_f32_e32 v246, v243, v76
	v_add_f32_e32 v3, v3, v4
	v_mul_f32_e32 v4, v241, v75
	v_add_f32_e32 v37, v37, v246
	ds_read2_b64 v[246:249], v2 offset0:115 offset1:116
	v_fma_f32 v4, v240, v78, -v4
	v_add_f32_e32 v3, v3, v4
	v_mul_f32_e32 v4, v243, v77
	s_waitcnt vmcnt(8)
	v_mul_f32_e32 v250, v244, v79
	v_fma_f32 v4, v242, v76, -v4
	v_fmac_f32_e32 v250, v245, v72
	v_add_f32_e32 v3, v3, v4
	v_mul_f32_e32 v4, v245, v79
	v_add_f32_e32 v37, v37, v250
	ds_read2_b64 v[250:253], v2 offset0:117 offset1:118
	v_fma_f32 v4, v244, v72, -v4
	v_add_f32_e32 v3, v3, v4
	s_waitcnt vmcnt(6) lgkmcnt(1)
	v_mul_f32_e32 v4, v247, v82
	v_mul_f32_e32 v2, v246, v82
	v_fma_f32 v4, v246, v81, -v4
	v_fmac_f32_e32 v2, v247, v81
	v_add_f32_e32 v3, v3, v4
	s_waitcnt vmcnt(5)
	v_mul_f32_e32 v4, v249, v83
	v_add_f32_e32 v2, v37, v2
	v_mul_f32_e32 v37, v248, v83
	s_waitcnt vmcnt(2)
	v_fma_f32 v4, v248, v84, -v4
	v_fmac_f32_e32 v37, v249, v84
	v_add_f32_e32 v3, v3, v4
	s_waitcnt lgkmcnt(0)
	v_mul_f32_e32 v4, v251, v255
	v_add_f32_e32 v2, v2, v37
	v_mul_f32_e32 v37, v250, v255
	v_fma_f32 v4, v250, v254, -v4
	v_fmac_f32_e32 v37, v251, v254
	v_add_f32_e32 v3, v3, v4
	s_waitcnt vmcnt(0)
	v_mul_f32_e32 v4, v253, v85
	v_add_f32_e32 v2, v2, v37
	v_mul_f32_e32 v37, v252, v85
	v_fma_f32 v4, v252, v80, -v4
	v_fmac_f32_e32 v37, v253, v80
	v_add_f32_e32 v3, v3, v4
	v_add_f32_e32 v2, v2, v37
	v_sub_f32_e32 v3, v10, v3
	v_sub_f32_e32 v2, v11, v2
	buffer_store_dword v3, off, s[0:3], 0 offset:80
	buffer_store_dword v2, off, s[0:3], 0 offset:84
	s_and_saveexec_b64 s[4:5], vcc
	s_cbranch_execz .LBB122_349
; %bb.348:
	buffer_load_dword v2, off, s[0:3], 0 offset:72
	buffer_load_dword v3, off, s[0:3], 0 offset:76
	v_mov_b32_e32 v4, 0
	buffer_store_dword v4, off, s[0:3], 0 offset:72
	buffer_store_dword v4, off, s[0:3], 0 offset:76
	s_waitcnt vmcnt(2)
	ds_write_b64 v1, v[2:3]
.LBB122_349:
	s_or_b64 exec, exec, s[4:5]
	s_waitcnt lgkmcnt(0)
	; wave barrier
	buffer_load_dword v9, off, s[0:3], 0 offset:84
	buffer_load_dword v8, off, s[0:3], 0 offset:92
	;; [unrolled: 1-line block ×40, first 2 shown]
	v_mov_b32_e32 v2, 0
	buffer_load_dword v55, off, s[0:3], 0 offset:232
	buffer_load_dword v56, off, s[0:3], 0 offset:236
	;; [unrolled: 1-line block ×10, first 2 shown]
	ds_read_b128 v[16:19], v2 offset:560
	ds_read_b128 v[20:23], v2 offset:576
	;; [unrolled: 1-line block ×8, first 2 shown]
	v_cmp_lt_u32_e32 vcc, 8, v0
	s_waitcnt vmcnt(49) lgkmcnt(7)
	v_mul_f32_e32 v26, v16, v9
	s_waitcnt vmcnt(48)
	v_mul_f32_e32 v27, v18, v8
	s_waitcnt vmcnt(47) lgkmcnt(6)
	v_mul_f32_e32 v65, v20, v7
	s_waitcnt vmcnt(46)
	v_mul_f32_e32 v66, v22, v6
	s_waitcnt vmcnt(45) lgkmcnt(5)
	v_mul_f32_e32 v67, v142, v5
	s_waitcnt vmcnt(44)
	v_mul_f32_e32 v68, v144, v4
	s_waitcnt vmcnt(43) lgkmcnt(4)
	v_mul_f32_e32 v69, v146, v3
	s_waitcnt vmcnt(42)
	v_mul_f32_e32 v70, v148, v12
	s_waitcnt vmcnt(41) lgkmcnt(3)
	v_mul_f32_e32 v71, v150, v13
	s_waitcnt vmcnt(40)
	v_mul_f32_e32 v72, v152, v14
	s_waitcnt vmcnt(39) lgkmcnt(2)
	v_mul_f32_e32 v73, v154, v15
	s_waitcnt vmcnt(38)
	v_fmac_f32_e32 v65, v21, v28
	s_waitcnt vmcnt(37)
	v_fmac_f32_e32 v27, v19, v29
	s_waitcnt vmcnt(36)
	v_fmac_f32_e32 v26, v17, v30
	v_add_f32_e32 v26, 0, v26
	v_add_f32_e32 v26, v26, v27
	;; [unrolled: 1-line block ×3, first 2 shown]
	s_waitcnt vmcnt(32)
	v_fmac_f32_e32 v66, v23, v34
	v_fmac_f32_e32 v67, v143, v33
	v_add_f32_e32 v26, v26, v66
	v_fmac_f32_e32 v68, v145, v32
	v_add_f32_e32 v26, v26, v67
	buffer_load_dword v65, off, s[0:3], 0 offset:272
	buffer_load_dword v66, off, s[0:3], 0 offset:276
	v_fmac_f32_e32 v69, v147, v31
	v_add_f32_e32 v26, v26, v68
	s_waitcnt vmcnt(30)
	v_fmac_f32_e32 v70, v149, v38
	v_add_f32_e32 v26, v26, v69
	v_add_f32_e32 v26, v26, v70
	ds_read_b128 v[166:169], v2 offset:688
	buffer_load_dword v67, off, s[0:3], 0 offset:284
	buffer_load_dword v68, off, s[0:3], 0 offset:288
	;; [unrolled: 1-line block ×4, first 2 shown]
	v_fmac_f32_e32 v71, v151, v37
	v_fmac_f32_e32 v72, v153, v36
	v_add_f32_e32 v26, v26, v71
	v_add_f32_e32 v26, v26, v72
	ds_read_b128 v[170:173], v2 offset:704
	buffer_load_dword v71, off, s[0:3], 0 offset:296
	buffer_load_dword v72, off, s[0:3], 0 offset:300
	v_fmac_f32_e32 v73, v155, v35
	v_add_f32_e32 v26, v26, v73
	buffer_load_dword v73, off, s[0:3], 0 offset:304
	buffer_load_dword v74, off, s[0:3], 0 offset:308
	;; [unrolled: 1-line block ×14, first 2 shown]
	ds_read_b128 v[174:177], v2 offset:720
	buffer_load_dword v231, off, s[0:3], 0 offset:360
	buffer_load_dword v232, off, s[0:3], 0 offset:364
	ds_read_b128 v[178:181], v2 offset:736
	buffer_load_dword v233, off, s[0:3], 0 offset:368
	buffer_load_dword v234, off, s[0:3], 0 offset:372
	;; [unrolled: 1-line block ×16, first 2 shown]
	v_mul_f32_e32 v9, v17, v9
	v_fma_f32 v9, v16, v30, -v9
	v_mul_f32_e32 v8, v19, v8
	v_add_f32_e32 v9, 0, v9
	v_fma_f32 v8, v18, v29, -v8
	v_mul_f32_e32 v7, v21, v7
	v_add_f32_e32 v8, v9, v8
	v_fma_f32 v7, v20, v28, -v7
	v_mul_f32_e32 v6, v23, v6
	ds_read_b128 v[182:185], v2 offset:752
	buffer_load_dword v249, off, s[0:3], 0 offset:432
	buffer_load_dword v250, off, s[0:3], 0 offset:436
	;; [unrolled: 1-line block ×6, first 2 shown]
	v_add_f32_e32 v7, v8, v7
	v_fma_f32 v6, v22, v34, -v6
	v_mul_f32_e32 v5, v143, v5
	v_add_f32_e32 v6, v7, v6
	v_fma_f32 v5, v142, v33, -v5
	v_mul_f32_e32 v4, v145, v4
	;; [unrolled: 3-line block ×3, first 2 shown]
	v_add_f32_e32 v4, v5, v4
	v_fma_f32 v3, v146, v31, -v3
	v_add_f32_e32 v3, v4, v3
	v_mul_f32_e32 v4, v149, v12
	ds_read_b128 v[186:189], v2 offset:768
	buffer_load_dword v255, off, s[0:3], 0 offset:460
	buffer_load_dword v86, off, s[0:3], 0 offset:464
	;; [unrolled: 1-line block ×4, first 2 shown]
	v_fma_f32 v4, v148, v38, -v4
	v_add_f32_e32 v3, v3, v4
	v_mul_f32_e32 v4, v151, v13
	v_fma_f32 v4, v150, v37, -v4
	v_add_f32_e32 v3, v3, v4
	v_mul_f32_e32 v4, v153, v14
	;; [unrolled: 3-line block ×3, first 2 shown]
	s_waitcnt vmcnt(62)
	v_mul_f32_e32 v27, v156, v39
	v_fma_f32 v4, v154, v35, -v4
	v_fmac_f32_e32 v27, v157, v43
	v_add_f32_e32 v3, v3, v4
	v_mul_f32_e32 v4, v157, v39
	v_add_f32_e32 v26, v26, v27
	s_waitcnt lgkmcnt(7)
	v_mul_f32_e32 v27, v158, v44
	v_fma_f32 v4, v156, v43, -v4
	v_fmac_f32_e32 v27, v159, v42
	v_add_f32_e32 v3, v3, v4
	v_mul_f32_e32 v4, v159, v44
	v_add_f32_e32 v26, v26, v27
	v_mul_f32_e32 v27, v160, v45
	v_fma_f32 v4, v158, v42, -v4
	v_fmac_f32_e32 v27, v161, v41
	v_add_f32_e32 v3, v3, v4
	v_mul_f32_e32 v4, v161, v45
	v_add_f32_e32 v26, v26, v27
	s_waitcnt lgkmcnt(6)
	v_mul_f32_e32 v27, v162, v46
	v_fma_f32 v4, v160, v41, -v4
	v_fmac_f32_e32 v27, v163, v40
	v_add_f32_e32 v3, v3, v4
	v_mul_f32_e32 v4, v163, v46
	v_add_f32_e32 v26, v26, v27
	;; [unrolled: 13-line block ×4, first 2 shown]
	s_waitcnt vmcnt(58)
	v_mul_f32_e32 v27, v172, v56
	v_fma_f32 v4, v170, v50, -v4
	v_fmac_f32_e32 v27, v173, v55
	v_add_f32_e32 v3, v3, v4
	v_mul_f32_e32 v4, v173, v56
	v_add_f32_e32 v26, v26, v27
	s_waitcnt vmcnt(56) lgkmcnt(3)
	v_mul_f32_e32 v27, v174, v58
	v_fma_f32 v4, v172, v55, -v4
	v_fmac_f32_e32 v27, v175, v57
	v_add_f32_e32 v3, v3, v4
	v_mul_f32_e32 v4, v175, v58
	v_add_f32_e32 v26, v26, v27
	s_waitcnt vmcnt(54)
	v_mul_f32_e32 v27, v176, v60
	v_fma_f32 v4, v174, v57, -v4
	v_fmac_f32_e32 v27, v177, v59
	v_add_f32_e32 v3, v3, v4
	v_mul_f32_e32 v4, v177, v60
	v_add_f32_e32 v26, v26, v27
	s_waitcnt vmcnt(52) lgkmcnt(2)
	v_mul_f32_e32 v27, v178, v62
	v_fma_f32 v4, v176, v59, -v4
	v_fmac_f32_e32 v27, v179, v61
	v_add_f32_e32 v3, v3, v4
	v_mul_f32_e32 v4, v179, v62
	v_add_f32_e32 v26, v26, v27
	;; [unrolled: 14-line block ×3, first 2 shown]
	s_waitcnt vmcnt(47)
	v_mul_f32_e32 v27, v184, v67
	v_fma_f32 v4, v182, v65, -v4
	s_waitcnt vmcnt(44)
	v_fmac_f32_e32 v27, v185, v70
	ds_read_b128 v[190:193], v2 offset:784
	ds_read_b128 v[194:197], v2 offset:800
	v_add_f32_e32 v3, v3, v4
	v_mul_f32_e32 v4, v185, v67
	v_add_f32_e32 v26, v26, v27
	s_waitcnt lgkmcnt(2)
	v_mul_f32_e32 v27, v186, v69
	v_fma_f32 v4, v184, v70, -v4
	v_fmac_f32_e32 v27, v187, v68
	v_add_f32_e32 v3, v3, v4
	v_mul_f32_e32 v4, v187, v69
	v_add_f32_e32 v26, v26, v27
	s_waitcnt vmcnt(42)
	v_mul_f32_e32 v27, v188, v72
	v_fma_f32 v4, v186, v68, -v4
	v_fmac_f32_e32 v27, v189, v71
	v_add_f32_e32 v3, v3, v4
	v_mul_f32_e32 v4, v189, v72
	v_add_f32_e32 v26, v26, v27
	s_waitcnt vmcnt(40) lgkmcnt(1)
	v_mul_f32_e32 v27, v190, v74
	v_fma_f32 v4, v188, v71, -v4
	v_fmac_f32_e32 v27, v191, v73
	v_add_f32_e32 v3, v3, v4
	v_mul_f32_e32 v4, v191, v74
	v_add_f32_e32 v26, v26, v27
	s_waitcnt vmcnt(39)
	v_mul_f32_e32 v27, v192, v75
	v_fma_f32 v4, v190, v73, -v4
	s_waitcnt vmcnt(36)
	v_fmac_f32_e32 v27, v193, v78
	ds_read_b128 v[198:201], v2 offset:816
	ds_read_b128 v[202:205], v2 offset:832
	v_add_f32_e32 v3, v3, v4
	v_mul_f32_e32 v4, v193, v75
	v_add_f32_e32 v26, v26, v27
	s_waitcnt lgkmcnt(2)
	v_mul_f32_e32 v27, v194, v77
	v_fma_f32 v4, v192, v78, -v4
	v_fmac_f32_e32 v27, v195, v76
	v_add_f32_e32 v3, v3, v4
	v_mul_f32_e32 v4, v195, v77
	v_add_f32_e32 v26, v26, v27
	s_waitcnt vmcnt(34)
	v_mul_f32_e32 v27, v196, v80
	v_fma_f32 v4, v194, v76, -v4
	v_fmac_f32_e32 v27, v197, v79
	v_add_f32_e32 v3, v3, v4
	v_mul_f32_e32 v4, v197, v80
	v_add_f32_e32 v26, v26, v27
	s_waitcnt vmcnt(32) lgkmcnt(1)
	v_mul_f32_e32 v27, v198, v82
	v_fma_f32 v4, v196, v79, -v4
	v_fmac_f32_e32 v27, v199, v81
	v_add_f32_e32 v3, v3, v4
	v_mul_f32_e32 v4, v199, v82
	v_add_f32_e32 v26, v26, v27
	;; [unrolled: 31-line block ×5, first 2 shown]
	s_waitcnt vmcnt(7)
	v_mul_f32_e32 v27, v224, v251
	v_fma_f32 v4, v222, v249, -v4
	s_waitcnt vmcnt(4)
	v_fmac_f32_e32 v27, v225, v254
	v_add_f32_e32 v3, v3, v4
	v_mul_f32_e32 v4, v225, v251
	v_add_f32_e32 v89, v26, v27
	ds_read_b64 v[26:27], v2 offset:944
	v_fma_f32 v4, v224, v254, -v4
	v_add_f32_e32 v3, v3, v4
	s_waitcnt lgkmcnt(1)
	v_mul_f32_e32 v4, v227, v253
	v_mul_f32_e32 v90, v226, v253
	v_fma_f32 v4, v226, v252, -v4
	v_fmac_f32_e32 v90, v227, v252
	v_add_f32_e32 v3, v3, v4
	s_waitcnt vmcnt(3)
	v_mul_f32_e32 v4, v229, v255
	v_add_f32_e32 v89, v89, v90
	v_mul_f32_e32 v90, v228, v255
	s_waitcnt vmcnt(0)
	v_fma_f32 v4, v228, v88, -v4
	v_fmac_f32_e32 v90, v229, v88
	v_add_f32_e32 v3, v3, v4
	s_waitcnt lgkmcnt(0)
	v_mul_f32_e32 v4, v27, v87
	v_add_f32_e32 v89, v89, v90
	v_mul_f32_e32 v90, v26, v87
	v_fma_f32 v4, v26, v86, -v4
	v_fmac_f32_e32 v90, v27, v86
	v_add_f32_e32 v3, v3, v4
	v_add_f32_e32 v89, v89, v90
	v_sub_f32_e32 v3, v10, v3
	v_sub_f32_e32 v4, v11, v89
	buffer_store_dword v3, off, s[0:3], 0 offset:72
	buffer_store_dword v4, off, s[0:3], 0 offset:76
	s_and_saveexec_b64 s[4:5], vcc
	s_cbranch_execz .LBB122_351
; %bb.350:
	buffer_load_dword v3, off, s[0:3], 0 offset:64
	buffer_load_dword v4, off, s[0:3], 0 offset:68
	s_waitcnt vmcnt(0)
	ds_write_b64 v1, v[3:4]
	buffer_store_dword v2, off, s[0:3], 0 offset:64
	buffer_store_dword v2, off, s[0:3], 0 offset:68
.LBB122_351:
	s_or_b64 exec, exec, s[4:5]
	s_waitcnt lgkmcnt(0)
	; wave barrier
	buffer_load_dword v9, off, s[0:3], 0 offset:76
	buffer_load_dword v8, off, s[0:3], 0 offset:84
	;; [unrolled: 1-line block ×40, first 2 shown]
	ds_read2_b64 v[17:20], v2 offset0:69 offset1:70
	ds_read2_b64 v[142:145], v2 offset0:71 offset1:72
	;; [unrolled: 1-line block ×7, first 2 shown]
	buffer_load_dword v49, off, s[0:3], 0 offset:224
	buffer_load_dword v50, off, s[0:3], 0 offset:228
	buffer_load_dword v51, off, s[0:3], 0 offset:232
	buffer_load_dword v52, off, s[0:3], 0 offset:236
	buffer_load_dword v53, off, s[0:3], 0 offset:240
	buffer_load_dword v54, off, s[0:3], 0 offset:244
	buffer_load_dword v55, off, s[0:3], 0 offset:248
	buffer_load_dword v56, off, s[0:3], 0 offset:252
	buffer_load_dword v57, off, s[0:3], 0 offset:256
	buffer_load_dword v58, off, s[0:3], 0 offset:260
	ds_read2_b64 v[166:169], v2 offset0:83 offset1:84
	v_cmp_lt_u32_e32 vcc, 7, v0
	s_waitcnt vmcnt(49) lgkmcnt(7)
	v_mul_f32_e32 v59, v17, v9
	s_waitcnt vmcnt(48)
	v_mul_f32_e32 v60, v19, v8
	s_waitcnt vmcnt(47) lgkmcnt(6)
	v_mul_f32_e32 v61, v142, v7
	s_waitcnt vmcnt(46)
	v_mul_f32_e32 v62, v144, v6
	;; [unrolled: 4-line block ×6, first 2 shown]
	s_waitcnt vmcnt(37)
	v_fmac_f32_e32 v61, v143, v21
	s_waitcnt vmcnt(36)
	v_fmac_f32_e32 v60, v20, v22
	;; [unrolled: 2-line block ×3, first 2 shown]
	v_add_f32_e32 v59, 0, v59
	v_add_f32_e32 v59, v59, v60
	;; [unrolled: 1-line block ×3, first 2 shown]
	s_waitcnt vmcnt(31)
	v_fmac_f32_e32 v62, v145, v29
	v_fmac_f32_e32 v63, v147, v28
	v_add_f32_e32 v59, v59, v62
	v_fmac_f32_e32 v64, v149, v27
	v_add_f32_e32 v59, v59, v63
	v_fmac_f32_e32 v65, v151, v26
	v_add_f32_e32 v59, v59, v64
	s_waitcnt vmcnt(27)
	v_fmac_f32_e32 v66, v153, v33
	v_add_f32_e32 v59, v59, v65
	v_fmac_f32_e32 v67, v155, v32
	v_add_f32_e32 v59, v59, v66
	;; [unrolled: 2-line block ×4, first 2 shown]
	v_add_f32_e32 v59, v59, v69
	s_waitcnt vmcnt(23)
	v_fmac_f32_e32 v70, v161, v37
	s_waitcnt vmcnt(22) lgkmcnt(1)
	v_mul_f32_e32 v60, v162, v38
	v_add_f32_e32 v59, v59, v70
	v_fmac_f32_e32 v60, v163, v36
	buffer_load_dword v61, off, s[0:3], 0 offset:268
	v_add_f32_e32 v59, v59, v60
	s_waitcnt vmcnt(22)
	v_mul_f32_e32 v60, v164, v39
	v_fmac_f32_e32 v60, v165, v35
	buffer_load_dword v62, off, s[0:3], 0 offset:264
	buffer_load_dword v63, off, s[0:3], 0 offset:272
	;; [unrolled: 1-line block ×3, first 2 shown]
	ds_read2_b64 v[170:173], v2 offset0:85 offset1:86
	v_add_f32_e32 v59, v59, v60
	s_waitcnt vmcnt(24) lgkmcnt(1)
	v_mul_f32_e32 v60, v166, v40
	v_fmac_f32_e32 v60, v167, v34
	v_add_f32_e32 v59, v59, v60
	s_waitcnt vmcnt(23)
	v_mul_f32_e32 v60, v168, v41
	buffer_load_dword v65, off, s[0:3], 0 offset:280
	buffer_load_dword v66, off, s[0:3], 0 offset:284
	s_waitcnt vmcnt(19)
	v_fmac_f32_e32 v60, v169, v47
	v_add_f32_e32 v59, v59, v60
	s_waitcnt vmcnt(18) lgkmcnt(0)
	v_mul_f32_e32 v60, v170, v48
	v_fmac_f32_e32 v60, v171, v46
	ds_read2_b64 v[174:177], v2 offset0:87 offset1:88
	v_add_f32_e32 v59, v59, v60
	buffer_load_dword v60, off, s[0:3], 0 offset:288
	buffer_load_dword v67, off, s[0:3], 0 offset:292
	;; [unrolled: 1-line block ×8, first 2 shown]
	v_mul_f32_e32 v68, v172, v43
	v_fmac_f32_e32 v68, v173, v42
	v_add_f32_e32 v59, v59, v68
	s_waitcnt lgkmcnt(0)
	v_mul_f32_e32 v68, v174, v45
	v_fmac_f32_e32 v68, v175, v44
	v_add_f32_e32 v59, v59, v68
	buffer_load_dword v68, off, s[0:3], 0 offset:320
	buffer_load_dword v75, off, s[0:3], 0 offset:324
	ds_read2_b64 v[178:181], v2 offset0:89 offset1:90
	buffer_load_dword v77, off, s[0:3], 0 offset:328
	buffer_load_dword v78, off, s[0:3], 0 offset:332
	;; [unrolled: 1-line block ×6, first 2 shown]
	ds_read2_b64 v[182:185], v2 offset0:91 offset1:92
	buffer_load_dword v83, off, s[0:3], 0 offset:352
	buffer_load_dword v84, off, s[0:3], 0 offset:356
	s_waitcnt vmcnt(32)
	v_mul_f32_e32 v76, v176, v50
	v_fmac_f32_e32 v76, v177, v49
	v_add_f32_e32 v59, v59, v76
	s_waitcnt vmcnt(30) lgkmcnt(1)
	v_mul_f32_e32 v76, v178, v52
	v_fmac_f32_e32 v76, v179, v51
	v_add_f32_e32 v59, v59, v76
	buffer_load_dword v76, off, s[0:3], 0 offset:360
	buffer_load_dword v85, off, s[0:3], 0 offset:364
	;; [unrolled: 1-line block ×8, first 2 shown]
	s_waitcnt vmcnt(36)
	v_mul_f32_e32 v90, v180, v54
	v_fmac_f32_e32 v90, v181, v53
	v_add_f32_e32 v59, v59, v90
	s_waitcnt vmcnt(34) lgkmcnt(0)
	v_mul_f32_e32 v90, v182, v56
	v_fmac_f32_e32 v90, v183, v55
	v_add_f32_e32 v59, v59, v90
	buffer_load_dword v90, off, s[0:3], 0 offset:392
	buffer_load_dword v239, off, s[0:3], 0 offset:396
	;; [unrolled: 1-line block ×6, first 2 shown]
	ds_read2_b64 v[186:189], v2 offset0:93 offset1:94
	buffer_load_dword v244, off, s[0:3], 0 offset:416
	buffer_load_dword v245, off, s[0:3], 0 offset:420
	v_mul_f32_e32 v9, v18, v9
	v_fma_f32 v9, v17, v23, -v9
	v_mul_f32_e32 v8, v20, v8
	s_waitcnt vmcnt(40)
	v_mul_f32_e32 v190, v184, v58
	v_add_f32_e32 v9, 0, v9
	v_fma_f32 v8, v19, v22, -v8
	v_mul_f32_e32 v7, v143, v7
	v_fmac_f32_e32 v190, v185, v57
	v_add_f32_e32 v8, v9, v8
	v_fma_f32 v7, v142, v21, -v7
	v_mul_f32_e32 v6, v145, v6
	v_add_f32_e32 v59, v59, v190
	ds_read2_b64 v[190:193], v2 offset0:95 offset1:96
	buffer_load_dword v246, off, s[0:3], 0 offset:424
	buffer_load_dword v247, off, s[0:3], 0 offset:428
	;; [unrolled: 1-line block ×6, first 2 shown]
	v_add_f32_e32 v7, v8, v7
	v_fma_f32 v6, v144, v29, -v6
	v_mul_f32_e32 v5, v147, v5
	v_add_f32_e32 v6, v7, v6
	v_fma_f32 v5, v146, v28, -v5
	v_mul_f32_e32 v4, v149, v4
	;; [unrolled: 3-line block ×3, first 2 shown]
	v_add_f32_e32 v4, v5, v4
	v_fma_f32 v3, v150, v26, -v3
	v_add_f32_e32 v3, v4, v3
	v_mul_f32_e32 v4, v153, v12
	v_fma_f32 v4, v152, v33, -v4
	v_add_f32_e32 v3, v3, v4
	v_mul_f32_e32 v4, v155, v13
	buffer_load_dword v252, off, s[0:3], 0 offset:448
	buffer_load_dword v253, off, s[0:3], 0 offset:452
	;; [unrolled: 1-line block ×6, first 2 shown]
	v_fma_f32 v4, v154, v32, -v4
	v_add_f32_e32 v3, v3, v4
	v_mul_f32_e32 v4, v157, v14
	v_fma_f32 v4, v156, v31, -v4
	v_add_f32_e32 v3, v3, v4
	v_mul_f32_e32 v4, v159, v15
	;; [unrolled: 3-line block ×7, first 2 shown]
	v_fma_f32 v4, v168, v47, -v4
	s_waitcnt vmcnt(51) lgkmcnt(1)
	v_mul_f32_e32 v194, v186, v61
	v_add_f32_e32 v3, v3, v4
	v_mul_f32_e32 v4, v171, v48
	s_waitcnt vmcnt(50)
	v_fmac_f32_e32 v194, v187, v62
	v_fma_f32 v4, v170, v46, -v4
	v_add_f32_e32 v59, v59, v194
	s_waitcnt vmcnt(48)
	v_mul_f32_e32 v194, v188, v64
	v_add_f32_e32 v3, v3, v4
	v_mul_f32_e32 v4, v173, v43
	v_fmac_f32_e32 v194, v189, v63
	v_fma_f32 v4, v172, v42, -v4
	v_add_f32_e32 v59, v59, v194
	s_waitcnt vmcnt(46) lgkmcnt(0)
	v_mul_f32_e32 v194, v190, v66
	v_add_f32_e32 v3, v3, v4
	v_mul_f32_e32 v4, v175, v45
	v_fmac_f32_e32 v194, v191, v65
	v_fma_f32 v4, v174, v44, -v4
	v_add_f32_e32 v59, v59, v194
	ds_read2_b64 v[194:197], v2 offset0:97 offset1:98
	v_add_f32_e32 v3, v3, v4
	v_mul_f32_e32 v4, v177, v50
	v_fma_f32 v4, v176, v49, -v4
	s_waitcnt vmcnt(44)
	v_mul_f32_e32 v198, v192, v67
	v_add_f32_e32 v3, v3, v4
	v_mul_f32_e32 v4, v179, v52
	v_fmac_f32_e32 v198, v193, v60
	v_fma_f32 v4, v178, v51, -v4
	v_add_f32_e32 v59, v59, v198
	ds_read2_b64 v[198:201], v2 offset0:99 offset1:100
	v_add_f32_e32 v3, v3, v4
	v_mul_f32_e32 v4, v181, v54
	s_waitcnt vmcnt(42) lgkmcnt(1)
	v_mul_f32_e32 v202, v194, v70
	v_fma_f32 v4, v180, v53, -v4
	v_fmac_f32_e32 v202, v195, v69
	v_add_f32_e32 v3, v3, v4
	v_mul_f32_e32 v4, v183, v56
	v_add_f32_e32 v59, v59, v202
	s_waitcnt vmcnt(41)
	v_mul_f32_e32 v202, v196, v71
	v_fma_f32 v4, v182, v55, -v4
	s_waitcnt vmcnt(38)
	v_fmac_f32_e32 v202, v197, v74
	v_add_f32_e32 v3, v3, v4
	v_mul_f32_e32 v4, v185, v58
	v_add_f32_e32 v59, v59, v202
	s_waitcnt lgkmcnt(0)
	v_mul_f32_e32 v202, v198, v73
	v_fma_f32 v4, v184, v57, -v4
	v_fmac_f32_e32 v202, v199, v72
	v_add_f32_e32 v3, v3, v4
	v_mul_f32_e32 v4, v187, v61
	v_add_f32_e32 v59, v59, v202
	ds_read2_b64 v[202:205], v2 offset0:101 offset1:102
	v_fma_f32 v4, v186, v62, -v4
	v_add_f32_e32 v3, v3, v4
	v_mul_f32_e32 v4, v189, v64
	s_waitcnt vmcnt(36)
	v_mul_f32_e32 v206, v200, v75
	v_fma_f32 v4, v188, v63, -v4
	v_fmac_f32_e32 v206, v201, v68
	v_add_f32_e32 v3, v3, v4
	v_mul_f32_e32 v4, v191, v66
	v_add_f32_e32 v59, v59, v206
	ds_read2_b64 v[206:209], v2 offset0:103 offset1:104
	v_fma_f32 v4, v190, v65, -v4
	s_waitcnt vmcnt(34) lgkmcnt(1)
	v_mul_f32_e32 v210, v202, v78
	v_add_f32_e32 v3, v3, v4
	v_mul_f32_e32 v4, v193, v67
	v_fmac_f32_e32 v210, v203, v77
	v_fma_f32 v4, v192, v60, -v4
	v_add_f32_e32 v59, v59, v210
	s_waitcnt vmcnt(33)
	v_mul_f32_e32 v210, v204, v79
	v_add_f32_e32 v3, v3, v4
	v_mul_f32_e32 v4, v195, v70
	s_waitcnt vmcnt(30)
	v_fmac_f32_e32 v210, v205, v82
	v_fma_f32 v4, v194, v69, -v4
	v_add_f32_e32 v59, v59, v210
	s_waitcnt lgkmcnt(0)
	v_mul_f32_e32 v210, v206, v81
	v_add_f32_e32 v3, v3, v4
	v_mul_f32_e32 v4, v197, v71
	v_fmac_f32_e32 v210, v207, v80
	v_fma_f32 v4, v196, v74, -v4
	v_add_f32_e32 v59, v59, v210
	ds_read2_b64 v[210:213], v2 offset0:105 offset1:106
	v_add_f32_e32 v3, v3, v4
	v_mul_f32_e32 v4, v199, v73
	v_fma_f32 v4, v198, v72, -v4
	s_waitcnt vmcnt(28)
	v_mul_f32_e32 v214, v208, v84
	v_add_f32_e32 v3, v3, v4
	v_mul_f32_e32 v4, v201, v75
	v_fmac_f32_e32 v214, v209, v83
	v_fma_f32 v4, v200, v68, -v4
	v_add_f32_e32 v59, v59, v214
	ds_read2_b64 v[214:217], v2 offset0:107 offset1:108
	v_add_f32_e32 v3, v3, v4
	v_mul_f32_e32 v4, v203, v78
	s_waitcnt vmcnt(26) lgkmcnt(1)
	v_mul_f32_e32 v218, v210, v85
	v_fma_f32 v4, v202, v77, -v4
	v_fmac_f32_e32 v218, v211, v76
	v_add_f32_e32 v3, v3, v4
	v_mul_f32_e32 v4, v205, v79
	v_add_f32_e32 v59, v59, v218
	s_waitcnt vmcnt(25)
	v_mul_f32_e32 v218, v212, v86
	v_fma_f32 v4, v204, v82, -v4
	s_waitcnt vmcnt(22)
	v_fmac_f32_e32 v218, v213, v89
	v_add_f32_e32 v3, v3, v4
	v_mul_f32_e32 v4, v207, v81
	v_add_f32_e32 v59, v59, v218
	s_waitcnt lgkmcnt(0)
	v_mul_f32_e32 v218, v214, v88
	v_fma_f32 v4, v206, v80, -v4
	v_fmac_f32_e32 v218, v215, v87
	v_add_f32_e32 v3, v3, v4
	v_mul_f32_e32 v4, v209, v84
	v_add_f32_e32 v59, v59, v218
	ds_read2_b64 v[218:221], v2 offset0:109 offset1:110
	v_fma_f32 v4, v208, v83, -v4
	v_add_f32_e32 v3, v3, v4
	v_mul_f32_e32 v4, v211, v85
	s_waitcnt vmcnt(20)
	v_mul_f32_e32 v222, v216, v238
	v_fma_f32 v4, v210, v76, -v4
	v_fmac_f32_e32 v222, v217, v91
	v_add_f32_e32 v3, v3, v4
	v_mul_f32_e32 v4, v213, v86
	v_add_f32_e32 v59, v59, v222
	ds_read2_b64 v[222:225], v2 offset0:111 offset1:112
	v_fma_f32 v4, v212, v89, -v4
	s_waitcnt vmcnt(18) lgkmcnt(1)
	v_mul_f32_e32 v226, v218, v239
	v_add_f32_e32 v3, v3, v4
	v_mul_f32_e32 v4, v215, v88
	v_fmac_f32_e32 v226, v219, v90
	v_fma_f32 v4, v214, v87, -v4
	v_add_f32_e32 v59, v59, v226
	s_waitcnt vmcnt(17)
	v_mul_f32_e32 v226, v220, v240
	v_add_f32_e32 v3, v3, v4
	v_mul_f32_e32 v4, v217, v238
	s_waitcnt vmcnt(14)
	v_fmac_f32_e32 v226, v221, v243
	v_fma_f32 v4, v216, v91, -v4
	v_add_f32_e32 v59, v59, v226
	s_waitcnt lgkmcnt(0)
	v_mul_f32_e32 v226, v222, v242
	v_add_f32_e32 v3, v3, v4
	v_mul_f32_e32 v4, v219, v239
	v_fmac_f32_e32 v226, v223, v241
	v_fma_f32 v4, v218, v90, -v4
	v_add_f32_e32 v59, v59, v226
	ds_read2_b64 v[226:229], v2 offset0:113 offset1:114
	v_add_f32_e32 v3, v3, v4
	v_mul_f32_e32 v4, v221, v240
	v_fma_f32 v4, v220, v243, -v4
	v_add_f32_e32 v3, v3, v4
	v_mul_f32_e32 v4, v223, v242
	s_waitcnt vmcnt(12)
	v_mul_f32_e32 v230, v224, v245
	v_fma_f32 v4, v222, v241, -v4
	v_fmac_f32_e32 v230, v225, v244
	v_add_f32_e32 v3, v3, v4
	v_mul_f32_e32 v4, v225, v245
	v_add_f32_e32 v59, v59, v230
	ds_read2_b64 v[230:233], v2 offset0:115 offset1:116
	s_waitcnt vmcnt(10) lgkmcnt(1)
	v_mul_f32_e32 v234, v226, v247
	v_fma_f32 v4, v224, v244, -v4
	v_fmac_f32_e32 v234, v227, v246
	v_add_f32_e32 v3, v3, v4
	v_mul_f32_e32 v4, v227, v247
	v_add_f32_e32 v59, v59, v234
	s_waitcnt vmcnt(9)
	v_mul_f32_e32 v234, v228, v248
	v_fma_f32 v4, v226, v246, -v4
	s_waitcnt vmcnt(6)
	v_fmac_f32_e32 v234, v229, v251
	v_add_f32_e32 v3, v3, v4
	v_mul_f32_e32 v4, v229, v248
	v_add_f32_e32 v59, v59, v234
	ds_read2_b64 v[234:237], v2 offset0:117 offset1:118
	v_fma_f32 v4, v228, v251, -v4
	v_add_f32_e32 v3, v3, v4
	s_waitcnt lgkmcnt(1)
	v_mul_f32_e32 v4, v231, v250
	v_mul_f32_e32 v94, v230, v250
	v_fma_f32 v4, v230, v249, -v4
	v_fmac_f32_e32 v94, v231, v249
	v_add_f32_e32 v3, v3, v4
	s_waitcnt vmcnt(4)
	v_mul_f32_e32 v4, v233, v253
	v_add_f32_e32 v2, v59, v94
	v_mul_f32_e32 v59, v232, v253
	v_fma_f32 v4, v232, v252, -v4
	v_fmac_f32_e32 v59, v233, v252
	v_add_f32_e32 v3, v3, v4
	s_waitcnt vmcnt(3) lgkmcnt(0)
	v_mul_f32_e32 v4, v235, v254
	v_add_f32_e32 v2, v2, v59
	v_mul_f32_e32 v59, v234, v254
	s_waitcnt vmcnt(0)
	v_fma_f32 v4, v234, v93, -v4
	v_fmac_f32_e32 v59, v235, v93
	v_add_f32_e32 v3, v3, v4
	v_mul_f32_e32 v4, v237, v92
	v_add_f32_e32 v2, v2, v59
	v_mul_f32_e32 v59, v236, v92
	v_fma_f32 v4, v236, v255, -v4
	v_fmac_f32_e32 v59, v237, v255
	v_add_f32_e32 v3, v3, v4
	v_add_f32_e32 v2, v2, v59
	v_sub_f32_e32 v3, v10, v3
	v_sub_f32_e32 v2, v11, v2
	buffer_store_dword v3, off, s[0:3], 0 offset:64
	buffer_store_dword v2, off, s[0:3], 0 offset:68
	s_and_saveexec_b64 s[4:5], vcc
	s_cbranch_execz .LBB122_353
; %bb.352:
	buffer_load_dword v2, off, s[0:3], 0 offset:56
	buffer_load_dword v3, off, s[0:3], 0 offset:60
	v_mov_b32_e32 v4, 0
	buffer_store_dword v4, off, s[0:3], 0 offset:56
	buffer_store_dword v4, off, s[0:3], 0 offset:60
	s_waitcnt vmcnt(2)
	ds_write_b64 v1, v[2:3]
.LBB122_353:
	s_or_b64 exec, exec, s[4:5]
	s_waitcnt lgkmcnt(0)
	; wave barrier
	buffer_load_dword v11, off, s[0:3], 0 offset:68
	buffer_load_dword v10, off, s[0:3], 0 offset:76
	;; [unrolled: 1-line block ×40, first 2 shown]
	v_mov_b32_e32 v2, 0
	buffer_load_dword v51, off, s[0:3], 0 offset:216
	buffer_load_dword v52, off, s[0:3], 0 offset:220
	;; [unrolled: 1-line block ×10, first 2 shown]
	ds_read_b128 v[18:21], v2 offset:544
	ds_read_b128 v[142:145], v2 offset:560
	;; [unrolled: 1-line block ×7, first 2 shown]
	v_cmp_lt_u32_e32 vcc, 6, v0
	s_waitcnt vmcnt(49) lgkmcnt(6)
	v_mul_f32_e32 v22, v18, v11
	s_waitcnt vmcnt(48)
	v_mul_f32_e32 v23, v20, v10
	s_waitcnt vmcnt(47) lgkmcnt(5)
	v_mul_f32_e32 v61, v142, v7
	s_waitcnt vmcnt(46)
	v_mul_f32_e32 v62, v144, v6
	;; [unrolled: 4-line block ×6, first 2 shown]
	s_waitcnt vmcnt(37)
	v_fmac_f32_e32 v61, v143, v26
	s_waitcnt vmcnt(36)
	v_fmac_f32_e32 v23, v21, v27
	s_waitcnt vmcnt(35)
	v_fmac_f32_e32 v22, v19, v28
	v_add_f32_e32 v22, 0, v22
	v_add_f32_e32 v22, v22, v23
	;; [unrolled: 1-line block ×3, first 2 shown]
	s_waitcnt vmcnt(31)
	v_fmac_f32_e32 v62, v145, v32
	v_fmac_f32_e32 v63, v147, v31
	v_add_f32_e32 v22, v22, v62
	buffer_load_dword v61, off, s[0:3], 0 offset:256
	buffer_load_dword v62, off, s[0:3], 0 offset:260
	v_fmac_f32_e32 v64, v149, v30
	v_add_f32_e32 v22, v22, v63
	v_fmac_f32_e32 v65, v151, v29
	v_add_f32_e32 v22, v22, v64
	s_waitcnt vmcnt(29)
	v_fmac_f32_e32 v66, v153, v35
	v_add_f32_e32 v22, v22, v65
	v_fmac_f32_e32 v67, v155, v34
	v_add_f32_e32 v22, v22, v66
	ds_read_b128 v[166:169], v2 offset:656
	buffer_load_dword v63, off, s[0:3], 0 offset:268
	buffer_load_dword v64, off, s[0:3], 0 offset:264
	;; [unrolled: 1-line block ×4, first 2 shown]
	v_fmac_f32_e32 v68, v157, v33
	v_add_f32_e32 v22, v22, v67
	v_add_f32_e32 v22, v22, v68
	ds_read_b128 v[170:173], v2 offset:672
	ds_read_b128 v[174:177], v2 offset:688
	buffer_load_dword v67, off, s[0:3], 0 offset:280
	buffer_load_dword v68, off, s[0:3], 0 offset:284
	v_fmac_f32_e32 v69, v159, v17
	v_add_f32_e32 v22, v22, v69
	s_waitcnt vmcnt(31)
	v_fmac_f32_e32 v70, v161, v39
	v_add_f32_e32 v22, v22, v70
	buffer_load_dword v69, off, s[0:3], 0 offset:288
	buffer_load_dword v70, off, s[0:3], 0 offset:292
	;; [unrolled: 1-line block ×8, first 2 shown]
	ds_read_b128 v[178:181], v2 offset:704
	buffer_load_dword v77, off, s[0:3], 0 offset:320
	buffer_load_dword v78, off, s[0:3], 0 offset:324
	;; [unrolled: 1-line block ×6, first 2 shown]
	ds_read_b128 v[182:185], v2 offset:720
	buffer_load_dword v83, off, s[0:3], 0 offset:344
	buffer_load_dword v84, off, s[0:3], 0 offset:348
	;; [unrolled: 1-line block ×10, first 2 shown]
	ds_read_b128 v[186:189], v2 offset:736
	buffer_load_dword v93, off, s[0:3], 0 offset:384
	buffer_load_dword v94, off, s[0:3], 0 offset:388
	;; [unrolled: 1-line block ×6, first 2 shown]
	ds_read_b128 v[190:193], v2 offset:752
	buffer_load_dword v241, off, s[0:3], 0 offset:408
	buffer_load_dword v242, off, s[0:3], 0 offset:412
	v_mul_f32_e32 v11, v19, v11
	v_fma_f32 v11, v18, v28, -v11
	v_mul_f32_e32 v10, v21, v10
	v_add_f32_e32 v11, 0, v11
	v_fma_f32 v10, v20, v27, -v10
	v_mul_f32_e32 v7, v143, v7
	v_add_f32_e32 v10, v11, v10
	v_fma_f32 v7, v142, v26, -v7
	v_mul_f32_e32 v6, v145, v6
	buffer_load_dword v243, off, s[0:3], 0 offset:416
	buffer_load_dword v244, off, s[0:3], 0 offset:420
	;; [unrolled: 1-line block ×6, first 2 shown]
	v_add_f32_e32 v7, v10, v7
	v_fma_f32 v6, v144, v32, -v6
	v_mul_f32_e32 v5, v147, v5
	v_add_f32_e32 v6, v7, v6
	v_fma_f32 v5, v146, v31, -v5
	v_mul_f32_e32 v4, v149, v4
	;; [unrolled: 3-line block ×3, first 2 shown]
	buffer_load_dword v249, off, s[0:3], 0 offset:440
	buffer_load_dword v250, off, s[0:3], 0 offset:444
	v_add_f32_e32 v4, v5, v4
	v_fma_f32 v3, v150, v29, -v3
	v_add_f32_e32 v3, v4, v3
	v_mul_f32_e32 v4, v153, v12
	v_fma_f32 v4, v152, v35, -v4
	v_add_f32_e32 v3, v3, v4
	v_mul_f32_e32 v4, v155, v13
	;; [unrolled: 3-line block ×3, first 2 shown]
	buffer_load_dword v251, off, s[0:3], 0 offset:448
	buffer_load_dword v252, off, s[0:3], 0 offset:452
	;; [unrolled: 1-line block ×6, first 2 shown]
	v_fma_f32 v4, v156, v33, -v4
	v_add_f32_e32 v3, v3, v4
	v_mul_f32_e32 v4, v159, v15
	v_fma_f32 v4, v158, v17, -v4
	v_add_f32_e32 v3, v3, v4
	v_mul_f32_e32 v4, v161, v16
	s_waitcnt vmcnt(62) lgkmcnt(7)
	v_mul_f32_e32 v23, v162, v40
	v_fma_f32 v4, v160, v39, -v4
	v_fmac_f32_e32 v23, v163, v38
	v_add_f32_e32 v3, v3, v4
	v_mul_f32_e32 v4, v163, v40
	v_add_f32_e32 v22, v22, v23
	v_mul_f32_e32 v23, v164, v41
	v_fma_f32 v4, v162, v38, -v4
	v_fmac_f32_e32 v23, v165, v37
	v_add_f32_e32 v3, v3, v4
	v_mul_f32_e32 v4, v165, v41
	v_add_f32_e32 v22, v22, v23
	s_waitcnt lgkmcnt(6)
	v_mul_f32_e32 v23, v166, v42
	v_fma_f32 v4, v164, v37, -v4
	v_fmac_f32_e32 v23, v167, v36
	v_add_f32_e32 v3, v3, v4
	v_mul_f32_e32 v4, v167, v42
	v_add_f32_e32 v22, v22, v23
	v_mul_f32_e32 v23, v168, v43
	v_fma_f32 v4, v166, v36, -v4
	v_fmac_f32_e32 v23, v169, v50
	v_add_f32_e32 v3, v3, v4
	v_mul_f32_e32 v4, v169, v43
	v_add_f32_e32 v22, v22, v23
	s_waitcnt lgkmcnt(5)
	;; [unrolled: 13-line block ×3, first 2 shown]
	v_mul_f32_e32 v23, v174, v49
	v_fma_f32 v4, v172, v46, -v4
	v_fmac_f32_e32 v23, v175, v48
	v_add_f32_e32 v3, v3, v4
	v_mul_f32_e32 v4, v175, v49
	v_add_f32_e32 v22, v22, v23
	v_mul_f32_e32 v23, v176, v52
	v_fma_f32 v4, v174, v48, -v4
	v_fmac_f32_e32 v23, v177, v51
	v_add_f32_e32 v3, v3, v4
	v_mul_f32_e32 v4, v177, v52
	v_add_f32_e32 v22, v22, v23
	s_waitcnt vmcnt(60) lgkmcnt(3)
	v_mul_f32_e32 v23, v178, v54
	v_fma_f32 v4, v176, v51, -v4
	v_fmac_f32_e32 v23, v179, v53
	v_add_f32_e32 v3, v3, v4
	v_mul_f32_e32 v4, v179, v54
	v_add_f32_e32 v22, v22, v23
	s_waitcnt vmcnt(58)
	v_mul_f32_e32 v23, v180, v56
	v_fma_f32 v4, v178, v53, -v4
	v_fmac_f32_e32 v23, v181, v55
	v_add_f32_e32 v3, v3, v4
	v_mul_f32_e32 v4, v181, v56
	v_add_f32_e32 v22, v22, v23
	s_waitcnt vmcnt(56) lgkmcnt(2)
	v_mul_f32_e32 v23, v182, v58
	v_fma_f32 v4, v180, v55, -v4
	v_fmac_f32_e32 v23, v183, v57
	v_add_f32_e32 v3, v3, v4
	v_mul_f32_e32 v4, v183, v58
	v_add_f32_e32 v22, v22, v23
	s_waitcnt vmcnt(54)
	;; [unrolled: 14-line block ×3, first 2 shown]
	v_mul_f32_e32 v23, v188, v63
	v_fma_f32 v4, v186, v61, -v4
	s_waitcnt vmcnt(50)
	v_fmac_f32_e32 v23, v189, v64
	ds_read_b128 v[194:197], v2 offset:768
	ds_read_b128 v[198:201], v2 offset:784
	v_add_f32_e32 v3, v3, v4
	v_mul_f32_e32 v4, v189, v63
	v_add_f32_e32 v22, v22, v23
	s_waitcnt vmcnt(48) lgkmcnt(2)
	v_mul_f32_e32 v23, v190, v66
	v_fma_f32 v4, v188, v64, -v4
	v_fmac_f32_e32 v23, v191, v65
	v_add_f32_e32 v3, v3, v4
	v_mul_f32_e32 v4, v191, v66
	v_add_f32_e32 v22, v22, v23
	s_waitcnt vmcnt(46)
	v_mul_f32_e32 v23, v192, v68
	v_fma_f32 v4, v190, v65, -v4
	v_fmac_f32_e32 v23, v193, v67
	v_add_f32_e32 v3, v3, v4
	v_mul_f32_e32 v4, v193, v68
	v_add_f32_e32 v22, v22, v23
	s_waitcnt vmcnt(44) lgkmcnt(1)
	v_mul_f32_e32 v23, v194, v70
	v_fma_f32 v4, v192, v67, -v4
	v_fmac_f32_e32 v23, v195, v69
	v_add_f32_e32 v3, v3, v4
	v_mul_f32_e32 v4, v195, v70
	v_add_f32_e32 v22, v22, v23
	s_waitcnt vmcnt(43)
	v_mul_f32_e32 v23, v196, v71
	v_fma_f32 v4, v194, v69, -v4
	s_waitcnt vmcnt(40)
	v_fmac_f32_e32 v23, v197, v74
	ds_read_b128 v[202:205], v2 offset:800
	ds_read_b128 v[206:209], v2 offset:816
	v_add_f32_e32 v3, v3, v4
	v_mul_f32_e32 v4, v197, v71
	v_add_f32_e32 v22, v22, v23
	s_waitcnt lgkmcnt(2)
	v_mul_f32_e32 v23, v198, v73
	v_fma_f32 v4, v196, v74, -v4
	v_fmac_f32_e32 v23, v199, v72
	v_add_f32_e32 v3, v3, v4
	v_mul_f32_e32 v4, v199, v73
	v_add_f32_e32 v22, v22, v23
	s_waitcnt vmcnt(38)
	v_mul_f32_e32 v23, v200, v76
	v_fma_f32 v4, v198, v72, -v4
	v_fmac_f32_e32 v23, v201, v75
	v_add_f32_e32 v3, v3, v4
	v_mul_f32_e32 v4, v201, v76
	v_add_f32_e32 v22, v22, v23
	s_waitcnt vmcnt(36) lgkmcnt(1)
	v_mul_f32_e32 v23, v202, v78
	v_fma_f32 v4, v200, v75, -v4
	v_fmac_f32_e32 v23, v203, v77
	v_add_f32_e32 v3, v3, v4
	v_mul_f32_e32 v4, v203, v78
	v_add_f32_e32 v22, v22, v23
	s_waitcnt vmcnt(35)
	v_mul_f32_e32 v23, v204, v79
	v_fma_f32 v4, v202, v77, -v4
	s_waitcnt vmcnt(32)
	v_fmac_f32_e32 v23, v205, v82
	ds_read_b128 v[210:213], v2 offset:832
	ds_read_b128 v[214:217], v2 offset:848
	v_add_f32_e32 v3, v3, v4
	v_mul_f32_e32 v4, v205, v79
	v_add_f32_e32 v22, v22, v23
	s_waitcnt lgkmcnt(2)
	;; [unrolled: 31-line block ×4, first 2 shown]
	v_mul_f32_e32 v23, v222, v239
	v_fma_f32 v4, v220, v240, -v4
	v_fmac_f32_e32 v23, v223, v238
	v_add_f32_e32 v3, v3, v4
	v_mul_f32_e32 v4, v223, v239
	v_add_f32_e32 v22, v22, v23
	s_waitcnt vmcnt(14)
	v_mul_f32_e32 v23, v224, v242
	v_fma_f32 v4, v222, v238, -v4
	v_fmac_f32_e32 v23, v225, v241
	v_add_f32_e32 v3, v3, v4
	v_mul_f32_e32 v4, v225, v242
	v_add_f32_e32 v22, v22, v23
	s_waitcnt vmcnt(12) lgkmcnt(1)
	v_mul_f32_e32 v23, v226, v244
	v_fma_f32 v4, v224, v241, -v4
	v_fmac_f32_e32 v23, v227, v243
	v_add_f32_e32 v3, v3, v4
	v_mul_f32_e32 v4, v227, v244
	v_add_f32_e32 v22, v22, v23
	s_waitcnt vmcnt(11)
	v_mul_f32_e32 v23, v228, v245
	v_fma_f32 v4, v226, v243, -v4
	s_waitcnt vmcnt(8)
	v_fmac_f32_e32 v23, v229, v248
	v_add_f32_e32 v3, v3, v4
	v_mul_f32_e32 v4, v229, v245
	v_add_f32_e32 v22, v22, v23
	s_waitcnt lgkmcnt(0)
	v_mul_f32_e32 v23, v230, v247
	ds_read_b128 v[234:237], v2 offset:928
	v_fma_f32 v4, v228, v248, -v4
	v_fmac_f32_e32 v23, v231, v246
	v_add_f32_e32 v3, v3, v4
	v_mul_f32_e32 v4, v231, v247
	v_add_f32_e32 v22, v22, v23
	s_waitcnt vmcnt(6)
	v_mul_f32_e32 v23, v232, v250
	v_fma_f32 v4, v230, v246, -v4
	v_fmac_f32_e32 v23, v233, v249
	v_add_f32_e32 v3, v3, v4
	v_mul_f32_e32 v4, v233, v250
	v_add_f32_e32 v97, v22, v23
	ds_read_b64 v[22:23], v2 offset:944
	v_fma_f32 v4, v232, v249, -v4
	v_add_f32_e32 v3, v3, v4
	s_waitcnt vmcnt(4) lgkmcnt(1)
	v_mul_f32_e32 v4, v235, v252
	v_mul_f32_e32 v98, v234, v252
	v_fma_f32 v4, v234, v251, -v4
	v_fmac_f32_e32 v98, v235, v251
	v_add_f32_e32 v3, v3, v4
	s_waitcnt vmcnt(3)
	v_mul_f32_e32 v4, v237, v253
	v_add_f32_e32 v97, v97, v98
	v_mul_f32_e32 v98, v236, v253
	s_waitcnt vmcnt(0)
	v_fma_f32 v4, v236, v96, -v4
	v_fmac_f32_e32 v98, v237, v96
	v_add_f32_e32 v3, v3, v4
	s_waitcnt lgkmcnt(0)
	v_mul_f32_e32 v4, v23, v255
	v_add_f32_e32 v97, v97, v98
	v_mul_f32_e32 v98, v22, v255
	v_fma_f32 v4, v22, v254, -v4
	v_fmac_f32_e32 v98, v23, v254
	v_add_f32_e32 v3, v3, v4
	v_add_f32_e32 v97, v97, v98
	v_sub_f32_e32 v3, v8, v3
	v_sub_f32_e32 v4, v9, v97
	buffer_store_dword v3, off, s[0:3], 0 offset:56
	buffer_store_dword v4, off, s[0:3], 0 offset:60
	s_and_saveexec_b64 s[4:5], vcc
	s_cbranch_execz .LBB122_355
; %bb.354:
	buffer_load_dword v3, off, s[0:3], 0 offset:48
	buffer_load_dword v4, off, s[0:3], 0 offset:52
	s_waitcnt vmcnt(0)
	ds_write_b64 v1, v[3:4]
	buffer_store_dword v2, off, s[0:3], 0 offset:48
	buffer_store_dword v2, off, s[0:3], 0 offset:52
.LBB122_355:
	s_or_b64 exec, exec, s[4:5]
	s_waitcnt lgkmcnt(0)
	; wave barrier
	buffer_load_dword v11, off, s[0:3], 0 offset:60
	buffer_load_dword v8, off, s[0:3], 0 offset:68
	;; [unrolled: 1-line block ×40, first 2 shown]
	ds_read2_b64 v[144:147], v2 offset0:67 offset1:68
	ds_read2_b64 v[148:151], v2 offset0:69 offset1:70
	;; [unrolled: 1-line block ×6, first 2 shown]
	buffer_load_dword v43, off, s[0:3], 0 offset:208
	buffer_load_dword v44, off, s[0:3], 0 offset:212
	;; [unrolled: 1-line block ×12, first 2 shown]
	ds_read2_b64 v[168:171], v2 offset0:79 offset1:80
	ds_read2_b64 v[172:175], v2 offset0:81 offset1:82
	v_cmp_lt_u32_e32 vcc, 5, v0
	s_waitcnt vmcnt(51) lgkmcnt(7)
	v_mul_f32_e32 v55, v144, v11
	s_waitcnt vmcnt(50)
	v_mul_f32_e32 v56, v146, v8
	s_waitcnt vmcnt(49) lgkmcnt(6)
	v_mul_f32_e32 v57, v148, v7
	s_waitcnt vmcnt(48)
	v_mul_f32_e32 v58, v150, v6
	;; [unrolled: 4-line block ×5, first 2 shown]
	s_waitcnt vmcnt(41) lgkmcnt(2)
	v_mul_f32_e32 v65, v164, v15
	s_waitcnt vmcnt(40)
	v_fmac_f32_e32 v57, v149, v22
	s_waitcnt vmcnt(39)
	v_fmac_f32_e32 v56, v147, v143
	;; [unrolled: 2-line block ×3, first 2 shown]
	v_add_f32_e32 v55, 0, v55
	v_add_f32_e32 v55, v55, v56
	;; [unrolled: 1-line block ×3, first 2 shown]
	s_waitcnt vmcnt(34)
	v_fmac_f32_e32 v58, v151, v27
	v_fmac_f32_e32 v59, v153, v142
	v_add_f32_e32 v55, v55, v58
	buffer_load_dword v57, off, s[0:3], 0 offset:256
	buffer_load_dword v58, off, s[0:3], 0 offset:260
	v_fmac_f32_e32 v60, v155, v21
	v_add_f32_e32 v55, v55, v59
	v_add_f32_e32 v55, v55, v60
	buffer_load_dword v59, off, s[0:3], 0 offset:264
	buffer_load_dword v60, off, s[0:3], 0 offset:268
	v_fmac_f32_e32 v61, v157, v18
	s_waitcnt vmcnt(34)
	v_fmac_f32_e32 v62, v159, v23
	v_add_f32_e32 v55, v55, v61
	v_add_f32_e32 v55, v55, v62
	ds_read2_b64 v[176:179], v2 offset0:83 offset1:84
	buffer_load_dword v61, off, s[0:3], 0 offset:272
	buffer_load_dword v62, off, s[0:3], 0 offset:276
	v_fmac_f32_e32 v63, v161, v20
	v_fmac_f32_e32 v64, v163, v17
	v_add_f32_e32 v55, v55, v63
	v_fmac_f32_e32 v65, v165, v16
	v_add_f32_e32 v55, v55, v64
	s_waitcnt vmcnt(35)
	v_mul_f32_e32 v56, v166, v19
	v_add_f32_e32 v55, v55, v65
	s_waitcnt vmcnt(31)
	v_fmac_f32_e32 v56, v167, v31
	v_add_f32_e32 v55, v55, v56
	s_waitcnt vmcnt(30) lgkmcnt(2)
	v_mul_f32_e32 v56, v168, v32
	v_fmac_f32_e32 v56, v169, v30
	v_add_f32_e32 v55, v55, v56
	s_waitcnt vmcnt(29)
	v_mul_f32_e32 v56, v170, v33
	v_fmac_f32_e32 v56, v171, v29
	v_add_f32_e32 v55, v55, v56
	s_waitcnt vmcnt(28) lgkmcnt(1)
	v_mul_f32_e32 v56, v172, v34
	v_fmac_f32_e32 v56, v173, v28
	v_add_f32_e32 v55, v55, v56
	s_waitcnt vmcnt(27)
	v_mul_f32_e32 v56, v174, v35
	s_waitcnt vmcnt(21)
	v_fmac_f32_e32 v56, v175, v41
	ds_read2_b64 v[180:183], v2 offset0:85 offset1:86
	v_add_f32_e32 v55, v55, v56
	s_waitcnt vmcnt(20) lgkmcnt(1)
	v_mul_f32_e32 v56, v176, v42
	v_fmac_f32_e32 v56, v177, v40
	v_add_f32_e32 v55, v55, v56
	v_mul_f32_e32 v56, v178, v37
	v_fmac_f32_e32 v56, v179, v36
	v_add_f32_e32 v55, v55, v56
	s_waitcnt lgkmcnt(0)
	v_mul_f32_e32 v56, v180, v39
	v_fmac_f32_e32 v56, v181, v38
	v_add_f32_e32 v55, v55, v56
	buffer_load_dword v56, off, s[0:3], 0 offset:280
	buffer_load_dword v63, off, s[0:3], 0 offset:284
	;; [unrolled: 1-line block ×6, first 2 shown]
	s_waitcnt vmcnt(22)
	v_mul_f32_e32 v68, v182, v44
	v_fmac_f32_e32 v68, v183, v43
	ds_read2_b64 v[184:187], v2 offset0:87 offset1:88
	v_add_f32_e32 v55, v55, v68
	buffer_load_dword v68, off, s[0:3], 0 offset:304
	buffer_load_dword v69, off, s[0:3], 0 offset:308
	ds_read2_b64 v[188:191], v2 offset0:89 offset1:90
	buffer_load_dword v71, off, s[0:3], 0 offset:312
	buffer_load_dword v72, off, s[0:3], 0 offset:316
	;; [unrolled: 1-line block ×14, first 2 shown]
	s_waitcnt vmcnt(36) lgkmcnt(1)
	v_mul_f32_e32 v70, v184, v46
	v_fmac_f32_e32 v70, v185, v45
	v_add_f32_e32 v55, v55, v70
	s_waitcnt vmcnt(34)
	v_mul_f32_e32 v70, v186, v48
	buffer_load_dword v85, off, s[0:3], 0 offset:368
	buffer_load_dword v86, off, s[0:3], 0 offset:372
	v_fmac_f32_e32 v70, v187, v47
	v_add_f32_e32 v55, v55, v70
	s_waitcnt vmcnt(34) lgkmcnt(0)
	v_mul_f32_e32 v70, v188, v50
	v_fmac_f32_e32 v70, v189, v49
	v_add_f32_e32 v55, v55, v70
	s_waitcnt vmcnt(32)
	v_mul_f32_e32 v70, v190, v52
	ds_read2_b64 v[192:195], v2 offset0:91 offset1:92
	v_fmac_f32_e32 v70, v191, v51
	v_add_f32_e32 v55, v55, v70
	buffer_load_dword v70, off, s[0:3], 0 offset:376
	buffer_load_dword v87, off, s[0:3], 0 offset:380
	;; [unrolled: 1-line block ×6, first 2 shown]
	ds_read2_b64 v[196:199], v2 offset0:93 offset1:94
	s_waitcnt vmcnt(36) lgkmcnt(1)
	v_mul_f32_e32 v92, v192, v54
	v_fmac_f32_e32 v92, v193, v53
	v_add_f32_e32 v55, v55, v92
	buffer_load_dword v92, off, s[0:3], 0 offset:400
	buffer_load_dword v93, off, s[0:3], 0 offset:404
	v_mul_f32_e32 v11, v145, v11
	v_fma_f32 v11, v144, v26, -v11
	v_mul_f32_e32 v8, v147, v8
	buffer_load_dword v95, off, s[0:3], 0 offset:408
	buffer_load_dword v96, off, s[0:3], 0 offset:412
	;; [unrolled: 1-line block ×6, first 2 shown]
	v_add_f32_e32 v11, 0, v11
	v_fma_f32 v8, v146, v143, -v8
	v_mul_f32_e32 v7, v149, v7
	v_add_f32_e32 v8, v11, v8
	s_waitcnt vmcnt(42)
	v_mul_f32_e32 v94, v194, v58
	v_fma_f32 v7, v148, v22, -v7
	v_mul_f32_e32 v6, v151, v6
	v_fmac_f32_e32 v94, v195, v57
	v_add_f32_e32 v7, v8, v7
	v_fma_f32 v6, v150, v27, -v6
	v_mul_f32_e32 v5, v153, v5
	v_add_f32_e32 v55, v55, v94
	s_waitcnt vmcnt(40) lgkmcnt(0)
	v_mul_f32_e32 v94, v196, v60
	v_add_f32_e32 v6, v7, v6
	v_fma_f32 v5, v152, v142, -v5
	v_mul_f32_e32 v4, v155, v4
	v_fmac_f32_e32 v94, v197, v59
	v_add_f32_e32 v5, v6, v5
	v_fma_f32 v4, v154, v21, -v4
	v_mul_f32_e32 v3, v157, v3
	v_add_f32_e32 v55, v55, v94
	buffer_load_dword v94, off, s[0:3], 0 offset:432
	buffer_load_dword v249, off, s[0:3], 0 offset:436
	v_add_f32_e32 v4, v5, v4
	v_fma_f32 v3, v156, v18, -v3
	v_add_f32_e32 v3, v4, v3
	v_mul_f32_e32 v4, v159, v12
	v_fma_f32 v4, v158, v23, -v4
	v_add_f32_e32 v3, v3, v4
	v_mul_f32_e32 v4, v161, v13
	;; [unrolled: 3-line block ×3, first 2 shown]
	buffer_load_dword v250, off, s[0:3], 0 offset:440
	buffer_load_dword v251, off, s[0:3], 0 offset:444
	;; [unrolled: 1-line block ×6, first 2 shown]
	v_fma_f32 v4, v162, v17, -v4
	s_waitcnt vmcnt(46)
	v_mul_f32_e32 v204, v198, v62
	v_add_f32_e32 v3, v3, v4
	v_mul_f32_e32 v4, v165, v15
	v_fmac_f32_e32 v204, v199, v61
	v_fma_f32 v4, v164, v16, -v4
	ds_read2_b64 v[200:203], v2 offset0:95 offset1:96
	v_add_f32_e32 v55, v55, v204
	ds_read2_b64 v[204:207], v2 offset0:97 offset1:98
	buffer_load_dword v100, off, s[0:3], 0 offset:464
	buffer_load_dword v101, off, s[0:3], 0 offset:468
	v_add_f32_e32 v3, v3, v4
	v_mul_f32_e32 v4, v167, v19
	v_fma_f32 v4, v166, v31, -v4
	v_add_f32_e32 v3, v3, v4
	v_mul_f32_e32 v4, v169, v32
	v_fma_f32 v4, v168, v30, -v4
	v_add_f32_e32 v3, v3, v4
	v_mul_f32_e32 v4, v171, v33
	v_fma_f32 v4, v170, v29, -v4
	v_add_f32_e32 v3, v3, v4
	v_mul_f32_e32 v4, v173, v34
	v_fma_f32 v4, v172, v28, -v4
	v_add_f32_e32 v3, v3, v4
	v_mul_f32_e32 v4, v175, v35
	v_fma_f32 v4, v174, v41, -v4
	v_add_f32_e32 v3, v3, v4
	v_mul_f32_e32 v4, v177, v42
	v_fma_f32 v4, v176, v40, -v4
	v_add_f32_e32 v3, v3, v4
	v_mul_f32_e32 v4, v179, v37
	v_fma_f32 v4, v178, v36, -v4
	v_add_f32_e32 v3, v3, v4
	v_mul_f32_e32 v4, v181, v39
	v_fma_f32 v4, v180, v38, -v4
	v_add_f32_e32 v3, v3, v4
	v_mul_f32_e32 v4, v183, v44
	v_fma_f32 v4, v182, v43, -v4
	v_add_f32_e32 v3, v3, v4
	v_mul_f32_e32 v4, v185, v46
	s_waitcnt vmcnt(46) lgkmcnt(1)
	v_mul_f32_e32 v208, v200, v63
	v_fma_f32 v4, v184, v45, -v4
	v_fmac_f32_e32 v208, v201, v56
	v_add_f32_e32 v3, v3, v4
	v_mul_f32_e32 v4, v187, v48
	v_add_f32_e32 v55, v55, v208
	s_waitcnt vmcnt(45)
	v_mul_f32_e32 v208, v202, v64
	v_fma_f32 v4, v186, v47, -v4
	s_waitcnt vmcnt(42)
	v_fmac_f32_e32 v208, v203, v67
	v_add_f32_e32 v3, v3, v4
	v_mul_f32_e32 v4, v189, v50
	v_add_f32_e32 v55, v55, v208
	s_waitcnt lgkmcnt(0)
	v_mul_f32_e32 v208, v204, v66
	v_fma_f32 v4, v188, v49, -v4
	v_fmac_f32_e32 v208, v205, v65
	v_add_f32_e32 v3, v3, v4
	v_mul_f32_e32 v4, v191, v52
	v_add_f32_e32 v55, v55, v208
	ds_read2_b64 v[208:211], v2 offset0:99 offset1:100
	v_fma_f32 v4, v190, v51, -v4
	v_add_f32_e32 v3, v3, v4
	v_mul_f32_e32 v4, v193, v54
	s_waitcnt vmcnt(40)
	v_mul_f32_e32 v212, v206, v69
	v_fma_f32 v4, v192, v53, -v4
	v_fmac_f32_e32 v212, v207, v68
	v_add_f32_e32 v3, v3, v4
	v_mul_f32_e32 v4, v195, v58
	v_add_f32_e32 v55, v55, v212
	ds_read2_b64 v[212:215], v2 offset0:101 offset1:102
	v_fma_f32 v4, v194, v57, -v4
	s_waitcnt vmcnt(38) lgkmcnt(1)
	v_mul_f32_e32 v216, v208, v72
	v_add_f32_e32 v3, v3, v4
	v_mul_f32_e32 v4, v197, v60
	v_fmac_f32_e32 v216, v209, v71
	v_fma_f32 v4, v196, v59, -v4
	v_add_f32_e32 v55, v55, v216
	s_waitcnt vmcnt(37)
	v_mul_f32_e32 v216, v210, v73
	v_add_f32_e32 v3, v3, v4
	v_mul_f32_e32 v4, v199, v62
	s_waitcnt vmcnt(34)
	v_fmac_f32_e32 v216, v211, v76
	v_fma_f32 v4, v198, v61, -v4
	v_add_f32_e32 v55, v55, v216
	s_waitcnt lgkmcnt(0)
	v_mul_f32_e32 v216, v212, v75
	v_add_f32_e32 v3, v3, v4
	v_mul_f32_e32 v4, v201, v63
	v_fmac_f32_e32 v216, v213, v74
	v_fma_f32 v4, v200, v56, -v4
	v_add_f32_e32 v55, v55, v216
	ds_read2_b64 v[216:219], v2 offset0:103 offset1:104
	v_add_f32_e32 v3, v3, v4
	v_mul_f32_e32 v4, v203, v64
	v_fma_f32 v4, v202, v67, -v4
	s_waitcnt vmcnt(32)
	v_mul_f32_e32 v220, v214, v78
	v_add_f32_e32 v3, v3, v4
	v_mul_f32_e32 v4, v205, v66
	v_fmac_f32_e32 v220, v215, v77
	v_fma_f32 v4, v204, v65, -v4
	v_add_f32_e32 v55, v55, v220
	ds_read2_b64 v[220:223], v2 offset0:105 offset1:106
	v_add_f32_e32 v3, v3, v4
	v_mul_f32_e32 v4, v207, v69
	s_waitcnt vmcnt(30) lgkmcnt(1)
	v_mul_f32_e32 v224, v216, v80
	v_fma_f32 v4, v206, v68, -v4
	v_fmac_f32_e32 v224, v217, v79
	v_add_f32_e32 v3, v3, v4
	v_mul_f32_e32 v4, v209, v72
	v_add_f32_e32 v55, v55, v224
	s_waitcnt vmcnt(29)
	v_mul_f32_e32 v224, v218, v81
	v_fma_f32 v4, v208, v71, -v4
	s_waitcnt vmcnt(26)
	v_fmac_f32_e32 v224, v219, v84
	v_add_f32_e32 v3, v3, v4
	v_mul_f32_e32 v4, v211, v73
	v_add_f32_e32 v55, v55, v224
	s_waitcnt lgkmcnt(0)
	v_mul_f32_e32 v224, v220, v83
	v_fma_f32 v4, v210, v76, -v4
	v_fmac_f32_e32 v224, v221, v82
	v_add_f32_e32 v3, v3, v4
	v_mul_f32_e32 v4, v213, v75
	v_add_f32_e32 v55, v55, v224
	ds_read2_b64 v[224:227], v2 offset0:107 offset1:108
	v_fma_f32 v4, v212, v74, -v4
	v_add_f32_e32 v3, v3, v4
	v_mul_f32_e32 v4, v215, v78
	s_waitcnt vmcnt(24)
	v_mul_f32_e32 v228, v222, v86
	v_fma_f32 v4, v214, v77, -v4
	v_fmac_f32_e32 v228, v223, v85
	v_add_f32_e32 v3, v3, v4
	v_mul_f32_e32 v4, v217, v80
	v_add_f32_e32 v55, v55, v228
	ds_read2_b64 v[228:231], v2 offset0:109 offset1:110
	v_fma_f32 v4, v216, v79, -v4
	s_waitcnt vmcnt(22) lgkmcnt(1)
	v_mul_f32_e32 v232, v224, v87
	v_add_f32_e32 v3, v3, v4
	v_mul_f32_e32 v4, v219, v81
	v_fmac_f32_e32 v232, v225, v70
	v_fma_f32 v4, v218, v84, -v4
	v_add_f32_e32 v55, v55, v232
	s_waitcnt vmcnt(21)
	v_mul_f32_e32 v232, v226, v88
	v_add_f32_e32 v3, v3, v4
	v_mul_f32_e32 v4, v221, v83
	s_waitcnt vmcnt(18)
	v_fmac_f32_e32 v232, v227, v91
	v_fma_f32 v4, v220, v82, -v4
	v_add_f32_e32 v55, v55, v232
	s_waitcnt lgkmcnt(0)
	v_mul_f32_e32 v232, v228, v90
	v_add_f32_e32 v3, v3, v4
	v_mul_f32_e32 v4, v223, v86
	v_fmac_f32_e32 v232, v229, v89
	v_fma_f32 v4, v222, v85, -v4
	v_add_f32_e32 v55, v55, v232
	ds_read2_b64 v[232:235], v2 offset0:111 offset1:112
	v_add_f32_e32 v3, v3, v4
	v_mul_f32_e32 v4, v225, v87
	v_fma_f32 v4, v224, v70, -v4
	s_waitcnt vmcnt(16)
	v_mul_f32_e32 v236, v230, v93
	v_add_f32_e32 v3, v3, v4
	v_mul_f32_e32 v4, v227, v88
	v_fmac_f32_e32 v236, v231, v92
	v_fma_f32 v4, v226, v91, -v4
	v_add_f32_e32 v55, v55, v236
	ds_read2_b64 v[236:239], v2 offset0:113 offset1:114
	v_add_f32_e32 v3, v3, v4
	v_mul_f32_e32 v4, v229, v90
	s_waitcnt vmcnt(14) lgkmcnt(1)
	v_mul_f32_e32 v240, v232, v96
	v_fma_f32 v4, v228, v89, -v4
	v_fmac_f32_e32 v240, v233, v95
	v_add_f32_e32 v3, v3, v4
	v_mul_f32_e32 v4, v231, v93
	v_add_f32_e32 v55, v55, v240
	s_waitcnt vmcnt(13)
	v_mul_f32_e32 v240, v234, v97
	v_fma_f32 v4, v230, v92, -v4
	s_waitcnt vmcnt(10)
	v_fmac_f32_e32 v240, v235, v248
	v_add_f32_e32 v3, v3, v4
	v_mul_f32_e32 v4, v233, v96
	v_add_f32_e32 v55, v55, v240
	s_waitcnt lgkmcnt(0)
	v_mul_f32_e32 v240, v236, v99
	v_fma_f32 v4, v232, v95, -v4
	v_fmac_f32_e32 v240, v237, v98
	v_add_f32_e32 v3, v3, v4
	v_mul_f32_e32 v4, v235, v97
	v_add_f32_e32 v55, v55, v240
	ds_read2_b64 v[240:243], v2 offset0:115 offset1:116
	v_fma_f32 v4, v234, v248, -v4
	v_add_f32_e32 v3, v3, v4
	v_mul_f32_e32 v4, v237, v99
	s_waitcnt vmcnt(8)
	v_mul_f32_e32 v244, v238, v249
	v_fma_f32 v4, v236, v98, -v4
	v_fmac_f32_e32 v244, v239, v94
	v_add_f32_e32 v3, v3, v4
	v_mul_f32_e32 v4, v239, v249
	v_add_f32_e32 v55, v55, v244
	ds_read2_b64 v[244:247], v2 offset0:117 offset1:118
	v_fma_f32 v4, v238, v94, -v4
	v_add_f32_e32 v3, v3, v4
	s_waitcnt vmcnt(6) lgkmcnt(1)
	v_mul_f32_e32 v4, v241, v251
	v_mul_f32_e32 v2, v240, v251
	v_fma_f32 v4, v240, v250, -v4
	v_fmac_f32_e32 v2, v241, v250
	v_add_f32_e32 v3, v3, v4
	s_waitcnt vmcnt(5)
	v_mul_f32_e32 v4, v243, v252
	v_add_f32_e32 v2, v55, v2
	v_mul_f32_e32 v55, v242, v252
	s_waitcnt vmcnt(2)
	v_fma_f32 v4, v242, v255, -v4
	v_fmac_f32_e32 v55, v243, v255
	v_add_f32_e32 v3, v3, v4
	s_waitcnt lgkmcnt(0)
	v_mul_f32_e32 v4, v245, v254
	v_add_f32_e32 v2, v2, v55
	v_mul_f32_e32 v55, v244, v254
	v_fma_f32 v4, v244, v253, -v4
	v_fmac_f32_e32 v55, v245, v253
	v_add_f32_e32 v3, v3, v4
	s_waitcnt vmcnt(0)
	v_mul_f32_e32 v4, v247, v101
	v_add_f32_e32 v2, v2, v55
	v_mul_f32_e32 v55, v246, v101
	v_fma_f32 v4, v246, v100, -v4
	v_fmac_f32_e32 v55, v247, v100
	v_add_f32_e32 v3, v3, v4
	v_add_f32_e32 v2, v2, v55
	v_sub_f32_e32 v3, v9, v3
	v_sub_f32_e32 v2, v10, v2
	buffer_store_dword v3, off, s[0:3], 0 offset:48
	buffer_store_dword v2, off, s[0:3], 0 offset:52
	s_and_saveexec_b64 s[4:5], vcc
	s_cbranch_execz .LBB122_357
; %bb.356:
	buffer_load_dword v2, off, s[0:3], 0 offset:40
	buffer_load_dword v3, off, s[0:3], 0 offset:44
	v_mov_b32_e32 v4, 0
	buffer_store_dword v4, off, s[0:3], 0 offset:40
	buffer_store_dword v4, off, s[0:3], 0 offset:44
	s_waitcnt vmcnt(2)
	ds_write_b64 v1, v[2:3]
.LBB122_357:
	s_or_b64 exec, exec, s[4:5]
	s_waitcnt lgkmcnt(0)
	; wave barrier
	buffer_load_dword v11, off, s[0:3], 0 offset:52
	buffer_load_dword v10, off, s[0:3], 0 offset:60
	buffer_load_dword v9, off, s[0:3], 0 offset:68
	buffer_load_dword v8, off, s[0:3], 0 offset:76
	buffer_load_dword v7, off, s[0:3], 0 offset:84
	buffer_load_dword v6, off, s[0:3], 0 offset:92
	buffer_load_dword v5, off, s[0:3], 0 offset:100
	buffer_load_dword v12, off, s[0:3], 0 offset:108
	buffer_load_dword v13, off, s[0:3], 0 offset:116
	buffer_load_dword v14, off, s[0:3], 0 offset:124
	buffer_load_dword v15, off, s[0:3], 0 offset:132
	buffer_load_dword v22, off, s[0:3], 0 offset:64
	buffer_load_dword v143, off, s[0:3], 0 offset:56
	buffer_load_dword v145, off, s[0:3], 0 offset:48
	buffer_load_dword v18, off, s[0:3], 0 offset:96
	buffer_load_dword v21, off, s[0:3], 0 offset:88
	buffer_load_dword v142, off, s[0:3], 0 offset:80
	buffer_load_dword v144, off, s[0:3], 0 offset:72
	buffer_load_dword v16, off, s[0:3], 0 offset:128
	buffer_load_dword v17, off, s[0:3], 0 offset:120
	buffer_load_dword v20, off, s[0:3], 0 offset:112
	buffer_load_dword v23, off, s[0:3], 0 offset:104
	buffer_load_dword v19, off, s[0:3], 0 offset:140
	buffer_load_dword v146, off, s[0:3], 0 offset:160
	buffer_load_dword v147, off, s[0:3], 0 offset:152
	buffer_load_dword v149, off, s[0:3], 0 offset:144
	buffer_load_dword v152, off, s[0:3], 0 offset:136
	buffer_load_dword v151, off, s[0:3], 0 offset:148
	buffer_load_dword v150, off, s[0:3], 0 offset:156
	buffer_load_dword v148, off, s[0:3], 0 offset:164
	buffer_load_dword v153, off, s[0:3], 0 offset:172
	buffer_load_dword v154, off, s[0:3], 0 offset:176
	buffer_load_dword v155, off, s[0:3], 0 offset:180
	buffer_load_dword v156, off, s[0:3], 0 offset:184
	buffer_load_dword v36, off, s[0:3], 0 offset:188
	buffer_load_dword v37, off, s[0:3], 0 offset:192
	buffer_load_dword v38, off, s[0:3], 0 offset:196
	buffer_load_dword v39, off, s[0:3], 0 offset:168
	buffer_load_dword v3, off, s[0:3], 0 offset:40
	buffer_load_dword v4, off, s[0:3], 0 offset:44
	v_mov_b32_e32 v2, 0
	buffer_load_dword v40, off, s[0:3], 0 offset:200
	buffer_load_dword v41, off, s[0:3], 0 offset:204
	;; [unrolled: 1-line block ×11, first 2 shown]
	ds_read_b128 v[157:160], v2 offset:528
	ds_read_b128 v[161:164], v2 offset:544
	;; [unrolled: 1-line block ×8, first 2 shown]
	v_cmp_lt_u32_e32 vcc, 4, v0
	s_waitcnt vmcnt(50) lgkmcnt(7)
	v_mul_f32_e32 v26, v157, v11
	s_waitcnt vmcnt(49)
	v_mul_f32_e32 v27, v159, v10
	s_waitcnt vmcnt(48) lgkmcnt(6)
	v_mul_f32_e32 v28, v161, v9
	s_waitcnt vmcnt(47)
	v_mul_f32_e32 v29, v163, v8
	s_waitcnt vmcnt(46) lgkmcnt(5)
	v_mul_f32_e32 v30, v165, v7
	s_waitcnt vmcnt(45)
	v_mul_f32_e32 v31, v167, v6
	s_waitcnt vmcnt(44) lgkmcnt(4)
	v_mul_f32_e32 v32, v169, v5
	s_waitcnt vmcnt(43)
	v_mul_f32_e32 v33, v171, v12
	s_waitcnt vmcnt(42) lgkmcnt(3)
	v_mul_f32_e32 v34, v173, v13
	s_waitcnt vmcnt(41)
	v_mul_f32_e32 v35, v175, v14
	s_waitcnt vmcnt(40) lgkmcnt(2)
	v_mul_f32_e32 v51, v177, v15
	s_waitcnt vmcnt(39)
	v_fmac_f32_e32 v28, v162, v22
	s_waitcnt vmcnt(38)
	v_fmac_f32_e32 v27, v160, v143
	;; [unrolled: 2-line block ×3, first 2 shown]
	v_add_f32_e32 v26, 0, v26
	v_add_f32_e32 v26, v26, v27
	;; [unrolled: 1-line block ×3, first 2 shown]
	s_waitcnt vmcnt(33)
	v_fmac_f32_e32 v29, v164, v144
	v_fmac_f32_e32 v30, v166, v142
	v_add_f32_e32 v26, v26, v29
	v_fmac_f32_e32 v31, v168, v21
	v_add_f32_e32 v26, v26, v30
	;; [unrolled: 2-line block ×3, first 2 shown]
	s_waitcnt vmcnt(29)
	v_fmac_f32_e32 v33, v172, v23
	v_add_f32_e32 v26, v26, v32
	v_fmac_f32_e32 v34, v174, v20
	v_add_f32_e32 v26, v26, v33
	;; [unrolled: 2-line block ×4, first 2 shown]
	v_add_f32_e32 v26, v26, v51
	buffer_load_dword v51, off, s[0:3], 0 offset:240
	buffer_load_dword v52, off, s[0:3], 0 offset:248
	buffer_load_dword v53, off, s[0:3], 0 offset:252
	buffer_load_dword v54, off, s[0:3], 0 offset:256
	buffer_load_dword v55, off, s[0:3], 0 offset:260
	ds_read_b128 v[189:192], v2 offset:656
	buffer_load_dword v56, off, s[0:3], 0 offset:264
	buffer_load_dword v57, off, s[0:3], 0 offset:268
	ds_read_b128 v[193:196], v2 offset:672
	buffer_load_dword v58, off, s[0:3], 0 offset:272
	buffer_load_dword v59, off, s[0:3], 0 offset:276
	;; [unrolled: 3-line block ×3, first 2 shown]
	buffer_load_dword v62, off, s[0:3], 0 offset:292
	buffer_load_dword v63, off, s[0:3], 0 offset:280
	ds_read_b128 v[201:204], v2 offset:704
	buffer_load_dword v64, off, s[0:3], 0 offset:296
	buffer_load_dword v65, off, s[0:3], 0 offset:300
	;; [unrolled: 1-line block ×16, first 2 shown]
	ds_read_b128 v[205:208], v2 offset:720
	buffer_load_dword v80, off, s[0:3], 0 offset:360
	buffer_load_dword v81, off, s[0:3], 0 offset:364
	ds_read_b128 v[209:212], v2 offset:736
	buffer_load_dword v82, off, s[0:3], 0 offset:368
	buffer_load_dword v83, off, s[0:3], 0 offset:372
	;; [unrolled: 1-line block ×8, first 2 shown]
	v_mul_f32_e32 v11, v158, v11
	buffer_load_dword v90, off, s[0:3], 0 offset:400
	buffer_load_dword v91, off, s[0:3], 0 offset:404
	;; [unrolled: 1-line block ×6, first 2 shown]
	v_fma_f32 v11, v157, v145, -v11
	v_mul_f32_e32 v10, v160, v10
	v_add_f32_e32 v11, 0, v11
	v_fma_f32 v10, v159, v143, -v10
	v_mul_f32_e32 v9, v162, v9
	v_add_f32_e32 v10, v11, v10
	v_fma_f32 v9, v161, v22, -v9
	v_mul_f32_e32 v8, v164, v8
	v_add_f32_e32 v9, v10, v9
	v_fma_f32 v8, v163, v144, -v8
	v_mul_f32_e32 v7, v166, v7
	v_add_f32_e32 v8, v9, v8
	v_fma_f32 v7, v165, v142, -v7
	v_mul_f32_e32 v6, v168, v6
	v_add_f32_e32 v7, v8, v7
	v_fma_f32 v6, v167, v21, -v6
	v_mul_f32_e32 v5, v170, v5
	buffer_load_dword v96, off, s[0:3], 0 offset:424
	buffer_load_dword v97, off, s[0:3], 0 offset:428
	v_add_f32_e32 v6, v7, v6
	v_fma_f32 v5, v169, v18, -v5
	v_add_f32_e32 v5, v6, v5
	v_mul_f32_e32 v6, v172, v12
	v_fma_f32 v6, v171, v23, -v6
	v_add_f32_e32 v5, v5, v6
	v_mul_f32_e32 v6, v174, v13
	v_fma_f32 v6, v173, v20, -v6
	s_waitcnt vmcnt(62)
	v_mul_f32_e32 v27, v179, v19
	ds_read_b128 v[213:216], v2 offset:752
	buffer_load_dword v98, off, s[0:3], 0 offset:432
	buffer_load_dword v99, off, s[0:3], 0 offset:436
	;; [unrolled: 1-line block ×6, first 2 shown]
	v_add_f32_e32 v5, v5, v6
	v_mul_f32_e32 v6, v176, v14
	v_fmac_f32_e32 v27, v180, v152
	v_fma_f32 v6, v175, v17, -v6
	v_add_f32_e32 v26, v26, v27
	s_waitcnt lgkmcnt(8)
	v_mul_f32_e32 v27, v181, v151
	v_add_f32_e32 v5, v5, v6
	v_mul_f32_e32 v6, v178, v15
	v_fmac_f32_e32 v27, v182, v149
	v_fma_f32 v6, v177, v16, -v6
	v_add_f32_e32 v26, v26, v27
	v_mul_f32_e32 v27, v183, v150
	v_add_f32_e32 v5, v5, v6
	v_mul_f32_e32 v6, v180, v19
	v_fmac_f32_e32 v27, v184, v147
	ds_read_b128 v[217:220], v2 offset:768
	buffer_load_dword v255, off, s[0:3], 0 offset:460
	buffer_load_dword v102, off, s[0:3], 0 offset:464
	;; [unrolled: 1-line block ×4, first 2 shown]
	v_fma_f32 v6, v179, v152, -v6
	v_add_f32_e32 v26, v26, v27
	s_waitcnt lgkmcnt(8)
	v_mul_f32_e32 v27, v185, v148
	v_add_f32_e32 v5, v5, v6
	v_mul_f32_e32 v6, v182, v151
	v_fmac_f32_e32 v27, v186, v146
	v_fma_f32 v6, v181, v149, -v6
	v_add_f32_e32 v26, v26, v27
	v_mul_f32_e32 v27, v187, v153
	v_add_f32_e32 v5, v5, v6
	v_mul_f32_e32 v6, v184, v150
	s_waitcnt vmcnt(62)
	v_fmac_f32_e32 v27, v188, v39
	v_fma_f32 v6, v183, v147, -v6
	v_add_f32_e32 v26, v26, v27
	s_waitcnt lgkmcnt(7)
	v_mul_f32_e32 v27, v189, v155
	v_add_f32_e32 v5, v5, v6
	v_mul_f32_e32 v6, v186, v148
	v_fmac_f32_e32 v27, v190, v154
	v_fma_f32 v6, v185, v146, -v6
	v_add_f32_e32 v26, v26, v27
	v_mul_f32_e32 v27, v191, v36
	v_add_f32_e32 v5, v5, v6
	v_mul_f32_e32 v6, v188, v153
	v_fmac_f32_e32 v27, v192, v156
	v_fma_f32 v6, v187, v39, -v6
	v_add_f32_e32 v26, v26, v27
	s_waitcnt lgkmcnt(6)
	v_mul_f32_e32 v27, v193, v38
	v_add_f32_e32 v5, v5, v6
	v_mul_f32_e32 v6, v190, v155
	v_fmac_f32_e32 v27, v194, v37
	v_fma_f32 v6, v189, v154, -v6
	v_add_f32_e32 v26, v26, v27
	v_mul_f32_e32 v27, v195, v41
	v_add_f32_e32 v5, v5, v6
	v_mul_f32_e32 v6, v192, v36
	;; [unrolled: 13-line block ×3, first 2 shown]
	v_fmac_f32_e32 v27, v200, v44
	v_fma_f32 v6, v195, v40, -v6
	v_add_f32_e32 v26, v26, v27
	s_waitcnt vmcnt(60) lgkmcnt(4)
	v_mul_f32_e32 v27, v201, v47
	v_add_f32_e32 v5, v5, v6
	v_mul_f32_e32 v6, v198, v43
	v_fmac_f32_e32 v27, v202, v46
	v_fma_f32 v6, v197, v42, -v6
	v_add_f32_e32 v26, v26, v27
	s_waitcnt vmcnt(58)
	v_mul_f32_e32 v27, v203, v49
	v_add_f32_e32 v5, v5, v6
	v_mul_f32_e32 v6, v200, v45
	v_fmac_f32_e32 v27, v204, v48
	v_fma_f32 v6, v199, v44, -v6
	v_add_f32_e32 v26, v26, v27
	s_waitcnt vmcnt(57) lgkmcnt(3)
	v_mul_f32_e32 v27, v205, v50
	v_add_f32_e32 v5, v5, v6
	v_mul_f32_e32 v6, v202, v47
	s_waitcnt vmcnt(56)
	v_fmac_f32_e32 v27, v206, v51
	v_fma_f32 v6, v201, v46, -v6
	v_add_f32_e32 v26, v26, v27
	s_waitcnt vmcnt(54)
	v_mul_f32_e32 v27, v207, v53
	v_add_f32_e32 v5, v5, v6
	v_mul_f32_e32 v6, v204, v49
	v_fmac_f32_e32 v27, v208, v52
	v_fma_f32 v6, v203, v48, -v6
	v_add_f32_e32 v26, v26, v27
	s_waitcnt vmcnt(52) lgkmcnt(2)
	v_mul_f32_e32 v27, v209, v55
	v_add_f32_e32 v5, v5, v6
	v_mul_f32_e32 v6, v206, v50
	v_fmac_f32_e32 v27, v210, v54
	v_fma_f32 v6, v205, v51, -v6
	v_add_f32_e32 v26, v26, v27
	s_waitcnt vmcnt(50)
	v_mul_f32_e32 v27, v211, v57
	v_add_f32_e32 v5, v5, v6
	v_mul_f32_e32 v6, v208, v53
	v_fmac_f32_e32 v27, v212, v56
	v_fma_f32 v6, v207, v52, -v6
	v_add_f32_e32 v26, v26, v27
	s_waitcnt vmcnt(48) lgkmcnt(1)
	v_mul_f32_e32 v27, v213, v59
	v_add_f32_e32 v5, v5, v6
	v_mul_f32_e32 v6, v210, v55
	v_fmac_f32_e32 v27, v214, v58
	v_fma_f32 v6, v209, v54, -v6
	v_add_f32_e32 v26, v26, v27
	s_waitcnt vmcnt(47)
	v_mul_f32_e32 v27, v215, v60
	v_add_f32_e32 v5, v5, v6
	v_mul_f32_e32 v6, v212, v57
	s_waitcnt vmcnt(44)
	v_fmac_f32_e32 v27, v216, v63
	ds_read_b128 v[221:224], v2 offset:784
	ds_read_b128 v[225:228], v2 offset:800
	v_fma_f32 v6, v211, v56, -v6
	v_add_f32_e32 v26, v26, v27
	s_waitcnt lgkmcnt(2)
	v_mul_f32_e32 v27, v217, v62
	v_add_f32_e32 v5, v5, v6
	v_mul_f32_e32 v6, v214, v59
	v_fmac_f32_e32 v27, v218, v61
	v_fma_f32 v6, v213, v58, -v6
	v_add_f32_e32 v26, v26, v27
	s_waitcnt vmcnt(42)
	v_mul_f32_e32 v27, v219, v65
	v_add_f32_e32 v5, v5, v6
	v_mul_f32_e32 v6, v216, v60
	v_fmac_f32_e32 v27, v220, v64
	v_fma_f32 v6, v215, v63, -v6
	v_add_f32_e32 v26, v26, v27
	s_waitcnt vmcnt(40) lgkmcnt(1)
	v_mul_f32_e32 v27, v221, v67
	v_add_f32_e32 v5, v5, v6
	v_mul_f32_e32 v6, v218, v62
	v_fmac_f32_e32 v27, v222, v66
	v_fma_f32 v6, v217, v61, -v6
	v_add_f32_e32 v26, v26, v27
	s_waitcnt vmcnt(39)
	v_mul_f32_e32 v27, v223, v68
	v_add_f32_e32 v5, v5, v6
	v_mul_f32_e32 v6, v220, v65
	s_waitcnt vmcnt(36)
	v_fmac_f32_e32 v27, v224, v71
	ds_read_b128 v[229:232], v2 offset:816
	ds_read_b128 v[233:236], v2 offset:832
	v_fma_f32 v6, v219, v64, -v6
	v_add_f32_e32 v26, v26, v27
	s_waitcnt lgkmcnt(2)
	;; [unrolled: 31-line block ×4, first 2 shown]
	v_mul_f32_e32 v27, v241, v86
	v_add_f32_e32 v5, v5, v6
	v_mul_f32_e32 v6, v238, v83
	v_fmac_f32_e32 v27, v242, v85
	v_fma_f32 v6, v237, v82, -v6
	v_add_f32_e32 v26, v26, v27
	s_waitcnt vmcnt(18)
	v_mul_f32_e32 v27, v243, v89
	v_add_f32_e32 v5, v5, v6
	v_mul_f32_e32 v6, v240, v84
	v_fmac_f32_e32 v27, v244, v88
	v_fma_f32 v6, v239, v87, -v6
	v_add_f32_e32 v26, v26, v27
	s_waitcnt vmcnt(16) lgkmcnt(1)
	v_mul_f32_e32 v27, v245, v91
	v_add_f32_e32 v5, v5, v6
	v_mul_f32_e32 v6, v242, v86
	v_fmac_f32_e32 v27, v246, v90
	v_fma_f32 v6, v241, v85, -v6
	v_add_f32_e32 v26, v26, v27
	s_waitcnt vmcnt(15)
	v_mul_f32_e32 v27, v247, v92
	v_add_f32_e32 v5, v5, v6
	v_mul_f32_e32 v6, v244, v89
	s_waitcnt vmcnt(12)
	v_fmac_f32_e32 v27, v248, v95
	v_fma_f32 v6, v243, v88, -v6
	v_add_f32_e32 v26, v26, v27
	s_waitcnt lgkmcnt(0)
	v_mul_f32_e32 v27, v249, v94
	v_add_f32_e32 v5, v5, v6
	v_mul_f32_e32 v6, v246, v91
	v_fmac_f32_e32 v27, v250, v93
	v_fma_f32 v6, v245, v90, -v6
	v_add_f32_e32 v30, v26, v27
	ds_read_b128 v[26:29], v2 offset:912
	v_add_f32_e32 v5, v5, v6
	v_mul_f32_e32 v6, v248, v92
	v_fma_f32 v6, v247, v95, -v6
	v_add_f32_e32 v5, v5, v6
	v_mul_f32_e32 v6, v250, v94
	s_waitcnt vmcnt(10)
	v_mul_f32_e32 v31, v251, v97
	v_fma_f32 v6, v249, v93, -v6
	v_fmac_f32_e32 v31, v252, v96
	v_add_f32_e32 v5, v5, v6
	v_mul_f32_e32 v6, v252, v97
	v_add_f32_e32 v34, v30, v31
	ds_read_b128 v[30:33], v2 offset:928
	s_waitcnt vmcnt(8) lgkmcnt(1)
	v_mul_f32_e32 v35, v26, v99
	v_fma_f32 v6, v251, v96, -v6
	v_fmac_f32_e32 v35, v27, v98
	v_add_f32_e32 v5, v5, v6
	v_mul_f32_e32 v6, v27, v99
	v_add_f32_e32 v34, v34, v35
	s_waitcnt vmcnt(7)
	v_mul_f32_e32 v35, v28, v100
	v_fma_f32 v6, v26, v98, -v6
	s_waitcnt vmcnt(4)
	v_fmac_f32_e32 v35, v29, v254
	v_add_f32_e32 v5, v5, v6
	v_mul_f32_e32 v6, v29, v100
	v_add_f32_e32 v105, v34, v35
	ds_read_b64 v[34:35], v2 offset:944
	v_fma_f32 v6, v28, v254, -v6
	v_add_f32_e32 v5, v5, v6
	s_waitcnt lgkmcnt(1)
	v_mul_f32_e32 v6, v31, v253
	v_mul_f32_e32 v106, v30, v253
	v_fma_f32 v6, v30, v101, -v6
	v_fmac_f32_e32 v106, v31, v101
	v_add_f32_e32 v5, v5, v6
	s_waitcnt vmcnt(3)
	v_mul_f32_e32 v6, v33, v255
	v_add_f32_e32 v105, v105, v106
	v_mul_f32_e32 v106, v32, v255
	s_waitcnt vmcnt(0)
	v_fma_f32 v6, v32, v104, -v6
	v_fmac_f32_e32 v106, v33, v104
	v_add_f32_e32 v5, v5, v6
	s_waitcnt lgkmcnt(0)
	v_mul_f32_e32 v6, v35, v103
	v_add_f32_e32 v105, v105, v106
	v_mul_f32_e32 v106, v34, v103
	v_fma_f32 v6, v34, v102, -v6
	v_fmac_f32_e32 v106, v35, v102
	v_add_f32_e32 v5, v5, v6
	v_add_f32_e32 v105, v105, v106
	v_sub_f32_e32 v3, v3, v5
	v_sub_f32_e32 v4, v4, v105
	buffer_store_dword v3, off, s[0:3], 0 offset:40
	buffer_store_dword v4, off, s[0:3], 0 offset:44
	s_and_saveexec_b64 s[4:5], vcc
	s_cbranch_execz .LBB122_359
; %bb.358:
	buffer_load_dword v3, off, s[0:3], 0 offset:32
	buffer_load_dword v4, off, s[0:3], 0 offset:36
	s_waitcnt vmcnt(0)
	ds_write_b64 v1, v[3:4]
	buffer_store_dword v2, off, s[0:3], 0 offset:32
	buffer_store_dword v2, off, s[0:3], 0 offset:36
.LBB122_359:
	s_or_b64 exec, exec, s[4:5]
	s_waitcnt lgkmcnt(0)
	; wave barrier
	buffer_load_dword v11, off, s[0:3], 0 offset:44
	buffer_load_dword v10, off, s[0:3], 0 offset:52
	;; [unrolled: 1-line block ×40, first 2 shown]
	ds_read2_b64 v[26:29], v2 offset0:65 offset1:66
	ds_read2_b64 v[30:33], v2 offset0:67 offset1:68
	;; [unrolled: 1-line block ×6, first 2 shown]
	buffer_load_dword v41, off, s[0:3], 0 offset:192
	buffer_load_dword v42, off, s[0:3], 0 offset:196
	buffer_load_dword v43, off, s[0:3], 0 offset:200
	buffer_load_dword v44, off, s[0:3], 0 offset:204
	buffer_load_dword v45, off, s[0:3], 0 offset:208
	buffer_load_dword v46, off, s[0:3], 0 offset:212
	buffer_load_dword v47, off, s[0:3], 0 offset:216
	buffer_load_dword v48, off, s[0:3], 0 offset:220
	buffer_load_dword v49, off, s[0:3], 0 offset:224
	buffer_load_dword v50, off, s[0:3], 0 offset:228
	buffer_load_dword v51, off, s[0:3], 0 offset:232
	buffer_load_dword v52, off, s[0:3], 0 offset:236
	ds_read2_b64 v[170:173], v2 offset0:77 offset1:78
	ds_read2_b64 v[174:177], v2 offset0:79 offset1:80
	v_cmp_lt_u32_e32 vcc, 3, v0
	s_waitcnt vmcnt(51) lgkmcnt(7)
	v_mul_f32_e32 v53, v26, v11
	s_waitcnt vmcnt(50)
	v_mul_f32_e32 v54, v28, v10
	s_waitcnt vmcnt(49) lgkmcnt(6)
	v_mul_f32_e32 v55, v30, v9
	s_waitcnt vmcnt(48)
	v_mul_f32_e32 v56, v32, v8
	;; [unrolled: 4-line block ×5, first 2 shown]
	s_waitcnt vmcnt(41) lgkmcnt(2)
	v_mul_f32_e32 v63, v166, v15
	s_waitcnt vmcnt(40)
	v_fmac_f32_e32 v55, v31, v22
	s_waitcnt vmcnt(39)
	v_fmac_f32_e32 v54, v29, v143
	;; [unrolled: 2-line block ×3, first 2 shown]
	v_add_f32_e32 v53, 0, v53
	v_add_f32_e32 v53, v53, v54
	;; [unrolled: 1-line block ×3, first 2 shown]
	s_waitcnt vmcnt(34)
	v_fmac_f32_e32 v56, v33, v144
	v_fmac_f32_e32 v57, v155, v142
	v_add_f32_e32 v53, v53, v56
	v_fmac_f32_e32 v58, v157, v21
	v_add_f32_e32 v53, v53, v57
	;; [unrolled: 2-line block ×3, first 2 shown]
	s_waitcnt vmcnt(30)
	v_fmac_f32_e32 v60, v161, v23
	v_add_f32_e32 v53, v53, v59
	v_fmac_f32_e32 v61, v163, v20
	v_add_f32_e32 v53, v53, v60
	v_fmac_f32_e32 v62, v165, v17
	v_add_f32_e32 v53, v53, v61
	v_fmac_f32_e32 v63, v167, v16
	v_add_f32_e32 v53, v53, v62
	s_waitcnt vmcnt(29)
	v_mul_f32_e32 v54, v168, v19
	v_add_f32_e32 v53, v53, v63
	s_waitcnt vmcnt(25)
	v_fmac_f32_e32 v54, v169, v152
	v_add_f32_e32 v53, v53, v54
	s_waitcnt vmcnt(24) lgkmcnt(1)
	v_mul_f32_e32 v54, v170, v151
	buffer_load_dword v55, off, s[0:3], 0 offset:244
	buffer_load_dword v56, off, s[0:3], 0 offset:240
	;; [unrolled: 1-line block ×4, first 2 shown]
	v_fmac_f32_e32 v54, v171, v149
	v_add_f32_e32 v53, v53, v54
	s_waitcnt vmcnt(27)
	v_mul_f32_e32 v54, v172, v150
	v_fmac_f32_e32 v54, v173, v147
	v_add_f32_e32 v53, v53, v54
	buffer_load_dword v54, off, s[0:3], 0 offset:256
	buffer_load_dword v59, off, s[0:3], 0 offset:260
	ds_read2_b64 v[178:181], v2 offset0:81 offset1:82
	ds_read2_b64 v[182:185], v2 offset0:83 offset1:84
	s_waitcnt vmcnt(28) lgkmcnt(2)
	v_mul_f32_e32 v60, v174, v148
	v_fmac_f32_e32 v60, v175, v146
	v_add_f32_e32 v53, v53, v60
	s_waitcnt vmcnt(27)
	v_mul_f32_e32 v60, v176, v153
	s_waitcnt vmcnt(21)
	v_fmac_f32_e32 v60, v177, v39
	v_add_f32_e32 v53, v53, v60
	s_waitcnt vmcnt(20) lgkmcnt(1)
	v_mul_f32_e32 v60, v178, v40
	v_fmac_f32_e32 v60, v179, v38
	v_add_f32_e32 v53, v53, v60
	v_mul_f32_e32 v60, v180, v35
	buffer_load_dword v61, off, s[0:3], 0 offset:268
	v_fmac_f32_e32 v60, v181, v34
	buffer_load_dword v62, off, s[0:3], 0 offset:264
	buffer_load_dword v63, off, s[0:3], 0 offset:272
	;; [unrolled: 1-line block ×3, first 2 shown]
	ds_read2_b64 v[186:189], v2 offset0:85 offset1:86
	v_add_f32_e32 v53, v53, v60
	s_waitcnt lgkmcnt(1)
	v_mul_f32_e32 v60, v182, v37
	v_fmac_f32_e32 v60, v183, v36
	v_add_f32_e32 v53, v53, v60
	s_waitcnt vmcnt(20)
	v_mul_f32_e32 v60, v184, v42
	v_fmac_f32_e32 v60, v185, v41
	buffer_load_dword v65, off, s[0:3], 0 offset:280
	buffer_load_dword v66, off, s[0:3], 0 offset:284
	v_add_f32_e32 v53, v53, v60
	s_waitcnt vmcnt(20) lgkmcnt(0)
	v_mul_f32_e32 v60, v186, v44
	v_fmac_f32_e32 v60, v187, v43
	ds_read2_b64 v[190:193], v2 offset0:87 offset1:88
	v_add_f32_e32 v53, v53, v60
	buffer_load_dword v60, off, s[0:3], 0 offset:288
	buffer_load_dword v67, off, s[0:3], 0 offset:292
	s_waitcnt vmcnt(20)
	v_mul_f32_e32 v68, v188, v46
	v_fmac_f32_e32 v68, v189, v45
	buffer_load_dword v69, off, s[0:3], 0 offset:296
	buffer_load_dword v70, off, s[0:3], 0 offset:300
	;; [unrolled: 1-line block ×6, first 2 shown]
	v_add_f32_e32 v53, v53, v68
	s_waitcnt vmcnt(24) lgkmcnt(0)
	v_mul_f32_e32 v68, v190, v48
	v_fmac_f32_e32 v68, v191, v47
	v_add_f32_e32 v53, v53, v68
	buffer_load_dword v68, off, s[0:3], 0 offset:320
	buffer_load_dword v75, off, s[0:3], 0 offset:324
	ds_read2_b64 v[194:197], v2 offset0:89 offset1:90
	buffer_load_dword v77, off, s[0:3], 0 offset:328
	buffer_load_dword v78, off, s[0:3], 0 offset:332
	;; [unrolled: 1-line block ×6, first 2 shown]
	ds_read2_b64 v[198:201], v2 offset0:91 offset1:92
	buffer_load_dword v83, off, s[0:3], 0 offset:352
	buffer_load_dword v84, off, s[0:3], 0 offset:356
	s_waitcnt vmcnt(32)
	v_mul_f32_e32 v76, v192, v50
	v_fmac_f32_e32 v76, v193, v49
	v_add_f32_e32 v53, v53, v76
	s_waitcnt vmcnt(30) lgkmcnt(1)
	v_mul_f32_e32 v76, v194, v52
	v_fmac_f32_e32 v76, v195, v51
	v_add_f32_e32 v53, v53, v76
	buffer_load_dword v76, off, s[0:3], 0 offset:360
	buffer_load_dword v85, off, s[0:3], 0 offset:364
	;; [unrolled: 1-line block ×8, first 2 shown]
	v_mul_f32_e32 v11, v27, v11
	v_fma_f32 v11, v26, v145, -v11
	v_mul_f32_e32 v10, v29, v10
	v_add_f32_e32 v11, 0, v11
	v_fma_f32 v10, v28, v143, -v10
	v_mul_f32_e32 v9, v31, v9
	v_add_f32_e32 v10, v11, v10
	;; [unrolled: 3-line block ×6, first 2 shown]
	v_fma_f32 v3, v158, v18, -v3
	v_add_f32_e32 v3, v4, v3
	s_waitcnt vmcnt(37)
	v_mul_f32_e32 v90, v196, v55
	s_waitcnt vmcnt(36)
	v_fmac_f32_e32 v90, v197, v56
	v_add_f32_e32 v53, v53, v90
	s_waitcnt vmcnt(34) lgkmcnt(0)
	v_mul_f32_e32 v90, v198, v58
	v_fmac_f32_e32 v90, v199, v57
	v_add_f32_e32 v53, v53, v90
	buffer_load_dword v90, off, s[0:3], 0 offset:392
	buffer_load_dword v93, off, s[0:3], 0 offset:396
	;; [unrolled: 1-line block ×6, first 2 shown]
	ds_read2_b64 v[202:205], v2 offset0:93 offset1:94
	v_mul_f32_e32 v4, v161, v12
	s_waitcnt vmcnt(38)
	v_mul_f32_e32 v98, v200, v59
	v_fmac_f32_e32 v98, v201, v54
	v_add_f32_e32 v53, v53, v98
	buffer_load_dword v98, off, s[0:3], 0 offset:416
	buffer_load_dword v99, off, s[0:3], 0 offset:420
	v_fma_f32 v4, v160, v23, -v4
	v_add_f32_e32 v3, v3, v4
	v_mul_f32_e32 v4, v163, v13
	v_fma_f32 v4, v162, v20, -v4
	v_add_f32_e32 v3, v3, v4
	v_mul_f32_e32 v4, v165, v14
	ds_read2_b64 v[206:209], v2 offset0:95 offset1:96
	buffer_load_dword v101, off, s[0:3], 0 offset:424
	buffer_load_dword v102, off, s[0:3], 0 offset:428
	;; [unrolled: 1-line block ×6, first 2 shown]
	v_fma_f32 v4, v164, v17, -v4
	v_add_f32_e32 v3, v3, v4
	v_mul_f32_e32 v4, v167, v15
	v_fma_f32 v4, v166, v16, -v4
	v_add_f32_e32 v3, v3, v4
	v_mul_f32_e32 v4, v169, v19
	v_fma_f32 v4, v168, v152, -v4
	v_add_f32_e32 v3, v3, v4
	v_mul_f32_e32 v4, v171, v151
	buffer_load_dword v107, off, s[0:3], 0 offset:448
	buffer_load_dword v254, off, s[0:3], 0 offset:452
	;; [unrolled: 1-line block ×6, first 2 shown]
	v_fma_f32 v4, v170, v149, -v4
	v_add_f32_e32 v3, v3, v4
	v_mul_f32_e32 v4, v173, v150
	v_fma_f32 v4, v172, v147, -v4
	v_add_f32_e32 v3, v3, v4
	v_mul_f32_e32 v4, v175, v148
	;; [unrolled: 3-line block ×15, first 2 shown]
	v_fma_f32 v4, v200, v54, -v4
	v_add_f32_e32 v3, v3, v4
	s_waitcnt vmcnt(51) lgkmcnt(1)
	v_mul_f32_e32 v4, v203, v61
	v_mul_f32_e32 v100, v202, v61
	s_waitcnt vmcnt(50)
	v_fma_f32 v4, v202, v62, -v4
	v_fmac_f32_e32 v100, v203, v62
	v_add_f32_e32 v3, v3, v4
	s_waitcnt vmcnt(48)
	v_mul_f32_e32 v4, v205, v64
	v_add_f32_e32 v53, v53, v100
	v_mul_f32_e32 v100, v204, v64
	ds_read2_b64 v[210:213], v2 offset0:97 offset1:98
	ds_read2_b64 v[214:217], v2 offset0:99 offset1:100
	v_fma_f32 v4, v204, v63, -v4
	v_fmac_f32_e32 v100, v205, v63
	v_add_f32_e32 v3, v3, v4
	s_waitcnt vmcnt(46) lgkmcnt(2)
	v_mul_f32_e32 v4, v207, v66
	v_add_f32_e32 v53, v53, v100
	v_mul_f32_e32 v100, v206, v66
	v_fma_f32 v4, v206, v65, -v4
	v_fmac_f32_e32 v100, v207, v65
	v_add_f32_e32 v3, v3, v4
	s_waitcnt vmcnt(44)
	v_mul_f32_e32 v4, v209, v67
	v_add_f32_e32 v53, v53, v100
	v_mul_f32_e32 v100, v208, v67
	v_fma_f32 v4, v208, v60, -v4
	v_fmac_f32_e32 v100, v209, v60
	v_add_f32_e32 v3, v3, v4
	s_waitcnt vmcnt(42) lgkmcnt(1)
	v_mul_f32_e32 v4, v211, v70
	v_add_f32_e32 v53, v53, v100
	v_mul_f32_e32 v100, v210, v70
	v_fma_f32 v4, v210, v69, -v4
	v_fmac_f32_e32 v100, v211, v69
	v_add_f32_e32 v3, v3, v4
	s_waitcnt vmcnt(41)
	v_mul_f32_e32 v4, v213, v71
	v_add_f32_e32 v53, v53, v100
	v_mul_f32_e32 v100, v212, v71
	ds_read2_b64 v[218:221], v2 offset0:101 offset1:102
	ds_read2_b64 v[222:225], v2 offset0:103 offset1:104
	s_waitcnt vmcnt(38)
	v_fma_f32 v4, v212, v74, -v4
	v_fmac_f32_e32 v100, v213, v74
	v_add_f32_e32 v3, v3, v4
	s_waitcnt lgkmcnt(2)
	v_mul_f32_e32 v4, v215, v73
	v_add_f32_e32 v53, v53, v100
	v_mul_f32_e32 v100, v214, v73
	v_fma_f32 v4, v214, v72, -v4
	v_fmac_f32_e32 v100, v215, v72
	v_add_f32_e32 v3, v3, v4
	s_waitcnt vmcnt(36)
	v_mul_f32_e32 v4, v217, v75
	v_add_f32_e32 v53, v53, v100
	v_mul_f32_e32 v100, v216, v75
	v_fma_f32 v4, v216, v68, -v4
	v_fmac_f32_e32 v100, v217, v68
	v_add_f32_e32 v3, v3, v4
	s_waitcnt vmcnt(34) lgkmcnt(1)
	v_mul_f32_e32 v4, v219, v78
	v_add_f32_e32 v53, v53, v100
	v_mul_f32_e32 v100, v218, v78
	v_fma_f32 v4, v218, v77, -v4
	v_fmac_f32_e32 v100, v219, v77
	v_add_f32_e32 v3, v3, v4
	s_waitcnt vmcnt(33)
	v_mul_f32_e32 v4, v221, v79
	v_add_f32_e32 v53, v53, v100
	v_mul_f32_e32 v100, v220, v79
	ds_read2_b64 v[226:229], v2 offset0:105 offset1:106
	ds_read2_b64 v[230:233], v2 offset0:107 offset1:108
	s_waitcnt vmcnt(30)
	v_fma_f32 v4, v220, v82, -v4
	v_fmac_f32_e32 v100, v221, v82
	v_add_f32_e32 v3, v3, v4
	s_waitcnt lgkmcnt(2)
	;; [unrolled: 31-line block ×4, first 2 shown]
	v_mul_f32_e32 v4, v239, v96
	v_add_f32_e32 v53, v53, v100
	v_mul_f32_e32 v100, v238, v96
	v_fma_f32 v4, v238, v95, -v4
	v_fmac_f32_e32 v100, v239, v95
	v_add_f32_e32 v3, v3, v4
	s_waitcnt vmcnt(12)
	v_mul_f32_e32 v4, v241, v99
	v_add_f32_e32 v53, v53, v100
	v_mul_f32_e32 v100, v240, v99
	v_fma_f32 v4, v240, v98, -v4
	v_fmac_f32_e32 v100, v241, v98
	v_add_f32_e32 v3, v3, v4
	s_waitcnt vmcnt(10) lgkmcnt(1)
	v_mul_f32_e32 v4, v243, v102
	v_add_f32_e32 v53, v53, v100
	v_mul_f32_e32 v100, v242, v102
	v_fma_f32 v4, v242, v101, -v4
	v_fmac_f32_e32 v100, v243, v101
	v_add_f32_e32 v3, v3, v4
	s_waitcnt vmcnt(9)
	v_mul_f32_e32 v4, v245, v103
	v_add_f32_e32 v53, v53, v100
	v_mul_f32_e32 v100, v244, v103
	ds_read2_b64 v[250:253], v2 offset0:117 offset1:118
	s_waitcnt vmcnt(6)
	v_fma_f32 v4, v244, v106, -v4
	v_fmac_f32_e32 v100, v245, v106
	v_add_f32_e32 v3, v3, v4
	s_waitcnt lgkmcnt(1)
	v_mul_f32_e32 v4, v247, v105
	v_add_f32_e32 v53, v53, v100
	v_mul_f32_e32 v100, v246, v105
	v_fma_f32 v4, v246, v104, -v4
	v_fmac_f32_e32 v100, v247, v104
	v_add_f32_e32 v3, v3, v4
	s_waitcnt vmcnt(4)
	v_mul_f32_e32 v4, v249, v254
	v_add_f32_e32 v2, v53, v100
	v_mul_f32_e32 v53, v248, v254
	v_fma_f32 v4, v248, v107, -v4
	v_fmac_f32_e32 v53, v249, v107
	v_add_f32_e32 v3, v3, v4
	s_waitcnt vmcnt(3) lgkmcnt(0)
	v_mul_f32_e32 v4, v251, v255
	v_add_f32_e32 v2, v2, v53
	v_mul_f32_e32 v53, v250, v255
	s_waitcnt vmcnt(0)
	v_fma_f32 v4, v250, v110, -v4
	v_fmac_f32_e32 v53, v251, v110
	v_add_f32_e32 v3, v3, v4
	v_mul_f32_e32 v4, v253, v109
	v_add_f32_e32 v2, v2, v53
	v_mul_f32_e32 v53, v252, v109
	v_fma_f32 v4, v252, v108, -v4
	v_fmac_f32_e32 v53, v253, v108
	v_add_f32_e32 v3, v3, v4
	v_add_f32_e32 v2, v2, v53
	v_sub_f32_e32 v3, v5, v3
	v_sub_f32_e32 v2, v6, v2
	buffer_store_dword v3, off, s[0:3], 0 offset:32
	buffer_store_dword v2, off, s[0:3], 0 offset:36
	s_and_saveexec_b64 s[4:5], vcc
	s_cbranch_execz .LBB122_361
; %bb.360:
	buffer_load_dword v2, off, s[0:3], 0 offset:24
	buffer_load_dword v3, off, s[0:3], 0 offset:28
	v_mov_b32_e32 v4, 0
	buffer_store_dword v4, off, s[0:3], 0 offset:24
	buffer_store_dword v4, off, s[0:3], 0 offset:28
	s_waitcnt vmcnt(2)
	ds_write_b64 v1, v[2:3]
.LBB122_361:
	s_or_b64 exec, exec, s[4:5]
	s_waitcnt lgkmcnt(0)
	; wave barrier
	buffer_load_dword v11, off, s[0:3], 0 offset:36
	buffer_load_dword v10, off, s[0:3], 0 offset:44
	;; [unrolled: 1-line block ×40, first 2 shown]
	v_mov_b32_e32 v2, 0
	buffer_load_dword v41, off, s[0:3], 0 offset:184
	buffer_load_dword v42, off, s[0:3], 0 offset:188
	;; [unrolled: 1-line block ×12, first 2 shown]
	ds_read_b128 v[26:29], v2 offset:512
	ds_read_b128 v[30:33], v2 offset:528
	;; [unrolled: 1-line block ×6, first 2 shown]
	v_cmp_lt_u32_e32 vcc, 2, v0
	s_waitcnt vmcnt(51) lgkmcnt(5)
	v_mul_f32_e32 v34, v26, v11
	s_waitcnt vmcnt(50)
	v_mul_f32_e32 v35, v28, v10
	s_waitcnt vmcnt(49) lgkmcnt(4)
	v_mul_f32_e32 v36, v30, v9
	s_waitcnt vmcnt(48)
	v_mul_f32_e32 v37, v32, v8
	;; [unrolled: 4-line block ×5, first 2 shown]
	s_waitcnt vmcnt(41) lgkmcnt(0)
	v_mul_f32_e32 v57, v172, v15
	s_waitcnt vmcnt(40)
	v_fmac_f32_e32 v36, v31, v22
	s_waitcnt vmcnt(39)
	v_fmac_f32_e32 v35, v29, v143
	;; [unrolled: 2-line block ×3, first 2 shown]
	v_add_f32_e32 v34, 0, v34
	v_add_f32_e32 v34, v34, v35
	;; [unrolled: 1-line block ×3, first 2 shown]
	s_waitcnt vmcnt(34)
	v_fmac_f32_e32 v37, v33, v144
	v_fmac_f32_e32 v38, v161, v142
	v_add_f32_e32 v34, v34, v37
	v_fmac_f32_e32 v39, v163, v21
	v_add_f32_e32 v34, v34, v38
	;; [unrolled: 2-line block ×3, first 2 shown]
	s_waitcnt vmcnt(30)
	v_fmac_f32_e32 v54, v167, v23
	v_add_f32_e32 v34, v34, v53
	v_fmac_f32_e32 v55, v169, v20
	v_add_f32_e32 v34, v34, v54
	buffer_load_dword v53, off, s[0:3], 0 offset:232
	buffer_load_dword v54, off, s[0:3], 0 offset:236
	v_fmac_f32_e32 v56, v171, v17
	v_add_f32_e32 v34, v34, v55
	v_add_f32_e32 v34, v34, v56
	ds_read_b128 v[176:179], v2 offset:608
	buffer_load_dword v55, off, s[0:3], 0 offset:240
	buffer_load_dword v56, off, s[0:3], 0 offset:244
	v_fmac_f32_e32 v57, v173, v16
	v_add_f32_e32 v34, v34, v57
	ds_read_b128 v[180:183], v2 offset:624
	buffer_load_dword v57, off, s[0:3], 0 offset:248
	buffer_load_dword v58, off, s[0:3], 0 offset:252
	ds_read_b128 v[184:187], v2 offset:640
	buffer_load_dword v59, off, s[0:3], 0 offset:256
	buffer_load_dword v60, off, s[0:3], 0 offset:260
	;; [unrolled: 3-line block ×3, first 2 shown]
	buffer_load_dword v63, off, s[0:3], 0 offset:272
	buffer_load_dword v64, off, s[0:3], 0 offset:276
	ds_read_b128 v[192:195], v2 offset:672
	ds_read_b128 v[196:199], v2 offset:688
	buffer_load_dword v65, off, s[0:3], 0 offset:280
	buffer_load_dword v66, off, s[0:3], 0 offset:284
	;; [unrolled: 1-line block ×10, first 2 shown]
	ds_read_b128 v[200:203], v2 offset:704
	buffer_load_dword v75, off, s[0:3], 0 offset:320
	buffer_load_dword v76, off, s[0:3], 0 offset:324
	buffer_load_dword v77, off, s[0:3], 0 offset:332
	buffer_load_dword v78, off, s[0:3], 0 offset:336
	buffer_load_dword v79, off, s[0:3], 0 offset:340
	buffer_load_dword v80, off, s[0:3], 0 offset:328
	ds_read_b128 v[204:207], v2 offset:720
	buffer_load_dword v81, off, s[0:3], 0 offset:344
	buffer_load_dword v82, off, s[0:3], 0 offset:348
	;; [unrolled: 1-line block ×10, first 2 shown]
	v_mul_f32_e32 v11, v27, v11
	v_fma_f32 v11, v26, v145, -v11
	v_mul_f32_e32 v10, v29, v10
	ds_read_b128 v[208:211], v2 offset:736
	buffer_load_dword v91, off, s[0:3], 0 offset:384
	buffer_load_dword v92, off, s[0:3], 0 offset:388
	;; [unrolled: 1-line block ×6, first 2 shown]
	v_add_f32_e32 v11, 0, v11
	v_fma_f32 v10, v28, v143, -v10
	v_mul_f32_e32 v9, v31, v9
	v_add_f32_e32 v10, v11, v10
	v_fma_f32 v9, v30, v22, -v9
	v_mul_f32_e32 v8, v33, v8
	;; [unrolled: 3-line block ×3, first 2 shown]
	ds_read_b128 v[212:215], v2 offset:752
	buffer_load_dword v97, off, s[0:3], 0 offset:408
	buffer_load_dword v98, off, s[0:3], 0 offset:412
	v_add_f32_e32 v8, v9, v8
	v_fma_f32 v7, v160, v142, -v7
	v_mul_f32_e32 v6, v163, v6
	v_add_f32_e32 v7, v8, v7
	v_fma_f32 v6, v162, v21, -v6
	v_mul_f32_e32 v5, v165, v5
	v_add_f32_e32 v6, v7, v6
	v_fma_f32 v5, v164, v18, -v5
	v_add_f32_e32 v5, v6, v5
	v_mul_f32_e32 v6, v167, v12
	v_fma_f32 v6, v166, v23, -v6
	buffer_load_dword v99, off, s[0:3], 0 offset:416
	buffer_load_dword v100, off, s[0:3], 0 offset:420
	;; [unrolled: 1-line block ×6, first 2 shown]
	v_add_f32_e32 v5, v5, v6
	v_mul_f32_e32 v6, v169, v13
	v_fma_f32 v6, v168, v20, -v6
	v_add_f32_e32 v5, v5, v6
	v_mul_f32_e32 v6, v171, v14
	s_waitcnt vmcnt(62)
	v_mul_f32_e32 v35, v174, v19
	v_fma_f32 v6, v170, v17, -v6
	v_fmac_f32_e32 v35, v175, v153
	v_add_f32_e32 v5, v5, v6
	v_mul_f32_e32 v6, v173, v15
	v_add_f32_e32 v34, v34, v35
	s_waitcnt lgkmcnt(9)
	v_mul_f32_e32 v35, v176, v151
	buffer_load_dword v105, off, s[0:3], 0 offset:440
	buffer_load_dword v106, off, s[0:3], 0 offset:444
	v_fma_f32 v6, v172, v16, -v6
	v_fmac_f32_e32 v35, v177, v149
	v_add_f32_e32 v5, v5, v6
	v_mul_f32_e32 v6, v175, v19
	v_add_f32_e32 v34, v34, v35
	v_mul_f32_e32 v35, v178, v150
	v_fma_f32 v6, v174, v153, -v6
	v_fmac_f32_e32 v35, v179, v148
	v_add_f32_e32 v5, v5, v6
	v_mul_f32_e32 v6, v177, v151
	v_add_f32_e32 v34, v34, v35
	s_waitcnt lgkmcnt(8)
	v_mul_f32_e32 v35, v180, v147
	v_fma_f32 v6, v176, v149, -v6
	v_fmac_f32_e32 v35, v181, v146
	v_add_f32_e32 v5, v5, v6
	v_mul_f32_e32 v6, v179, v150
	v_add_f32_e32 v34, v34, v35
	v_mul_f32_e32 v35, v182, v152
	buffer_load_dword v107, off, s[0:3], 0 offset:448
	buffer_load_dword v108, off, s[0:3], 0 offset:452
	;; [unrolled: 1-line block ×6, first 2 shown]
	v_fma_f32 v6, v178, v148, -v6
	v_fmac_f32_e32 v35, v183, v40
	v_add_f32_e32 v5, v5, v6
	v_mul_f32_e32 v6, v181, v147
	v_add_f32_e32 v34, v34, v35
	s_waitcnt lgkmcnt(7)
	v_mul_f32_e32 v35, v184, v155
	v_fma_f32 v6, v180, v146, -v6
	v_fmac_f32_e32 v35, v185, v154
	v_add_f32_e32 v5, v5, v6
	v_mul_f32_e32 v6, v183, v152
	v_add_f32_e32 v34, v34, v35
	v_mul_f32_e32 v35, v186, v157
	v_fma_f32 v6, v182, v40, -v6
	v_fmac_f32_e32 v35, v187, v156
	v_add_f32_e32 v5, v5, v6
	v_mul_f32_e32 v6, v185, v155
	v_add_f32_e32 v34, v34, v35
	s_waitcnt lgkmcnt(6)
	v_mul_f32_e32 v35, v188, v159
	v_fma_f32 v6, v184, v154, -v6
	v_fmac_f32_e32 v35, v189, v158
	v_add_f32_e32 v5, v5, v6
	v_mul_f32_e32 v6, v187, v157
	v_add_f32_e32 v34, v34, v35
	v_mul_f32_e32 v35, v190, v42
	v_fma_f32 v6, v186, v156, -v6
	v_fmac_f32_e32 v35, v191, v41
	v_add_f32_e32 v5, v5, v6
	v_mul_f32_e32 v6, v189, v159
	v_add_f32_e32 v34, v34, v35
	s_waitcnt vmcnt(62) lgkmcnt(5)
	v_mul_f32_e32 v35, v192, v44
	v_fma_f32 v6, v188, v158, -v6
	v_fmac_f32_e32 v35, v193, v43
	v_add_f32_e32 v5, v5, v6
	v_mul_f32_e32 v6, v191, v42
	v_add_f32_e32 v34, v34, v35
	v_mul_f32_e32 v35, v194, v46
	v_fma_f32 v6, v190, v41, -v6
	v_fmac_f32_e32 v35, v195, v45
	v_add_f32_e32 v5, v5, v6
	v_mul_f32_e32 v6, v193, v44
	v_add_f32_e32 v34, v34, v35
	s_waitcnt lgkmcnt(4)
	v_mul_f32_e32 v35, v196, v48
	v_fma_f32 v6, v192, v43, -v6
	v_fmac_f32_e32 v35, v197, v47
	v_add_f32_e32 v5, v5, v6
	v_mul_f32_e32 v6, v195, v46
	v_add_f32_e32 v34, v34, v35
	v_mul_f32_e32 v35, v198, v50
	v_fma_f32 v6, v194, v45, -v6
	v_fmac_f32_e32 v35, v199, v49
	v_add_f32_e32 v5, v5, v6
	v_mul_f32_e32 v6, v197, v48
	v_add_f32_e32 v34, v34, v35
	s_waitcnt vmcnt(60) lgkmcnt(3)
	v_mul_f32_e32 v35, v200, v52
	v_fma_f32 v6, v196, v47, -v6
	v_fmac_f32_e32 v35, v201, v51
	v_add_f32_e32 v5, v5, v6
	v_mul_f32_e32 v6, v199, v50
	v_add_f32_e32 v34, v34, v35
	s_waitcnt vmcnt(58)
	v_mul_f32_e32 v35, v202, v54
	v_fma_f32 v6, v198, v49, -v6
	v_fmac_f32_e32 v35, v203, v53
	v_add_f32_e32 v5, v5, v6
	v_mul_f32_e32 v6, v201, v52
	v_add_f32_e32 v34, v34, v35
	s_waitcnt vmcnt(56) lgkmcnt(2)
	v_mul_f32_e32 v35, v204, v56
	v_fma_f32 v6, v200, v51, -v6
	v_fmac_f32_e32 v35, v205, v55
	v_add_f32_e32 v5, v5, v6
	v_mul_f32_e32 v6, v203, v54
	v_add_f32_e32 v34, v34, v35
	s_waitcnt vmcnt(54)
	;; [unrolled: 14-line block ×3, first 2 shown]
	v_mul_f32_e32 v35, v210, v61
	v_fma_f32 v6, v206, v57, -v6
	s_waitcnt vmcnt(50)
	v_fmac_f32_e32 v35, v211, v62
	ds_read_b128 v[216:219], v2 offset:768
	ds_read_b128 v[220:223], v2 offset:784
	v_add_f32_e32 v5, v5, v6
	v_mul_f32_e32 v6, v209, v60
	v_add_f32_e32 v34, v34, v35
	s_waitcnt vmcnt(48) lgkmcnt(2)
	v_mul_f32_e32 v35, v212, v64
	v_fma_f32 v6, v208, v59, -v6
	v_fmac_f32_e32 v35, v213, v63
	v_add_f32_e32 v5, v5, v6
	v_mul_f32_e32 v6, v211, v61
	v_add_f32_e32 v34, v34, v35
	s_waitcnt vmcnt(46)
	v_mul_f32_e32 v35, v214, v66
	v_fma_f32 v6, v210, v62, -v6
	v_fmac_f32_e32 v35, v215, v65
	v_add_f32_e32 v5, v5, v6
	v_mul_f32_e32 v6, v213, v64
	v_add_f32_e32 v34, v34, v35
	s_waitcnt vmcnt(44) lgkmcnt(1)
	v_mul_f32_e32 v35, v216, v68
	v_fma_f32 v6, v212, v63, -v6
	v_fmac_f32_e32 v35, v217, v67
	v_add_f32_e32 v5, v5, v6
	v_mul_f32_e32 v6, v215, v66
	v_add_f32_e32 v34, v34, v35
	s_waitcnt vmcnt(43)
	v_mul_f32_e32 v35, v218, v69
	v_fma_f32 v6, v214, v65, -v6
	s_waitcnt vmcnt(40)
	v_fmac_f32_e32 v35, v219, v72
	ds_read_b128 v[224:227], v2 offset:800
	ds_read_b128 v[228:231], v2 offset:816
	v_add_f32_e32 v5, v5, v6
	v_mul_f32_e32 v6, v217, v68
	v_add_f32_e32 v34, v34, v35
	s_waitcnt lgkmcnt(2)
	v_mul_f32_e32 v35, v220, v71
	v_fma_f32 v6, v216, v67, -v6
	v_fmac_f32_e32 v35, v221, v70
	v_add_f32_e32 v5, v5, v6
	v_mul_f32_e32 v6, v219, v69
	v_add_f32_e32 v34, v34, v35
	s_waitcnt vmcnt(38)
	v_mul_f32_e32 v35, v222, v74
	v_fma_f32 v6, v218, v72, -v6
	v_fmac_f32_e32 v35, v223, v73
	v_add_f32_e32 v5, v5, v6
	v_mul_f32_e32 v6, v221, v71
	v_add_f32_e32 v34, v34, v35
	s_waitcnt vmcnt(36) lgkmcnt(1)
	v_mul_f32_e32 v35, v224, v76
	v_fma_f32 v6, v220, v70, -v6
	v_fmac_f32_e32 v35, v225, v75
	v_add_f32_e32 v5, v5, v6
	v_mul_f32_e32 v6, v223, v74
	v_add_f32_e32 v34, v34, v35
	s_waitcnt vmcnt(35)
	v_mul_f32_e32 v35, v226, v77
	v_fma_f32 v6, v222, v73, -v6
	s_waitcnt vmcnt(32)
	v_fmac_f32_e32 v35, v227, v80
	ds_read_b128 v[232:235], v2 offset:832
	ds_read_b128 v[236:239], v2 offset:848
	v_add_f32_e32 v5, v5, v6
	v_mul_f32_e32 v6, v225, v76
	v_add_f32_e32 v34, v34, v35
	s_waitcnt lgkmcnt(2)
	;; [unrolled: 31-line block ×4, first 2 shown]
	v_mul_f32_e32 v35, v244, v95
	v_fma_f32 v6, v240, v91, -v6
	v_fmac_f32_e32 v35, v245, v94
	v_add_f32_e32 v5, v5, v6
	v_mul_f32_e32 v6, v243, v93
	v_add_f32_e32 v34, v34, v35
	s_waitcnt vmcnt(14)
	v_mul_f32_e32 v35, v246, v98
	v_fma_f32 v6, v242, v96, -v6
	v_fmac_f32_e32 v35, v247, v97
	v_add_f32_e32 v5, v5, v6
	v_mul_f32_e32 v6, v245, v95
	v_add_f32_e32 v34, v34, v35
	s_waitcnt vmcnt(12) lgkmcnt(1)
	v_mul_f32_e32 v35, v248, v100
	v_fma_f32 v6, v244, v94, -v6
	v_fmac_f32_e32 v35, v249, v99
	v_add_f32_e32 v5, v5, v6
	v_mul_f32_e32 v6, v247, v98
	v_add_f32_e32 v34, v34, v35
	s_waitcnt vmcnt(11)
	v_mul_f32_e32 v35, v250, v101
	v_fma_f32 v6, v246, v97, -v6
	s_waitcnt vmcnt(8)
	v_fmac_f32_e32 v35, v251, v104
	v_add_f32_e32 v5, v5, v6
	v_mul_f32_e32 v6, v249, v100
	v_add_f32_e32 v34, v34, v35
	s_waitcnt lgkmcnt(0)
	v_mul_f32_e32 v35, v252, v103
	v_fma_f32 v6, v248, v99, -v6
	v_fmac_f32_e32 v35, v253, v102
	v_add_f32_e32 v5, v5, v6
	v_mul_f32_e32 v6, v251, v101
	v_add_f32_e32 v38, v34, v35
	ds_read_b128 v[34:37], v2 offset:928
	v_fma_f32 v6, v250, v104, -v6
	v_add_f32_e32 v5, v5, v6
	v_mul_f32_e32 v6, v253, v103
	s_waitcnt vmcnt(6)
	v_mul_f32_e32 v39, v254, v106
	v_fma_f32 v6, v252, v102, -v6
	v_fmac_f32_e32 v39, v255, v105
	v_add_f32_e32 v5, v5, v6
	v_mul_f32_e32 v6, v255, v106
	v_add_f32_e32 v113, v38, v39
	ds_read_b64 v[38:39], v2 offset:944
	v_fma_f32 v6, v254, v105, -v6
	v_add_f32_e32 v5, v5, v6
	s_waitcnt vmcnt(4) lgkmcnt(1)
	v_mul_f32_e32 v6, v35, v108
	v_mul_f32_e32 v114, v34, v108
	v_fma_f32 v6, v34, v107, -v6
	v_fmac_f32_e32 v114, v35, v107
	v_add_f32_e32 v5, v5, v6
	s_waitcnt vmcnt(3)
	v_mul_f32_e32 v6, v37, v109
	v_add_f32_e32 v113, v113, v114
	v_mul_f32_e32 v114, v36, v109
	s_waitcnt vmcnt(0)
	v_fma_f32 v6, v36, v112, -v6
	v_fmac_f32_e32 v114, v37, v112
	v_add_f32_e32 v5, v5, v6
	s_waitcnt lgkmcnt(0)
	v_mul_f32_e32 v6, v39, v111
	v_add_f32_e32 v113, v113, v114
	v_mul_f32_e32 v114, v38, v111
	v_fma_f32 v6, v38, v110, -v6
	v_fmac_f32_e32 v114, v39, v110
	v_add_f32_e32 v5, v5, v6
	v_add_f32_e32 v113, v113, v114
	v_sub_f32_e32 v3, v3, v5
	v_sub_f32_e32 v4, v4, v113
	buffer_store_dword v3, off, s[0:3], 0 offset:24
	buffer_store_dword v4, off, s[0:3], 0 offset:28
	s_and_saveexec_b64 s[4:5], vcc
	s_cbranch_execz .LBB122_363
; %bb.362:
	buffer_load_dword v3, off, s[0:3], 0 offset:16
	buffer_load_dword v4, off, s[0:3], 0 offset:20
	s_waitcnt vmcnt(0)
	ds_write_b64 v1, v[3:4]
	buffer_store_dword v2, off, s[0:3], 0 offset:16
	buffer_store_dword v2, off, s[0:3], 0 offset:20
.LBB122_363:
	s_or_b64 exec, exec, s[4:5]
	s_waitcnt lgkmcnt(0)
	; wave barrier
	buffer_load_dword v11, off, s[0:3], 0 offset:28
	buffer_load_dword v10, off, s[0:3], 0 offset:36
	;; [unrolled: 1-line block ×40, first 2 shown]
	ds_read2_b64 v[26:29], v2 offset0:63 offset1:64
	ds_read2_b64 v[30:33], v2 offset0:65 offset1:66
	;; [unrolled: 1-line block ×6, first 2 shown]
	buffer_load_dword v43, off, s[0:3], 0 offset:176
	buffer_load_dword v44, off, s[0:3], 0 offset:180
	;; [unrolled: 1-line block ×14, first 2 shown]
	v_cmp_lt_u32_e32 vcc, 1, v0
	s_waitcnt vmcnt(53) lgkmcnt(5)
	v_mul_f32_e32 v38, v26, v11
	s_waitcnt vmcnt(52)
	v_mul_f32_e32 v39, v28, v10
	s_waitcnt vmcnt(51) lgkmcnt(4)
	v_mul_f32_e32 v40, v30, v9
	s_waitcnt vmcnt(50)
	v_mul_f32_e32 v41, v32, v8
	;; [unrolled: 4-line block ×5, first 2 shown]
	s_waitcnt vmcnt(43)
	v_fmac_f32_e32 v40, v31, v18
	s_waitcnt vmcnt(42)
	v_fmac_f32_e32 v39, v29, v22
	;; [unrolled: 2-line block ×3, first 2 shown]
	v_add_f32_e32 v38, 0, v38
	v_add_f32_e32 v38, v38, v39
	;; [unrolled: 1-line block ×3, first 2 shown]
	s_waitcnt vmcnt(37)
	v_fmac_f32_e32 v41, v33, v143
	v_fmac_f32_e32 v57, v35, v21
	v_add_f32_e32 v38, v38, v41
	v_fmac_f32_e32 v58, v37, v17
	v_add_f32_e32 v38, v38, v57
	;; [unrolled: 2-line block ×3, first 2 shown]
	buffer_load_dword v57, off, s[0:3], 0 offset:232
	buffer_load_dword v58, off, s[0:3], 0 offset:236
	s_waitcnt vmcnt(35)
	v_fmac_f32_e32 v60, v163, v145
	v_add_f32_e32 v38, v38, v59
	v_fmac_f32_e32 v61, v165, v23
	v_add_f32_e32 v38, v38, v60
	ds_read2_b64 v[172:175], v2 offset0:75 offset1:76
	ds_read2_b64 v[176:179], v2 offset0:77 offset1:78
	buffer_load_dword v59, off, s[0:3], 0 offset:240
	buffer_load_dword v60, off, s[0:3], 0 offset:244
	v_fmac_f32_e32 v62, v167, v19
	v_add_f32_e32 v38, v38, v61
	v_add_f32_e32 v38, v38, v62
	buffer_load_dword v61, off, s[0:3], 0 offset:248
	buffer_load_dword v62, off, s[0:3], 0 offset:252
	ds_read2_b64 v[180:183], v2 offset0:79 offset1:80
	ds_read2_b64 v[184:187], v2 offset0:81 offset1:82
	buffer_load_dword v63, off, s[0:3], 0 offset:256
	buffer_load_dword v64, off, s[0:3], 0 offset:260
	buffer_load_dword v65, off, s[0:3], 0 offset:264
	buffer_load_dword v66, off, s[0:3], 0 offset:268
	ds_read2_b64 v[188:191], v2 offset0:83 offset1:84
	buffer_load_dword v67, off, s[0:3], 0 offset:272
	buffer_load_dword v68, off, s[0:3], 0 offset:276
	ds_read2_b64 v[192:195], v2 offset0:85 offset1:86
	buffer_load_dword v69, off, s[0:3], 0 offset:280
	buffer_load_dword v70, off, s[0:3], 0 offset:284
	;; [unrolled: 1-line block ×6, first 2 shown]
	ds_read2_b64 v[196:199], v2 offset0:87 offset1:88
	buffer_load_dword v75, off, s[0:3], 0 offset:304
	buffer_load_dword v76, off, s[0:3], 0 offset:308
	ds_read2_b64 v[200:203], v2 offset0:89 offset1:90
	buffer_load_dword v77, off, s[0:3], 0 offset:312
	buffer_load_dword v78, off, s[0:3], 0 offset:316
	;; [unrolled: 1-line block ×16, first 2 shown]
	v_mul_f32_e32 v11, v27, v11
	v_fma_f32 v11, v26, v144, -v11
	v_mul_f32_e32 v10, v29, v10
	v_add_f32_e32 v11, 0, v11
	v_fma_f32 v10, v28, v22, -v10
	v_mul_f32_e32 v9, v31, v9
	v_add_f32_e32 v10, v11, v10
	v_fma_f32 v9, v30, v18, -v9
	v_mul_f32_e32 v8, v33, v8
	ds_read2_b64 v[204:207], v2 offset0:91 offset1:92
	buffer_load_dword v93, off, s[0:3], 0 offset:376
	buffer_load_dword v94, off, s[0:3], 0 offset:380
	;; [unrolled: 1-line block ×6, first 2 shown]
	v_add_f32_e32 v9, v10, v9
	v_fma_f32 v8, v32, v143, -v8
	v_mul_f32_e32 v7, v35, v7
	v_add_f32_e32 v8, v9, v8
	v_fma_f32 v7, v34, v21, -v7
	v_mul_f32_e32 v6, v37, v6
	;; [unrolled: 3-line block ×3, first 2 shown]
	ds_read2_b64 v[208:211], v2 offset0:93 offset1:94
	buffer_load_dword v99, off, s[0:3], 0 offset:400
	buffer_load_dword v100, off, s[0:3], 0 offset:404
	v_add_f32_e32 v6, v7, v6
	v_fma_f32 v5, v160, v15, -v5
	v_add_f32_e32 v5, v6, v5
	v_mul_f32_e32 v6, v163, v12
	v_fma_f32 v6, v162, v145, -v6
	v_add_f32_e32 v5, v5, v6
	v_mul_f32_e32 v6, v165, v13
	v_fma_f32 v6, v164, v23, -v6
	buffer_load_dword v101, off, s[0:3], 0 offset:408
	buffer_load_dword v102, off, s[0:3], 0 offset:412
	;; [unrolled: 1-line block ×6, first 2 shown]
	v_add_f32_e32 v5, v5, v6
	v_mul_f32_e32 v6, v167, v14
	s_waitcnt vmcnt(62) lgkmcnt(10)
	v_mul_f32_e32 v39, v168, v20
	v_fma_f32 v6, v166, v19, -v6
	v_fmac_f32_e32 v39, v169, v16
	v_add_f32_e32 v5, v5, v6
	v_mul_f32_e32 v6, v169, v20
	v_add_f32_e32 v38, v38, v39
	v_mul_f32_e32 v39, v170, v142
	buffer_load_dword v107, off, s[0:3], 0 offset:432
	buffer_load_dword v108, off, s[0:3], 0 offset:436
	v_fma_f32 v6, v168, v16, -v6
	v_fmac_f32_e32 v39, v171, v152
	v_add_f32_e32 v5, v5, v6
	v_mul_f32_e32 v6, v171, v142
	v_add_f32_e32 v38, v38, v39
	s_waitcnt lgkmcnt(9)
	v_mul_f32_e32 v39, v172, v151
	v_fma_f32 v6, v170, v152, -v6
	v_fmac_f32_e32 v39, v173, v149
	v_add_f32_e32 v5, v5, v6
	v_mul_f32_e32 v6, v173, v151
	v_add_f32_e32 v38, v38, v39
	v_mul_f32_e32 v39, v174, v150
	v_fma_f32 v6, v172, v149, -v6
	v_fmac_f32_e32 v39, v175, v147
	v_add_f32_e32 v5, v5, v6
	v_mul_f32_e32 v6, v175, v150
	v_add_f32_e32 v38, v38, v39
	s_waitcnt lgkmcnt(8)
	v_mul_f32_e32 v39, v176, v148
	buffer_load_dword v109, off, s[0:3], 0 offset:440
	buffer_load_dword v110, off, s[0:3], 0 offset:444
	;; [unrolled: 1-line block ×6, first 2 shown]
	v_fma_f32 v6, v174, v147, -v6
	v_fmac_f32_e32 v39, v177, v146
	v_add_f32_e32 v5, v5, v6
	v_mul_f32_e32 v6, v177, v148
	v_add_f32_e32 v38, v38, v39
	v_mul_f32_e32 v39, v178, v153
	v_fma_f32 v6, v176, v146, -v6
	v_fmac_f32_e32 v39, v179, v42
	ds_read2_b64 v[212:215], v2 offset0:95 offset1:96
	ds_read2_b64 v[216:219], v2 offset0:97 offset1:98
	buffer_load_dword v115, off, s[0:3], 0 offset:464
	buffer_load_dword v116, off, s[0:3], 0 offset:468
	v_add_f32_e32 v5, v5, v6
	v_mul_f32_e32 v6, v179, v153
	v_add_f32_e32 v38, v38, v39
	s_waitcnt lgkmcnt(9)
	v_mul_f32_e32 v39, v180, v155
	v_fma_f32 v6, v178, v42, -v6
	v_fmac_f32_e32 v39, v181, v154
	v_add_f32_e32 v5, v5, v6
	v_mul_f32_e32 v6, v181, v155
	v_add_f32_e32 v38, v38, v39
	v_mul_f32_e32 v39, v182, v157
	v_fma_f32 v6, v180, v154, -v6
	v_fmac_f32_e32 v39, v183, v156
	v_add_f32_e32 v5, v5, v6
	v_mul_f32_e32 v6, v183, v157
	v_add_f32_e32 v38, v38, v39
	s_waitcnt lgkmcnt(8)
	v_mul_f32_e32 v39, v184, v159
	v_fma_f32 v6, v182, v156, -v6
	v_fmac_f32_e32 v39, v185, v158
	v_add_f32_e32 v5, v5, v6
	v_mul_f32_e32 v6, v185, v159
	v_add_f32_e32 v38, v38, v39
	v_mul_f32_e32 v39, v186, v44
	v_fma_f32 v6, v184, v158, -v6
	v_fmac_f32_e32 v39, v187, v43
	v_add_f32_e32 v5, v5, v6
	v_mul_f32_e32 v6, v187, v44
	v_add_f32_e32 v38, v38, v39
	s_waitcnt vmcnt(62) lgkmcnt(7)
	v_mul_f32_e32 v39, v188, v46
	v_fma_f32 v6, v186, v43, -v6
	v_fmac_f32_e32 v39, v189, v45
	v_add_f32_e32 v5, v5, v6
	v_mul_f32_e32 v6, v189, v46
	v_add_f32_e32 v38, v38, v39
	v_mul_f32_e32 v39, v190, v48
	v_fma_f32 v6, v188, v45, -v6
	v_fmac_f32_e32 v39, v191, v47
	v_add_f32_e32 v5, v5, v6
	v_mul_f32_e32 v6, v191, v48
	v_add_f32_e32 v38, v38, v39
	s_waitcnt lgkmcnt(6)
	v_mul_f32_e32 v39, v192, v50
	v_fma_f32 v6, v190, v47, -v6
	v_fmac_f32_e32 v39, v193, v49
	v_add_f32_e32 v5, v5, v6
	v_mul_f32_e32 v6, v193, v50
	v_add_f32_e32 v38, v38, v39
	v_mul_f32_e32 v39, v194, v52
	v_fma_f32 v6, v192, v49, -v6
	v_fmac_f32_e32 v39, v195, v51
	v_add_f32_e32 v5, v5, v6
	v_mul_f32_e32 v6, v195, v52
	v_add_f32_e32 v38, v38, v39
	s_waitcnt lgkmcnt(5)
	v_mul_f32_e32 v39, v196, v54
	v_fma_f32 v6, v194, v51, -v6
	v_fmac_f32_e32 v39, v197, v53
	v_add_f32_e32 v5, v5, v6
	v_mul_f32_e32 v6, v197, v54
	v_add_f32_e32 v38, v38, v39
	s_waitcnt vmcnt(60)
	v_mul_f32_e32 v39, v198, v56
	v_fma_f32 v6, v196, v53, -v6
	v_fmac_f32_e32 v39, v199, v55
	v_add_f32_e32 v5, v5, v6
	v_mul_f32_e32 v6, v199, v56
	v_add_f32_e32 v38, v38, v39
	s_waitcnt vmcnt(58) lgkmcnt(4)
	v_mul_f32_e32 v39, v200, v58
	v_fma_f32 v6, v198, v55, -v6
	v_fmac_f32_e32 v39, v201, v57
	v_add_f32_e32 v5, v5, v6
	v_mul_f32_e32 v6, v201, v58
	v_add_f32_e32 v38, v38, v39
	s_waitcnt vmcnt(56)
	v_mul_f32_e32 v39, v202, v60
	v_fma_f32 v6, v200, v57, -v6
	v_fmac_f32_e32 v39, v203, v59
	v_add_f32_e32 v5, v5, v6
	v_mul_f32_e32 v6, v203, v60
	v_add_f32_e32 v38, v38, v39
	s_waitcnt vmcnt(54) lgkmcnt(3)
	;; [unrolled: 14-line block ×4, first 2 shown]
	v_mul_f32_e32 v39, v212, v70
	v_fma_f32 v6, v210, v67, -v6
	v_fmac_f32_e32 v39, v213, v69
	v_add_f32_e32 v5, v5, v6
	v_mul_f32_e32 v6, v213, v70
	v_add_f32_e32 v38, v38, v39
	s_waitcnt vmcnt(45)
	v_mul_f32_e32 v39, v214, v71
	v_fma_f32 v6, v212, v69, -v6
	s_waitcnt vmcnt(42)
	v_fmac_f32_e32 v39, v215, v74
	ds_read2_b64 v[220:223], v2 offset0:99 offset1:100
	ds_read2_b64 v[224:227], v2 offset0:101 offset1:102
	v_add_f32_e32 v5, v5, v6
	v_mul_f32_e32 v6, v215, v71
	v_add_f32_e32 v38, v38, v39
	s_waitcnt lgkmcnt(2)
	v_mul_f32_e32 v39, v216, v73
	v_fma_f32 v6, v214, v74, -v6
	v_fmac_f32_e32 v39, v217, v72
	v_add_f32_e32 v5, v5, v6
	v_mul_f32_e32 v6, v217, v73
	v_add_f32_e32 v38, v38, v39
	s_waitcnt vmcnt(40)
	v_mul_f32_e32 v39, v218, v76
	v_fma_f32 v6, v216, v72, -v6
	v_fmac_f32_e32 v39, v219, v75
	v_add_f32_e32 v5, v5, v6
	v_mul_f32_e32 v6, v219, v76
	v_add_f32_e32 v38, v38, v39
	s_waitcnt vmcnt(38) lgkmcnt(1)
	v_mul_f32_e32 v39, v220, v78
	v_fma_f32 v6, v218, v75, -v6
	v_fmac_f32_e32 v39, v221, v77
	v_add_f32_e32 v5, v5, v6
	v_mul_f32_e32 v6, v221, v78
	v_add_f32_e32 v38, v38, v39
	s_waitcnt vmcnt(37)
	v_mul_f32_e32 v39, v222, v79
	v_fma_f32 v6, v220, v77, -v6
	s_waitcnt vmcnt(34)
	v_fmac_f32_e32 v39, v223, v82
	ds_read2_b64 v[228:231], v2 offset0:103 offset1:104
	ds_read2_b64 v[232:235], v2 offset0:105 offset1:106
	v_add_f32_e32 v5, v5, v6
	v_mul_f32_e32 v6, v223, v79
	v_add_f32_e32 v38, v38, v39
	s_waitcnt lgkmcnt(2)
	v_mul_f32_e32 v39, v224, v81
	v_fma_f32 v6, v222, v82, -v6
	v_fmac_f32_e32 v39, v225, v80
	v_add_f32_e32 v5, v5, v6
	v_mul_f32_e32 v6, v225, v81
	v_add_f32_e32 v38, v38, v39
	s_waitcnt vmcnt(32)
	v_mul_f32_e32 v39, v226, v84
	v_fma_f32 v6, v224, v80, -v6
	v_fmac_f32_e32 v39, v227, v83
	v_add_f32_e32 v5, v5, v6
	v_mul_f32_e32 v6, v227, v84
	v_add_f32_e32 v38, v38, v39
	s_waitcnt vmcnt(30) lgkmcnt(1)
	;; [unrolled: 31-line block ×4, first 2 shown]
	v_mul_f32_e32 v39, v244, v102
	v_fma_f32 v6, v242, v99, -v6
	v_fmac_f32_e32 v39, v245, v101
	v_add_f32_e32 v5, v5, v6
	v_mul_f32_e32 v6, v245, v102
	v_add_f32_e32 v38, v38, v39
	s_waitcnt vmcnt(13)
	v_mul_f32_e32 v39, v246, v103
	v_fma_f32 v6, v244, v101, -v6
	s_waitcnt vmcnt(10)
	v_fmac_f32_e32 v39, v247, v106
	v_add_f32_e32 v5, v5, v6
	v_mul_f32_e32 v6, v247, v103
	v_add_f32_e32 v38, v38, v39
	s_waitcnt lgkmcnt(0)
	v_mul_f32_e32 v39, v248, v105
	ds_read2_b64 v[252:255], v2 offset0:115 offset1:116
	v_fma_f32 v6, v246, v106, -v6
	v_fmac_f32_e32 v39, v249, v104
	v_add_f32_e32 v5, v5, v6
	v_mul_f32_e32 v6, v249, v105
	v_add_f32_e32 v38, v38, v39
	s_waitcnt vmcnt(8)
	v_mul_f32_e32 v39, v250, v108
	v_fma_f32 v6, v248, v104, -v6
	v_fmac_f32_e32 v39, v251, v107
	v_add_f32_e32 v5, v5, v6
	v_mul_f32_e32 v6, v251, v108
	v_add_f32_e32 v117, v38, v39
	ds_read2_b64 v[38:41], v2 offset0:117 offset1:118
	v_fma_f32 v6, v250, v107, -v6
	v_add_f32_e32 v5, v5, v6
	s_waitcnt vmcnt(6) lgkmcnt(1)
	v_mul_f32_e32 v6, v253, v110
	v_mul_f32_e32 v2, v252, v110
	v_fma_f32 v6, v252, v109, -v6
	v_fmac_f32_e32 v2, v253, v109
	v_add_f32_e32 v5, v5, v6
	s_waitcnt vmcnt(5)
	v_mul_f32_e32 v6, v255, v111
	v_add_f32_e32 v2, v117, v2
	v_mul_f32_e32 v117, v254, v111
	s_waitcnt vmcnt(2)
	v_fma_f32 v6, v254, v114, -v6
	v_fmac_f32_e32 v117, v255, v114
	v_add_f32_e32 v5, v5, v6
	s_waitcnt lgkmcnt(0)
	v_mul_f32_e32 v6, v39, v113
	v_add_f32_e32 v2, v2, v117
	v_mul_f32_e32 v117, v38, v113
	v_fma_f32 v6, v38, v112, -v6
	v_fmac_f32_e32 v117, v39, v112
	v_add_f32_e32 v5, v5, v6
	s_waitcnt vmcnt(0)
	v_mul_f32_e32 v6, v41, v116
	v_add_f32_e32 v2, v2, v117
	v_mul_f32_e32 v117, v40, v116
	v_fma_f32 v6, v40, v115, -v6
	v_fmac_f32_e32 v117, v41, v115
	v_add_f32_e32 v5, v5, v6
	v_add_f32_e32 v2, v2, v117
	v_sub_f32_e32 v3, v3, v5
	v_sub_f32_e32 v2, v4, v2
	buffer_store_dword v3, off, s[0:3], 0 offset:16
	buffer_store_dword v2, off, s[0:3], 0 offset:20
	s_and_saveexec_b64 s[4:5], vcc
	s_cbranch_execz .LBB122_365
; %bb.364:
	buffer_load_dword v2, off, s[0:3], 0 offset:8
	buffer_load_dword v3, off, s[0:3], 0 offset:12
	v_mov_b32_e32 v4, 0
	buffer_store_dword v4, off, s[0:3], 0 offset:8
	buffer_store_dword v4, off, s[0:3], 0 offset:12
	s_waitcnt vmcnt(2)
	ds_write_b64 v1, v[2:3]
.LBB122_365:
	s_or_b64 exec, exec, s[4:5]
	s_waitcnt lgkmcnt(0)
	; wave barrier
	buffer_load_dword v10, off, s[0:3], 0 offset:20
	buffer_load_dword v9, off, s[0:3], 0 offset:28
	;; [unrolled: 1-line block ×52, first 2 shown]
	v_mov_b32_e32 v142, 0
	ds_read_b128 v[26:29], v142 offset:496
	ds_read_b128 v[30:33], v142 offset:512
	ds_read_b128 v[34:37], v142 offset:528
	ds_read_b128 v[38:41], v142 offset:544
	ds_read_b128 v[173:176], v142 offset:560
	ds_read_b128 v[177:180], v142 offset:576
	buffer_load_dword v58, off, s[0:3], 0 offset:220
	buffer_load_dword v59, off, s[0:3], 0 offset:216
	;; [unrolled: 1-line block ×4, first 2 shown]
	ds_read_b128 v[181:184], v142 offset:592
	buffer_load_dword v62, off, s[0:3], 0 offset:232
	buffer_load_dword v63, off, s[0:3], 0 offset:236
	;; [unrolled: 1-line block ×3, first 2 shown]
	ds_read_b128 v[185:188], v142 offset:608
	ds_read_b128 v[189:192], v142 offset:624
	ds_read_b128 v[193:196], v142 offset:640
	buffer_load_dword v65, off, s[0:3], 0 offset:240
	buffer_load_dword v66, off, s[0:3], 0 offset:248
	;; [unrolled: 1-line block ×5, first 2 shown]
	ds_read_b128 v[197:200], v142 offset:656
	buffer_load_dword v70, off, s[0:3], 0 offset:264
	buffer_load_dword v71, off, s[0:3], 0 offset:268
	ds_read_b128 v[201:204], v142 offset:672
	buffer_load_dword v72, off, s[0:3], 0 offset:272
	buffer_load_dword v73, off, s[0:3], 0 offset:276
	;; [unrolled: 3-line block ×3, first 2 shown]
	buffer_load_dword v76, off, s[0:3], 0 offset:292
	buffer_load_dword v77, off, s[0:3], 0 offset:280
	ds_read_b128 v[209:212], v142 offset:704
	buffer_load_dword v78, off, s[0:3], 0 offset:296
	buffer_load_dword v79, off, s[0:3], 0 offset:300
	;; [unrolled: 1-line block ×16, first 2 shown]
	ds_read_b128 v[213:216], v142 offset:720
	buffer_load_dword v94, off, s[0:3], 0 offset:360
	buffer_load_dword v95, off, s[0:3], 0 offset:364
	ds_read_b128 v[217:220], v142 offset:736
	buffer_load_dword v96, off, s[0:3], 0 offset:368
	buffer_load_dword v97, off, s[0:3], 0 offset:372
	;; [unrolled: 1-line block ×16, first 2 shown]
	ds_read_b128 v[221:224], v142 offset:752
	buffer_load_dword v112, off, s[0:3], 0 offset:432
	buffer_load_dword v113, off, s[0:3], 0 offset:436
	;; [unrolled: 1-line block ×6, first 2 shown]
	ds_read_b128 v[225:228], v142 offset:768
	buffer_load_dword v255, off, s[0:3], 0 offset:460
	buffer_load_dword v118, off, s[0:3], 0 offset:464
	;; [unrolled: 1-line block ×4, first 2 shown]
	ds_read_b128 v[229:232], v142 offset:784
	ds_read_b128 v[233:236], v142 offset:800
	;; [unrolled: 1-line block ×6, first 2 shown]
	v_cmp_ne_u32_e32 vcc, 0, v0
	s_waitcnt vmcnt(62) lgkmcnt(14)
	v_mul_f32_e32 v42, v26, v10
	v_mul_f32_e32 v43, v28, v9
	;; [unrolled: 1-line block ×7, first 2 shown]
	v_fmac_f32_e32 v44, v31, v15
	v_fmac_f32_e32 v43, v29, v17
	;; [unrolled: 1-line block ×3, first 2 shown]
	v_add_f32_e32 v42, 0, v42
	v_add_f32_e32 v42, v42, v43
	v_fma_f32 v10, v26, v20, -v10
	v_add_f32_e32 v42, v42, v44
	v_add_f32_e32 v10, 0, v10
	v_fma_f32 v9, v28, v17, -v9
	v_mul_f32_e32 v8, v31, v8
	v_fmac_f32_e32 v45, v33, v145
	v_mul_f32_e32 v47, v36, v5
	v_fmac_f32_e32 v46, v35, v144
	v_add_f32_e32 v42, v42, v45
	v_add_f32_e32 v9, v10, v9
	v_fma_f32 v8, v30, v15, -v8
	v_mul_f32_e32 v7, v33, v7
	v_mul_f32_e32 v48, v38, v4
	v_fmac_f32_e32 v47, v37, v23
	v_add_f32_e32 v42, v42, v46
	v_add_f32_e32 v8, v9, v8
	v_fma_f32 v7, v32, v145, -v7
	v_mul_f32_e32 v6, v35, v6
	;; [unrolled: 6-line block ×5, first 2 shown]
	v_fmac_f32_e32 v51, v176, v18
	v_add_f32_e32 v42, v42, v50
	v_add_f32_e32 v4, v5, v4
	v_mul_f32_e32 v5, v41, v13
	v_add_f32_e32 v42, v42, v51
	v_fmac_f32_e32 v52, v178, v16
	v_mul_f32_e32 v43, v179, v19
	v_fma_f32 v5, v40, v143, -v5
	v_add_f32_e32 v42, v42, v52
	v_fmac_f32_e32 v43, v180, v152
	v_add_f32_e32 v4, v4, v5
	v_mul_f32_e32 v5, v174, v12
	v_add_f32_e32 v42, v42, v43
	v_mul_f32_e32 v43, v181, v151
	v_fma_f32 v5, v173, v22, -v5
	v_fmac_f32_e32 v43, v182, v149
	v_add_f32_e32 v4, v4, v5
	v_mul_f32_e32 v5, v176, v11
	v_add_f32_e32 v42, v42, v43
	v_mul_f32_e32 v43, v183, v150
	v_fma_f32 v5, v175, v18, -v5
	;; [unrolled: 6-line block ×8, first 2 shown]
	v_fmac_f32_e32 v43, v196, v161
	v_add_f32_e32 v4, v4, v5
	v_mul_f32_e32 v5, v190, v156
	v_add_f32_e32 v42, v42, v43
	s_waitcnt lgkmcnt(13)
	v_mul_f32_e32 v43, v197, v164
	v_fma_f32 v5, v189, v155, -v5
	v_fmac_f32_e32 v43, v198, v163
	v_add_f32_e32 v4, v4, v5
	v_mul_f32_e32 v5, v192, v158
	v_add_f32_e32 v42, v42, v43
	v_mul_f32_e32 v43, v199, v166
	v_fma_f32 v5, v191, v157, -v5
	v_fmac_f32_e32 v43, v200, v165
	v_add_f32_e32 v4, v4, v5
	v_mul_f32_e32 v5, v194, v160
	v_add_f32_e32 v42, v42, v43
	s_waitcnt lgkmcnt(12)
	v_mul_f32_e32 v43, v201, v168
	v_fma_f32 v5, v193, v159, -v5
	v_fmac_f32_e32 v43, v202, v167
	v_add_f32_e32 v4, v4, v5
	v_mul_f32_e32 v5, v196, v162
	v_add_f32_e32 v42, v42, v43
	v_mul_f32_e32 v43, v203, v170
	v_fma_f32 v5, v195, v161, -v5
	;; [unrolled: 13-line block ×3, first 2 shown]
	v_fmac_f32_e32 v43, v208, v59
	v_add_f32_e32 v4, v4, v5
	v_mul_f32_e32 v5, v202, v168
	v_add_f32_e32 v42, v42, v43
	s_waitcnt vmcnt(60) lgkmcnt(10)
	v_mul_f32_e32 v43, v209, v61
	v_fma_f32 v5, v201, v167, -v5
	v_fmac_f32_e32 v43, v210, v60
	v_add_f32_e32 v4, v4, v5
	v_mul_f32_e32 v5, v204, v170
	v_add_f32_e32 v42, v42, v43
	s_waitcnt vmcnt(58)
	v_mul_f32_e32 v43, v211, v63
	v_fma_f32 v5, v203, v169, -v5
	v_fmac_f32_e32 v43, v212, v62
	v_add_f32_e32 v4, v4, v5
	v_mul_f32_e32 v5, v206, v172
	v_add_f32_e32 v42, v42, v43
	s_waitcnt vmcnt(57) lgkmcnt(9)
	v_mul_f32_e32 v43, v213, v64
	v_fma_f32 v5, v205, v171, -v5
	s_waitcnt vmcnt(56)
	v_fmac_f32_e32 v43, v214, v65
	v_add_f32_e32 v4, v4, v5
	v_mul_f32_e32 v5, v208, v58
	v_add_f32_e32 v42, v42, v43
	s_waitcnt vmcnt(54)
	v_mul_f32_e32 v43, v215, v67
	v_fma_f32 v5, v207, v59, -v5
	v_fmac_f32_e32 v43, v216, v66
	v_add_f32_e32 v4, v4, v5
	v_mul_f32_e32 v5, v210, v61
	v_add_f32_e32 v42, v42, v43
	s_waitcnt vmcnt(52) lgkmcnt(8)
	v_mul_f32_e32 v43, v217, v69
	v_fma_f32 v5, v209, v60, -v5
	v_fmac_f32_e32 v43, v218, v68
	v_add_f32_e32 v4, v4, v5
	v_mul_f32_e32 v5, v212, v63
	v_add_f32_e32 v42, v42, v43
	s_waitcnt vmcnt(50)
	v_mul_f32_e32 v43, v219, v71
	v_fma_f32 v5, v211, v62, -v5
	v_fmac_f32_e32 v43, v220, v70
	v_add_f32_e32 v4, v4, v5
	v_mul_f32_e32 v5, v214, v64
	v_add_f32_e32 v42, v42, v43
	s_waitcnt vmcnt(48) lgkmcnt(7)
	v_mul_f32_e32 v43, v221, v73
	v_fma_f32 v5, v213, v65, -v5
	v_fmac_f32_e32 v43, v222, v72
	v_add_f32_e32 v4, v4, v5
	v_mul_f32_e32 v5, v216, v67
	v_add_f32_e32 v42, v42, v43
	s_waitcnt vmcnt(47)
	v_mul_f32_e32 v43, v223, v74
	v_fma_f32 v5, v215, v66, -v5
	s_waitcnt vmcnt(44)
	v_fmac_f32_e32 v43, v224, v77
	v_add_f32_e32 v4, v4, v5
	v_mul_f32_e32 v5, v218, v69
	v_add_f32_e32 v42, v42, v43
	s_waitcnt lgkmcnt(6)
	v_mul_f32_e32 v43, v225, v76
	v_fma_f32 v5, v217, v68, -v5
	v_fmac_f32_e32 v43, v226, v75
	v_add_f32_e32 v4, v4, v5
	v_mul_f32_e32 v5, v220, v71
	v_add_f32_e32 v42, v42, v43
	s_waitcnt vmcnt(42)
	v_mul_f32_e32 v43, v227, v79
	v_fma_f32 v5, v219, v70, -v5
	v_fmac_f32_e32 v43, v228, v78
	v_add_f32_e32 v4, v4, v5
	v_mul_f32_e32 v5, v222, v73
	v_add_f32_e32 v42, v42, v43
	s_waitcnt vmcnt(40) lgkmcnt(5)
	v_mul_f32_e32 v43, v229, v81
	v_fma_f32 v5, v221, v72, -v5
	v_fmac_f32_e32 v43, v230, v80
	v_add_f32_e32 v4, v4, v5
	v_mul_f32_e32 v5, v224, v74
	v_add_f32_e32 v42, v42, v43
	s_waitcnt vmcnt(39)
	v_mul_f32_e32 v43, v231, v82
	v_fma_f32 v5, v223, v77, -v5
	s_waitcnt vmcnt(36)
	v_fmac_f32_e32 v43, v232, v85
	v_add_f32_e32 v4, v4, v5
	v_mul_f32_e32 v5, v226, v76
	v_add_f32_e32 v42, v42, v43
	s_waitcnt lgkmcnt(4)
	;; [unrolled: 29-line block ×4, first 2 shown]
	v_mul_f32_e32 v43, v249, v100
	v_fma_f32 v5, v241, v91, -v5
	v_fmac_f32_e32 v43, v250, v99
	v_add_f32_e32 v4, v4, v5
	v_mul_f32_e32 v5, v244, v95
	v_add_f32_e32 v46, v42, v43
	ds_read_b128 v[42:45], v142 offset:880
	v_fma_f32 v5, v243, v94, -v5
	v_add_f32_e32 v4, v4, v5
	v_mul_f32_e32 v5, v246, v97
	s_waitcnt vmcnt(18)
	v_mul_f32_e32 v47, v251, v103
	v_fma_f32 v5, v245, v96, -v5
	v_fmac_f32_e32 v47, v252, v102
	v_add_f32_e32 v4, v4, v5
	v_mul_f32_e32 v5, v248, v98
	v_add_f32_e32 v50, v46, v47
	ds_read_b128 v[46:49], v142 offset:896
	v_fma_f32 v5, v247, v101, -v5
	s_waitcnt vmcnt(16) lgkmcnt(1)
	v_mul_f32_e32 v51, v42, v105
	v_add_f32_e32 v4, v4, v5
	v_mul_f32_e32 v5, v250, v100
	v_fmac_f32_e32 v51, v43, v104
	v_fma_f32 v5, v249, v99, -v5
	v_add_f32_e32 v50, v50, v51
	s_waitcnt vmcnt(15)
	v_mul_f32_e32 v51, v44, v106
	v_add_f32_e32 v4, v4, v5
	v_mul_f32_e32 v5, v252, v103
	s_waitcnt vmcnt(12)
	v_fmac_f32_e32 v51, v45, v109
	v_fma_f32 v5, v251, v102, -v5
	v_add_f32_e32 v50, v50, v51
	s_waitcnt lgkmcnt(0)
	v_mul_f32_e32 v51, v46, v108
	v_add_f32_e32 v4, v4, v5
	v_mul_f32_e32 v5, v43, v105
	v_fmac_f32_e32 v51, v47, v107
	v_fma_f32 v5, v42, v104, -v5
	v_add_f32_e32 v54, v50, v51
	ds_read_b128 v[50:53], v142 offset:912
	v_add_f32_e32 v4, v4, v5
	v_mul_f32_e32 v5, v45, v106
	v_fma_f32 v5, v44, v109, -v5
	v_add_f32_e32 v4, v4, v5
	v_mul_f32_e32 v5, v47, v108
	s_waitcnt vmcnt(10)
	v_mul_f32_e32 v55, v48, v111
	v_fma_f32 v5, v46, v107, -v5
	v_fmac_f32_e32 v55, v49, v110
	v_add_f32_e32 v4, v4, v5
	v_mul_f32_e32 v5, v49, v111
	v_add_f32_e32 v121, v54, v55
	ds_read_b128 v[54:57], v142 offset:928
	s_waitcnt vmcnt(8) lgkmcnt(1)
	v_mul_f32_e32 v253, v50, v113
	v_fma_f32 v5, v48, v110, -v5
	v_fmac_f32_e32 v253, v51, v112
	v_add_f32_e32 v4, v4, v5
	v_mul_f32_e32 v5, v51, v113
	v_add_f32_e32 v121, v121, v253
	s_waitcnt vmcnt(7)
	v_mul_f32_e32 v253, v52, v114
	v_fma_f32 v5, v50, v112, -v5
	s_waitcnt vmcnt(4)
	v_fmac_f32_e32 v253, v53, v117
	v_add_f32_e32 v4, v4, v5
	v_mul_f32_e32 v5, v53, v114
	v_add_f32_e32 v121, v121, v253
	ds_read_b64 v[253:254], v142 offset:944
	v_fma_f32 v5, v52, v117, -v5
	v_add_f32_e32 v4, v4, v5
	s_waitcnt lgkmcnt(1)
	v_mul_f32_e32 v5, v55, v116
	v_mul_f32_e32 v122, v54, v116
	v_fma_f32 v5, v54, v115, -v5
	v_fmac_f32_e32 v122, v55, v115
	v_add_f32_e32 v4, v4, v5
	s_waitcnt vmcnt(3)
	v_mul_f32_e32 v5, v57, v255
	v_add_f32_e32 v121, v121, v122
	v_mul_f32_e32 v122, v56, v255
	s_waitcnt vmcnt(0)
	v_fma_f32 v5, v56, v120, -v5
	v_fmac_f32_e32 v122, v57, v120
	v_add_f32_e32 v4, v4, v5
	s_waitcnt lgkmcnt(0)
	v_mul_f32_e32 v5, v254, v119
	v_add_f32_e32 v121, v121, v122
	v_mul_f32_e32 v122, v253, v119
	v_fma_f32 v5, v253, v118, -v5
	v_fmac_f32_e32 v122, v254, v118
	v_add_f32_e32 v4, v4, v5
	v_add_f32_e32 v121, v121, v122
	v_sub_f32_e32 v2, v2, v4
	v_sub_f32_e32 v3, v3, v121
	buffer_store_dword v2, off, s[0:3], 0 offset:8
	buffer_store_dword v3, off, s[0:3], 0 offset:12
	s_and_saveexec_b64 s[4:5], vcc
	s_cbranch_execz .LBB122_367
; %bb.366:
	buffer_load_dword v2, off, s[0:3], 0
	buffer_load_dword v3, off, s[0:3], 0 offset:4
	s_waitcnt vmcnt(0)
	ds_write_b64 v1, v[2:3]
	buffer_store_dword v142, off, s[0:3], 0
	buffer_store_dword v142, off, s[0:3], 0 offset:4
.LBB122_367:
	s_or_b64 exec, exec, s[4:5]
	s_waitcnt lgkmcnt(0)
	; wave barrier
	buffer_load_dword v151, off, s[0:3], 0 offset:12
	buffer_load_dword v150, off, s[0:3], 0 offset:20
	;; [unrolled: 1-line block ×30, first 2 shown]
	buffer_load_dword v143, off, s[0:3], 0
	buffer_load_dword v144, off, s[0:3], 0 offset:4
	buffer_load_dword v175, off, s[0:3], 0 offset:128
	;; [unrolled: 1-line block ×3, first 2 shown]
	ds_read2_b64 v[16:19], v142 offset0:61 offset1:62
	ds_read2_b64 v[8:11], v142 offset0:63 offset1:64
	;; [unrolled: 1-line block ×4, first 2 shown]
	buffer_load_dword v177, off, s[0:3], 0 offset:140
	buffer_load_dword v178, off, s[0:3], 0 offset:144
	;; [unrolled: 1-line block ×6, first 2 shown]
	ds_read2_b64 v[20:23], v142 offset0:69 offset1:70
	ds_read2_b64 v[12:15], v142 offset0:71 offset1:72
	buffer_load_dword v182, off, s[0:3], 0 offset:160
	buffer_load_dword v184, off, s[0:3], 0 offset:164
	;; [unrolled: 1-line block ×16, first 2 shown]
	s_and_b64 vcc, exec, s[14:15]
	s_waitcnt vmcnt(55) lgkmcnt(5)
	v_mul_f32_e32 v26, v16, v151
	s_waitcnt vmcnt(54)
	v_mul_f32_e32 v27, v18, v150
	s_waitcnt vmcnt(53) lgkmcnt(4)
	v_mul_f32_e32 v28, v8, v149
	s_waitcnt vmcnt(52)
	v_mul_f32_e32 v29, v10, v148
	s_waitcnt vmcnt(51) lgkmcnt(3)
	v_mul_f32_e32 v30, v4, v147
	s_waitcnt vmcnt(50)
	v_mul_f32_e32 v31, v6, v146
	s_waitcnt vmcnt(49) lgkmcnt(2)
	v_mul_f32_e32 v32, v0, v145
	s_waitcnt vmcnt(48)
	v_mul_f32_e32 v33, v2, v152
	s_waitcnt vmcnt(47) lgkmcnt(1)
	v_mul_f32_e32 v34, v20, v153
	s_waitcnt vmcnt(46)
	v_fmac_f32_e32 v28, v9, v156
	s_waitcnt vmcnt(45)
	v_fmac_f32_e32 v27, v19, v159
	;; [unrolled: 2-line block ×3, first 2 shown]
	v_add_f32_e32 v26, 0, v26
	v_add_f32_e32 v26, v26, v27
	;; [unrolled: 1-line block ×3, first 2 shown]
	s_waitcnt vmcnt(40)
	v_fmac_f32_e32 v29, v11, v160
	v_fmac_f32_e32 v30, v5, v157
	v_add_f32_e32 v26, v26, v29
	v_fmac_f32_e32 v31, v7, v155
	v_add_f32_e32 v26, v26, v30
	;; [unrolled: 2-line block ×3, first 2 shown]
	s_waitcnt vmcnt(36)
	v_fmac_f32_e32 v33, v3, v167
	v_add_f32_e32 v26, v26, v32
	v_fmac_f32_e32 v34, v21, v164
	v_add_f32_e32 v26, v26, v33
	s_waitcnt vmcnt(35)
	v_mul_f32_e32 v27, v22, v165
	v_add_f32_e32 v26, v26, v34
	v_fmac_f32_e32 v27, v23, v161
	v_add_f32_e32 v26, v26, v27
	s_waitcnt vmcnt(34) lgkmcnt(0)
	v_mul_f32_e32 v27, v12, v163
	v_fmac_f32_e32 v27, v13, v158
	v_add_f32_e32 v30, v26, v27
	ds_read2_b64 v[26:29], v142 offset0:73 offset1:74
	buffer_load_dword v61, off, s[0:3], 0 offset:224
	buffer_load_dword v62, off, s[0:3], 0 offset:228
	s_waitcnt vmcnt(35)
	v_mul_f32_e32 v31, v14, v166
	s_waitcnt vmcnt(31)
	v_fmac_f32_e32 v31, v15, v174
	v_add_f32_e32 v34, v30, v31
	ds_read2_b64 v[30:33], v142 offset0:75 offset1:76
	buffer_load_dword v63, off, s[0:3], 0 offset:232
	buffer_load_dword v64, off, s[0:3], 0 offset:236
	s_waitcnt vmcnt(32) lgkmcnt(1)
	v_mul_f32_e32 v35, v26, v173
	v_fmac_f32_e32 v35, v27, v171
	v_add_f32_e32 v34, v34, v35
	s_waitcnt vmcnt(31)
	v_mul_f32_e32 v35, v28, v172
	v_fmac_f32_e32 v35, v29, v169
	v_add_f32_e32 v34, v34, v35
	s_waitcnt vmcnt(30) lgkmcnt(0)
	v_mul_f32_e32 v35, v30, v170
	v_fmac_f32_e32 v35, v31, v168
	s_waitcnt vmcnt(26)
	v_mul_f32_e32 v39, v32, v176
	v_add_f32_e32 v38, v34, v35
	v_fmac_f32_e32 v39, v33, v175
	ds_read2_b64 v[34:37], v142 offset0:77 offset1:78
	v_add_f32_e32 v42, v38, v39
	ds_read2_b64 v[38:41], v142 offset0:79 offset1:80
	buffer_load_dword v65, off, s[0:3], 0 offset:244
	buffer_load_dword v66, off, s[0:3], 0 offset:240
	;; [unrolled: 1-line block ×6, first 2 shown]
	s_waitcnt vmcnt(31) lgkmcnt(1)
	v_mul_f32_e32 v43, v34, v177
	s_waitcnt vmcnt(26)
	v_fmac_f32_e32 v43, v35, v183
	v_add_f32_e32 v42, v42, v43
	v_mul_f32_e32 v43, v36, v179
	v_fmac_f32_e32 v43, v37, v178
	v_add_f32_e32 v42, v42, v43
	s_waitcnt lgkmcnt(0)
	v_mul_f32_e32 v43, v38, v181
	v_fmac_f32_e32 v43, v39, v180
	v_add_f32_e32 v46, v42, v43
	ds_read2_b64 v[42:45], v142 offset0:81 offset1:82
	s_waitcnt vmcnt(24)
	v_mul_f32_e32 v47, v40, v184
	v_fmac_f32_e32 v47, v41, v182
	v_add_f32_e32 v50, v46, v47
	ds_read2_b64 v[46:49], v142 offset0:83 offset1:84
	s_waitcnt vmcnt(22) lgkmcnt(1)
	v_mul_f32_e32 v51, v42, v186
	v_fmac_f32_e32 v51, v43, v185
	v_add_f32_e32 v50, v50, v51
	s_waitcnt vmcnt(20)
	v_mul_f32_e32 v51, v44, v188
	v_fmac_f32_e32 v51, v45, v187
	v_add_f32_e32 v50, v50, v51
	s_waitcnt vmcnt(18) lgkmcnt(0)
	v_mul_f32_e32 v51, v46, v190
	v_fmac_f32_e32 v51, v47, v189
	buffer_load_dword v71, off, s[0:3], 0 offset:268
	buffer_load_dword v72, off, s[0:3], 0 offset:264
	;; [unrolled: 1-line block ×4, first 2 shown]
	v_add_f32_e32 v54, v50, v51
	ds_read2_b64 v[50:53], v142 offset0:85 offset1:86
	s_waitcnt vmcnt(20)
	v_mul_f32_e32 v55, v48, v192
	buffer_load_dword v75, off, s[0:3], 0 offset:280
	buffer_load_dword v76, off, s[0:3], 0 offset:284
	v_fmac_f32_e32 v55, v49, v191
	v_add_f32_e32 v77, v54, v55
	s_waitcnt vmcnt(20) lgkmcnt(0)
	v_mul_f32_e32 v78, v50, v194
	v_fmac_f32_e32 v78, v51, v193
	ds_read2_b64 v[54:57], v142 offset0:87 offset1:88
	v_add_f32_e32 v77, v77, v78
	buffer_load_dword v78, off, s[0:3], 0 offset:288
	buffer_load_dword v79, off, s[0:3], 0 offset:292
	s_waitcnt vmcnt(20)
	v_mul_f32_e32 v80, v52, v58
	v_fmac_f32_e32 v80, v53, v195
	buffer_load_dword v81, off, s[0:3], 0 offset:296
	buffer_load_dword v82, off, s[0:3], 0 offset:300
	;; [unrolled: 1-line block ×6, first 2 shown]
	v_add_f32_e32 v77, v77, v80
	s_waitcnt vmcnt(24) lgkmcnt(0)
	v_mul_f32_e32 v80, v54, v60
	v_fmac_f32_e32 v80, v55, v59
	v_add_f32_e32 v77, v77, v80
	buffer_load_dword v80, off, s[0:3], 0 offset:320
	buffer_load_dword v87, off, s[0:3], 0 offset:324
	ds_read2_b64 v[196:199], v142 offset0:89 offset1:90
	buffer_load_dword v89, off, s[0:3], 0 offset:328
	buffer_load_dword v90, off, s[0:3], 0 offset:332
	;; [unrolled: 1-line block ×6, first 2 shown]
	ds_read2_b64 v[200:203], v142 offset0:91 offset1:92
	buffer_load_dword v95, off, s[0:3], 0 offset:352
	buffer_load_dword v96, off, s[0:3], 0 offset:356
	v_mul_f32_e32 v17, v17, v151
	v_fma_f32 v16, v16, v162, -v17
	v_mul_f32_e32 v17, v19, v150
	v_add_f32_e32 v16, 0, v16
	v_fma_f32 v17, v18, v159, -v17
	v_mul_f32_e32 v9, v9, v149
	v_add_f32_e32 v16, v16, v17
	;; [unrolled: 3-line block ×3, first 2 shown]
	v_fma_f32 v9, v10, v160, -v9
	s_waitcnt vmcnt(32)
	v_mul_f32_e32 v88, v56, v62
	v_fmac_f32_e32 v88, v57, v61
	v_add_f32_e32 v77, v77, v88
	v_mul_f32_e32 v5, v5, v147
	v_add_f32_e32 v8, v8, v9
	s_waitcnt vmcnt(30) lgkmcnt(1)
	v_mul_f32_e32 v88, v196, v64
	v_fmac_f32_e32 v88, v197, v63
	v_add_f32_e32 v77, v77, v88
	buffer_load_dword v88, off, s[0:3], 0 offset:360
	buffer_load_dword v97, off, s[0:3], 0 offset:364
	;; [unrolled: 1-line block ×6, first 2 shown]
	v_fma_f32 v4, v4, v157, -v5
	v_mul_f32_e32 v5, v7, v146
	v_add_f32_e32 v4, v8, v4
	v_fma_f32 v5, v6, v155, -v5
	v_mul_f32_e32 v1, v1, v145
	buffer_load_dword v103, off, s[0:3], 0 offset:384
	buffer_load_dword v104, off, s[0:3], 0 offset:388
	v_add_f32_e32 v4, v4, v5
	v_fma_f32 v0, v0, v154, -v1
	v_mul_f32_e32 v1, v3, v152
	s_waitcnt vmcnt(37)
	v_mul_f32_e32 v102, v198, v65
	v_add_f32_e32 v0, v4, v0
	v_fma_f32 v1, v2, v167, -v1
	s_waitcnt vmcnt(36)
	v_fmac_f32_e32 v102, v199, v66
	v_add_f32_e32 v0, v0, v1
	v_mul_f32_e32 v1, v21, v153
	v_add_f32_e32 v77, v77, v102
	s_waitcnt vmcnt(34) lgkmcnt(0)
	v_mul_f32_e32 v102, v200, v68
	v_fma_f32 v1, v20, v164, -v1
	v_fmac_f32_e32 v102, v201, v67
	v_add_f32_e32 v0, v0, v1
	v_mul_f32_e32 v1, v23, v165
	v_add_f32_e32 v77, v77, v102
	buffer_load_dword v102, off, s[0:3], 0 offset:392
	buffer_load_dword v105, off, s[0:3], 0 offset:396
	;; [unrolled: 1-line block ×6, first 2 shown]
	v_fma_f32 v1, v22, v161, -v1
	s_waitcnt vmcnt(38)
	v_mul_f32_e32 v110, v202, v70
	v_add_f32_e32 v0, v0, v1
	v_mul_f32_e32 v1, v13, v163
	v_fmac_f32_e32 v110, v203, v69
	v_fma_f32 v1, v12, v158, -v1
	ds_read2_b64 v[204:207], v142 offset0:93 offset1:94
	v_add_f32_e32 v77, v77, v110
	buffer_load_dword v110, off, s[0:3], 0 offset:416
	buffer_load_dword v111, off, s[0:3], 0 offset:420
	v_add_f32_e32 v0, v0, v1
	v_mul_f32_e32 v1, v15, v166
	v_fma_f32 v1, v14, v174, -v1
	v_add_f32_e32 v0, v0, v1
	v_mul_f32_e32 v1, v27, v173
	v_fma_f32 v1, v26, v171, -v1
	v_add_f32_e32 v0, v0, v1
	v_mul_f32_e32 v1, v29, v172
	ds_read2_b64 v[208:211], v142 offset0:95 offset1:96
	buffer_load_dword v113, off, s[0:3], 0 offset:424
	buffer_load_dword v114, off, s[0:3], 0 offset:428
	;; [unrolled: 1-line block ×6, first 2 shown]
	v_fma_f32 v1, v28, v169, -v1
	v_add_f32_e32 v0, v0, v1
	v_mul_f32_e32 v1, v31, v170
	v_fma_f32 v1, v30, v168, -v1
	v_add_f32_e32 v0, v0, v1
	v_mul_f32_e32 v1, v33, v176
	;; [unrolled: 3-line block ×3, first 2 shown]
	buffer_load_dword v119, off, s[0:3], 0 offset:448
	buffer_load_dword v120, off, s[0:3], 0 offset:452
	;; [unrolled: 1-line block ×6, first 2 shown]
	v_fma_f32 v1, v34, v183, -v1
	v_add_f32_e32 v0, v0, v1
	v_mul_f32_e32 v1, v37, v179
	v_fma_f32 v1, v36, v178, -v1
	v_add_f32_e32 v0, v0, v1
	v_mul_f32_e32 v1, v39, v181
	;; [unrolled: 3-line block ×15, first 2 shown]
	v_fma_f32 v1, v202, v69, -v1
	v_add_f32_e32 v0, v0, v1
	s_waitcnt vmcnt(51) lgkmcnt(1)
	v_mul_f32_e32 v1, v205, v71
	v_mul_f32_e32 v112, v204, v71
	s_waitcnt vmcnt(50)
	v_fma_f32 v1, v204, v72, -v1
	v_fmac_f32_e32 v112, v205, v72
	v_add_f32_e32 v0, v0, v1
	s_waitcnt vmcnt(48)
	v_mul_f32_e32 v1, v207, v74
	v_add_f32_e32 v77, v77, v112
	v_mul_f32_e32 v112, v206, v74
	ds_read2_b64 v[212:215], v142 offset0:97 offset1:98
	ds_read2_b64 v[216:219], v142 offset0:99 offset1:100
	v_fma_f32 v1, v206, v73, -v1
	v_fmac_f32_e32 v112, v207, v73
	v_add_f32_e32 v0, v0, v1
	s_waitcnt vmcnt(46) lgkmcnt(2)
	v_mul_f32_e32 v1, v209, v76
	v_add_f32_e32 v77, v77, v112
	v_mul_f32_e32 v112, v208, v76
	v_fma_f32 v1, v208, v75, -v1
	v_fmac_f32_e32 v112, v209, v75
	v_add_f32_e32 v0, v0, v1
	s_waitcnt vmcnt(44)
	v_mul_f32_e32 v1, v211, v79
	v_add_f32_e32 v77, v77, v112
	v_mul_f32_e32 v112, v210, v79
	v_fma_f32 v1, v210, v78, -v1
	v_fmac_f32_e32 v112, v211, v78
	v_add_f32_e32 v0, v0, v1
	s_waitcnt vmcnt(42) lgkmcnt(1)
	v_mul_f32_e32 v1, v213, v82
	v_add_f32_e32 v77, v77, v112
	v_mul_f32_e32 v112, v212, v82
	v_fma_f32 v1, v212, v81, -v1
	v_fmac_f32_e32 v112, v213, v81
	v_add_f32_e32 v0, v0, v1
	s_waitcnt vmcnt(41)
	v_mul_f32_e32 v1, v215, v83
	v_add_f32_e32 v77, v77, v112
	v_mul_f32_e32 v112, v214, v83
	ds_read2_b64 v[220:223], v142 offset0:101 offset1:102
	ds_read2_b64 v[224:227], v142 offset0:103 offset1:104
	s_waitcnt vmcnt(38)
	v_fma_f32 v1, v214, v86, -v1
	v_fmac_f32_e32 v112, v215, v86
	v_add_f32_e32 v0, v0, v1
	s_waitcnt lgkmcnt(2)
	v_mul_f32_e32 v1, v217, v85
	v_add_f32_e32 v77, v77, v112
	v_mul_f32_e32 v112, v216, v85
	v_fma_f32 v1, v216, v84, -v1
	v_fmac_f32_e32 v112, v217, v84
	v_add_f32_e32 v0, v0, v1
	s_waitcnt vmcnt(36)
	v_mul_f32_e32 v1, v219, v87
	v_add_f32_e32 v77, v77, v112
	v_mul_f32_e32 v112, v218, v87
	v_fma_f32 v1, v218, v80, -v1
	v_fmac_f32_e32 v112, v219, v80
	v_add_f32_e32 v0, v0, v1
	s_waitcnt vmcnt(34) lgkmcnt(1)
	v_mul_f32_e32 v1, v221, v90
	v_add_f32_e32 v77, v77, v112
	v_mul_f32_e32 v112, v220, v90
	v_fma_f32 v1, v220, v89, -v1
	v_fmac_f32_e32 v112, v221, v89
	v_add_f32_e32 v0, v0, v1
	s_waitcnt vmcnt(33)
	v_mul_f32_e32 v1, v223, v91
	v_add_f32_e32 v77, v77, v112
	v_mul_f32_e32 v112, v222, v91
	ds_read2_b64 v[228:231], v142 offset0:105 offset1:106
	ds_read2_b64 v[232:235], v142 offset0:107 offset1:108
	s_waitcnt vmcnt(30)
	v_fma_f32 v1, v222, v94, -v1
	v_fmac_f32_e32 v112, v223, v94
	v_add_f32_e32 v0, v0, v1
	s_waitcnt lgkmcnt(2)
	v_mul_f32_e32 v1, v225, v93
	v_add_f32_e32 v77, v77, v112
	v_mul_f32_e32 v112, v224, v93
	v_fma_f32 v1, v224, v92, -v1
	v_fmac_f32_e32 v112, v225, v92
	v_add_f32_e32 v0, v0, v1
	s_waitcnt vmcnt(28)
	v_mul_f32_e32 v1, v227, v96
	v_add_f32_e32 v77, v77, v112
	v_mul_f32_e32 v112, v226, v96
	v_fma_f32 v1, v226, v95, -v1
	v_fmac_f32_e32 v112, v227, v95
	v_add_f32_e32 v0, v0, v1
	s_waitcnt vmcnt(26) lgkmcnt(1)
	v_mul_f32_e32 v1, v229, v97
	v_add_f32_e32 v77, v77, v112
	v_mul_f32_e32 v112, v228, v97
	v_fma_f32 v1, v228, v88, -v1
	v_fmac_f32_e32 v112, v229, v88
	v_add_f32_e32 v0, v0, v1
	s_waitcnt vmcnt(25)
	v_mul_f32_e32 v1, v231, v98
	v_add_f32_e32 v77, v77, v112
	v_mul_f32_e32 v112, v230, v98
	ds_read2_b64 v[236:239], v142 offset0:109 offset1:110
	ds_read2_b64 v[240:243], v142 offset0:111 offset1:112
	s_waitcnt vmcnt(22)
	v_fma_f32 v1, v230, v101, -v1
	v_fmac_f32_e32 v112, v231, v101
	v_add_f32_e32 v0, v0, v1
	s_waitcnt lgkmcnt(2)
	v_mul_f32_e32 v1, v233, v100
	v_add_f32_e32 v77, v77, v112
	v_mul_f32_e32 v112, v232, v100
	v_fma_f32 v1, v232, v99, -v1
	v_fmac_f32_e32 v112, v233, v99
	v_add_f32_e32 v0, v0, v1
	s_waitcnt vmcnt(20)
	v_mul_f32_e32 v1, v235, v104
	v_add_f32_e32 v77, v77, v112
	v_mul_f32_e32 v112, v234, v104
	v_fma_f32 v1, v234, v103, -v1
	v_fmac_f32_e32 v112, v235, v103
	v_add_f32_e32 v0, v0, v1
	s_waitcnt vmcnt(18) lgkmcnt(1)
	v_mul_f32_e32 v1, v237, v105
	v_add_f32_e32 v77, v77, v112
	v_mul_f32_e32 v112, v236, v105
	v_fma_f32 v1, v236, v102, -v1
	v_fmac_f32_e32 v112, v237, v102
	v_add_f32_e32 v0, v0, v1
	s_waitcnt vmcnt(17)
	v_mul_f32_e32 v1, v239, v106
	v_add_f32_e32 v77, v77, v112
	v_mul_f32_e32 v112, v238, v106
	ds_read2_b64 v[244:247], v142 offset0:113 offset1:114
	ds_read2_b64 v[248:251], v142 offset0:115 offset1:116
	s_waitcnt vmcnt(14)
	v_fma_f32 v1, v238, v109, -v1
	v_fmac_f32_e32 v112, v239, v109
	v_add_f32_e32 v0, v0, v1
	s_waitcnt lgkmcnt(2)
	v_mul_f32_e32 v1, v241, v108
	v_add_f32_e32 v77, v77, v112
	v_mul_f32_e32 v112, v240, v108
	v_fma_f32 v1, v240, v107, -v1
	v_fmac_f32_e32 v112, v241, v107
	v_add_f32_e32 v0, v0, v1
	s_waitcnt vmcnt(12)
	v_mul_f32_e32 v1, v243, v111
	v_add_f32_e32 v77, v77, v112
	v_mul_f32_e32 v112, v242, v111
	v_fma_f32 v1, v242, v110, -v1
	v_fmac_f32_e32 v112, v243, v110
	v_add_f32_e32 v0, v0, v1
	s_waitcnt vmcnt(10) lgkmcnt(1)
	v_mul_f32_e32 v1, v245, v114
	v_add_f32_e32 v77, v77, v112
	v_mul_f32_e32 v112, v244, v114
	v_fma_f32 v1, v244, v113, -v1
	v_fmac_f32_e32 v112, v245, v113
	v_add_f32_e32 v0, v0, v1
	s_waitcnt vmcnt(9)
	v_mul_f32_e32 v1, v247, v115
	v_add_f32_e32 v77, v77, v112
	v_mul_f32_e32 v112, v246, v115
	ds_read2_b64 v[252:255], v142 offset0:117 offset1:118
	s_waitcnt vmcnt(6)
	v_fma_f32 v1, v246, v118, -v1
	v_fmac_f32_e32 v112, v247, v118
	v_add_f32_e32 v0, v0, v1
	s_waitcnt lgkmcnt(1)
	v_mul_f32_e32 v1, v249, v117
	v_add_f32_e32 v77, v77, v112
	v_mul_f32_e32 v112, v248, v117
	v_fma_f32 v1, v248, v116, -v1
	v_fmac_f32_e32 v112, v249, v116
	v_add_f32_e32 v0, v0, v1
	s_waitcnt vmcnt(4)
	v_mul_f32_e32 v1, v251, v120
	v_add_f32_e32 v77, v77, v112
	v_mul_f32_e32 v112, v250, v120
	v_fma_f32 v1, v250, v119, -v1
	v_fmac_f32_e32 v112, v251, v119
	v_add_f32_e32 v0, v0, v1
	s_waitcnt vmcnt(3) lgkmcnt(0)
	v_mul_f32_e32 v1, v253, v121
	v_add_f32_e32 v77, v77, v112
	v_mul_f32_e32 v112, v252, v121
	s_waitcnt vmcnt(0)
	v_fma_f32 v1, v252, v124, -v1
	v_fmac_f32_e32 v112, v253, v124
	v_add_f32_e32 v0, v0, v1
	v_mul_f32_e32 v1, v255, v123
	v_add_f32_e32 v77, v77, v112
	v_mul_f32_e32 v112, v254, v123
	v_fma_f32 v1, v254, v122, -v1
	v_fmac_f32_e32 v112, v255, v122
	v_add_f32_e32 v0, v0, v1
	v_add_f32_e32 v77, v77, v112
	v_sub_f32_e32 v0, v143, v0
	v_sub_f32_e32 v1, v144, v77
	buffer_store_dword v0, off, s[0:3], 0
	buffer_store_dword v1, off, s[0:3], 0 offset:4
	s_cbranch_vccz .LBB122_484
; %bb.368:
	v_mov_b32_e32 v0, 0
	global_load_dword v1, v0, s[12:13] offset:228
	s_waitcnt vmcnt(0)
	v_add_u32_e32 v1, -1, v1
	v_cmp_ne_u32_e32 vcc, 57, v1
	s_cbranch_vccz .LBB122_370
; %bb.369:
	v_lshlrev_b32_e32 v1, 3, v1
	buffer_load_dword v2, v1, s[0:3], 0 offen
	buffer_load_dword v3, v1, s[0:3], 0 offen offset:4
	buffer_load_dword v4, off, s[0:3], 0 offset:456
	buffer_load_dword v5, off, s[0:3], 0 offset:460
	s_waitcnt vmcnt(3)
	buffer_store_dword v2, off, s[0:3], 0 offset:456
	s_waitcnt vmcnt(3)
	buffer_store_dword v3, off, s[0:3], 0 offset:460
	s_waitcnt vmcnt(3)
	buffer_store_dword v4, v1, s[0:3], 0 offen
	s_waitcnt vmcnt(3)
	buffer_store_dword v5, v1, s[0:3], 0 offen offset:4
.LBB122_370:
	global_load_dword v0, v0, s[12:13] offset:224
	s_waitcnt vmcnt(0)
	v_add_u32_e32 v0, -1, v0
	v_cmp_eq_u32_e32 vcc, 56, v0
	s_cbranch_vccnz .LBB122_372
; %bb.371:
	v_lshlrev_b32_e32 v0, 3, v0
	buffer_load_dword v1, v0, s[0:3], 0 offen
	buffer_load_dword v2, v0, s[0:3], 0 offen offset:4
	buffer_load_dword v3, off, s[0:3], 0 offset:452
	buffer_load_dword v4, off, s[0:3], 0 offset:448
	s_waitcnt vmcnt(3)
	buffer_store_dword v1, off, s[0:3], 0 offset:448
	s_waitcnt vmcnt(3)
	buffer_store_dword v2, off, s[0:3], 0 offset:452
	s_waitcnt vmcnt(3)
	buffer_store_dword v3, v0, s[0:3], 0 offen offset:4
	s_waitcnt vmcnt(3)
	buffer_store_dword v4, v0, s[0:3], 0 offen
.LBB122_372:
	v_mov_b32_e32 v0, 0
	global_load_dword v1, v0, s[12:13] offset:220
	s_waitcnt vmcnt(0)
	v_add_u32_e32 v1, -1, v1
	v_cmp_eq_u32_e32 vcc, 55, v1
	s_cbranch_vccnz .LBB122_374
; %bb.373:
	v_lshlrev_b32_e32 v1, 3, v1
	buffer_load_dword v2, v1, s[0:3], 0 offen
	buffer_load_dword v3, v1, s[0:3], 0 offen offset:4
	buffer_load_dword v4, off, s[0:3], 0 offset:440
	buffer_load_dword v5, off, s[0:3], 0 offset:444
	s_waitcnt vmcnt(3)
	buffer_store_dword v2, off, s[0:3], 0 offset:440
	s_waitcnt vmcnt(3)
	buffer_store_dword v3, off, s[0:3], 0 offset:444
	s_waitcnt vmcnt(3)
	buffer_store_dword v4, v1, s[0:3], 0 offen
	s_waitcnt vmcnt(3)
	buffer_store_dword v5, v1, s[0:3], 0 offen offset:4
.LBB122_374:
	global_load_dword v0, v0, s[12:13] offset:216
	s_waitcnt vmcnt(0)
	v_add_u32_e32 v0, -1, v0
	v_cmp_eq_u32_e32 vcc, 54, v0
	s_cbranch_vccnz .LBB122_376
; %bb.375:
	v_lshlrev_b32_e32 v0, 3, v0
	buffer_load_dword v1, v0, s[0:3], 0 offen
	buffer_load_dword v2, v0, s[0:3], 0 offen offset:4
	buffer_load_dword v3, off, s[0:3], 0 offset:436
	buffer_load_dword v4, off, s[0:3], 0 offset:432
	s_waitcnt vmcnt(3)
	buffer_store_dword v1, off, s[0:3], 0 offset:432
	s_waitcnt vmcnt(3)
	buffer_store_dword v2, off, s[0:3], 0 offset:436
	s_waitcnt vmcnt(3)
	buffer_store_dword v3, v0, s[0:3], 0 offen offset:4
	s_waitcnt vmcnt(3)
	buffer_store_dword v4, v0, s[0:3], 0 offen
.LBB122_376:
	v_mov_b32_e32 v0, 0
	global_load_dword v1, v0, s[12:13] offset:212
	s_waitcnt vmcnt(0)
	v_add_u32_e32 v1, -1, v1
	v_cmp_eq_u32_e32 vcc, 53, v1
	s_cbranch_vccnz .LBB122_378
; %bb.377:
	v_lshlrev_b32_e32 v1, 3, v1
	buffer_load_dword v2, v1, s[0:3], 0 offen
	buffer_load_dword v3, v1, s[0:3], 0 offen offset:4
	buffer_load_dword v4, off, s[0:3], 0 offset:424
	buffer_load_dword v5, off, s[0:3], 0 offset:428
	s_waitcnt vmcnt(3)
	buffer_store_dword v2, off, s[0:3], 0 offset:424
	s_waitcnt vmcnt(3)
	buffer_store_dword v3, off, s[0:3], 0 offset:428
	s_waitcnt vmcnt(3)
	buffer_store_dword v4, v1, s[0:3], 0 offen
	s_waitcnt vmcnt(3)
	buffer_store_dword v5, v1, s[0:3], 0 offen offset:4
.LBB122_378:
	;; [unrolled: 41-line block ×28, first 2 shown]
	global_load_dword v0, v0, s[12:13]
	s_waitcnt vmcnt(0)
	v_add_u32_e32 v0, -1, v0
	v_cmp_eq_u32_e32 vcc, 0, v0
	s_cbranch_vccnz .LBB122_484
; %bb.483:
	v_lshlrev_b32_e32 v0, 3, v0
	buffer_load_dword v1, v0, s[0:3], 0 offen
	buffer_load_dword v2, v0, s[0:3], 0 offen offset:4
	buffer_load_dword v3, off, s[0:3], 0 offset:4
	buffer_load_dword v4, off, s[0:3], 0
	s_waitcnt vmcnt(3)
	buffer_store_dword v1, off, s[0:3], 0
	s_waitcnt vmcnt(3)
	buffer_store_dword v2, off, s[0:3], 0 offset:4
	s_waitcnt vmcnt(3)
	buffer_store_dword v3, v0, s[0:3], 0 offen offset:4
	s_waitcnt vmcnt(3)
	buffer_store_dword v4, v0, s[0:3], 0 offen
.LBB122_484:
	buffer_load_dword v0, off, s[0:3], 0
	s_nop 0
	buffer_load_dword v1, off, s[0:3], 0 offset:4
	s_waitcnt vmcnt(0)
	flat_store_dwordx2 v[24:25], v[0:1]
	buffer_load_dword v0, off, s[0:3], 0 offset:8
	s_nop 0
	buffer_load_dword v1, off, s[0:3], 0 offset:12
	buffer_load_dword v2, off, s[0:3], 0 offset:472 ; 4-byte Folded Reload
	buffer_load_dword v3, off, s[0:3], 0 offset:476 ; 4-byte Folded Reload
	s_waitcnt vmcnt(0)
	flat_store_dwordx2 v[2:3], v[0:1]
	buffer_load_dword v0, off, s[0:3], 0 offset:16
	s_nop 0
	buffer_load_dword v1, off, s[0:3], 0 offset:20
	buffer_load_dword v2, off, s[0:3], 0 offset:480 ; 4-byte Folded Reload
	buffer_load_dword v3, off, s[0:3], 0 offset:484 ; 4-byte Folded Reload
	;; [unrolled: 7-line block ×50, first 2 shown]
	s_waitcnt vmcnt(0)
	flat_store_dwordx2 v[2:3], v[0:1]
	buffer_load_dword v0, off, s[0:3], 0 offset:408
	s_nop 0
	buffer_load_dword v1, off, s[0:3], 0 offset:412
	s_waitcnt vmcnt(0)
	flat_store_dwordx2 v[126:127], v[0:1]
	buffer_load_dword v0, off, s[0:3], 0 offset:416
	s_nop 0
	buffer_load_dword v1, off, s[0:3], 0 offset:420
	;; [unrolled: 5-line block ×8, first 2 shown]
	s_waitcnt vmcnt(0)
	flat_store_dwordx2 v[140:141], v[0:1]
	s_endpgm
	.section	.rodata,"a",@progbits
	.p2align	6, 0x0
	.amdhsa_kernel _ZN9rocsolver6v33100L18getri_kernel_smallILi59E19rocblas_complex_numIfEPKPS3_EEvT1_iilPiilS8_bb
		.amdhsa_group_segment_fixed_size 952
		.amdhsa_private_segment_fixed_size 880
		.amdhsa_kernarg_size 60
		.amdhsa_user_sgpr_count 6
		.amdhsa_user_sgpr_private_segment_buffer 1
		.amdhsa_user_sgpr_dispatch_ptr 0
		.amdhsa_user_sgpr_queue_ptr 0
		.amdhsa_user_sgpr_kernarg_segment_ptr 1
		.amdhsa_user_sgpr_dispatch_id 0
		.amdhsa_user_sgpr_flat_scratch_init 0
		.amdhsa_user_sgpr_private_segment_size 0
		.amdhsa_uses_dynamic_stack 0
		.amdhsa_system_sgpr_private_segment_wavefront_offset 1
		.amdhsa_system_sgpr_workgroup_id_x 1
		.amdhsa_system_sgpr_workgroup_id_y 0
		.amdhsa_system_sgpr_workgroup_id_z 0
		.amdhsa_system_sgpr_workgroup_info 0
		.amdhsa_system_vgpr_workitem_id 0
		.amdhsa_next_free_vgpr 256
		.amdhsa_next_free_sgpr 21
		.amdhsa_reserve_vcc 1
		.amdhsa_reserve_flat_scratch 0
		.amdhsa_float_round_mode_32 0
		.amdhsa_float_round_mode_16_64 0
		.amdhsa_float_denorm_mode_32 3
		.amdhsa_float_denorm_mode_16_64 3
		.amdhsa_dx10_clamp 1
		.amdhsa_ieee_mode 1
		.amdhsa_fp16_overflow 0
		.amdhsa_exception_fp_ieee_invalid_op 0
		.amdhsa_exception_fp_denorm_src 0
		.amdhsa_exception_fp_ieee_div_zero 0
		.amdhsa_exception_fp_ieee_overflow 0
		.amdhsa_exception_fp_ieee_underflow 0
		.amdhsa_exception_fp_ieee_inexact 0
		.amdhsa_exception_int_div_zero 0
	.end_amdhsa_kernel
	.section	.text._ZN9rocsolver6v33100L18getri_kernel_smallILi59E19rocblas_complex_numIfEPKPS3_EEvT1_iilPiilS8_bb,"axG",@progbits,_ZN9rocsolver6v33100L18getri_kernel_smallILi59E19rocblas_complex_numIfEPKPS3_EEvT1_iilPiilS8_bb,comdat
.Lfunc_end122:
	.size	_ZN9rocsolver6v33100L18getri_kernel_smallILi59E19rocblas_complex_numIfEPKPS3_EEvT1_iilPiilS8_bb, .Lfunc_end122-_ZN9rocsolver6v33100L18getri_kernel_smallILi59E19rocblas_complex_numIfEPKPS3_EEvT1_iilPiilS8_bb
                                        ; -- End function
	.set _ZN9rocsolver6v33100L18getri_kernel_smallILi59E19rocblas_complex_numIfEPKPS3_EEvT1_iilPiilS8_bb.num_vgpr, 256
	.set _ZN9rocsolver6v33100L18getri_kernel_smallILi59E19rocblas_complex_numIfEPKPS3_EEvT1_iilPiilS8_bb.num_agpr, 0
	.set _ZN9rocsolver6v33100L18getri_kernel_smallILi59E19rocblas_complex_numIfEPKPS3_EEvT1_iilPiilS8_bb.numbered_sgpr, 21
	.set _ZN9rocsolver6v33100L18getri_kernel_smallILi59E19rocblas_complex_numIfEPKPS3_EEvT1_iilPiilS8_bb.num_named_barrier, 0
	.set _ZN9rocsolver6v33100L18getri_kernel_smallILi59E19rocblas_complex_numIfEPKPS3_EEvT1_iilPiilS8_bb.private_seg_size, 880
	.set _ZN9rocsolver6v33100L18getri_kernel_smallILi59E19rocblas_complex_numIfEPKPS3_EEvT1_iilPiilS8_bb.uses_vcc, 1
	.set _ZN9rocsolver6v33100L18getri_kernel_smallILi59E19rocblas_complex_numIfEPKPS3_EEvT1_iilPiilS8_bb.uses_flat_scratch, 0
	.set _ZN9rocsolver6v33100L18getri_kernel_smallILi59E19rocblas_complex_numIfEPKPS3_EEvT1_iilPiilS8_bb.has_dyn_sized_stack, 0
	.set _ZN9rocsolver6v33100L18getri_kernel_smallILi59E19rocblas_complex_numIfEPKPS3_EEvT1_iilPiilS8_bb.has_recursion, 0
	.set _ZN9rocsolver6v33100L18getri_kernel_smallILi59E19rocblas_complex_numIfEPKPS3_EEvT1_iilPiilS8_bb.has_indirect_call, 0
	.section	.AMDGPU.csdata,"",@progbits
; Kernel info:
; codeLenInByte = 124708
; TotalNumSgprs: 25
; NumVgprs: 256
; ScratchSize: 880
; MemoryBound: 0
; FloatMode: 240
; IeeeMode: 1
; LDSByteSize: 952 bytes/workgroup (compile time only)
; SGPRBlocks: 3
; VGPRBlocks: 63
; NumSGPRsForWavesPerEU: 25
; NumVGPRsForWavesPerEU: 256
; Occupancy: 1
; WaveLimiterHint : 1
; COMPUTE_PGM_RSRC2:SCRATCH_EN: 1
; COMPUTE_PGM_RSRC2:USER_SGPR: 6
; COMPUTE_PGM_RSRC2:TRAP_HANDLER: 0
; COMPUTE_PGM_RSRC2:TGID_X_EN: 1
; COMPUTE_PGM_RSRC2:TGID_Y_EN: 0
; COMPUTE_PGM_RSRC2:TGID_Z_EN: 0
; COMPUTE_PGM_RSRC2:TIDIG_COMP_CNT: 0
	.section	.text._ZN9rocsolver6v33100L18getri_kernel_smallILi60E19rocblas_complex_numIfEPKPS3_EEvT1_iilPiilS8_bb,"axG",@progbits,_ZN9rocsolver6v33100L18getri_kernel_smallILi60E19rocblas_complex_numIfEPKPS3_EEvT1_iilPiilS8_bb,comdat
	.globl	_ZN9rocsolver6v33100L18getri_kernel_smallILi60E19rocblas_complex_numIfEPKPS3_EEvT1_iilPiilS8_bb ; -- Begin function _ZN9rocsolver6v33100L18getri_kernel_smallILi60E19rocblas_complex_numIfEPKPS3_EEvT1_iilPiilS8_bb
	.p2align	8
	.type	_ZN9rocsolver6v33100L18getri_kernel_smallILi60E19rocblas_complex_numIfEPKPS3_EEvT1_iilPiilS8_bb,@function
_ZN9rocsolver6v33100L18getri_kernel_smallILi60E19rocblas_complex_numIfEPKPS3_EEvT1_iilPiilS8_bb: ; @_ZN9rocsolver6v33100L18getri_kernel_smallILi60E19rocblas_complex_numIfEPKPS3_EEvT1_iilPiilS8_bb
; %bb.0:
	s_add_u32 s0, s0, s7
	s_addc_u32 s1, s1, 0
	v_cmp_gt_u32_e32 vcc, 60, v0
	s_and_saveexec_b64 s[8:9], vcc
	s_cbranch_execz .LBB123_254
; %bb.1:
	s_load_dword s18, s[4:5], 0x38
	s_load_dwordx2 s[12:13], s[4:5], 0x0
	s_load_dwordx4 s[8:11], s[4:5], 0x28
	s_waitcnt lgkmcnt(0)
	s_bitcmp1_b32 s18, 8
	s_cselect_b64 s[14:15], -1, 0
	s_ashr_i32 s7, s6, 31
	s_lshl_b64 s[16:17], s[6:7], 3
	s_add_u32 s12, s12, s16
	s_addc_u32 s13, s13, s17
	s_load_dwordx2 s[16:17], s[12:13], 0x0
	s_bfe_u32 s12, s18, 0x10008
	s_cmp_eq_u32 s12, 0
                                        ; implicit-def: $sgpr12_sgpr13
	s_cbranch_scc1 .LBB123_3
; %bb.2:
	s_load_dword s12, s[4:5], 0x20
	s_load_dwordx2 s[18:19], s[4:5], 0x18
	s_mul_i32 s13, s8, s7
	s_mul_hi_u32 s20, s8, s6
	s_add_i32 s20, s20, s13
	s_mul_i32 s9, s9, s6
	s_add_i32 s9, s20, s9
	s_mul_i32 s8, s8, s6
	s_waitcnt lgkmcnt(0)
	s_ashr_i32 s13, s12, 31
	s_lshl_b64 s[8:9], s[8:9], 2
	s_add_u32 s18, s18, s8
	s_addc_u32 s19, s19, s9
	s_lshl_b64 s[8:9], s[12:13], 2
	s_add_u32 s12, s18, s8
	s_addc_u32 s13, s19, s9
.LBB123_3:
	s_load_dwordx2 s[8:9], s[4:5], 0x8
	s_load_dword s18, s[4:5], 0x38
	v_lshlrev_b32_e32 v3, 3, v0
	s_waitcnt lgkmcnt(0)
	s_ashr_i32 s5, s8, 31
	s_mov_b32 s4, s8
	s_lshl_b64 s[4:5], s[4:5], 3
	s_add_u32 s4, s16, s4
	s_addc_u32 s5, s17, s5
	v_mov_b32_e32 v1, s5
	v_add_co_u32_e32 v25, vcc, s4, v3
	v_addc_co_u32_e32 v26, vcc, 0, v1, vcc
	flat_load_dwordx2 v[1:2], v[25:26]
	s_mov_b32 s16, s9
	s_ashr_i32 s17, s9, 31
	s_lshl_b64 s[16:17], s[16:17], 3
	v_mov_b32_e32 v4, s17
	v_add_co_u32_e32 v5, vcc, s16, v25
	v_addc_co_u32_e32 v6, vcc, v26, v4, vcc
	s_add_i32 s8, s9, s9
	v_add_u32_e32 v4, s8, v0
	v_mov_b32_e32 v7, s5
	s_bitcmp0_b32 s18, 0
	s_waitcnt vmcnt(0) lgkmcnt(0)
	buffer_store_dword v2, off, s[0:3], 0 offset:4
	buffer_store_dword v1, off, s[0:3], 0
	buffer_store_dword v5, off, s[0:3], 0 offset:480 ; 4-byte Folded Spill
	s_nop 0
	buffer_store_dword v6, off, s[0:3], 0 offset:484 ; 4-byte Folded Spill
	flat_load_dwordx2 v[1:2], v[5:6]
	v_ashrrev_i32_e32 v5, 31, v4
	v_lshlrev_b64 v[5:6], 3, v[4:5]
	v_add_u32_e32 v4, s9, v4
	v_add_co_u32_e32 v5, vcc, s4, v5
	v_addc_co_u32_e32 v6, vcc, v7, v6, vcc
	s_waitcnt vmcnt(0) lgkmcnt(0)
	buffer_store_dword v2, off, s[0:3], 0 offset:12
	buffer_store_dword v1, off, s[0:3], 0 offset:8
	buffer_store_dword v5, off, s[0:3], 0 offset:488 ; 4-byte Folded Spill
	s_nop 0
	buffer_store_dword v6, off, s[0:3], 0 offset:492 ; 4-byte Folded Spill
	flat_load_dwordx2 v[1:2], v[5:6]
	v_ashrrev_i32_e32 v5, 31, v4
	v_lshlrev_b64 v[5:6], 3, v[4:5]
	v_add_u32_e32 v4, s9, v4
	v_add_co_u32_e32 v5, vcc, s4, v5
	v_addc_co_u32_e32 v6, vcc, v7, v6, vcc
	s_waitcnt vmcnt(0) lgkmcnt(0)
	buffer_store_dword v2, off, s[0:3], 0 offset:20
	buffer_store_dword v1, off, s[0:3], 0 offset:16
	buffer_store_dword v5, off, s[0:3], 0 offset:496 ; 4-byte Folded Spill
	s_nop 0
	buffer_store_dword v6, off, s[0:3], 0 offset:500 ; 4-byte Folded Spill
	flat_load_dwordx2 v[1:2], v[5:6]
	v_ashrrev_i32_e32 v5, 31, v4
	v_lshlrev_b64 v[5:6], 3, v[4:5]
	v_add_u32_e32 v4, s9, v4
	v_add_co_u32_e32 v5, vcc, s4, v5
	v_addc_co_u32_e32 v6, vcc, v7, v6, vcc
	s_waitcnt vmcnt(0) lgkmcnt(0)
	buffer_store_dword v2, off, s[0:3], 0 offset:28
	buffer_store_dword v1, off, s[0:3], 0 offset:24
	buffer_store_dword v5, off, s[0:3], 0 offset:504 ; 4-byte Folded Spill
	s_nop 0
	buffer_store_dword v6, off, s[0:3], 0 offset:508 ; 4-byte Folded Spill
	flat_load_dwordx2 v[1:2], v[5:6]
	v_ashrrev_i32_e32 v5, 31, v4
	v_lshlrev_b64 v[5:6], 3, v[4:5]
	v_add_u32_e32 v4, s9, v4
	v_add_co_u32_e32 v5, vcc, s4, v5
	v_addc_co_u32_e32 v6, vcc, v7, v6, vcc
	s_waitcnt vmcnt(0) lgkmcnt(0)
	buffer_store_dword v2, off, s[0:3], 0 offset:36
	buffer_store_dword v1, off, s[0:3], 0 offset:32
	buffer_store_dword v5, off, s[0:3], 0 offset:512 ; 4-byte Folded Spill
	s_nop 0
	buffer_store_dword v6, off, s[0:3], 0 offset:516 ; 4-byte Folded Spill
	flat_load_dwordx2 v[1:2], v[5:6]
	v_ashrrev_i32_e32 v5, 31, v4
	v_lshlrev_b64 v[5:6], 3, v[4:5]
	v_add_u32_e32 v4, s9, v4
	v_add_co_u32_e32 v5, vcc, s4, v5
	v_addc_co_u32_e32 v6, vcc, v7, v6, vcc
	s_waitcnt vmcnt(0) lgkmcnt(0)
	buffer_store_dword v2, off, s[0:3], 0 offset:44
	buffer_store_dword v1, off, s[0:3], 0 offset:40
	buffer_store_dword v5, off, s[0:3], 0 offset:520 ; 4-byte Folded Spill
	s_nop 0
	buffer_store_dword v6, off, s[0:3], 0 offset:524 ; 4-byte Folded Spill
	flat_load_dwordx2 v[1:2], v[5:6]
	v_ashrrev_i32_e32 v5, 31, v4
	v_lshlrev_b64 v[5:6], 3, v[4:5]
	v_add_u32_e32 v4, s9, v4
	v_add_co_u32_e32 v5, vcc, s4, v5
	v_addc_co_u32_e32 v6, vcc, v7, v6, vcc
	s_waitcnt vmcnt(0) lgkmcnt(0)
	buffer_store_dword v2, off, s[0:3], 0 offset:52
	buffer_store_dword v1, off, s[0:3], 0 offset:48
	buffer_store_dword v5, off, s[0:3], 0 offset:528 ; 4-byte Folded Spill
	s_nop 0
	buffer_store_dword v6, off, s[0:3], 0 offset:532 ; 4-byte Folded Spill
	flat_load_dwordx2 v[1:2], v[5:6]
	v_ashrrev_i32_e32 v5, 31, v4
	v_lshlrev_b64 v[5:6], 3, v[4:5]
	v_add_u32_e32 v4, s9, v4
	v_add_co_u32_e32 v5, vcc, s4, v5
	v_addc_co_u32_e32 v6, vcc, v7, v6, vcc
	s_waitcnt vmcnt(0) lgkmcnt(0)
	buffer_store_dword v2, off, s[0:3], 0 offset:60
	buffer_store_dword v1, off, s[0:3], 0 offset:56
	buffer_store_dword v5, off, s[0:3], 0 offset:536 ; 4-byte Folded Spill
	s_nop 0
	buffer_store_dword v6, off, s[0:3], 0 offset:540 ; 4-byte Folded Spill
	flat_load_dwordx2 v[1:2], v[5:6]
	v_ashrrev_i32_e32 v5, 31, v4
	v_lshlrev_b64 v[5:6], 3, v[4:5]
	v_add_u32_e32 v4, s9, v4
	v_add_co_u32_e32 v5, vcc, s4, v5
	v_addc_co_u32_e32 v6, vcc, v7, v6, vcc
	s_waitcnt vmcnt(0) lgkmcnt(0)
	buffer_store_dword v2, off, s[0:3], 0 offset:68
	buffer_store_dword v1, off, s[0:3], 0 offset:64
	buffer_store_dword v5, off, s[0:3], 0 offset:544 ; 4-byte Folded Spill
	s_nop 0
	buffer_store_dword v6, off, s[0:3], 0 offset:548 ; 4-byte Folded Spill
	flat_load_dwordx2 v[1:2], v[5:6]
	v_ashrrev_i32_e32 v5, 31, v4
	v_lshlrev_b64 v[5:6], 3, v[4:5]
	v_add_u32_e32 v4, s9, v4
	v_add_co_u32_e32 v5, vcc, s4, v5
	v_addc_co_u32_e32 v6, vcc, v7, v6, vcc
	s_waitcnt vmcnt(0) lgkmcnt(0)
	buffer_store_dword v2, off, s[0:3], 0 offset:76
	buffer_store_dword v1, off, s[0:3], 0 offset:72
	buffer_store_dword v5, off, s[0:3], 0 offset:552 ; 4-byte Folded Spill
	s_nop 0
	buffer_store_dword v6, off, s[0:3], 0 offset:556 ; 4-byte Folded Spill
	flat_load_dwordx2 v[1:2], v[5:6]
	v_ashrrev_i32_e32 v5, 31, v4
	v_lshlrev_b64 v[5:6], 3, v[4:5]
	v_add_u32_e32 v4, s9, v4
	v_add_co_u32_e32 v5, vcc, s4, v5
	v_addc_co_u32_e32 v6, vcc, v7, v6, vcc
	s_waitcnt vmcnt(0) lgkmcnt(0)
	buffer_store_dword v2, off, s[0:3], 0 offset:84
	buffer_store_dword v1, off, s[0:3], 0 offset:80
	buffer_store_dword v5, off, s[0:3], 0 offset:560 ; 4-byte Folded Spill
	s_nop 0
	buffer_store_dword v6, off, s[0:3], 0 offset:564 ; 4-byte Folded Spill
	flat_load_dwordx2 v[1:2], v[5:6]
	v_ashrrev_i32_e32 v5, 31, v4
	v_lshlrev_b64 v[5:6], 3, v[4:5]
	v_add_u32_e32 v4, s9, v4
	v_add_co_u32_e32 v5, vcc, s4, v5
	v_addc_co_u32_e32 v6, vcc, v7, v6, vcc
	s_waitcnt vmcnt(0) lgkmcnt(0)
	buffer_store_dword v2, off, s[0:3], 0 offset:92
	buffer_store_dword v1, off, s[0:3], 0 offset:88
	buffer_store_dword v5, off, s[0:3], 0 offset:568 ; 4-byte Folded Spill
	s_nop 0
	buffer_store_dword v6, off, s[0:3], 0 offset:572 ; 4-byte Folded Spill
	flat_load_dwordx2 v[1:2], v[5:6]
	v_ashrrev_i32_e32 v5, 31, v4
	v_lshlrev_b64 v[5:6], 3, v[4:5]
	v_add_u32_e32 v4, s9, v4
	v_add_co_u32_e32 v5, vcc, s4, v5
	v_addc_co_u32_e32 v6, vcc, v7, v6, vcc
	s_waitcnt vmcnt(0) lgkmcnt(0)
	buffer_store_dword v2, off, s[0:3], 0 offset:100
	buffer_store_dword v1, off, s[0:3], 0 offset:96
	buffer_store_dword v5, off, s[0:3], 0 offset:576 ; 4-byte Folded Spill
	s_nop 0
	buffer_store_dword v6, off, s[0:3], 0 offset:580 ; 4-byte Folded Spill
	flat_load_dwordx2 v[1:2], v[5:6]
	v_ashrrev_i32_e32 v5, 31, v4
	v_lshlrev_b64 v[5:6], 3, v[4:5]
	v_add_u32_e32 v4, s9, v4
	v_add_co_u32_e32 v5, vcc, s4, v5
	v_addc_co_u32_e32 v6, vcc, v7, v6, vcc
	s_waitcnt vmcnt(0) lgkmcnt(0)
	buffer_store_dword v2, off, s[0:3], 0 offset:108
	buffer_store_dword v1, off, s[0:3], 0 offset:104
	buffer_store_dword v5, off, s[0:3], 0 offset:584 ; 4-byte Folded Spill
	s_nop 0
	buffer_store_dword v6, off, s[0:3], 0 offset:588 ; 4-byte Folded Spill
	flat_load_dwordx2 v[1:2], v[5:6]
	v_ashrrev_i32_e32 v5, 31, v4
	v_lshlrev_b64 v[5:6], 3, v[4:5]
	v_add_u32_e32 v4, s9, v4
	v_add_co_u32_e32 v5, vcc, s4, v5
	v_addc_co_u32_e32 v6, vcc, v7, v6, vcc
	s_waitcnt vmcnt(0) lgkmcnt(0)
	buffer_store_dword v2, off, s[0:3], 0 offset:116
	buffer_store_dword v1, off, s[0:3], 0 offset:112
	buffer_store_dword v5, off, s[0:3], 0 offset:592 ; 4-byte Folded Spill
	s_nop 0
	buffer_store_dword v6, off, s[0:3], 0 offset:596 ; 4-byte Folded Spill
	flat_load_dwordx2 v[1:2], v[5:6]
	v_ashrrev_i32_e32 v5, 31, v4
	v_lshlrev_b64 v[5:6], 3, v[4:5]
	v_add_u32_e32 v4, s9, v4
	v_add_co_u32_e32 v5, vcc, s4, v5
	v_addc_co_u32_e32 v6, vcc, v7, v6, vcc
	s_waitcnt vmcnt(0) lgkmcnt(0)
	buffer_store_dword v2, off, s[0:3], 0 offset:124
	buffer_store_dword v1, off, s[0:3], 0 offset:120
	buffer_store_dword v5, off, s[0:3], 0 offset:600 ; 4-byte Folded Spill
	s_nop 0
	buffer_store_dword v6, off, s[0:3], 0 offset:604 ; 4-byte Folded Spill
	flat_load_dwordx2 v[1:2], v[5:6]
	v_ashrrev_i32_e32 v5, 31, v4
	v_lshlrev_b64 v[5:6], 3, v[4:5]
	v_add_u32_e32 v4, s9, v4
	v_add_co_u32_e32 v5, vcc, s4, v5
	v_addc_co_u32_e32 v6, vcc, v7, v6, vcc
	s_waitcnt vmcnt(0) lgkmcnt(0)
	buffer_store_dword v2, off, s[0:3], 0 offset:132
	buffer_store_dword v1, off, s[0:3], 0 offset:128
	buffer_store_dword v5, off, s[0:3], 0 offset:608 ; 4-byte Folded Spill
	s_nop 0
	buffer_store_dword v6, off, s[0:3], 0 offset:612 ; 4-byte Folded Spill
	flat_load_dwordx2 v[1:2], v[5:6]
	v_ashrrev_i32_e32 v5, 31, v4
	v_lshlrev_b64 v[5:6], 3, v[4:5]
	v_add_u32_e32 v4, s9, v4
	v_add_co_u32_e32 v5, vcc, s4, v5
	v_addc_co_u32_e32 v6, vcc, v7, v6, vcc
	s_waitcnt vmcnt(0) lgkmcnt(0)
	buffer_store_dword v2, off, s[0:3], 0 offset:140
	buffer_store_dword v1, off, s[0:3], 0 offset:136
	buffer_store_dword v5, off, s[0:3], 0 offset:616 ; 4-byte Folded Spill
	s_nop 0
	buffer_store_dword v6, off, s[0:3], 0 offset:620 ; 4-byte Folded Spill
	flat_load_dwordx2 v[1:2], v[5:6]
	v_ashrrev_i32_e32 v5, 31, v4
	v_lshlrev_b64 v[5:6], 3, v[4:5]
	v_add_u32_e32 v4, s9, v4
	v_add_co_u32_e32 v5, vcc, s4, v5
	v_addc_co_u32_e32 v6, vcc, v7, v6, vcc
	s_waitcnt vmcnt(0) lgkmcnt(0)
	buffer_store_dword v2, off, s[0:3], 0 offset:148
	buffer_store_dword v1, off, s[0:3], 0 offset:144
	buffer_store_dword v5, off, s[0:3], 0 offset:624 ; 4-byte Folded Spill
	s_nop 0
	buffer_store_dword v6, off, s[0:3], 0 offset:628 ; 4-byte Folded Spill
	flat_load_dwordx2 v[1:2], v[5:6]
	v_ashrrev_i32_e32 v5, 31, v4
	v_lshlrev_b64 v[5:6], 3, v[4:5]
	v_add_u32_e32 v4, s9, v4
	v_add_co_u32_e32 v5, vcc, s4, v5
	v_addc_co_u32_e32 v6, vcc, v7, v6, vcc
	s_waitcnt vmcnt(0) lgkmcnt(0)
	buffer_store_dword v2, off, s[0:3], 0 offset:156
	buffer_store_dword v1, off, s[0:3], 0 offset:152
	buffer_store_dword v5, off, s[0:3], 0 offset:632 ; 4-byte Folded Spill
	s_nop 0
	buffer_store_dword v6, off, s[0:3], 0 offset:636 ; 4-byte Folded Spill
	flat_load_dwordx2 v[1:2], v[5:6]
	v_ashrrev_i32_e32 v5, 31, v4
	v_lshlrev_b64 v[5:6], 3, v[4:5]
	v_add_u32_e32 v4, s9, v4
	v_add_co_u32_e32 v5, vcc, s4, v5
	v_addc_co_u32_e32 v6, vcc, v7, v6, vcc
	s_waitcnt vmcnt(0) lgkmcnt(0)
	buffer_store_dword v2, off, s[0:3], 0 offset:164
	buffer_store_dword v1, off, s[0:3], 0 offset:160
	buffer_store_dword v5, off, s[0:3], 0 offset:640 ; 4-byte Folded Spill
	s_nop 0
	buffer_store_dword v6, off, s[0:3], 0 offset:644 ; 4-byte Folded Spill
	flat_load_dwordx2 v[1:2], v[5:6]
	v_ashrrev_i32_e32 v5, 31, v4
	v_lshlrev_b64 v[5:6], 3, v[4:5]
	v_add_u32_e32 v4, s9, v4
	v_add_co_u32_e32 v5, vcc, s4, v5
	v_addc_co_u32_e32 v6, vcc, v7, v6, vcc
	s_waitcnt vmcnt(0) lgkmcnt(0)
	buffer_store_dword v2, off, s[0:3], 0 offset:172
	buffer_store_dword v1, off, s[0:3], 0 offset:168
	buffer_store_dword v5, off, s[0:3], 0 offset:648 ; 4-byte Folded Spill
	s_nop 0
	buffer_store_dword v6, off, s[0:3], 0 offset:652 ; 4-byte Folded Spill
	flat_load_dwordx2 v[1:2], v[5:6]
	v_ashrrev_i32_e32 v5, 31, v4
	v_lshlrev_b64 v[5:6], 3, v[4:5]
	v_add_u32_e32 v4, s9, v4
	v_add_co_u32_e32 v5, vcc, s4, v5
	v_addc_co_u32_e32 v6, vcc, v7, v6, vcc
	s_waitcnt vmcnt(0) lgkmcnt(0)
	buffer_store_dword v2, off, s[0:3], 0 offset:180
	buffer_store_dword v1, off, s[0:3], 0 offset:176
	buffer_store_dword v5, off, s[0:3], 0 offset:656 ; 4-byte Folded Spill
	s_nop 0
	buffer_store_dword v6, off, s[0:3], 0 offset:660 ; 4-byte Folded Spill
	flat_load_dwordx2 v[1:2], v[5:6]
	v_ashrrev_i32_e32 v5, 31, v4
	v_lshlrev_b64 v[5:6], 3, v[4:5]
	v_add_u32_e32 v4, s9, v4
	v_add_co_u32_e32 v5, vcc, s4, v5
	v_addc_co_u32_e32 v6, vcc, v7, v6, vcc
	s_waitcnt vmcnt(0) lgkmcnt(0)
	buffer_store_dword v2, off, s[0:3], 0 offset:188
	buffer_store_dword v1, off, s[0:3], 0 offset:184
	buffer_store_dword v5, off, s[0:3], 0 offset:664 ; 4-byte Folded Spill
	s_nop 0
	buffer_store_dword v6, off, s[0:3], 0 offset:668 ; 4-byte Folded Spill
	flat_load_dwordx2 v[1:2], v[5:6]
	v_ashrrev_i32_e32 v5, 31, v4
	v_lshlrev_b64 v[5:6], 3, v[4:5]
	v_add_u32_e32 v4, s9, v4
	v_add_co_u32_e32 v5, vcc, s4, v5
	v_addc_co_u32_e32 v6, vcc, v7, v6, vcc
	s_waitcnt vmcnt(0) lgkmcnt(0)
	buffer_store_dword v2, off, s[0:3], 0 offset:196
	buffer_store_dword v1, off, s[0:3], 0 offset:192
	buffer_store_dword v5, off, s[0:3], 0 offset:672 ; 4-byte Folded Spill
	s_nop 0
	buffer_store_dword v6, off, s[0:3], 0 offset:676 ; 4-byte Folded Spill
	flat_load_dwordx2 v[1:2], v[5:6]
	v_ashrrev_i32_e32 v5, 31, v4
	v_lshlrev_b64 v[5:6], 3, v[4:5]
	v_add_u32_e32 v4, s9, v4
	v_add_co_u32_e32 v5, vcc, s4, v5
	v_addc_co_u32_e32 v6, vcc, v7, v6, vcc
	s_waitcnt vmcnt(0) lgkmcnt(0)
	buffer_store_dword v2, off, s[0:3], 0 offset:204
	buffer_store_dword v1, off, s[0:3], 0 offset:200
	buffer_store_dword v5, off, s[0:3], 0 offset:680 ; 4-byte Folded Spill
	s_nop 0
	buffer_store_dword v6, off, s[0:3], 0 offset:684 ; 4-byte Folded Spill
	flat_load_dwordx2 v[1:2], v[5:6]
	v_ashrrev_i32_e32 v5, 31, v4
	v_lshlrev_b64 v[5:6], 3, v[4:5]
	v_add_u32_e32 v4, s9, v4
	v_add_co_u32_e32 v5, vcc, s4, v5
	v_addc_co_u32_e32 v6, vcc, v7, v6, vcc
	s_waitcnt vmcnt(0) lgkmcnt(0)
	buffer_store_dword v2, off, s[0:3], 0 offset:212
	buffer_store_dword v1, off, s[0:3], 0 offset:208
	buffer_store_dword v5, off, s[0:3], 0 offset:688 ; 4-byte Folded Spill
	s_nop 0
	buffer_store_dword v6, off, s[0:3], 0 offset:692 ; 4-byte Folded Spill
	flat_load_dwordx2 v[1:2], v[5:6]
	v_ashrrev_i32_e32 v5, 31, v4
	v_lshlrev_b64 v[5:6], 3, v[4:5]
	v_add_u32_e32 v4, s9, v4
	v_add_co_u32_e32 v5, vcc, s4, v5
	v_addc_co_u32_e32 v6, vcc, v7, v6, vcc
	s_waitcnt vmcnt(0) lgkmcnt(0)
	buffer_store_dword v2, off, s[0:3], 0 offset:220
	buffer_store_dword v1, off, s[0:3], 0 offset:216
	buffer_store_dword v5, off, s[0:3], 0 offset:696 ; 4-byte Folded Spill
	s_nop 0
	buffer_store_dword v6, off, s[0:3], 0 offset:700 ; 4-byte Folded Spill
	flat_load_dwordx2 v[1:2], v[5:6]
	v_ashrrev_i32_e32 v5, 31, v4
	v_lshlrev_b64 v[5:6], 3, v[4:5]
	v_add_u32_e32 v4, s9, v4
	v_add_co_u32_e32 v5, vcc, s4, v5
	v_addc_co_u32_e32 v6, vcc, v7, v6, vcc
	s_waitcnt vmcnt(0) lgkmcnt(0)
	buffer_store_dword v2, off, s[0:3], 0 offset:228
	buffer_store_dword v1, off, s[0:3], 0 offset:224
	buffer_store_dword v5, off, s[0:3], 0 offset:704 ; 4-byte Folded Spill
	s_nop 0
	buffer_store_dword v6, off, s[0:3], 0 offset:708 ; 4-byte Folded Spill
	flat_load_dwordx2 v[1:2], v[5:6]
	v_ashrrev_i32_e32 v5, 31, v4
	v_lshlrev_b64 v[5:6], 3, v[4:5]
	v_add_u32_e32 v4, s9, v4
	v_add_co_u32_e32 v5, vcc, s4, v5
	v_addc_co_u32_e32 v6, vcc, v7, v6, vcc
	s_waitcnt vmcnt(0) lgkmcnt(0)
	buffer_store_dword v2, off, s[0:3], 0 offset:236
	buffer_store_dword v1, off, s[0:3], 0 offset:232
	buffer_store_dword v5, off, s[0:3], 0 offset:712 ; 4-byte Folded Spill
	s_nop 0
	buffer_store_dword v6, off, s[0:3], 0 offset:716 ; 4-byte Folded Spill
	flat_load_dwordx2 v[1:2], v[5:6]
	v_ashrrev_i32_e32 v5, 31, v4
	v_lshlrev_b64 v[5:6], 3, v[4:5]
	v_add_u32_e32 v4, s9, v4
	v_add_co_u32_e32 v5, vcc, s4, v5
	v_addc_co_u32_e32 v6, vcc, v7, v6, vcc
	s_waitcnt vmcnt(0) lgkmcnt(0)
	buffer_store_dword v2, off, s[0:3], 0 offset:244
	buffer_store_dword v1, off, s[0:3], 0 offset:240
	buffer_store_dword v5, off, s[0:3], 0 offset:720 ; 4-byte Folded Spill
	s_nop 0
	buffer_store_dword v6, off, s[0:3], 0 offset:724 ; 4-byte Folded Spill
	flat_load_dwordx2 v[1:2], v[5:6]
	v_ashrrev_i32_e32 v5, 31, v4
	v_lshlrev_b64 v[5:6], 3, v[4:5]
	v_add_u32_e32 v4, s9, v4
	v_add_co_u32_e32 v5, vcc, s4, v5
	v_addc_co_u32_e32 v6, vcc, v7, v6, vcc
	s_waitcnt vmcnt(0) lgkmcnt(0)
	buffer_store_dword v2, off, s[0:3], 0 offset:252
	buffer_store_dword v1, off, s[0:3], 0 offset:248
	buffer_store_dword v5, off, s[0:3], 0 offset:728 ; 4-byte Folded Spill
	s_nop 0
	buffer_store_dword v6, off, s[0:3], 0 offset:732 ; 4-byte Folded Spill
	flat_load_dwordx2 v[1:2], v[5:6]
	v_ashrrev_i32_e32 v5, 31, v4
	v_lshlrev_b64 v[5:6], 3, v[4:5]
	v_add_u32_e32 v4, s9, v4
	v_add_co_u32_e32 v5, vcc, s4, v5
	v_addc_co_u32_e32 v6, vcc, v7, v6, vcc
	s_waitcnt vmcnt(0) lgkmcnt(0)
	buffer_store_dword v2, off, s[0:3], 0 offset:260
	buffer_store_dword v1, off, s[0:3], 0 offset:256
	buffer_store_dword v5, off, s[0:3], 0 offset:736 ; 4-byte Folded Spill
	s_nop 0
	buffer_store_dword v6, off, s[0:3], 0 offset:740 ; 4-byte Folded Spill
	flat_load_dwordx2 v[1:2], v[5:6]
	v_ashrrev_i32_e32 v5, 31, v4
	v_lshlrev_b64 v[5:6], 3, v[4:5]
	v_add_u32_e32 v4, s9, v4
	v_add_co_u32_e32 v5, vcc, s4, v5
	v_addc_co_u32_e32 v6, vcc, v7, v6, vcc
	s_waitcnt vmcnt(0) lgkmcnt(0)
	buffer_store_dword v2, off, s[0:3], 0 offset:268
	buffer_store_dword v1, off, s[0:3], 0 offset:264
	buffer_store_dword v5, off, s[0:3], 0 offset:744 ; 4-byte Folded Spill
	s_nop 0
	buffer_store_dword v6, off, s[0:3], 0 offset:748 ; 4-byte Folded Spill
	flat_load_dwordx2 v[1:2], v[5:6]
	v_ashrrev_i32_e32 v5, 31, v4
	v_lshlrev_b64 v[5:6], 3, v[4:5]
	v_add_u32_e32 v4, s9, v4
	v_add_co_u32_e32 v5, vcc, s4, v5
	v_addc_co_u32_e32 v6, vcc, v7, v6, vcc
	s_waitcnt vmcnt(0) lgkmcnt(0)
	buffer_store_dword v2, off, s[0:3], 0 offset:276
	buffer_store_dword v1, off, s[0:3], 0 offset:272
	buffer_store_dword v5, off, s[0:3], 0 offset:752 ; 4-byte Folded Spill
	s_nop 0
	buffer_store_dword v6, off, s[0:3], 0 offset:756 ; 4-byte Folded Spill
	flat_load_dwordx2 v[1:2], v[5:6]
	v_ashrrev_i32_e32 v5, 31, v4
	v_lshlrev_b64 v[5:6], 3, v[4:5]
	v_add_u32_e32 v4, s9, v4
	v_add_co_u32_e32 v5, vcc, s4, v5
	v_addc_co_u32_e32 v6, vcc, v7, v6, vcc
	s_waitcnt vmcnt(0) lgkmcnt(0)
	buffer_store_dword v2, off, s[0:3], 0 offset:284
	buffer_store_dword v1, off, s[0:3], 0 offset:280
	buffer_store_dword v5, off, s[0:3], 0 offset:760 ; 4-byte Folded Spill
	s_nop 0
	buffer_store_dword v6, off, s[0:3], 0 offset:764 ; 4-byte Folded Spill
	flat_load_dwordx2 v[1:2], v[5:6]
	v_ashrrev_i32_e32 v5, 31, v4
	v_lshlrev_b64 v[5:6], 3, v[4:5]
	v_add_u32_e32 v4, s9, v4
	v_add_co_u32_e32 v5, vcc, s4, v5
	v_addc_co_u32_e32 v6, vcc, v7, v6, vcc
	s_waitcnt vmcnt(0) lgkmcnt(0)
	buffer_store_dword v2, off, s[0:3], 0 offset:292
	buffer_store_dword v1, off, s[0:3], 0 offset:288
	buffer_store_dword v5, off, s[0:3], 0 offset:768 ; 4-byte Folded Spill
	s_nop 0
	buffer_store_dword v6, off, s[0:3], 0 offset:772 ; 4-byte Folded Spill
	flat_load_dwordx2 v[1:2], v[5:6]
	v_ashrrev_i32_e32 v5, 31, v4
	v_lshlrev_b64 v[5:6], 3, v[4:5]
	v_add_u32_e32 v4, s9, v4
	v_add_co_u32_e32 v5, vcc, s4, v5
	v_addc_co_u32_e32 v6, vcc, v7, v6, vcc
	s_waitcnt vmcnt(0) lgkmcnt(0)
	buffer_store_dword v2, off, s[0:3], 0 offset:300
	buffer_store_dword v1, off, s[0:3], 0 offset:296
	buffer_store_dword v5, off, s[0:3], 0 offset:776 ; 4-byte Folded Spill
	s_nop 0
	buffer_store_dword v6, off, s[0:3], 0 offset:780 ; 4-byte Folded Spill
	flat_load_dwordx2 v[1:2], v[5:6]
	v_ashrrev_i32_e32 v5, 31, v4
	v_lshlrev_b64 v[5:6], 3, v[4:5]
	v_add_u32_e32 v4, s9, v4
	v_add_co_u32_e32 v5, vcc, s4, v5
	v_addc_co_u32_e32 v6, vcc, v7, v6, vcc
	s_waitcnt vmcnt(0) lgkmcnt(0)
	buffer_store_dword v2, off, s[0:3], 0 offset:308
	buffer_store_dword v1, off, s[0:3], 0 offset:304
	buffer_store_dword v5, off, s[0:3], 0 offset:784 ; 4-byte Folded Spill
	s_nop 0
	buffer_store_dword v6, off, s[0:3], 0 offset:788 ; 4-byte Folded Spill
	flat_load_dwordx2 v[1:2], v[5:6]
	v_ashrrev_i32_e32 v5, 31, v4
	v_lshlrev_b64 v[5:6], 3, v[4:5]
	v_add_u32_e32 v4, s9, v4
	v_add_co_u32_e32 v5, vcc, s4, v5
	v_addc_co_u32_e32 v6, vcc, v7, v6, vcc
	s_waitcnt vmcnt(0) lgkmcnt(0)
	buffer_store_dword v2, off, s[0:3], 0 offset:316
	buffer_store_dword v1, off, s[0:3], 0 offset:312
	buffer_store_dword v5, off, s[0:3], 0 offset:792 ; 4-byte Folded Spill
	s_nop 0
	buffer_store_dword v6, off, s[0:3], 0 offset:796 ; 4-byte Folded Spill
	flat_load_dwordx2 v[1:2], v[5:6]
	v_ashrrev_i32_e32 v5, 31, v4
	v_lshlrev_b64 v[5:6], 3, v[4:5]
	v_add_u32_e32 v4, s9, v4
	v_add_co_u32_e32 v5, vcc, s4, v5
	v_addc_co_u32_e32 v6, vcc, v7, v6, vcc
	s_waitcnt vmcnt(0) lgkmcnt(0)
	buffer_store_dword v2, off, s[0:3], 0 offset:324
	buffer_store_dword v1, off, s[0:3], 0 offset:320
	buffer_store_dword v5, off, s[0:3], 0 offset:800 ; 4-byte Folded Spill
	s_nop 0
	buffer_store_dword v6, off, s[0:3], 0 offset:804 ; 4-byte Folded Spill
	flat_load_dwordx2 v[1:2], v[5:6]
	v_ashrrev_i32_e32 v5, 31, v4
	v_lshlrev_b64 v[5:6], 3, v[4:5]
	v_add_u32_e32 v4, s9, v4
	v_add_co_u32_e32 v5, vcc, s4, v5
	v_addc_co_u32_e32 v6, vcc, v7, v6, vcc
	s_waitcnt vmcnt(0) lgkmcnt(0)
	buffer_store_dword v2, off, s[0:3], 0 offset:332
	buffer_store_dword v1, off, s[0:3], 0 offset:328
	buffer_store_dword v5, off, s[0:3], 0 offset:808 ; 4-byte Folded Spill
	s_nop 0
	buffer_store_dword v6, off, s[0:3], 0 offset:812 ; 4-byte Folded Spill
	flat_load_dwordx2 v[1:2], v[5:6]
	v_ashrrev_i32_e32 v5, 31, v4
	v_lshlrev_b64 v[5:6], 3, v[4:5]
	v_add_u32_e32 v4, s9, v4
	v_add_co_u32_e32 v5, vcc, s4, v5
	v_addc_co_u32_e32 v6, vcc, v7, v6, vcc
	s_waitcnt vmcnt(0) lgkmcnt(0)
	buffer_store_dword v2, off, s[0:3], 0 offset:340
	buffer_store_dword v1, off, s[0:3], 0 offset:336
	buffer_store_dword v5, off, s[0:3], 0 offset:816 ; 4-byte Folded Spill
	s_nop 0
	buffer_store_dword v6, off, s[0:3], 0 offset:820 ; 4-byte Folded Spill
	flat_load_dwordx2 v[1:2], v[5:6]
	v_ashrrev_i32_e32 v5, 31, v4
	v_lshlrev_b64 v[5:6], 3, v[4:5]
	v_add_u32_e32 v4, s9, v4
	v_add_co_u32_e32 v5, vcc, s4, v5
	v_addc_co_u32_e32 v6, vcc, v7, v6, vcc
	s_waitcnt vmcnt(0) lgkmcnt(0)
	buffer_store_dword v2, off, s[0:3], 0 offset:348
	buffer_store_dword v1, off, s[0:3], 0 offset:344
	buffer_store_dword v5, off, s[0:3], 0 offset:824 ; 4-byte Folded Spill
	s_nop 0
	buffer_store_dword v6, off, s[0:3], 0 offset:828 ; 4-byte Folded Spill
	flat_load_dwordx2 v[1:2], v[5:6]
	v_ashrrev_i32_e32 v5, 31, v4
	v_lshlrev_b64 v[5:6], 3, v[4:5]
	v_add_u32_e32 v4, s9, v4
	v_add_co_u32_e32 v5, vcc, s4, v5
	v_addc_co_u32_e32 v6, vcc, v7, v6, vcc
	s_waitcnt vmcnt(0) lgkmcnt(0)
	buffer_store_dword v2, off, s[0:3], 0 offset:356
	buffer_store_dword v1, off, s[0:3], 0 offset:352
	buffer_store_dword v5, off, s[0:3], 0 offset:832 ; 4-byte Folded Spill
	s_nop 0
	buffer_store_dword v6, off, s[0:3], 0 offset:836 ; 4-byte Folded Spill
	flat_load_dwordx2 v[1:2], v[5:6]
	v_ashrrev_i32_e32 v5, 31, v4
	v_lshlrev_b64 v[5:6], 3, v[4:5]
	v_add_u32_e32 v4, s9, v4
	v_add_co_u32_e32 v5, vcc, s4, v5
	v_addc_co_u32_e32 v6, vcc, v7, v6, vcc
	s_waitcnt vmcnt(0) lgkmcnt(0)
	buffer_store_dword v2, off, s[0:3], 0 offset:364
	buffer_store_dword v1, off, s[0:3], 0 offset:360
	buffer_store_dword v5, off, s[0:3], 0 offset:840 ; 4-byte Folded Spill
	s_nop 0
	buffer_store_dword v6, off, s[0:3], 0 offset:844 ; 4-byte Folded Spill
	flat_load_dwordx2 v[1:2], v[5:6]
	v_ashrrev_i32_e32 v5, 31, v4
	v_lshlrev_b64 v[5:6], 3, v[4:5]
	v_add_u32_e32 v4, s9, v4
	v_add_co_u32_e32 v5, vcc, s4, v5
	v_addc_co_u32_e32 v6, vcc, v7, v6, vcc
	s_waitcnt vmcnt(0) lgkmcnt(0)
	buffer_store_dword v2, off, s[0:3], 0 offset:372
	buffer_store_dword v1, off, s[0:3], 0 offset:368
	buffer_store_dword v5, off, s[0:3], 0 offset:848 ; 4-byte Folded Spill
	s_nop 0
	buffer_store_dword v6, off, s[0:3], 0 offset:852 ; 4-byte Folded Spill
	flat_load_dwordx2 v[1:2], v[5:6]
	v_ashrrev_i32_e32 v5, 31, v4
	v_lshlrev_b64 v[5:6], 3, v[4:5]
	v_add_u32_e32 v4, s9, v4
	v_add_co_u32_e32 v5, vcc, s4, v5
	v_addc_co_u32_e32 v6, vcc, v7, v6, vcc
	s_waitcnt vmcnt(0) lgkmcnt(0)
	buffer_store_dword v2, off, s[0:3], 0 offset:380
	buffer_store_dword v1, off, s[0:3], 0 offset:376
	buffer_store_dword v5, off, s[0:3], 0 offset:856 ; 4-byte Folded Spill
	s_nop 0
	buffer_store_dword v6, off, s[0:3], 0 offset:860 ; 4-byte Folded Spill
	flat_load_dwordx2 v[1:2], v[5:6]
	v_ashrrev_i32_e32 v5, 31, v4
	v_lshlrev_b64 v[5:6], 3, v[4:5]
	v_add_u32_e32 v4, s9, v4
	v_add_co_u32_e32 v5, vcc, s4, v5
	v_addc_co_u32_e32 v6, vcc, v7, v6, vcc
	s_waitcnt vmcnt(0) lgkmcnt(0)
	buffer_store_dword v2, off, s[0:3], 0 offset:388
	buffer_store_dword v1, off, s[0:3], 0 offset:384
	buffer_store_dword v5, off, s[0:3], 0 offset:864 ; 4-byte Folded Spill
	s_nop 0
	buffer_store_dword v6, off, s[0:3], 0 offset:868 ; 4-byte Folded Spill
	flat_load_dwordx2 v[1:2], v[5:6]
	v_ashrrev_i32_e32 v5, 31, v4
	v_lshlrev_b64 v[5:6], 3, v[4:5]
	v_add_u32_e32 v4, s9, v4
	v_add_co_u32_e32 v5, vcc, s4, v5
	v_addc_co_u32_e32 v6, vcc, v7, v6, vcc
	s_waitcnt vmcnt(0) lgkmcnt(0)
	buffer_store_dword v2, off, s[0:3], 0 offset:396
	buffer_store_dword v1, off, s[0:3], 0 offset:392
	buffer_store_dword v5, off, s[0:3], 0 offset:872 ; 4-byte Folded Spill
	s_nop 0
	buffer_store_dword v6, off, s[0:3], 0 offset:876 ; 4-byte Folded Spill
	flat_load_dwordx2 v[1:2], v[5:6]
	v_ashrrev_i32_e32 v5, 31, v4
	v_lshlrev_b64 v[5:6], 3, v[4:5]
	v_add_u32_e32 v4, s9, v4
	v_add_co_u32_e32 v5, vcc, s4, v5
	v_addc_co_u32_e32 v6, vcc, v7, v6, vcc
	s_waitcnt vmcnt(0) lgkmcnt(0)
	buffer_store_dword v2, off, s[0:3], 0 offset:404
	buffer_store_dword v1, off, s[0:3], 0 offset:400
	buffer_store_dword v5, off, s[0:3], 0 offset:880 ; 4-byte Folded Spill
	s_nop 0
	buffer_store_dword v6, off, s[0:3], 0 offset:884 ; 4-byte Folded Spill
	flat_load_dwordx2 v[1:2], v[5:6]
	v_ashrrev_i32_e32 v5, 31, v4
	v_lshlrev_b64 v[5:6], 3, v[4:5]
	v_add_u32_e32 v4, s9, v4
	v_add_co_u32_e32 v5, vcc, s4, v5
	v_addc_co_u32_e32 v6, vcc, v7, v6, vcc
	s_waitcnt vmcnt(0) lgkmcnt(0)
	buffer_store_dword v2, off, s[0:3], 0 offset:412
	buffer_store_dword v1, off, s[0:3], 0 offset:408
	buffer_store_dword v5, off, s[0:3], 0 offset:888 ; 4-byte Folded Spill
	s_nop 0
	buffer_store_dword v6, off, s[0:3], 0 offset:892 ; 4-byte Folded Spill
	flat_load_dwordx2 v[1:2], v[5:6]
	v_ashrrev_i32_e32 v5, 31, v4
	v_lshlrev_b64 v[5:6], 3, v[4:5]
	v_add_u32_e32 v4, s9, v4
	v_add_co_u32_e32 v5, vcc, s4, v5
	v_addc_co_u32_e32 v6, vcc, v7, v6, vcc
	s_waitcnt vmcnt(0) lgkmcnt(0)
	buffer_store_dword v2, off, s[0:3], 0 offset:420
	buffer_store_dword v1, off, s[0:3], 0 offset:416
	buffer_store_dword v5, off, s[0:3], 0 offset:896 ; 4-byte Folded Spill
	s_nop 0
	buffer_store_dword v6, off, s[0:3], 0 offset:900 ; 4-byte Folded Spill
	flat_load_dwordx2 v[1:2], v[5:6]
	v_ashrrev_i32_e32 v5, 31, v4
	v_lshlrev_b64 v[5:6], 3, v[4:5]
	v_add_u32_e32 v4, s9, v4
	v_add_co_u32_e32 v133, vcc, s4, v5
	v_addc_co_u32_e32 v134, vcc, v7, v6, vcc
	v_ashrrev_i32_e32 v5, 31, v4
	v_lshlrev_b64 v[5:6], 3, v[4:5]
	v_add_u32_e32 v4, s9, v4
	v_add_co_u32_e32 v135, vcc, s4, v5
	v_addc_co_u32_e32 v136, vcc, v7, v6, vcc
	;; [unrolled: 5-line block ×5, first 2 shown]
	v_ashrrev_i32_e32 v5, 31, v4
	v_lshlrev_b64 v[4:5], 3, v[4:5]
	v_mov_b32_e32 v6, s5
	v_add_co_u32_e32 v143, vcc, s4, v4
	v_addc_co_u32_e32 v144, vcc, v6, v5, vcc
	s_mov_b64 s[8:9], -1
	s_waitcnt vmcnt(0) lgkmcnt(0)
	buffer_store_dword v2, off, s[0:3], 0 offset:428
	buffer_store_dword v1, off, s[0:3], 0 offset:424
	flat_load_dwordx2 v[1:2], v[133:134]
	s_waitcnt vmcnt(0) lgkmcnt(0)
	buffer_store_dword v2, off, s[0:3], 0 offset:436
	buffer_store_dword v1, off, s[0:3], 0 offset:432
	flat_load_dwordx2 v[1:2], v[135:136]
	;; [unrolled: 4-line block ×6, first 2 shown]
	s_waitcnt vmcnt(0) lgkmcnt(0)
	buffer_store_dword v2, off, s[0:3], 0 offset:476
	buffer_store_dword v1, off, s[0:3], 0 offset:472
	s_cbranch_scc1 .LBB123_252
; %bb.4:
	v_cmp_eq_u32_e64 s[4:5], 0, v0
	s_and_saveexec_b64 s[8:9], s[4:5]
; %bb.5:
	v_mov_b32_e32 v1, 0
	ds_write_b32 v1, v1 offset:960
; %bb.6:
	s_or_b64 exec, exec, s[8:9]
	v_mov_b32_e32 v1, 0
	v_lshl_add_u32 v5, v0, 3, v1
	s_waitcnt lgkmcnt(0)
	; wave barrier
	buffer_load_dword v1, v5, s[0:3], 0 offen
	buffer_load_dword v2, v5, s[0:3], 0 offen offset:4
	s_waitcnt vmcnt(1)
	v_cmp_eq_f32_e32 vcc, 0, v1
	s_waitcnt vmcnt(0)
	v_cmp_eq_f32_e64 s[8:9], 0, v2
	s_and_b64 s[8:9], vcc, s[8:9]
	s_and_saveexec_b64 s[16:17], s[8:9]
	s_cbranch_execz .LBB123_10
; %bb.7:
	v_mov_b32_e32 v1, 0
	ds_read_b32 v4, v1 offset:960
	v_add_u32_e32 v2, 1, v0
	s_waitcnt lgkmcnt(0)
	v_readfirstlane_b32 s8, v4
	s_cmp_eq_u32 s8, 0
	s_cselect_b64 s[18:19], -1, 0
	v_cmp_gt_i32_e32 vcc, s8, v2
	s_or_b64 s[18:19], s[18:19], vcc
	s_and_b64 exec, exec, s[18:19]
	s_cbranch_execz .LBB123_10
; %bb.8:
	s_mov_b64 s[18:19], 0
	v_mov_b32_e32 v4, s8
.LBB123_9:                              ; =>This Inner Loop Header: Depth=1
	ds_cmpst_rtn_b32 v4, v1, v4, v2 offset:960
	s_waitcnt lgkmcnt(0)
	v_cmp_ne_u32_e32 vcc, 0, v4
	v_cmp_le_i32_e64 s[8:9], v4, v2
	s_and_b64 s[8:9], vcc, s[8:9]
	s_and_b64 s[8:9], exec, s[8:9]
	s_or_b64 s[18:19], s[8:9], s[18:19]
	s_andn2_b64 exec, exec, s[18:19]
	s_cbranch_execnz .LBB123_9
.LBB123_10:
	s_or_b64 exec, exec, s[16:17]
	v_mov_b32_e32 v2, 0
	; wave barrier
	ds_read_b32 v1, v2 offset:960
	s_and_saveexec_b64 s[8:9], s[4:5]
	s_cbranch_execz .LBB123_12
; %bb.11:
	s_lshl_b64 s[16:17], s[6:7], 2
	s_add_u32 s16, s10, s16
	s_addc_u32 s17, s11, s17
	s_waitcnt lgkmcnt(0)
	global_store_dword v2, v1, s[16:17]
.LBB123_12:
	s_or_b64 exec, exec, s[8:9]
	s_waitcnt lgkmcnt(0)
	v_cmp_ne_u32_e32 vcc, 0, v1
	s_mov_b64 s[8:9], 0
	s_cbranch_vccnz .LBB123_252
; %bb.13:
	buffer_load_dword v2, v5, s[0:3], 0 offen
	buffer_load_dword v4, v5, s[0:3], 0 offen offset:4
                                        ; implicit-def: $vgpr7
                                        ; implicit-def: $vgpr6
                                        ; implicit-def: $vgpr1
	s_waitcnt vmcnt(0)
	v_cmp_ngt_f32_e64 s[8:9], |v2|, |v4|
	s_and_saveexec_b64 s[16:17], s[8:9]
	s_xor_b64 s[8:9], exec, s[16:17]
	s_cbranch_execz .LBB123_15
; %bb.14:
	v_div_scale_f32 v1, s[16:17], v4, v4, v2
	v_div_scale_f32 v6, vcc, v2, v4, v2
	v_rcp_f32_e32 v7, v1
	v_fma_f32 v8, -v1, v7, 1.0
	v_fmac_f32_e32 v7, v8, v7
	v_mul_f32_e32 v8, v6, v7
	v_fma_f32 v9, -v1, v8, v6
	v_fmac_f32_e32 v8, v9, v7
	v_fma_f32 v1, -v1, v8, v6
	v_div_fmas_f32 v1, v1, v7, v8
	v_div_fixup_f32 v1, v1, v4, v2
	v_fmac_f32_e32 v4, v2, v1
	v_div_scale_f32 v2, s[16:17], v4, v4, 1.0
	v_div_scale_f32 v6, vcc, 1.0, v4, 1.0
	v_rcp_f32_e32 v7, v2
	v_fma_f32 v8, -v2, v7, 1.0
	v_fmac_f32_e32 v7, v8, v7
	v_mul_f32_e32 v8, v6, v7
	v_fma_f32 v9, -v2, v8, v6
	v_fmac_f32_e32 v8, v9, v7
	v_fma_f32 v2, -v2, v8, v6
	v_div_fmas_f32 v2, v2, v7, v8
	v_div_fixup_f32 v2, v2, v4, 1.0
	v_mul_f32_e32 v7, v1, v2
	v_xor_b32_e32 v6, 0x80000000, v2
	v_xor_b32_e32 v1, 0x80000000, v7
                                        ; implicit-def: $vgpr2
                                        ; implicit-def: $vgpr4
.LBB123_15:
	s_andn2_saveexec_b64 s[8:9], s[8:9]
	s_cbranch_execz .LBB123_17
; %bb.16:
	v_div_scale_f32 v1, s[16:17], v2, v2, v4
	v_div_scale_f32 v6, vcc, v4, v2, v4
	v_rcp_f32_e32 v7, v1
	v_fma_f32 v8, -v1, v7, 1.0
	v_fmac_f32_e32 v7, v8, v7
	v_mul_f32_e32 v8, v6, v7
	v_fma_f32 v9, -v1, v8, v6
	v_fmac_f32_e32 v8, v9, v7
	v_fma_f32 v1, -v1, v8, v6
	v_div_fmas_f32 v1, v1, v7, v8
	v_div_fixup_f32 v6, v1, v2, v4
	v_fmac_f32_e32 v2, v4, v6
	v_div_scale_f32 v1, s[16:17], v2, v2, 1.0
	v_div_scale_f32 v4, vcc, 1.0, v2, 1.0
	v_rcp_f32_e32 v7, v1
	v_fma_f32 v8, -v1, v7, 1.0
	v_fmac_f32_e32 v7, v8, v7
	v_mul_f32_e32 v8, v4, v7
	v_fma_f32 v9, -v1, v8, v4
	v_fmac_f32_e32 v8, v9, v7
	v_fma_f32 v1, -v1, v8, v4
	v_div_fmas_f32 v1, v1, v7, v8
	v_div_fixup_f32 v7, v1, v2, 1.0
	v_xor_b32_e32 v1, 0x80000000, v7
	v_mul_f32_e64 v6, v6, -v7
.LBB123_17:
	s_or_b64 exec, exec, s[8:9]
	buffer_store_dword v7, v5, s[0:3], 0 offen
	buffer_store_dword v6, v5, s[0:3], 0 offen offset:4
	buffer_load_dword v8, off, s[0:3], 0 offset:12
	s_nop 0
	buffer_load_dword v7, off, s[0:3], 0 offset:8
	v_xor_b32_e32 v2, 0x80000000, v6
	v_add_u32_e32 v4, 0x1e0, v3
	s_waitcnt vmcnt(0)
	ds_write2_b64 v3, v[1:2], v[7:8] offset1:60
	s_waitcnt lgkmcnt(0)
	; wave barrier
	s_and_saveexec_b64 s[8:9], s[4:5]
	s_cbranch_execz .LBB123_19
; %bb.18:
	buffer_load_dword v8, v5, s[0:3], 0 offen offset:4
	buffer_load_dword v9, v5, s[0:3], 0 offen
	ds_read_b64 v[1:2], v4
	v_mov_b32_e32 v6, 0
	ds_read_b64 v[6:7], v6 offset:8
	s_waitcnt vmcnt(1) lgkmcnt(1)
	v_mul_f32_e32 v10, v2, v8
	v_mul_f32_e32 v8, v1, v8
	s_waitcnt vmcnt(0)
	v_fmac_f32_e32 v8, v2, v9
	v_fma_f32 v1, v1, v9, -v10
	v_add_f32_e32 v2, 0, v8
	v_add_f32_e32 v1, 0, v1
	s_waitcnt lgkmcnt(0)
	v_mul_f32_e32 v8, v2, v7
	v_mul_f32_e32 v7, v1, v7
	v_fma_f32 v1, v1, v6, -v8
	v_fmac_f32_e32 v7, v2, v6
	buffer_store_dword v1, off, s[0:3], 0 offset:8
	buffer_store_dword v7, off, s[0:3], 0 offset:12
.LBB123_19:
	s_or_b64 exec, exec, s[8:9]
	; wave barrier
	buffer_load_dword v1, off, s[0:3], 0 offset:16
	buffer_load_dword v2, off, s[0:3], 0 offset:20
	v_cmp_gt_u32_e32 vcc, 2, v0
	s_waitcnt vmcnt(0)
	ds_write_b64 v4, v[1:2]
	s_waitcnt lgkmcnt(0)
	; wave barrier
	s_and_saveexec_b64 s[8:9], vcc
	s_cbranch_execz .LBB123_23
; %bb.20:
	buffer_load_dword v6, v5, s[0:3], 0 offen offset:4
	buffer_load_dword v7, v5, s[0:3], 0 offen
	ds_read_b64 v[1:2], v4
	s_waitcnt vmcnt(1) lgkmcnt(0)
	v_mul_f32_e32 v5, v2, v6
	v_mul_f32_e32 v6, v1, v6
	s_waitcnt vmcnt(0)
	v_fma_f32 v1, v1, v7, -v5
	v_fmac_f32_e32 v6, v2, v7
	v_add_f32_e32 v2, 0, v1
	v_add_f32_e32 v1, 0, v6
	s_and_saveexec_b64 s[16:17], s[4:5]
	s_cbranch_execz .LBB123_22
; %bb.21:
	buffer_load_dword v7, off, s[0:3], 0 offset:12
	buffer_load_dword v8, off, s[0:3], 0 offset:8
	v_mov_b32_e32 v5, 0
	ds_read_b64 v[5:6], v5 offset:488
	s_waitcnt vmcnt(1) lgkmcnt(0)
	v_mul_f32_e32 v9, v5, v7
	v_mul_f32_e32 v7, v6, v7
	s_waitcnt vmcnt(0)
	v_fmac_f32_e32 v9, v6, v8
	v_fma_f32 v5, v5, v8, -v7
	v_add_f32_e32 v1, v1, v9
	v_add_f32_e32 v2, v2, v5
.LBB123_22:
	s_or_b64 exec, exec, s[16:17]
	v_mov_b32_e32 v5, 0
	ds_read_b64 v[5:6], v5 offset:16
	s_waitcnt lgkmcnt(0)
	v_mul_f32_e32 v7, v1, v6
	v_mul_f32_e32 v6, v2, v6
	v_fma_f32 v2, v2, v5, -v7
	v_fmac_f32_e32 v6, v1, v5
	buffer_store_dword v2, off, s[0:3], 0 offset:16
	buffer_store_dword v6, off, s[0:3], 0 offset:20
.LBB123_23:
	s_or_b64 exec, exec, s[8:9]
	; wave barrier
	buffer_load_dword v1, off, s[0:3], 0 offset:24
	buffer_load_dword v2, off, s[0:3], 0 offset:28
	v_cmp_gt_u32_e32 vcc, 3, v0
	s_waitcnt vmcnt(0)
	ds_write_b64 v4, v[1:2]
	v_add_u32_e32 v1, -1, v0
	s_waitcnt lgkmcnt(0)
	; wave barrier
	s_and_saveexec_b64 s[4:5], vcc
	s_cbranch_execz .LBB123_27
; %bb.24:
	v_add_u32_e32 v5, -1, v0
	v_add_u32_e32 v6, 0x1e0, v3
	v_mov_b32_e32 v7, v3
	v_mov_b32_e32 v2, 0
	s_mov_b64 s[8:9], 0
	v_mov_b32_e32 v8, 0
.LBB123_25:                             ; =>This Inner Loop Header: Depth=1
	buffer_load_dword v11, v7, s[0:3], 0 offen offset:4
	buffer_load_dword v12, v7, s[0:3], 0 offen
	ds_read_b64 v[9:10], v6
	v_add_u32_e32 v5, 1, v5
	v_cmp_lt_u32_e32 vcc, 1, v5
	v_add_u32_e32 v6, 8, v6
	v_add_u32_e32 v7, 8, v7
	s_or_b64 s[8:9], vcc, s[8:9]
	s_waitcnt vmcnt(1) lgkmcnt(0)
	v_mul_f32_e32 v13, v10, v11
	v_mul_f32_e32 v11, v9, v11
	s_waitcnt vmcnt(0)
	v_fma_f32 v9, v9, v12, -v13
	v_fmac_f32_e32 v11, v10, v12
	v_add_f32_e32 v8, v8, v9
	v_add_f32_e32 v2, v2, v11
	s_andn2_b64 exec, exec, s[8:9]
	s_cbranch_execnz .LBB123_25
; %bb.26:
	s_or_b64 exec, exec, s[8:9]
	v_mov_b32_e32 v5, 0
	ds_read_b64 v[5:6], v5 offset:24
	s_waitcnt lgkmcnt(0)
	v_mul_f32_e32 v7, v2, v6
	v_mul_f32_e32 v6, v8, v6
	v_fma_f32 v7, v8, v5, -v7
	v_fmac_f32_e32 v6, v2, v5
	buffer_store_dword v7, off, s[0:3], 0 offset:24
	buffer_store_dword v6, off, s[0:3], 0 offset:28
.LBB123_27:
	s_or_b64 exec, exec, s[4:5]
	; wave barrier
	buffer_load_dword v5, off, s[0:3], 0 offset:32
	buffer_load_dword v6, off, s[0:3], 0 offset:36
	v_cmp_gt_u32_e32 vcc, 4, v0
	s_waitcnt vmcnt(0)
	ds_write_b64 v4, v[5:6]
	s_waitcnt lgkmcnt(0)
	; wave barrier
	s_and_saveexec_b64 s[4:5], vcc
	s_cbranch_execz .LBB123_31
; %bb.28:
	v_add_u32_e32 v5, -1, v0
	v_add_u32_e32 v6, 0x1e0, v3
	v_mov_b32_e32 v7, v3
	v_mov_b32_e32 v2, 0
	s_mov_b64 s[8:9], 0
	v_mov_b32_e32 v8, 0
.LBB123_29:                             ; =>This Inner Loop Header: Depth=1
	buffer_load_dword v11, v7, s[0:3], 0 offen offset:4
	buffer_load_dword v12, v7, s[0:3], 0 offen
	ds_read_b64 v[9:10], v6
	v_add_u32_e32 v5, 1, v5
	v_cmp_lt_u32_e32 vcc, 2, v5
	v_add_u32_e32 v6, 8, v6
	v_add_u32_e32 v7, 8, v7
	s_or_b64 s[8:9], vcc, s[8:9]
	s_waitcnt vmcnt(1) lgkmcnt(0)
	v_mul_f32_e32 v13, v10, v11
	v_mul_f32_e32 v11, v9, v11
	s_waitcnt vmcnt(0)
	v_fma_f32 v9, v9, v12, -v13
	v_fmac_f32_e32 v11, v10, v12
	v_add_f32_e32 v8, v8, v9
	v_add_f32_e32 v2, v2, v11
	s_andn2_b64 exec, exec, s[8:9]
	s_cbranch_execnz .LBB123_29
; %bb.30:
	s_or_b64 exec, exec, s[8:9]
	v_mov_b32_e32 v5, 0
	ds_read_b64 v[5:6], v5 offset:32
	s_waitcnt lgkmcnt(0)
	v_mul_f32_e32 v7, v2, v6
	v_mul_f32_e32 v6, v8, v6
	v_fma_f32 v7, v8, v5, -v7
	v_fmac_f32_e32 v6, v2, v5
	buffer_store_dword v7, off, s[0:3], 0 offset:32
	buffer_store_dword v6, off, s[0:3], 0 offset:36
.LBB123_31:
	s_or_b64 exec, exec, s[4:5]
	; wave barrier
	buffer_load_dword v5, off, s[0:3], 0 offset:40
	buffer_load_dword v6, off, s[0:3], 0 offset:44
	v_cmp_gt_u32_e32 vcc, 5, v0
	s_waitcnt vmcnt(0)
	ds_write_b64 v4, v[5:6]
	;; [unrolled: 49-line block ×19, first 2 shown]
	s_waitcnt lgkmcnt(0)
	; wave barrier
	s_and_saveexec_b64 s[4:5], vcc
	s_cbranch_execz .LBB123_103
; %bb.100:
	v_add_u32_e32 v5, -1, v0
	v_add_u32_e32 v6, 0x1e0, v3
	v_mov_b32_e32 v7, v3
	v_mov_b32_e32 v2, 0
	s_mov_b64 s[8:9], 0
	v_mov_b32_e32 v8, 0
.LBB123_101:                            ; =>This Inner Loop Header: Depth=1
	buffer_load_dword v11, v7, s[0:3], 0 offen offset:4
	buffer_load_dword v12, v7, s[0:3], 0 offen
	ds_read_b64 v[9:10], v6
	v_add_u32_e32 v5, 1, v5
	v_cmp_lt_u32_e32 vcc, 20, v5
	v_add_u32_e32 v6, 8, v6
	v_add_u32_e32 v7, 8, v7
	s_or_b64 s[8:9], vcc, s[8:9]
	s_waitcnt vmcnt(1) lgkmcnt(0)
	v_mul_f32_e32 v13, v10, v11
	v_mul_f32_e32 v11, v9, v11
	s_waitcnt vmcnt(0)
	v_fma_f32 v9, v9, v12, -v13
	v_fmac_f32_e32 v11, v10, v12
	v_add_f32_e32 v8, v8, v9
	v_add_f32_e32 v2, v2, v11
	s_andn2_b64 exec, exec, s[8:9]
	s_cbranch_execnz .LBB123_101
; %bb.102:
	s_or_b64 exec, exec, s[8:9]
	v_mov_b32_e32 v5, 0
	ds_read_b64 v[5:6], v5 offset:176
	s_waitcnt lgkmcnt(0)
	v_mul_f32_e32 v7, v2, v6
	v_mul_f32_e32 v6, v8, v6
	v_fma_f32 v7, v8, v5, -v7
	v_fmac_f32_e32 v6, v2, v5
	buffer_store_dword v7, off, s[0:3], 0 offset:176
	buffer_store_dword v6, off, s[0:3], 0 offset:180
.LBB123_103:
	s_or_b64 exec, exec, s[4:5]
	; wave barrier
	buffer_load_dword v5, off, s[0:3], 0 offset:184
	buffer_load_dword v6, off, s[0:3], 0 offset:188
	v_cmp_gt_u32_e32 vcc, 23, v0
	s_waitcnt vmcnt(0)
	ds_write_b64 v4, v[5:6]
	s_waitcnt lgkmcnt(0)
	; wave barrier
	s_and_saveexec_b64 s[4:5], vcc
	s_cbranch_execz .LBB123_107
; %bb.104:
	v_add_u32_e32 v5, -1, v0
	v_add_u32_e32 v6, 0x1e0, v3
	v_mov_b32_e32 v7, v3
	v_mov_b32_e32 v2, 0
	s_mov_b64 s[8:9], 0
	v_mov_b32_e32 v8, 0
.LBB123_105:                            ; =>This Inner Loop Header: Depth=1
	buffer_load_dword v11, v7, s[0:3], 0 offen offset:4
	buffer_load_dword v12, v7, s[0:3], 0 offen
	ds_read_b64 v[9:10], v6
	v_add_u32_e32 v5, 1, v5
	v_cmp_lt_u32_e32 vcc, 21, v5
	v_add_u32_e32 v6, 8, v6
	v_add_u32_e32 v7, 8, v7
	s_or_b64 s[8:9], vcc, s[8:9]
	s_waitcnt vmcnt(1) lgkmcnt(0)
	v_mul_f32_e32 v13, v10, v11
	v_mul_f32_e32 v11, v9, v11
	s_waitcnt vmcnt(0)
	v_fma_f32 v9, v9, v12, -v13
	v_fmac_f32_e32 v11, v10, v12
	v_add_f32_e32 v8, v8, v9
	v_add_f32_e32 v2, v2, v11
	s_andn2_b64 exec, exec, s[8:9]
	s_cbranch_execnz .LBB123_105
; %bb.106:
	s_or_b64 exec, exec, s[8:9]
	v_mov_b32_e32 v5, 0
	ds_read_b64 v[5:6], v5 offset:184
	s_waitcnt lgkmcnt(0)
	v_mul_f32_e32 v7, v2, v6
	v_mul_f32_e32 v6, v8, v6
	v_fma_f32 v7, v8, v5, -v7
	v_fmac_f32_e32 v6, v2, v5
	buffer_store_dword v7, off, s[0:3], 0 offset:184
	buffer_store_dword v6, off, s[0:3], 0 offset:188
.LBB123_107:
	s_or_b64 exec, exec, s[4:5]
	; wave barrier
	buffer_load_dword v5, off, s[0:3], 0 offset:192
	buffer_load_dword v6, off, s[0:3], 0 offset:196
	v_cmp_gt_u32_e32 vcc, 24, v0
	s_waitcnt vmcnt(0)
	ds_write_b64 v4, v[5:6]
	;; [unrolled: 49-line block ×36, first 2 shown]
	s_waitcnt lgkmcnt(0)
	; wave barrier
	s_and_saveexec_b64 s[4:5], vcc
	s_cbranch_execz .LBB123_247
; %bb.244:
	v_add_u32_e32 v5, -1, v0
	v_add_u32_e32 v6, 0x1e0, v3
	v_mov_b32_e32 v7, v3
	v_mov_b32_e32 v2, 0
	s_mov_b64 s[8:9], 0
	v_mov_b32_e32 v8, 0
.LBB123_245:                            ; =>This Inner Loop Header: Depth=1
	buffer_load_dword v11, v7, s[0:3], 0 offen offset:4
	buffer_load_dword v12, v7, s[0:3], 0 offen
	ds_read_b64 v[9:10], v6
	v_add_u32_e32 v5, 1, v5
	v_cmp_lt_u32_e32 vcc, 56, v5
	v_add_u32_e32 v6, 8, v6
	v_add_u32_e32 v7, 8, v7
	s_or_b64 s[8:9], vcc, s[8:9]
	s_waitcnt vmcnt(1) lgkmcnt(0)
	v_mul_f32_e32 v13, v10, v11
	v_mul_f32_e32 v11, v9, v11
	s_waitcnt vmcnt(0)
	v_fma_f32 v9, v9, v12, -v13
	v_fmac_f32_e32 v11, v10, v12
	v_add_f32_e32 v8, v8, v9
	v_add_f32_e32 v2, v2, v11
	s_andn2_b64 exec, exec, s[8:9]
	s_cbranch_execnz .LBB123_245
; %bb.246:
	s_or_b64 exec, exec, s[8:9]
	v_mov_b32_e32 v5, 0
	ds_read_b64 v[5:6], v5 offset:464
	s_waitcnt lgkmcnt(0)
	v_mul_f32_e32 v7, v2, v6
	v_mul_f32_e32 v6, v8, v6
	v_fma_f32 v7, v8, v5, -v7
	v_fmac_f32_e32 v6, v2, v5
	buffer_store_dword v7, off, s[0:3], 0 offset:464
	buffer_store_dword v6, off, s[0:3], 0 offset:468
.LBB123_247:
	s_or_b64 exec, exec, s[4:5]
	; wave barrier
	buffer_load_dword v5, off, s[0:3], 0 offset:472
	buffer_load_dword v6, off, s[0:3], 0 offset:476
	v_cmp_ne_u32_e32 vcc, 59, v0
	s_waitcnt vmcnt(0)
	ds_write_b64 v4, v[5:6]
	s_waitcnt lgkmcnt(0)
	; wave barrier
	s_and_saveexec_b64 s[4:5], vcc
	s_cbranch_execz .LBB123_251
; %bb.248:
	v_add_u32_e32 v4, 0x1e0, v3
	v_mov_b32_e32 v2, 0
	s_mov_b64 s[8:9], 0
	v_mov_b32_e32 v5, 0
.LBB123_249:                            ; =>This Inner Loop Header: Depth=1
	buffer_load_dword v8, v3, s[0:3], 0 offen offset:4
	buffer_load_dword v9, v3, s[0:3], 0 offen
	ds_read_b64 v[6:7], v4
	v_add_u32_e32 v1, 1, v1
	v_cmp_lt_u32_e32 vcc, 57, v1
	v_add_u32_e32 v4, 8, v4
	v_add_u32_e32 v3, 8, v3
	s_or_b64 s[8:9], vcc, s[8:9]
	s_waitcnt vmcnt(1) lgkmcnt(0)
	v_mul_f32_e32 v10, v7, v8
	v_mul_f32_e32 v8, v6, v8
	s_waitcnt vmcnt(0)
	v_fma_f32 v6, v6, v9, -v10
	v_fmac_f32_e32 v8, v7, v9
	v_add_f32_e32 v5, v5, v6
	v_add_f32_e32 v2, v2, v8
	s_andn2_b64 exec, exec, s[8:9]
	s_cbranch_execnz .LBB123_249
; %bb.250:
	s_or_b64 exec, exec, s[8:9]
	v_mov_b32_e32 v1, 0
	ds_read_b64 v[3:4], v1 offset:472
	s_waitcnt lgkmcnt(0)
	v_mul_f32_e32 v1, v2, v4
	v_mul_f32_e32 v4, v5, v4
	v_fma_f32 v1, v5, v3, -v1
	v_fmac_f32_e32 v4, v2, v3
	buffer_store_dword v1, off, s[0:3], 0 offset:472
	buffer_store_dword v4, off, s[0:3], 0 offset:476
.LBB123_251:
	s_or_b64 exec, exec, s[4:5]
	s_mov_b64 s[8:9], -1
	; wave barrier
.LBB123_252:
	s_and_b64 vcc, exec, s[8:9]
	s_cbranch_vccz .LBB123_254
; %bb.253:
	s_lshl_b64 s[4:5], s[6:7], 2
	s_add_u32 s4, s10, s4
	s_addc_u32 s5, s11, s5
	v_mov_b32_e32 v1, 0
	global_load_dword v1, v1, s[4:5]
	s_waitcnt vmcnt(0)
	v_cmp_ne_u32_e32 vcc, 0, v1
	s_cbranch_vccz .LBB123_255
.LBB123_254:
	s_endpgm
.LBB123_255:
	v_mov_b32_e32 v1, 0x1e0
	v_lshl_add_u32 v145, v0, 3, v1
	v_cmp_eq_u32_e32 vcc, 59, v0
	s_and_saveexec_b64 s[4:5], vcc
	s_cbranch_execz .LBB123_257
; %bb.256:
	buffer_load_dword v1, off, s[0:3], 0 offset:464
	buffer_load_dword v2, off, s[0:3], 0 offset:468
	v_mov_b32_e32 v3, 0
	buffer_store_dword v3, off, s[0:3], 0 offset:464
	buffer_store_dword v3, off, s[0:3], 0 offset:468
	s_waitcnt vmcnt(2)
	ds_write_b64 v145, v[1:2]
.LBB123_257:
	s_or_b64 exec, exec, s[4:5]
	s_waitcnt lgkmcnt(0)
	; wave barrier
	buffer_load_dword v4, off, s[0:3], 0 offset:476
	buffer_load_dword v5, off, s[0:3], 0 offset:472
	;; [unrolled: 1-line block ×4, first 2 shown]
	v_mov_b32_e32 v1, 0
	ds_read_b64 v[2:3], v1 offset:952
	v_cmp_lt_u32_e32 vcc, 57, v0
	s_waitcnt vmcnt(3) lgkmcnt(0)
	v_mul_f32_e32 v8, v2, v4
	v_mul_f32_e32 v4, v3, v4
	s_waitcnt vmcnt(2)
	v_fma_f32 v2, v2, v5, -v4
	v_fmac_f32_e32 v8, v3, v5
	v_add_f32_e32 v2, 0, v2
	v_add_f32_e32 v3, 0, v8
	s_waitcnt vmcnt(1)
	v_sub_f32_e32 v2, v6, v2
	s_waitcnt vmcnt(0)
	v_sub_f32_e32 v3, v7, v3
	buffer_store_dword v2, off, s[0:3], 0 offset:464
	buffer_store_dword v3, off, s[0:3], 0 offset:468
	s_and_saveexec_b64 s[4:5], vcc
	s_cbranch_execz .LBB123_259
; %bb.258:
	buffer_load_dword v2, off, s[0:3], 0 offset:456
	buffer_load_dword v3, off, s[0:3], 0 offset:460
	s_waitcnt vmcnt(0)
	ds_write_b64 v145, v[2:3]
	buffer_store_dword v1, off, s[0:3], 0 offset:456
	buffer_store_dword v1, off, s[0:3], 0 offset:460
.LBB123_259:
	s_or_b64 exec, exec, s[4:5]
	s_waitcnt lgkmcnt(0)
	; wave barrier
	buffer_load_dword v5, off, s[0:3], 0 offset:468
	buffer_load_dword v6, off, s[0:3], 0 offset:476
	;; [unrolled: 1-line block ×6, first 2 shown]
	ds_read_b128 v[1:4], v1 offset:944
	v_cmp_lt_u32_e32 vcc, 56, v0
	s_waitcnt vmcnt(5) lgkmcnt(0)
	v_mul_f32_e32 v11, v1, v5
	v_mul_f32_e32 v5, v2, v5
	s_waitcnt vmcnt(4)
	v_mul_f32_e32 v12, v3, v6
	v_mul_f32_e32 v6, v4, v6
	s_waitcnt vmcnt(3)
	v_fma_f32 v1, v1, v7, -v5
	v_fmac_f32_e32 v11, v2, v7
	s_waitcnt vmcnt(2)
	v_fma_f32 v2, v3, v8, -v6
	v_add_f32_e32 v1, 0, v1
	v_fmac_f32_e32 v12, v4, v8
	v_add_f32_e32 v3, 0, v11
	v_add_f32_e32 v1, v1, v2
	;; [unrolled: 1-line block ×3, first 2 shown]
	s_waitcnt vmcnt(1)
	v_sub_f32_e32 v1, v9, v1
	s_waitcnt vmcnt(0)
	v_sub_f32_e32 v2, v10, v3
	buffer_store_dword v1, off, s[0:3], 0 offset:456
	buffer_store_dword v2, off, s[0:3], 0 offset:460
	s_and_saveexec_b64 s[4:5], vcc
	s_cbranch_execz .LBB123_261
; %bb.260:
	buffer_load_dword v1, off, s[0:3], 0 offset:448
	buffer_load_dword v2, off, s[0:3], 0 offset:452
	v_mov_b32_e32 v3, 0
	buffer_store_dword v3, off, s[0:3], 0 offset:448
	buffer_store_dword v3, off, s[0:3], 0 offset:452
	s_waitcnt vmcnt(2)
	ds_write_b64 v145, v[1:2]
.LBB123_261:
	s_or_b64 exec, exec, s[4:5]
	s_waitcnt lgkmcnt(0)
	; wave barrier
	buffer_load_dword v8, off, s[0:3], 0 offset:460
	buffer_load_dword v9, off, s[0:3], 0 offset:468
	;; [unrolled: 1-line block ×8, first 2 shown]
	v_mov_b32_e32 v1, 0
	ds_read2_b64 v[2:5], v1 offset0:117 offset1:118
	ds_read_b64 v[6:7], v1 offset:952
	v_cmp_lt_u32_e32 vcc, 55, v0
	s_waitcnt vmcnt(7) lgkmcnt(1)
	v_mul_f32_e32 v16, v2, v8
	v_mul_f32_e32 v8, v3, v8
	s_waitcnt vmcnt(6)
	v_mul_f32_e32 v17, v4, v9
	v_mul_f32_e32 v9, v5, v9
	s_waitcnt vmcnt(4)
	v_fma_f32 v2, v2, v11, -v8
	s_waitcnt lgkmcnt(0)
	v_mul_f32_e32 v18, v6, v10
	v_mul_f32_e32 v10, v7, v10
	v_fmac_f32_e32 v16, v3, v11
	s_waitcnt vmcnt(3)
	v_fma_f32 v3, v4, v12, -v9
	v_add_f32_e32 v2, 0, v2
	v_fmac_f32_e32 v17, v5, v12
	s_waitcnt vmcnt(2)
	v_fma_f32 v4, v6, v13, -v10
	v_add_f32_e32 v5, 0, v16
	v_add_f32_e32 v2, v2, v3
	v_fmac_f32_e32 v18, v7, v13
	v_add_f32_e32 v5, v5, v17
	v_add_f32_e32 v2, v2, v4
	;; [unrolled: 1-line block ×3, first 2 shown]
	s_waitcnt vmcnt(1)
	v_sub_f32_e32 v2, v14, v2
	s_waitcnt vmcnt(0)
	v_sub_f32_e32 v3, v15, v3
	buffer_store_dword v2, off, s[0:3], 0 offset:448
	buffer_store_dword v3, off, s[0:3], 0 offset:452
	s_and_saveexec_b64 s[4:5], vcc
	s_cbranch_execz .LBB123_263
; %bb.262:
	buffer_load_dword v2, off, s[0:3], 0 offset:440
	buffer_load_dword v3, off, s[0:3], 0 offset:444
	s_waitcnt vmcnt(0)
	ds_write_b64 v145, v[2:3]
	buffer_store_dword v1, off, s[0:3], 0 offset:440
	buffer_store_dword v1, off, s[0:3], 0 offset:444
.LBB123_263:
	s_or_b64 exec, exec, s[4:5]
	s_waitcnt lgkmcnt(0)
	; wave barrier
	buffer_load_dword v10, off, s[0:3], 0 offset:452
	buffer_load_dword v11, off, s[0:3], 0 offset:460
	;; [unrolled: 1-line block ×10, first 2 shown]
	ds_read_b128 v[2:5], v1 offset:928
	ds_read_b128 v[6:9], v1 offset:944
	v_cmp_lt_u32_e32 vcc, 54, v0
	s_waitcnt vmcnt(9) lgkmcnt(1)
	v_mul_f32_e32 v1, v2, v10
	v_mul_f32_e32 v10, v3, v10
	s_waitcnt vmcnt(8)
	v_mul_f32_e32 v20, v4, v11
	v_mul_f32_e32 v11, v5, v11
	s_waitcnt vmcnt(5)
	v_fma_f32 v2, v2, v14, -v10
	s_waitcnt lgkmcnt(0)
	v_mul_f32_e32 v21, v6, v12
	v_mul_f32_e32 v12, v7, v12
	v_fmac_f32_e32 v1, v3, v14
	s_waitcnt vmcnt(4)
	v_fma_f32 v3, v4, v15, -v11
	v_add_f32_e32 v2, 0, v2
	v_mul_f32_e32 v22, v8, v13
	v_mul_f32_e32 v13, v9, v13
	v_fmac_f32_e32 v20, v5, v15
	s_waitcnt vmcnt(3)
	v_fma_f32 v4, v6, v16, -v12
	v_add_f32_e32 v1, 0, v1
	v_add_f32_e32 v2, v2, v3
	v_fmac_f32_e32 v21, v7, v16
	s_waitcnt vmcnt(2)
	v_fma_f32 v5, v8, v17, -v13
	v_add_f32_e32 v1, v1, v20
	v_add_f32_e32 v2, v2, v4
	v_fmac_f32_e32 v22, v9, v17
	v_add_f32_e32 v1, v1, v21
	v_add_f32_e32 v2, v2, v5
	;; [unrolled: 1-line block ×3, first 2 shown]
	s_waitcnt vmcnt(1)
	v_sub_f32_e32 v2, v18, v2
	s_waitcnt vmcnt(0)
	v_sub_f32_e32 v1, v19, v1
	buffer_store_dword v2, off, s[0:3], 0 offset:440
	buffer_store_dword v1, off, s[0:3], 0 offset:444
	s_and_saveexec_b64 s[4:5], vcc
	s_cbranch_execz .LBB123_265
; %bb.264:
	buffer_load_dword v1, off, s[0:3], 0 offset:432
	buffer_load_dword v2, off, s[0:3], 0 offset:436
	v_mov_b32_e32 v3, 0
	buffer_store_dword v3, off, s[0:3], 0 offset:432
	buffer_store_dword v3, off, s[0:3], 0 offset:436
	s_waitcnt vmcnt(2)
	ds_write_b64 v145, v[1:2]
.LBB123_265:
	s_or_b64 exec, exec, s[4:5]
	s_waitcnt lgkmcnt(0)
	; wave barrier
	buffer_load_dword v12, off, s[0:3], 0 offset:444
	buffer_load_dword v13, off, s[0:3], 0 offset:452
	;; [unrolled: 1-line block ×12, first 2 shown]
	v_mov_b32_e32 v1, 0
	ds_read2_b64 v[2:5], v1 offset0:115 offset1:116
	ds_read2_b64 v[6:9], v1 offset0:117 offset1:118
	ds_read_b64 v[10:11], v1 offset:952
	v_cmp_lt_u32_e32 vcc, 53, v0
	s_waitcnt vmcnt(11) lgkmcnt(2)
	v_mul_f32_e32 v24, v2, v12
	v_mul_f32_e32 v12, v3, v12
	s_waitcnt vmcnt(10)
	v_mul_f32_e32 v27, v4, v13
	v_mul_f32_e32 v13, v5, v13
	s_waitcnt vmcnt(9) lgkmcnt(1)
	v_mul_f32_e32 v28, v6, v14
	s_waitcnt vmcnt(6)
	v_fma_f32 v2, v2, v17, -v12
	v_mul_f32_e32 v14, v7, v14
	v_fmac_f32_e32 v24, v3, v17
	s_waitcnt vmcnt(5)
	v_fma_f32 v3, v4, v18, -v13
	v_add_f32_e32 v2, 0, v2
	v_mul_f32_e32 v29, v8, v15
	v_mul_f32_e32 v15, v9, v15
	v_fmac_f32_e32 v27, v5, v18
	s_waitcnt vmcnt(4)
	v_fmac_f32_e32 v28, v7, v19
	v_fma_f32 v4, v6, v19, -v14
	v_add_f32_e32 v7, 0, v24
	v_add_f32_e32 v2, v2, v3
	s_waitcnt lgkmcnt(0)
	v_mul_f32_e32 v30, v10, v16
	v_mul_f32_e32 v16, v11, v16
	s_waitcnt vmcnt(3)
	v_fma_f32 v5, v8, v20, -v15
	v_add_f32_e32 v7, v7, v27
	v_add_f32_e32 v2, v2, v4
	v_fmac_f32_e32 v29, v9, v20
	s_waitcnt vmcnt(2)
	v_fma_f32 v6, v10, v21, -v16
	v_add_f32_e32 v3, v7, v28
	v_add_f32_e32 v2, v2, v5
	v_fmac_f32_e32 v30, v11, v21
	v_add_f32_e32 v3, v3, v29
	v_add_f32_e32 v2, v2, v6
	;; [unrolled: 1-line block ×3, first 2 shown]
	s_waitcnt vmcnt(1)
	v_sub_f32_e32 v2, v22, v2
	s_waitcnt vmcnt(0)
	v_sub_f32_e32 v3, v23, v3
	buffer_store_dword v2, off, s[0:3], 0 offset:432
	buffer_store_dword v3, off, s[0:3], 0 offset:436
	s_and_saveexec_b64 s[4:5], vcc
	s_cbranch_execz .LBB123_267
; %bb.266:
	buffer_load_dword v2, off, s[0:3], 0 offset:424
	buffer_load_dword v3, off, s[0:3], 0 offset:428
	s_waitcnt vmcnt(0)
	ds_write_b64 v145, v[2:3]
	buffer_store_dword v1, off, s[0:3], 0 offset:424
	buffer_store_dword v1, off, s[0:3], 0 offset:428
.LBB123_267:
	s_or_b64 exec, exec, s[4:5]
	s_waitcnt lgkmcnt(0)
	; wave barrier
	buffer_load_dword v14, off, s[0:3], 0 offset:436
	buffer_load_dword v15, off, s[0:3], 0 offset:444
	;; [unrolled: 1-line block ×14, first 2 shown]
	ds_read_b128 v[2:5], v1 offset:912
	ds_read_b128 v[6:9], v1 offset:928
	ds_read_b128 v[10:13], v1 offset:944
	v_cmp_lt_u32_e32 vcc, 52, v0
	s_waitcnt vmcnt(13) lgkmcnt(2)
	v_mul_f32_e32 v1, v2, v14
	v_mul_f32_e32 v14, v3, v14
	s_waitcnt vmcnt(12)
	v_mul_f32_e32 v30, v4, v15
	v_mul_f32_e32 v15, v5, v15
	s_waitcnt vmcnt(11) lgkmcnt(1)
	v_mul_f32_e32 v31, v6, v16
	v_mul_f32_e32 v16, v7, v16
	s_waitcnt vmcnt(7)
	v_fma_f32 v2, v2, v20, -v14
	v_fmac_f32_e32 v1, v3, v20
	s_waitcnt vmcnt(6)
	v_fma_f32 v3, v4, v21, -v15
	v_add_f32_e32 v2, 0, v2
	v_mul_f32_e32 v32, v8, v17
	v_mul_f32_e32 v17, v9, v17
	v_fmac_f32_e32 v30, v5, v21
	s_waitcnt vmcnt(5)
	v_fma_f32 v4, v6, v22, -v16
	v_add_f32_e32 v1, 0, v1
	v_add_f32_e32 v2, v2, v3
	s_waitcnt lgkmcnt(0)
	v_mul_f32_e32 v33, v10, v18
	v_mul_f32_e32 v18, v11, v18
	v_fmac_f32_e32 v31, v7, v22
	s_waitcnt vmcnt(4)
	v_fma_f32 v5, v8, v23, -v17
	v_add_f32_e32 v1, v1, v30
	v_add_f32_e32 v2, v2, v4
	v_mul_f32_e32 v34, v12, v19
	v_mul_f32_e32 v19, v13, v19
	v_fmac_f32_e32 v32, v9, v23
	s_waitcnt vmcnt(3)
	v_fma_f32 v6, v10, v24, -v18
	v_add_f32_e32 v1, v1, v31
	v_add_f32_e32 v2, v2, v5
	v_fmac_f32_e32 v33, v11, v24
	s_waitcnt vmcnt(2)
	v_fma_f32 v7, v12, v27, -v19
	v_add_f32_e32 v1, v1, v32
	v_add_f32_e32 v2, v2, v6
	v_fmac_f32_e32 v34, v13, v27
	v_add_f32_e32 v1, v1, v33
	v_add_f32_e32 v2, v2, v7
	;; [unrolled: 1-line block ×3, first 2 shown]
	s_waitcnt vmcnt(1)
	v_sub_f32_e32 v2, v28, v2
	s_waitcnt vmcnt(0)
	v_sub_f32_e32 v1, v29, v1
	buffer_store_dword v2, off, s[0:3], 0 offset:424
	buffer_store_dword v1, off, s[0:3], 0 offset:428
	s_and_saveexec_b64 s[4:5], vcc
	s_cbranch_execz .LBB123_269
; %bb.268:
	buffer_load_dword v1, off, s[0:3], 0 offset:416
	buffer_load_dword v2, off, s[0:3], 0 offset:420
	v_mov_b32_e32 v3, 0
	buffer_store_dword v3, off, s[0:3], 0 offset:416
	buffer_store_dword v3, off, s[0:3], 0 offset:420
	s_waitcnt vmcnt(2)
	ds_write_b64 v145, v[1:2]
.LBB123_269:
	s_or_b64 exec, exec, s[4:5]
	s_waitcnt lgkmcnt(0)
	; wave barrier
	buffer_load_dword v16, off, s[0:3], 0 offset:428
	buffer_load_dword v17, off, s[0:3], 0 offset:436
	;; [unrolled: 1-line block ×16, first 2 shown]
	v_mov_b32_e32 v1, 0
	ds_read2_b64 v[2:5], v1 offset0:113 offset1:114
	ds_read2_b64 v[6:9], v1 offset0:115 offset1:116
	;; [unrolled: 1-line block ×3, first 2 shown]
	ds_read_b64 v[14:15], v1 offset:952
	v_cmp_lt_u32_e32 vcc, 51, v0
	s_waitcnt vmcnt(15) lgkmcnt(3)
	v_mul_f32_e32 v34, v2, v16
	v_mul_f32_e32 v16, v3, v16
	s_waitcnt vmcnt(14)
	v_mul_f32_e32 v35, v4, v17
	v_mul_f32_e32 v17, v5, v17
	s_waitcnt vmcnt(13) lgkmcnt(2)
	v_mul_f32_e32 v36, v6, v18
	s_waitcnt vmcnt(12)
	v_mul_f32_e32 v37, v8, v19
	v_mul_f32_e32 v18, v7, v18
	s_waitcnt vmcnt(8)
	v_fma_f32 v2, v2, v23, -v16
	v_fmac_f32_e32 v34, v3, v23
	s_waitcnt vmcnt(7)
	v_fma_f32 v3, v4, v24, -v17
	v_add_f32_e32 v2, 0, v2
	v_mul_f32_e32 v19, v9, v19
	v_fmac_f32_e32 v35, v5, v24
	s_waitcnt vmcnt(5)
	v_fmac_f32_e32 v37, v9, v28
	v_fma_f32 v4, v6, v27, -v18
	v_add_f32_e32 v9, 0, v34
	v_add_f32_e32 v2, v2, v3
	s_waitcnt lgkmcnt(1)
	v_mul_f32_e32 v38, v10, v20
	v_mul_f32_e32 v20, v11, v20
	v_fmac_f32_e32 v36, v7, v27
	v_fma_f32 v5, v8, v28, -v19
	v_add_f32_e32 v9, v9, v35
	v_add_f32_e32 v2, v2, v4
	v_mul_f32_e32 v39, v12, v21
	v_mul_f32_e32 v21, v13, v21
	s_waitcnt vmcnt(4)
	v_fma_f32 v6, v10, v29, -v20
	v_add_f32_e32 v3, v9, v36
	v_add_f32_e32 v2, v2, v5
	s_waitcnt lgkmcnt(0)
	v_mul_f32_e32 v40, v14, v22
	v_mul_f32_e32 v22, v15, v22
	v_fmac_f32_e32 v38, v11, v29
	s_waitcnt vmcnt(3)
	v_fma_f32 v7, v12, v30, -v21
	v_add_f32_e32 v3, v3, v37
	v_add_f32_e32 v2, v2, v6
	v_fmac_f32_e32 v39, v13, v30
	s_waitcnt vmcnt(2)
	v_fma_f32 v8, v14, v31, -v22
	v_add_f32_e32 v3, v3, v38
	v_add_f32_e32 v2, v2, v7
	v_fmac_f32_e32 v40, v15, v31
	v_add_f32_e32 v3, v3, v39
	v_add_f32_e32 v2, v2, v8
	;; [unrolled: 1-line block ×3, first 2 shown]
	s_waitcnt vmcnt(1)
	v_sub_f32_e32 v2, v32, v2
	s_waitcnt vmcnt(0)
	v_sub_f32_e32 v3, v33, v3
	buffer_store_dword v2, off, s[0:3], 0 offset:416
	buffer_store_dword v3, off, s[0:3], 0 offset:420
	s_and_saveexec_b64 s[4:5], vcc
	s_cbranch_execz .LBB123_271
; %bb.270:
	buffer_load_dword v2, off, s[0:3], 0 offset:408
	buffer_load_dword v3, off, s[0:3], 0 offset:412
	s_waitcnt vmcnt(0)
	ds_write_b64 v145, v[2:3]
	buffer_store_dword v1, off, s[0:3], 0 offset:408
	buffer_store_dword v1, off, s[0:3], 0 offset:412
.LBB123_271:
	s_or_b64 exec, exec, s[4:5]
	s_waitcnt lgkmcnt(0)
	; wave barrier
	buffer_load_dword v18, off, s[0:3], 0 offset:420
	buffer_load_dword v19, off, s[0:3], 0 offset:428
	;; [unrolled: 1-line block ×18, first 2 shown]
	ds_read_b128 v[2:5], v1 offset:896
	ds_read_b128 v[6:9], v1 offset:912
	;; [unrolled: 1-line block ×4, first 2 shown]
	v_cmp_lt_u32_e32 vcc, 50, v0
	s_waitcnt vmcnt(17) lgkmcnt(3)
	v_mul_f32_e32 v1, v2, v18
	v_mul_f32_e32 v18, v3, v18
	s_waitcnt vmcnt(16)
	v_mul_f32_e32 v38, v4, v19
	v_mul_f32_e32 v19, v5, v19
	s_waitcnt vmcnt(15) lgkmcnt(2)
	v_mul_f32_e32 v39, v6, v20
	v_mul_f32_e32 v20, v7, v20
	s_waitcnt vmcnt(14)
	v_mul_f32_e32 v40, v8, v21
	v_mul_f32_e32 v21, v9, v21
	s_waitcnt vmcnt(9)
	v_fma_f32 v2, v2, v28, -v18
	v_fmac_f32_e32 v1, v3, v28
	s_waitcnt vmcnt(8)
	v_fma_f32 v3, v4, v29, -v19
	v_add_f32_e32 v2, 0, v2
	v_fmac_f32_e32 v38, v5, v29
	s_waitcnt vmcnt(7)
	v_fma_f32 v4, v6, v30, -v20
	v_add_f32_e32 v1, 0, v1
	v_add_f32_e32 v2, v2, v3
	s_waitcnt lgkmcnt(1)
	v_mul_f32_e32 v41, v10, v22
	v_mul_f32_e32 v22, v11, v22
	v_fmac_f32_e32 v39, v7, v30
	s_waitcnt vmcnt(6)
	v_fma_f32 v5, v8, v31, -v21
	v_add_f32_e32 v1, v1, v38
	v_add_f32_e32 v2, v2, v4
	v_mul_f32_e32 v42, v12, v23
	v_mul_f32_e32 v23, v13, v23
	v_fmac_f32_e32 v40, v9, v31
	s_waitcnt vmcnt(5)
	v_fma_f32 v6, v10, v32, -v22
	v_add_f32_e32 v1, v1, v39
	v_add_f32_e32 v2, v2, v5
	s_waitcnt lgkmcnt(0)
	v_mul_f32_e32 v43, v14, v24
	v_mul_f32_e32 v24, v15, v24
	v_fmac_f32_e32 v41, v11, v32
	s_waitcnt vmcnt(4)
	v_fma_f32 v7, v12, v33, -v23
	v_add_f32_e32 v1, v1, v40
	v_add_f32_e32 v2, v2, v6
	v_mul_f32_e32 v44, v16, v27
	v_mul_f32_e32 v27, v17, v27
	v_fmac_f32_e32 v42, v13, v33
	s_waitcnt vmcnt(3)
	v_fma_f32 v8, v14, v34, -v24
	v_add_f32_e32 v1, v1, v41
	v_add_f32_e32 v2, v2, v7
	v_fmac_f32_e32 v43, v15, v34
	s_waitcnt vmcnt(2)
	v_fma_f32 v9, v16, v35, -v27
	v_add_f32_e32 v1, v1, v42
	v_add_f32_e32 v2, v2, v8
	v_fmac_f32_e32 v44, v17, v35
	v_add_f32_e32 v1, v1, v43
	v_add_f32_e32 v2, v2, v9
	v_add_f32_e32 v1, v1, v44
	s_waitcnt vmcnt(1)
	v_sub_f32_e32 v2, v36, v2
	s_waitcnt vmcnt(0)
	v_sub_f32_e32 v1, v37, v1
	buffer_store_dword v2, off, s[0:3], 0 offset:408
	buffer_store_dword v1, off, s[0:3], 0 offset:412
	s_and_saveexec_b64 s[4:5], vcc
	s_cbranch_execz .LBB123_273
; %bb.272:
	buffer_load_dword v1, off, s[0:3], 0 offset:400
	buffer_load_dword v2, off, s[0:3], 0 offset:404
	v_mov_b32_e32 v3, 0
	buffer_store_dword v3, off, s[0:3], 0 offset:400
	buffer_store_dword v3, off, s[0:3], 0 offset:404
	s_waitcnt vmcnt(2)
	ds_write_b64 v145, v[1:2]
.LBB123_273:
	s_or_b64 exec, exec, s[4:5]
	s_waitcnt lgkmcnt(0)
	; wave barrier
	buffer_load_dword v20, off, s[0:3], 0 offset:412
	buffer_load_dword v21, off, s[0:3], 0 offset:420
	;; [unrolled: 1-line block ×20, first 2 shown]
	v_mov_b32_e32 v1, 0
	ds_read2_b64 v[2:5], v1 offset0:111 offset1:112
	ds_read2_b64 v[6:9], v1 offset0:113 offset1:114
	;; [unrolled: 1-line block ×4, first 2 shown]
	ds_read_b64 v[18:19], v1 offset:952
	v_cmp_lt_u32_e32 vcc, 49, v0
	s_waitcnt vmcnt(19) lgkmcnt(4)
	v_mul_f32_e32 v42, v2, v20
	v_mul_f32_e32 v20, v3, v20
	s_waitcnt vmcnt(18)
	v_mul_f32_e32 v43, v4, v21
	v_mul_f32_e32 v21, v5, v21
	s_waitcnt vmcnt(17) lgkmcnt(3)
	v_mul_f32_e32 v44, v6, v22
	s_waitcnt vmcnt(15) lgkmcnt(2)
	v_mul_f32_e32 v46, v10, v24
	v_mul_f32_e32 v22, v7, v22
	;; [unrolled: 1-line block ×4, first 2 shown]
	s_waitcnt vmcnt(10)
	v_fma_f32 v2, v2, v31, -v20
	v_fmac_f32_e32 v42, v3, v31
	s_waitcnt vmcnt(9)
	v_fma_f32 v3, v4, v32, -v21
	v_add_f32_e32 v2, 0, v2
	v_mul_f32_e32 v24, v11, v24
	v_fmac_f32_e32 v43, v5, v32
	s_waitcnt vmcnt(6)
	v_fmac_f32_e32 v46, v11, v35
	v_fma_f32 v4, v6, v33, -v22
	v_add_f32_e32 v11, 0, v42
	v_add_f32_e32 v2, v2, v3
	v_fmac_f32_e32 v44, v7, v33
	v_fma_f32 v5, v8, v34, -v23
	v_add_f32_e32 v11, v11, v43
	v_add_f32_e32 v2, v2, v4
	v_mul_f32_e32 v47, v12, v27
	v_mul_f32_e32 v27, v13, v27
	v_fmac_f32_e32 v45, v9, v34
	v_fma_f32 v6, v10, v35, -v24
	v_add_f32_e32 v3, v11, v44
	v_add_f32_e32 v2, v2, v5
	s_waitcnt lgkmcnt(1)
	v_mul_f32_e32 v48, v14, v28
	v_mul_f32_e32 v28, v15, v28
	s_waitcnt vmcnt(5)
	v_fma_f32 v7, v12, v36, -v27
	v_add_f32_e32 v3, v3, v45
	v_add_f32_e32 v2, v2, v6
	v_mul_f32_e32 v49, v16, v29
	v_mul_f32_e32 v29, v17, v29
	v_fmac_f32_e32 v47, v13, v36
	s_waitcnt vmcnt(4)
	v_fma_f32 v8, v14, v37, -v28
	v_add_f32_e32 v3, v3, v46
	v_add_f32_e32 v2, v2, v7
	s_waitcnt lgkmcnt(0)
	v_mul_f32_e32 v50, v18, v30
	v_mul_f32_e32 v30, v19, v30
	v_fmac_f32_e32 v48, v15, v37
	s_waitcnt vmcnt(3)
	v_fma_f32 v9, v16, v38, -v29
	v_add_f32_e32 v3, v3, v47
	v_add_f32_e32 v2, v2, v8
	v_fmac_f32_e32 v49, v17, v38
	s_waitcnt vmcnt(2)
	v_fma_f32 v10, v18, v39, -v30
	v_add_f32_e32 v3, v3, v48
	v_add_f32_e32 v2, v2, v9
	v_fmac_f32_e32 v50, v19, v39
	v_add_f32_e32 v3, v3, v49
	v_add_f32_e32 v2, v2, v10
	;; [unrolled: 1-line block ×3, first 2 shown]
	s_waitcnt vmcnt(1)
	v_sub_f32_e32 v2, v40, v2
	s_waitcnt vmcnt(0)
	v_sub_f32_e32 v3, v41, v3
	buffer_store_dword v2, off, s[0:3], 0 offset:400
	buffer_store_dword v3, off, s[0:3], 0 offset:404
	s_and_saveexec_b64 s[4:5], vcc
	s_cbranch_execz .LBB123_275
; %bb.274:
	buffer_load_dword v2, off, s[0:3], 0 offset:392
	buffer_load_dword v3, off, s[0:3], 0 offset:396
	s_waitcnt vmcnt(0)
	ds_write_b64 v145, v[2:3]
	buffer_store_dword v1, off, s[0:3], 0 offset:392
	buffer_store_dword v1, off, s[0:3], 0 offset:396
.LBB123_275:
	s_or_b64 exec, exec, s[4:5]
	s_waitcnt lgkmcnt(0)
	; wave barrier
	buffer_load_dword v22, off, s[0:3], 0 offset:404
	buffer_load_dword v23, off, s[0:3], 0 offset:412
	;; [unrolled: 1-line block ×22, first 2 shown]
	ds_read_b128 v[2:5], v1 offset:880
	ds_read_b128 v[6:9], v1 offset:896
	;; [unrolled: 1-line block ×5, first 2 shown]
	v_cmp_lt_u32_e32 vcc, 48, v0
	s_waitcnt vmcnt(21) lgkmcnt(4)
	v_mul_f32_e32 v1, v2, v22
	v_mul_f32_e32 v22, v3, v22
	s_waitcnt vmcnt(20)
	v_mul_f32_e32 v46, v4, v23
	v_mul_f32_e32 v23, v5, v23
	s_waitcnt vmcnt(19) lgkmcnt(3)
	v_mul_f32_e32 v47, v6, v24
	v_mul_f32_e32 v24, v7, v24
	s_waitcnt vmcnt(18)
	v_mul_f32_e32 v48, v8, v27
	v_mul_f32_e32 v27, v9, v27
	s_waitcnt vmcnt(17) lgkmcnt(2)
	v_mul_f32_e32 v49, v10, v28
	v_mul_f32_e32 v28, v11, v28
	s_waitcnt vmcnt(11)
	v_fma_f32 v2, v2, v34, -v22
	v_fmac_f32_e32 v1, v3, v34
	s_waitcnt vmcnt(10)
	v_fma_f32 v3, v4, v35, -v23
	v_add_f32_e32 v2, 0, v2
	v_fmac_f32_e32 v46, v5, v35
	s_waitcnt vmcnt(9)
	v_fma_f32 v4, v6, v36, -v24
	v_add_f32_e32 v1, 0, v1
	v_add_f32_e32 v2, v2, v3
	v_fmac_f32_e32 v47, v7, v36
	s_waitcnt vmcnt(8)
	v_fma_f32 v5, v8, v37, -v27
	v_add_f32_e32 v1, v1, v46
	v_add_f32_e32 v2, v2, v4
	v_mul_f32_e32 v50, v12, v29
	v_mul_f32_e32 v29, v13, v29
	v_fmac_f32_e32 v48, v9, v37
	s_waitcnt vmcnt(7)
	v_fma_f32 v6, v10, v38, -v28
	v_add_f32_e32 v1, v1, v47
	v_add_f32_e32 v2, v2, v5
	s_waitcnt lgkmcnt(1)
	v_mul_f32_e32 v51, v14, v30
	v_mul_f32_e32 v30, v15, v30
	v_fmac_f32_e32 v49, v11, v38
	s_waitcnt vmcnt(6)
	v_fma_f32 v7, v12, v39, -v29
	v_add_f32_e32 v1, v1, v48
	v_add_f32_e32 v2, v2, v6
	v_mul_f32_e32 v52, v16, v31
	v_mul_f32_e32 v31, v17, v31
	v_fmac_f32_e32 v50, v13, v39
	s_waitcnt vmcnt(5)
	v_fma_f32 v8, v14, v40, -v30
	v_add_f32_e32 v1, v1, v49
	v_add_f32_e32 v2, v2, v7
	s_waitcnt lgkmcnt(0)
	v_mul_f32_e32 v53, v18, v32
	v_mul_f32_e32 v32, v19, v32
	v_fmac_f32_e32 v51, v15, v40
	s_waitcnt vmcnt(4)
	v_fma_f32 v9, v16, v41, -v31
	v_add_f32_e32 v1, v1, v50
	v_add_f32_e32 v2, v2, v8
	v_mul_f32_e32 v54, v20, v33
	v_mul_f32_e32 v33, v21, v33
	v_fmac_f32_e32 v52, v17, v41
	s_waitcnt vmcnt(3)
	v_fma_f32 v10, v18, v42, -v32
	v_add_f32_e32 v1, v1, v51
	v_add_f32_e32 v2, v2, v9
	v_fmac_f32_e32 v53, v19, v42
	s_waitcnt vmcnt(2)
	v_fma_f32 v11, v20, v43, -v33
	v_add_f32_e32 v1, v1, v52
	v_add_f32_e32 v2, v2, v10
	v_fmac_f32_e32 v54, v21, v43
	v_add_f32_e32 v1, v1, v53
	v_add_f32_e32 v2, v2, v11
	;; [unrolled: 1-line block ×3, first 2 shown]
	s_waitcnt vmcnt(1)
	v_sub_f32_e32 v2, v44, v2
	s_waitcnt vmcnt(0)
	v_sub_f32_e32 v1, v45, v1
	buffer_store_dword v2, off, s[0:3], 0 offset:392
	buffer_store_dword v1, off, s[0:3], 0 offset:396
	s_and_saveexec_b64 s[4:5], vcc
	s_cbranch_execz .LBB123_277
; %bb.276:
	buffer_load_dword v1, off, s[0:3], 0 offset:384
	buffer_load_dword v2, off, s[0:3], 0 offset:388
	v_mov_b32_e32 v3, 0
	buffer_store_dword v3, off, s[0:3], 0 offset:384
	buffer_store_dword v3, off, s[0:3], 0 offset:388
	s_waitcnt vmcnt(2)
	ds_write_b64 v145, v[1:2]
.LBB123_277:
	s_or_b64 exec, exec, s[4:5]
	s_waitcnt lgkmcnt(0)
	; wave barrier
	buffer_load_dword v24, off, s[0:3], 0 offset:396
	buffer_load_dword v27, off, s[0:3], 0 offset:404
	;; [unrolled: 1-line block ×24, first 2 shown]
	v_mov_b32_e32 v1, 0
	ds_read2_b64 v[2:5], v1 offset0:109 offset1:110
	ds_read2_b64 v[6:9], v1 offset0:111 offset1:112
	;; [unrolled: 1-line block ×5, first 2 shown]
	ds_read_b64 v[22:23], v1 offset:952
	v_cmp_lt_u32_e32 vcc, 47, v0
	s_waitcnt vmcnt(23) lgkmcnt(5)
	v_mul_f32_e32 v50, v2, v24
	v_mul_f32_e32 v24, v3, v24
	s_waitcnt vmcnt(22)
	v_mul_f32_e32 v51, v4, v27
	v_mul_f32_e32 v27, v5, v27
	s_waitcnt vmcnt(21) lgkmcnt(4)
	v_mul_f32_e32 v52, v6, v28
	v_mul_f32_e32 v28, v7, v28
	s_waitcnt vmcnt(20)
	v_mul_f32_e32 v53, v8, v29
	s_waitcnt vmcnt(19) lgkmcnt(3)
	v_mul_f32_e32 v54, v10, v30
	v_mul_f32_e32 v29, v9, v29
	;; [unrolled: 1-line block ×3, first 2 shown]
	s_waitcnt vmcnt(18)
	v_mul_f32_e32 v55, v12, v31
	s_waitcnt vmcnt(12)
	v_fma_f32 v2, v2, v37, -v24
	v_fmac_f32_e32 v50, v3, v37
	s_waitcnt vmcnt(11)
	v_fma_f32 v3, v4, v38, -v27
	v_add_f32_e32 v2, 0, v2
	s_waitcnt vmcnt(10)
	v_fma_f32 v4, v6, v39, -v28
	v_add_f32_e32 v2, v2, v3
	v_fmac_f32_e32 v51, v5, v38
	s_waitcnt vmcnt(8)
	v_fmac_f32_e32 v54, v11, v41
	v_fma_f32 v5, v8, v40, -v29
	v_add_f32_e32 v11, 0, v50
	v_add_f32_e32 v2, v2, v4
	v_mul_f32_e32 v31, v13, v31
	v_fmac_f32_e32 v52, v7, v39
	v_fma_f32 v6, v10, v41, -v30
	v_add_f32_e32 v11, v11, v51
	v_add_f32_e32 v2, v2, v5
	s_waitcnt lgkmcnt(2)
	v_mul_f32_e32 v56, v14, v32
	v_mul_f32_e32 v32, v15, v32
	v_fmac_f32_e32 v53, v9, v40
	s_waitcnt vmcnt(7)
	v_fma_f32 v7, v12, v42, -v31
	v_add_f32_e32 v3, v11, v52
	v_add_f32_e32 v2, v2, v6
	v_mul_f32_e32 v57, v16, v33
	v_mul_f32_e32 v33, v17, v33
	s_waitcnt vmcnt(6)
	v_fma_f32 v8, v14, v43, -v32
	v_add_f32_e32 v3, v3, v53
	v_add_f32_e32 v2, v2, v7
	s_waitcnt lgkmcnt(1)
	v_mul_f32_e32 v58, v18, v34
	v_mul_f32_e32 v34, v19, v34
	v_fmac_f32_e32 v55, v13, v42
	s_waitcnt vmcnt(5)
	v_fma_f32 v9, v16, v44, -v33
	v_add_f32_e32 v3, v3, v54
	v_add_f32_e32 v2, v2, v8
	v_fmac_f32_e32 v56, v15, v43
	s_waitcnt vmcnt(4)
	v_fma_f32 v10, v18, v45, -v34
	v_add_f32_e32 v3, v3, v55
	v_add_f32_e32 v2, v2, v9
	v_mul_f32_e32 v4, v21, v35
	v_fmac_f32_e32 v57, v17, v44
	v_add_f32_e32 v3, v3, v56
	v_add_f32_e32 v2, v2, v10
	s_waitcnt vmcnt(3)
	v_fma_f32 v4, v20, v46, -v4
	v_mul_f32_e32 v59, v20, v35
	v_fmac_f32_e32 v58, v19, v45
	v_add_f32_e32 v3, v3, v57
	v_add_f32_e32 v2, v2, v4
	s_waitcnt lgkmcnt(0)
	v_mul_f32_e32 v4, v23, v36
	v_mul_f32_e32 v60, v22, v36
	v_fmac_f32_e32 v59, v21, v46
	v_add_f32_e32 v3, v3, v58
	s_waitcnt vmcnt(2)
	v_fma_f32 v4, v22, v47, -v4
	v_fmac_f32_e32 v60, v23, v47
	v_add_f32_e32 v3, v3, v59
	v_add_f32_e32 v2, v2, v4
	;; [unrolled: 1-line block ×3, first 2 shown]
	s_waitcnt vmcnt(1)
	v_sub_f32_e32 v2, v48, v2
	s_waitcnt vmcnt(0)
	v_sub_f32_e32 v3, v49, v3
	buffer_store_dword v2, off, s[0:3], 0 offset:384
	buffer_store_dword v3, off, s[0:3], 0 offset:388
	s_and_saveexec_b64 s[4:5], vcc
	s_cbranch_execz .LBB123_279
; %bb.278:
	buffer_load_dword v2, off, s[0:3], 0 offset:376
	buffer_load_dword v3, off, s[0:3], 0 offset:380
	s_waitcnt vmcnt(0)
	ds_write_b64 v145, v[2:3]
	buffer_store_dword v1, off, s[0:3], 0 offset:376
	buffer_store_dword v1, off, s[0:3], 0 offset:380
.LBB123_279:
	s_or_b64 exec, exec, s[4:5]
	s_waitcnt lgkmcnt(0)
	; wave barrier
	buffer_load_dword v22, off, s[0:3], 0 offset:388
	buffer_load_dword v23, off, s[0:3], 0 offset:396
	;; [unrolled: 1-line block ×26, first 2 shown]
	ds_read_b128 v[2:5], v1 offset:864
	ds_read_b128 v[6:9], v1 offset:880
	;; [unrolled: 1-line block ×6, first 2 shown]
	v_cmp_lt_u32_e32 vcc, 46, v0
	s_waitcnt vmcnt(25) lgkmcnt(5)
	v_mul_f32_e32 v1, v2, v22
	v_mul_f32_e32 v22, v3, v22
	s_waitcnt vmcnt(24)
	v_mul_f32_e32 v50, v4, v23
	v_mul_f32_e32 v23, v5, v23
	s_waitcnt vmcnt(23) lgkmcnt(4)
	v_mul_f32_e32 v51, v6, v24
	v_mul_f32_e32 v24, v7, v24
	s_waitcnt vmcnt(22)
	v_mul_f32_e32 v52, v8, v27
	v_mul_f32_e32 v27, v9, v27
	;; [unrolled: 6-line block ×3, first 2 shown]
	s_waitcnt vmcnt(13)
	v_fma_f32 v2, v2, v36, -v22
	v_fmac_f32_e32 v1, v3, v36
	s_waitcnt vmcnt(12)
	v_fma_f32 v3, v4, v37, -v23
	v_add_f32_e32 v2, 0, v2
	s_waitcnt vmcnt(11)
	v_fma_f32 v4, v6, v38, -v24
	v_add_f32_e32 v2, v2, v3
	v_fmac_f32_e32 v50, v5, v37
	s_waitcnt vmcnt(10)
	v_fma_f32 v5, v8, v39, -v27
	v_add_f32_e32 v2, v2, v4
	s_waitcnt vmcnt(9)
	v_fma_f32 v6, v10, v40, -v28
	v_add_f32_e32 v2, v2, v5
	s_waitcnt lgkmcnt(2)
	v_mul_f32_e32 v55, v14, v30
	v_mul_f32_e32 v30, v15, v30
	v_fmac_f32_e32 v51, v7, v38
	s_waitcnt vmcnt(8)
	v_fma_f32 v7, v12, v41, -v29
	v_add_f32_e32 v1, 0, v1
	v_add_f32_e32 v2, v2, v6
	v_mul_f32_e32 v56, v16, v31
	v_mul_f32_e32 v31, v17, v31
	s_waitcnt vmcnt(7)
	v_fma_f32 v8, v14, v42, -v30
	v_add_f32_e32 v1, v1, v50
	v_add_f32_e32 v2, v2, v7
	v_fmac_f32_e32 v52, v9, v39
	s_waitcnt vmcnt(6)
	v_fma_f32 v9, v16, v43, -v31
	v_add_f32_e32 v1, v1, v51
	v_add_f32_e32 v2, v2, v8
	s_waitcnt lgkmcnt(1)
	v_mul_f32_e32 v3, v19, v32
	v_fmac_f32_e32 v53, v11, v40
	v_add_f32_e32 v1, v1, v52
	v_add_f32_e32 v2, v2, v9
	s_waitcnt vmcnt(5)
	v_fma_f32 v3, v18, v44, -v3
	v_fmac_f32_e32 v54, v13, v41
	v_add_f32_e32 v1, v1, v53
	v_add_f32_e32 v2, v2, v3
	v_mul_f32_e32 v3, v21, v33
	v_fmac_f32_e32 v55, v15, v42
	v_add_f32_e32 v1, v1, v54
	s_waitcnt vmcnt(4)
	v_fma_f32 v3, v20, v45, -v3
	v_mul_f32_e32 v57, v18, v32
	v_fmac_f32_e32 v56, v17, v43
	v_add_f32_e32 v1, v1, v55
	v_add_f32_e32 v2, v2, v3
	s_waitcnt lgkmcnt(0)
	v_mul_f32_e32 v3, v147, v34
	v_mul_f32_e32 v58, v20, v33
	v_fmac_f32_e32 v57, v19, v44
	v_add_f32_e32 v1, v1, v56
	s_waitcnt vmcnt(3)
	v_fma_f32 v3, v146, v46, -v3
	v_mul_f32_e32 v59, v146, v34
	v_fmac_f32_e32 v58, v21, v45
	v_add_f32_e32 v1, v1, v57
	v_add_f32_e32 v2, v2, v3
	v_mul_f32_e32 v3, v149, v35
	v_mul_f32_e32 v60, v148, v35
	v_fmac_f32_e32 v59, v147, v46
	v_add_f32_e32 v1, v1, v58
	s_waitcnt vmcnt(2)
	v_fma_f32 v3, v148, v47, -v3
	v_fmac_f32_e32 v60, v149, v47
	v_add_f32_e32 v1, v1, v59
	v_add_f32_e32 v2, v2, v3
	;; [unrolled: 1-line block ×3, first 2 shown]
	s_waitcnt vmcnt(1)
	v_sub_f32_e32 v2, v48, v2
	s_waitcnt vmcnt(0)
	v_sub_f32_e32 v1, v49, v1
	buffer_store_dword v2, off, s[0:3], 0 offset:376
	buffer_store_dword v1, off, s[0:3], 0 offset:380
	s_and_saveexec_b64 s[4:5], vcc
	s_cbranch_execz .LBB123_281
; %bb.280:
	buffer_load_dword v1, off, s[0:3], 0 offset:368
	buffer_load_dword v2, off, s[0:3], 0 offset:372
	v_mov_b32_e32 v3, 0
	buffer_store_dword v3, off, s[0:3], 0 offset:368
	buffer_store_dword v3, off, s[0:3], 0 offset:372
	s_waitcnt vmcnt(2)
	ds_write_b64 v145, v[1:2]
.LBB123_281:
	s_or_b64 exec, exec, s[4:5]
	s_waitcnt lgkmcnt(0)
	; wave barrier
	buffer_load_dword v24, off, s[0:3], 0 offset:380
	buffer_load_dword v27, off, s[0:3], 0 offset:388
	buffer_load_dword v28, off, s[0:3], 0 offset:396
	buffer_load_dword v29, off, s[0:3], 0 offset:404
	buffer_load_dword v30, off, s[0:3], 0 offset:412
	buffer_load_dword v31, off, s[0:3], 0 offset:420
	buffer_load_dword v32, off, s[0:3], 0 offset:428
	buffer_load_dword v33, off, s[0:3], 0 offset:436
	buffer_load_dword v34, off, s[0:3], 0 offset:444
	buffer_load_dword v35, off, s[0:3], 0 offset:452
	buffer_load_dword v36, off, s[0:3], 0 offset:460
	buffer_load_dword v37, off, s[0:3], 0 offset:468
	buffer_load_dword v38, off, s[0:3], 0 offset:476
	buffer_load_dword v39, off, s[0:3], 0 offset:376
	buffer_load_dword v40, off, s[0:3], 0 offset:384
	buffer_load_dword v41, off, s[0:3], 0 offset:392
	buffer_load_dword v42, off, s[0:3], 0 offset:400
	buffer_load_dword v43, off, s[0:3], 0 offset:408
	buffer_load_dword v44, off, s[0:3], 0 offset:416
	buffer_load_dword v45, off, s[0:3], 0 offset:424
	buffer_load_dword v46, off, s[0:3], 0 offset:432
	buffer_load_dword v47, off, s[0:3], 0 offset:440
	buffer_load_dword v48, off, s[0:3], 0 offset:448
	buffer_load_dword v49, off, s[0:3], 0 offset:456
	buffer_load_dword v50, off, s[0:3], 0 offset:464
	buffer_load_dword v51, off, s[0:3], 0 offset:472
	buffer_load_dword v52, off, s[0:3], 0 offset:368
	buffer_load_dword v53, off, s[0:3], 0 offset:372
	v_mov_b32_e32 v1, 0
	ds_read2_b64 v[2:5], v1 offset0:107 offset1:108
	ds_read2_b64 v[6:9], v1 offset0:109 offset1:110
	;; [unrolled: 1-line block ×6, first 2 shown]
	ds_read_b64 v[22:23], v1 offset:952
	v_cmp_lt_u32_e32 vcc, 45, v0
	s_waitcnt vmcnt(27) lgkmcnt(6)
	v_mul_f32_e32 v54, v2, v24
	v_mul_f32_e32 v24, v3, v24
	s_waitcnt vmcnt(26)
	v_mul_f32_e32 v55, v4, v27
	v_mul_f32_e32 v27, v5, v27
	s_waitcnt vmcnt(25) lgkmcnt(5)
	v_mul_f32_e32 v56, v6, v28
	v_mul_f32_e32 v28, v7, v28
	s_waitcnt vmcnt(24)
	v_mul_f32_e32 v57, v8, v29
	v_mul_f32_e32 v29, v9, v29
	;; [unrolled: 6-line block ×3, first 2 shown]
	s_waitcnt vmcnt(21) lgkmcnt(3)
	v_mul_f32_e32 v60, v14, v32
	s_waitcnt vmcnt(14)
	v_fma_f32 v2, v2, v39, -v24
	v_fmac_f32_e32 v54, v3, v39
	s_waitcnt vmcnt(13)
	v_fma_f32 v3, v4, v40, -v27
	v_add_f32_e32 v2, 0, v2
	s_waitcnt vmcnt(12)
	v_fma_f32 v4, v6, v41, -v28
	v_add_f32_e32 v2, v2, v3
	v_fmac_f32_e32 v55, v5, v40
	s_waitcnt vmcnt(11)
	v_fma_f32 v5, v8, v42, -v29
	v_add_f32_e32 v2, v2, v4
	s_waitcnt vmcnt(10)
	v_fma_f32 v6, v10, v43, -v30
	v_add_f32_e32 v2, v2, v5
	v_fmac_f32_e32 v56, v7, v41
	s_waitcnt vmcnt(9)
	v_fma_f32 v7, v12, v44, -v31
	v_add_f32_e32 v2, v2, v6
	v_mul_f32_e32 v4, v15, v32
	v_add_f32_e32 v2, v2, v7
	s_waitcnt vmcnt(8)
	v_fma_f32 v4, v14, v45, -v4
	v_add_f32_e32 v2, v2, v4
	v_mul_f32_e32 v4, v17, v33
	v_add_f32_e32 v8, 0, v54
	s_waitcnt vmcnt(7)
	v_fma_f32 v4, v16, v46, -v4
	v_add_f32_e32 v8, v8, v55
	v_add_f32_e32 v2, v2, v4
	s_waitcnt lgkmcnt(2)
	v_mul_f32_e32 v4, v19, v34
	v_fmac_f32_e32 v57, v9, v42
	v_add_f32_e32 v3, v8, v56
	s_waitcnt vmcnt(6)
	v_fma_f32 v4, v18, v47, -v4
	v_fmac_f32_e32 v58, v11, v43
	v_add_f32_e32 v3, v3, v57
	v_add_f32_e32 v2, v2, v4
	v_mul_f32_e32 v4, v21, v35
	v_fmac_f32_e32 v59, v13, v44
	v_add_f32_e32 v3, v3, v58
	s_waitcnt vmcnt(5)
	v_fma_f32 v4, v20, v48, -v4
	v_mul_f32_e32 v61, v16, v33
	v_fmac_f32_e32 v60, v15, v45
	v_add_f32_e32 v3, v3, v59
	v_add_f32_e32 v2, v2, v4
	s_waitcnt lgkmcnt(1)
	v_mul_f32_e32 v4, v147, v36
	v_mul_f32_e32 v62, v18, v34
	v_fmac_f32_e32 v61, v17, v46
	v_add_f32_e32 v3, v3, v60
	s_waitcnt vmcnt(4)
	v_fma_f32 v4, v146, v49, -v4
	v_mul_f32_e32 v63, v20, v35
	v_fmac_f32_e32 v62, v19, v47
	v_add_f32_e32 v3, v3, v61
	v_add_f32_e32 v2, v2, v4
	v_mul_f32_e32 v4, v149, v37
	v_mul_f32_e32 v64, v146, v36
	v_fmac_f32_e32 v63, v21, v48
	v_add_f32_e32 v3, v3, v62
	s_waitcnt vmcnt(3)
	v_fma_f32 v4, v148, v50, -v4
	v_mul_f32_e32 v65, v148, v37
	v_fmac_f32_e32 v64, v147, v49
	v_add_f32_e32 v3, v3, v63
	v_add_f32_e32 v2, v2, v4
	s_waitcnt lgkmcnt(0)
	v_mul_f32_e32 v4, v23, v38
	v_mul_f32_e32 v66, v22, v38
	v_fmac_f32_e32 v65, v149, v50
	v_add_f32_e32 v3, v3, v64
	s_waitcnt vmcnt(2)
	v_fma_f32 v4, v22, v51, -v4
	v_fmac_f32_e32 v66, v23, v51
	v_add_f32_e32 v3, v3, v65
	v_add_f32_e32 v2, v2, v4
	v_add_f32_e32 v3, v3, v66
	s_waitcnt vmcnt(1)
	v_sub_f32_e32 v2, v52, v2
	s_waitcnt vmcnt(0)
	v_sub_f32_e32 v3, v53, v3
	buffer_store_dword v2, off, s[0:3], 0 offset:368
	buffer_store_dword v3, off, s[0:3], 0 offset:372
	s_and_saveexec_b64 s[4:5], vcc
	s_cbranch_execz .LBB123_283
; %bb.282:
	buffer_load_dword v2, off, s[0:3], 0 offset:360
	buffer_load_dword v3, off, s[0:3], 0 offset:364
	s_waitcnt vmcnt(0)
	ds_write_b64 v145, v[2:3]
	buffer_store_dword v1, off, s[0:3], 0 offset:360
	buffer_store_dword v1, off, s[0:3], 0 offset:364
.LBB123_283:
	s_or_b64 exec, exec, s[4:5]
	s_waitcnt lgkmcnt(0)
	; wave barrier
	buffer_load_dword v22, off, s[0:3], 0 offset:372
	buffer_load_dword v23, off, s[0:3], 0 offset:380
	;; [unrolled: 1-line block ×30, first 2 shown]
	ds_read_b128 v[2:5], v1 offset:848
	ds_read_b128 v[6:9], v1 offset:864
	;; [unrolled: 1-line block ×7, first 2 shown]
	v_cmp_lt_u32_e32 vcc, 44, v0
	s_waitcnt vmcnt(29) lgkmcnt(6)
	v_mul_f32_e32 v1, v2, v22
	v_mul_f32_e32 v22, v3, v22
	s_waitcnt vmcnt(28)
	v_mul_f32_e32 v54, v4, v23
	v_mul_f32_e32 v23, v5, v23
	s_waitcnt vmcnt(27) lgkmcnt(5)
	v_mul_f32_e32 v55, v6, v24
	v_mul_f32_e32 v24, v7, v24
	s_waitcnt vmcnt(26)
	v_mul_f32_e32 v56, v8, v27
	v_mul_f32_e32 v27, v9, v27
	s_waitcnt vmcnt(25) lgkmcnt(4)
	v_mul_f32_e32 v57, v10, v28
	v_mul_f32_e32 v28, v11, v28
	s_waitcnt vmcnt(24)
	v_mul_f32_e32 v58, v12, v29
	s_waitcnt vmcnt(23) lgkmcnt(3)
	v_mul_f32_e32 v59, v14, v30
	s_waitcnt vmcnt(22)
	v_mul_f32_e32 v60, v16, v31
	s_waitcnt vmcnt(21) lgkmcnt(2)
	v_mul_f32_e32 v61, v18, v32
	s_waitcnt vmcnt(15)
	v_fma_f32 v2, v2, v38, -v22
	v_fmac_f32_e32 v1, v3, v38
	s_waitcnt vmcnt(14)
	v_fma_f32 v3, v4, v39, -v23
	v_add_f32_e32 v2, 0, v2
	s_waitcnt vmcnt(13)
	v_fma_f32 v4, v6, v40, -v24
	v_add_f32_e32 v2, v2, v3
	v_fmac_f32_e32 v54, v5, v39
	s_waitcnt vmcnt(12)
	v_fma_f32 v5, v8, v41, -v27
	v_add_f32_e32 v2, v2, v4
	s_waitcnt vmcnt(11)
	v_fma_f32 v6, v10, v42, -v28
	v_add_f32_e32 v2, v2, v5
	v_mul_f32_e32 v3, v13, v29
	v_add_f32_e32 v2, v2, v6
	s_waitcnt vmcnt(10)
	v_fma_f32 v3, v12, v43, -v3
	v_add_f32_e32 v2, v2, v3
	v_mul_f32_e32 v3, v15, v30
	s_waitcnt vmcnt(9)
	v_fma_f32 v3, v14, v44, -v3
	v_add_f32_e32 v2, v2, v3
	v_mul_f32_e32 v3, v17, v31
	s_waitcnt vmcnt(8)
	v_fma_f32 v3, v16, v45, -v3
	v_add_f32_e32 v1, 0, v1
	v_add_f32_e32 v2, v2, v3
	v_mul_f32_e32 v3, v19, v32
	v_fmac_f32_e32 v55, v7, v40
	v_add_f32_e32 v1, v1, v54
	s_waitcnt vmcnt(7)
	v_fma_f32 v3, v18, v46, -v3
	v_fmac_f32_e32 v56, v9, v41
	v_add_f32_e32 v1, v1, v55
	v_add_f32_e32 v2, v2, v3
	v_mul_f32_e32 v3, v21, v33
	v_fmac_f32_e32 v57, v11, v42
	v_add_f32_e32 v1, v1, v56
	s_waitcnt vmcnt(6)
	v_fma_f32 v3, v20, v47, -v3
	v_fmac_f32_e32 v58, v13, v43
	v_add_f32_e32 v1, v1, v57
	v_add_f32_e32 v2, v2, v3
	s_waitcnt lgkmcnt(1)
	v_mul_f32_e32 v3, v147, v34
	v_fmac_f32_e32 v59, v15, v44
	v_add_f32_e32 v1, v1, v58
	s_waitcnt vmcnt(5)
	v_fma_f32 v3, v146, v48, -v3
	v_fmac_f32_e32 v60, v17, v45
	v_add_f32_e32 v1, v1, v59
	v_add_f32_e32 v2, v2, v3
	v_mul_f32_e32 v3, v149, v35
	v_mul_f32_e32 v62, v20, v33
	v_fmac_f32_e32 v61, v19, v46
	v_add_f32_e32 v1, v1, v60
	s_waitcnt vmcnt(4)
	v_fma_f32 v3, v148, v49, -v3
	v_mul_f32_e32 v63, v146, v34
	v_fmac_f32_e32 v62, v21, v47
	v_add_f32_e32 v1, v1, v61
	v_add_f32_e32 v2, v2, v3
	s_waitcnt lgkmcnt(0)
	v_mul_f32_e32 v3, v151, v36
	v_mul_f32_e32 v64, v148, v35
	v_fmac_f32_e32 v63, v147, v48
	v_add_f32_e32 v1, v1, v62
	s_waitcnt vmcnt(3)
	v_fma_f32 v3, v150, v50, -v3
	v_mul_f32_e32 v65, v150, v36
	v_fmac_f32_e32 v64, v149, v49
	v_add_f32_e32 v1, v1, v63
	v_add_f32_e32 v2, v2, v3
	v_mul_f32_e32 v3, v153, v37
	v_mul_f32_e32 v66, v152, v37
	v_fmac_f32_e32 v65, v151, v50
	v_add_f32_e32 v1, v1, v64
	s_waitcnt vmcnt(2)
	v_fma_f32 v3, v152, v51, -v3
	v_fmac_f32_e32 v66, v153, v51
	v_add_f32_e32 v1, v1, v65
	v_add_f32_e32 v2, v2, v3
	;; [unrolled: 1-line block ×3, first 2 shown]
	s_waitcnt vmcnt(1)
	v_sub_f32_e32 v2, v52, v2
	s_waitcnt vmcnt(0)
	v_sub_f32_e32 v1, v53, v1
	buffer_store_dword v2, off, s[0:3], 0 offset:360
	buffer_store_dword v1, off, s[0:3], 0 offset:364
	s_and_saveexec_b64 s[4:5], vcc
	s_cbranch_execz .LBB123_285
; %bb.284:
	buffer_load_dword v1, off, s[0:3], 0 offset:352
	buffer_load_dword v2, off, s[0:3], 0 offset:356
	v_mov_b32_e32 v3, 0
	buffer_store_dword v3, off, s[0:3], 0 offset:352
	buffer_store_dword v3, off, s[0:3], 0 offset:356
	s_waitcnt vmcnt(2)
	ds_write_b64 v145, v[1:2]
.LBB123_285:
	s_or_b64 exec, exec, s[4:5]
	s_waitcnt lgkmcnt(0)
	; wave barrier
	buffer_load_dword v24, off, s[0:3], 0 offset:364
	buffer_load_dword v27, off, s[0:3], 0 offset:372
	;; [unrolled: 1-line block ×32, first 2 shown]
	v_mov_b32_e32 v1, 0
	ds_read2_b64 v[2:5], v1 offset0:105 offset1:106
	ds_read2_b64 v[6:9], v1 offset0:107 offset1:108
	;; [unrolled: 1-line block ×7, first 2 shown]
	ds_read_b64 v[22:23], v1 offset:952
	v_cmp_lt_u32_e32 vcc, 43, v0
	s_waitcnt vmcnt(31) lgkmcnt(7)
	v_mul_f32_e32 v58, v2, v24
	v_mul_f32_e32 v24, v3, v24
	s_waitcnt vmcnt(30)
	v_mul_f32_e32 v59, v4, v27
	v_mul_f32_e32 v27, v5, v27
	s_waitcnt vmcnt(29) lgkmcnt(6)
	v_mul_f32_e32 v60, v6, v28
	v_mul_f32_e32 v28, v7, v28
	s_waitcnt vmcnt(28)
	v_mul_f32_e32 v61, v8, v29
	s_waitcnt vmcnt(27) lgkmcnt(5)
	v_mul_f32_e32 v62, v10, v30
	s_waitcnt vmcnt(26)
	v_mul_f32_e32 v63, v12, v31
	s_waitcnt vmcnt(25) lgkmcnt(4)
	;; [unrolled: 4-line block ×4, first 2 shown]
	v_mul_f32_e32 v155, v146, v36
	s_waitcnt vmcnt(20)
	v_mul_f32_e32 v156, v148, v37
	s_waitcnt vmcnt(16)
	v_fma_f32 v2, v2, v41, -v24
	v_fmac_f32_e32 v58, v3, v41
	s_waitcnt vmcnt(15)
	v_fma_f32 v3, v4, v42, -v27
	v_add_f32_e32 v2, 0, v2
	s_waitcnt vmcnt(14)
	v_fma_f32 v4, v6, v43, -v28
	v_add_f32_e32 v2, v2, v3
	v_add_f32_e32 v2, v2, v4
	v_mul_f32_e32 v4, v9, v29
	s_waitcnt vmcnt(13)
	v_fma_f32 v4, v8, v44, -v4
	v_add_f32_e32 v2, v2, v4
	v_mul_f32_e32 v4, v11, v30
	s_waitcnt vmcnt(12)
	v_fma_f32 v4, v10, v45, -v4
	;; [unrolled: 4-line block ×5, first 2 shown]
	v_add_f32_e32 v2, v2, v4
	v_mul_f32_e32 v4, v19, v34
	v_fmac_f32_e32 v59, v5, v42
	v_add_f32_e32 v5, 0, v58
	s_waitcnt vmcnt(8)
	v_fma_f32 v4, v18, v49, -v4
	v_fmac_f32_e32 v60, v7, v43
	v_add_f32_e32 v5, v5, v59
	v_add_f32_e32 v2, v2, v4
	v_mul_f32_e32 v4, v21, v35
	v_fmac_f32_e32 v61, v9, v44
	v_add_f32_e32 v3, v5, v60
	s_waitcnt vmcnt(7)
	v_fma_f32 v4, v20, v50, -v4
	v_fmac_f32_e32 v62, v11, v45
	v_add_f32_e32 v3, v3, v61
	v_add_f32_e32 v2, v2, v4
	v_mul_f32_e32 v4, v147, v36
	v_fmac_f32_e32 v63, v13, v46
	v_add_f32_e32 v3, v3, v62
	s_waitcnt vmcnt(6)
	v_fma_f32 v4, v146, v51, -v4
	v_fmac_f32_e32 v64, v15, v47
	v_add_f32_e32 v3, v3, v63
	v_add_f32_e32 v2, v2, v4
	v_mul_f32_e32 v4, v149, v37
	v_fmac_f32_e32 v65, v17, v48
	v_add_f32_e32 v3, v3, v64
	s_waitcnt vmcnt(5)
	v_fma_f32 v4, v148, v52, -v4
	v_fmac_f32_e32 v66, v19, v49
	v_add_f32_e32 v3, v3, v65
	v_add_f32_e32 v2, v2, v4
	s_waitcnt lgkmcnt(1)
	v_mul_f32_e32 v4, v151, v38
	v_fmac_f32_e32 v154, v21, v50
	v_add_f32_e32 v3, v3, v66
	s_waitcnt vmcnt(4)
	v_fma_f32 v4, v150, v53, -v4
	v_fmac_f32_e32 v155, v147, v51
	v_add_f32_e32 v3, v3, v154
	v_add_f32_e32 v2, v2, v4
	v_mul_f32_e32 v4, v153, v39
	v_mul_f32_e32 v157, v150, v38
	v_fmac_f32_e32 v156, v149, v52
	v_add_f32_e32 v3, v3, v155
	s_waitcnt vmcnt(3)
	v_fma_f32 v4, v152, v54, -v4
	v_mul_f32_e32 v158, v152, v39
	v_fmac_f32_e32 v157, v151, v53
	v_add_f32_e32 v3, v3, v156
	v_add_f32_e32 v2, v2, v4
	s_waitcnt lgkmcnt(0)
	v_mul_f32_e32 v4, v23, v40
	v_mul_f32_e32 v159, v22, v40
	v_fmac_f32_e32 v158, v153, v54
	v_add_f32_e32 v3, v3, v157
	s_waitcnt vmcnt(2)
	v_fma_f32 v4, v22, v55, -v4
	v_fmac_f32_e32 v159, v23, v55
	v_add_f32_e32 v3, v3, v158
	v_add_f32_e32 v2, v2, v4
	;; [unrolled: 1-line block ×3, first 2 shown]
	s_waitcnt vmcnt(1)
	v_sub_f32_e32 v2, v56, v2
	s_waitcnt vmcnt(0)
	v_sub_f32_e32 v3, v57, v3
	buffer_store_dword v2, off, s[0:3], 0 offset:352
	buffer_store_dword v3, off, s[0:3], 0 offset:356
	s_and_saveexec_b64 s[4:5], vcc
	s_cbranch_execz .LBB123_287
; %bb.286:
	buffer_load_dword v2, off, s[0:3], 0 offset:344
	buffer_load_dword v3, off, s[0:3], 0 offset:348
	s_waitcnt vmcnt(0)
	ds_write_b64 v145, v[2:3]
	buffer_store_dword v1, off, s[0:3], 0 offset:344
	buffer_store_dword v1, off, s[0:3], 0 offset:348
.LBB123_287:
	s_or_b64 exec, exec, s[4:5]
	s_waitcnt lgkmcnt(0)
	; wave barrier
	buffer_load_dword v22, off, s[0:3], 0 offset:356
	buffer_load_dword v23, off, s[0:3], 0 offset:364
	;; [unrolled: 1-line block ×34, first 2 shown]
	ds_read_b128 v[2:5], v1 offset:832
	ds_read_b128 v[6:9], v1 offset:848
	ds_read_b128 v[10:13], v1 offset:864
	ds_read_b128 v[14:17], v1 offset:880
	ds_read_b128 v[18:21], v1 offset:896
	ds_read_b128 v[146:149], v1 offset:912
	ds_read_b128 v[150:153], v1 offset:928
	ds_read_b128 v[154:157], v1 offset:944
	v_cmp_lt_u32_e32 vcc, 42, v0
	s_waitcnt vmcnt(33) lgkmcnt(7)
	v_mul_f32_e32 v1, v2, v22
	v_mul_f32_e32 v22, v3, v22
	s_waitcnt vmcnt(32)
	v_mul_f32_e32 v58, v4, v23
	v_mul_f32_e32 v23, v5, v23
	s_waitcnt vmcnt(31) lgkmcnt(6)
	v_mul_f32_e32 v59, v6, v24
	s_waitcnt vmcnt(30)
	v_mul_f32_e32 v60, v8, v27
	s_waitcnt vmcnt(29) lgkmcnt(5)
	v_mul_f32_e32 v61, v10, v28
	s_waitcnt vmcnt(28)
	;; [unrolled: 4-line block ×6, first 2 shown]
	v_mul_f32_e32 v161, v152, v37
	s_waitcnt vmcnt(17)
	v_fma_f32 v2, v2, v40, -v22
	v_fmac_f32_e32 v1, v3, v40
	s_waitcnt vmcnt(16)
	v_fma_f32 v3, v4, v41, -v23
	v_add_f32_e32 v2, 0, v2
	v_add_f32_e32 v2, v2, v3
	v_mul_f32_e32 v3, v7, v24
	s_waitcnt vmcnt(15)
	v_fma_f32 v3, v6, v42, -v3
	v_add_f32_e32 v2, v2, v3
	v_mul_f32_e32 v3, v9, v27
	s_waitcnt vmcnt(14)
	v_fma_f32 v3, v8, v43, -v3
	;; [unrolled: 4-line block ×7, first 2 shown]
	v_fmac_f32_e32 v58, v5, v41
	v_add_f32_e32 v1, 0, v1
	v_add_f32_e32 v2, v2, v3
	v_mul_f32_e32 v3, v21, v33
	v_fmac_f32_e32 v59, v7, v42
	v_add_f32_e32 v1, v1, v58
	s_waitcnt vmcnt(8)
	v_fma_f32 v3, v20, v49, -v3
	v_fmac_f32_e32 v60, v9, v43
	v_add_f32_e32 v1, v1, v59
	v_add_f32_e32 v2, v2, v3
	v_mul_f32_e32 v3, v147, v34
	v_fmac_f32_e32 v61, v11, v44
	v_add_f32_e32 v1, v1, v60
	s_waitcnt vmcnt(7)
	v_fma_f32 v3, v146, v50, -v3
	;; [unrolled: 8-line block ×5, first 2 shown]
	v_fmac_f32_e32 v159, v149, v51
	v_add_f32_e32 v1, v1, v158
	v_add_f32_e32 v2, v2, v3
	s_waitcnt lgkmcnt(0)
	v_mul_f32_e32 v3, v155, v38
	v_fmac_f32_e32 v160, v151, v52
	v_add_f32_e32 v1, v1, v159
	s_waitcnt vmcnt(3)
	v_fma_f32 v3, v154, v54, -v3
	v_mul_f32_e32 v162, v154, v38
	v_fmac_f32_e32 v161, v153, v53
	v_add_f32_e32 v1, v1, v160
	v_add_f32_e32 v2, v2, v3
	v_mul_f32_e32 v3, v157, v39
	v_mul_f32_e32 v163, v156, v39
	v_fmac_f32_e32 v162, v155, v54
	v_add_f32_e32 v1, v1, v161
	s_waitcnt vmcnt(2)
	v_fma_f32 v3, v156, v55, -v3
	v_fmac_f32_e32 v163, v157, v55
	v_add_f32_e32 v1, v1, v162
	v_add_f32_e32 v2, v2, v3
	;; [unrolled: 1-line block ×3, first 2 shown]
	s_waitcnt vmcnt(1)
	v_sub_f32_e32 v2, v56, v2
	s_waitcnt vmcnt(0)
	v_sub_f32_e32 v1, v57, v1
	buffer_store_dword v2, off, s[0:3], 0 offset:344
	buffer_store_dword v1, off, s[0:3], 0 offset:348
	s_and_saveexec_b64 s[4:5], vcc
	s_cbranch_execz .LBB123_289
; %bb.288:
	buffer_load_dword v1, off, s[0:3], 0 offset:336
	buffer_load_dword v2, off, s[0:3], 0 offset:340
	v_mov_b32_e32 v3, 0
	buffer_store_dword v3, off, s[0:3], 0 offset:336
	buffer_store_dword v3, off, s[0:3], 0 offset:340
	s_waitcnt vmcnt(2)
	ds_write_b64 v145, v[1:2]
.LBB123_289:
	s_or_b64 exec, exec, s[4:5]
	s_waitcnt lgkmcnt(0)
	; wave barrier
	buffer_load_dword v24, off, s[0:3], 0 offset:348
	buffer_load_dword v27, off, s[0:3], 0 offset:356
	;; [unrolled: 1-line block ×36, first 2 shown]
	v_mov_b32_e32 v1, 0
	ds_read2_b64 v[2:5], v1 offset0:103 offset1:104
	ds_read2_b64 v[6:9], v1 offset0:105 offset1:106
	;; [unrolled: 1-line block ×8, first 2 shown]
	ds_read_b64 v[22:23], v1 offset:952
	v_cmp_lt_u32_e32 vcc, 41, v0
	s_waitcnt vmcnt(35) lgkmcnt(8)
	v_mul_f32_e32 v62, v2, v24
	s_waitcnt vmcnt(34)
	v_mul_f32_e32 v63, v4, v27
	s_waitcnt vmcnt(33) lgkmcnt(7)
	v_mul_f32_e32 v64, v6, v28
	s_waitcnt vmcnt(32)
	v_mul_f32_e32 v65, v8, v29
	;; [unrolled: 4-line block ×8, first 2 shown]
	s_waitcnt vmcnt(19) lgkmcnt(0)
	v_mul_f32_e32 v169, v22, v42
	s_waitcnt vmcnt(18)
	v_fmac_f32_e32 v62, v3, v43
	v_mul_f32_e32 v3, v3, v24
	v_fma_f32 v2, v2, v43, -v3
	v_mul_f32_e32 v3, v5, v27
	v_add_f32_e32 v2, 0, v2
	s_waitcnt vmcnt(17)
	v_fma_f32 v3, v4, v44, -v3
	v_add_f32_e32 v2, v2, v3
	v_mul_f32_e32 v3, v7, v28
	s_waitcnt vmcnt(16)
	v_fma_f32 v3, v6, v45, -v3
	v_add_f32_e32 v2, v2, v3
	v_mul_f32_e32 v3, v9, v29
	s_waitcnt vmcnt(15)
	v_fma_f32 v3, v8, v46, -v3
	v_add_f32_e32 v2, v2, v3
	v_mul_f32_e32 v3, v11, v30
	s_waitcnt vmcnt(14)
	v_fma_f32 v3, v10, v47, -v3
	v_add_f32_e32 v2, v2, v3
	v_mul_f32_e32 v3, v13, v31
	s_waitcnt vmcnt(13)
	v_fma_f32 v3, v12, v48, -v3
	v_add_f32_e32 v2, v2, v3
	v_mul_f32_e32 v3, v15, v32
	s_waitcnt vmcnt(12)
	v_fma_f32 v3, v14, v49, -v3
	v_add_f32_e32 v2, v2, v3
	v_mul_f32_e32 v3, v17, v33
	s_waitcnt vmcnt(11)
	v_fma_f32 v3, v16, v50, -v3
	v_add_f32_e32 v2, v2, v3
	v_mul_f32_e32 v3, v19, v34
	s_waitcnt vmcnt(10)
	v_fma_f32 v3, v18, v51, -v3
	v_add_f32_e32 v2, v2, v3
	v_mul_f32_e32 v3, v21, v35
	v_fmac_f32_e32 v63, v5, v44
	v_add_f32_e32 v62, 0, v62
	s_waitcnt vmcnt(9)
	v_fma_f32 v3, v20, v52, -v3
	v_fmac_f32_e32 v64, v7, v45
	v_add_f32_e32 v62, v62, v63
	v_add_f32_e32 v2, v2, v3
	v_mul_f32_e32 v3, v147, v36
	v_fmac_f32_e32 v65, v9, v46
	v_add_f32_e32 v62, v62, v64
	s_waitcnt vmcnt(8)
	v_fma_f32 v3, v146, v53, -v3
	v_fmac_f32_e32 v66, v11, v47
	v_add_f32_e32 v62, v62, v65
	v_add_f32_e32 v2, v2, v3
	v_mul_f32_e32 v3, v149, v37
	;; [unrolled: 8-line block ×7, first 2 shown]
	v_fmac_f32_e32 v168, v157, v58
	v_add_f32_e32 v62, v62, v167
	s_waitcnt vmcnt(2)
	v_fma_f32 v3, v22, v59, -v3
	v_fmac_f32_e32 v169, v23, v59
	v_add_f32_e32 v62, v62, v168
	v_add_f32_e32 v2, v2, v3
	;; [unrolled: 1-line block ×3, first 2 shown]
	s_waitcnt vmcnt(1)
	v_sub_f32_e32 v2, v60, v2
	s_waitcnt vmcnt(0)
	v_sub_f32_e32 v3, v61, v62
	buffer_store_dword v2, off, s[0:3], 0 offset:336
	buffer_store_dword v3, off, s[0:3], 0 offset:340
	s_and_saveexec_b64 s[4:5], vcc
	s_cbranch_execz .LBB123_291
; %bb.290:
	buffer_load_dword v2, off, s[0:3], 0 offset:328
	buffer_load_dword v3, off, s[0:3], 0 offset:332
	s_waitcnt vmcnt(0)
	ds_write_b64 v145, v[2:3]
	buffer_store_dword v1, off, s[0:3], 0 offset:328
	buffer_store_dword v1, off, s[0:3], 0 offset:332
.LBB123_291:
	s_or_b64 exec, exec, s[4:5]
	s_waitcnt lgkmcnt(0)
	; wave barrier
	buffer_load_dword v22, off, s[0:3], 0 offset:340
	buffer_load_dword v23, off, s[0:3], 0 offset:348
	;; [unrolled: 1-line block ×38, first 2 shown]
	ds_read_b128 v[2:5], v1 offset:816
	ds_read_b128 v[6:9], v1 offset:832
	;; [unrolled: 1-line block ×9, first 2 shown]
	v_cmp_lt_u32_e32 vcc, 40, v0
	s_waitcnt vmcnt(37) lgkmcnt(8)
	v_mul_f32_e32 v1, v2, v22
	s_waitcnt vmcnt(36)
	v_mul_f32_e32 v62, v4, v23
	s_waitcnt vmcnt(35) lgkmcnt(7)
	v_mul_f32_e32 v63, v6, v24
	s_waitcnt vmcnt(34)
	v_mul_f32_e32 v64, v8, v27
	;; [unrolled: 4-line block ×8, first 2 shown]
	s_waitcnt vmcnt(21) lgkmcnt(0)
	v_mul_f32_e32 v172, v158, v40
	s_waitcnt vmcnt(20)
	v_fmac_f32_e32 v1, v3, v41
	v_mul_f32_e32 v3, v3, v22
	v_fma_f32 v2, v2, v41, -v3
	v_mul_f32_e32 v3, v5, v23
	v_add_f32_e32 v2, 0, v2
	s_waitcnt vmcnt(19)
	v_fma_f32 v3, v4, v42, -v3
	v_add_f32_e32 v2, v2, v3
	v_mul_f32_e32 v3, v7, v24
	s_waitcnt vmcnt(18)
	v_fma_f32 v3, v6, v43, -v3
	v_add_f32_e32 v2, v2, v3
	v_mul_f32_e32 v3, v9, v27
	;; [unrolled: 4-line block ×8, first 2 shown]
	s_waitcnt vmcnt(11)
	v_fma_f32 v3, v20, v50, -v3
	v_fmac_f32_e32 v62, v5, v42
	v_add_f32_e32 v1, 0, v1
	v_add_f32_e32 v2, v2, v3
	v_mul_f32_e32 v3, v147, v34
	v_fmac_f32_e32 v63, v7, v43
	v_add_f32_e32 v1, v1, v62
	s_waitcnt vmcnt(10)
	v_fma_f32 v3, v146, v51, -v3
	v_fmac_f32_e32 v64, v9, v44
	v_add_f32_e32 v1, v1, v63
	v_add_f32_e32 v2, v2, v3
	v_mul_f32_e32 v3, v149, v35
	v_fmac_f32_e32 v65, v11, v45
	v_add_f32_e32 v1, v1, v64
	;; [unrolled: 8-line block ×7, first 2 shown]
	s_waitcnt vmcnt(4)
	v_fma_f32 v3, v158, v57, -v3
	v_fmac_f32_e32 v171, v157, v56
	v_add_f32_e32 v1, v1, v170
	v_add_f32_e32 v2, v2, v3
	s_waitcnt vmcnt(3)
	v_mul_f32_e32 v3, v161, v58
	v_add_f32_e32 v1, v1, v171
	v_fmac_f32_e32 v172, v159, v57
	v_mul_f32_e32 v62, v160, v58
	s_waitcnt vmcnt(2)
	v_fma_f32 v3, v160, v59, -v3
	v_add_f32_e32 v1, v1, v172
	v_fmac_f32_e32 v62, v161, v59
	v_add_f32_e32 v2, v2, v3
	v_add_f32_e32 v1, v1, v62
	s_waitcnt vmcnt(1)
	v_sub_f32_e32 v2, v60, v2
	s_waitcnt vmcnt(0)
	v_sub_f32_e32 v1, v61, v1
	buffer_store_dword v2, off, s[0:3], 0 offset:328
	buffer_store_dword v1, off, s[0:3], 0 offset:332
	s_and_saveexec_b64 s[4:5], vcc
	s_cbranch_execz .LBB123_293
; %bb.292:
	buffer_load_dword v1, off, s[0:3], 0 offset:320
	buffer_load_dword v2, off, s[0:3], 0 offset:324
	v_mov_b32_e32 v3, 0
	buffer_store_dword v3, off, s[0:3], 0 offset:320
	buffer_store_dword v3, off, s[0:3], 0 offset:324
	s_waitcnt vmcnt(2)
	ds_write_b64 v145, v[1:2]
.LBB123_293:
	s_or_b64 exec, exec, s[4:5]
	s_waitcnt lgkmcnt(0)
	; wave barrier
	buffer_load_dword v24, off, s[0:3], 0 offset:332
	buffer_load_dword v27, off, s[0:3], 0 offset:340
	;; [unrolled: 1-line block ×40, first 2 shown]
	v_mov_b32_e32 v1, 0
	ds_read2_b64 v[2:5], v1 offset0:101 offset1:102
	ds_read2_b64 v[6:9], v1 offset0:103 offset1:104
	;; [unrolled: 1-line block ×9, first 2 shown]
	v_cmp_lt_u32_e32 vcc, 39, v0
	s_waitcnt vmcnt(39) lgkmcnt(8)
	v_mul_f32_e32 v22, v2, v24
	s_waitcnt vmcnt(38)
	v_mul_f32_e32 v23, v4, v27
	s_waitcnt vmcnt(37) lgkmcnt(7)
	v_mul_f32_e32 v66, v6, v28
	s_waitcnt vmcnt(36)
	v_mul_f32_e32 v162, v8, v29
	;; [unrolled: 4-line block ×7, first 2 shown]
	s_waitcnt vmcnt(25) lgkmcnt(1)
	v_mul_f32_e32 v173, v154, v40
	s_waitcnt vmcnt(24)
	v_fmac_f32_e32 v22, v3, v41
	v_mul_f32_e32 v3, v3, v24
	v_fma_f32 v2, v2, v41, -v3
	v_mul_f32_e32 v3, v5, v27
	v_add_f32_e32 v2, 0, v2
	s_waitcnt vmcnt(23)
	v_fma_f32 v3, v4, v42, -v3
	v_add_f32_e32 v2, v2, v3
	v_mul_f32_e32 v3, v7, v28
	s_waitcnt vmcnt(22)
	v_fma_f32 v3, v6, v43, -v3
	v_add_f32_e32 v2, v2, v3
	v_mul_f32_e32 v3, v9, v29
	;; [unrolled: 4-line block ×6, first 2 shown]
	s_waitcnt vmcnt(17)
	v_fma_f32 v3, v16, v48, -v3
	v_fmac_f32_e32 v23, v5, v42
	v_add_f32_e32 v22, 0, v22
	v_add_f32_e32 v2, v2, v3
	v_mul_f32_e32 v3, v19, v34
	v_fmac_f32_e32 v66, v7, v43
	v_add_f32_e32 v22, v22, v23
	s_waitcnt vmcnt(16)
	v_fma_f32 v3, v18, v49, -v3
	v_fmac_f32_e32 v162, v9, v44
	v_add_f32_e32 v22, v22, v66
	v_add_f32_e32 v2, v2, v3
	v_mul_f32_e32 v3, v21, v35
	v_fmac_f32_e32 v163, v11, v45
	v_add_f32_e32 v22, v22, v162
	;; [unrolled: 8-line block ×6, first 2 shown]
	s_waitcnt vmcnt(11)
	v_fma_f32 v3, v152, v54, -v3
	v_fmac_f32_e32 v172, v153, v54
	v_add_f32_e32 v22, v22, v171
	v_add_f32_e32 v2, v2, v3
	v_mul_f32_e32 v3, v155, v40
	s_waitcnt vmcnt(10)
	v_fmac_f32_e32 v173, v155, v55
	v_add_f32_e32 v22, v22, v172
	s_waitcnt vmcnt(9)
	v_mul_f32_e32 v23, v156, v56
	v_fma_f32 v3, v154, v55, -v3
	v_add_f32_e32 v22, v22, v173
	s_waitcnt vmcnt(8)
	v_fmac_f32_e32 v23, v157, v57
	v_add_f32_e32 v2, v2, v3
	v_mul_f32_e32 v3, v157, v56
	v_add_f32_e32 v66, v22, v23
	ds_read_b64 v[22:23], v1 offset:952
	v_fma_f32 v3, v156, v57, -v3
	v_add_f32_e32 v2, v2, v3
	s_waitcnt vmcnt(7) lgkmcnt(1)
	v_mul_f32_e32 v3, v159, v58
	v_mul_f32_e32 v162, v158, v58
	s_waitcnt vmcnt(6)
	v_fma_f32 v3, v158, v59, -v3
	v_fmac_f32_e32 v162, v159, v59
	v_add_f32_e32 v2, v2, v3
	s_waitcnt vmcnt(5)
	v_mul_f32_e32 v3, v161, v60
	v_add_f32_e32 v66, v66, v162
	v_mul_f32_e32 v162, v160, v60
	s_waitcnt vmcnt(4)
	v_fma_f32 v3, v160, v61, -v3
	v_fmac_f32_e32 v162, v161, v61
	v_add_f32_e32 v2, v2, v3
	s_waitcnt vmcnt(3) lgkmcnt(0)
	v_mul_f32_e32 v3, v23, v62
	v_add_f32_e32 v66, v66, v162
	v_mul_f32_e32 v162, v22, v62
	s_waitcnt vmcnt(2)
	v_fma_f32 v3, v22, v63, -v3
	v_fmac_f32_e32 v162, v23, v63
	v_add_f32_e32 v2, v2, v3
	v_add_f32_e32 v66, v66, v162
	s_waitcnt vmcnt(1)
	v_sub_f32_e32 v2, v64, v2
	s_waitcnt vmcnt(0)
	v_sub_f32_e32 v3, v65, v66
	buffer_store_dword v2, off, s[0:3], 0 offset:320
	buffer_store_dword v3, off, s[0:3], 0 offset:324
	s_and_saveexec_b64 s[4:5], vcc
	s_cbranch_execz .LBB123_295
; %bb.294:
	buffer_load_dword v2, off, s[0:3], 0 offset:312
	buffer_load_dword v3, off, s[0:3], 0 offset:316
	s_waitcnt vmcnt(0)
	ds_write_b64 v145, v[2:3]
	buffer_store_dword v1, off, s[0:3], 0 offset:312
	buffer_store_dword v1, off, s[0:3], 0 offset:316
.LBB123_295:
	s_or_b64 exec, exec, s[4:5]
	s_waitcnt lgkmcnt(0)
	; wave barrier
	buffer_load_dword v22, off, s[0:3], 0 offset:324
	buffer_load_dword v23, off, s[0:3], 0 offset:332
	;; [unrolled: 1-line block ×42, first 2 shown]
	ds_read_b128 v[2:5], v1 offset:800
	ds_read_b128 v[6:9], v1 offset:816
	;; [unrolled: 1-line block ×8, first 2 shown]
	v_cmp_lt_u32_e32 vcc, 38, v0
	s_waitcnt vmcnt(41) lgkmcnt(7)
	v_mul_f32_e32 v66, v2, v22
	s_waitcnt vmcnt(40)
	v_mul_f32_e32 v158, v4, v23
	s_waitcnt vmcnt(39) lgkmcnt(6)
	v_mul_f32_e32 v159, v6, v24
	s_waitcnt vmcnt(38)
	v_mul_f32_e32 v160, v8, v27
	;; [unrolled: 4-line block ×7, first 2 shown]
	s_waitcnt vmcnt(27) lgkmcnt(0)
	v_mul_f32_e32 v171, v154, v38
	s_waitcnt vmcnt(26)
	v_fmac_f32_e32 v66, v3, v39
	v_mul_f32_e32 v3, v3, v22
	v_fma_f32 v2, v2, v39, -v3
	v_mul_f32_e32 v3, v5, v23
	v_add_f32_e32 v2, 0, v2
	s_waitcnt vmcnt(25)
	v_fma_f32 v3, v4, v40, -v3
	v_add_f32_e32 v2, v2, v3
	v_mul_f32_e32 v3, v7, v24
	s_waitcnt vmcnt(24)
	v_fma_f32 v3, v6, v41, -v3
	v_add_f32_e32 v2, v2, v3
	v_mul_f32_e32 v3, v9, v27
	s_waitcnt vmcnt(23)
	v_fma_f32 v3, v8, v42, -v3
	v_add_f32_e32 v2, v2, v3
	v_mul_f32_e32 v3, v11, v28
	s_waitcnt vmcnt(22)
	v_fma_f32 v3, v10, v43, -v3
	v_add_f32_e32 v2, v2, v3
	v_mul_f32_e32 v3, v13, v29
	s_waitcnt vmcnt(21)
	v_fma_f32 v3, v12, v44, -v3
	v_add_f32_e32 v2, v2, v3
	v_mul_f32_e32 v3, v15, v30
	s_waitcnt vmcnt(20)
	v_fma_f32 v3, v14, v45, -v3
	v_add_f32_e32 v2, v2, v3
	v_mul_f32_e32 v3, v17, v31
	s_waitcnt vmcnt(19)
	v_fma_f32 v3, v16, v46, -v3
	v_fmac_f32_e32 v158, v5, v40
	v_add_f32_e32 v66, 0, v66
	v_add_f32_e32 v2, v2, v3
	v_mul_f32_e32 v3, v19, v32
	v_fmac_f32_e32 v159, v7, v41
	v_add_f32_e32 v66, v66, v158
	s_waitcnt vmcnt(18)
	v_fma_f32 v3, v18, v47, -v3
	v_fmac_f32_e32 v160, v9, v42
	v_add_f32_e32 v66, v66, v159
	v_add_f32_e32 v2, v2, v3
	v_mul_f32_e32 v3, v21, v33
	v_fmac_f32_e32 v161, v11, v43
	v_add_f32_e32 v66, v66, v160
	;; [unrolled: 8-line block ×6, first 2 shown]
	ds_read_b128 v[158:161], v1 offset:928
	s_waitcnt vmcnt(13)
	v_fma_f32 v3, v152, v52, -v3
	v_fmac_f32_e32 v170, v153, v52
	v_add_f32_e32 v66, v66, v169
	v_add_f32_e32 v2, v2, v3
	v_mul_f32_e32 v3, v155, v38
	s_waitcnt vmcnt(12)
	v_fmac_f32_e32 v171, v155, v53
	v_add_f32_e32 v66, v66, v170
	s_waitcnt vmcnt(11)
	v_mul_f32_e32 v162, v156, v54
	v_fma_f32 v3, v154, v53, -v3
	v_add_f32_e32 v66, v66, v171
	s_waitcnt vmcnt(10)
	v_fmac_f32_e32 v162, v157, v55
	v_add_f32_e32 v2, v2, v3
	v_mul_f32_e32 v3, v157, v54
	v_add_f32_e32 v66, v66, v162
	ds_read_b128 v[162:165], v1 offset:944
	v_fma_f32 v3, v156, v55, -v3
	v_add_f32_e32 v2, v2, v3
	s_waitcnt vmcnt(9) lgkmcnt(1)
	v_mul_f32_e32 v3, v159, v56
	v_mul_f32_e32 v1, v158, v56
	s_waitcnt vmcnt(8)
	v_fma_f32 v3, v158, v57, -v3
	v_fmac_f32_e32 v1, v159, v57
	v_add_f32_e32 v2, v2, v3
	s_waitcnt vmcnt(7)
	v_mul_f32_e32 v3, v161, v58
	v_add_f32_e32 v1, v66, v1
	v_mul_f32_e32 v66, v160, v58
	s_waitcnt vmcnt(6)
	v_fma_f32 v3, v160, v59, -v3
	v_fmac_f32_e32 v66, v161, v59
	v_add_f32_e32 v2, v2, v3
	s_waitcnt vmcnt(5) lgkmcnt(0)
	v_mul_f32_e32 v3, v163, v60
	v_add_f32_e32 v1, v1, v66
	v_mul_f32_e32 v66, v162, v60
	s_waitcnt vmcnt(4)
	v_fma_f32 v3, v162, v61, -v3
	v_fmac_f32_e32 v66, v163, v61
	v_add_f32_e32 v2, v2, v3
	s_waitcnt vmcnt(3)
	v_mul_f32_e32 v3, v165, v62
	v_add_f32_e32 v1, v1, v66
	v_mul_f32_e32 v66, v164, v62
	s_waitcnt vmcnt(2)
	v_fma_f32 v3, v164, v63, -v3
	v_fmac_f32_e32 v66, v165, v63
	v_add_f32_e32 v2, v2, v3
	v_add_f32_e32 v1, v1, v66
	s_waitcnt vmcnt(1)
	v_sub_f32_e32 v2, v64, v2
	s_waitcnt vmcnt(0)
	v_sub_f32_e32 v1, v65, v1
	buffer_store_dword v2, off, s[0:3], 0 offset:312
	buffer_store_dword v1, off, s[0:3], 0 offset:316
	s_and_saveexec_b64 s[4:5], vcc
	s_cbranch_execz .LBB123_297
; %bb.296:
	buffer_load_dword v1, off, s[0:3], 0 offset:304
	buffer_load_dword v2, off, s[0:3], 0 offset:308
	v_mov_b32_e32 v3, 0
	buffer_store_dword v3, off, s[0:3], 0 offset:304
	buffer_store_dword v3, off, s[0:3], 0 offset:308
	s_waitcnt vmcnt(2)
	ds_write_b64 v145, v[1:2]
.LBB123_297:
	s_or_b64 exec, exec, s[4:5]
	s_waitcnt lgkmcnt(0)
	; wave barrier
	buffer_load_dword v24, off, s[0:3], 0 offset:316
	buffer_load_dword v27, off, s[0:3], 0 offset:324
	;; [unrolled: 1-line block ×44, first 2 shown]
	v_mov_b32_e32 v1, 0
	ds_read2_b64 v[2:5], v1 offset0:99 offset1:100
	ds_read2_b64 v[6:9], v1 offset0:101 offset1:102
	;; [unrolled: 1-line block ×8, first 2 shown]
	v_cmp_lt_u32_e32 vcc, 37, v0
	s_waitcnt vmcnt(43) lgkmcnt(7)
	v_mul_f32_e32 v22, v2, v24
	s_waitcnt vmcnt(42)
	v_mul_f32_e32 v23, v4, v27
	s_waitcnt vmcnt(41) lgkmcnt(6)
	v_mul_f32_e32 v158, v6, v28
	s_waitcnt vmcnt(40)
	v_mul_f32_e32 v159, v8, v29
	;; [unrolled: 4-line block ×7, first 2 shown]
	s_waitcnt vmcnt(29)
	v_fmac_f32_e32 v22, v3, v40
	v_mul_f32_e32 v3, v3, v24
	v_fma_f32 v2, v2, v40, -v3
	v_mul_f32_e32 v3, v5, v27
	v_add_f32_e32 v2, 0, v2
	s_waitcnt vmcnt(28)
	v_fma_f32 v3, v4, v41, -v3
	v_add_f32_e32 v2, v2, v3
	v_mul_f32_e32 v3, v7, v28
	s_waitcnt vmcnt(27)
	v_fma_f32 v3, v6, v42, -v3
	v_add_f32_e32 v2, v2, v3
	v_mul_f32_e32 v3, v9, v29
	;; [unrolled: 4-line block ×6, first 2 shown]
	v_fmac_f32_e32 v23, v5, v41
	v_add_f32_e32 v22, 0, v22
	s_waitcnt vmcnt(22)
	v_fma_f32 v3, v16, v47, -v3
	v_fmac_f32_e32 v158, v7, v42
	v_add_f32_e32 v22, v22, v23
	v_add_f32_e32 v2, v2, v3
	v_mul_f32_e32 v3, v19, v34
	v_fmac_f32_e32 v159, v9, v43
	v_add_f32_e32 v22, v22, v158
	s_waitcnt vmcnt(21)
	v_fma_f32 v3, v18, v48, -v3
	v_fmac_f32_e32 v160, v11, v44
	v_add_f32_e32 v22, v22, v159
	v_add_f32_e32 v2, v2, v3
	v_mul_f32_e32 v3, v21, v35
	;; [unrolled: 8-line block ×5, first 2 shown]
	v_fmac_f32_e32 v170, v149, v51
	v_add_f32_e32 v22, v22, v169
	s_waitcnt vmcnt(17)
	v_fma_f32 v3, v150, v52, -v3
	v_fmac_f32_e32 v171, v151, v52
	v_add_f32_e32 v22, v22, v170
	ds_read2_b64 v[158:161], v1 offset0:115 offset1:116
	ds_read2_b64 v[162:165], v1 offset0:117 offset1:118
	v_add_f32_e32 v2, v2, v3
	v_mul_f32_e32 v3, v153, v39
	v_add_f32_e32 v22, v22, v171
	s_waitcnt vmcnt(16)
	v_fmac_f32_e32 v172, v153, v53
	s_waitcnt vmcnt(15) lgkmcnt(2)
	v_mul_f32_e32 v23, v154, v54
	v_fma_f32 v3, v152, v53, -v3
	v_add_f32_e32 v22, v22, v172
	s_waitcnt vmcnt(14)
	v_fmac_f32_e32 v23, v155, v55
	v_add_f32_e32 v2, v2, v3
	v_mul_f32_e32 v3, v155, v54
	v_add_f32_e32 v22, v22, v23
	s_waitcnt vmcnt(13)
	v_mul_f32_e32 v23, v156, v56
	v_fma_f32 v3, v154, v55, -v3
	s_waitcnt vmcnt(12)
	v_fmac_f32_e32 v23, v157, v57
	v_add_f32_e32 v2, v2, v3
	v_mul_f32_e32 v3, v157, v56
	v_add_f32_e32 v22, v22, v23
	s_waitcnt vmcnt(11) lgkmcnt(1)
	v_mul_f32_e32 v23, v158, v58
	v_fma_f32 v3, v156, v57, -v3
	s_waitcnt vmcnt(10)
	v_fmac_f32_e32 v23, v159, v59
	v_add_f32_e32 v2, v2, v3
	v_mul_f32_e32 v3, v159, v58
	v_add_f32_e32 v22, v22, v23
	s_waitcnt vmcnt(9)
	v_mul_f32_e32 v23, v160, v60
	v_fma_f32 v3, v158, v59, -v3
	s_waitcnt vmcnt(8)
	v_fmac_f32_e32 v23, v161, v61
	v_add_f32_e32 v2, v2, v3
	v_mul_f32_e32 v3, v161, v60
	v_add_f32_e32 v169, v22, v23
	ds_read_b64 v[22:23], v1 offset:952
	v_fma_f32 v3, v160, v61, -v3
	v_add_f32_e32 v2, v2, v3
	s_waitcnt vmcnt(7) lgkmcnt(1)
	v_mul_f32_e32 v3, v163, v62
	v_mul_f32_e32 v170, v162, v62
	s_waitcnt vmcnt(6)
	v_fma_f32 v3, v162, v63, -v3
	v_fmac_f32_e32 v170, v163, v63
	v_add_f32_e32 v2, v2, v3
	s_waitcnt vmcnt(5)
	v_mul_f32_e32 v3, v165, v64
	v_add_f32_e32 v169, v169, v170
	v_mul_f32_e32 v170, v164, v64
	s_waitcnt vmcnt(4)
	v_fma_f32 v3, v164, v65, -v3
	v_fmac_f32_e32 v170, v165, v65
	v_add_f32_e32 v2, v2, v3
	s_waitcnt vmcnt(3) lgkmcnt(0)
	v_mul_f32_e32 v3, v23, v66
	v_add_f32_e32 v169, v169, v170
	v_mul_f32_e32 v170, v22, v66
	s_waitcnt vmcnt(2)
	v_fma_f32 v3, v22, v166, -v3
	v_fmac_f32_e32 v170, v23, v166
	v_add_f32_e32 v2, v2, v3
	v_add_f32_e32 v169, v169, v170
	s_waitcnt vmcnt(1)
	v_sub_f32_e32 v2, v167, v2
	s_waitcnt vmcnt(0)
	v_sub_f32_e32 v3, v168, v169
	buffer_store_dword v2, off, s[0:3], 0 offset:304
	buffer_store_dword v3, off, s[0:3], 0 offset:308
	s_and_saveexec_b64 s[4:5], vcc
	s_cbranch_execz .LBB123_299
; %bb.298:
	buffer_load_dword v2, off, s[0:3], 0 offset:296
	buffer_load_dword v3, off, s[0:3], 0 offset:300
	s_waitcnt vmcnt(0)
	ds_write_b64 v145, v[2:3]
	buffer_store_dword v1, off, s[0:3], 0 offset:296
	buffer_store_dword v1, off, s[0:3], 0 offset:300
.LBB123_299:
	s_or_b64 exec, exec, s[4:5]
	s_waitcnt lgkmcnt(0)
	; wave barrier
	buffer_load_dword v22, off, s[0:3], 0 offset:308
	buffer_load_dword v23, off, s[0:3], 0 offset:316
	;; [unrolled: 1-line block ×46, first 2 shown]
	ds_read_b128 v[2:5], v1 offset:784
	ds_read_b128 v[6:9], v1 offset:800
	;; [unrolled: 1-line block ×8, first 2 shown]
	v_cmp_lt_u32_e32 vcc, 36, v0
	s_waitcnt vmcnt(45) lgkmcnt(7)
	v_mul_f32_e32 v158, v2, v22
	s_waitcnt vmcnt(44)
	v_mul_f32_e32 v159, v4, v23
	s_waitcnt vmcnt(43) lgkmcnt(6)
	v_mul_f32_e32 v160, v6, v24
	s_waitcnt vmcnt(42)
	v_mul_f32_e32 v161, v8, v27
	;; [unrolled: 4-line block ×6, first 2 shown]
	s_waitcnt vmcnt(33) lgkmcnt(1)
	v_mul_f32_e32 v173, v150, v36
	s_waitcnt vmcnt(32)
	v_fmac_f32_e32 v158, v3, v37
	v_mul_f32_e32 v3, v3, v22
	v_fma_f32 v2, v2, v37, -v3
	v_mul_f32_e32 v3, v5, v23
	v_add_f32_e32 v2, 0, v2
	s_waitcnt vmcnt(31)
	v_fma_f32 v3, v4, v38, -v3
	v_add_f32_e32 v2, v2, v3
	v_mul_f32_e32 v3, v7, v24
	s_waitcnt vmcnt(30)
	v_fma_f32 v3, v6, v39, -v3
	v_add_f32_e32 v2, v2, v3
	v_mul_f32_e32 v3, v9, v27
	;; [unrolled: 4-line block ×4, first 2 shown]
	v_fmac_f32_e32 v159, v5, v38
	v_add_f32_e32 v158, 0, v158
	s_waitcnt vmcnt(27)
	v_fma_f32 v3, v12, v42, -v3
	v_fmac_f32_e32 v160, v7, v39
	v_add_f32_e32 v158, v158, v159
	v_add_f32_e32 v2, v2, v3
	v_mul_f32_e32 v3, v15, v30
	v_fmac_f32_e32 v161, v9, v40
	v_add_f32_e32 v158, v158, v160
	s_waitcnt vmcnt(26)
	v_fma_f32 v3, v14, v43, -v3
	v_fmac_f32_e32 v162, v11, v41
	v_add_f32_e32 v158, v158, v161
	v_add_f32_e32 v2, v2, v3
	v_mul_f32_e32 v3, v17, v31
	;; [unrolled: 8-line block ×4, first 2 shown]
	s_waitcnt vmcnt(23)
	v_fmac_f32_e32 v167, v21, v46
	v_add_f32_e32 v158, v158, v166
	v_fma_f32 v3, v20, v46, -v3
	s_waitcnt vmcnt(22)
	v_fmac_f32_e32 v168, v147, v47
	v_add_f32_e32 v158, v158, v167
	v_add_f32_e32 v2, v2, v3
	v_mul_f32_e32 v3, v147, v34
	s_waitcnt vmcnt(21)
	v_fmac_f32_e32 v169, v149, v48
	v_add_f32_e32 v158, v158, v168
	v_fma_f32 v3, v146, v47, -v3
	s_waitcnt vmcnt(20)
	v_fmac_f32_e32 v173, v151, v49
	v_add_f32_e32 v158, v158, v169
	s_waitcnt vmcnt(19)
	v_mul_f32_e32 v159, v152, v50
	v_add_f32_e32 v2, v2, v3
	v_mul_f32_e32 v3, v149, v35
	v_add_f32_e32 v158, v158, v173
	s_waitcnt vmcnt(18)
	v_fmac_f32_e32 v159, v153, v51
	v_fma_f32 v3, v148, v48, -v3
	v_add_f32_e32 v158, v158, v159
	s_waitcnt vmcnt(17) lgkmcnt(0)
	v_mul_f32_e32 v159, v154, v52
	v_add_f32_e32 v2, v2, v3
	v_mul_f32_e32 v3, v151, v36
	s_waitcnt vmcnt(16)
	v_fmac_f32_e32 v159, v155, v53
	v_fma_f32 v3, v150, v49, -v3
	v_add_f32_e32 v162, v158, v159
	ds_read_b128 v[158:161], v1 offset:912
	v_add_f32_e32 v2, v2, v3
	v_mul_f32_e32 v3, v153, v50
	v_fma_f32 v3, v152, v51, -v3
	v_add_f32_e32 v2, v2, v3
	v_mul_f32_e32 v3, v155, v52
	s_waitcnt vmcnt(15)
	v_mul_f32_e32 v163, v156, v54
	v_fma_f32 v3, v154, v53, -v3
	s_waitcnt vmcnt(14)
	v_fmac_f32_e32 v163, v157, v55
	v_add_f32_e32 v2, v2, v3
	v_mul_f32_e32 v3, v157, v54
	v_add_f32_e32 v166, v162, v163
	ds_read_b128 v[162:165], v1 offset:928
	s_waitcnt vmcnt(13) lgkmcnt(1)
	v_mul_f32_e32 v167, v158, v56
	v_fma_f32 v3, v156, v55, -v3
	s_waitcnt vmcnt(12)
	v_fmac_f32_e32 v167, v159, v57
	v_add_f32_e32 v2, v2, v3
	v_mul_f32_e32 v3, v159, v56
	v_add_f32_e32 v166, v166, v167
	s_waitcnt vmcnt(11)
	v_mul_f32_e32 v167, v160, v58
	v_fma_f32 v3, v158, v57, -v3
	s_waitcnt vmcnt(10)
	v_fmac_f32_e32 v167, v161, v59
	v_add_f32_e32 v2, v2, v3
	v_mul_f32_e32 v3, v161, v58
	v_add_f32_e32 v173, v166, v167
	ds_read_b128 v[166:169], v1 offset:944
	v_fma_f32 v3, v160, v59, -v3
	v_add_f32_e32 v2, v2, v3
	s_waitcnt vmcnt(9) lgkmcnt(1)
	v_mul_f32_e32 v3, v163, v60
	v_mul_f32_e32 v174, v162, v60
	s_waitcnt vmcnt(8)
	v_fma_f32 v3, v162, v61, -v3
	v_fmac_f32_e32 v174, v163, v61
	v_add_f32_e32 v2, v2, v3
	s_waitcnt vmcnt(7)
	v_mul_f32_e32 v3, v165, v62
	v_add_f32_e32 v1, v173, v174
	v_mul_f32_e32 v173, v164, v62
	s_waitcnt vmcnt(6)
	v_fma_f32 v3, v164, v63, -v3
	v_fmac_f32_e32 v173, v165, v63
	v_add_f32_e32 v2, v2, v3
	s_waitcnt vmcnt(5) lgkmcnt(0)
	v_mul_f32_e32 v3, v167, v64
	v_add_f32_e32 v1, v1, v173
	v_mul_f32_e32 v173, v166, v64
	s_waitcnt vmcnt(4)
	v_fma_f32 v3, v166, v65, -v3
	v_fmac_f32_e32 v173, v167, v65
	v_add_f32_e32 v2, v2, v3
	s_waitcnt vmcnt(3)
	v_mul_f32_e32 v3, v169, v66
	v_add_f32_e32 v1, v1, v173
	v_mul_f32_e32 v173, v168, v66
	s_waitcnt vmcnt(2)
	v_fma_f32 v3, v168, v170, -v3
	v_fmac_f32_e32 v173, v169, v170
	v_add_f32_e32 v2, v2, v3
	v_add_f32_e32 v1, v1, v173
	s_waitcnt vmcnt(1)
	v_sub_f32_e32 v2, v171, v2
	s_waitcnt vmcnt(0)
	v_sub_f32_e32 v1, v172, v1
	buffer_store_dword v2, off, s[0:3], 0 offset:296
	buffer_store_dword v1, off, s[0:3], 0 offset:300
	s_and_saveexec_b64 s[4:5], vcc
	s_cbranch_execz .LBB123_301
; %bb.300:
	buffer_load_dword v1, off, s[0:3], 0 offset:288
	buffer_load_dword v2, off, s[0:3], 0 offset:292
	v_mov_b32_e32 v3, 0
	buffer_store_dword v3, off, s[0:3], 0 offset:288
	buffer_store_dword v3, off, s[0:3], 0 offset:292
	s_waitcnt vmcnt(2)
	ds_write_b64 v145, v[1:2]
.LBB123_301:
	s_or_b64 exec, exec, s[4:5]
	s_waitcnt lgkmcnt(0)
	; wave barrier
	buffer_load_dword v24, off, s[0:3], 0 offset:300
	buffer_load_dword v27, off, s[0:3], 0 offset:308
	;; [unrolled: 1-line block ×48, first 2 shown]
	v_mov_b32_e32 v1, 0
	ds_read2_b64 v[2:5], v1 offset0:97 offset1:98
	ds_read2_b64 v[6:9], v1 offset0:99 offset1:100
	;; [unrolled: 1-line block ×7, first 2 shown]
	v_cmp_lt_u32_e32 vcc, 35, v0
	ds_read2_b64 v[166:169], v1 offset0:117 offset1:118
	s_waitcnt vmcnt(47) lgkmcnt(7)
	v_mul_f32_e32 v22, v2, v24
	s_waitcnt vmcnt(46)
	v_mul_f32_e32 v23, v4, v27
	s_waitcnt vmcnt(45) lgkmcnt(6)
	v_mul_f32_e32 v154, v6, v28
	s_waitcnt vmcnt(44)
	v_mul_f32_e32 v155, v8, v29
	;; [unrolled: 4-line block ×6, first 2 shown]
	s_waitcnt vmcnt(35)
	v_fmac_f32_e32 v22, v3, v38
	v_mul_f32_e32 v3, v3, v24
	v_fma_f32 v2, v2, v38, -v3
	v_mul_f32_e32 v3, v5, v27
	v_add_f32_e32 v2, 0, v2
	s_waitcnt vmcnt(34)
	v_fma_f32 v3, v4, v39, -v3
	v_add_f32_e32 v2, v2, v3
	v_mul_f32_e32 v3, v7, v28
	s_waitcnt vmcnt(33)
	v_fma_f32 v3, v6, v40, -v3
	v_add_f32_e32 v2, v2, v3
	v_mul_f32_e32 v3, v9, v29
	;; [unrolled: 4-line block ×5, first 2 shown]
	v_fmac_f32_e32 v23, v5, v39
	v_add_f32_e32 v22, 0, v22
	s_waitcnt vmcnt(29)
	v_fma_f32 v3, v14, v44, -v3
	v_fmac_f32_e32 v154, v7, v40
	v_add_f32_e32 v22, v22, v23
	v_add_f32_e32 v2, v2, v3
	v_mul_f32_e32 v3, v17, v33
	v_fmac_f32_e32 v155, v9, v41
	v_add_f32_e32 v22, v22, v154
	s_waitcnt vmcnt(28)
	v_fma_f32 v3, v16, v45, -v3
	v_fmac_f32_e32 v156, v11, v42
	v_add_f32_e32 v22, v22, v155
	v_add_f32_e32 v2, v2, v3
	v_mul_f32_e32 v3, v19, v34
	;; [unrolled: 8-line block ×4, first 2 shown]
	v_fmac_f32_e32 v161, v21, v47
	v_add_f32_e32 v22, v22, v160
	s_waitcnt vmcnt(25)
	v_fma_f32 v3, v146, v48, -v3
	v_fmac_f32_e32 v162, v147, v48
	v_add_f32_e32 v22, v22, v161
	ds_read2_b64 v[154:157], v1 offset0:111 offset1:112
	ds_read2_b64 v[158:161], v1 offset0:113 offset1:114
	v_add_f32_e32 v2, v2, v3
	v_mul_f32_e32 v3, v149, v37
	s_waitcnt vmcnt(24)
	v_fmac_f32_e32 v163, v149, v49
	v_add_f32_e32 v22, v22, v162
	s_waitcnt vmcnt(23) lgkmcnt(3)
	v_mul_f32_e32 v23, v150, v50
	v_fma_f32 v3, v148, v49, -v3
	v_add_f32_e32 v22, v22, v163
	s_waitcnt vmcnt(22)
	v_fmac_f32_e32 v23, v151, v51
	v_add_f32_e32 v2, v2, v3
	v_mul_f32_e32 v3, v151, v50
	v_add_f32_e32 v22, v22, v23
	s_waitcnt vmcnt(21)
	v_mul_f32_e32 v23, v152, v52
	v_fma_f32 v3, v150, v51, -v3
	s_waitcnt vmcnt(20)
	v_fmac_f32_e32 v23, v153, v53
	v_add_f32_e32 v2, v2, v3
	v_mul_f32_e32 v3, v153, v52
	v_add_f32_e32 v22, v22, v23
	s_waitcnt vmcnt(19) lgkmcnt(1)
	v_mul_f32_e32 v23, v154, v54
	v_fma_f32 v3, v152, v53, -v3
	s_waitcnt vmcnt(18)
	v_fmac_f32_e32 v23, v155, v55
	v_add_f32_e32 v2, v2, v3
	v_mul_f32_e32 v3, v155, v54
	v_add_f32_e32 v22, v22, v23
	s_waitcnt vmcnt(17)
	v_mul_f32_e32 v23, v156, v56
	v_fma_f32 v3, v154, v55, -v3
	s_waitcnt vmcnt(16)
	v_fmac_f32_e32 v23, v157, v57
	ds_read2_b64 v[162:165], v1 offset0:115 offset1:116
	v_add_f32_e32 v2, v2, v3
	v_mul_f32_e32 v3, v157, v56
	v_add_f32_e32 v22, v22, v23
	s_waitcnt vmcnt(15) lgkmcnt(1)
	v_mul_f32_e32 v23, v158, v58
	v_fma_f32 v3, v156, v57, -v3
	s_waitcnt vmcnt(14)
	v_fmac_f32_e32 v23, v159, v59
	v_add_f32_e32 v2, v2, v3
	v_mul_f32_e32 v3, v159, v58
	v_add_f32_e32 v22, v22, v23
	s_waitcnt vmcnt(13)
	v_mul_f32_e32 v23, v160, v60
	v_fma_f32 v3, v158, v59, -v3
	s_waitcnt vmcnt(12)
	v_fmac_f32_e32 v23, v161, v61
	v_add_f32_e32 v2, v2, v3
	v_mul_f32_e32 v3, v161, v60
	v_add_f32_e32 v22, v22, v23
	s_waitcnt vmcnt(11) lgkmcnt(0)
	v_mul_f32_e32 v23, v162, v62
	v_fma_f32 v3, v160, v61, -v3
	s_waitcnt vmcnt(10)
	v_fmac_f32_e32 v23, v163, v63
	v_add_f32_e32 v2, v2, v3
	v_mul_f32_e32 v3, v163, v62
	v_add_f32_e32 v22, v22, v23
	s_waitcnt vmcnt(9)
	v_mul_f32_e32 v23, v164, v64
	v_fma_f32 v3, v162, v63, -v3
	s_waitcnt vmcnt(8)
	v_fmac_f32_e32 v23, v165, v65
	v_add_f32_e32 v2, v2, v3
	v_mul_f32_e32 v3, v165, v64
	v_add_f32_e32 v177, v22, v23
	ds_read_b64 v[22:23], v1 offset:952
	v_fma_f32 v3, v164, v65, -v3
	v_add_f32_e32 v2, v2, v3
	s_waitcnt vmcnt(6)
	v_mul_f32_e32 v3, v167, v170
	v_mul_f32_e32 v178, v166, v170
	v_fma_f32 v3, v166, v66, -v3
	v_fmac_f32_e32 v178, v167, v66
	v_add_f32_e32 v2, v2, v3
	s_waitcnt vmcnt(3)
	v_mul_f32_e32 v3, v169, v173
	v_add_f32_e32 v177, v177, v178
	v_mul_f32_e32 v178, v168, v173
	s_waitcnt vmcnt(2)
	v_fma_f32 v3, v168, v174, -v3
	v_fmac_f32_e32 v178, v169, v174
	v_add_f32_e32 v2, v2, v3
	s_waitcnt vmcnt(0) lgkmcnt(0)
	v_mul_f32_e32 v3, v23, v176
	v_add_f32_e32 v177, v177, v178
	v_mul_f32_e32 v178, v22, v176
	v_fma_f32 v3, v22, v175, -v3
	v_fmac_f32_e32 v178, v23, v175
	v_add_f32_e32 v2, v2, v3
	v_add_f32_e32 v177, v177, v178
	v_sub_f32_e32 v2, v171, v2
	v_sub_f32_e32 v3, v172, v177
	buffer_store_dword v2, off, s[0:3], 0 offset:288
	buffer_store_dword v3, off, s[0:3], 0 offset:292
	s_and_saveexec_b64 s[4:5], vcc
	s_cbranch_execz .LBB123_303
; %bb.302:
	buffer_load_dword v2, off, s[0:3], 0 offset:280
	buffer_load_dword v3, off, s[0:3], 0 offset:284
	s_waitcnt vmcnt(0)
	ds_write_b64 v145, v[2:3]
	buffer_store_dword v1, off, s[0:3], 0 offset:280
	buffer_store_dword v1, off, s[0:3], 0 offset:284
.LBB123_303:
	s_or_b64 exec, exec, s[4:5]
	s_waitcnt lgkmcnt(0)
	; wave barrier
	buffer_load_dword v22, off, s[0:3], 0 offset:292
	buffer_load_dword v23, off, s[0:3], 0 offset:300
	buffer_load_dword v24, off, s[0:3], 0 offset:308
	buffer_load_dword v27, off, s[0:3], 0 offset:316
	buffer_load_dword v28, off, s[0:3], 0 offset:324
	buffer_load_dword v29, off, s[0:3], 0 offset:332
	buffer_load_dword v30, off, s[0:3], 0 offset:340
	buffer_load_dword v31, off, s[0:3], 0 offset:348
	buffer_load_dword v32, off, s[0:3], 0 offset:356
	buffer_load_dword v33, off, s[0:3], 0 offset:364
	buffer_load_dword v34, off, s[0:3], 0 offset:372
	buffer_load_dword v35, off, s[0:3], 0 offset:380
	buffer_load_dword v36, off, s[0:3], 0 offset:288
	buffer_load_dword v37, off, s[0:3], 0 offset:296
	buffer_load_dword v38, off, s[0:3], 0 offset:304
	buffer_load_dword v39, off, s[0:3], 0 offset:312
	buffer_load_dword v40, off, s[0:3], 0 offset:320
	buffer_load_dword v41, off, s[0:3], 0 offset:328
	buffer_load_dword v42, off, s[0:3], 0 offset:336
	buffer_load_dword v43, off, s[0:3], 0 offset:344
	buffer_load_dword v44, off, s[0:3], 0 offset:352
	buffer_load_dword v45, off, s[0:3], 0 offset:360
	buffer_load_dword v46, off, s[0:3], 0 offset:368
	buffer_load_dword v47, off, s[0:3], 0 offset:376
	buffer_load_dword v48, off, s[0:3], 0 offset:388
	buffer_load_dword v49, off, s[0:3], 0 offset:384
	buffer_load_dword v50, off, s[0:3], 0 offset:396
	buffer_load_dword v51, off, s[0:3], 0 offset:392
	buffer_load_dword v52, off, s[0:3], 0 offset:404
	buffer_load_dword v53, off, s[0:3], 0 offset:400
	buffer_load_dword v54, off, s[0:3], 0 offset:412
	buffer_load_dword v55, off, s[0:3], 0 offset:408
	buffer_load_dword v56, off, s[0:3], 0 offset:420
	buffer_load_dword v57, off, s[0:3], 0 offset:416
	buffer_load_dword v58, off, s[0:3], 0 offset:428
	buffer_load_dword v59, off, s[0:3], 0 offset:424
	buffer_load_dword v60, off, s[0:3], 0 offset:436
	buffer_load_dword v61, off, s[0:3], 0 offset:432
	buffer_load_dword v62, off, s[0:3], 0 offset:444
	buffer_load_dword v63, off, s[0:3], 0 offset:440
	buffer_load_dword v64, off, s[0:3], 0 offset:280
	buffer_load_dword v65, off, s[0:3], 0 offset:284
	buffer_load_dword v66, off, s[0:3], 0 offset:452
	buffer_load_dword v174, off, s[0:3], 0 offset:448
	buffer_load_dword v175, off, s[0:3], 0 offset:456
	buffer_load_dword v176, off, s[0:3], 0 offset:460
	buffer_load_dword v177, off, s[0:3], 0 offset:464
	buffer_load_dword v178, off, s[0:3], 0 offset:468
	ds_read_b128 v[2:5], v1 offset:768
	ds_read_b128 v[6:9], v1 offset:784
	buffer_load_dword v179, off, s[0:3], 0 offset:472
	buffer_load_dword v180, off, s[0:3], 0 offset:476
	ds_read_b128 v[10:13], v1 offset:800
	ds_read_b128 v[14:17], v1 offset:816
	;; [unrolled: 1-line block ×5, first 2 shown]
	v_cmp_lt_u32_e32 vcc, 34, v0
	s_waitcnt vmcnt(49) lgkmcnt(6)
	v_mul_f32_e32 v154, v2, v22
	s_waitcnt vmcnt(48)
	v_mul_f32_e32 v155, v4, v23
	s_waitcnt vmcnt(47) lgkmcnt(5)
	v_mul_f32_e32 v156, v6, v24
	s_waitcnt vmcnt(46)
	v_mul_f32_e32 v157, v8, v27
	;; [unrolled: 4-line block ×6, first 2 shown]
	s_waitcnt vmcnt(37)
	v_fmac_f32_e32 v154, v3, v36
	v_mul_f32_e32 v3, v3, v22
	v_fma_f32 v2, v2, v36, -v3
	v_mul_f32_e32 v3, v5, v23
	v_add_f32_e32 v2, 0, v2
	s_waitcnt vmcnt(36)
	v_fma_f32 v3, v4, v37, -v3
	v_add_f32_e32 v2, v2, v3
	v_mul_f32_e32 v3, v7, v24
	s_waitcnt vmcnt(35)
	v_fma_f32 v3, v6, v38, -v3
	v_fmac_f32_e32 v155, v5, v37
	v_add_f32_e32 v154, 0, v154
	v_add_f32_e32 v2, v2, v3
	v_mul_f32_e32 v3, v9, v27
	v_fmac_f32_e32 v156, v7, v38
	v_add_f32_e32 v154, v154, v155
	s_waitcnt vmcnt(34)
	v_fma_f32 v3, v8, v39, -v3
	v_fmac_f32_e32 v157, v9, v39
	v_add_f32_e32 v154, v154, v156
	v_add_f32_e32 v2, v2, v3
	v_mul_f32_e32 v3, v11, v28
	s_waitcnt vmcnt(33)
	v_fmac_f32_e32 v158, v11, v40
	v_add_f32_e32 v154, v154, v157
	v_fma_f32 v3, v10, v40, -v3
	s_waitcnt vmcnt(32)
	v_fmac_f32_e32 v159, v13, v41
	v_add_f32_e32 v154, v154, v158
	v_add_f32_e32 v2, v2, v3
	v_mul_f32_e32 v3, v13, v29
	s_waitcnt vmcnt(31)
	v_fmac_f32_e32 v160, v15, v42
	v_add_f32_e32 v154, v154, v159
	v_fma_f32 v3, v12, v41, -v3
	s_waitcnt vmcnt(30)
	;; [unrolled: 9-line block ×3, first 2 shown]
	v_fmac_f32_e32 v163, v21, v45
	v_add_f32_e32 v154, v154, v162
	v_add_f32_e32 v2, v2, v3
	v_mul_f32_e32 v3, v17, v31
	s_waitcnt vmcnt(27)
	v_fmac_f32_e32 v164, v147, v46
	v_add_f32_e32 v154, v154, v163
	v_fma_f32 v3, v16, v43, -v3
	v_add_f32_e32 v154, v154, v164
	s_waitcnt vmcnt(26)
	v_fmac_f32_e32 v165, v149, v47
	v_add_f32_e32 v2, v2, v3
	v_mul_f32_e32 v3, v19, v32
	v_add_f32_e32 v158, v154, v165
	ds_read_b128 v[154:157], v1 offset:880
	v_fma_f32 v3, v18, v44, -v3
	s_waitcnt vmcnt(25) lgkmcnt(1)
	v_mul_f32_e32 v159, v150, v48
	v_add_f32_e32 v2, v2, v3
	v_mul_f32_e32 v3, v21, v33
	s_waitcnt vmcnt(24)
	v_fmac_f32_e32 v159, v151, v49
	v_fma_f32 v3, v20, v45, -v3
	v_add_f32_e32 v158, v158, v159
	s_waitcnt vmcnt(23)
	v_mul_f32_e32 v159, v152, v50
	v_add_f32_e32 v2, v2, v3
	v_mul_f32_e32 v3, v147, v34
	s_waitcnt vmcnt(22)
	v_fmac_f32_e32 v159, v153, v51
	v_fma_f32 v3, v146, v46, -v3
	v_add_f32_e32 v158, v158, v159
	s_waitcnt vmcnt(21) lgkmcnt(0)
	v_mul_f32_e32 v159, v154, v52
	v_add_f32_e32 v2, v2, v3
	v_mul_f32_e32 v3, v149, v35
	s_waitcnt vmcnt(20)
	v_fmac_f32_e32 v159, v155, v53
	v_fma_f32 v3, v148, v47, -v3
	v_add_f32_e32 v162, v158, v159
	ds_read_b128 v[158:161], v1 offset:896
	v_add_f32_e32 v2, v2, v3
	v_mul_f32_e32 v3, v151, v48
	v_fma_f32 v3, v150, v49, -v3
	s_waitcnt vmcnt(19)
	v_mul_f32_e32 v163, v156, v54
	v_add_f32_e32 v2, v2, v3
	v_mul_f32_e32 v3, v153, v50
	s_waitcnt vmcnt(18)
	v_fmac_f32_e32 v163, v157, v55
	v_fma_f32 v3, v152, v51, -v3
	v_add_f32_e32 v166, v162, v163
	ds_read_b128 v[162:165], v1 offset:912
	v_add_f32_e32 v2, v2, v3
	v_mul_f32_e32 v3, v155, v52
	s_waitcnt vmcnt(17) lgkmcnt(1)
	v_mul_f32_e32 v167, v158, v56
	v_fma_f32 v3, v154, v53, -v3
	s_waitcnt vmcnt(16)
	v_fmac_f32_e32 v167, v159, v57
	v_add_f32_e32 v2, v2, v3
	v_mul_f32_e32 v3, v157, v54
	v_add_f32_e32 v166, v166, v167
	s_waitcnt vmcnt(15)
	v_mul_f32_e32 v167, v160, v58
	v_fma_f32 v3, v156, v55, -v3
	s_waitcnt vmcnt(14)
	v_fmac_f32_e32 v167, v161, v59
	v_add_f32_e32 v2, v2, v3
	v_mul_f32_e32 v3, v159, v56
	v_add_f32_e32 v166, v166, v167
	s_waitcnt vmcnt(13) lgkmcnt(0)
	v_mul_f32_e32 v167, v162, v60
	v_fma_f32 v3, v158, v57, -v3
	s_waitcnt vmcnt(12)
	v_fmac_f32_e32 v167, v163, v61
	v_add_f32_e32 v2, v2, v3
	v_mul_f32_e32 v3, v161, v58
	v_add_f32_e32 v170, v166, v167
	ds_read_b128 v[166:169], v1 offset:928
	v_fma_f32 v3, v160, v59, -v3
	v_add_f32_e32 v2, v2, v3
	v_mul_f32_e32 v3, v163, v60
	s_waitcnt vmcnt(11)
	v_mul_f32_e32 v171, v164, v62
	v_fma_f32 v3, v162, v61, -v3
	s_waitcnt vmcnt(10)
	v_fmac_f32_e32 v171, v165, v63
	v_add_f32_e32 v2, v2, v3
	v_mul_f32_e32 v3, v165, v62
	v_add_f32_e32 v181, v170, v171
	ds_read_b128 v[170:173], v1 offset:944
	v_fma_f32 v3, v164, v63, -v3
	v_add_f32_e32 v2, v2, v3
	s_waitcnt vmcnt(7) lgkmcnt(1)
	v_mul_f32_e32 v3, v167, v66
	v_mul_f32_e32 v1, v166, v66
	s_waitcnt vmcnt(6)
	v_fma_f32 v3, v166, v174, -v3
	v_fmac_f32_e32 v1, v167, v174
	v_add_f32_e32 v2, v2, v3
	s_waitcnt vmcnt(4)
	v_mul_f32_e32 v3, v169, v176
	v_add_f32_e32 v1, v181, v1
	v_mul_f32_e32 v181, v168, v176
	v_fma_f32 v3, v168, v175, -v3
	v_fmac_f32_e32 v181, v169, v175
	v_add_f32_e32 v2, v2, v3
	s_waitcnt vmcnt(2) lgkmcnt(0)
	v_mul_f32_e32 v3, v171, v178
	v_add_f32_e32 v1, v1, v181
	v_mul_f32_e32 v181, v170, v178
	v_fma_f32 v3, v170, v177, -v3
	v_fmac_f32_e32 v181, v171, v177
	v_add_f32_e32 v2, v2, v3
	s_waitcnt vmcnt(0)
	v_mul_f32_e32 v3, v173, v180
	v_add_f32_e32 v1, v1, v181
	v_mul_f32_e32 v181, v172, v180
	v_fma_f32 v3, v172, v179, -v3
	v_fmac_f32_e32 v181, v173, v179
	v_add_f32_e32 v2, v2, v3
	v_add_f32_e32 v1, v1, v181
	v_sub_f32_e32 v2, v64, v2
	v_sub_f32_e32 v1, v65, v1
	buffer_store_dword v2, off, s[0:3], 0 offset:280
	buffer_store_dword v1, off, s[0:3], 0 offset:284
	s_and_saveexec_b64 s[4:5], vcc
	s_cbranch_execz .LBB123_305
; %bb.304:
	buffer_load_dword v1, off, s[0:3], 0 offset:272
	buffer_load_dword v2, off, s[0:3], 0 offset:276
	v_mov_b32_e32 v3, 0
	buffer_store_dword v3, off, s[0:3], 0 offset:272
	buffer_store_dword v3, off, s[0:3], 0 offset:276
	s_waitcnt vmcnt(2)
	ds_write_b64 v145, v[1:2]
.LBB123_305:
	s_or_b64 exec, exec, s[4:5]
	s_waitcnt lgkmcnt(0)
	; wave barrier
	buffer_load_dword v24, off, s[0:3], 0 offset:284
	buffer_load_dword v27, off, s[0:3], 0 offset:292
	;; [unrolled: 1-line block ×52, first 2 shown]
	v_mov_b32_e32 v1, 0
	ds_read2_b64 v[2:5], v1 offset0:95 offset1:96
	ds_read2_b64 v[6:9], v1 offset0:97 offset1:98
	;; [unrolled: 1-line block ×8, first 2 shown]
	v_cmp_lt_u32_e32 vcc, 33, v0
	ds_read2_b64 v[162:165], v1 offset0:113 offset1:114
	s_waitcnt vmcnt(51) lgkmcnt(8)
	v_mul_f32_e32 v22, v2, v24
	s_waitcnt vmcnt(50)
	v_mul_f32_e32 v23, v4, v27
	s_waitcnt vmcnt(49) lgkmcnt(7)
	v_mul_f32_e32 v150, v6, v28
	s_waitcnt vmcnt(48)
	v_mul_f32_e32 v151, v8, v29
	;; [unrolled: 4-line block ×5, first 2 shown]
	s_waitcnt vmcnt(41) lgkmcnt(3)
	v_mul_f32_e32 v158, v146, v36
	s_waitcnt vmcnt(40)
	v_fmac_f32_e32 v22, v3, v37
	v_mul_f32_e32 v3, v3, v24
	v_fma_f32 v2, v2, v37, -v3
	v_mul_f32_e32 v3, v5, v27
	v_add_f32_e32 v2, 0, v2
	s_waitcnt vmcnt(39)
	v_fma_f32 v3, v4, v38, -v3
	v_add_f32_e32 v2, v2, v3
	v_mul_f32_e32 v3, v7, v28
	s_waitcnt vmcnt(38)
	v_fma_f32 v3, v6, v39, -v3
	v_add_f32_e32 v2, v2, v3
	v_mul_f32_e32 v3, v9, v29
	;; [unrolled: 4-line block ×4, first 2 shown]
	s_waitcnt vmcnt(35)
	v_fma_f32 v3, v12, v42, -v3
	v_fmac_f32_e32 v23, v5, v38
	v_add_f32_e32 v22, 0, v22
	v_add_f32_e32 v2, v2, v3
	v_mul_f32_e32 v3, v15, v32
	v_fmac_f32_e32 v150, v7, v39
	v_add_f32_e32 v22, v22, v23
	s_waitcnt vmcnt(34)
	v_fma_f32 v3, v14, v43, -v3
	v_fmac_f32_e32 v151, v9, v40
	v_add_f32_e32 v22, v22, v150
	v_add_f32_e32 v2, v2, v3
	v_mul_f32_e32 v3, v17, v33
	v_fmac_f32_e32 v152, v11, v41
	v_add_f32_e32 v22, v22, v151
	;; [unrolled: 8-line block ×3, first 2 shown]
	s_waitcnt vmcnt(32)
	v_fma_f32 v3, v18, v45, -v3
	v_fmac_f32_e32 v155, v17, v44
	v_add_f32_e32 v22, v22, v154
	ds_read2_b64 v[150:153], v1 offset0:107 offset1:108
	v_add_f32_e32 v2, v2, v3
	v_mul_f32_e32 v3, v21, v35
	v_fmac_f32_e32 v156, v19, v45
	v_add_f32_e32 v22, v22, v155
	s_waitcnt vmcnt(31)
	v_fma_f32 v3, v20, v46, -v3
	v_fmac_f32_e32 v157, v21, v46
	v_add_f32_e32 v22, v22, v156
	v_add_f32_e32 v2, v2, v3
	v_mul_f32_e32 v3, v147, v36
	v_add_f32_e32 v22, v22, v157
	s_waitcnt vmcnt(30)
	v_fmac_f32_e32 v158, v147, v47
	s_waitcnt vmcnt(29)
	v_mul_f32_e32 v23, v148, v48
	v_fma_f32 v3, v146, v47, -v3
	v_add_f32_e32 v22, v22, v158
	s_waitcnt vmcnt(28)
	v_fmac_f32_e32 v23, v149, v49
	ds_read2_b64 v[154:157], v1 offset0:109 offset1:110
	v_add_f32_e32 v2, v2, v3
	v_mul_f32_e32 v3, v149, v48
	v_add_f32_e32 v22, v22, v23
	s_waitcnt vmcnt(27) lgkmcnt(1)
	v_mul_f32_e32 v23, v150, v50
	v_fma_f32 v3, v148, v49, -v3
	s_waitcnt vmcnt(26)
	v_fmac_f32_e32 v23, v151, v51
	v_add_f32_e32 v2, v2, v3
	v_mul_f32_e32 v3, v151, v50
	v_add_f32_e32 v22, v22, v23
	s_waitcnt vmcnt(25)
	v_mul_f32_e32 v23, v152, v52
	v_fma_f32 v3, v150, v51, -v3
	s_waitcnt vmcnt(24)
	v_fmac_f32_e32 v23, v153, v53
	ds_read2_b64 v[158:161], v1 offset0:111 offset1:112
	v_add_f32_e32 v2, v2, v3
	v_mul_f32_e32 v3, v153, v52
	v_add_f32_e32 v22, v22, v23
	s_waitcnt vmcnt(23) lgkmcnt(1)
	v_mul_f32_e32 v23, v154, v54
	v_fma_f32 v3, v152, v53, -v3
	s_waitcnt vmcnt(22)
	v_fmac_f32_e32 v23, v155, v55
	v_add_f32_e32 v2, v2, v3
	v_mul_f32_e32 v3, v155, v54
	v_add_f32_e32 v22, v22, v23
	s_waitcnt vmcnt(21)
	v_mul_f32_e32 v23, v156, v56
	v_fma_f32 v3, v154, v55, -v3
	s_waitcnt vmcnt(20)
	v_fmac_f32_e32 v23, v157, v57
	v_add_f32_e32 v2, v2, v3
	v_mul_f32_e32 v3, v157, v56
	v_add_f32_e32 v22, v22, v23
	s_waitcnt vmcnt(19) lgkmcnt(0)
	v_mul_f32_e32 v23, v158, v58
	v_fma_f32 v3, v156, v57, -v3
	s_waitcnt vmcnt(18)
	v_fmac_f32_e32 v23, v159, v59
	v_add_f32_e32 v2, v2, v3
	v_mul_f32_e32 v3, v159, v58
	v_add_f32_e32 v22, v22, v23
	s_waitcnt vmcnt(17)
	v_mul_f32_e32 v23, v160, v60
	v_fma_f32 v3, v158, v59, -v3
	s_waitcnt vmcnt(16)
	v_fmac_f32_e32 v23, v161, v61
	v_add_f32_e32 v2, v2, v3
	v_mul_f32_e32 v3, v161, v60
	v_add_f32_e32 v22, v22, v23
	s_waitcnt vmcnt(14)
	v_mul_f32_e32 v23, v162, v63
	v_fma_f32 v3, v160, v61, -v3
	v_fmac_f32_e32 v23, v163, v62
	v_add_f32_e32 v2, v2, v3
	v_mul_f32_e32 v3, v163, v63
	v_add_f32_e32 v22, v22, v23
	s_waitcnt vmcnt(11)
	v_mul_f32_e32 v23, v164, v66
	v_fma_f32 v3, v162, v62, -v3
	s_waitcnt vmcnt(10)
	v_fmac_f32_e32 v23, v165, v174
	v_add_f32_e32 v2, v2, v3
	v_mul_f32_e32 v3, v165, v66
	v_add_f32_e32 v22, v22, v23
	s_waitcnt vmcnt(8)
	v_mul_f32_e32 v23, v166, v176
	v_fma_f32 v3, v164, v174, -v3
	v_fmac_f32_e32 v23, v167, v175
	v_add_f32_e32 v2, v2, v3
	v_mul_f32_e32 v3, v167, v176
	v_add_f32_e32 v22, v22, v23
	s_waitcnt vmcnt(6)
	v_mul_f32_e32 v23, v168, v178
	v_fma_f32 v3, v166, v175, -v3
	v_fmac_f32_e32 v23, v169, v177
	v_add_f32_e32 v2, v2, v3
	v_mul_f32_e32 v3, v169, v178
	v_add_f32_e32 v185, v22, v23
	ds_read_b64 v[22:23], v1 offset:952
	v_fma_f32 v3, v168, v177, -v3
	v_add_f32_e32 v2, v2, v3
	s_waitcnt vmcnt(4)
	v_mul_f32_e32 v3, v171, v180
	v_mul_f32_e32 v186, v170, v180
	v_fma_f32 v3, v170, v179, -v3
	v_fmac_f32_e32 v186, v171, v179
	v_add_f32_e32 v2, v2, v3
	s_waitcnt vmcnt(2)
	v_mul_f32_e32 v3, v173, v182
	v_add_f32_e32 v185, v185, v186
	v_mul_f32_e32 v186, v172, v182
	v_fma_f32 v3, v172, v181, -v3
	v_fmac_f32_e32 v186, v173, v181
	v_add_f32_e32 v2, v2, v3
	s_waitcnt vmcnt(0) lgkmcnt(0)
	v_mul_f32_e32 v3, v23, v184
	v_add_f32_e32 v185, v185, v186
	v_mul_f32_e32 v186, v22, v184
	v_fma_f32 v3, v22, v183, -v3
	v_fmac_f32_e32 v186, v23, v183
	v_add_f32_e32 v2, v2, v3
	v_add_f32_e32 v185, v185, v186
	v_sub_f32_e32 v2, v64, v2
	v_sub_f32_e32 v3, v65, v185
	buffer_store_dword v2, off, s[0:3], 0 offset:272
	buffer_store_dword v3, off, s[0:3], 0 offset:276
	s_and_saveexec_b64 s[4:5], vcc
	s_cbranch_execz .LBB123_307
; %bb.306:
	buffer_load_dword v2, off, s[0:3], 0 offset:264
	buffer_load_dword v3, off, s[0:3], 0 offset:268
	s_waitcnt vmcnt(0)
	ds_write_b64 v145, v[2:3]
	buffer_store_dword v1, off, s[0:3], 0 offset:264
	buffer_store_dword v1, off, s[0:3], 0 offset:268
.LBB123_307:
	s_or_b64 exec, exec, s[4:5]
	s_waitcnt lgkmcnt(0)
	; wave barrier
	buffer_load_dword v22, off, s[0:3], 0 offset:276
	buffer_load_dword v23, off, s[0:3], 0 offset:284
	;; [unrolled: 1-line block ×42, first 2 shown]
	ds_read_b128 v[2:5], v1 offset:752
	ds_read_b128 v[6:9], v1 offset:768
	;; [unrolled: 1-line block ×4, first 2 shown]
	buffer_load_dword v66, off, s[0:3], 0 offset:436
	buffer_load_dword v178, off, s[0:3], 0 offset:432
	;; [unrolled: 1-line block ×6, first 2 shown]
	ds_read_b128 v[18:21], v1 offset:816
	ds_read_b128 v[146:149], v1 offset:832
	buffer_load_dword v183, off, s[0:3], 0 offset:456
	buffer_load_dword v184, off, s[0:3], 0 offset:460
	;; [unrolled: 1-line block ×6, first 2 shown]
	v_cmp_lt_u32_e32 vcc, 32, v0
	s_waitcnt vmcnt(53) lgkmcnt(5)
	v_mul_f32_e32 v150, v2, v22
	s_waitcnt vmcnt(52)
	v_mul_f32_e32 v151, v4, v23
	s_waitcnt vmcnt(51) lgkmcnt(4)
	v_mul_f32_e32 v152, v6, v24
	s_waitcnt vmcnt(50)
	v_mul_f32_e32 v153, v8, v27
	;; [unrolled: 4-line block ×5, first 2 shown]
	s_waitcnt vmcnt(43)
	v_fmac_f32_e32 v150, v3, v34
	v_mul_f32_e32 v3, v3, v22
	s_waitcnt vmcnt(42)
	v_fmac_f32_e32 v151, v5, v35
	v_add_f32_e32 v150, 0, v150
	v_fma_f32 v2, v2, v34, -v3
	v_mul_f32_e32 v3, v5, v23
	s_waitcnt vmcnt(41)
	v_fmac_f32_e32 v152, v7, v36
	v_add_f32_e32 v150, v150, v151
	v_add_f32_e32 v2, 0, v2
	v_fma_f32 v3, v4, v35, -v3
	s_waitcnt vmcnt(40)
	v_fmac_f32_e32 v153, v9, v37
	v_add_f32_e32 v150, v150, v152
	v_add_f32_e32 v2, v2, v3
	v_mul_f32_e32 v3, v7, v24
	s_waitcnt vmcnt(39)
	v_fmac_f32_e32 v154, v11, v38
	v_add_f32_e32 v150, v150, v153
	v_fma_f32 v3, v6, v36, -v3
	s_waitcnt vmcnt(38)
	v_fmac_f32_e32 v155, v13, v39
	v_add_f32_e32 v150, v150, v154
	v_add_f32_e32 v2, v2, v3
	v_mul_f32_e32 v3, v9, v27
	s_waitcnt vmcnt(37)
	v_fmac_f32_e32 v156, v15, v40
	;; [unrolled: 9-line block ×3, first 2 shown]
	v_add_f32_e32 v150, v150, v157
	v_fma_f32 v3, v10, v38, -v3
	s_waitcnt vmcnt(34)
	v_fmac_f32_e32 v159, v21, v43
	v_add_f32_e32 v150, v150, v158
	s_waitcnt vmcnt(33) lgkmcnt(0)
	v_mul_f32_e32 v151, v146, v44
	v_add_f32_e32 v2, v2, v3
	v_mul_f32_e32 v3, v13, v29
	v_add_f32_e32 v150, v150, v159
	s_waitcnt vmcnt(32)
	v_fmac_f32_e32 v151, v147, v45
	v_fma_f32 v3, v12, v39, -v3
	v_add_f32_e32 v154, v150, v151
	ds_read_b128 v[150:153], v1 offset:848
	v_add_f32_e32 v2, v2, v3
	v_mul_f32_e32 v3, v15, v30
	v_fma_f32 v3, v14, v40, -v3
	s_waitcnt vmcnt(31)
	v_mul_f32_e32 v155, v148, v46
	v_add_f32_e32 v2, v2, v3
	v_mul_f32_e32 v3, v17, v31
	s_waitcnt vmcnt(30)
	v_fmac_f32_e32 v155, v149, v47
	v_fma_f32 v3, v16, v41, -v3
	v_add_f32_e32 v158, v154, v155
	ds_read_b128 v[154:157], v1 offset:864
	v_add_f32_e32 v2, v2, v3
	v_mul_f32_e32 v3, v19, v32
	s_waitcnt vmcnt(29) lgkmcnt(1)
	v_mul_f32_e32 v159, v150, v48
	v_fma_f32 v3, v18, v42, -v3
	s_waitcnt vmcnt(28)
	v_fmac_f32_e32 v159, v151, v49
	v_add_f32_e32 v2, v2, v3
	v_mul_f32_e32 v3, v21, v33
	v_add_f32_e32 v158, v158, v159
	s_waitcnt vmcnt(27)
	v_mul_f32_e32 v159, v152, v50
	v_fma_f32 v3, v20, v43, -v3
	s_waitcnt vmcnt(26)
	v_fmac_f32_e32 v159, v153, v51
	v_add_f32_e32 v2, v2, v3
	v_mul_f32_e32 v3, v147, v44
	v_add_f32_e32 v158, v158, v159
	s_waitcnt vmcnt(25) lgkmcnt(0)
	v_mul_f32_e32 v159, v154, v52
	v_fma_f32 v3, v146, v45, -v3
	s_waitcnt vmcnt(24)
	v_fmac_f32_e32 v159, v155, v53
	v_add_f32_e32 v2, v2, v3
	v_mul_f32_e32 v3, v149, v46
	v_add_f32_e32 v162, v158, v159
	ds_read_b128 v[158:161], v1 offset:880
	v_fma_f32 v3, v148, v47, -v3
	v_add_f32_e32 v2, v2, v3
	v_mul_f32_e32 v3, v151, v48
	s_waitcnt vmcnt(23)
	v_mul_f32_e32 v163, v156, v54
	v_fma_f32 v3, v150, v49, -v3
	s_waitcnt vmcnt(22)
	v_fmac_f32_e32 v163, v157, v55
	v_add_f32_e32 v2, v2, v3
	v_mul_f32_e32 v3, v153, v50
	v_add_f32_e32 v166, v162, v163
	ds_read_b128 v[162:165], v1 offset:896
	v_fma_f32 v3, v152, v51, -v3
	s_waitcnt vmcnt(21) lgkmcnt(1)
	v_mul_f32_e32 v167, v158, v56
	v_add_f32_e32 v2, v2, v3
	v_mul_f32_e32 v3, v155, v52
	s_waitcnt vmcnt(20)
	v_fmac_f32_e32 v167, v159, v57
	v_fma_f32 v3, v154, v53, -v3
	v_add_f32_e32 v166, v166, v167
	s_waitcnt vmcnt(18)
	v_mul_f32_e32 v167, v160, v59
	v_add_f32_e32 v2, v2, v3
	v_mul_f32_e32 v3, v157, v54
	v_fmac_f32_e32 v167, v161, v58
	v_fma_f32 v3, v156, v55, -v3
	v_add_f32_e32 v166, v166, v167
	s_waitcnt vmcnt(15) lgkmcnt(0)
	v_mul_f32_e32 v167, v162, v62
	v_add_f32_e32 v2, v2, v3
	v_mul_f32_e32 v3, v159, v56
	s_waitcnt vmcnt(14)
	v_fmac_f32_e32 v167, v163, v63
	v_fma_f32 v3, v158, v57, -v3
	v_add_f32_e32 v170, v166, v167
	ds_read_b128 v[166:169], v1 offset:912
	v_add_f32_e32 v2, v2, v3
	v_mul_f32_e32 v3, v161, v59
	v_fma_f32 v3, v160, v58, -v3
	v_add_f32_e32 v2, v2, v3
	v_mul_f32_e32 v3, v163, v62
	s_waitcnt vmcnt(12)
	v_mul_f32_e32 v171, v164, v65
	v_fma_f32 v3, v162, v63, -v3
	v_fmac_f32_e32 v171, v165, v64
	v_add_f32_e32 v2, v2, v3
	v_mul_f32_e32 v3, v165, v65
	v_add_f32_e32 v174, v170, v171
	ds_read_b128 v[170:173], v1 offset:928
	s_waitcnt vmcnt(11) lgkmcnt(1)
	v_mul_f32_e32 v175, v166, v66
	v_fma_f32 v3, v164, v64, -v3
	s_waitcnt vmcnt(10)
	v_fmac_f32_e32 v175, v167, v178
	v_add_f32_e32 v2, v2, v3
	v_mul_f32_e32 v3, v167, v66
	v_add_f32_e32 v174, v174, v175
	s_waitcnt vmcnt(8)
	v_mul_f32_e32 v175, v168, v180
	v_fma_f32 v3, v166, v178, -v3
	v_fmac_f32_e32 v175, v169, v179
	v_add_f32_e32 v2, v2, v3
	v_mul_f32_e32 v3, v169, v180
	v_add_f32_e32 v189, v174, v175
	ds_read_b128 v[174:177], v1 offset:944
	v_fma_f32 v3, v168, v179, -v3
	v_add_f32_e32 v2, v2, v3
	s_waitcnt vmcnt(6) lgkmcnt(1)
	v_mul_f32_e32 v3, v171, v182
	v_mul_f32_e32 v190, v170, v182
	v_fma_f32 v3, v170, v181, -v3
	v_fmac_f32_e32 v190, v171, v181
	v_add_f32_e32 v2, v2, v3
	s_waitcnt vmcnt(4)
	v_mul_f32_e32 v3, v173, v184
	v_add_f32_e32 v1, v189, v190
	v_mul_f32_e32 v189, v172, v184
	v_fma_f32 v3, v172, v183, -v3
	v_fmac_f32_e32 v189, v173, v183
	v_add_f32_e32 v2, v2, v3
	s_waitcnt vmcnt(2) lgkmcnt(0)
	v_mul_f32_e32 v3, v175, v186
	v_add_f32_e32 v1, v1, v189
	v_mul_f32_e32 v189, v174, v186
	v_fma_f32 v3, v174, v185, -v3
	v_fmac_f32_e32 v189, v175, v185
	v_add_f32_e32 v2, v2, v3
	s_waitcnt vmcnt(0)
	v_mul_f32_e32 v3, v177, v188
	v_add_f32_e32 v1, v1, v189
	v_mul_f32_e32 v189, v176, v188
	v_fma_f32 v3, v176, v187, -v3
	v_fmac_f32_e32 v189, v177, v187
	v_add_f32_e32 v2, v2, v3
	v_add_f32_e32 v1, v1, v189
	v_sub_f32_e32 v2, v60, v2
	v_sub_f32_e32 v1, v61, v1
	buffer_store_dword v2, off, s[0:3], 0 offset:264
	buffer_store_dword v1, off, s[0:3], 0 offset:268
	s_and_saveexec_b64 s[4:5], vcc
	s_cbranch_execz .LBB123_309
; %bb.308:
	buffer_load_dword v1, off, s[0:3], 0 offset:256
	buffer_load_dword v2, off, s[0:3], 0 offset:260
	v_mov_b32_e32 v3, 0
	buffer_store_dword v3, off, s[0:3], 0 offset:256
	buffer_store_dword v3, off, s[0:3], 0 offset:260
	s_waitcnt vmcnt(2)
	ds_write_b64 v145, v[1:2]
.LBB123_309:
	s_or_b64 exec, exec, s[4:5]
	s_waitcnt lgkmcnt(0)
	; wave barrier
	buffer_load_dword v24, off, s[0:3], 0 offset:268
	buffer_load_dword v27, off, s[0:3], 0 offset:276
	;; [unrolled: 1-line block ×56, first 2 shown]
	v_mov_b32_e32 v1, 0
	ds_read2_b64 v[2:5], v1 offset0:93 offset1:94
	ds_read2_b64 v[6:9], v1 offset0:95 offset1:96
	;; [unrolled: 1-line block ×11, first 2 shown]
	v_cmp_lt_u32_e32 vcc, 31, v0
	s_waitcnt vmcnt(55) lgkmcnt(10)
	v_mul_f32_e32 v22, v2, v24
	s_waitcnt vmcnt(54)
	v_mul_f32_e32 v23, v4, v27
	s_waitcnt vmcnt(53) lgkmcnt(9)
	v_mul_f32_e32 v150, v6, v28
	s_waitcnt vmcnt(52)
	v_mul_f32_e32 v151, v8, v29
	;; [unrolled: 4-line block ×4, first 2 shown]
	s_waitcnt vmcnt(47) lgkmcnt(6)
	v_mul_f32_e32 v156, v18, v34
	s_waitcnt vmcnt(46)
	v_fmac_f32_e32 v22, v3, v35
	v_mul_f32_e32 v3, v3, v24
	v_fma_f32 v2, v2, v35, -v3
	v_mul_f32_e32 v3, v5, v27
	v_add_f32_e32 v2, 0, v2
	s_waitcnt vmcnt(45)
	v_fma_f32 v3, v4, v36, -v3
	v_add_f32_e32 v2, v2, v3
	v_mul_f32_e32 v3, v7, v28
	s_waitcnt vmcnt(44)
	v_fma_f32 v3, v6, v37, -v3
	v_add_f32_e32 v2, v2, v3
	v_mul_f32_e32 v3, v9, v29
	;; [unrolled: 4-line block ×3, first 2 shown]
	s_waitcnt vmcnt(42)
	v_fma_f32 v3, v10, v39, -v3
	v_fmac_f32_e32 v23, v5, v36
	v_add_f32_e32 v22, 0, v22
	v_add_f32_e32 v2, v2, v3
	v_mul_f32_e32 v3, v13, v31
	v_fmac_f32_e32 v150, v7, v37
	v_add_f32_e32 v22, v22, v23
	s_waitcnt vmcnt(41)
	v_fma_f32 v3, v12, v40, -v3
	v_fmac_f32_e32 v151, v9, v38
	v_add_f32_e32 v22, v22, v150
	v_add_f32_e32 v2, v2, v3
	v_mul_f32_e32 v3, v15, v32
	v_fmac_f32_e32 v152, v11, v39
	v_add_f32_e32 v22, v22, v151
	;; [unrolled: 8-line block ×3, first 2 shown]
	s_waitcnt vmcnt(39)
	v_fma_f32 v3, v16, v42, -v3
	v_fmac_f32_e32 v155, v17, v42
	v_add_f32_e32 v22, v22, v154
	v_add_f32_e32 v2, v2, v3
	v_mul_f32_e32 v3, v19, v34
	v_add_f32_e32 v22, v22, v155
	s_waitcnt vmcnt(38)
	v_fmac_f32_e32 v156, v19, v43
	s_waitcnt vmcnt(37)
	v_mul_f32_e32 v23, v20, v44
	v_fma_f32 v3, v18, v43, -v3
	v_add_f32_e32 v22, v22, v156
	s_waitcnt vmcnt(36)
	v_fmac_f32_e32 v23, v21, v45
	ds_read2_b64 v[150:153], v1 offset0:105 offset1:106
	ds_read2_b64 v[154:157], v1 offset0:107 offset1:108
	v_add_f32_e32 v2, v2, v3
	v_mul_f32_e32 v3, v21, v44
	v_add_f32_e32 v22, v22, v23
	s_waitcnt vmcnt(35) lgkmcnt(7)
	v_mul_f32_e32 v23, v146, v46
	v_fma_f32 v3, v20, v45, -v3
	s_waitcnt vmcnt(34)
	v_fmac_f32_e32 v23, v147, v47
	v_add_f32_e32 v2, v2, v3
	v_mul_f32_e32 v3, v147, v46
	v_add_f32_e32 v22, v22, v23
	s_waitcnt vmcnt(33)
	v_mul_f32_e32 v23, v148, v48
	v_fma_f32 v3, v146, v47, -v3
	s_waitcnt vmcnt(32)
	v_fmac_f32_e32 v23, v149, v49
	v_add_f32_e32 v2, v2, v3
	v_mul_f32_e32 v3, v149, v48
	v_add_f32_e32 v22, v22, v23
	s_waitcnt vmcnt(31) lgkmcnt(1)
	v_mul_f32_e32 v23, v150, v50
	v_fma_f32 v3, v148, v49, -v3
	s_waitcnt vmcnt(30)
	v_fmac_f32_e32 v23, v151, v51
	v_add_f32_e32 v2, v2, v3
	v_mul_f32_e32 v3, v151, v50
	v_add_f32_e32 v22, v22, v23
	s_waitcnt vmcnt(29)
	v_mul_f32_e32 v23, v152, v52
	v_fma_f32 v3, v150, v51, -v3
	s_waitcnt vmcnt(28)
	v_fmac_f32_e32 v23, v153, v53
	v_add_f32_e32 v2, v2, v3
	v_mul_f32_e32 v3, v153, v52
	v_add_f32_e32 v22, v22, v23
	s_waitcnt vmcnt(27) lgkmcnt(0)
	v_mul_f32_e32 v23, v154, v54
	v_fma_f32 v3, v152, v53, -v3
	s_waitcnt vmcnt(26)
	v_fmac_f32_e32 v23, v155, v55
	v_add_f32_e32 v2, v2, v3
	v_mul_f32_e32 v3, v155, v54
	v_add_f32_e32 v22, v22, v23
	s_waitcnt vmcnt(24)
	v_mul_f32_e32 v23, v156, v57
	v_fma_f32 v3, v154, v55, -v3
	v_fmac_f32_e32 v23, v157, v56
	v_add_f32_e32 v2, v2, v3
	v_mul_f32_e32 v3, v157, v57
	v_add_f32_e32 v22, v22, v23
	s_waitcnt vmcnt(21)
	v_mul_f32_e32 v23, v158, v60
	v_fma_f32 v3, v156, v56, -v3
	s_waitcnt vmcnt(20)
	v_fmac_f32_e32 v23, v159, v61
	v_add_f32_e32 v2, v2, v3
	v_mul_f32_e32 v3, v159, v60
	v_add_f32_e32 v22, v22, v23
	s_waitcnt vmcnt(18)
	v_mul_f32_e32 v23, v160, v63
	v_fma_f32 v3, v158, v61, -v3
	v_fmac_f32_e32 v23, v161, v62
	v_add_f32_e32 v2, v2, v3
	v_mul_f32_e32 v3, v161, v63
	v_add_f32_e32 v22, v22, v23
	s_waitcnt vmcnt(16)
	v_mul_f32_e32 v23, v162, v65
	v_fma_f32 v3, v160, v62, -v3
	;; [unrolled: 7-line block ×7, first 2 shown]
	v_fmac_f32_e32 v23, v173, v185
	v_add_f32_e32 v2, v2, v3
	v_mul_f32_e32 v3, v173, v186
	v_add_f32_e32 v193, v22, v23
	ds_read_b64 v[22:23], v1 offset:952
	v_fma_f32 v3, v172, v185, -v3
	v_add_f32_e32 v2, v2, v3
	s_waitcnt vmcnt(4)
	v_mul_f32_e32 v3, v175, v188
	v_mul_f32_e32 v194, v174, v188
	v_fma_f32 v3, v174, v187, -v3
	v_fmac_f32_e32 v194, v175, v187
	v_add_f32_e32 v2, v2, v3
	s_waitcnt vmcnt(2)
	v_mul_f32_e32 v3, v177, v190
	v_add_f32_e32 v193, v193, v194
	v_mul_f32_e32 v194, v176, v190
	v_fma_f32 v3, v176, v189, -v3
	v_fmac_f32_e32 v194, v177, v189
	v_add_f32_e32 v2, v2, v3
	s_waitcnt vmcnt(0) lgkmcnt(0)
	v_mul_f32_e32 v3, v23, v192
	v_add_f32_e32 v193, v193, v194
	v_mul_f32_e32 v194, v22, v192
	v_fma_f32 v3, v22, v191, -v3
	v_fmac_f32_e32 v194, v23, v191
	v_add_f32_e32 v2, v2, v3
	v_add_f32_e32 v193, v193, v194
	v_sub_f32_e32 v2, v58, v2
	v_sub_f32_e32 v3, v59, v193
	buffer_store_dword v2, off, s[0:3], 0 offset:256
	buffer_store_dword v3, off, s[0:3], 0 offset:260
	s_and_saveexec_b64 s[4:5], vcc
	s_cbranch_execz .LBB123_311
; %bb.310:
	buffer_load_dword v2, off, s[0:3], 0 offset:248
	buffer_load_dword v3, off, s[0:3], 0 offset:252
	s_waitcnt vmcnt(0)
	ds_write_b64 v145, v[2:3]
	buffer_store_dword v1, off, s[0:3], 0 offset:248
	buffer_store_dword v1, off, s[0:3], 0 offset:252
.LBB123_311:
	s_or_b64 exec, exec, s[4:5]
	s_waitcnt lgkmcnt(0)
	; wave barrier
	buffer_load_dword v22, off, s[0:3], 0 offset:260
	buffer_load_dword v23, off, s[0:3], 0 offset:268
	;; [unrolled: 1-line block ×34, first 2 shown]
	ds_read_b128 v[2:5], v1 offset:736
	ds_read_b128 v[6:9], v1 offset:752
	buffer_load_dword v58, off, s[0:3], 0 offset:388
	buffer_load_dword v59, off, s[0:3], 0 offset:384
	;; [unrolled: 1-line block ×6, first 2 shown]
	ds_read_b128 v[10:13], v1 offset:768
	ds_read_b128 v[14:17], v1 offset:784
	;; [unrolled: 1-line block ×4, first 2 shown]
	buffer_load_dword v64, off, s[0:3], 0 offset:412
	buffer_load_dword v65, off, s[0:3], 0 offset:408
	;; [unrolled: 1-line block ×18, first 2 shown]
	v_cmp_lt_u32_e32 vcc, 30, v0
	s_waitcnt vmcnt(57) lgkmcnt(5)
	v_mul_f32_e32 v150, v2, v22
	s_waitcnt vmcnt(56)
	v_mul_f32_e32 v151, v4, v23
	s_waitcnt vmcnt(55) lgkmcnt(4)
	v_mul_f32_e32 v152, v6, v24
	s_waitcnt vmcnt(54)
	v_mul_f32_e32 v153, v8, v27
	;; [unrolled: 4-line block ×4, first 2 shown]
	s_waitcnt vmcnt(49)
	v_fmac_f32_e32 v150, v3, v32
	s_waitcnt vmcnt(48)
	v_fmac_f32_e32 v151, v5, v33
	v_add_f32_e32 v150, 0, v150
	s_waitcnt vmcnt(47)
	v_fmac_f32_e32 v152, v7, v34
	v_add_f32_e32 v150, v150, v151
	;; [unrolled: 3-line block ×4, first 2 shown]
	v_mul_f32_e32 v3, v3, v22
	s_waitcnt vmcnt(44)
	v_fmac_f32_e32 v155, v13, v37
	v_add_f32_e32 v150, v150, v154
	v_fma_f32 v2, v2, v32, -v3
	v_mul_f32_e32 v3, v5, v23
	s_waitcnt vmcnt(43)
	v_fmac_f32_e32 v156, v15, v38
	v_add_f32_e32 v150, v150, v155
	v_add_f32_e32 v2, 0, v2
	v_fma_f32 v3, v4, v33, -v3
	s_waitcnt vmcnt(42)
	v_fmac_f32_e32 v157, v17, v39
	v_add_f32_e32 v150, v150, v156
	s_waitcnt vmcnt(41) lgkmcnt(1)
	v_mul_f32_e32 v151, v18, v40
	v_add_f32_e32 v2, v2, v3
	v_mul_f32_e32 v3, v7, v24
	v_add_f32_e32 v150, v150, v157
	s_waitcnt vmcnt(40)
	v_fmac_f32_e32 v151, v19, v41
	v_fma_f32 v3, v6, v34, -v3
	v_add_f32_e32 v150, v150, v151
	s_waitcnt vmcnt(39)
	v_mul_f32_e32 v151, v20, v42
	v_add_f32_e32 v2, v2, v3
	v_mul_f32_e32 v3, v9, v27
	s_waitcnt vmcnt(38)
	v_fmac_f32_e32 v151, v21, v43
	v_fma_f32 v3, v8, v35, -v3
	v_add_f32_e32 v150, v150, v151
	s_waitcnt vmcnt(37) lgkmcnt(0)
	v_mul_f32_e32 v151, v146, v44
	v_add_f32_e32 v2, v2, v3
	v_mul_f32_e32 v3, v11, v28
	s_waitcnt vmcnt(36)
	v_fmac_f32_e32 v151, v147, v45
	v_fma_f32 v3, v10, v36, -v3
	v_add_f32_e32 v154, v150, v151
	ds_read_b128 v[150:153], v1 offset:832
	v_add_f32_e32 v2, v2, v3
	v_mul_f32_e32 v3, v13, v29
	v_fma_f32 v3, v12, v37, -v3
	s_waitcnt vmcnt(35)
	v_mul_f32_e32 v155, v148, v46
	v_add_f32_e32 v2, v2, v3
	v_mul_f32_e32 v3, v15, v30
	s_waitcnt vmcnt(34)
	v_fmac_f32_e32 v155, v149, v47
	v_fma_f32 v3, v14, v38, -v3
	v_add_f32_e32 v158, v154, v155
	ds_read_b128 v[154:157], v1 offset:848
	v_add_f32_e32 v2, v2, v3
	v_mul_f32_e32 v3, v17, v31
	s_waitcnt vmcnt(33) lgkmcnt(1)
	v_mul_f32_e32 v159, v150, v48
	v_fma_f32 v3, v16, v39, -v3
	s_waitcnt vmcnt(32)
	v_fmac_f32_e32 v159, v151, v49
	v_add_f32_e32 v2, v2, v3
	v_mul_f32_e32 v3, v19, v40
	v_add_f32_e32 v158, v158, v159
	s_waitcnt vmcnt(31)
	v_mul_f32_e32 v159, v152, v50
	v_fma_f32 v3, v18, v41, -v3
	s_waitcnt vmcnt(30)
	v_fmac_f32_e32 v159, v153, v51
	v_add_f32_e32 v2, v2, v3
	v_mul_f32_e32 v3, v21, v42
	v_add_f32_e32 v158, v158, v159
	s_waitcnt vmcnt(29) lgkmcnt(0)
	v_mul_f32_e32 v159, v154, v52
	v_fma_f32 v3, v20, v43, -v3
	s_waitcnt vmcnt(28)
	v_fmac_f32_e32 v159, v155, v53
	v_add_f32_e32 v2, v2, v3
	v_mul_f32_e32 v3, v147, v44
	v_add_f32_e32 v162, v158, v159
	ds_read_b128 v[158:161], v1 offset:864
	v_fma_f32 v3, v146, v45, -v3
	v_add_f32_e32 v2, v2, v3
	v_mul_f32_e32 v3, v149, v46
	s_waitcnt vmcnt(25)
	v_mul_f32_e32 v163, v156, v56
	v_fma_f32 v3, v148, v47, -v3
	s_waitcnt vmcnt(24)
	v_fmac_f32_e32 v163, v157, v57
	v_add_f32_e32 v2, v2, v3
	v_mul_f32_e32 v3, v151, v48
	v_add_f32_e32 v166, v162, v163
	ds_read_b128 v[162:165], v1 offset:880
	v_fma_f32 v3, v150, v49, -v3
	s_waitcnt vmcnt(23) lgkmcnt(1)
	v_mul_f32_e32 v167, v158, v58
	v_add_f32_e32 v2, v2, v3
	v_mul_f32_e32 v3, v153, v50
	s_waitcnt vmcnt(22)
	v_fmac_f32_e32 v167, v159, v59
	v_fma_f32 v3, v152, v51, -v3
	v_add_f32_e32 v166, v166, v167
	s_waitcnt vmcnt(20)
	v_mul_f32_e32 v167, v160, v61
	v_add_f32_e32 v2, v2, v3
	v_mul_f32_e32 v3, v155, v52
	v_fmac_f32_e32 v167, v161, v60
	v_fma_f32 v3, v154, v53, -v3
	v_add_f32_e32 v166, v166, v167
	s_waitcnt vmcnt(18) lgkmcnt(0)
	v_mul_f32_e32 v167, v162, v63
	v_add_f32_e32 v2, v2, v3
	v_mul_f32_e32 v3, v157, v56
	v_fmac_f32_e32 v167, v163, v62
	v_fma_f32 v3, v156, v57, -v3
	v_add_f32_e32 v170, v166, v167
	ds_read_b128 v[166:169], v1 offset:896
	v_add_f32_e32 v2, v2, v3
	v_mul_f32_e32 v3, v159, v58
	v_fma_f32 v3, v158, v59, -v3
	s_waitcnt vmcnt(17)
	v_mul_f32_e32 v171, v164, v64
	v_add_f32_e32 v2, v2, v3
	v_mul_f32_e32 v3, v161, v61
	s_waitcnt vmcnt(16)
	v_fmac_f32_e32 v171, v165, v65
	v_fma_f32 v3, v160, v60, -v3
	v_add_f32_e32 v174, v170, v171
	ds_read_b128 v[170:173], v1 offset:912
	v_add_f32_e32 v2, v2, v3
	v_mul_f32_e32 v3, v163, v63
	s_waitcnt vmcnt(14) lgkmcnt(1)
	v_mul_f32_e32 v175, v166, v182
	v_fma_f32 v3, v162, v62, -v3
	v_fmac_f32_e32 v175, v167, v66
	v_add_f32_e32 v2, v2, v3
	v_mul_f32_e32 v3, v165, v64
	v_add_f32_e32 v174, v174, v175
	s_waitcnt vmcnt(12)
	v_mul_f32_e32 v175, v168, v184
	v_fma_f32 v3, v164, v65, -v3
	v_fmac_f32_e32 v175, v169, v183
	v_add_f32_e32 v2, v2, v3
	v_mul_f32_e32 v3, v167, v182
	v_add_f32_e32 v174, v174, v175
	s_waitcnt vmcnt(10) lgkmcnt(0)
	v_mul_f32_e32 v175, v170, v186
	v_fma_f32 v3, v166, v66, -v3
	v_fmac_f32_e32 v175, v171, v185
	v_add_f32_e32 v2, v2, v3
	v_mul_f32_e32 v3, v169, v184
	v_add_f32_e32 v178, v174, v175
	ds_read_b128 v[174:177], v1 offset:928
	v_fma_f32 v3, v168, v183, -v3
	v_add_f32_e32 v2, v2, v3
	v_mul_f32_e32 v3, v171, v186
	s_waitcnt vmcnt(8)
	v_mul_f32_e32 v179, v172, v188
	v_fma_f32 v3, v170, v185, -v3
	v_fmac_f32_e32 v179, v173, v187
	v_add_f32_e32 v2, v2, v3
	v_mul_f32_e32 v3, v173, v188
	v_add_f32_e32 v197, v178, v179
	ds_read_b128 v[178:181], v1 offset:944
	v_fma_f32 v3, v172, v187, -v3
	v_add_f32_e32 v2, v2, v3
	s_waitcnt vmcnt(6) lgkmcnt(1)
	v_mul_f32_e32 v3, v175, v190
	v_mul_f32_e32 v1, v174, v190
	v_fma_f32 v3, v174, v189, -v3
	v_fmac_f32_e32 v1, v175, v189
	v_add_f32_e32 v2, v2, v3
	s_waitcnt vmcnt(4)
	v_mul_f32_e32 v3, v177, v192
	v_add_f32_e32 v1, v197, v1
	v_mul_f32_e32 v197, v176, v192
	v_fma_f32 v3, v176, v191, -v3
	v_fmac_f32_e32 v197, v177, v191
	v_add_f32_e32 v2, v2, v3
	s_waitcnt vmcnt(2) lgkmcnt(0)
	v_mul_f32_e32 v3, v179, v194
	v_add_f32_e32 v1, v1, v197
	v_mul_f32_e32 v197, v178, v194
	v_fma_f32 v3, v178, v193, -v3
	v_fmac_f32_e32 v197, v179, v193
	v_add_f32_e32 v2, v2, v3
	s_waitcnt vmcnt(0)
	v_mul_f32_e32 v3, v181, v196
	v_add_f32_e32 v1, v1, v197
	v_mul_f32_e32 v197, v180, v196
	v_fma_f32 v3, v180, v195, -v3
	v_fmac_f32_e32 v197, v181, v195
	v_add_f32_e32 v2, v2, v3
	v_add_f32_e32 v1, v1, v197
	v_sub_f32_e32 v2, v54, v2
	v_sub_f32_e32 v1, v55, v1
	buffer_store_dword v2, off, s[0:3], 0 offset:248
	buffer_store_dword v1, off, s[0:3], 0 offset:252
	s_and_saveexec_b64 s[4:5], vcc
	s_cbranch_execz .LBB123_313
; %bb.312:
	buffer_load_dword v1, off, s[0:3], 0 offset:240
	buffer_load_dword v2, off, s[0:3], 0 offset:244
	v_mov_b32_e32 v3, 0
	buffer_store_dword v3, off, s[0:3], 0 offset:240
	buffer_store_dword v3, off, s[0:3], 0 offset:244
	s_waitcnt vmcnt(2)
	ds_write_b64 v145, v[1:2]
.LBB123_313:
	s_or_b64 exec, exec, s[4:5]
	s_waitcnt lgkmcnt(0)
	; wave barrier
	buffer_load_dword v24, off, s[0:3], 0 offset:252
	buffer_load_dword v27, off, s[0:3], 0 offset:260
	;; [unrolled: 1-line block ×60, first 2 shown]
	v_mov_b32_e32 v1, 0
	ds_read2_b64 v[2:5], v1 offset0:91 offset1:92
	ds_read2_b64 v[6:9], v1 offset0:93 offset1:94
	;; [unrolled: 1-line block ×12, first 2 shown]
	v_cmp_lt_u32_e32 vcc, 29, v0
	s_waitcnt vmcnt(59) lgkmcnt(11)
	v_mul_f32_e32 v22, v2, v24
	s_waitcnt vmcnt(58)
	v_mul_f32_e32 v23, v4, v27
	s_waitcnt vmcnt(57) lgkmcnt(10)
	v_mul_f32_e32 v146, v6, v28
	s_waitcnt vmcnt(56)
	v_mul_f32_e32 v147, v8, v29
	;; [unrolled: 4-line block ×3, first 2 shown]
	s_waitcnt vmcnt(53) lgkmcnt(8)
	v_mul_f32_e32 v150, v14, v32
	s_waitcnt vmcnt(52)
	v_fmac_f32_e32 v22, v3, v33
	v_mul_f32_e32 v3, v3, v24
	v_fma_f32 v2, v2, v33, -v3
	v_mul_f32_e32 v3, v5, v27
	v_add_f32_e32 v2, 0, v2
	s_waitcnt vmcnt(51)
	v_fma_f32 v3, v4, v34, -v3
	v_add_f32_e32 v2, v2, v3
	v_mul_f32_e32 v3, v7, v28
	s_waitcnt vmcnt(50)
	v_fma_f32 v3, v6, v35, -v3
	v_add_f32_e32 v2, v2, v3
	v_mul_f32_e32 v3, v9, v29
	s_waitcnt vmcnt(49)
	v_fma_f32 v3, v8, v36, -v3
	v_fmac_f32_e32 v23, v5, v34
	v_add_f32_e32 v22, 0, v22
	v_add_f32_e32 v2, v2, v3
	v_mul_f32_e32 v3, v11, v30
	v_fmac_f32_e32 v146, v7, v35
	v_add_f32_e32 v22, v22, v23
	s_waitcnt vmcnt(48)
	v_fma_f32 v3, v10, v37, -v3
	v_fmac_f32_e32 v147, v9, v36
	v_add_f32_e32 v22, v22, v146
	v_add_f32_e32 v2, v2, v3
	v_mul_f32_e32 v3, v13, v31
	v_fmac_f32_e32 v148, v11, v37
	v_add_f32_e32 v22, v22, v147
	s_waitcnt vmcnt(47)
	v_fma_f32 v3, v12, v38, -v3
	v_fmac_f32_e32 v149, v13, v38
	v_add_f32_e32 v22, v22, v148
	v_add_f32_e32 v2, v2, v3
	v_mul_f32_e32 v3, v15, v32
	s_waitcnt vmcnt(46)
	v_fmac_f32_e32 v150, v15, v39
	v_add_f32_e32 v22, v22, v149
	s_waitcnt vmcnt(45)
	v_mul_f32_e32 v23, v16, v40
	v_fma_f32 v3, v14, v39, -v3
	v_add_f32_e32 v22, v22, v150
	s_waitcnt vmcnt(44)
	v_fmac_f32_e32 v23, v17, v41
	ds_read2_b64 v[146:149], v1 offset0:101 offset1:102
	ds_read2_b64 v[150:153], v1 offset0:103 offset1:104
	v_add_f32_e32 v2, v2, v3
	v_mul_f32_e32 v3, v17, v40
	v_add_f32_e32 v22, v22, v23
	s_waitcnt vmcnt(43) lgkmcnt(9)
	v_mul_f32_e32 v23, v18, v42
	v_fma_f32 v3, v16, v41, -v3
	s_waitcnt vmcnt(42)
	v_fmac_f32_e32 v23, v19, v43
	v_add_f32_e32 v2, v2, v3
	v_mul_f32_e32 v3, v19, v42
	v_add_f32_e32 v22, v22, v23
	s_waitcnt vmcnt(41)
	v_mul_f32_e32 v23, v20, v44
	v_fma_f32 v3, v18, v43, -v3
	s_waitcnt vmcnt(40)
	v_fmac_f32_e32 v23, v21, v45
	v_add_f32_e32 v2, v2, v3
	v_mul_f32_e32 v3, v21, v44
	v_add_f32_e32 v22, v22, v23
	s_waitcnt vmcnt(39) lgkmcnt(1)
	v_mul_f32_e32 v23, v146, v46
	v_fma_f32 v3, v20, v45, -v3
	s_waitcnt vmcnt(38)
	v_fmac_f32_e32 v23, v147, v47
	v_add_f32_e32 v2, v2, v3
	v_mul_f32_e32 v3, v147, v46
	v_add_f32_e32 v22, v22, v23
	s_waitcnt vmcnt(37)
	v_mul_f32_e32 v23, v148, v48
	v_fma_f32 v3, v146, v47, -v3
	s_waitcnt vmcnt(36)
	v_fmac_f32_e32 v23, v149, v49
	v_add_f32_e32 v2, v2, v3
	v_mul_f32_e32 v3, v149, v48
	v_add_f32_e32 v22, v22, v23
	s_waitcnt vmcnt(34) lgkmcnt(0)
	v_mul_f32_e32 v23, v150, v51
	v_fma_f32 v3, v148, v49, -v3
	v_fmac_f32_e32 v23, v151, v50
	v_add_f32_e32 v2, v2, v3
	v_mul_f32_e32 v3, v151, v51
	v_add_f32_e32 v22, v22, v23
	s_waitcnt vmcnt(31)
	v_mul_f32_e32 v23, v152, v54
	v_fma_f32 v3, v150, v50, -v3
	s_waitcnt vmcnt(30)
	v_fmac_f32_e32 v23, v153, v55
	v_add_f32_e32 v2, v2, v3
	v_mul_f32_e32 v3, v153, v54
	v_add_f32_e32 v22, v22, v23
	s_waitcnt vmcnt(28)
	v_mul_f32_e32 v23, v154, v57
	v_fma_f32 v3, v152, v55, -v3
	v_fmac_f32_e32 v23, v155, v56
	v_add_f32_e32 v2, v2, v3
	v_mul_f32_e32 v3, v155, v57
	v_add_f32_e32 v22, v22, v23
	s_waitcnt vmcnt(26)
	v_mul_f32_e32 v23, v156, v59
	v_fma_f32 v3, v154, v56, -v3
	;; [unrolled: 7-line block ×12, first 2 shown]
	v_fmac_f32_e32 v23, v177, v193
	v_add_f32_e32 v2, v2, v3
	v_mul_f32_e32 v3, v177, v194
	v_add_f32_e32 v201, v22, v23
	ds_read_b64 v[22:23], v1 offset:952
	v_fma_f32 v3, v176, v193, -v3
	v_add_f32_e32 v2, v2, v3
	s_waitcnt vmcnt(4)
	v_mul_f32_e32 v3, v179, v196
	v_mul_f32_e32 v202, v178, v196
	v_fma_f32 v3, v178, v195, -v3
	v_fmac_f32_e32 v202, v179, v195
	v_add_f32_e32 v2, v2, v3
	s_waitcnt vmcnt(2)
	v_mul_f32_e32 v3, v181, v198
	v_add_f32_e32 v201, v201, v202
	v_mul_f32_e32 v202, v180, v198
	v_fma_f32 v3, v180, v197, -v3
	v_fmac_f32_e32 v202, v181, v197
	v_add_f32_e32 v2, v2, v3
	s_waitcnt vmcnt(0) lgkmcnt(0)
	v_mul_f32_e32 v3, v23, v200
	v_add_f32_e32 v201, v201, v202
	v_mul_f32_e32 v202, v22, v200
	v_fma_f32 v3, v22, v199, -v3
	v_fmac_f32_e32 v202, v23, v199
	v_add_f32_e32 v2, v2, v3
	v_add_f32_e32 v201, v201, v202
	v_sub_f32_e32 v2, v52, v2
	v_sub_f32_e32 v3, v53, v201
	buffer_store_dword v2, off, s[0:3], 0 offset:240
	buffer_store_dword v3, off, s[0:3], 0 offset:244
	s_and_saveexec_b64 s[4:5], vcc
	s_cbranch_execz .LBB123_315
; %bb.314:
	buffer_load_dword v2, off, s[0:3], 0 offset:232
	buffer_load_dword v3, off, s[0:3], 0 offset:236
	s_waitcnt vmcnt(0)
	ds_write_b64 v145, v[2:3]
	buffer_store_dword v1, off, s[0:3], 0 offset:232
	buffer_store_dword v1, off, s[0:3], 0 offset:236
.LBB123_315:
	s_or_b64 exec, exec, s[4:5]
	s_waitcnt lgkmcnt(0)
	; wave barrier
	buffer_load_dword v22, off, s[0:3], 0 offset:244
	buffer_load_dword v23, off, s[0:3], 0 offset:252
	;; [unrolled: 1-line block ×32, first 2 shown]
	ds_read_b128 v[2:5], v1 offset:720
	ds_read_b128 v[6:9], v1 offset:736
	;; [unrolled: 1-line block ×4, first 2 shown]
	buffer_load_dword v56, off, s[0:3], 0 offset:364
	buffer_load_dword v57, off, s[0:3], 0 offset:360
	;; [unrolled: 1-line block ×30, first 2 shown]
	v_cmp_lt_u32_e32 vcc, 28, v0
	s_waitcnt vmcnt(61) lgkmcnt(3)
	v_mul_f32_e32 v18, v2, v22
	s_waitcnt vmcnt(60)
	v_mul_f32_e32 v19, v4, v23
	s_waitcnt vmcnt(59) lgkmcnt(2)
	v_mul_f32_e32 v20, v6, v24
	s_waitcnt vmcnt(58)
	v_mul_f32_e32 v21, v8, v27
	;; [unrolled: 4-line block ×3, first 2 shown]
	s_waitcnt vmcnt(55) lgkmcnt(0)
	v_mul_f32_e32 v148, v14, v30
	s_waitcnt vmcnt(54)
	v_fmac_f32_e32 v18, v3, v31
	s_waitcnt vmcnt(53)
	v_fmac_f32_e32 v19, v5, v32
	v_add_f32_e32 v18, 0, v18
	s_waitcnt vmcnt(52)
	v_fmac_f32_e32 v20, v7, v33
	v_add_f32_e32 v18, v18, v19
	;; [unrolled: 3-line block ×6, first 2 shown]
	v_add_f32_e32 v146, v18, v148
	ds_read_b128 v[18:21], v1 offset:784
	s_waitcnt vmcnt(47)
	v_mul_f32_e32 v147, v16, v38
	s_waitcnt vmcnt(46)
	v_fmac_f32_e32 v147, v17, v39
	v_mul_f32_e32 v3, v3, v22
	v_add_f32_e32 v150, v146, v147
	ds_read_b128 v[146:149], v1 offset:800
	v_fma_f32 v2, v2, v31, -v3
	v_mul_f32_e32 v3, v5, v23
	s_waitcnt vmcnt(45) lgkmcnt(1)
	v_mul_f32_e32 v151, v18, v40
	v_add_f32_e32 v2, 0, v2
	v_fma_f32 v3, v4, v32, -v3
	s_waitcnt vmcnt(44)
	v_fmac_f32_e32 v151, v19, v41
	v_add_f32_e32 v2, v2, v3
	v_mul_f32_e32 v3, v7, v24
	v_add_f32_e32 v150, v150, v151
	s_waitcnt vmcnt(43)
	v_mul_f32_e32 v151, v20, v42
	v_fma_f32 v3, v6, v33, -v3
	s_waitcnt vmcnt(42)
	v_fmac_f32_e32 v151, v21, v43
	v_add_f32_e32 v2, v2, v3
	v_mul_f32_e32 v3, v9, v27
	v_add_f32_e32 v150, v150, v151
	s_waitcnt vmcnt(41) lgkmcnt(0)
	v_mul_f32_e32 v151, v146, v44
	v_fma_f32 v3, v8, v34, -v3
	s_waitcnt vmcnt(40)
	v_fmac_f32_e32 v151, v147, v45
	v_add_f32_e32 v2, v2, v3
	v_mul_f32_e32 v3, v11, v28
	v_add_f32_e32 v154, v150, v151
	ds_read_b128 v[150:153], v1 offset:816
	v_fma_f32 v3, v10, v35, -v3
	v_add_f32_e32 v2, v2, v3
	v_mul_f32_e32 v3, v13, v29
	s_waitcnt vmcnt(39)
	v_mul_f32_e32 v155, v148, v46
	v_fma_f32 v3, v12, v36, -v3
	s_waitcnt vmcnt(38)
	v_fmac_f32_e32 v155, v149, v47
	v_add_f32_e32 v2, v2, v3
	v_mul_f32_e32 v3, v15, v30
	v_add_f32_e32 v158, v154, v155
	ds_read_b128 v[154:157], v1 offset:832
	v_fma_f32 v3, v14, v37, -v3
	s_waitcnt vmcnt(35) lgkmcnt(1)
	v_mul_f32_e32 v159, v150, v50
	v_add_f32_e32 v2, v2, v3
	v_mul_f32_e32 v3, v17, v38
	s_waitcnt vmcnt(34)
	v_fmac_f32_e32 v159, v151, v51
	v_fma_f32 v3, v16, v39, -v3
	v_add_f32_e32 v158, v158, v159
	s_waitcnt vmcnt(32)
	v_mul_f32_e32 v159, v152, v53
	v_add_f32_e32 v2, v2, v3
	v_mul_f32_e32 v3, v19, v40
	v_fmac_f32_e32 v159, v153, v52
	v_fma_f32 v3, v18, v41, -v3
	v_add_f32_e32 v158, v158, v159
	s_waitcnt vmcnt(30) lgkmcnt(0)
	v_mul_f32_e32 v159, v154, v55
	v_add_f32_e32 v2, v2, v3
	v_mul_f32_e32 v3, v21, v42
	v_fmac_f32_e32 v159, v155, v54
	v_fma_f32 v3, v20, v43, -v3
	v_add_f32_e32 v162, v158, v159
	ds_read_b128 v[158:161], v1 offset:848
	v_add_f32_e32 v2, v2, v3
	v_mul_f32_e32 v3, v147, v44
	v_fma_f32 v3, v146, v45, -v3
	s_waitcnt vmcnt(29)
	v_mul_f32_e32 v163, v156, v56
	v_add_f32_e32 v2, v2, v3
	v_mul_f32_e32 v3, v149, v46
	s_waitcnt vmcnt(28)
	v_fmac_f32_e32 v163, v157, v57
	v_fma_f32 v3, v148, v47, -v3
	v_add_f32_e32 v166, v162, v163
	ds_read_b128 v[162:165], v1 offset:864
	v_add_f32_e32 v2, v2, v3
	v_mul_f32_e32 v3, v151, v50
	s_waitcnt vmcnt(26) lgkmcnt(1)
	v_mul_f32_e32 v167, v158, v59
	v_fma_f32 v3, v150, v51, -v3
	v_fmac_f32_e32 v167, v159, v58
	v_add_f32_e32 v2, v2, v3
	v_mul_f32_e32 v3, v153, v53
	v_add_f32_e32 v166, v166, v167
	s_waitcnt vmcnt(24)
	v_mul_f32_e32 v167, v160, v61
	v_fma_f32 v3, v152, v52, -v3
	v_fmac_f32_e32 v167, v161, v60
	v_add_f32_e32 v2, v2, v3
	v_mul_f32_e32 v3, v155, v55
	v_add_f32_e32 v166, v166, v167
	s_waitcnt vmcnt(22) lgkmcnt(0)
	v_mul_f32_e32 v167, v162, v63
	v_fma_f32 v3, v154, v54, -v3
	v_fmac_f32_e32 v167, v163, v62
	v_add_f32_e32 v2, v2, v3
	v_mul_f32_e32 v3, v157, v56
	v_add_f32_e32 v170, v166, v167
	ds_read_b128 v[166:169], v1 offset:880
	v_fma_f32 v3, v156, v57, -v3
	v_add_f32_e32 v2, v2, v3
	v_mul_f32_e32 v3, v159, v59
	s_waitcnt vmcnt(20)
	v_mul_f32_e32 v171, v164, v65
	v_fma_f32 v3, v158, v58, -v3
	v_fmac_f32_e32 v171, v165, v64
	v_add_f32_e32 v2, v2, v3
	v_mul_f32_e32 v3, v161, v61
	v_add_f32_e32 v174, v170, v171
	ds_read_b128 v[170:173], v1 offset:896
	v_fma_f32 v3, v160, v60, -v3
	s_waitcnt vmcnt(18) lgkmcnt(1)
	v_mul_f32_e32 v175, v166, v186
	v_add_f32_e32 v2, v2, v3
	v_mul_f32_e32 v3, v163, v63
	v_fmac_f32_e32 v175, v167, v66
	v_fma_f32 v3, v162, v62, -v3
	v_add_f32_e32 v174, v174, v175
	s_waitcnt vmcnt(16)
	v_mul_f32_e32 v175, v168, v188
	v_add_f32_e32 v2, v2, v3
	v_mul_f32_e32 v3, v165, v65
	v_fmac_f32_e32 v175, v169, v187
	v_fma_f32 v3, v164, v64, -v3
	v_add_f32_e32 v174, v174, v175
	s_waitcnt vmcnt(14) lgkmcnt(0)
	v_mul_f32_e32 v175, v170, v190
	v_add_f32_e32 v2, v2, v3
	v_mul_f32_e32 v3, v167, v186
	v_fmac_f32_e32 v175, v171, v189
	v_fma_f32 v3, v166, v66, -v3
	v_add_f32_e32 v178, v174, v175
	ds_read_b128 v[174:177], v1 offset:912
	v_add_f32_e32 v2, v2, v3
	v_mul_f32_e32 v3, v169, v188
	v_fma_f32 v3, v168, v187, -v3
	v_add_f32_e32 v2, v2, v3
	v_mul_f32_e32 v3, v171, v190
	s_waitcnt vmcnt(12)
	v_mul_f32_e32 v179, v172, v192
	v_fma_f32 v3, v170, v189, -v3
	v_fmac_f32_e32 v179, v173, v191
	v_add_f32_e32 v2, v2, v3
	v_mul_f32_e32 v3, v173, v192
	v_add_f32_e32 v182, v178, v179
	ds_read_b128 v[178:181], v1 offset:928
	s_waitcnt vmcnt(10) lgkmcnt(1)
	v_mul_f32_e32 v183, v174, v194
	v_fma_f32 v3, v172, v191, -v3
	v_fmac_f32_e32 v183, v175, v193
	v_add_f32_e32 v2, v2, v3
	v_mul_f32_e32 v3, v175, v194
	v_add_f32_e32 v182, v182, v183
	s_waitcnt vmcnt(8)
	v_mul_f32_e32 v183, v176, v196
	v_fma_f32 v3, v174, v193, -v3
	v_fmac_f32_e32 v183, v177, v195
	v_add_f32_e32 v2, v2, v3
	v_mul_f32_e32 v3, v177, v196
	v_add_f32_e32 v205, v182, v183
	ds_read_b128 v[182:185], v1 offset:944
	v_fma_f32 v3, v176, v195, -v3
	v_add_f32_e32 v2, v2, v3
	s_waitcnt vmcnt(6) lgkmcnt(1)
	v_mul_f32_e32 v3, v179, v198
	v_mul_f32_e32 v206, v178, v198
	v_fma_f32 v3, v178, v197, -v3
	v_fmac_f32_e32 v206, v179, v197
	v_add_f32_e32 v2, v2, v3
	s_waitcnt vmcnt(4)
	v_mul_f32_e32 v3, v181, v200
	v_add_f32_e32 v1, v205, v206
	v_mul_f32_e32 v205, v180, v200
	v_fma_f32 v3, v180, v199, -v3
	v_fmac_f32_e32 v205, v181, v199
	v_add_f32_e32 v2, v2, v3
	s_waitcnt vmcnt(2) lgkmcnt(0)
	v_mul_f32_e32 v3, v183, v202
	v_add_f32_e32 v1, v1, v205
	v_mul_f32_e32 v205, v182, v202
	v_fma_f32 v3, v182, v201, -v3
	v_fmac_f32_e32 v205, v183, v201
	v_add_f32_e32 v2, v2, v3
	s_waitcnt vmcnt(0)
	v_mul_f32_e32 v3, v185, v204
	v_add_f32_e32 v1, v1, v205
	v_mul_f32_e32 v205, v184, v204
	v_fma_f32 v3, v184, v203, -v3
	v_fmac_f32_e32 v205, v185, v203
	v_add_f32_e32 v2, v2, v3
	v_add_f32_e32 v1, v1, v205
	v_sub_f32_e32 v2, v48, v2
	v_sub_f32_e32 v1, v49, v1
	buffer_store_dword v2, off, s[0:3], 0 offset:232
	buffer_store_dword v1, off, s[0:3], 0 offset:236
	s_and_saveexec_b64 s[4:5], vcc
	s_cbranch_execz .LBB123_317
; %bb.316:
	buffer_load_dword v1, off, s[0:3], 0 offset:224
	buffer_load_dword v2, off, s[0:3], 0 offset:228
	v_mov_b32_e32 v3, 0
	buffer_store_dword v3, off, s[0:3], 0 offset:224
	buffer_store_dword v3, off, s[0:3], 0 offset:228
	s_waitcnt vmcnt(2)
	ds_write_b64 v145, v[1:2]
.LBB123_317:
	s_or_b64 exec, exec, s[4:5]
	s_waitcnt lgkmcnt(0)
	; wave barrier
	buffer_load_dword v24, off, s[0:3], 0 offset:236
	buffer_load_dword v27, off, s[0:3], 0 offset:244
	;; [unrolled: 1-line block ×24, first 2 shown]
	v_mov_b32_e32 v1, 0
	buffer_load_dword v50, off, s[0:3], 0 offset:324
	buffer_load_dword v51, off, s[0:3], 0 offset:320
	;; [unrolled: 1-line block ×32, first 2 shown]
	ds_read2_b64 v[2:5], v1 offset0:89 offset1:90
	buffer_load_dword v201, off, s[0:3], 0 offset:448
	buffer_load_dword v202, off, s[0:3], 0 offset:452
	;; [unrolled: 1-line block ×4, first 2 shown]
	ds_read2_b64 v[6:9], v1 offset0:91 offset1:92
	ds_read2_b64 v[10:13], v1 offset0:93 offset1:94
	;; [unrolled: 1-line block ×3, first 2 shown]
	v_cmp_lt_u32_e32 vcc, 27, v0
	s_waitcnt vmcnt(59) lgkmcnt(3)
	v_mul_f32_e32 v18, v2, v24
	s_waitcnt vmcnt(58)
	v_mul_f32_e32 v19, v4, v27
	s_waitcnt vmcnt(57) lgkmcnt(2)
	v_mul_f32_e32 v20, v6, v28
	s_waitcnt vmcnt(56)
	v_mul_f32_e32 v21, v8, v29
	s_waitcnt vmcnt(55) lgkmcnt(1)
	v_mul_f32_e32 v22, v10, v30
	s_waitcnt vmcnt(54)
	v_mul_f32_e32 v23, v12, v31
	s_waitcnt vmcnt(53) lgkmcnt(0)
	v_mul_f32_e32 v146, v14, v32
	s_waitcnt vmcnt(52)
	v_mul_f32_e32 v147, v16, v33
	s_waitcnt vmcnt(51)
	v_fmac_f32_e32 v18, v3, v34
	s_waitcnt vmcnt(50)
	v_fmac_f32_e32 v19, v5, v35
	v_add_f32_e32 v18, 0, v18
	s_waitcnt vmcnt(49)
	v_fmac_f32_e32 v20, v7, v36
	v_add_f32_e32 v18, v18, v19
	;; [unrolled: 3-line block ×6, first 2 shown]
	v_add_f32_e32 v22, v18, v146
	ds_read2_b64 v[18:21], v1 offset0:97 offset1:98
	buffer_load_dword v205, off, s[0:3], 0 offset:468
	buffer_load_dword v206, off, s[0:3], 0 offset:464
	;; [unrolled: 1-line block ×4, first 2 shown]
	v_mul_f32_e32 v3, v3, v24
	v_fma_f32 v2, v2, v34, -v3
	v_mul_f32_e32 v3, v5, v27
	v_add_f32_e32 v2, 0, v2
	v_fma_f32 v3, v4, v35, -v3
	v_add_f32_e32 v2, v2, v3
	v_mul_f32_e32 v3, v7, v28
	v_fma_f32 v3, v6, v36, -v3
	v_add_f32_e32 v2, v2, v3
	v_mul_f32_e32 v3, v9, v29
	;; [unrolled: 3-line block ×5, first 2 shown]
	s_waitcnt vmcnt(48)
	v_fmac_f32_e32 v147, v17, v41
	v_fma_f32 v3, v14, v40, -v3
	v_add_f32_e32 v22, v22, v147
	ds_read2_b64 v[146:149], v1 offset0:99 offset1:100
	ds_read2_b64 v[150:153], v1 offset0:101 offset1:102
	v_add_f32_e32 v2, v2, v3
	v_mul_f32_e32 v3, v17, v33
	s_waitcnt vmcnt(47) lgkmcnt(2)
	v_mul_f32_e32 v23, v18, v42
	v_fma_f32 v3, v16, v41, -v3
	s_waitcnt vmcnt(46)
	v_fmac_f32_e32 v23, v19, v43
	v_add_f32_e32 v2, v2, v3
	v_mul_f32_e32 v3, v19, v42
	v_add_f32_e32 v22, v22, v23
	s_waitcnt vmcnt(45)
	v_mul_f32_e32 v23, v20, v44
	v_fma_f32 v3, v18, v43, -v3
	s_waitcnt vmcnt(44)
	v_fmac_f32_e32 v23, v21, v45
	v_add_f32_e32 v2, v2, v3
	v_mul_f32_e32 v3, v21, v44
	v_add_f32_e32 v22, v22, v23
	s_waitcnt vmcnt(42) lgkmcnt(1)
	v_mul_f32_e32 v23, v146, v47
	v_fma_f32 v3, v20, v45, -v3
	v_fmac_f32_e32 v23, v147, v46
	v_add_f32_e32 v2, v2, v3
	v_mul_f32_e32 v3, v147, v47
	v_add_f32_e32 v22, v22, v23
	s_waitcnt vmcnt(39)
	v_mul_f32_e32 v23, v148, v50
	v_fma_f32 v3, v146, v46, -v3
	s_waitcnt vmcnt(38)
	v_fmac_f32_e32 v23, v149, v51
	ds_read2_b64 v[154:157], v1 offset0:103 offset1:104
	ds_read2_b64 v[158:161], v1 offset0:105 offset1:106
	v_add_f32_e32 v2, v2, v3
	v_mul_f32_e32 v3, v149, v50
	v_add_f32_e32 v22, v22, v23
	s_waitcnt vmcnt(36) lgkmcnt(2)
	v_mul_f32_e32 v23, v150, v53
	v_fma_f32 v3, v148, v51, -v3
	v_fmac_f32_e32 v23, v151, v52
	v_add_f32_e32 v2, v2, v3
	v_mul_f32_e32 v3, v151, v53
	v_add_f32_e32 v22, v22, v23
	s_waitcnt vmcnt(34)
	v_mul_f32_e32 v23, v152, v55
	v_fma_f32 v3, v150, v52, -v3
	v_fmac_f32_e32 v23, v153, v54
	v_add_f32_e32 v2, v2, v3
	v_mul_f32_e32 v3, v153, v55
	v_add_f32_e32 v22, v22, v23
	s_waitcnt vmcnt(32) lgkmcnt(1)
	v_mul_f32_e32 v23, v154, v57
	v_fma_f32 v3, v152, v54, -v3
	v_fmac_f32_e32 v23, v155, v56
	v_add_f32_e32 v2, v2, v3
	v_mul_f32_e32 v3, v155, v57
	v_add_f32_e32 v22, v22, v23
	s_waitcnt vmcnt(30)
	v_mul_f32_e32 v23, v156, v59
	v_fma_f32 v3, v154, v56, -v3
	v_fmac_f32_e32 v23, v157, v58
	ds_read2_b64 v[162:165], v1 offset0:107 offset1:108
	ds_read2_b64 v[166:169], v1 offset0:109 offset1:110
	v_add_f32_e32 v2, v2, v3
	v_mul_f32_e32 v3, v157, v59
	v_add_f32_e32 v22, v22, v23
	s_waitcnt vmcnt(28) lgkmcnt(2)
	v_mul_f32_e32 v23, v158, v61
	v_fma_f32 v3, v156, v58, -v3
	v_fmac_f32_e32 v23, v159, v60
	v_add_f32_e32 v2, v2, v3
	v_mul_f32_e32 v3, v159, v61
	v_add_f32_e32 v22, v22, v23
	s_waitcnt vmcnt(26)
	v_mul_f32_e32 v23, v160, v63
	v_fma_f32 v3, v158, v60, -v3
	v_fmac_f32_e32 v23, v161, v62
	v_add_f32_e32 v2, v2, v3
	v_mul_f32_e32 v3, v161, v63
	v_add_f32_e32 v22, v22, v23
	s_waitcnt vmcnt(24) lgkmcnt(1)
	v_mul_f32_e32 v23, v162, v65
	v_fma_f32 v3, v160, v62, -v3
	v_fmac_f32_e32 v23, v163, v64
	v_add_f32_e32 v2, v2, v3
	v_mul_f32_e32 v3, v163, v65
	v_add_f32_e32 v22, v22, v23
	s_waitcnt vmcnt(22)
	v_mul_f32_e32 v23, v164, v186
	v_fma_f32 v3, v162, v64, -v3
	;; [unrolled: 30-line block ×4, first 2 shown]
	v_fmac_f32_e32 v23, v181, v201
	v_add_f32_e32 v2, v2, v3
	v_mul_f32_e32 v3, v181, v202
	v_add_f32_e32 v209, v22, v23
	ds_read_b64 v[22:23], v1 offset:952
	v_fma_f32 v3, v180, v201, -v3
	v_add_f32_e32 v2, v2, v3
	s_waitcnt vmcnt(4) lgkmcnt(1)
	v_mul_f32_e32 v3, v183, v204
	v_mul_f32_e32 v210, v182, v204
	v_fma_f32 v3, v182, v203, -v3
	v_fmac_f32_e32 v210, v183, v203
	v_add_f32_e32 v2, v2, v3
	s_waitcnt vmcnt(3)
	v_mul_f32_e32 v3, v185, v205
	v_add_f32_e32 v209, v209, v210
	v_mul_f32_e32 v210, v184, v205
	s_waitcnt vmcnt(2)
	v_fma_f32 v3, v184, v206, -v3
	v_fmac_f32_e32 v210, v185, v206
	v_add_f32_e32 v2, v2, v3
	s_waitcnt vmcnt(0) lgkmcnt(0)
	v_mul_f32_e32 v3, v23, v208
	v_add_f32_e32 v209, v209, v210
	v_mul_f32_e32 v210, v22, v208
	v_fma_f32 v3, v22, v207, -v3
	v_fmac_f32_e32 v210, v23, v207
	v_add_f32_e32 v2, v2, v3
	v_add_f32_e32 v209, v209, v210
	v_sub_f32_e32 v2, v48, v2
	v_sub_f32_e32 v3, v49, v209
	buffer_store_dword v2, off, s[0:3], 0 offset:224
	buffer_store_dword v3, off, s[0:3], 0 offset:228
	s_and_saveexec_b64 s[4:5], vcc
	s_cbranch_execz .LBB123_319
; %bb.318:
	buffer_load_dword v2, off, s[0:3], 0 offset:216
	buffer_load_dword v3, off, s[0:3], 0 offset:220
	s_waitcnt vmcnt(0)
	ds_write_b64 v145, v[2:3]
	buffer_store_dword v1, off, s[0:3], 0 offset:216
	buffer_store_dword v1, off, s[0:3], 0 offset:220
.LBB123_319:
	s_or_b64 exec, exec, s[4:5]
	s_waitcnt lgkmcnt(0)
	; wave barrier
	buffer_load_dword v22, off, s[0:3], 0 offset:228
	buffer_load_dword v23, off, s[0:3], 0 offset:236
	;; [unrolled: 1-line block ×26, first 2 shown]
	ds_read_b128 v[2:5], v1 offset:704
	ds_read_b128 v[6:9], v1 offset:720
	;; [unrolled: 1-line block ×4, first 2 shown]
	buffer_load_dword v50, off, s[0:3], 0 offset:324
	buffer_load_dword v51, off, s[0:3], 0 offset:320
	;; [unrolled: 1-line block ×34, first 2 shown]
	v_cmp_lt_u32_e32 vcc, 26, v0
	s_waitcnt vmcnt(59) lgkmcnt(3)
	v_mul_f32_e32 v18, v2, v22
	s_waitcnt vmcnt(58)
	v_mul_f32_e32 v19, v4, v23
	s_waitcnt vmcnt(57) lgkmcnt(2)
	v_mul_f32_e32 v20, v6, v24
	s_waitcnt vmcnt(56)
	v_mul_f32_e32 v21, v8, v27
	;; [unrolled: 4-line block ×4, first 2 shown]
	s_waitcnt vmcnt(51)
	v_fmac_f32_e32 v18, v3, v32
	s_waitcnt vmcnt(50)
	v_fmac_f32_e32 v19, v5, v33
	v_add_f32_e32 v18, 0, v18
	s_waitcnt vmcnt(49)
	v_fmac_f32_e32 v20, v7, v34
	v_add_f32_e32 v18, v18, v19
	;; [unrolled: 3-line block ×7, first 2 shown]
	v_add_f32_e32 v150, v18, v149
	ds_read_b128 v[18:21], v1 offset:768
	buffer_load_dword v207, off, s[0:3], 0 offset:460
	buffer_load_dword v208, off, s[0:3], 0 offset:456
	;; [unrolled: 1-line block ×4, first 2 shown]
	ds_read_b128 v[146:149], v1 offset:784
	buffer_load_dword v211, off, s[0:3], 0 offset:472
	buffer_load_dword v212, off, s[0:3], 0 offset:476
	v_mul_f32_e32 v3, v3, v22
	s_waitcnt vmcnt(49) lgkmcnt(1)
	v_mul_f32_e32 v151, v18, v40
	s_waitcnt vmcnt(48)
	v_fmac_f32_e32 v151, v19, v41
	v_fma_f32 v2, v2, v32, -v3
	v_mul_f32_e32 v3, v5, v23
	v_add_f32_e32 v150, v150, v151
	s_waitcnt vmcnt(46)
	v_mul_f32_e32 v151, v20, v43
	v_add_f32_e32 v2, 0, v2
	v_fma_f32 v3, v4, v33, -v3
	v_fmac_f32_e32 v151, v21, v42
	v_add_f32_e32 v2, v2, v3
	v_mul_f32_e32 v3, v7, v24
	v_add_f32_e32 v150, v150, v151
	s_waitcnt vmcnt(43) lgkmcnt(0)
	v_mul_f32_e32 v151, v146, v46
	v_fma_f32 v3, v6, v34, -v3
	s_waitcnt vmcnt(42)
	v_fmac_f32_e32 v151, v147, v47
	v_add_f32_e32 v2, v2, v3
	v_mul_f32_e32 v3, v9, v27
	v_add_f32_e32 v154, v150, v151
	ds_read_b128 v[150:153], v1 offset:800
	v_fma_f32 v3, v8, v35, -v3
	v_add_f32_e32 v2, v2, v3
	v_mul_f32_e32 v3, v11, v28
	s_waitcnt vmcnt(40)
	v_mul_f32_e32 v155, v148, v49
	v_fma_f32 v3, v10, v36, -v3
	v_fmac_f32_e32 v155, v149, v48
	v_add_f32_e32 v2, v2, v3
	v_mul_f32_e32 v3, v13, v29
	v_add_f32_e32 v158, v154, v155
	ds_read_b128 v[154:157], v1 offset:816
	v_fma_f32 v3, v12, v37, -v3
	s_waitcnt vmcnt(39) lgkmcnt(1)
	v_mul_f32_e32 v159, v150, v50
	v_add_f32_e32 v2, v2, v3
	v_mul_f32_e32 v3, v15, v30
	s_waitcnt vmcnt(38)
	v_fmac_f32_e32 v159, v151, v51
	v_fma_f32 v3, v14, v38, -v3
	v_add_f32_e32 v158, v158, v159
	s_waitcnt vmcnt(36)
	v_mul_f32_e32 v159, v152, v53
	v_add_f32_e32 v2, v2, v3
	v_mul_f32_e32 v3, v17, v31
	v_fmac_f32_e32 v159, v153, v52
	v_fma_f32 v3, v16, v39, -v3
	v_add_f32_e32 v158, v158, v159
	s_waitcnt vmcnt(34) lgkmcnt(0)
	v_mul_f32_e32 v159, v154, v55
	v_add_f32_e32 v2, v2, v3
	v_mul_f32_e32 v3, v19, v40
	v_fmac_f32_e32 v159, v155, v54
	v_fma_f32 v3, v18, v41, -v3
	v_add_f32_e32 v162, v158, v159
	ds_read_b128 v[158:161], v1 offset:832
	v_add_f32_e32 v2, v2, v3
	v_mul_f32_e32 v3, v21, v43
	v_fma_f32 v3, v20, v42, -v3
	s_waitcnt vmcnt(32)
	v_mul_f32_e32 v163, v156, v57
	v_add_f32_e32 v2, v2, v3
	v_mul_f32_e32 v3, v147, v46
	v_fmac_f32_e32 v163, v157, v56
	v_fma_f32 v3, v146, v47, -v3
	v_add_f32_e32 v166, v162, v163
	ds_read_b128 v[162:165], v1 offset:848
	v_add_f32_e32 v2, v2, v3
	v_mul_f32_e32 v3, v149, v49
	s_waitcnt vmcnt(30) lgkmcnt(1)
	v_mul_f32_e32 v167, v158, v59
	v_fma_f32 v3, v148, v48, -v3
	v_fmac_f32_e32 v167, v159, v58
	v_add_f32_e32 v2, v2, v3
	v_mul_f32_e32 v3, v151, v50
	v_add_f32_e32 v166, v166, v167
	s_waitcnt vmcnt(28)
	v_mul_f32_e32 v167, v160, v61
	v_fma_f32 v3, v150, v51, -v3
	v_fmac_f32_e32 v167, v161, v60
	v_add_f32_e32 v2, v2, v3
	v_mul_f32_e32 v3, v153, v53
	v_add_f32_e32 v166, v166, v167
	s_waitcnt vmcnt(26) lgkmcnt(0)
	v_mul_f32_e32 v167, v162, v63
	v_fma_f32 v3, v152, v52, -v3
	v_fmac_f32_e32 v167, v163, v62
	v_add_f32_e32 v2, v2, v3
	v_mul_f32_e32 v3, v155, v55
	v_add_f32_e32 v170, v166, v167
	ds_read_b128 v[166:169], v1 offset:864
	v_fma_f32 v3, v154, v54, -v3
	v_add_f32_e32 v2, v2, v3
	v_mul_f32_e32 v3, v157, v57
	s_waitcnt vmcnt(24)
	v_mul_f32_e32 v171, v164, v65
	v_fma_f32 v3, v156, v56, -v3
	v_fmac_f32_e32 v171, v165, v64
	v_add_f32_e32 v2, v2, v3
	v_mul_f32_e32 v3, v159, v59
	v_add_f32_e32 v174, v170, v171
	ds_read_b128 v[170:173], v1 offset:880
	v_fma_f32 v3, v158, v58, -v3
	s_waitcnt vmcnt(22) lgkmcnt(1)
	v_mul_f32_e32 v175, v166, v190
	v_add_f32_e32 v2, v2, v3
	v_mul_f32_e32 v3, v161, v61
	v_fmac_f32_e32 v175, v167, v66
	v_fma_f32 v3, v160, v60, -v3
	v_add_f32_e32 v174, v174, v175
	s_waitcnt vmcnt(20)
	v_mul_f32_e32 v175, v168, v192
	v_add_f32_e32 v2, v2, v3
	v_mul_f32_e32 v3, v163, v63
	v_fmac_f32_e32 v175, v169, v191
	v_fma_f32 v3, v162, v62, -v3
	v_add_f32_e32 v174, v174, v175
	s_waitcnt vmcnt(18) lgkmcnt(0)
	v_mul_f32_e32 v175, v170, v194
	v_add_f32_e32 v2, v2, v3
	v_mul_f32_e32 v3, v165, v65
	v_fmac_f32_e32 v175, v171, v193
	v_fma_f32 v3, v164, v64, -v3
	v_add_f32_e32 v178, v174, v175
	ds_read_b128 v[174:177], v1 offset:896
	v_add_f32_e32 v2, v2, v3
	v_mul_f32_e32 v3, v167, v190
	v_fma_f32 v3, v166, v66, -v3
	s_waitcnt vmcnt(16)
	v_mul_f32_e32 v179, v172, v196
	v_add_f32_e32 v2, v2, v3
	v_mul_f32_e32 v3, v169, v192
	v_fmac_f32_e32 v179, v173, v195
	v_fma_f32 v3, v168, v191, -v3
	v_add_f32_e32 v182, v178, v179
	ds_read_b128 v[178:181], v1 offset:912
	v_add_f32_e32 v2, v2, v3
	v_mul_f32_e32 v3, v171, v194
	s_waitcnt vmcnt(14) lgkmcnt(1)
	v_mul_f32_e32 v183, v174, v198
	v_fma_f32 v3, v170, v193, -v3
	v_fmac_f32_e32 v183, v175, v197
	v_add_f32_e32 v2, v2, v3
	v_mul_f32_e32 v3, v173, v196
	v_add_f32_e32 v182, v182, v183
	s_waitcnt vmcnt(12)
	v_mul_f32_e32 v183, v176, v200
	v_fma_f32 v3, v172, v195, -v3
	v_fmac_f32_e32 v183, v177, v199
	v_add_f32_e32 v2, v2, v3
	v_mul_f32_e32 v3, v175, v198
	v_add_f32_e32 v182, v182, v183
	s_waitcnt vmcnt(10) lgkmcnt(0)
	v_mul_f32_e32 v183, v178, v202
	v_fma_f32 v3, v174, v197, -v3
	v_fmac_f32_e32 v183, v179, v201
	v_add_f32_e32 v2, v2, v3
	v_mul_f32_e32 v3, v177, v200
	v_add_f32_e32 v186, v182, v183
	ds_read_b128 v[182:185], v1 offset:928
	v_fma_f32 v3, v176, v199, -v3
	v_add_f32_e32 v2, v2, v3
	v_mul_f32_e32 v3, v179, v202
	s_waitcnt vmcnt(8)
	v_mul_f32_e32 v187, v180, v204
	v_fma_f32 v3, v178, v201, -v3
	v_fmac_f32_e32 v187, v181, v203
	v_add_f32_e32 v2, v2, v3
	v_mul_f32_e32 v3, v181, v204
	v_add_f32_e32 v213, v186, v187
	ds_read_b128 v[186:189], v1 offset:944
	v_fma_f32 v3, v180, v203, -v3
	v_add_f32_e32 v2, v2, v3
	s_waitcnt vmcnt(6) lgkmcnt(1)
	v_mul_f32_e32 v3, v183, v206
	v_mul_f32_e32 v1, v182, v206
	v_fma_f32 v3, v182, v205, -v3
	v_fmac_f32_e32 v1, v183, v205
	v_add_f32_e32 v2, v2, v3
	s_waitcnt vmcnt(5)
	v_mul_f32_e32 v3, v185, v207
	v_add_f32_e32 v1, v213, v1
	v_mul_f32_e32 v213, v184, v207
	s_waitcnt vmcnt(4)
	v_fma_f32 v3, v184, v208, -v3
	v_fmac_f32_e32 v213, v185, v208
	v_add_f32_e32 v2, v2, v3
	s_waitcnt vmcnt(2) lgkmcnt(0)
	v_mul_f32_e32 v3, v187, v210
	v_add_f32_e32 v1, v1, v213
	v_mul_f32_e32 v213, v186, v210
	v_fma_f32 v3, v186, v209, -v3
	v_fmac_f32_e32 v213, v187, v209
	v_add_f32_e32 v2, v2, v3
	s_waitcnt vmcnt(0)
	v_mul_f32_e32 v3, v189, v212
	v_add_f32_e32 v1, v1, v213
	v_mul_f32_e32 v213, v188, v212
	v_fma_f32 v3, v188, v211, -v3
	v_fmac_f32_e32 v213, v189, v211
	v_add_f32_e32 v2, v2, v3
	v_add_f32_e32 v1, v1, v213
	v_sub_f32_e32 v2, v44, v2
	v_sub_f32_e32 v1, v45, v1
	buffer_store_dword v2, off, s[0:3], 0 offset:216
	buffer_store_dword v1, off, s[0:3], 0 offset:220
	s_and_saveexec_b64 s[4:5], vcc
	s_cbranch_execz .LBB123_321
; %bb.320:
	buffer_load_dword v1, off, s[0:3], 0 offset:208
	buffer_load_dword v2, off, s[0:3], 0 offset:212
	v_mov_b32_e32 v3, 0
	buffer_store_dword v3, off, s[0:3], 0 offset:208
	buffer_store_dword v3, off, s[0:3], 0 offset:212
	s_waitcnt vmcnt(2)
	ds_write_b64 v145, v[1:2]
.LBB123_321:
	s_or_b64 exec, exec, s[4:5]
	s_waitcnt lgkmcnt(0)
	; wave barrier
	buffer_load_dword v24, off, s[0:3], 0 offset:276
	buffer_load_dword v27, off, s[0:3], 0 offset:220
	;; [unrolled: 1-line block ×58, first 2 shown]
	v_mov_b32_e32 v1, 0
	ds_read2_b64 v[2:5], v1 offset0:87 offset1:88
	ds_read2_b64 v[6:9], v1 offset0:89 offset1:90
	;; [unrolled: 1-line block ×5, first 2 shown]
	buffer_load_dword v207, off, s[0:3], 0 offset:440
	buffer_load_dword v208, off, s[0:3], 0 offset:444
	;; [unrolled: 1-line block ×6, first 2 shown]
	v_cmp_lt_u32_e32 vcc, 25, v0
	s_waitcnt vmcnt(62) lgkmcnt(1)
	v_mul_f32_e32 v151, v16, v24
	v_mul_f32_e32 v22, v2, v27
	s_waitcnt vmcnt(61)
	v_mul_f32_e32 v23, v4, v28
	s_waitcnt vmcnt(60)
	;; [unrolled: 2-line block ×3, first 2 shown]
	v_fmac_f32_e32 v146, v7, v30
	s_waitcnt vmcnt(58)
	v_fmac_f32_e32 v23, v5, v31
	s_waitcnt vmcnt(57)
	v_fmac_f32_e32 v22, v3, v32
	v_add_f32_e32 v22, 0, v22
	s_waitcnt vmcnt(56)
	v_mul_f32_e32 v147, v8, v33
	v_add_f32_e32 v22, v22, v23
	s_waitcnt vmcnt(55)
	v_mul_f32_e32 v148, v10, v34
	;; [unrolled: 3-line block ×3, first 2 shown]
	s_waitcnt vmcnt(50)
	v_fmac_f32_e32 v148, v11, v39
	s_waitcnt vmcnt(49)
	v_fmac_f32_e32 v147, v9, v40
	v_add_f32_e32 v22, v22, v147
	v_fmac_f32_e32 v149, v13, v38
	v_add_f32_e32 v22, v22, v148
	v_add_f32_e32 v22, v22, v149
	ds_read2_b64 v[146:149], v1 offset0:97 offset1:98
	buffer_load_dword v213, off, s[0:3], 0 offset:468
	buffer_load_dword v214, off, s[0:3], 0 offset:472
	;; [unrolled: 1-line block ×4, first 2 shown]
	v_mul_f32_e32 v3, v3, v27
	v_fma_f32 v2, v2, v32, -v3
	v_mul_f32_e32 v3, v5, v28
	v_add_f32_e32 v2, 0, v2
	v_fma_f32 v3, v4, v31, -v3
	v_add_f32_e32 v2, v2, v3
	v_mul_f32_e32 v3, v7, v29
	v_fma_f32 v3, v6, v30, -v3
	v_add_f32_e32 v2, v2, v3
	v_mul_f32_e32 v3, v9, v33
	;; [unrolled: 3-line block ×5, first 2 shown]
	v_mul_f32_e32 v150, v14, v36
	v_fma_f32 v3, v14, v37, -v3
	v_fmac_f32_e32 v150, v15, v37
	v_add_f32_e32 v2, v2, v3
	v_mul_f32_e32 v3, v17, v24
	s_waitcnt vmcnt(48)
	v_fmac_f32_e32 v151, v17, v45
	v_add_f32_e32 v22, v22, v150
	s_waitcnt vmcnt(47) lgkmcnt(1)
	v_mul_f32_e32 v23, v18, v46
	v_fma_f32 v3, v16, v45, -v3
	v_add_f32_e32 v22, v22, v151
	v_fmac_f32_e32 v23, v19, v44
	v_add_f32_e32 v2, v2, v3
	v_mul_f32_e32 v3, v19, v46
	v_add_f32_e32 v22, v22, v23
	s_waitcnt vmcnt(46)
	v_mul_f32_e32 v23, v20, v47
	v_fma_f32 v3, v18, v44, -v3
	v_fmac_f32_e32 v23, v21, v43
	ds_read2_b64 v[150:153], v1 offset0:99 offset1:100
	ds_read2_b64 v[154:157], v1 offset0:101 offset1:102
	v_add_f32_e32 v2, v2, v3
	v_mul_f32_e32 v3, v21, v47
	v_add_f32_e32 v22, v22, v23
	s_waitcnt lgkmcnt(2)
	v_mul_f32_e32 v23, v146, v42
	v_fma_f32 v3, v20, v43, -v3
	v_fmac_f32_e32 v23, v147, v41
	v_add_f32_e32 v2, v2, v3
	v_mul_f32_e32 v3, v147, v42
	v_add_f32_e32 v22, v22, v23
	s_waitcnt vmcnt(42)
	v_mul_f32_e32 v23, v148, v51
	v_fma_f32 v3, v146, v41, -v3
	v_fmac_f32_e32 v23, v149, v50
	v_add_f32_e32 v2, v2, v3
	v_mul_f32_e32 v3, v149, v51
	v_add_f32_e32 v22, v22, v23
	s_waitcnt vmcnt(40) lgkmcnt(1)
	v_mul_f32_e32 v23, v150, v53
	v_fma_f32 v3, v148, v50, -v3
	v_fmac_f32_e32 v23, v151, v52
	v_add_f32_e32 v2, v2, v3
	v_mul_f32_e32 v3, v151, v53
	v_add_f32_e32 v22, v22, v23
	s_waitcnt vmcnt(38)
	v_mul_f32_e32 v23, v152, v55
	v_fma_f32 v3, v150, v52, -v3
	v_fmac_f32_e32 v23, v153, v54
	ds_read2_b64 v[158:161], v1 offset0:103 offset1:104
	ds_read2_b64 v[162:165], v1 offset0:105 offset1:106
	v_add_f32_e32 v2, v2, v3
	v_mul_f32_e32 v3, v153, v55
	v_add_f32_e32 v22, v22, v23
	s_waitcnt vmcnt(36) lgkmcnt(2)
	v_mul_f32_e32 v23, v154, v57
	v_fma_f32 v3, v152, v54, -v3
	v_fmac_f32_e32 v23, v155, v56
	v_add_f32_e32 v2, v2, v3
	v_mul_f32_e32 v3, v155, v57
	v_add_f32_e32 v22, v22, v23
	s_waitcnt vmcnt(34)
	v_mul_f32_e32 v23, v156, v59
	v_fma_f32 v3, v154, v56, -v3
	v_fmac_f32_e32 v23, v157, v58
	v_add_f32_e32 v2, v2, v3
	v_mul_f32_e32 v3, v157, v59
	v_add_f32_e32 v22, v22, v23
	s_waitcnt vmcnt(32) lgkmcnt(1)
	v_mul_f32_e32 v23, v158, v61
	v_fma_f32 v3, v156, v58, -v3
	v_fmac_f32_e32 v23, v159, v60
	v_add_f32_e32 v2, v2, v3
	v_mul_f32_e32 v3, v159, v61
	v_add_f32_e32 v22, v22, v23
	s_waitcnt vmcnt(30)
	v_mul_f32_e32 v23, v160, v63
	v_fma_f32 v3, v158, v60, -v3
	v_fmac_f32_e32 v23, v161, v62
	ds_read2_b64 v[166:169], v1 offset0:107 offset1:108
	ds_read2_b64 v[170:173], v1 offset0:109 offset1:110
	v_add_f32_e32 v2, v2, v3
	v_mul_f32_e32 v3, v161, v63
	v_add_f32_e32 v22, v22, v23
	s_waitcnt vmcnt(28) lgkmcnt(2)
	;; [unrolled: 30-line block ×4, first 2 shown]
	v_mul_f32_e32 v23, v178, v204
	v_fma_f32 v3, v176, v201, -v3
	v_fmac_f32_e32 v23, v179, v203
	v_add_f32_e32 v2, v2, v3
	v_mul_f32_e32 v3, v179, v204
	v_add_f32_e32 v22, v22, v23
	s_waitcnt vmcnt(10)
	v_mul_f32_e32 v23, v180, v206
	v_fma_f32 v3, v178, v203, -v3
	v_fmac_f32_e32 v23, v181, v205
	v_add_f32_e32 v2, v2, v3
	v_mul_f32_e32 v3, v181, v206
	v_add_f32_e32 v22, v22, v23
	s_waitcnt vmcnt(8) lgkmcnt(1)
	v_mul_f32_e32 v23, v182, v208
	v_fma_f32 v3, v180, v205, -v3
	v_fmac_f32_e32 v23, v183, v207
	v_add_f32_e32 v2, v2, v3
	v_mul_f32_e32 v3, v183, v208
	v_add_f32_e32 v22, v22, v23
	s_waitcnt vmcnt(7)
	v_mul_f32_e32 v23, v184, v209
	v_fma_f32 v3, v182, v207, -v3
	s_waitcnt vmcnt(4)
	v_fmac_f32_e32 v23, v185, v212
	v_add_f32_e32 v2, v2, v3
	v_mul_f32_e32 v3, v185, v209
	v_add_f32_e32 v217, v22, v23
	ds_read_b64 v[22:23], v1 offset:952
	v_fma_f32 v3, v184, v212, -v3
	v_add_f32_e32 v2, v2, v3
	s_waitcnt lgkmcnt(1)
	v_mul_f32_e32 v3, v187, v211
	v_mul_f32_e32 v218, v186, v211
	v_fma_f32 v3, v186, v210, -v3
	v_fmac_f32_e32 v218, v187, v210
	v_add_f32_e32 v2, v2, v3
	s_waitcnt vmcnt(3)
	v_mul_f32_e32 v3, v189, v213
	v_add_f32_e32 v217, v217, v218
	v_mul_f32_e32 v218, v188, v213
	s_waitcnt vmcnt(0)
	v_fma_f32 v3, v188, v216, -v3
	v_fmac_f32_e32 v218, v189, v216
	v_add_f32_e32 v2, v2, v3
	s_waitcnt lgkmcnt(0)
	v_mul_f32_e32 v3, v23, v215
	v_add_f32_e32 v217, v217, v218
	v_mul_f32_e32 v218, v22, v215
	v_fma_f32 v3, v22, v214, -v3
	v_fmac_f32_e32 v218, v23, v214
	v_add_f32_e32 v2, v2, v3
	v_add_f32_e32 v217, v217, v218
	v_sub_f32_e32 v2, v48, v2
	v_sub_f32_e32 v3, v49, v217
	buffer_store_dword v2, off, s[0:3], 0 offset:208
	buffer_store_dword v3, off, s[0:3], 0 offset:212
	s_and_saveexec_b64 s[4:5], vcc
	s_cbranch_execz .LBB123_323
; %bb.322:
	buffer_load_dword v2, off, s[0:3], 0 offset:200
	buffer_load_dword v3, off, s[0:3], 0 offset:204
	s_waitcnt vmcnt(0)
	ds_write_b64 v145, v[2:3]
	buffer_store_dword v1, off, s[0:3], 0 offset:200
	buffer_store_dword v1, off, s[0:3], 0 offset:204
.LBB123_323:
	s_or_b64 exec, exec, s[4:5]
	s_waitcnt lgkmcnt(0)
	; wave barrier
	buffer_load_dword v22, off, s[0:3], 0 offset:212
	buffer_load_dword v23, off, s[0:3], 0 offset:220
	;; [unrolled: 1-line block ×32, first 2 shown]
	ds_read_b128 v[2:5], v1 offset:688
	ds_read_b128 v[6:9], v1 offset:704
	;; [unrolled: 1-line block ×6, first 2 shown]
	buffer_load_dword v56, off, s[0:3], 0 offset:328
	buffer_load_dword v57, off, s[0:3], 0 offset:332
	;; [unrolled: 1-line block ×38, first 2 shown]
	v_cmp_lt_u32_e32 vcc, 24, v0
	s_waitcnt vmcnt(62) lgkmcnt(5)
	v_mul_f32_e32 v150, v2, v22
	v_mul_f32_e32 v151, v4, v23
	s_waitcnt lgkmcnt(4)
	v_mul_f32_e32 v152, v6, v24
	v_mul_f32_e32 v153, v8, v27
	s_waitcnt lgkmcnt(3)
	;; [unrolled: 3-line block ×3, first 2 shown]
	v_mul_f32_e32 v156, v14, v30
	v_mul_f32_e32 v157, v16, v31
	s_waitcnt vmcnt(61)
	v_fmac_f32_e32 v152, v7, v32
	s_waitcnt vmcnt(60)
	v_fmac_f32_e32 v151, v5, v33
	;; [unrolled: 2-line block ×3, first 2 shown]
	v_add_f32_e32 v150, 0, v150
	v_add_f32_e32 v150, v150, v151
	;; [unrolled: 1-line block ×3, first 2 shown]
	s_waitcnt vmcnt(55)
	v_fmac_f32_e32 v153, v9, v38
	v_fmac_f32_e32 v154, v11, v37
	v_add_f32_e32 v150, v150, v153
	v_fmac_f32_e32 v155, v13, v36
	v_add_f32_e32 v150, v150, v154
	;; [unrolled: 2-line block ×3, first 2 shown]
	s_waitcnt vmcnt(51)
	v_fmac_f32_e32 v157, v17, v42
	v_add_f32_e32 v150, v150, v156
	s_waitcnt vmcnt(50) lgkmcnt(1)
	v_mul_f32_e32 v151, v18, v43
	v_add_f32_e32 v150, v150, v157
	v_fmac_f32_e32 v151, v19, v41
	v_mul_f32_e32 v3, v3, v22
	v_add_f32_e32 v150, v150, v151
	s_waitcnt vmcnt(49)
	v_mul_f32_e32 v151, v20, v44
	v_fma_f32 v2, v2, v34, -v3
	v_mul_f32_e32 v3, v5, v23
	v_fmac_f32_e32 v151, v21, v40
	v_add_f32_e32 v2, 0, v2
	v_fma_f32 v3, v4, v33, -v3
	v_add_f32_e32 v150, v150, v151
	s_waitcnt vmcnt(48) lgkmcnt(0)
	v_mul_f32_e32 v151, v146, v45
	v_add_f32_e32 v2, v2, v3
	v_mul_f32_e32 v3, v7, v24
	v_fmac_f32_e32 v151, v147, v39
	v_fma_f32 v3, v6, v32, -v3
	v_add_f32_e32 v154, v150, v151
	ds_read_b128 v[150:153], v1 offset:784
	v_add_f32_e32 v2, v2, v3
	v_mul_f32_e32 v3, v9, v27
	v_fma_f32 v3, v8, v38, -v3
	s_waitcnt vmcnt(45)
	v_mul_f32_e32 v155, v148, v48
	v_add_f32_e32 v2, v2, v3
	v_mul_f32_e32 v3, v11, v28
	s_waitcnt vmcnt(38)
	v_fmac_f32_e32 v155, v149, v55
	v_fma_f32 v3, v10, v37, -v3
	v_add_f32_e32 v158, v154, v155
	ds_read_b128 v[154:157], v1 offset:800
	v_add_f32_e32 v2, v2, v3
	v_mul_f32_e32 v3, v13, v29
	s_waitcnt lgkmcnt(1)
	v_mul_f32_e32 v159, v150, v50
	v_fma_f32 v3, v12, v36, -v3
	v_fmac_f32_e32 v159, v151, v49
	v_add_f32_e32 v2, v2, v3
	v_mul_f32_e32 v3, v15, v30
	v_add_f32_e32 v158, v158, v159
	v_mul_f32_e32 v159, v152, v52
	v_fma_f32 v3, v14, v35, -v3
	v_fmac_f32_e32 v159, v153, v51
	v_add_f32_e32 v2, v2, v3
	v_mul_f32_e32 v3, v17, v31
	v_add_f32_e32 v158, v158, v159
	s_waitcnt lgkmcnt(0)
	v_mul_f32_e32 v159, v154, v54
	v_fma_f32 v3, v16, v42, -v3
	v_fmac_f32_e32 v159, v155, v53
	v_add_f32_e32 v2, v2, v3
	v_mul_f32_e32 v3, v19, v43
	v_add_f32_e32 v162, v158, v159
	ds_read_b128 v[158:161], v1 offset:816
	v_fma_f32 v3, v18, v41, -v3
	v_add_f32_e32 v2, v2, v3
	v_mul_f32_e32 v3, v21, v44
	s_waitcnt vmcnt(36)
	v_mul_f32_e32 v163, v156, v57
	v_fma_f32 v3, v20, v40, -v3
	v_fmac_f32_e32 v163, v157, v56
	v_add_f32_e32 v2, v2, v3
	v_mul_f32_e32 v3, v147, v45
	v_add_f32_e32 v166, v162, v163
	ds_read_b128 v[162:165], v1 offset:832
	v_fma_f32 v3, v146, v39, -v3
	s_waitcnt vmcnt(34) lgkmcnt(1)
	v_mul_f32_e32 v167, v158, v59
	v_add_f32_e32 v2, v2, v3
	v_mul_f32_e32 v3, v149, v48
	v_fmac_f32_e32 v167, v159, v58
	v_fma_f32 v3, v148, v55, -v3
	v_add_f32_e32 v166, v166, v167
	s_waitcnt vmcnt(32)
	v_mul_f32_e32 v167, v160, v61
	v_add_f32_e32 v2, v2, v3
	v_mul_f32_e32 v3, v151, v50
	v_fmac_f32_e32 v167, v161, v60
	v_fma_f32 v3, v150, v49, -v3
	v_add_f32_e32 v166, v166, v167
	s_waitcnt vmcnt(30) lgkmcnt(0)
	v_mul_f32_e32 v167, v162, v63
	v_add_f32_e32 v2, v2, v3
	v_mul_f32_e32 v3, v153, v52
	v_fmac_f32_e32 v167, v163, v62
	v_fma_f32 v3, v152, v51, -v3
	v_add_f32_e32 v170, v166, v167
	ds_read_b128 v[166:169], v1 offset:848
	v_add_f32_e32 v2, v2, v3
	v_mul_f32_e32 v3, v155, v54
	v_fma_f32 v3, v154, v53, -v3
	s_waitcnt vmcnt(28)
	v_mul_f32_e32 v171, v164, v65
	v_add_f32_e32 v2, v2, v3
	v_mul_f32_e32 v3, v157, v57
	v_fmac_f32_e32 v171, v165, v64
	v_fma_f32 v3, v156, v56, -v3
	v_add_f32_e32 v174, v170, v171
	ds_read_b128 v[170:173], v1 offset:864
	v_add_f32_e32 v2, v2, v3
	v_mul_f32_e32 v3, v159, v59
	s_waitcnt vmcnt(26) lgkmcnt(1)
	v_mul_f32_e32 v175, v166, v194
	v_fma_f32 v3, v158, v58, -v3
	v_fmac_f32_e32 v175, v167, v66
	v_add_f32_e32 v2, v2, v3
	v_mul_f32_e32 v3, v161, v61
	v_add_f32_e32 v174, v174, v175
	s_waitcnt vmcnt(24)
	v_mul_f32_e32 v175, v168, v196
	v_fma_f32 v3, v160, v60, -v3
	v_fmac_f32_e32 v175, v169, v195
	v_add_f32_e32 v2, v2, v3
	v_mul_f32_e32 v3, v163, v63
	v_add_f32_e32 v174, v174, v175
	s_waitcnt vmcnt(22) lgkmcnt(0)
	v_mul_f32_e32 v175, v170, v198
	v_fma_f32 v3, v162, v62, -v3
	v_fmac_f32_e32 v175, v171, v197
	v_add_f32_e32 v2, v2, v3
	v_mul_f32_e32 v3, v165, v65
	v_add_f32_e32 v178, v174, v175
	ds_read_b128 v[174:177], v1 offset:880
	v_fma_f32 v3, v164, v64, -v3
	v_add_f32_e32 v2, v2, v3
	v_mul_f32_e32 v3, v167, v194
	s_waitcnt vmcnt(20)
	v_mul_f32_e32 v179, v172, v200
	v_fma_f32 v3, v166, v66, -v3
	v_fmac_f32_e32 v179, v173, v199
	v_add_f32_e32 v2, v2, v3
	v_mul_f32_e32 v3, v169, v196
	v_add_f32_e32 v182, v178, v179
	ds_read_b128 v[178:181], v1 offset:896
	v_fma_f32 v3, v168, v195, -v3
	s_waitcnt vmcnt(18) lgkmcnt(1)
	v_mul_f32_e32 v183, v174, v202
	v_add_f32_e32 v2, v2, v3
	v_mul_f32_e32 v3, v171, v198
	v_fmac_f32_e32 v183, v175, v201
	v_fma_f32 v3, v170, v197, -v3
	v_add_f32_e32 v182, v182, v183
	s_waitcnt vmcnt(16)
	v_mul_f32_e32 v183, v176, v204
	v_add_f32_e32 v2, v2, v3
	v_mul_f32_e32 v3, v173, v200
	v_fmac_f32_e32 v183, v177, v203
	v_fma_f32 v3, v172, v199, -v3
	v_add_f32_e32 v182, v182, v183
	s_waitcnt vmcnt(14) lgkmcnt(0)
	v_mul_f32_e32 v183, v178, v206
	v_add_f32_e32 v2, v2, v3
	v_mul_f32_e32 v3, v175, v202
	v_fmac_f32_e32 v183, v179, v205
	v_fma_f32 v3, v174, v201, -v3
	v_add_f32_e32 v186, v182, v183
	ds_read_b128 v[182:185], v1 offset:912
	v_add_f32_e32 v2, v2, v3
	v_mul_f32_e32 v3, v177, v204
	v_fma_f32 v3, v176, v203, -v3
	v_add_f32_e32 v2, v2, v3
	v_mul_f32_e32 v3, v179, v206
	s_waitcnt vmcnt(12)
	v_mul_f32_e32 v187, v180, v208
	v_fma_f32 v3, v178, v205, -v3
	v_fmac_f32_e32 v187, v181, v207
	v_add_f32_e32 v2, v2, v3
	v_mul_f32_e32 v3, v181, v208
	v_add_f32_e32 v190, v186, v187
	ds_read_b128 v[186:189], v1 offset:928
	s_waitcnt vmcnt(10) lgkmcnt(1)
	v_mul_f32_e32 v191, v182, v210
	v_fma_f32 v3, v180, v207, -v3
	v_fmac_f32_e32 v191, v183, v209
	v_add_f32_e32 v2, v2, v3
	v_mul_f32_e32 v3, v183, v210
	v_add_f32_e32 v190, v190, v191
	s_waitcnt vmcnt(9)
	v_mul_f32_e32 v191, v184, v211
	v_fma_f32 v3, v182, v209, -v3
	s_waitcnt vmcnt(6)
	v_fmac_f32_e32 v191, v185, v214
	v_add_f32_e32 v2, v2, v3
	v_mul_f32_e32 v3, v185, v211
	v_add_f32_e32 v221, v190, v191
	ds_read_b128 v[190:193], v1 offset:944
	v_fma_f32 v3, v184, v214, -v3
	v_add_f32_e32 v2, v2, v3
	s_waitcnt lgkmcnt(1)
	v_mul_f32_e32 v3, v187, v213
	v_mul_f32_e32 v222, v186, v213
	v_fma_f32 v3, v186, v212, -v3
	v_fmac_f32_e32 v222, v187, v212
	v_add_f32_e32 v2, v2, v3
	s_waitcnt vmcnt(4)
	v_mul_f32_e32 v3, v189, v216
	v_add_f32_e32 v1, v221, v222
	v_mul_f32_e32 v221, v188, v216
	v_fma_f32 v3, v188, v215, -v3
	v_fmac_f32_e32 v221, v189, v215
	v_add_f32_e32 v2, v2, v3
	s_waitcnt vmcnt(3) lgkmcnt(0)
	v_mul_f32_e32 v3, v191, v217
	v_add_f32_e32 v1, v1, v221
	v_mul_f32_e32 v221, v190, v217
	s_waitcnt vmcnt(0)
	v_fma_f32 v3, v190, v220, -v3
	v_fmac_f32_e32 v221, v191, v220
	v_add_f32_e32 v2, v2, v3
	v_mul_f32_e32 v3, v193, v219
	v_add_f32_e32 v1, v1, v221
	v_mul_f32_e32 v221, v192, v219
	v_fma_f32 v3, v192, v218, -v3
	v_fmac_f32_e32 v221, v193, v218
	v_add_f32_e32 v2, v2, v3
	v_add_f32_e32 v1, v1, v221
	v_sub_f32_e32 v2, v46, v2
	v_sub_f32_e32 v1, v47, v1
	buffer_store_dword v2, off, s[0:3], 0 offset:200
	buffer_store_dword v1, off, s[0:3], 0 offset:204
	s_and_saveexec_b64 s[4:5], vcc
	s_cbranch_execz .LBB123_325
; %bb.324:
	buffer_load_dword v1, off, s[0:3], 0 offset:192
	buffer_load_dword v2, off, s[0:3], 0 offset:196
	v_mov_b32_e32 v3, 0
	buffer_store_dword v3, off, s[0:3], 0 offset:192
	buffer_store_dword v3, off, s[0:3], 0 offset:196
	s_waitcnt vmcnt(2)
	ds_write_b64 v145, v[1:2]
.LBB123_325:
	s_or_b64 exec, exec, s[4:5]
	s_waitcnt lgkmcnt(0)
	; wave barrier
	buffer_load_dword v24, off, s[0:3], 0 offset:204
	buffer_load_dword v27, off, s[0:3], 0 offset:212
	buffer_load_dword v28, off, s[0:3], 0 offset:220
	buffer_load_dword v29, off, s[0:3], 0 offset:228
	buffer_load_dword v30, off, s[0:3], 0 offset:236
	buffer_load_dword v31, off, s[0:3], 0 offset:244
	buffer_load_dword v32, off, s[0:3], 0 offset:252
	buffer_load_dword v33, off, s[0:3], 0 offset:260
	buffer_load_dword v34, off, s[0:3], 0 offset:268
	buffer_load_dword v35, off, s[0:3], 0 offset:216
	buffer_load_dword v36, off, s[0:3], 0 offset:208
	buffer_load_dword v37, off, s[0:3], 0 offset:200
	buffer_load_dword v38, off, s[0:3], 0 offset:248
	buffer_load_dword v39, off, s[0:3], 0 offset:240
	buffer_load_dword v40, off, s[0:3], 0 offset:232
	buffer_load_dword v41, off, s[0:3], 0 offset:224
	buffer_load_dword v42, off, s[0:3], 0 offset:280
	buffer_load_dword v43, off, s[0:3], 0 offset:272
	buffer_load_dword v44, off, s[0:3], 0 offset:264
	buffer_load_dword v45, off, s[0:3], 0 offset:256
	buffer_load_dword v46, off, s[0:3], 0 offset:276
	buffer_load_dword v47, off, s[0:3], 0 offset:284
	buffer_load_dword v48, off, s[0:3], 0 offset:192
	buffer_load_dword v49, off, s[0:3], 0 offset:196
	buffer_load_dword v50, off, s[0:3], 0 offset:288
	buffer_load_dword v51, off, s[0:3], 0 offset:292
	buffer_load_dword v52, off, s[0:3], 0 offset:296
	buffer_load_dword v53, off, s[0:3], 0 offset:300
	buffer_load_dword v54, off, s[0:3], 0 offset:304
	buffer_load_dword v55, off, s[0:3], 0 offset:308
	buffer_load_dword v56, off, s[0:3], 0 offset:312
	buffer_load_dword v57, off, s[0:3], 0 offset:316
	buffer_load_dword v58, off, s[0:3], 0 offset:320
	buffer_load_dword v59, off, s[0:3], 0 offset:324
	buffer_load_dword v60, off, s[0:3], 0 offset:328
	buffer_load_dword v61, off, s[0:3], 0 offset:332
	buffer_load_dword v62, off, s[0:3], 0 offset:336
	buffer_load_dword v63, off, s[0:3], 0 offset:340
	buffer_load_dword v64, off, s[0:3], 0 offset:344
	buffer_load_dword v65, off, s[0:3], 0 offset:348
	buffer_load_dword v66, off, s[0:3], 0 offset:352
	buffer_load_dword v194, off, s[0:3], 0 offset:356
	buffer_load_dword v195, off, s[0:3], 0 offset:360
	buffer_load_dword v196, off, s[0:3], 0 offset:364
	buffer_load_dword v197, off, s[0:3], 0 offset:368
	buffer_load_dword v198, off, s[0:3], 0 offset:372
	buffer_load_dword v199, off, s[0:3], 0 offset:376
	buffer_load_dword v200, off, s[0:3], 0 offset:380
	buffer_load_dword v201, off, s[0:3], 0 offset:384
	buffer_load_dword v202, off, s[0:3], 0 offset:388
	buffer_load_dword v203, off, s[0:3], 0 offset:392
	buffer_load_dword v204, off, s[0:3], 0 offset:396
	buffer_load_dword v205, off, s[0:3], 0 offset:400
	buffer_load_dword v206, off, s[0:3], 0 offset:404
	buffer_load_dword v207, off, s[0:3], 0 offset:408
	buffer_load_dword v208, off, s[0:3], 0 offset:412
	v_mov_b32_e32 v1, 0
	ds_read2_b64 v[2:5], v1 offset0:85 offset1:86
	ds_read2_b64 v[6:9], v1 offset0:87 offset1:88
	;; [unrolled: 1-line block ×6, first 2 shown]
	buffer_load_dword v209, off, s[0:3], 0 offset:416
	buffer_load_dword v210, off, s[0:3], 0 offset:420
	;; [unrolled: 1-line block ×16, first 2 shown]
	ds_read2_b64 v[158:161], v1 offset0:101 offset1:102
	ds_read2_b64 v[162:165], v1 offset0:103 offset1:104
	;; [unrolled: 1-line block ×9, first 2 shown]
	v_cmp_lt_u32_e32 vcc, 23, v0
	s_waitcnt vmcnt(62) lgkmcnt(14)
	v_mul_f32_e32 v22, v2, v24
	v_mul_f32_e32 v23, v4, v27
	s_waitcnt lgkmcnt(13)
	v_mul_f32_e32 v150, v6, v28
	v_mul_f32_e32 v151, v8, v29
	s_waitcnt lgkmcnt(12)
	;; [unrolled: 3-line block ×4, first 2 shown]
	v_mul_f32_e32 v156, v18, v34
	v_fmac_f32_e32 v150, v7, v35
	s_waitcnt vmcnt(61)
	v_fmac_f32_e32 v23, v5, v36
	s_waitcnt vmcnt(60)
	v_fmac_f32_e32 v22, v3, v37
	v_mul_f32_e32 v3, v3, v24
	v_fma_f32 v2, v2, v37, -v3
	v_mul_f32_e32 v3, v5, v27
	v_add_f32_e32 v2, 0, v2
	v_fma_f32 v3, v4, v36, -v3
	v_add_f32_e32 v2, v2, v3
	v_mul_f32_e32 v3, v7, v28
	v_fma_f32 v3, v6, v35, -v3
	v_add_f32_e32 v2, v2, v3
	v_mul_f32_e32 v3, v9, v29
	s_waitcnt vmcnt(56)
	v_fma_f32 v3, v8, v41, -v3
	v_add_f32_e32 v2, v2, v3
	v_mul_f32_e32 v3, v11, v30
	v_fma_f32 v3, v10, v40, -v3
	v_add_f32_e32 v22, 0, v22
	v_add_f32_e32 v2, v2, v3
	v_mul_f32_e32 v3, v13, v31
	v_add_f32_e32 v22, v22, v23
	v_fma_f32 v3, v12, v39, -v3
	v_fmac_f32_e32 v151, v9, v41
	v_add_f32_e32 v22, v22, v150
	v_add_f32_e32 v2, v2, v3
	v_mul_f32_e32 v3, v15, v32
	v_fmac_f32_e32 v152, v11, v40
	v_add_f32_e32 v22, v22, v151
	v_fma_f32 v3, v14, v38, -v3
	v_fmac_f32_e32 v153, v13, v39
	v_add_f32_e32 v22, v22, v152
	v_add_f32_e32 v2, v2, v3
	v_mul_f32_e32 v3, v17, v33
	v_fmac_f32_e32 v154, v15, v38
	v_add_f32_e32 v22, v22, v153
	s_waitcnt vmcnt(52)
	v_fma_f32 v3, v16, v45, -v3
	v_fmac_f32_e32 v155, v17, v45
	v_add_f32_e32 v22, v22, v154
	v_add_f32_e32 v2, v2, v3
	v_mul_f32_e32 v3, v19, v34
	v_add_f32_e32 v22, v22, v155
	v_fmac_f32_e32 v156, v19, v44
	s_waitcnt vmcnt(51)
	v_mul_f32_e32 v23, v20, v46
	v_fma_f32 v3, v18, v44, -v3
	v_add_f32_e32 v22, v22, v156
	v_fmac_f32_e32 v23, v21, v43
	ds_read2_b64 v[150:153], v1 offset0:97 offset1:98
	ds_read2_b64 v[154:157], v1 offset0:99 offset1:100
	v_add_f32_e32 v2, v2, v3
	v_mul_f32_e32 v3, v21, v46
	v_add_f32_e32 v22, v22, v23
	s_waitcnt vmcnt(50) lgkmcnt(11)
	v_mul_f32_e32 v23, v146, v47
	v_fma_f32 v3, v20, v43, -v3
	v_fmac_f32_e32 v23, v147, v42
	v_add_f32_e32 v2, v2, v3
	v_mul_f32_e32 v3, v147, v47
	v_add_f32_e32 v22, v22, v23
	s_waitcnt vmcnt(46)
	v_mul_f32_e32 v23, v148, v51
	v_fma_f32 v3, v146, v42, -v3
	v_fmac_f32_e32 v23, v149, v50
	v_add_f32_e32 v2, v2, v3
	v_mul_f32_e32 v3, v149, v51
	v_add_f32_e32 v22, v22, v23
	s_waitcnt vmcnt(44) lgkmcnt(1)
	v_mul_f32_e32 v23, v150, v53
	v_fma_f32 v3, v148, v50, -v3
	v_fmac_f32_e32 v23, v151, v52
	v_add_f32_e32 v2, v2, v3
	v_mul_f32_e32 v3, v151, v53
	v_add_f32_e32 v22, v22, v23
	s_waitcnt vmcnt(42)
	v_mul_f32_e32 v23, v152, v55
	v_fma_f32 v3, v150, v52, -v3
	v_fmac_f32_e32 v23, v153, v54
	;; [unrolled: 14-line block ×3, first 2 shown]
	v_add_f32_e32 v2, v2, v3
	v_mul_f32_e32 v3, v157, v59
	v_add_f32_e32 v22, v22, v23
	s_waitcnt vmcnt(36)
	v_mul_f32_e32 v23, v158, v61
	v_fma_f32 v3, v156, v58, -v3
	v_fmac_f32_e32 v23, v159, v60
	v_add_f32_e32 v2, v2, v3
	v_mul_f32_e32 v3, v159, v61
	v_add_f32_e32 v22, v22, v23
	s_waitcnt vmcnt(34)
	v_mul_f32_e32 v23, v160, v63
	v_fma_f32 v3, v158, v60, -v3
	v_fmac_f32_e32 v23, v161, v62
	;; [unrolled: 7-line block ×13, first 2 shown]
	v_add_f32_e32 v2, v2, v3
	v_mul_f32_e32 v3, v183, v212
	v_add_f32_e32 v22, v22, v23
	s_waitcnt vmcnt(11)
	v_mul_f32_e32 v23, v184, v213
	v_fma_f32 v3, v182, v211, -v3
	s_waitcnt vmcnt(8)
	v_fmac_f32_e32 v23, v185, v216
	v_add_f32_e32 v2, v2, v3
	v_mul_f32_e32 v3, v185, v213
	v_add_f32_e32 v22, v22, v23
	v_mul_f32_e32 v23, v186, v215
	v_fma_f32 v3, v184, v216, -v3
	v_fmac_f32_e32 v23, v187, v214
	v_add_f32_e32 v2, v2, v3
	v_mul_f32_e32 v3, v187, v215
	v_add_f32_e32 v22, v22, v23
	s_waitcnt vmcnt(6)
	v_mul_f32_e32 v23, v188, v218
	v_fma_f32 v3, v186, v214, -v3
	v_fmac_f32_e32 v23, v189, v217
	v_add_f32_e32 v2, v2, v3
	v_mul_f32_e32 v3, v189, v218
	v_add_f32_e32 v225, v22, v23
	ds_read_b64 v[22:23], v1 offset:952
	v_fma_f32 v3, v188, v217, -v3
	v_add_f32_e32 v2, v2, v3
	s_waitcnt vmcnt(4)
	v_mul_f32_e32 v3, v191, v220
	v_mul_f32_e32 v226, v190, v220
	v_fma_f32 v3, v190, v219, -v3
	v_fmac_f32_e32 v226, v191, v219
	v_add_f32_e32 v2, v2, v3
	s_waitcnt vmcnt(3)
	v_mul_f32_e32 v3, v193, v221
	v_add_f32_e32 v225, v225, v226
	v_mul_f32_e32 v226, v192, v221
	s_waitcnt vmcnt(0)
	v_fma_f32 v3, v192, v224, -v3
	v_fmac_f32_e32 v226, v193, v224
	v_add_f32_e32 v2, v2, v3
	s_waitcnt lgkmcnt(0)
	v_mul_f32_e32 v3, v23, v223
	v_add_f32_e32 v225, v225, v226
	v_mul_f32_e32 v226, v22, v223
	v_fma_f32 v3, v22, v222, -v3
	v_fmac_f32_e32 v226, v23, v222
	v_add_f32_e32 v2, v2, v3
	v_add_f32_e32 v225, v225, v226
	v_sub_f32_e32 v2, v48, v2
	v_sub_f32_e32 v3, v49, v225
	buffer_store_dword v2, off, s[0:3], 0 offset:192
	buffer_store_dword v3, off, s[0:3], 0 offset:196
	s_and_saveexec_b64 s[4:5], vcc
	s_cbranch_execz .LBB123_327
; %bb.326:
	buffer_load_dword v2, off, s[0:3], 0 offset:184
	buffer_load_dword v3, off, s[0:3], 0 offset:188
	s_waitcnt vmcnt(0)
	ds_write_b64 v145, v[2:3]
	buffer_store_dword v1, off, s[0:3], 0 offset:184
	buffer_store_dword v1, off, s[0:3], 0 offset:188
.LBB123_327:
	s_or_b64 exec, exec, s[4:5]
	s_waitcnt lgkmcnt(0)
	; wave barrier
	buffer_load_dword v22, off, s[0:3], 0 offset:196
	buffer_load_dword v23, off, s[0:3], 0 offset:204
	;; [unrolled: 1-line block ×26, first 2 shown]
	ds_read_b128 v[2:5], v1 offset:672
	ds_read_b128 v[6:9], v1 offset:688
	;; [unrolled: 1-line block ×6, first 2 shown]
	buffer_load_dword v50, off, s[0:3], 0 offset:288
	buffer_load_dword v51, off, s[0:3], 0 offset:292
	;; [unrolled: 1-line block ×46, first 2 shown]
	v_cmp_lt_u32_e32 vcc, 22, v0
	s_waitcnt vmcnt(62) lgkmcnt(5)
	v_mul_f32_e32 v150, v2, v22
	v_mul_f32_e32 v151, v4, v23
	s_waitcnt lgkmcnt(4)
	v_mul_f32_e32 v152, v6, v24
	v_mul_f32_e32 v153, v8, v27
	s_waitcnt lgkmcnt(3)
	;; [unrolled: 3-line block ×4, first 2 shown]
	v_mul_f32_e32 v158, v18, v32
	v_fmac_f32_e32 v152, v7, v33
	s_waitcnt vmcnt(61)
	v_fmac_f32_e32 v151, v5, v34
	s_waitcnt vmcnt(60)
	v_fmac_f32_e32 v150, v3, v35
	v_add_f32_e32 v150, 0, v150
	v_add_f32_e32 v150, v150, v151
	;; [unrolled: 1-line block ×3, first 2 shown]
	s_waitcnt vmcnt(56)
	v_fmac_f32_e32 v153, v9, v39
	v_fmac_f32_e32 v154, v11, v38
	v_add_f32_e32 v150, v150, v153
	v_fmac_f32_e32 v155, v13, v37
	v_add_f32_e32 v150, v150, v154
	;; [unrolled: 2-line block ×3, first 2 shown]
	s_waitcnt vmcnt(52)
	v_fmac_f32_e32 v157, v17, v43
	v_add_f32_e32 v150, v150, v156
	v_fmac_f32_e32 v158, v19, v42
	v_add_f32_e32 v150, v150, v157
	s_waitcnt vmcnt(51)
	v_mul_f32_e32 v151, v20, v44
	v_add_f32_e32 v150, v150, v158
	v_fmac_f32_e32 v151, v21, v41
	v_add_f32_e32 v150, v150, v151
	s_waitcnt vmcnt(50) lgkmcnt(0)
	v_mul_f32_e32 v151, v146, v45
	v_fmac_f32_e32 v151, v147, v40
	s_waitcnt vmcnt(46)
	v_mul_f32_e32 v155, v148, v49
	v_add_f32_e32 v154, v150, v151
	v_fmac_f32_e32 v155, v149, v48
	ds_read_b128 v[150:153], v1 offset:768
	v_add_f32_e32 v158, v154, v155
	ds_read_b128 v[154:157], v1 offset:784
	buffer_load_dword v227, off, s[0:3], 0 offset:472
	buffer_load_dword v228, off, s[0:3], 0 offset:476
	v_mul_f32_e32 v3, v3, v22
	v_fma_f32 v2, v2, v35, -v3
	v_mul_f32_e32 v3, v5, v23
	v_add_f32_e32 v2, 0, v2
	v_fma_f32 v3, v4, v34, -v3
	v_add_f32_e32 v2, v2, v3
	v_mul_f32_e32 v3, v7, v24
	v_fma_f32 v3, v6, v33, -v3
	v_add_f32_e32 v2, v2, v3
	v_mul_f32_e32 v3, v9, v27
	;; [unrolled: 3-line block ×3, first 2 shown]
	s_waitcnt vmcnt(46) lgkmcnt(1)
	v_mul_f32_e32 v159, v150, v51
	v_fma_f32 v3, v10, v38, -v3
	v_fmac_f32_e32 v159, v151, v50
	v_add_f32_e32 v2, v2, v3
	v_mul_f32_e32 v3, v13, v29
	v_add_f32_e32 v158, v158, v159
	s_waitcnt vmcnt(44)
	v_mul_f32_e32 v159, v152, v53
	v_fma_f32 v3, v12, v37, -v3
	v_fmac_f32_e32 v159, v153, v52
	v_add_f32_e32 v2, v2, v3
	v_mul_f32_e32 v3, v15, v30
	v_add_f32_e32 v158, v158, v159
	s_waitcnt vmcnt(42) lgkmcnt(0)
	v_mul_f32_e32 v159, v154, v55
	v_fma_f32 v3, v14, v36, -v3
	v_fmac_f32_e32 v159, v155, v54
	v_add_f32_e32 v2, v2, v3
	v_mul_f32_e32 v3, v17, v31
	v_add_f32_e32 v162, v158, v159
	ds_read_b128 v[158:161], v1 offset:800
	v_fma_f32 v3, v16, v43, -v3
	v_add_f32_e32 v2, v2, v3
	v_mul_f32_e32 v3, v19, v32
	s_waitcnt vmcnt(40)
	v_mul_f32_e32 v163, v156, v57
	v_fma_f32 v3, v18, v42, -v3
	v_fmac_f32_e32 v163, v157, v56
	v_add_f32_e32 v2, v2, v3
	v_mul_f32_e32 v3, v21, v44
	v_add_f32_e32 v166, v162, v163
	ds_read_b128 v[162:165], v1 offset:816
	v_fma_f32 v3, v20, v41, -v3
	s_waitcnt vmcnt(38) lgkmcnt(1)
	v_mul_f32_e32 v167, v158, v59
	v_add_f32_e32 v2, v2, v3
	v_mul_f32_e32 v3, v147, v45
	v_fmac_f32_e32 v167, v159, v58
	v_fma_f32 v3, v146, v40, -v3
	v_add_f32_e32 v166, v166, v167
	s_waitcnt vmcnt(36)
	v_mul_f32_e32 v167, v160, v61
	v_add_f32_e32 v2, v2, v3
	v_mul_f32_e32 v3, v149, v49
	v_fmac_f32_e32 v167, v161, v60
	v_fma_f32 v3, v148, v48, -v3
	v_add_f32_e32 v166, v166, v167
	s_waitcnt vmcnt(34) lgkmcnt(0)
	v_mul_f32_e32 v167, v162, v63
	v_add_f32_e32 v2, v2, v3
	v_mul_f32_e32 v3, v151, v51
	v_fmac_f32_e32 v167, v163, v62
	v_fma_f32 v3, v150, v50, -v3
	v_add_f32_e32 v170, v166, v167
	ds_read_b128 v[166:169], v1 offset:832
	v_add_f32_e32 v2, v2, v3
	v_mul_f32_e32 v3, v153, v53
	v_fma_f32 v3, v152, v52, -v3
	s_waitcnt vmcnt(32)
	v_mul_f32_e32 v171, v164, v65
	v_add_f32_e32 v2, v2, v3
	v_mul_f32_e32 v3, v155, v55
	v_fmac_f32_e32 v171, v165, v64
	v_fma_f32 v3, v154, v54, -v3
	v_add_f32_e32 v174, v170, v171
	ds_read_b128 v[170:173], v1 offset:848
	v_add_f32_e32 v2, v2, v3
	v_mul_f32_e32 v3, v157, v57
	s_waitcnt vmcnt(30) lgkmcnt(1)
	v_mul_f32_e32 v175, v166, v198
	v_fma_f32 v3, v156, v56, -v3
	v_fmac_f32_e32 v175, v167, v66
	v_add_f32_e32 v2, v2, v3
	v_mul_f32_e32 v3, v159, v59
	v_add_f32_e32 v174, v174, v175
	s_waitcnt vmcnt(28)
	v_mul_f32_e32 v175, v168, v200
	v_fma_f32 v3, v158, v58, -v3
	v_fmac_f32_e32 v175, v169, v199
	v_add_f32_e32 v2, v2, v3
	v_mul_f32_e32 v3, v161, v61
	v_add_f32_e32 v174, v174, v175
	s_waitcnt vmcnt(26) lgkmcnt(0)
	v_mul_f32_e32 v175, v170, v202
	v_fma_f32 v3, v160, v60, -v3
	v_fmac_f32_e32 v175, v171, v201
	v_add_f32_e32 v2, v2, v3
	v_mul_f32_e32 v3, v163, v63
	v_add_f32_e32 v178, v174, v175
	ds_read_b128 v[174:177], v1 offset:864
	v_fma_f32 v3, v162, v62, -v3
	v_add_f32_e32 v2, v2, v3
	v_mul_f32_e32 v3, v165, v65
	s_waitcnt vmcnt(24)
	v_mul_f32_e32 v179, v172, v204
	v_fma_f32 v3, v164, v64, -v3
	v_fmac_f32_e32 v179, v173, v203
	v_add_f32_e32 v2, v2, v3
	v_mul_f32_e32 v3, v167, v198
	v_add_f32_e32 v182, v178, v179
	ds_read_b128 v[178:181], v1 offset:880
	v_fma_f32 v3, v166, v66, -v3
	s_waitcnt vmcnt(22) lgkmcnt(1)
	v_mul_f32_e32 v183, v174, v206
	v_add_f32_e32 v2, v2, v3
	v_mul_f32_e32 v3, v169, v200
	v_fmac_f32_e32 v183, v175, v205
	v_fma_f32 v3, v168, v199, -v3
	v_add_f32_e32 v182, v182, v183
	s_waitcnt vmcnt(20)
	v_mul_f32_e32 v183, v176, v208
	v_add_f32_e32 v2, v2, v3
	v_mul_f32_e32 v3, v171, v202
	v_fmac_f32_e32 v183, v177, v207
	v_fma_f32 v3, v170, v201, -v3
	v_add_f32_e32 v182, v182, v183
	s_waitcnt vmcnt(18) lgkmcnt(0)
	v_mul_f32_e32 v183, v178, v210
	v_add_f32_e32 v2, v2, v3
	v_mul_f32_e32 v3, v173, v204
	v_fmac_f32_e32 v183, v179, v209
	v_fma_f32 v3, v172, v203, -v3
	v_add_f32_e32 v186, v182, v183
	ds_read_b128 v[182:185], v1 offset:896
	v_add_f32_e32 v2, v2, v3
	v_mul_f32_e32 v3, v175, v206
	v_fma_f32 v3, v174, v205, -v3
	s_waitcnt vmcnt(16)
	v_mul_f32_e32 v187, v180, v212
	v_add_f32_e32 v2, v2, v3
	v_mul_f32_e32 v3, v177, v208
	v_fmac_f32_e32 v187, v181, v211
	v_fma_f32 v3, v176, v207, -v3
	v_add_f32_e32 v190, v186, v187
	ds_read_b128 v[186:189], v1 offset:912
	v_add_f32_e32 v2, v2, v3
	v_mul_f32_e32 v3, v179, v210
	s_waitcnt vmcnt(14) lgkmcnt(1)
	v_mul_f32_e32 v191, v182, v214
	v_fma_f32 v3, v178, v209, -v3
	v_fmac_f32_e32 v191, v183, v213
	v_add_f32_e32 v2, v2, v3
	v_mul_f32_e32 v3, v181, v212
	v_add_f32_e32 v190, v190, v191
	s_waitcnt vmcnt(13)
	v_mul_f32_e32 v191, v184, v215
	v_fma_f32 v3, v180, v211, -v3
	s_waitcnt vmcnt(10)
	v_fmac_f32_e32 v191, v185, v218
	v_add_f32_e32 v2, v2, v3
	v_mul_f32_e32 v3, v183, v214
	v_add_f32_e32 v190, v190, v191
	s_waitcnt lgkmcnt(0)
	v_mul_f32_e32 v191, v186, v217
	v_fma_f32 v3, v182, v213, -v3
	v_fmac_f32_e32 v191, v187, v216
	v_add_f32_e32 v2, v2, v3
	v_mul_f32_e32 v3, v185, v215
	v_add_f32_e32 v194, v190, v191
	ds_read_b128 v[190:193], v1 offset:928
	v_fma_f32 v3, v184, v218, -v3
	v_add_f32_e32 v2, v2, v3
	v_mul_f32_e32 v3, v187, v217
	s_waitcnt vmcnt(8)
	v_mul_f32_e32 v195, v188, v220
	v_fma_f32 v3, v186, v216, -v3
	v_fmac_f32_e32 v195, v189, v219
	v_add_f32_e32 v2, v2, v3
	v_mul_f32_e32 v3, v189, v220
	v_add_f32_e32 v229, v194, v195
	ds_read_b128 v[194:197], v1 offset:944
	v_fma_f32 v3, v188, v219, -v3
	v_add_f32_e32 v2, v2, v3
	s_waitcnt vmcnt(6) lgkmcnt(1)
	v_mul_f32_e32 v3, v191, v222
	v_mul_f32_e32 v1, v190, v222
	v_fma_f32 v3, v190, v221, -v3
	v_fmac_f32_e32 v1, v191, v221
	v_add_f32_e32 v2, v2, v3
	s_waitcnt vmcnt(5)
	v_mul_f32_e32 v3, v193, v223
	v_add_f32_e32 v1, v229, v1
	v_mul_f32_e32 v229, v192, v223
	s_waitcnt vmcnt(2)
	v_fma_f32 v3, v192, v226, -v3
	v_fmac_f32_e32 v229, v193, v226
	v_add_f32_e32 v2, v2, v3
	s_waitcnt lgkmcnt(0)
	v_mul_f32_e32 v3, v195, v225
	v_add_f32_e32 v1, v1, v229
	v_mul_f32_e32 v229, v194, v225
	v_fma_f32 v3, v194, v224, -v3
	v_fmac_f32_e32 v229, v195, v224
	v_add_f32_e32 v2, v2, v3
	s_waitcnt vmcnt(0)
	v_mul_f32_e32 v3, v197, v228
	v_add_f32_e32 v1, v1, v229
	v_mul_f32_e32 v229, v196, v228
	v_fma_f32 v3, v196, v227, -v3
	v_fmac_f32_e32 v229, v197, v227
	v_add_f32_e32 v2, v2, v3
	v_add_f32_e32 v1, v1, v229
	v_sub_f32_e32 v2, v46, v2
	v_sub_f32_e32 v1, v47, v1
	buffer_store_dword v2, off, s[0:3], 0 offset:184
	buffer_store_dword v1, off, s[0:3], 0 offset:188
	s_and_saveexec_b64 s[4:5], vcc
	s_cbranch_execz .LBB123_329
; %bb.328:
	buffer_load_dword v1, off, s[0:3], 0 offset:176
	buffer_load_dword v2, off, s[0:3], 0 offset:180
	v_mov_b32_e32 v3, 0
	buffer_store_dword v3, off, s[0:3], 0 offset:176
	buffer_store_dword v3, off, s[0:3], 0 offset:180
	s_waitcnt vmcnt(2)
	ds_write_b64 v145, v[1:2]
.LBB123_329:
	s_or_b64 exec, exec, s[4:5]
	s_waitcnt lgkmcnt(0)
	; wave barrier
	buffer_load_dword v24, off, s[0:3], 0 offset:188
	buffer_load_dword v27, off, s[0:3], 0 offset:196
	;; [unrolled: 1-line block ×50, first 2 shown]
	v_mov_b32_e32 v1, 0
	ds_read2_b64 v[2:5], v1 offset0:83 offset1:84
	ds_read2_b64 v[6:9], v1 offset0:85 offset1:86
	;; [unrolled: 1-line block ×6, first 2 shown]
	buffer_load_dword v207, off, s[0:3], 0 offset:376
	buffer_load_dword v208, off, s[0:3], 0 offset:380
	;; [unrolled: 1-line block ×16, first 2 shown]
	v_cmp_lt_u32_e32 vcc, 21, v0
	s_waitcnt vmcnt(62) lgkmcnt(5)
	v_mul_f32_e32 v22, v2, v24
	v_mul_f32_e32 v23, v4, v27
	s_waitcnt lgkmcnt(4)
	v_mul_f32_e32 v150, v6, v28
	v_mul_f32_e32 v151, v8, v29
	s_waitcnt vmcnt(61) lgkmcnt(3)
	v_mul_f32_e32 v152, v10, v30
	s_waitcnt vmcnt(60)
	v_mul_f32_e32 v153, v12, v31
	s_waitcnt vmcnt(59) lgkmcnt(2)
	v_mul_f32_e32 v154, v14, v32
	s_waitcnt vmcnt(58)
	;; [unrolled: 4-line block ×3, first 2 shown]
	v_fmac_f32_e32 v150, v7, v35
	s_waitcnt vmcnt(55)
	v_fmac_f32_e32 v23, v5, v36
	s_waitcnt vmcnt(54)
	v_fmac_f32_e32 v22, v3, v37
	v_add_f32_e32 v22, 0, v22
	v_add_f32_e32 v22, v22, v23
	;; [unrolled: 1-line block ×3, first 2 shown]
	s_waitcnt vmcnt(50)
	v_fmac_f32_e32 v151, v9, v41
	v_fmac_f32_e32 v152, v11, v40
	v_add_f32_e32 v22, v22, v151
	v_fmac_f32_e32 v153, v13, v39
	v_add_f32_e32 v22, v22, v152
	v_add_f32_e32 v22, v22, v153
	ds_read2_b64 v[150:153], v1 offset0:95 offset1:96
	buffer_load_dword v223, off, s[0:3], 0 offset:440
	buffer_load_dword v224, off, s[0:3], 0 offset:444
	;; [unrolled: 1-line block ×6, first 2 shown]
	v_fmac_f32_e32 v154, v15, v38
	s_waitcnt vmcnt(52)
	v_fmac_f32_e32 v155, v17, v45
	v_add_f32_e32 v22, v22, v154
	v_fmac_f32_e32 v156, v19, v44
	v_add_f32_e32 v22, v22, v155
	v_add_f32_e32 v22, v22, v156
	ds_read2_b64 v[154:157], v1 offset0:97 offset1:98
	buffer_load_dword v229, off, s[0:3], 0 offset:468
	buffer_load_dword v230, off, s[0:3], 0 offset:472
	;; [unrolled: 1-line block ×4, first 2 shown]
	v_mul_f32_e32 v3, v3, v24
	v_fma_f32 v2, v2, v37, -v3
	v_mul_f32_e32 v3, v5, v27
	v_add_f32_e32 v2, 0, v2
	v_fma_f32 v3, v4, v36, -v3
	v_add_f32_e32 v2, v2, v3
	v_mul_f32_e32 v3, v7, v28
	v_fma_f32 v3, v6, v35, -v3
	v_add_f32_e32 v2, v2, v3
	v_mul_f32_e32 v3, v9, v29
	;; [unrolled: 3-line block ×7, first 2 shown]
	s_waitcnt vmcnt(55)
	v_mul_f32_e32 v23, v20, v46
	v_fma_f32 v3, v18, v44, -v3
	v_fmac_f32_e32 v23, v21, v43
	v_add_f32_e32 v2, v2, v3
	v_mul_f32_e32 v3, v21, v46
	v_add_f32_e32 v22, v22, v23
	s_waitcnt vmcnt(54) lgkmcnt(2)
	v_mul_f32_e32 v23, v146, v47
	v_fma_f32 v3, v20, v43, -v3
	v_fmac_f32_e32 v23, v147, v42
	v_add_f32_e32 v2, v2, v3
	v_mul_f32_e32 v3, v147, v47
	v_add_f32_e32 v22, v22, v23
	s_waitcnt vmcnt(53)
	v_mul_f32_e32 v23, v148, v48
	v_fma_f32 v3, v146, v42, -v3
	s_waitcnt vmcnt(46)
	v_fmac_f32_e32 v23, v149, v55
	v_add_f32_e32 v2, v2, v3
	v_mul_f32_e32 v3, v149, v48
	v_add_f32_e32 v22, v22, v23
	s_waitcnt lgkmcnt(1)
	v_mul_f32_e32 v23, v150, v50
	v_fma_f32 v3, v148, v55, -v3
	v_fmac_f32_e32 v23, v151, v49
	v_add_f32_e32 v2, v2, v3
	v_mul_f32_e32 v3, v151, v50
	v_add_f32_e32 v22, v22, v23
	v_mul_f32_e32 v23, v152, v52
	v_fma_f32 v3, v150, v49, -v3
	v_fmac_f32_e32 v23, v153, v51
	ds_read2_b64 v[158:161], v1 offset0:99 offset1:100
	ds_read2_b64 v[162:165], v1 offset0:101 offset1:102
	v_add_f32_e32 v2, v2, v3
	v_mul_f32_e32 v3, v153, v52
	v_add_f32_e32 v22, v22, v23
	s_waitcnt lgkmcnt(2)
	v_mul_f32_e32 v23, v154, v54
	v_fma_f32 v3, v152, v51, -v3
	v_fmac_f32_e32 v23, v155, v53
	v_add_f32_e32 v2, v2, v3
	v_mul_f32_e32 v3, v155, v54
	v_add_f32_e32 v22, v22, v23
	s_waitcnt vmcnt(42)
	v_mul_f32_e32 v23, v156, v59
	v_fma_f32 v3, v154, v53, -v3
	v_fmac_f32_e32 v23, v157, v58
	v_add_f32_e32 v2, v2, v3
	v_mul_f32_e32 v3, v157, v59
	v_add_f32_e32 v22, v22, v23
	s_waitcnt vmcnt(40) lgkmcnt(1)
	v_mul_f32_e32 v23, v158, v61
	v_fma_f32 v3, v156, v58, -v3
	v_fmac_f32_e32 v23, v159, v60
	v_add_f32_e32 v2, v2, v3
	v_mul_f32_e32 v3, v159, v61
	v_add_f32_e32 v22, v22, v23
	s_waitcnt vmcnt(38)
	v_mul_f32_e32 v23, v160, v63
	v_fma_f32 v3, v158, v60, -v3
	v_fmac_f32_e32 v23, v161, v62
	ds_read2_b64 v[166:169], v1 offset0:103 offset1:104
	ds_read2_b64 v[170:173], v1 offset0:105 offset1:106
	v_add_f32_e32 v2, v2, v3
	v_mul_f32_e32 v3, v161, v63
	v_add_f32_e32 v22, v22, v23
	s_waitcnt vmcnt(36) lgkmcnt(2)
	v_mul_f32_e32 v23, v162, v65
	v_fma_f32 v3, v160, v62, -v3
	v_fmac_f32_e32 v23, v163, v64
	v_add_f32_e32 v2, v2, v3
	v_mul_f32_e32 v3, v163, v65
	v_add_f32_e32 v22, v22, v23
	s_waitcnt vmcnt(34)
	v_mul_f32_e32 v23, v164, v198
	v_fma_f32 v3, v162, v64, -v3
	v_fmac_f32_e32 v23, v165, v66
	v_add_f32_e32 v2, v2, v3
	v_mul_f32_e32 v3, v165, v198
	v_add_f32_e32 v22, v22, v23
	s_waitcnt vmcnt(32) lgkmcnt(1)
	v_mul_f32_e32 v23, v166, v200
	v_fma_f32 v3, v164, v66, -v3
	v_fmac_f32_e32 v23, v167, v199
	v_add_f32_e32 v2, v2, v3
	v_mul_f32_e32 v3, v167, v200
	v_add_f32_e32 v22, v22, v23
	s_waitcnt vmcnt(30)
	v_mul_f32_e32 v23, v168, v202
	v_fma_f32 v3, v166, v199, -v3
	v_fmac_f32_e32 v23, v169, v201
	ds_read2_b64 v[174:177], v1 offset0:107 offset1:108
	ds_read2_b64 v[178:181], v1 offset0:109 offset1:110
	v_add_f32_e32 v2, v2, v3
	v_mul_f32_e32 v3, v169, v202
	v_add_f32_e32 v22, v22, v23
	s_waitcnt vmcnt(28) lgkmcnt(2)
	v_mul_f32_e32 v23, v170, v204
	v_fma_f32 v3, v168, v201, -v3
	v_fmac_f32_e32 v23, v171, v203
	v_add_f32_e32 v2, v2, v3
	v_mul_f32_e32 v3, v171, v204
	v_add_f32_e32 v22, v22, v23
	s_waitcnt vmcnt(26)
	v_mul_f32_e32 v23, v172, v206
	v_fma_f32 v3, v170, v203, -v3
	v_fmac_f32_e32 v23, v173, v205
	v_add_f32_e32 v2, v2, v3
	v_mul_f32_e32 v3, v173, v206
	v_add_f32_e32 v22, v22, v23
	s_waitcnt vmcnt(24) lgkmcnt(1)
	v_mul_f32_e32 v23, v174, v208
	v_fma_f32 v3, v172, v205, -v3
	v_fmac_f32_e32 v23, v175, v207
	v_add_f32_e32 v2, v2, v3
	v_mul_f32_e32 v3, v175, v208
	v_add_f32_e32 v22, v22, v23
	s_waitcnt vmcnt(23)
	v_mul_f32_e32 v23, v176, v209
	v_fma_f32 v3, v174, v207, -v3
	s_waitcnt vmcnt(20)
	v_fmac_f32_e32 v23, v177, v212
	ds_read2_b64 v[182:185], v1 offset0:111 offset1:112
	ds_read2_b64 v[186:189], v1 offset0:113 offset1:114
	v_add_f32_e32 v2, v2, v3
	v_mul_f32_e32 v3, v177, v209
	v_add_f32_e32 v22, v22, v23
	s_waitcnt lgkmcnt(2)
	v_mul_f32_e32 v23, v178, v211
	v_fma_f32 v3, v176, v212, -v3
	v_fmac_f32_e32 v23, v179, v210
	v_add_f32_e32 v2, v2, v3
	v_mul_f32_e32 v3, v179, v211
	v_add_f32_e32 v22, v22, v23
	s_waitcnt vmcnt(18)
	v_mul_f32_e32 v23, v180, v214
	v_fma_f32 v3, v178, v210, -v3
	v_fmac_f32_e32 v23, v181, v213
	v_add_f32_e32 v2, v2, v3
	v_mul_f32_e32 v3, v181, v214
	v_add_f32_e32 v22, v22, v23
	s_waitcnt vmcnt(16) lgkmcnt(1)
	v_mul_f32_e32 v23, v182, v216
	v_fma_f32 v3, v180, v213, -v3
	v_fmac_f32_e32 v23, v183, v215
	v_add_f32_e32 v2, v2, v3
	v_mul_f32_e32 v3, v183, v216
	v_add_f32_e32 v22, v22, v23
	s_waitcnt vmcnt(15)
	v_mul_f32_e32 v23, v184, v217
	v_fma_f32 v3, v182, v215, -v3
	s_waitcnt vmcnt(12)
	v_fmac_f32_e32 v23, v185, v220
	ds_read2_b64 v[190:193], v1 offset0:115 offset1:116
	ds_read2_b64 v[194:197], v1 offset0:117 offset1:118
	v_add_f32_e32 v2, v2, v3
	v_mul_f32_e32 v3, v185, v217
	v_add_f32_e32 v22, v22, v23
	s_waitcnt lgkmcnt(2)
	v_mul_f32_e32 v23, v186, v219
	v_fma_f32 v3, v184, v220, -v3
	v_fmac_f32_e32 v23, v187, v218
	v_add_f32_e32 v2, v2, v3
	v_mul_f32_e32 v3, v187, v219
	v_add_f32_e32 v22, v22, v23
	s_waitcnt vmcnt(10)
	v_mul_f32_e32 v23, v188, v222
	v_fma_f32 v3, v186, v218, -v3
	v_fmac_f32_e32 v23, v189, v221
	v_add_f32_e32 v2, v2, v3
	v_mul_f32_e32 v3, v189, v222
	v_add_f32_e32 v22, v22, v23
	s_waitcnt vmcnt(8) lgkmcnt(1)
	v_mul_f32_e32 v23, v190, v224
	v_fma_f32 v3, v188, v221, -v3
	v_fmac_f32_e32 v23, v191, v223
	v_add_f32_e32 v2, v2, v3
	v_mul_f32_e32 v3, v191, v224
	v_add_f32_e32 v22, v22, v23
	s_waitcnt vmcnt(7)
	v_mul_f32_e32 v23, v192, v225
	v_fma_f32 v3, v190, v223, -v3
	s_waitcnt vmcnt(4)
	v_fmac_f32_e32 v23, v193, v228
	v_add_f32_e32 v2, v2, v3
	v_mul_f32_e32 v3, v193, v225
	v_add_f32_e32 v233, v22, v23
	ds_read_b64 v[22:23], v1 offset:952
	v_fma_f32 v3, v192, v228, -v3
	v_add_f32_e32 v2, v2, v3
	s_waitcnt lgkmcnt(1)
	v_mul_f32_e32 v3, v195, v227
	v_mul_f32_e32 v234, v194, v227
	v_fma_f32 v3, v194, v226, -v3
	v_fmac_f32_e32 v234, v195, v226
	v_add_f32_e32 v2, v2, v3
	s_waitcnt vmcnt(3)
	v_mul_f32_e32 v3, v197, v229
	v_add_f32_e32 v233, v233, v234
	v_mul_f32_e32 v234, v196, v229
	s_waitcnt vmcnt(0)
	v_fma_f32 v3, v196, v232, -v3
	v_fmac_f32_e32 v234, v197, v232
	v_add_f32_e32 v2, v2, v3
	s_waitcnt lgkmcnt(0)
	v_mul_f32_e32 v3, v23, v231
	v_add_f32_e32 v233, v233, v234
	v_mul_f32_e32 v234, v22, v231
	v_fma_f32 v3, v22, v230, -v3
	v_fmac_f32_e32 v234, v23, v230
	v_add_f32_e32 v2, v2, v3
	v_add_f32_e32 v233, v233, v234
	v_sub_f32_e32 v2, v56, v2
	v_sub_f32_e32 v3, v57, v233
	buffer_store_dword v2, off, s[0:3], 0 offset:176
	buffer_store_dword v3, off, s[0:3], 0 offset:180
	s_and_saveexec_b64 s[4:5], vcc
	s_cbranch_execz .LBB123_331
; %bb.330:
	buffer_load_dword v2, off, s[0:3], 0 offset:168
	buffer_load_dword v3, off, s[0:3], 0 offset:172
	s_waitcnt vmcnt(0)
	ds_write_b64 v145, v[2:3]
	buffer_store_dword v1, off, s[0:3], 0 offset:168
	buffer_store_dword v1, off, s[0:3], 0 offset:172
.LBB123_331:
	s_or_b64 exec, exec, s[4:5]
	s_waitcnt lgkmcnt(0)
	; wave barrier
	buffer_load_dword v22, off, s[0:3], 0 offset:180
	buffer_load_dword v23, off, s[0:3], 0 offset:188
	;; [unrolled: 1-line block ×32, first 2 shown]
	ds_read_b128 v[2:5], v1 offset:656
	ds_read_b128 v[6:9], v1 offset:672
	ds_read_b128 v[10:13], v1 offset:688
	ds_read_b128 v[14:17], v1 offset:704
	ds_read_b128 v[18:21], v1 offset:720
	ds_read_b128 v[146:149], v1 offset:736
	buffer_load_dword v56, off, s[0:3], 0 offset:296
	buffer_load_dword v57, off, s[0:3], 0 offset:300
	;; [unrolled: 1-line block ×32, first 2 shown]
	v_cmp_lt_u32_e32 vcc, 20, v0
	s_waitcnt vmcnt(62) lgkmcnt(5)
	v_mul_f32_e32 v150, v2, v22
	v_mul_f32_e32 v151, v4, v23
	s_waitcnt vmcnt(61) lgkmcnt(4)
	v_mul_f32_e32 v152, v6, v24
	s_waitcnt vmcnt(60)
	v_mul_f32_e32 v153, v8, v27
	s_waitcnt vmcnt(59) lgkmcnt(3)
	v_mul_f32_e32 v154, v10, v28
	s_waitcnt vmcnt(58)
	;; [unrolled: 4-line block ×4, first 2 shown]
	v_mul_f32_e32 v159, v20, v33
	s_waitcnt vmcnt(53)
	v_fmac_f32_e32 v152, v7, v34
	s_waitcnt vmcnt(52)
	v_fmac_f32_e32 v151, v5, v35
	;; [unrolled: 2-line block ×3, first 2 shown]
	v_add_f32_e32 v150, 0, v150
	v_add_f32_e32 v150, v150, v151
	;; [unrolled: 1-line block ×3, first 2 shown]
	s_waitcnt vmcnt(47)
	v_fmac_f32_e32 v153, v9, v40
	v_fmac_f32_e32 v154, v11, v39
	v_add_f32_e32 v150, v150, v153
	v_fmac_f32_e32 v155, v13, v38
	v_add_f32_e32 v150, v150, v154
	;; [unrolled: 2-line block ×3, first 2 shown]
	s_waitcnt vmcnt(43)
	v_fmac_f32_e32 v157, v17, v44
	v_add_f32_e32 v150, v150, v156
	v_fmac_f32_e32 v158, v19, v43
	v_add_f32_e32 v150, v150, v157
	;; [unrolled: 2-line block ×3, first 2 shown]
	s_waitcnt vmcnt(42) lgkmcnt(0)
	v_mul_f32_e32 v151, v146, v45
	v_add_f32_e32 v150, v150, v159
	v_fmac_f32_e32 v151, v147, v41
	v_add_f32_e32 v154, v150, v151
	ds_read_b128 v[150:153], v1 offset:752
	buffer_load_dword v223, off, s[0:3], 0 offset:424
	buffer_load_dword v224, off, s[0:3], 0 offset:428
	s_waitcnt vmcnt(43)
	v_mul_f32_e32 v155, v148, v46
	s_waitcnt vmcnt(37)
	v_fmac_f32_e32 v155, v149, v52
	v_add_f32_e32 v158, v154, v155
	ds_read_b128 v[154:157], v1 offset:768
	buffer_load_dword v225, off, s[0:3], 0 offset:432
	buffer_load_dword v226, off, s[0:3], 0 offset:436
	;; [unrolled: 1-line block ×12, first 2 shown]
	v_mul_f32_e32 v3, v3, v22
	v_fma_f32 v2, v2, v36, -v3
	v_mul_f32_e32 v3, v5, v23
	v_add_f32_e32 v2, 0, v2
	v_fma_f32 v3, v4, v35, -v3
	v_add_f32_e32 v2, v2, v3
	v_mul_f32_e32 v3, v7, v24
	v_fma_f32 v3, v6, v34, -v3
	v_add_f32_e32 v2, v2, v3
	v_mul_f32_e32 v3, v9, v27
	v_fma_f32 v3, v8, v40, -v3
	s_waitcnt vmcnt(48) lgkmcnt(1)
	v_mul_f32_e32 v159, v150, v53
	v_add_f32_e32 v2, v2, v3
	v_mul_f32_e32 v3, v11, v28
	v_fmac_f32_e32 v159, v151, v51
	v_fma_f32 v3, v10, v39, -v3
	v_add_f32_e32 v158, v158, v159
	v_mul_f32_e32 v159, v152, v48
	v_add_f32_e32 v2, v2, v3
	v_mul_f32_e32 v3, v13, v29
	v_fmac_f32_e32 v159, v153, v47
	v_fma_f32 v3, v12, v38, -v3
	v_add_f32_e32 v158, v158, v159
	s_waitcnt lgkmcnt(0)
	v_mul_f32_e32 v159, v154, v50
	v_add_f32_e32 v2, v2, v3
	v_mul_f32_e32 v3, v15, v30
	v_fmac_f32_e32 v159, v155, v49
	v_fma_f32 v3, v14, v37, -v3
	v_add_f32_e32 v162, v158, v159
	ds_read_b128 v[158:161], v1 offset:784
	v_add_f32_e32 v2, v2, v3
	v_mul_f32_e32 v3, v17, v31
	v_fma_f32 v3, v16, v44, -v3
	s_waitcnt vmcnt(44)
	v_mul_f32_e32 v163, v156, v57
	v_add_f32_e32 v2, v2, v3
	v_mul_f32_e32 v3, v19, v32
	v_fmac_f32_e32 v163, v157, v56
	v_fma_f32 v3, v18, v43, -v3
	v_add_f32_e32 v166, v162, v163
	ds_read_b128 v[162:165], v1 offset:800
	v_add_f32_e32 v2, v2, v3
	v_mul_f32_e32 v3, v21, v33
	s_waitcnt vmcnt(42) lgkmcnt(1)
	v_mul_f32_e32 v167, v158, v59
	v_fma_f32 v3, v20, v42, -v3
	v_fmac_f32_e32 v167, v159, v58
	v_add_f32_e32 v2, v2, v3
	v_mul_f32_e32 v3, v147, v45
	v_add_f32_e32 v166, v166, v167
	s_waitcnt vmcnt(40)
	v_mul_f32_e32 v167, v160, v61
	v_fma_f32 v3, v146, v41, -v3
	v_fmac_f32_e32 v167, v161, v60
	v_add_f32_e32 v2, v2, v3
	v_mul_f32_e32 v3, v149, v46
	v_add_f32_e32 v166, v166, v167
	s_waitcnt vmcnt(38) lgkmcnt(0)
	v_mul_f32_e32 v167, v162, v63
	v_fma_f32 v3, v148, v52, -v3
	v_fmac_f32_e32 v167, v163, v62
	v_add_f32_e32 v2, v2, v3
	v_mul_f32_e32 v3, v151, v53
	v_add_f32_e32 v170, v166, v167
	ds_read_b128 v[166:169], v1 offset:816
	v_fma_f32 v3, v150, v51, -v3
	v_add_f32_e32 v2, v2, v3
	v_mul_f32_e32 v3, v153, v48
	s_waitcnt vmcnt(36)
	v_mul_f32_e32 v171, v164, v65
	v_fma_f32 v3, v152, v47, -v3
	v_fmac_f32_e32 v171, v165, v64
	v_add_f32_e32 v2, v2, v3
	v_mul_f32_e32 v3, v155, v50
	v_add_f32_e32 v174, v170, v171
	ds_read_b128 v[170:173], v1 offset:832
	v_fma_f32 v3, v154, v49, -v3
	s_waitcnt vmcnt(34) lgkmcnt(1)
	v_mul_f32_e32 v175, v166, v202
	v_add_f32_e32 v2, v2, v3
	v_mul_f32_e32 v3, v157, v57
	v_fmac_f32_e32 v175, v167, v66
	v_fma_f32 v3, v156, v56, -v3
	v_add_f32_e32 v174, v174, v175
	s_waitcnt vmcnt(32)
	v_mul_f32_e32 v175, v168, v204
	v_add_f32_e32 v2, v2, v3
	v_mul_f32_e32 v3, v159, v59
	v_fmac_f32_e32 v175, v169, v203
	v_fma_f32 v3, v158, v58, -v3
	v_add_f32_e32 v174, v174, v175
	s_waitcnt vmcnt(30) lgkmcnt(0)
	v_mul_f32_e32 v175, v170, v206
	v_add_f32_e32 v2, v2, v3
	v_mul_f32_e32 v3, v161, v61
	v_fmac_f32_e32 v175, v171, v205
	v_fma_f32 v3, v160, v60, -v3
	v_add_f32_e32 v178, v174, v175
	ds_read_b128 v[174:177], v1 offset:848
	v_add_f32_e32 v2, v2, v3
	v_mul_f32_e32 v3, v163, v63
	v_fma_f32 v3, v162, v62, -v3
	s_waitcnt vmcnt(28)
	v_mul_f32_e32 v179, v172, v208
	v_add_f32_e32 v2, v2, v3
	v_mul_f32_e32 v3, v165, v65
	v_fmac_f32_e32 v179, v173, v207
	v_fma_f32 v3, v164, v64, -v3
	v_add_f32_e32 v182, v178, v179
	ds_read_b128 v[178:181], v1 offset:864
	v_add_f32_e32 v2, v2, v3
	v_mul_f32_e32 v3, v167, v202
	s_waitcnt vmcnt(26) lgkmcnt(1)
	v_mul_f32_e32 v183, v174, v210
	v_fma_f32 v3, v166, v66, -v3
	v_fmac_f32_e32 v183, v175, v209
	v_add_f32_e32 v2, v2, v3
	v_mul_f32_e32 v3, v169, v204
	v_add_f32_e32 v182, v182, v183
	s_waitcnt vmcnt(25)
	v_mul_f32_e32 v183, v176, v211
	v_fma_f32 v3, v168, v203, -v3
	s_waitcnt vmcnt(22)
	v_fmac_f32_e32 v183, v177, v214
	v_add_f32_e32 v2, v2, v3
	v_mul_f32_e32 v3, v171, v206
	v_add_f32_e32 v182, v182, v183
	s_waitcnt lgkmcnt(0)
	v_mul_f32_e32 v183, v178, v213
	v_fma_f32 v3, v170, v205, -v3
	v_fmac_f32_e32 v183, v179, v212
	v_add_f32_e32 v2, v2, v3
	v_mul_f32_e32 v3, v173, v208
	v_add_f32_e32 v186, v182, v183
	ds_read_b128 v[182:185], v1 offset:880
	v_fma_f32 v3, v172, v207, -v3
	v_add_f32_e32 v2, v2, v3
	v_mul_f32_e32 v3, v175, v210
	s_waitcnt vmcnt(20)
	v_mul_f32_e32 v187, v180, v216
	v_fma_f32 v3, v174, v209, -v3
	v_fmac_f32_e32 v187, v181, v215
	v_add_f32_e32 v2, v2, v3
	v_mul_f32_e32 v3, v177, v211
	v_add_f32_e32 v190, v186, v187
	ds_read_b128 v[186:189], v1 offset:896
	v_fma_f32 v3, v176, v214, -v3
	s_waitcnt vmcnt(18) lgkmcnt(1)
	v_mul_f32_e32 v191, v182, v218
	v_add_f32_e32 v2, v2, v3
	v_mul_f32_e32 v3, v179, v213
	v_fmac_f32_e32 v191, v183, v217
	v_fma_f32 v3, v178, v212, -v3
	v_add_f32_e32 v190, v190, v191
	s_waitcnt vmcnt(17)
	v_mul_f32_e32 v191, v184, v219
	v_add_f32_e32 v2, v2, v3
	v_mul_f32_e32 v3, v181, v216
	s_waitcnt vmcnt(14)
	v_fmac_f32_e32 v191, v185, v222
	v_fma_f32 v3, v180, v215, -v3
	v_add_f32_e32 v190, v190, v191
	s_waitcnt lgkmcnt(0)
	v_mul_f32_e32 v191, v186, v221
	v_add_f32_e32 v2, v2, v3
	v_mul_f32_e32 v3, v183, v218
	v_fmac_f32_e32 v191, v187, v220
	v_fma_f32 v3, v182, v217, -v3
	v_add_f32_e32 v194, v190, v191
	ds_read_b128 v[190:193], v1 offset:912
	v_add_f32_e32 v2, v2, v3
	v_mul_f32_e32 v3, v185, v219
	v_fma_f32 v3, v184, v222, -v3
	v_add_f32_e32 v2, v2, v3
	v_mul_f32_e32 v3, v187, v221
	s_waitcnt vmcnt(12)
	v_mul_f32_e32 v195, v188, v224
	v_fma_f32 v3, v186, v220, -v3
	v_fmac_f32_e32 v195, v189, v223
	v_add_f32_e32 v2, v2, v3
	v_mul_f32_e32 v3, v189, v224
	v_add_f32_e32 v198, v194, v195
	ds_read_b128 v[194:197], v1 offset:928
	s_waitcnt vmcnt(10) lgkmcnt(1)
	v_mul_f32_e32 v199, v190, v226
	v_fma_f32 v3, v188, v223, -v3
	v_fmac_f32_e32 v199, v191, v225
	v_add_f32_e32 v2, v2, v3
	v_mul_f32_e32 v3, v191, v226
	v_add_f32_e32 v198, v198, v199
	s_waitcnt vmcnt(9)
	v_mul_f32_e32 v199, v192, v227
	v_fma_f32 v3, v190, v225, -v3
	s_waitcnt vmcnt(6)
	v_fmac_f32_e32 v199, v193, v230
	v_add_f32_e32 v2, v2, v3
	v_mul_f32_e32 v3, v193, v227
	v_add_f32_e32 v237, v198, v199
	ds_read_b128 v[198:201], v1 offset:944
	v_fma_f32 v3, v192, v230, -v3
	v_add_f32_e32 v2, v2, v3
	s_waitcnt lgkmcnt(1)
	v_mul_f32_e32 v3, v195, v229
	v_mul_f32_e32 v238, v194, v229
	v_fma_f32 v3, v194, v228, -v3
	v_fmac_f32_e32 v238, v195, v228
	v_add_f32_e32 v2, v2, v3
	s_waitcnt vmcnt(4)
	v_mul_f32_e32 v3, v197, v232
	v_add_f32_e32 v1, v237, v238
	v_mul_f32_e32 v237, v196, v232
	v_fma_f32 v3, v196, v231, -v3
	v_fmac_f32_e32 v237, v197, v231
	v_add_f32_e32 v2, v2, v3
	s_waitcnt vmcnt(3) lgkmcnt(0)
	v_mul_f32_e32 v3, v199, v233
	v_add_f32_e32 v1, v1, v237
	v_mul_f32_e32 v237, v198, v233
	s_waitcnt vmcnt(0)
	v_fma_f32 v3, v198, v236, -v3
	v_fmac_f32_e32 v237, v199, v236
	v_add_f32_e32 v2, v2, v3
	v_mul_f32_e32 v3, v201, v235
	v_add_f32_e32 v1, v1, v237
	v_mul_f32_e32 v237, v200, v235
	v_fma_f32 v3, v200, v234, -v3
	v_fmac_f32_e32 v237, v201, v234
	v_add_f32_e32 v2, v2, v3
	v_add_f32_e32 v1, v1, v237
	v_sub_f32_e32 v2, v54, v2
	v_sub_f32_e32 v1, v55, v1
	buffer_store_dword v2, off, s[0:3], 0 offset:168
	buffer_store_dword v1, off, s[0:3], 0 offset:172
	s_and_saveexec_b64 s[4:5], vcc
	s_cbranch_execz .LBB123_333
; %bb.332:
	buffer_load_dword v1, off, s[0:3], 0 offset:160
	buffer_load_dword v2, off, s[0:3], 0 offset:164
	v_mov_b32_e32 v3, 0
	buffer_store_dword v3, off, s[0:3], 0 offset:160
	buffer_store_dword v3, off, s[0:3], 0 offset:164
	s_waitcnt vmcnt(2)
	ds_write_b64 v145, v[1:2]
.LBB123_333:
	s_or_b64 exec, exec, s[4:5]
	s_waitcnt lgkmcnt(0)
	; wave barrier
	buffer_load_dword v24, off, s[0:3], 0 offset:172
	buffer_load_dword v27, off, s[0:3], 0 offset:180
	;; [unrolled: 1-line block ×50, first 2 shown]
	v_mov_b32_e32 v1, 0
	ds_read2_b64 v[2:5], v1 offset0:81 offset1:82
	ds_read2_b64 v[6:9], v1 offset0:83 offset1:84
	;; [unrolled: 1-line block ×6, first 2 shown]
	buffer_load_dword v211, off, s[0:3], 0 offset:360
	buffer_load_dword v212, off, s[0:3], 0 offset:364
	;; [unrolled: 1-line block ×8, first 2 shown]
	v_cmp_lt_u32_e32 vcc, 19, v0
	s_waitcnt vmcnt(57) lgkmcnt(5)
	v_mul_f32_e32 v22, v2, v24
	s_waitcnt vmcnt(56)
	v_mul_f32_e32 v23, v4, v27
	s_waitcnt vmcnt(55) lgkmcnt(4)
	v_mul_f32_e32 v150, v6, v28
	s_waitcnt vmcnt(54)
	v_mul_f32_e32 v151, v8, v29
	;; [unrolled: 4-line block ×5, first 2 shown]
	s_waitcnt vmcnt(47) lgkmcnt(0)
	v_mul_f32_e32 v158, v146, v36
	s_waitcnt vmcnt(46)
	v_fmac_f32_e32 v150, v7, v37
	s_waitcnt vmcnt(45)
	v_fmac_f32_e32 v23, v5, v38
	;; [unrolled: 2-line block ×3, first 2 shown]
	v_add_f32_e32 v22, 0, v22
	v_add_f32_e32 v22, v22, v23
	;; [unrolled: 1-line block ×3, first 2 shown]
	s_waitcnt vmcnt(40)
	v_fmac_f32_e32 v151, v9, v43
	v_fmac_f32_e32 v152, v11, v42
	v_add_f32_e32 v22, v22, v151
	v_fmac_f32_e32 v153, v13, v41
	v_add_f32_e32 v22, v22, v152
	;; [unrolled: 2-line block ×3, first 2 shown]
	s_waitcnt vmcnt(36)
	v_fmac_f32_e32 v155, v17, v47
	v_add_f32_e32 v22, v22, v154
	ds_read2_b64 v[150:153], v1 offset0:93 offset1:94
	buffer_load_dword v219, off, s[0:3], 0 offset:392
	buffer_load_dword v220, off, s[0:3], 0 offset:396
	;; [unrolled: 1-line block ×6, first 2 shown]
	v_fmac_f32_e32 v156, v19, v46
	v_add_f32_e32 v22, v22, v155
	v_fmac_f32_e32 v157, v21, v45
	v_add_f32_e32 v22, v22, v156
	v_add_f32_e32 v22, v22, v157
	ds_read2_b64 v[154:157], v1 offset0:95 offset1:96
	buffer_load_dword v225, off, s[0:3], 0 offset:416
	buffer_load_dword v226, off, s[0:3], 0 offset:420
	;; [unrolled: 1-line block ×16, first 2 shown]
	v_mul_f32_e32 v3, v3, v24
	v_fma_f32 v2, v2, v39, -v3
	v_mul_f32_e32 v3, v5, v27
	v_add_f32_e32 v2, 0, v2
	v_fma_f32 v3, v4, v38, -v3
	v_add_f32_e32 v2, v2, v3
	v_mul_f32_e32 v3, v7, v28
	v_fma_f32 v3, v6, v37, -v3
	v_add_f32_e32 v2, v2, v3
	v_mul_f32_e32 v3, v9, v29
	;; [unrolled: 3-line block ×9, first 2 shown]
	v_fmac_f32_e32 v158, v147, v44
	s_waitcnt vmcnt(57)
	v_mul_f32_e32 v23, v148, v48
	v_fma_f32 v3, v146, v44, -v3
	v_add_f32_e32 v22, v22, v158
	s_waitcnt vmcnt(50)
	v_fmac_f32_e32 v23, v149, v55
	v_add_f32_e32 v2, v2, v3
	v_mul_f32_e32 v3, v149, v48
	v_add_f32_e32 v22, v22, v23
	s_waitcnt lgkmcnt(1)
	v_mul_f32_e32 v23, v150, v50
	v_fma_f32 v3, v148, v55, -v3
	v_fmac_f32_e32 v23, v151, v49
	v_add_f32_e32 v2, v2, v3
	v_mul_f32_e32 v3, v151, v50
	v_add_f32_e32 v22, v22, v23
	v_mul_f32_e32 v23, v152, v52
	v_fma_f32 v3, v150, v49, -v3
	v_fmac_f32_e32 v23, v153, v51
	ds_read2_b64 v[158:161], v1 offset0:97 offset1:98
	ds_read2_b64 v[162:165], v1 offset0:99 offset1:100
	v_add_f32_e32 v2, v2, v3
	v_mul_f32_e32 v3, v153, v52
	v_add_f32_e32 v22, v22, v23
	s_waitcnt lgkmcnt(2)
	v_mul_f32_e32 v23, v154, v54
	v_fma_f32 v3, v152, v51, -v3
	v_fmac_f32_e32 v23, v155, v53
	v_add_f32_e32 v2, v2, v3
	v_mul_f32_e32 v3, v155, v54
	v_add_f32_e32 v22, v22, v23
	s_waitcnt vmcnt(46)
	v_mul_f32_e32 v23, v156, v59
	v_fma_f32 v3, v154, v53, -v3
	v_fmac_f32_e32 v23, v157, v58
	v_add_f32_e32 v2, v2, v3
	v_mul_f32_e32 v3, v157, v59
	v_add_f32_e32 v22, v22, v23
	s_waitcnt vmcnt(44) lgkmcnt(1)
	v_mul_f32_e32 v23, v158, v61
	v_fma_f32 v3, v156, v58, -v3
	v_fmac_f32_e32 v23, v159, v60
	v_add_f32_e32 v2, v2, v3
	v_mul_f32_e32 v3, v159, v61
	v_add_f32_e32 v22, v22, v23
	s_waitcnt vmcnt(42)
	v_mul_f32_e32 v23, v160, v63
	v_fma_f32 v3, v158, v60, -v3
	v_fmac_f32_e32 v23, v161, v62
	ds_read2_b64 v[166:169], v1 offset0:101 offset1:102
	ds_read2_b64 v[170:173], v1 offset0:103 offset1:104
	v_add_f32_e32 v2, v2, v3
	v_mul_f32_e32 v3, v161, v63
	v_add_f32_e32 v22, v22, v23
	s_waitcnt vmcnt(40) lgkmcnt(2)
	v_mul_f32_e32 v23, v162, v65
	v_fma_f32 v3, v160, v62, -v3
	v_fmac_f32_e32 v23, v163, v64
	v_add_f32_e32 v2, v2, v3
	v_mul_f32_e32 v3, v163, v65
	v_add_f32_e32 v22, v22, v23
	s_waitcnt vmcnt(38)
	v_mul_f32_e32 v23, v164, v202
	v_fma_f32 v3, v162, v64, -v3
	v_fmac_f32_e32 v23, v165, v66
	v_add_f32_e32 v2, v2, v3
	v_mul_f32_e32 v3, v165, v202
	v_add_f32_e32 v22, v22, v23
	s_waitcnt vmcnt(36) lgkmcnt(1)
	v_mul_f32_e32 v23, v166, v204
	v_fma_f32 v3, v164, v66, -v3
	v_fmac_f32_e32 v23, v167, v203
	v_add_f32_e32 v2, v2, v3
	v_mul_f32_e32 v3, v167, v204
	v_add_f32_e32 v22, v22, v23
	s_waitcnt vmcnt(34)
	v_mul_f32_e32 v23, v168, v206
	v_fma_f32 v3, v166, v203, -v3
	v_fmac_f32_e32 v23, v169, v205
	ds_read2_b64 v[174:177], v1 offset0:105 offset1:106
	ds_read2_b64 v[178:181], v1 offset0:107 offset1:108
	v_add_f32_e32 v2, v2, v3
	v_mul_f32_e32 v3, v169, v206
	v_add_f32_e32 v22, v22, v23
	s_waitcnt vmcnt(32) lgkmcnt(2)
	v_mul_f32_e32 v23, v170, v208
	v_fma_f32 v3, v168, v205, -v3
	v_fmac_f32_e32 v23, v171, v207
	v_add_f32_e32 v2, v2, v3
	v_mul_f32_e32 v3, v171, v208
	v_add_f32_e32 v22, v22, v23
	s_waitcnt vmcnt(30)
	v_mul_f32_e32 v23, v172, v210
	v_fma_f32 v3, v170, v207, -v3
	v_fmac_f32_e32 v23, v173, v209
	v_add_f32_e32 v2, v2, v3
	v_mul_f32_e32 v3, v173, v210
	v_add_f32_e32 v22, v22, v23
	s_waitcnt vmcnt(28) lgkmcnt(1)
	v_mul_f32_e32 v23, v174, v212
	v_fma_f32 v3, v172, v209, -v3
	v_fmac_f32_e32 v23, v175, v211
	v_add_f32_e32 v2, v2, v3
	v_mul_f32_e32 v3, v175, v212
	v_add_f32_e32 v22, v22, v23
	s_waitcnt vmcnt(27)
	v_mul_f32_e32 v23, v176, v213
	v_fma_f32 v3, v174, v211, -v3
	s_waitcnt vmcnt(24)
	v_fmac_f32_e32 v23, v177, v216
	ds_read2_b64 v[182:185], v1 offset0:109 offset1:110
	ds_read2_b64 v[186:189], v1 offset0:111 offset1:112
	v_add_f32_e32 v2, v2, v3
	v_mul_f32_e32 v3, v177, v213
	v_add_f32_e32 v22, v22, v23
	s_waitcnt lgkmcnt(2)
	v_mul_f32_e32 v23, v178, v215
	v_fma_f32 v3, v176, v216, -v3
	v_fmac_f32_e32 v23, v179, v214
	v_add_f32_e32 v2, v2, v3
	v_mul_f32_e32 v3, v179, v215
	v_add_f32_e32 v22, v22, v23
	s_waitcnt vmcnt(22)
	v_mul_f32_e32 v23, v180, v218
	v_fma_f32 v3, v178, v214, -v3
	v_fmac_f32_e32 v23, v181, v217
	v_add_f32_e32 v2, v2, v3
	v_mul_f32_e32 v3, v181, v218
	v_add_f32_e32 v22, v22, v23
	s_waitcnt vmcnt(20) lgkmcnt(1)
	v_mul_f32_e32 v23, v182, v220
	v_fma_f32 v3, v180, v217, -v3
	v_fmac_f32_e32 v23, v183, v219
	v_add_f32_e32 v2, v2, v3
	v_mul_f32_e32 v3, v183, v220
	v_add_f32_e32 v22, v22, v23
	s_waitcnt vmcnt(19)
	v_mul_f32_e32 v23, v184, v221
	v_fma_f32 v3, v182, v219, -v3
	s_waitcnt vmcnt(16)
	v_fmac_f32_e32 v23, v185, v224
	ds_read2_b64 v[190:193], v1 offset0:113 offset1:114
	ds_read2_b64 v[194:197], v1 offset0:115 offset1:116
	v_add_f32_e32 v2, v2, v3
	v_mul_f32_e32 v3, v185, v221
	v_add_f32_e32 v22, v22, v23
	s_waitcnt lgkmcnt(2)
	v_mul_f32_e32 v23, v186, v223
	v_fma_f32 v3, v184, v224, -v3
	v_fmac_f32_e32 v23, v187, v222
	v_add_f32_e32 v2, v2, v3
	v_mul_f32_e32 v3, v187, v223
	v_add_f32_e32 v22, v22, v23
	s_waitcnt vmcnt(14)
	v_mul_f32_e32 v23, v188, v226
	v_fma_f32 v3, v186, v222, -v3
	v_fmac_f32_e32 v23, v189, v225
	v_add_f32_e32 v2, v2, v3
	v_mul_f32_e32 v3, v189, v226
	v_add_f32_e32 v22, v22, v23
	s_waitcnt vmcnt(12) lgkmcnt(1)
	v_mul_f32_e32 v23, v190, v228
	v_fma_f32 v3, v188, v225, -v3
	v_fmac_f32_e32 v23, v191, v227
	v_add_f32_e32 v2, v2, v3
	v_mul_f32_e32 v3, v191, v228
	v_add_f32_e32 v22, v22, v23
	s_waitcnt vmcnt(11)
	v_mul_f32_e32 v23, v192, v229
	v_fma_f32 v3, v190, v227, -v3
	s_waitcnt vmcnt(8)
	v_fmac_f32_e32 v23, v193, v232
	v_add_f32_e32 v2, v2, v3
	v_mul_f32_e32 v3, v193, v229
	v_add_f32_e32 v22, v22, v23
	s_waitcnt lgkmcnt(0)
	v_mul_f32_e32 v23, v194, v231
	ds_read2_b64 v[198:201], v1 offset0:117 offset1:118
	v_fma_f32 v3, v192, v232, -v3
	v_fmac_f32_e32 v23, v195, v230
	v_add_f32_e32 v2, v2, v3
	v_mul_f32_e32 v3, v195, v231
	v_add_f32_e32 v22, v22, v23
	s_waitcnt vmcnt(6)
	v_mul_f32_e32 v23, v196, v234
	v_fma_f32 v3, v194, v230, -v3
	v_fmac_f32_e32 v23, v197, v233
	v_add_f32_e32 v2, v2, v3
	v_mul_f32_e32 v3, v197, v234
	v_add_f32_e32 v241, v22, v23
	ds_read_b64 v[22:23], v1 offset:952
	v_fma_f32 v3, v196, v233, -v3
	v_add_f32_e32 v2, v2, v3
	s_waitcnt vmcnt(4) lgkmcnt(1)
	v_mul_f32_e32 v3, v199, v236
	v_mul_f32_e32 v242, v198, v236
	v_fma_f32 v3, v198, v235, -v3
	v_fmac_f32_e32 v242, v199, v235
	v_add_f32_e32 v2, v2, v3
	s_waitcnt vmcnt(3)
	v_mul_f32_e32 v3, v201, v237
	v_add_f32_e32 v241, v241, v242
	v_mul_f32_e32 v242, v200, v237
	s_waitcnt vmcnt(0)
	v_fma_f32 v3, v200, v240, -v3
	v_fmac_f32_e32 v242, v201, v240
	v_add_f32_e32 v2, v2, v3
	s_waitcnt lgkmcnt(0)
	v_mul_f32_e32 v3, v23, v239
	v_add_f32_e32 v241, v241, v242
	v_mul_f32_e32 v242, v22, v239
	v_fma_f32 v3, v22, v238, -v3
	v_fmac_f32_e32 v242, v23, v238
	v_add_f32_e32 v2, v2, v3
	v_add_f32_e32 v241, v241, v242
	v_sub_f32_e32 v2, v56, v2
	v_sub_f32_e32 v3, v57, v241
	buffer_store_dword v2, off, s[0:3], 0 offset:160
	buffer_store_dword v3, off, s[0:3], 0 offset:164
	s_and_saveexec_b64 s[4:5], vcc
	s_cbranch_execz .LBB123_335
; %bb.334:
	buffer_load_dword v2, off, s[0:3], 0 offset:152
	buffer_load_dword v3, off, s[0:3], 0 offset:156
	s_waitcnt vmcnt(0)
	ds_write_b64 v145, v[2:3]
	buffer_store_dword v1, off, s[0:3], 0 offset:152
	buffer_store_dword v1, off, s[0:3], 0 offset:156
.LBB123_335:
	s_or_b64 exec, exec, s[4:5]
	s_waitcnt lgkmcnt(0)
	; wave barrier
	buffer_load_dword v22, off, s[0:3], 0 offset:164
	buffer_load_dword v23, off, s[0:3], 0 offset:172
	;; [unrolled: 1-line block ×32, first 2 shown]
	ds_read_b128 v[2:5], v1 offset:640
	ds_read_b128 v[6:9], v1 offset:656
	;; [unrolled: 1-line block ×6, first 2 shown]
	buffer_load_dword v56, off, s[0:3], 0 offset:280
	buffer_load_dword v57, off, s[0:3], 0 offset:284
	buffer_load_dword v58, off, s[0:3], 0 offset:288
	buffer_load_dword v59, off, s[0:3], 0 offset:292
	buffer_load_dword v60, off, s[0:3], 0 offset:296
	buffer_load_dword v61, off, s[0:3], 0 offset:300
	buffer_load_dword v62, off, s[0:3], 0 offset:304
	buffer_load_dword v63, off, s[0:3], 0 offset:308
	buffer_load_dword v64, off, s[0:3], 0 offset:312
	buffer_load_dword v65, off, s[0:3], 0 offset:316
	buffer_load_dword v66, off, s[0:3], 0 offset:320
	buffer_load_dword v206, off, s[0:3], 0 offset:324
	buffer_load_dword v207, off, s[0:3], 0 offset:328
	buffer_load_dword v208, off, s[0:3], 0 offset:332
	buffer_load_dword v209, off, s[0:3], 0 offset:336
	buffer_load_dword v210, off, s[0:3], 0 offset:340
	buffer_load_dword v211, off, s[0:3], 0 offset:344
	buffer_load_dword v212, off, s[0:3], 0 offset:348
	buffer_load_dword v213, off, s[0:3], 0 offset:352
	buffer_load_dword v214, off, s[0:3], 0 offset:356
	buffer_load_dword v215, off, s[0:3], 0 offset:364
	buffer_load_dword v216, off, s[0:3], 0 offset:368
	buffer_load_dword v217, off, s[0:3], 0 offset:372
	buffer_load_dword v218, off, s[0:3], 0 offset:360
	buffer_load_dword v219, off, s[0:3], 0 offset:376
	buffer_load_dword v220, off, s[0:3], 0 offset:380
	v_cmp_lt_u32_e32 vcc, 18, v0
	s_waitcnt vmcnt(57) lgkmcnt(5)
	v_mul_f32_e32 v150, v2, v22
	s_waitcnt vmcnt(56)
	v_mul_f32_e32 v151, v4, v23
	s_waitcnt vmcnt(55) lgkmcnt(4)
	v_mul_f32_e32 v152, v6, v24
	s_waitcnt vmcnt(54)
	v_mul_f32_e32 v153, v8, v27
	;; [unrolled: 4-line block ×5, first 2 shown]
	s_waitcnt vmcnt(47) lgkmcnt(0)
	v_mul_f32_e32 v160, v146, v34
	s_waitcnt vmcnt(46)
	v_fmac_f32_e32 v152, v7, v35
	s_waitcnt vmcnt(45)
	v_fmac_f32_e32 v151, v5, v36
	;; [unrolled: 2-line block ×3, first 2 shown]
	v_add_f32_e32 v150, 0, v150
	v_add_f32_e32 v150, v150, v151
	;; [unrolled: 1-line block ×3, first 2 shown]
	s_waitcnt vmcnt(40)
	v_fmac_f32_e32 v153, v9, v41
	v_fmac_f32_e32 v154, v11, v40
	v_add_f32_e32 v150, v150, v153
	v_fmac_f32_e32 v155, v13, v39
	v_add_f32_e32 v150, v150, v154
	;; [unrolled: 2-line block ×3, first 2 shown]
	s_waitcnt vmcnt(36)
	v_fmac_f32_e32 v157, v17, v45
	v_add_f32_e32 v150, v150, v156
	v_fmac_f32_e32 v158, v19, v44
	v_add_f32_e32 v150, v150, v157
	;; [unrolled: 2-line block ×4, first 2 shown]
	v_add_f32_e32 v154, v150, v160
	ds_read_b128 v[150:153], v1 offset:736
	buffer_load_dword v221, off, s[0:3], 0 offset:384
	buffer_load_dword v222, off, s[0:3], 0 offset:388
	;; [unrolled: 1-line block ×6, first 2 shown]
	s_waitcnt vmcnt(41)
	v_mul_f32_e32 v155, v148, v46
	s_waitcnt vmcnt(35)
	v_fmac_f32_e32 v155, v149, v52
	v_add_f32_e32 v158, v154, v155
	ds_read_b128 v[154:157], v1 offset:752
	buffer_load_dword v227, off, s[0:3], 0 offset:408
	buffer_load_dword v228, off, s[0:3], 0 offset:412
	;; [unrolled: 1-line block ×10, first 2 shown]
	s_waitcnt vmcnt(44) lgkmcnt(1)
	v_mul_f32_e32 v159, v150, v53
	v_fmac_f32_e32 v159, v151, v51
	v_add_f32_e32 v158, v158, v159
	v_mul_f32_e32 v159, v152, v48
	v_fmac_f32_e32 v159, v153, v47
	v_add_f32_e32 v158, v158, v159
	s_waitcnt lgkmcnt(0)
	v_mul_f32_e32 v159, v154, v50
	buffer_load_dword v237, off, s[0:3], 0 offset:448
	buffer_load_dword v238, off, s[0:3], 0 offset:452
	;; [unrolled: 1-line block ×6, first 2 shown]
	v_fmac_f32_e32 v159, v155, v49
	s_waitcnt vmcnt(46)
	v_mul_f32_e32 v163, v156, v57
	v_add_f32_e32 v162, v158, v159
	v_fmac_f32_e32 v163, v157, v56
	ds_read_b128 v[158:161], v1 offset:768
	v_add_f32_e32 v166, v162, v163
	ds_read_b128 v[162:165], v1 offset:784
	buffer_load_dword v243, off, s[0:3], 0 offset:472
	buffer_load_dword v244, off, s[0:3], 0 offset:476
	v_mul_f32_e32 v3, v3, v22
	v_fma_f32 v2, v2, v37, -v3
	v_mul_f32_e32 v3, v5, v23
	v_add_f32_e32 v2, 0, v2
	v_fma_f32 v3, v4, v36, -v3
	v_add_f32_e32 v2, v2, v3
	v_mul_f32_e32 v3, v7, v24
	v_fma_f32 v3, v6, v35, -v3
	v_add_f32_e32 v2, v2, v3
	v_mul_f32_e32 v3, v9, v27
	;; [unrolled: 3-line block ×7, first 2 shown]
	s_waitcnt vmcnt(46) lgkmcnt(1)
	v_mul_f32_e32 v167, v158, v59
	v_fma_f32 v3, v18, v44, -v3
	v_fmac_f32_e32 v167, v159, v58
	v_add_f32_e32 v2, v2, v3
	v_mul_f32_e32 v3, v21, v33
	v_add_f32_e32 v166, v166, v167
	s_waitcnt vmcnt(44)
	v_mul_f32_e32 v167, v160, v61
	v_fma_f32 v3, v20, v43, -v3
	v_fmac_f32_e32 v167, v161, v60
	v_add_f32_e32 v2, v2, v3
	v_mul_f32_e32 v3, v147, v34
	v_add_f32_e32 v166, v166, v167
	s_waitcnt vmcnt(42) lgkmcnt(0)
	v_mul_f32_e32 v167, v162, v63
	v_fma_f32 v3, v146, v42, -v3
	v_fmac_f32_e32 v167, v163, v62
	v_add_f32_e32 v2, v2, v3
	v_mul_f32_e32 v3, v149, v46
	v_add_f32_e32 v170, v166, v167
	ds_read_b128 v[166:169], v1 offset:800
	v_fma_f32 v3, v148, v52, -v3
	v_add_f32_e32 v2, v2, v3
	v_mul_f32_e32 v3, v151, v53
	s_waitcnt vmcnt(40)
	v_mul_f32_e32 v171, v164, v65
	v_fma_f32 v3, v150, v51, -v3
	v_fmac_f32_e32 v171, v165, v64
	v_add_f32_e32 v2, v2, v3
	v_mul_f32_e32 v3, v153, v48
	v_add_f32_e32 v174, v170, v171
	ds_read_b128 v[170:173], v1 offset:816
	v_fma_f32 v3, v152, v47, -v3
	s_waitcnt vmcnt(38) lgkmcnt(1)
	v_mul_f32_e32 v175, v166, v206
	v_add_f32_e32 v2, v2, v3
	v_mul_f32_e32 v3, v155, v50
	v_fmac_f32_e32 v175, v167, v66
	v_fma_f32 v3, v154, v49, -v3
	v_add_f32_e32 v174, v174, v175
	s_waitcnt vmcnt(36)
	v_mul_f32_e32 v175, v168, v208
	v_add_f32_e32 v2, v2, v3
	v_mul_f32_e32 v3, v157, v57
	v_fmac_f32_e32 v175, v169, v207
	v_fma_f32 v3, v156, v56, -v3
	v_add_f32_e32 v174, v174, v175
	s_waitcnt vmcnt(34) lgkmcnt(0)
	v_mul_f32_e32 v175, v170, v210
	v_add_f32_e32 v2, v2, v3
	v_mul_f32_e32 v3, v159, v59
	v_fmac_f32_e32 v175, v171, v209
	v_fma_f32 v3, v158, v58, -v3
	v_add_f32_e32 v178, v174, v175
	ds_read_b128 v[174:177], v1 offset:832
	v_add_f32_e32 v2, v2, v3
	v_mul_f32_e32 v3, v161, v61
	v_fma_f32 v3, v160, v60, -v3
	s_waitcnt vmcnt(32)
	v_mul_f32_e32 v179, v172, v212
	v_add_f32_e32 v2, v2, v3
	v_mul_f32_e32 v3, v163, v63
	v_fmac_f32_e32 v179, v173, v211
	v_fma_f32 v3, v162, v62, -v3
	v_add_f32_e32 v182, v178, v179
	ds_read_b128 v[178:181], v1 offset:848
	v_add_f32_e32 v2, v2, v3
	v_mul_f32_e32 v3, v165, v65
	s_waitcnt vmcnt(30) lgkmcnt(1)
	v_mul_f32_e32 v183, v174, v214
	v_fma_f32 v3, v164, v64, -v3
	v_fmac_f32_e32 v183, v175, v213
	v_add_f32_e32 v2, v2, v3
	v_mul_f32_e32 v3, v167, v206
	v_add_f32_e32 v182, v182, v183
	s_waitcnt vmcnt(29)
	v_mul_f32_e32 v183, v176, v215
	v_fma_f32 v3, v166, v66, -v3
	s_waitcnt vmcnt(26)
	v_fmac_f32_e32 v183, v177, v218
	v_add_f32_e32 v2, v2, v3
	v_mul_f32_e32 v3, v169, v208
	v_add_f32_e32 v182, v182, v183
	s_waitcnt lgkmcnt(0)
	v_mul_f32_e32 v183, v178, v217
	v_fma_f32 v3, v168, v207, -v3
	v_fmac_f32_e32 v183, v179, v216
	v_add_f32_e32 v2, v2, v3
	v_mul_f32_e32 v3, v171, v210
	v_add_f32_e32 v186, v182, v183
	ds_read_b128 v[182:185], v1 offset:864
	v_fma_f32 v3, v170, v209, -v3
	v_add_f32_e32 v2, v2, v3
	v_mul_f32_e32 v3, v173, v212
	s_waitcnt vmcnt(24)
	v_mul_f32_e32 v187, v180, v220
	v_fma_f32 v3, v172, v211, -v3
	v_fmac_f32_e32 v187, v181, v219
	v_add_f32_e32 v2, v2, v3
	v_mul_f32_e32 v3, v175, v214
	v_add_f32_e32 v190, v186, v187
	ds_read_b128 v[186:189], v1 offset:880
	v_fma_f32 v3, v174, v213, -v3
	s_waitcnt vmcnt(22) lgkmcnt(1)
	v_mul_f32_e32 v191, v182, v222
	v_add_f32_e32 v2, v2, v3
	v_mul_f32_e32 v3, v177, v215
	v_fmac_f32_e32 v191, v183, v221
	v_fma_f32 v3, v176, v218, -v3
	v_add_f32_e32 v190, v190, v191
	s_waitcnt vmcnt(21)
	v_mul_f32_e32 v191, v184, v223
	v_add_f32_e32 v2, v2, v3
	v_mul_f32_e32 v3, v179, v217
	s_waitcnt vmcnt(18)
	v_fmac_f32_e32 v191, v185, v226
	v_fma_f32 v3, v178, v216, -v3
	v_add_f32_e32 v190, v190, v191
	s_waitcnt lgkmcnt(0)
	v_mul_f32_e32 v191, v186, v225
	v_add_f32_e32 v2, v2, v3
	v_mul_f32_e32 v3, v181, v220
	v_fmac_f32_e32 v191, v187, v224
	v_fma_f32 v3, v180, v219, -v3
	v_add_f32_e32 v194, v190, v191
	ds_read_b128 v[190:193], v1 offset:896
	v_add_f32_e32 v2, v2, v3
	v_mul_f32_e32 v3, v183, v222
	v_fma_f32 v3, v182, v221, -v3
	s_waitcnt vmcnt(16)
	v_mul_f32_e32 v195, v188, v228
	v_add_f32_e32 v2, v2, v3
	v_mul_f32_e32 v3, v185, v223
	v_fmac_f32_e32 v195, v189, v227
	v_fma_f32 v3, v184, v226, -v3
	v_add_f32_e32 v198, v194, v195
	ds_read_b128 v[194:197], v1 offset:912
	v_add_f32_e32 v2, v2, v3
	v_mul_f32_e32 v3, v187, v225
	s_waitcnt vmcnt(14) lgkmcnt(1)
	v_mul_f32_e32 v199, v190, v230
	v_fma_f32 v3, v186, v224, -v3
	v_fmac_f32_e32 v199, v191, v229
	v_add_f32_e32 v2, v2, v3
	v_mul_f32_e32 v3, v189, v228
	v_add_f32_e32 v198, v198, v199
	s_waitcnt vmcnt(13)
	v_mul_f32_e32 v199, v192, v231
	v_fma_f32 v3, v188, v227, -v3
	s_waitcnt vmcnt(10)
	v_fmac_f32_e32 v199, v193, v234
	v_add_f32_e32 v2, v2, v3
	v_mul_f32_e32 v3, v191, v230
	v_add_f32_e32 v198, v198, v199
	s_waitcnt lgkmcnt(0)
	v_mul_f32_e32 v199, v194, v233
	v_fma_f32 v3, v190, v229, -v3
	v_fmac_f32_e32 v199, v195, v232
	v_add_f32_e32 v2, v2, v3
	v_mul_f32_e32 v3, v193, v231
	v_add_f32_e32 v202, v198, v199
	ds_read_b128 v[198:201], v1 offset:928
	v_fma_f32 v3, v192, v234, -v3
	v_add_f32_e32 v2, v2, v3
	v_mul_f32_e32 v3, v195, v233
	s_waitcnt vmcnt(8)
	v_mul_f32_e32 v203, v196, v236
	v_fma_f32 v3, v194, v232, -v3
	v_fmac_f32_e32 v203, v197, v235
	v_add_f32_e32 v2, v2, v3
	v_mul_f32_e32 v3, v197, v236
	v_add_f32_e32 v245, v202, v203
	ds_read_b128 v[202:205], v1 offset:944
	v_fma_f32 v3, v196, v235, -v3
	v_add_f32_e32 v2, v2, v3
	s_waitcnt vmcnt(6) lgkmcnt(1)
	v_mul_f32_e32 v3, v199, v238
	v_mul_f32_e32 v1, v198, v238
	v_fma_f32 v3, v198, v237, -v3
	v_fmac_f32_e32 v1, v199, v237
	v_add_f32_e32 v2, v2, v3
	s_waitcnt vmcnt(5)
	v_mul_f32_e32 v3, v201, v239
	v_add_f32_e32 v1, v245, v1
	v_mul_f32_e32 v245, v200, v239
	s_waitcnt vmcnt(2)
	v_fma_f32 v3, v200, v242, -v3
	v_fmac_f32_e32 v245, v201, v242
	v_add_f32_e32 v2, v2, v3
	s_waitcnt lgkmcnt(0)
	v_mul_f32_e32 v3, v203, v241
	v_add_f32_e32 v1, v1, v245
	v_mul_f32_e32 v245, v202, v241
	v_fma_f32 v3, v202, v240, -v3
	v_fmac_f32_e32 v245, v203, v240
	v_add_f32_e32 v2, v2, v3
	s_waitcnt vmcnt(0)
	v_mul_f32_e32 v3, v205, v244
	v_add_f32_e32 v1, v1, v245
	v_mul_f32_e32 v245, v204, v244
	v_fma_f32 v3, v204, v243, -v3
	v_fmac_f32_e32 v245, v205, v243
	v_add_f32_e32 v2, v2, v3
	v_add_f32_e32 v1, v1, v245
	v_sub_f32_e32 v2, v54, v2
	v_sub_f32_e32 v1, v55, v1
	buffer_store_dword v2, off, s[0:3], 0 offset:152
	buffer_store_dword v1, off, s[0:3], 0 offset:156
	s_and_saveexec_b64 s[4:5], vcc
	s_cbranch_execz .LBB123_337
; %bb.336:
	buffer_load_dword v1, off, s[0:3], 0 offset:144
	buffer_load_dword v2, off, s[0:3], 0 offset:148
	v_mov_b32_e32 v3, 0
	buffer_store_dword v3, off, s[0:3], 0 offset:144
	buffer_store_dword v3, off, s[0:3], 0 offset:148
	s_waitcnt vmcnt(2)
	ds_write_b64 v145, v[1:2]
.LBB123_337:
	s_or_b64 exec, exec, s[4:5]
	s_waitcnt lgkmcnt(0)
	; wave barrier
	buffer_load_dword v10, off, s[0:3], 0 offset:156
	buffer_load_dword v9, off, s[0:3], 0 offset:164
	;; [unrolled: 1-line block ×32, first 2 shown]
	v_mov_b32_e32 v1, 0
	buffer_load_dword v50, off, s[0:3], 0 offset:272
	buffer_load_dword v51, off, s[0:3], 0 offset:276
	;; [unrolled: 1-line block ×18, first 2 shown]
	ds_read2_b64 v[11:14], v1 offset0:79 offset1:80
	ds_read2_b64 v[15:18], v1 offset0:81 offset1:82
	;; [unrolled: 1-line block ×6, first 2 shown]
	buffer_load_dword v215, off, s[0:3], 0 offset:344
	buffer_load_dword v216, off, s[0:3], 0 offset:348
	;; [unrolled: 1-line block ×6, first 2 shown]
	v_cmp_lt_u32_e32 vcc, 17, v0
	s_waitcnt vmcnt(55) lgkmcnt(5)
	v_mul_f32_e32 v23, v11, v10
	s_waitcnt vmcnt(54)
	v_mul_f32_e32 v24, v13, v9
	s_waitcnt vmcnt(53) lgkmcnt(4)
	v_mul_f32_e32 v158, v15, v8
	s_waitcnt vmcnt(52)
	v_mul_f32_e32 v159, v17, v7
	;; [unrolled: 4-line block ×5, first 2 shown]
	s_waitcnt vmcnt(45) lgkmcnt(0)
	v_mul_f32_e32 v166, v154, v30
	s_waitcnt vmcnt(44)
	v_fmac_f32_e32 v158, v16, v31
	s_waitcnt vmcnt(43)
	v_fmac_f32_e32 v24, v14, v32
	;; [unrolled: 2-line block ×3, first 2 shown]
	v_add_f32_e32 v23, 0, v23
	v_add_f32_e32 v23, v23, v24
	;; [unrolled: 1-line block ×3, first 2 shown]
	s_waitcnt vmcnt(38)
	v_fmac_f32_e32 v159, v18, v37
	v_fmac_f32_e32 v160, v20, v36
	v_add_f32_e32 v23, v23, v159
	v_fmac_f32_e32 v161, v22, v35
	v_add_f32_e32 v23, v23, v160
	v_add_f32_e32 v23, v23, v161
	ds_read2_b64 v[158:161], v1 offset0:91 offset1:92
	buffer_load_dword v221, off, s[0:3], 0 offset:368
	buffer_load_dword v222, off, s[0:3], 0 offset:372
	v_fmac_f32_e32 v162, v147, v34
	s_waitcnt vmcnt(36)
	v_fmac_f32_e32 v163, v149, v41
	v_add_f32_e32 v23, v23, v162
	v_fmac_f32_e32 v164, v151, v40
	v_add_f32_e32 v23, v23, v163
	v_fmac_f32_e32 v165, v153, v39
	v_add_f32_e32 v23, v23, v164
	v_add_f32_e32 v23, v23, v165
	ds_read2_b64 v[162:165], v1 offset0:93 offset1:94
	buffer_load_dword v223, off, s[0:3], 0 offset:376
	buffer_load_dword v224, off, s[0:3], 0 offset:380
	;; [unrolled: 1-line block ×16, first 2 shown]
	v_fmac_f32_e32 v166, v155, v38
	v_add_f32_e32 v23, v23, v166
	ds_read2_b64 v[166:169], v1 offset0:95 offset1:96
	buffer_load_dword v239, off, s[0:3], 0 offset:440
	buffer_load_dword v240, off, s[0:3], 0 offset:444
	buffer_load_dword v241, off, s[0:3], 0 offset:452
	buffer_load_dword v242, off, s[0:3], 0 offset:456
	buffer_load_dword v243, off, s[0:3], 0 offset:460
	buffer_load_dword v244, off, s[0:3], 0 offset:448
	ds_read2_b64 v[170:173], v1 offset0:97 offset1:98
	buffer_load_dword v245, off, s[0:3], 0 offset:468
	buffer_load_dword v246, off, s[0:3], 0 offset:472
	;; [unrolled: 1-line block ×4, first 2 shown]
	v_mul_f32_e32 v10, v12, v10
	v_fma_f32 v10, v11, v33, -v10
	v_mul_f32_e32 v9, v14, v9
	v_add_f32_e32 v10, 0, v10
	v_fma_f32 v9, v13, v32, -v9
	v_mul_f32_e32 v8, v16, v8
	v_add_f32_e32 v9, v10, v9
	;; [unrolled: 3-line block ×6, first 2 shown]
	v_fma_f32 v2, v146, v34, -v2
	v_add_f32_e32 v2, v3, v2
	v_mul_f32_e32 v3, v149, v27
	v_fma_f32 v3, v148, v41, -v3
	v_add_f32_e32 v2, v2, v3
	v_mul_f32_e32 v3, v151, v28
	;; [unrolled: 3-line block ×4, first 2 shown]
	s_waitcnt vmcnt(61)
	v_mul_f32_e32 v24, v156, v42
	v_fma_f32 v3, v154, v38, -v3
	s_waitcnt vmcnt(55)
	v_fmac_f32_e32 v24, v157, v48
	v_add_f32_e32 v2, v2, v3
	v_mul_f32_e32 v3, v157, v42
	v_add_f32_e32 v23, v23, v24
	s_waitcnt vmcnt(54) lgkmcnt(3)
	v_mul_f32_e32 v24, v158, v49
	v_fma_f32 v3, v156, v48, -v3
	v_fmac_f32_e32 v24, v159, v47
	v_add_f32_e32 v2, v2, v3
	v_mul_f32_e32 v3, v159, v49
	v_add_f32_e32 v23, v23, v24
	v_mul_f32_e32 v24, v160, v44
	v_fma_f32 v3, v158, v47, -v3
	v_fmac_f32_e32 v24, v161, v43
	v_add_f32_e32 v2, v2, v3
	v_mul_f32_e32 v3, v161, v44
	v_add_f32_e32 v23, v23, v24
	s_waitcnt lgkmcnt(2)
	v_mul_f32_e32 v24, v162, v46
	v_fma_f32 v3, v160, v43, -v3
	v_fmac_f32_e32 v24, v163, v45
	v_add_f32_e32 v2, v2, v3
	v_mul_f32_e32 v3, v163, v46
	v_add_f32_e32 v23, v23, v24
	s_waitcnt vmcnt(50)
	v_mul_f32_e32 v24, v164, v51
	v_fma_f32 v3, v162, v45, -v3
	v_fmac_f32_e32 v24, v165, v50
	v_add_f32_e32 v2, v2, v3
	v_mul_f32_e32 v3, v165, v51
	v_add_f32_e32 v23, v23, v24
	s_waitcnt vmcnt(48) lgkmcnt(1)
	v_mul_f32_e32 v24, v166, v53
	v_fma_f32 v3, v164, v50, -v3
	v_fmac_f32_e32 v24, v167, v52
	v_add_f32_e32 v2, v2, v3
	v_mul_f32_e32 v3, v167, v53
	v_add_f32_e32 v23, v23, v24
	s_waitcnt vmcnt(46)
	v_mul_f32_e32 v24, v168, v55
	v_fma_f32 v3, v166, v52, -v3
	v_fmac_f32_e32 v24, v169, v54
	ds_read2_b64 v[174:177], v1 offset0:99 offset1:100
	ds_read2_b64 v[178:181], v1 offset0:101 offset1:102
	v_add_f32_e32 v2, v2, v3
	v_mul_f32_e32 v3, v169, v55
	v_add_f32_e32 v23, v23, v24
	s_waitcnt vmcnt(44) lgkmcnt(2)
	v_mul_f32_e32 v24, v170, v57
	v_fma_f32 v3, v168, v54, -v3
	v_fmac_f32_e32 v24, v171, v56
	v_add_f32_e32 v2, v2, v3
	v_mul_f32_e32 v3, v171, v57
	v_add_f32_e32 v23, v23, v24
	s_waitcnt vmcnt(42)
	v_mul_f32_e32 v24, v172, v59
	v_fma_f32 v3, v170, v56, -v3
	v_fmac_f32_e32 v24, v173, v58
	v_add_f32_e32 v2, v2, v3
	v_mul_f32_e32 v3, v173, v59
	v_add_f32_e32 v23, v23, v24
	s_waitcnt vmcnt(40) lgkmcnt(1)
	v_mul_f32_e32 v24, v174, v61
	v_fma_f32 v3, v172, v58, -v3
	v_fmac_f32_e32 v24, v175, v60
	v_add_f32_e32 v2, v2, v3
	v_mul_f32_e32 v3, v175, v61
	v_add_f32_e32 v23, v23, v24
	s_waitcnt vmcnt(38)
	v_mul_f32_e32 v24, v176, v63
	v_fma_f32 v3, v174, v60, -v3
	v_fmac_f32_e32 v24, v177, v62
	ds_read2_b64 v[182:185], v1 offset0:103 offset1:104
	ds_read2_b64 v[186:189], v1 offset0:105 offset1:106
	v_add_f32_e32 v2, v2, v3
	v_mul_f32_e32 v3, v177, v63
	v_add_f32_e32 v23, v23, v24
	s_waitcnt vmcnt(36) lgkmcnt(2)
	v_mul_f32_e32 v24, v178, v65
	v_fma_f32 v3, v176, v62, -v3
	v_fmac_f32_e32 v24, v179, v64
	v_add_f32_e32 v2, v2, v3
	v_mul_f32_e32 v3, v179, v65
	v_add_f32_e32 v23, v23, v24
	s_waitcnt vmcnt(34)
	v_mul_f32_e32 v24, v180, v214
	v_fma_f32 v3, v178, v64, -v3
	v_fmac_f32_e32 v24, v181, v66
	v_add_f32_e32 v2, v2, v3
	v_mul_f32_e32 v3, v181, v214
	v_add_f32_e32 v23, v23, v24
	s_waitcnt vmcnt(32) lgkmcnt(1)
	v_mul_f32_e32 v24, v182, v216
	v_fma_f32 v3, v180, v66, -v3
	v_fmac_f32_e32 v24, v183, v215
	v_add_f32_e32 v2, v2, v3
	v_mul_f32_e32 v3, v183, v216
	v_add_f32_e32 v23, v23, v24
	s_waitcnt vmcnt(31)
	v_mul_f32_e32 v24, v184, v217
	v_fma_f32 v3, v182, v215, -v3
	s_waitcnt vmcnt(28)
	v_fmac_f32_e32 v24, v185, v220
	ds_read2_b64 v[190:193], v1 offset0:107 offset1:108
	ds_read2_b64 v[194:197], v1 offset0:109 offset1:110
	v_add_f32_e32 v2, v2, v3
	v_mul_f32_e32 v3, v185, v217
	v_add_f32_e32 v23, v23, v24
	s_waitcnt lgkmcnt(2)
	v_mul_f32_e32 v24, v186, v219
	v_fma_f32 v3, v184, v220, -v3
	v_fmac_f32_e32 v24, v187, v218
	v_add_f32_e32 v2, v2, v3
	v_mul_f32_e32 v3, v187, v219
	v_add_f32_e32 v23, v23, v24
	s_waitcnt vmcnt(26)
	v_mul_f32_e32 v24, v188, v222
	v_fma_f32 v3, v186, v218, -v3
	v_fmac_f32_e32 v24, v189, v221
	v_add_f32_e32 v2, v2, v3
	v_mul_f32_e32 v3, v189, v222
	v_add_f32_e32 v23, v23, v24
	s_waitcnt vmcnt(24) lgkmcnt(1)
	v_mul_f32_e32 v24, v190, v224
	v_fma_f32 v3, v188, v221, -v3
	v_fmac_f32_e32 v24, v191, v223
	v_add_f32_e32 v2, v2, v3
	v_mul_f32_e32 v3, v191, v224
	v_add_f32_e32 v23, v23, v24
	s_waitcnt vmcnt(23)
	v_mul_f32_e32 v24, v192, v225
	v_fma_f32 v3, v190, v223, -v3
	s_waitcnt vmcnt(20)
	v_fmac_f32_e32 v24, v193, v228
	ds_read2_b64 v[198:201], v1 offset0:111 offset1:112
	ds_read2_b64 v[202:205], v1 offset0:113 offset1:114
	v_add_f32_e32 v2, v2, v3
	v_mul_f32_e32 v3, v193, v225
	v_add_f32_e32 v23, v23, v24
	s_waitcnt lgkmcnt(2)
	v_mul_f32_e32 v24, v194, v227
	v_fma_f32 v3, v192, v228, -v3
	v_fmac_f32_e32 v24, v195, v226
	v_add_f32_e32 v2, v2, v3
	v_mul_f32_e32 v3, v195, v227
	v_add_f32_e32 v23, v23, v24
	s_waitcnt vmcnt(18)
	v_mul_f32_e32 v24, v196, v230
	v_fma_f32 v3, v194, v226, -v3
	v_fmac_f32_e32 v24, v197, v229
	v_add_f32_e32 v2, v2, v3
	v_mul_f32_e32 v3, v197, v230
	v_add_f32_e32 v23, v23, v24
	s_waitcnt vmcnt(16) lgkmcnt(1)
	v_mul_f32_e32 v24, v198, v232
	v_fma_f32 v3, v196, v229, -v3
	v_fmac_f32_e32 v24, v199, v231
	v_add_f32_e32 v2, v2, v3
	v_mul_f32_e32 v3, v199, v232
	v_add_f32_e32 v23, v23, v24
	s_waitcnt vmcnt(15)
	v_mul_f32_e32 v24, v200, v233
	v_fma_f32 v3, v198, v231, -v3
	s_waitcnt vmcnt(12)
	v_fmac_f32_e32 v24, v201, v236
	ds_read2_b64 v[206:209], v1 offset0:115 offset1:116
	ds_read2_b64 v[210:213], v1 offset0:117 offset1:118
	v_add_f32_e32 v2, v2, v3
	v_mul_f32_e32 v3, v201, v233
	v_add_f32_e32 v23, v23, v24
	s_waitcnt lgkmcnt(2)
	v_mul_f32_e32 v24, v202, v235
	v_fma_f32 v3, v200, v236, -v3
	v_fmac_f32_e32 v24, v203, v234
	v_add_f32_e32 v2, v2, v3
	v_mul_f32_e32 v3, v203, v235
	v_add_f32_e32 v23, v23, v24
	s_waitcnt vmcnt(10)
	v_mul_f32_e32 v24, v204, v238
	v_fma_f32 v3, v202, v234, -v3
	v_fmac_f32_e32 v24, v205, v237
	v_add_f32_e32 v2, v2, v3
	v_mul_f32_e32 v3, v205, v238
	v_add_f32_e32 v23, v23, v24
	s_waitcnt vmcnt(8) lgkmcnt(1)
	v_mul_f32_e32 v24, v206, v240
	v_fma_f32 v3, v204, v237, -v3
	v_fmac_f32_e32 v24, v207, v239
	v_add_f32_e32 v2, v2, v3
	v_mul_f32_e32 v3, v207, v240
	v_add_f32_e32 v23, v23, v24
	s_waitcnt vmcnt(7)
	v_mul_f32_e32 v24, v208, v241
	v_fma_f32 v3, v206, v239, -v3
	s_waitcnt vmcnt(4)
	v_fmac_f32_e32 v24, v209, v244
	v_add_f32_e32 v2, v2, v3
	v_mul_f32_e32 v3, v209, v241
	v_add_f32_e32 v249, v23, v24
	ds_read_b64 v[23:24], v1 offset:952
	v_fma_f32 v3, v208, v244, -v3
	v_add_f32_e32 v2, v2, v3
	s_waitcnt lgkmcnt(1)
	v_mul_f32_e32 v3, v211, v243
	v_mul_f32_e32 v250, v210, v243
	v_fma_f32 v3, v210, v242, -v3
	v_fmac_f32_e32 v250, v211, v242
	v_add_f32_e32 v2, v2, v3
	s_waitcnt vmcnt(3)
	v_mul_f32_e32 v3, v213, v245
	v_add_f32_e32 v249, v249, v250
	v_mul_f32_e32 v250, v212, v245
	s_waitcnt vmcnt(0)
	v_fma_f32 v3, v212, v248, -v3
	v_fmac_f32_e32 v250, v213, v248
	v_add_f32_e32 v2, v2, v3
	s_waitcnt lgkmcnt(0)
	v_mul_f32_e32 v3, v24, v247
	v_add_f32_e32 v249, v249, v250
	v_mul_f32_e32 v250, v23, v247
	v_fma_f32 v3, v23, v246, -v3
	v_fmac_f32_e32 v250, v24, v246
	v_add_f32_e32 v2, v2, v3
	v_add_f32_e32 v249, v249, v250
	v_sub_f32_e32 v2, v4, v2
	v_sub_f32_e32 v3, v5, v249
	buffer_store_dword v2, off, s[0:3], 0 offset:144
	buffer_store_dword v3, off, s[0:3], 0 offset:148
	s_and_saveexec_b64 s[4:5], vcc
	s_cbranch_execz .LBB123_339
; %bb.338:
	buffer_load_dword v2, off, s[0:3], 0 offset:136
	buffer_load_dword v3, off, s[0:3], 0 offset:140
	s_waitcnt vmcnt(0)
	ds_write_b64 v145, v[2:3]
	buffer_store_dword v1, off, s[0:3], 0 offset:136
	buffer_store_dword v1, off, s[0:3], 0 offset:140
.LBB123_339:
	s_or_b64 exec, exec, s[4:5]
	s_waitcnt lgkmcnt(0)
	; wave barrier
	buffer_load_dword v22, off, s[0:3], 0 offset:148
	buffer_load_dword v23, off, s[0:3], 0 offset:156
	;; [unrolled: 1-line block ×32, first 2 shown]
	ds_read_b128 v[2:5], v1 offset:624
	ds_read_b128 v[6:9], v1 offset:640
	;; [unrolled: 1-line block ×6, first 2 shown]
	buffer_load_dword v56, off, s[0:3], 0 offset:264
	buffer_load_dword v57, off, s[0:3], 0 offset:268
	;; [unrolled: 1-line block ×18, first 2 shown]
	v_cmp_lt_u32_e32 vcc, 16, v0
	s_waitcnt vmcnt(49) lgkmcnt(5)
	v_mul_f32_e32 v150, v2, v22
	s_waitcnt vmcnt(48)
	v_mul_f32_e32 v151, v4, v23
	s_waitcnt vmcnt(47) lgkmcnt(4)
	v_mul_f32_e32 v152, v6, v24
	s_waitcnt vmcnt(46)
	v_mul_f32_e32 v153, v8, v27
	;; [unrolled: 4-line block ×6, first 2 shown]
	s_waitcnt vmcnt(37)
	v_fmac_f32_e32 v152, v7, v36
	s_waitcnt vmcnt(36)
	v_fmac_f32_e32 v151, v5, v37
	;; [unrolled: 2-line block ×3, first 2 shown]
	v_add_f32_e32 v150, 0, v150
	v_add_f32_e32 v150, v150, v151
	;; [unrolled: 1-line block ×3, first 2 shown]
	s_waitcnt vmcnt(31)
	v_fmac_f32_e32 v153, v9, v42
	v_fmac_f32_e32 v154, v11, v41
	v_add_f32_e32 v150, v150, v153
	v_fmac_f32_e32 v155, v13, v40
	v_add_f32_e32 v150, v150, v154
	;; [unrolled: 2-line block ×3, first 2 shown]
	s_waitcnt vmcnt(27)
	v_fmac_f32_e32 v157, v17, v46
	v_add_f32_e32 v150, v150, v156
	v_fmac_f32_e32 v158, v19, v45
	v_add_f32_e32 v150, v150, v157
	;; [unrolled: 2-line block ×3, first 2 shown]
	v_add_f32_e32 v154, v150, v159
	ds_read_b128 v[150:153], v1 offset:720
	buffer_load_dword v217, off, s[0:3], 0 offset:336
	buffer_load_dword v218, off, s[0:3], 0 offset:340
	;; [unrolled: 1-line block ×6, first 2 shown]
	v_fmac_f32_e32 v160, v147, v43
	s_waitcnt vmcnt(27)
	v_fmac_f32_e32 v161, v149, v52
	v_add_f32_e32 v154, v154, v160
	v_add_f32_e32 v158, v154, v161
	ds_read_b128 v[154:157], v1 offset:736
	buffer_load_dword v223, off, s[0:3], 0 offset:360
	buffer_load_dword v224, off, s[0:3], 0 offset:364
	buffer_load_dword v225, off, s[0:3], 0 offset:368
	buffer_load_dword v226, off, s[0:3], 0 offset:372
	buffer_load_dword v227, off, s[0:3], 0 offset:380
	buffer_load_dword v228, off, s[0:3], 0 offset:384
	buffer_load_dword v229, off, s[0:3], 0 offset:388
	buffer_load_dword v230, off, s[0:3], 0 offset:376
	buffer_load_dword v231, off, s[0:3], 0 offset:392
	buffer_load_dword v232, off, s[0:3], 0 offset:396
	s_waitcnt vmcnt(36) lgkmcnt(1)
	v_mul_f32_e32 v159, v150, v53
	buffer_load_dword v233, off, s[0:3], 0 offset:400
	buffer_load_dword v234, off, s[0:3], 0 offset:404
	;; [unrolled: 1-line block ×6, first 2 shown]
	v_fmac_f32_e32 v159, v151, v51
	v_add_f32_e32 v158, v158, v159
	v_mul_f32_e32 v159, v152, v48
	v_fmac_f32_e32 v159, v153, v47
	v_add_f32_e32 v158, v158, v159
	s_waitcnt lgkmcnt(0)
	v_mul_f32_e32 v159, v154, v50
	v_fmac_f32_e32 v159, v155, v49
	v_add_f32_e32 v162, v158, v159
	ds_read_b128 v[158:161], v1 offset:752
	buffer_load_dword v239, off, s[0:3], 0 offset:424
	buffer_load_dword v240, off, s[0:3], 0 offset:428
	s_waitcnt vmcnt(40)
	v_mul_f32_e32 v163, v156, v57
	v_fmac_f32_e32 v163, v157, v56
	v_add_f32_e32 v166, v162, v163
	ds_read_b128 v[162:165], v1 offset:768
	buffer_load_dword v241, off, s[0:3], 0 offset:432
	buffer_load_dword v242, off, s[0:3], 0 offset:436
	;; [unrolled: 1-line block ×12, first 2 shown]
	v_mul_f32_e32 v3, v3, v22
	v_fma_f32 v2, v2, v38, -v3
	v_mul_f32_e32 v3, v5, v23
	v_add_f32_e32 v2, 0, v2
	v_fma_f32 v3, v4, v37, -v3
	v_add_f32_e32 v2, v2, v3
	v_mul_f32_e32 v3, v7, v24
	v_fma_f32 v3, v6, v36, -v3
	v_add_f32_e32 v2, v2, v3
	v_mul_f32_e32 v3, v9, v27
	;; [unrolled: 3-line block ×6, first 2 shown]
	v_fma_f32 v3, v16, v46, -v3
	s_waitcnt vmcnt(50) lgkmcnt(1)
	v_mul_f32_e32 v167, v158, v59
	v_add_f32_e32 v2, v2, v3
	v_mul_f32_e32 v3, v19, v32
	v_fmac_f32_e32 v167, v159, v58
	v_fma_f32 v3, v18, v45, -v3
	v_add_f32_e32 v166, v166, v167
	s_waitcnt vmcnt(48)
	v_mul_f32_e32 v167, v160, v61
	v_add_f32_e32 v2, v2, v3
	v_mul_f32_e32 v3, v21, v33
	v_fmac_f32_e32 v167, v161, v60
	v_fma_f32 v3, v20, v44, -v3
	v_add_f32_e32 v166, v166, v167
	s_waitcnt vmcnt(46) lgkmcnt(0)
	v_mul_f32_e32 v167, v162, v63
	v_add_f32_e32 v2, v2, v3
	v_mul_f32_e32 v3, v147, v34
	v_fmac_f32_e32 v167, v163, v62
	v_fma_f32 v3, v146, v43, -v3
	v_add_f32_e32 v170, v166, v167
	ds_read_b128 v[166:169], v1 offset:784
	v_add_f32_e32 v2, v2, v3
	v_mul_f32_e32 v3, v149, v35
	v_fma_f32 v3, v148, v52, -v3
	s_waitcnt vmcnt(44)
	v_mul_f32_e32 v171, v164, v65
	v_add_f32_e32 v2, v2, v3
	v_mul_f32_e32 v3, v151, v53
	v_fmac_f32_e32 v171, v165, v64
	v_fma_f32 v3, v150, v51, -v3
	v_add_f32_e32 v174, v170, v171
	ds_read_b128 v[170:173], v1 offset:800
	v_add_f32_e32 v2, v2, v3
	v_mul_f32_e32 v3, v153, v48
	s_waitcnt vmcnt(42) lgkmcnt(1)
	v_mul_f32_e32 v175, v166, v210
	v_fma_f32 v3, v152, v47, -v3
	v_fmac_f32_e32 v175, v167, v66
	v_add_f32_e32 v2, v2, v3
	v_mul_f32_e32 v3, v155, v50
	v_add_f32_e32 v174, v174, v175
	s_waitcnt vmcnt(40)
	v_mul_f32_e32 v175, v168, v212
	v_fma_f32 v3, v154, v49, -v3
	v_fmac_f32_e32 v175, v169, v211
	v_add_f32_e32 v2, v2, v3
	v_mul_f32_e32 v3, v157, v57
	v_add_f32_e32 v174, v174, v175
	s_waitcnt vmcnt(38) lgkmcnt(0)
	v_mul_f32_e32 v175, v170, v214
	v_fma_f32 v3, v156, v56, -v3
	v_fmac_f32_e32 v175, v171, v213
	v_add_f32_e32 v2, v2, v3
	v_mul_f32_e32 v3, v159, v59
	v_add_f32_e32 v178, v174, v175
	ds_read_b128 v[174:177], v1 offset:816
	v_fma_f32 v3, v158, v58, -v3
	v_add_f32_e32 v2, v2, v3
	v_mul_f32_e32 v3, v161, v61
	s_waitcnt vmcnt(36)
	v_mul_f32_e32 v179, v172, v216
	v_fma_f32 v3, v160, v60, -v3
	v_fmac_f32_e32 v179, v173, v215
	v_add_f32_e32 v2, v2, v3
	v_mul_f32_e32 v3, v163, v63
	v_add_f32_e32 v182, v178, v179
	ds_read_b128 v[178:181], v1 offset:832
	v_fma_f32 v3, v162, v62, -v3
	s_waitcnt vmcnt(34) lgkmcnt(1)
	v_mul_f32_e32 v183, v174, v218
	v_add_f32_e32 v2, v2, v3
	v_mul_f32_e32 v3, v165, v65
	v_fmac_f32_e32 v183, v175, v217
	v_fma_f32 v3, v164, v64, -v3
	v_add_f32_e32 v182, v182, v183
	s_waitcnt vmcnt(33)
	v_mul_f32_e32 v183, v176, v219
	v_add_f32_e32 v2, v2, v3
	v_mul_f32_e32 v3, v167, v210
	s_waitcnt vmcnt(30)
	v_fmac_f32_e32 v183, v177, v222
	v_fma_f32 v3, v166, v66, -v3
	v_add_f32_e32 v182, v182, v183
	s_waitcnt lgkmcnt(0)
	v_mul_f32_e32 v183, v178, v221
	v_add_f32_e32 v2, v2, v3
	v_mul_f32_e32 v3, v169, v212
	v_fmac_f32_e32 v183, v179, v220
	v_fma_f32 v3, v168, v211, -v3
	v_add_f32_e32 v186, v182, v183
	ds_read_b128 v[182:185], v1 offset:848
	v_add_f32_e32 v2, v2, v3
	v_mul_f32_e32 v3, v171, v214
	v_fma_f32 v3, v170, v213, -v3
	s_waitcnt vmcnt(28)
	v_mul_f32_e32 v187, v180, v224
	v_add_f32_e32 v2, v2, v3
	v_mul_f32_e32 v3, v173, v216
	v_fmac_f32_e32 v187, v181, v223
	v_fma_f32 v3, v172, v215, -v3
	v_add_f32_e32 v190, v186, v187
	ds_read_b128 v[186:189], v1 offset:864
	v_add_f32_e32 v2, v2, v3
	v_mul_f32_e32 v3, v175, v218
	s_waitcnt vmcnt(26) lgkmcnt(1)
	v_mul_f32_e32 v191, v182, v226
	v_fma_f32 v3, v174, v217, -v3
	v_fmac_f32_e32 v191, v183, v225
	v_add_f32_e32 v2, v2, v3
	v_mul_f32_e32 v3, v177, v219
	v_add_f32_e32 v190, v190, v191
	s_waitcnt vmcnt(25)
	v_mul_f32_e32 v191, v184, v227
	v_fma_f32 v3, v176, v222, -v3
	s_waitcnt vmcnt(22)
	v_fmac_f32_e32 v191, v185, v230
	v_add_f32_e32 v2, v2, v3
	v_mul_f32_e32 v3, v179, v221
	v_add_f32_e32 v190, v190, v191
	s_waitcnt lgkmcnt(0)
	v_mul_f32_e32 v191, v186, v229
	v_fma_f32 v3, v178, v220, -v3
	v_fmac_f32_e32 v191, v187, v228
	v_add_f32_e32 v2, v2, v3
	v_mul_f32_e32 v3, v181, v224
	v_add_f32_e32 v194, v190, v191
	ds_read_b128 v[190:193], v1 offset:880
	v_fma_f32 v3, v180, v223, -v3
	v_add_f32_e32 v2, v2, v3
	v_mul_f32_e32 v3, v183, v226
	s_waitcnt vmcnt(20)
	v_mul_f32_e32 v195, v188, v232
	v_fma_f32 v3, v182, v225, -v3
	v_fmac_f32_e32 v195, v189, v231
	v_add_f32_e32 v2, v2, v3
	v_mul_f32_e32 v3, v185, v227
	v_add_f32_e32 v198, v194, v195
	ds_read_b128 v[194:197], v1 offset:896
	v_fma_f32 v3, v184, v230, -v3
	s_waitcnt vmcnt(18) lgkmcnt(1)
	v_mul_f32_e32 v199, v190, v234
	v_add_f32_e32 v2, v2, v3
	v_mul_f32_e32 v3, v187, v229
	v_fmac_f32_e32 v199, v191, v233
	v_fma_f32 v3, v186, v228, -v3
	v_add_f32_e32 v198, v198, v199
	s_waitcnt vmcnt(17)
	v_mul_f32_e32 v199, v192, v235
	v_add_f32_e32 v2, v2, v3
	v_mul_f32_e32 v3, v189, v232
	s_waitcnt vmcnt(14)
	v_fmac_f32_e32 v199, v193, v238
	v_fma_f32 v3, v188, v231, -v3
	v_add_f32_e32 v198, v198, v199
	s_waitcnt lgkmcnt(0)
	v_mul_f32_e32 v199, v194, v237
	v_add_f32_e32 v2, v2, v3
	v_mul_f32_e32 v3, v191, v234
	v_fmac_f32_e32 v199, v195, v236
	v_fma_f32 v3, v190, v233, -v3
	v_add_f32_e32 v202, v198, v199
	ds_read_b128 v[198:201], v1 offset:912
	v_add_f32_e32 v2, v2, v3
	v_mul_f32_e32 v3, v193, v235
	v_fma_f32 v3, v192, v238, -v3
	v_add_f32_e32 v2, v2, v3
	v_mul_f32_e32 v3, v195, v237
	s_waitcnt vmcnt(12)
	v_mul_f32_e32 v203, v196, v240
	v_fma_f32 v3, v194, v236, -v3
	v_fmac_f32_e32 v203, v197, v239
	v_add_f32_e32 v2, v2, v3
	v_mul_f32_e32 v3, v197, v240
	v_add_f32_e32 v206, v202, v203
	ds_read_b128 v[202:205], v1 offset:928
	s_waitcnt vmcnt(10) lgkmcnt(1)
	v_mul_f32_e32 v207, v198, v242
	v_fma_f32 v3, v196, v239, -v3
	v_fmac_f32_e32 v207, v199, v241
	v_add_f32_e32 v2, v2, v3
	v_mul_f32_e32 v3, v199, v242
	v_add_f32_e32 v206, v206, v207
	s_waitcnt vmcnt(9)
	v_mul_f32_e32 v207, v200, v243
	v_fma_f32 v3, v198, v241, -v3
	s_waitcnt vmcnt(6)
	v_fmac_f32_e32 v207, v201, v246
	v_add_f32_e32 v2, v2, v3
	v_mul_f32_e32 v3, v201, v243
	v_add_f32_e32 v253, v206, v207
	ds_read_b128 v[206:209], v1 offset:944
	v_fma_f32 v3, v200, v246, -v3
	v_add_f32_e32 v2, v2, v3
	s_waitcnt lgkmcnt(1)
	v_mul_f32_e32 v3, v203, v245
	v_mul_f32_e32 v254, v202, v245
	v_fma_f32 v3, v202, v244, -v3
	v_fmac_f32_e32 v254, v203, v244
	v_add_f32_e32 v2, v2, v3
	s_waitcnt vmcnt(4)
	v_mul_f32_e32 v3, v205, v248
	v_add_f32_e32 v1, v253, v254
	v_mul_f32_e32 v253, v204, v248
	v_fma_f32 v3, v204, v247, -v3
	v_fmac_f32_e32 v253, v205, v247
	v_add_f32_e32 v2, v2, v3
	s_waitcnt vmcnt(3) lgkmcnt(0)
	v_mul_f32_e32 v3, v207, v249
	v_add_f32_e32 v1, v1, v253
	v_mul_f32_e32 v253, v206, v249
	s_waitcnt vmcnt(0)
	v_fma_f32 v3, v206, v252, -v3
	v_fmac_f32_e32 v253, v207, v252
	v_add_f32_e32 v2, v2, v3
	v_mul_f32_e32 v3, v209, v251
	v_add_f32_e32 v1, v1, v253
	v_mul_f32_e32 v253, v208, v251
	v_fma_f32 v3, v208, v250, -v3
	v_fmac_f32_e32 v253, v209, v250
	v_add_f32_e32 v2, v2, v3
	v_add_f32_e32 v1, v1, v253
	v_sub_f32_e32 v2, v54, v2
	v_sub_f32_e32 v1, v55, v1
	buffer_store_dword v2, off, s[0:3], 0 offset:136
	buffer_store_dword v1, off, s[0:3], 0 offset:140
	s_and_saveexec_b64 s[4:5], vcc
	s_cbranch_execz .LBB123_341
; %bb.340:
	buffer_load_dword v1, off, s[0:3], 0 offset:128
	buffer_load_dword v2, off, s[0:3], 0 offset:132
	v_mov_b32_e32 v3, 0
	buffer_store_dword v3, off, s[0:3], 0 offset:128
	buffer_store_dword v3, off, s[0:3], 0 offset:132
	s_waitcnt vmcnt(2)
	ds_write_b64 v145, v[1:2]
.LBB123_341:
	s_or_b64 exec, exec, s[4:5]
	s_waitcnt lgkmcnt(0)
	; wave barrier
	buffer_load_dword v10, off, s[0:3], 0 offset:140
	buffer_load_dword v9, off, s[0:3], 0 offset:148
	;; [unrolled: 1-line block ×32, first 2 shown]
	v_mov_b32_e32 v1, 0
	buffer_load_dword v46, off, s[0:3], 0 offset:256
	buffer_load_dword v47, off, s[0:3], 0 offset:260
	;; [unrolled: 1-line block ×16, first 2 shown]
	ds_read2_b64 v[16:19], v1 offset0:77 offset1:78
	ds_read2_b64 v[20:23], v1 offset0:79 offset1:80
	;; [unrolled: 1-line block ×6, first 2 shown]
	v_cmp_lt_u32_e32 vcc, 15, v0
	s_waitcnt vmcnt(47) lgkmcnt(5)
	v_mul_f32_e32 v27, v16, v10
	s_waitcnt vmcnt(46)
	v_mul_f32_e32 v28, v18, v9
	s_waitcnt vmcnt(45) lgkmcnt(4)
	v_mul_f32_e32 v62, v20, v8
	s_waitcnt vmcnt(44)
	v_mul_f32_e32 v63, v22, v7
	;; [unrolled: 4-line block ×6, first 2 shown]
	s_waitcnt vmcnt(35)
	v_fmac_f32_e32 v62, v21, v24
	s_waitcnt vmcnt(34)
	v_fmac_f32_e32 v28, v19, v29
	s_waitcnt vmcnt(33)
	v_fmac_f32_e32 v27, v17, v30
	v_add_f32_e32 v27, 0, v27
	v_add_f32_e32 v27, v27, v28
	;; [unrolled: 1-line block ×3, first 2 shown]
	s_waitcnt vmcnt(29)
	v_fmac_f32_e32 v63, v23, v34
	v_fmac_f32_e32 v64, v147, v33
	v_add_f32_e32 v27, v27, v63
	v_fmac_f32_e32 v65, v149, v32
	v_add_f32_e32 v27, v27, v64
	;; [unrolled: 2-line block ×3, first 2 shown]
	buffer_load_dword v62, off, s[0:3], 0 offset:320
	buffer_load_dword v63, off, s[0:3], 0 offset:324
	s_waitcnt vmcnt(27)
	v_fmac_f32_e32 v162, v153, v38
	v_add_f32_e32 v27, v27, v66
	v_fmac_f32_e32 v163, v155, v37
	v_add_f32_e32 v27, v27, v162
	;; [unrolled: 2-line block ×4, first 2 shown]
	v_add_f32_e32 v27, v27, v165
	ds_read2_b64 v[162:165], v1 offset0:89 offset1:90
	buffer_load_dword v64, off, s[0:3], 0 offset:328
	buffer_load_dword v65, off, s[0:3], 0 offset:332
	;; [unrolled: 1-line block ×6, first 2 shown]
	s_waitcnt vmcnt(28)
	v_fmac_f32_e32 v166, v161, v43
	v_add_f32_e32 v27, v27, v166
	ds_read2_b64 v[166:169], v1 offset0:91 offset1:92
	buffer_load_dword v225, off, s[0:3], 0 offset:352
	buffer_load_dword v226, off, s[0:3], 0 offset:356
	;; [unrolled: 1-line block ×10, first 2 shown]
	ds_read2_b64 v[170:173], v1 offset0:93 offset1:94
	buffer_load_dword v235, off, s[0:3], 0 offset:392
	buffer_load_dword v236, off, s[0:3], 0 offset:396
	;; [unrolled: 1-line block ×6, first 2 shown]
	ds_read2_b64 v[174:177], v1 offset0:95 offset1:96
	buffer_load_dword v241, off, s[0:3], 0 offset:416
	buffer_load_dword v242, off, s[0:3], 0 offset:420
	;; [unrolled: 1-line block ×16, first 2 shown]
	v_mul_f32_e32 v10, v17, v10
	v_fma_f32 v10, v16, v30, -v10
	v_mul_f32_e32 v9, v19, v9
	v_add_f32_e32 v10, 0, v10
	v_fma_f32 v9, v18, v29, -v9
	v_mul_f32_e32 v8, v21, v8
	v_add_f32_e32 v9, v10, v9
	;; [unrolled: 3-line block ×6, first 2 shown]
	v_fma_f32 v4, v150, v31, -v4
	v_add_f32_e32 v4, v5, v4
	v_mul_f32_e32 v5, v153, v11
	v_fma_f32 v5, v152, v38, -v5
	v_add_f32_e32 v4, v4, v5
	v_mul_f32_e32 v5, v155, v12
	;; [unrolled: 3-line block ×5, first 2 shown]
	s_waitcnt vmcnt(59) lgkmcnt(3)
	v_mul_f32_e32 v28, v162, v44
	v_fma_f32 v5, v160, v43, -v5
	v_fmac_f32_e32 v28, v163, v42
	v_add_f32_e32 v4, v4, v5
	v_mul_f32_e32 v5, v163, v44
	v_add_f32_e32 v27, v27, v28
	s_waitcnt vmcnt(58)
	v_mul_f32_e32 v28, v164, v45
	v_fma_f32 v5, v162, v42, -v5
	v_fmac_f32_e32 v28, v165, v41
	v_add_f32_e32 v4, v4, v5
	v_mul_f32_e32 v5, v165, v45
	v_add_f32_e32 v27, v27, v28
	s_waitcnt lgkmcnt(2)
	v_mul_f32_e32 v28, v166, v40
	v_fma_f32 v5, v164, v41, -v5
	v_fmac_f32_e32 v28, v167, v39
	v_add_f32_e32 v4, v4, v5
	v_mul_f32_e32 v5, v167, v40
	v_add_f32_e32 v27, v27, v28
	s_waitcnt vmcnt(54)
	v_mul_f32_e32 v28, v168, v47
	v_fma_f32 v5, v166, v39, -v5
	v_fmac_f32_e32 v28, v169, v46
	v_add_f32_e32 v4, v4, v5
	v_mul_f32_e32 v5, v169, v47
	v_add_f32_e32 v27, v27, v28
	s_waitcnt vmcnt(52) lgkmcnt(1)
	v_mul_f32_e32 v28, v170, v49
	v_fma_f32 v5, v168, v46, -v5
	v_fmac_f32_e32 v28, v171, v48
	v_add_f32_e32 v4, v4, v5
	v_mul_f32_e32 v5, v171, v49
	v_add_f32_e32 v27, v27, v28
	s_waitcnt vmcnt(50)
	v_mul_f32_e32 v28, v172, v51
	v_fma_f32 v5, v170, v48, -v5
	v_fmac_f32_e32 v28, v173, v50
	ds_read2_b64 v[178:181], v1 offset0:97 offset1:98
	ds_read2_b64 v[182:185], v1 offset0:99 offset1:100
	v_add_f32_e32 v4, v4, v5
	v_mul_f32_e32 v5, v173, v51
	v_add_f32_e32 v27, v27, v28
	s_waitcnt vmcnt(48) lgkmcnt(2)
	v_mul_f32_e32 v28, v174, v53
	v_fma_f32 v5, v172, v50, -v5
	v_fmac_f32_e32 v28, v175, v52
	v_add_f32_e32 v4, v4, v5
	v_mul_f32_e32 v5, v175, v53
	v_add_f32_e32 v27, v27, v28
	s_waitcnt vmcnt(46)
	v_mul_f32_e32 v28, v176, v55
	v_fma_f32 v5, v174, v52, -v5
	v_fmac_f32_e32 v28, v177, v54
	v_add_f32_e32 v4, v4, v5
	v_mul_f32_e32 v5, v177, v55
	v_add_f32_e32 v27, v27, v28
	s_waitcnt vmcnt(44) lgkmcnt(1)
	v_mul_f32_e32 v28, v178, v57
	v_fma_f32 v5, v176, v54, -v5
	v_fmac_f32_e32 v28, v179, v56
	v_add_f32_e32 v4, v4, v5
	v_mul_f32_e32 v5, v179, v57
	v_add_f32_e32 v27, v27, v28
	s_waitcnt vmcnt(42)
	v_mul_f32_e32 v28, v180, v59
	v_fma_f32 v5, v178, v56, -v5
	v_fmac_f32_e32 v28, v181, v58
	ds_read2_b64 v[186:189], v1 offset0:101 offset1:102
	ds_read2_b64 v[190:193], v1 offset0:103 offset1:104
	v_add_f32_e32 v4, v4, v5
	v_mul_f32_e32 v5, v181, v59
	v_add_f32_e32 v27, v27, v28
	s_waitcnt vmcnt(40) lgkmcnt(2)
	v_mul_f32_e32 v28, v182, v61
	v_fma_f32 v5, v180, v58, -v5
	v_fmac_f32_e32 v28, v183, v60
	v_add_f32_e32 v4, v4, v5
	v_mul_f32_e32 v5, v183, v61
	v_add_f32_e32 v27, v27, v28
	s_waitcnt vmcnt(38)
	v_mul_f32_e32 v28, v184, v63
	v_fma_f32 v5, v182, v60, -v5
	v_fmac_f32_e32 v28, v185, v62
	v_add_f32_e32 v4, v4, v5
	v_mul_f32_e32 v5, v185, v63
	v_add_f32_e32 v27, v27, v28
	s_waitcnt vmcnt(36) lgkmcnt(1)
	v_mul_f32_e32 v28, v186, v65
	v_fma_f32 v5, v184, v62, -v5
	v_fmac_f32_e32 v28, v187, v64
	v_add_f32_e32 v4, v4, v5
	v_mul_f32_e32 v5, v187, v65
	v_add_f32_e32 v27, v27, v28
	s_waitcnt vmcnt(35)
	v_mul_f32_e32 v28, v188, v66
	v_fma_f32 v5, v186, v64, -v5
	s_waitcnt vmcnt(32)
	v_fmac_f32_e32 v28, v189, v224
	ds_read2_b64 v[194:197], v1 offset0:105 offset1:106
	ds_read2_b64 v[198:201], v1 offset0:107 offset1:108
	v_add_f32_e32 v4, v4, v5
	v_mul_f32_e32 v5, v189, v66
	v_add_f32_e32 v27, v27, v28
	s_waitcnt lgkmcnt(2)
	v_mul_f32_e32 v28, v190, v223
	v_fma_f32 v5, v188, v224, -v5
	v_fmac_f32_e32 v28, v191, v222
	v_add_f32_e32 v4, v4, v5
	v_mul_f32_e32 v5, v191, v223
	v_add_f32_e32 v27, v27, v28
	s_waitcnt vmcnt(30)
	v_mul_f32_e32 v28, v192, v226
	v_fma_f32 v5, v190, v222, -v5
	v_fmac_f32_e32 v28, v193, v225
	v_add_f32_e32 v4, v4, v5
	v_mul_f32_e32 v5, v193, v226
	v_add_f32_e32 v27, v27, v28
	s_waitcnt vmcnt(28) lgkmcnt(1)
	v_mul_f32_e32 v28, v194, v228
	v_fma_f32 v5, v192, v225, -v5
	v_fmac_f32_e32 v28, v195, v227
	v_add_f32_e32 v4, v4, v5
	v_mul_f32_e32 v5, v195, v228
	v_add_f32_e32 v27, v27, v28
	s_waitcnt vmcnt(27)
	v_mul_f32_e32 v28, v196, v229
	v_fma_f32 v5, v194, v227, -v5
	s_waitcnt vmcnt(24)
	v_fmac_f32_e32 v28, v197, v232
	ds_read2_b64 v[202:205], v1 offset0:109 offset1:110
	ds_read2_b64 v[206:209], v1 offset0:111 offset1:112
	v_add_f32_e32 v4, v4, v5
	v_mul_f32_e32 v5, v197, v229
	v_add_f32_e32 v27, v27, v28
	s_waitcnt lgkmcnt(2)
	v_mul_f32_e32 v28, v198, v231
	v_fma_f32 v5, v196, v232, -v5
	v_fmac_f32_e32 v28, v199, v230
	v_add_f32_e32 v4, v4, v5
	v_mul_f32_e32 v5, v199, v231
	v_add_f32_e32 v27, v27, v28
	s_waitcnt vmcnt(22)
	v_mul_f32_e32 v28, v200, v234
	v_fma_f32 v5, v198, v230, -v5
	v_fmac_f32_e32 v28, v201, v233
	v_add_f32_e32 v4, v4, v5
	v_mul_f32_e32 v5, v201, v234
	v_add_f32_e32 v27, v27, v28
	s_waitcnt vmcnt(20) lgkmcnt(1)
	v_mul_f32_e32 v28, v202, v236
	v_fma_f32 v5, v200, v233, -v5
	v_fmac_f32_e32 v28, v203, v235
	v_add_f32_e32 v4, v4, v5
	v_mul_f32_e32 v5, v203, v236
	v_add_f32_e32 v27, v27, v28
	s_waitcnt vmcnt(19)
	v_mul_f32_e32 v28, v204, v237
	v_fma_f32 v5, v202, v235, -v5
	s_waitcnt vmcnt(16)
	v_fmac_f32_e32 v28, v205, v240
	ds_read2_b64 v[210:213], v1 offset0:113 offset1:114
	ds_read2_b64 v[214:217], v1 offset0:115 offset1:116
	v_add_f32_e32 v4, v4, v5
	v_mul_f32_e32 v5, v205, v237
	v_add_f32_e32 v27, v27, v28
	s_waitcnt lgkmcnt(2)
	v_mul_f32_e32 v28, v206, v239
	v_fma_f32 v5, v204, v240, -v5
	v_fmac_f32_e32 v28, v207, v238
	v_add_f32_e32 v4, v4, v5
	v_mul_f32_e32 v5, v207, v239
	v_add_f32_e32 v27, v27, v28
	s_waitcnt vmcnt(14)
	v_mul_f32_e32 v28, v208, v242
	v_fma_f32 v5, v206, v238, -v5
	v_fmac_f32_e32 v28, v209, v241
	v_add_f32_e32 v4, v4, v5
	v_mul_f32_e32 v5, v209, v242
	v_add_f32_e32 v27, v27, v28
	s_waitcnt vmcnt(12) lgkmcnt(1)
	v_mul_f32_e32 v28, v210, v244
	v_fma_f32 v5, v208, v241, -v5
	v_fmac_f32_e32 v28, v211, v243
	v_add_f32_e32 v4, v4, v5
	v_mul_f32_e32 v5, v211, v244
	v_add_f32_e32 v27, v27, v28
	s_waitcnt vmcnt(11)
	v_mul_f32_e32 v28, v212, v245
	v_fma_f32 v5, v210, v243, -v5
	s_waitcnt vmcnt(8)
	v_fmac_f32_e32 v28, v213, v248
	v_add_f32_e32 v4, v4, v5
	v_mul_f32_e32 v5, v213, v245
	v_add_f32_e32 v27, v27, v28
	s_waitcnt lgkmcnt(0)
	v_mul_f32_e32 v28, v214, v247
	ds_read2_b64 v[218:221], v1 offset0:117 offset1:118
	v_fma_f32 v5, v212, v248, -v5
	v_fmac_f32_e32 v28, v215, v246
	v_add_f32_e32 v4, v4, v5
	v_mul_f32_e32 v5, v215, v247
	v_add_f32_e32 v27, v27, v28
	s_waitcnt vmcnt(6)
	v_mul_f32_e32 v28, v216, v250
	v_fma_f32 v5, v214, v246, -v5
	v_fmac_f32_e32 v28, v217, v249
	v_add_f32_e32 v4, v4, v5
	v_mul_f32_e32 v5, v217, v250
	v_add_f32_e32 v68, v27, v28
	ds_read_b64 v[27:28], v1 offset:952
	v_fma_f32 v5, v216, v249, -v5
	v_add_f32_e32 v4, v4, v5
	s_waitcnt vmcnt(4) lgkmcnt(1)
	v_mul_f32_e32 v5, v219, v252
	v_mul_f32_e32 v69, v218, v252
	v_fma_f32 v5, v218, v251, -v5
	v_fmac_f32_e32 v69, v219, v251
	v_add_f32_e32 v4, v4, v5
	s_waitcnt vmcnt(3)
	v_mul_f32_e32 v5, v221, v253
	v_add_f32_e32 v68, v68, v69
	v_mul_f32_e32 v69, v220, v253
	s_waitcnt vmcnt(0)
	v_fma_f32 v5, v220, v67, -v5
	v_fmac_f32_e32 v69, v221, v67
	v_add_f32_e32 v4, v4, v5
	s_waitcnt lgkmcnt(0)
	v_mul_f32_e32 v5, v28, v255
	v_add_f32_e32 v68, v68, v69
	v_mul_f32_e32 v69, v27, v255
	v_fma_f32 v5, v27, v254, -v5
	v_fmac_f32_e32 v69, v28, v254
	v_add_f32_e32 v4, v4, v5
	v_add_f32_e32 v68, v68, v69
	v_sub_f32_e32 v2, v2, v4
	v_sub_f32_e32 v3, v3, v68
	buffer_store_dword v2, off, s[0:3], 0 offset:128
	buffer_store_dword v3, off, s[0:3], 0 offset:132
	s_and_saveexec_b64 s[4:5], vcc
	s_cbranch_execz .LBB123_343
; %bb.342:
	buffer_load_dword v2, off, s[0:3], 0 offset:120
	buffer_load_dword v3, off, s[0:3], 0 offset:124
	s_waitcnt vmcnt(0)
	ds_write_b64 v145, v[2:3]
	buffer_store_dword v1, off, s[0:3], 0 offset:120
	buffer_store_dword v1, off, s[0:3], 0 offset:124
.LBB123_343:
	s_or_b64 exec, exec, s[4:5]
	s_waitcnt lgkmcnt(0)
	; wave barrier
	buffer_load_dword v10, off, s[0:3], 0 offset:132
	buffer_load_dword v9, off, s[0:3], 0 offset:140
	buffer_load_dword v8, off, s[0:3], 0 offset:148
	buffer_load_dword v7, off, s[0:3], 0 offset:156
	buffer_load_dword v6, off, s[0:3], 0 offset:164
	buffer_load_dword v5, off, s[0:3], 0 offset:172
	buffer_load_dword v4, off, s[0:3], 0 offset:180
	buffer_load_dword v11, off, s[0:3], 0 offset:188
	buffer_load_dword v12, off, s[0:3], 0 offset:196
	buffer_load_dword v13, off, s[0:3], 0 offset:204
	buffer_load_dword v14, off, s[0:3], 0 offset:212
	buffer_load_dword v15, off, s[0:3], 0 offset:220
	buffer_load_dword v24, off, s[0:3], 0 offset:144
	buffer_load_dword v27, off, s[0:3], 0 offset:136
	buffer_load_dword v28, off, s[0:3], 0 offset:128
	buffer_load_dword v29, off, s[0:3], 0 offset:176
	buffer_load_dword v30, off, s[0:3], 0 offset:168
	buffer_load_dword v31, off, s[0:3], 0 offset:160
	buffer_load_dword v32, off, s[0:3], 0 offset:152
	buffer_load_dword v33, off, s[0:3], 0 offset:208
	buffer_load_dword v34, off, s[0:3], 0 offset:200
	buffer_load_dword v35, off, s[0:3], 0 offset:192
	buffer_load_dword v36, off, s[0:3], 0 offset:184
	buffer_load_dword v37, off, s[0:3], 0 offset:240
	buffer_load_dword v38, off, s[0:3], 0 offset:232
	buffer_load_dword v39, off, s[0:3], 0 offset:224
	buffer_load_dword v40, off, s[0:3], 0 offset:216
	buffer_load_dword v41, off, s[0:3], 0 offset:228
	buffer_load_dword v42, off, s[0:3], 0 offset:236
	buffer_load_dword v43, off, s[0:3], 0 offset:244
	buffer_load_dword v2, off, s[0:3], 0 offset:120
	buffer_load_dword v3, off, s[0:3], 0 offset:124
	ds_read_b128 v[16:19], v1 offset:608
	ds_read_b128 v[20:23], v1 offset:624
	;; [unrolled: 1-line block ×4, first 2 shown]
	buffer_load_dword v44, off, s[0:3], 0 offset:248
	buffer_load_dword v45, off, s[0:3], 0 offset:252
	ds_read_b128 v[154:157], v1 offset:672
	ds_read_b128 v[158:161], v1 offset:688
	;; [unrolled: 1-line block ×3, first 2 shown]
	buffer_load_dword v46, off, s[0:3], 0 offset:256
	buffer_load_dword v47, off, s[0:3], 0 offset:260
	;; [unrolled: 1-line block ×14, first 2 shown]
	v_cmp_lt_u32_e32 vcc, 14, v0
	s_waitcnt vmcnt(47) lgkmcnt(6)
	v_mul_f32_e32 v60, v16, v10
	s_waitcnt vmcnt(46)
	v_mul_f32_e32 v61, v18, v9
	s_waitcnt vmcnt(45) lgkmcnt(5)
	v_mul_f32_e32 v62, v20, v8
	s_waitcnt vmcnt(44)
	v_mul_f32_e32 v63, v22, v7
	;; [unrolled: 4-line block ×6, first 2 shown]
	s_waitcnt vmcnt(35)
	v_fmac_f32_e32 v62, v21, v24
	s_waitcnt vmcnt(34)
	v_fmac_f32_e32 v61, v19, v27
	;; [unrolled: 2-line block ×3, first 2 shown]
	v_add_f32_e32 v60, 0, v60
	v_add_f32_e32 v60, v60, v61
	;; [unrolled: 1-line block ×3, first 2 shown]
	s_waitcnt vmcnt(29)
	v_fmac_f32_e32 v63, v23, v32
	v_fmac_f32_e32 v64, v147, v31
	v_add_f32_e32 v60, v60, v63
	v_fmac_f32_e32 v65, v149, v30
	v_add_f32_e32 v60, v60, v64
	;; [unrolled: 2-line block ×3, first 2 shown]
	buffer_load_dword v61, off, s[0:3], 0 offset:312
	buffer_load_dword v62, off, s[0:3], 0 offset:316
	s_waitcnt vmcnt(27)
	v_fmac_f32_e32 v67, v153, v36
	v_add_f32_e32 v60, v60, v66
	v_fmac_f32_e32 v68, v155, v35
	v_add_f32_e32 v60, v60, v67
	;; [unrolled: 2-line block ×4, first 2 shown]
	s_waitcnt vmcnt(23)
	v_fmac_f32_e32 v166, v161, v40
	v_add_f32_e32 v60, v60, v70
	v_add_f32_e32 v60, v60, v166
	ds_read_b128 v[166:169], v1 offset:720
	buffer_load_dword v64, off, s[0:3], 0 offset:320
	buffer_load_dword v65, off, s[0:3], 0 offset:324
	;; [unrolled: 1-line block ×14, first 2 shown]
	s_waitcnt vmcnt(36) lgkmcnt(1)
	v_mul_f32_e32 v63, v162, v41
	v_fmac_f32_e32 v63, v163, v39
	v_add_f32_e32 v60, v60, v63
	s_waitcnt vmcnt(35)
	v_mul_f32_e32 v63, v164, v42
	buffer_load_dword v233, off, s[0:3], 0 offset:376
	buffer_load_dword v234, off, s[0:3], 0 offset:380
	v_fmac_f32_e32 v63, v165, v38
	v_add_f32_e32 v60, v60, v63
	s_waitcnt vmcnt(36) lgkmcnt(0)
	v_mul_f32_e32 v63, v166, v43
	v_fmac_f32_e32 v63, v167, v37
	v_add_f32_e32 v60, v60, v63
	s_waitcnt vmcnt(32)
	v_mul_f32_e32 v63, v168, v45
	v_fmac_f32_e32 v63, v169, v44
	ds_read_b128 v[170:173], v1 offset:736
	v_add_f32_e32 v60, v60, v63
	buffer_load_dword v63, off, s[0:3], 0 offset:384
	buffer_load_dword v235, off, s[0:3], 0 offset:388
	;; [unrolled: 1-line block ×6, first 2 shown]
	ds_read_b128 v[174:177], v1 offset:752
	buffer_load_dword v240, off, s[0:3], 0 offset:408
	buffer_load_dword v241, off, s[0:3], 0 offset:412
	buffer_load_dword v242, off, s[0:3], 0 offset:416
	buffer_load_dword v243, off, s[0:3], 0 offset:420
	buffer_load_dword v244, off, s[0:3], 0 offset:428
	buffer_load_dword v245, off, s[0:3], 0 offset:432
	buffer_load_dword v246, off, s[0:3], 0 offset:436
	buffer_load_dword v247, off, s[0:3], 0 offset:424
	buffer_load_dword v248, off, s[0:3], 0 offset:440
	buffer_load_dword v249, off, s[0:3], 0 offset:444
	s_waitcnt vmcnt(46) lgkmcnt(1)
	v_mul_f32_e32 v178, v170, v47
	v_fmac_f32_e32 v178, v171, v46
	v_add_f32_e32 v60, v60, v178
	s_waitcnt vmcnt(44)
	v_mul_f32_e32 v178, v172, v49
	v_fmac_f32_e32 v178, v173, v48
	v_add_f32_e32 v60, v60, v178
	s_waitcnt vmcnt(42) lgkmcnt(0)
	v_mul_f32_e32 v178, v174, v51
	buffer_load_dword v250, off, s[0:3], 0 offset:448
	buffer_load_dword v251, off, s[0:3], 0 offset:452
	;; [unrolled: 1-line block ×6, first 2 shown]
	v_fmac_f32_e32 v178, v175, v50
	s_waitcnt vmcnt(46)
	v_mul_f32_e32 v182, v176, v53
	v_add_f32_e32 v60, v60, v178
	v_fmac_f32_e32 v182, v177, v52
	ds_read_b128 v[178:181], v1 offset:768
	v_add_f32_e32 v60, v60, v182
	ds_read_b128 v[182:185], v1 offset:784
	buffer_load_dword v71, off, s[0:3], 0 offset:472
	buffer_load_dword v72, off, s[0:3], 0 offset:476
	v_mul_f32_e32 v10, v17, v10
	v_fma_f32 v10, v16, v28, -v10
	v_mul_f32_e32 v9, v19, v9
	v_add_f32_e32 v10, 0, v10
	v_fma_f32 v9, v18, v27, -v9
	v_mul_f32_e32 v8, v21, v8
	v_add_f32_e32 v9, v10, v9
	;; [unrolled: 3-line block ×6, first 2 shown]
	v_fma_f32 v4, v150, v29, -v4
	v_add_f32_e32 v4, v5, v4
	v_mul_f32_e32 v5, v153, v11
	v_fma_f32 v5, v152, v36, -v5
	v_add_f32_e32 v4, v4, v5
	v_mul_f32_e32 v5, v155, v12
	;; [unrolled: 3-line block ×6, first 2 shown]
	s_waitcnt vmcnt(46) lgkmcnt(1)
	v_mul_f32_e32 v186, v178, v55
	v_fma_f32 v5, v162, v39, -v5
	v_fmac_f32_e32 v186, v179, v54
	v_add_f32_e32 v4, v4, v5
	v_mul_f32_e32 v5, v165, v42
	v_add_f32_e32 v60, v60, v186
	s_waitcnt vmcnt(44)
	v_mul_f32_e32 v186, v180, v57
	v_fma_f32 v5, v164, v38, -v5
	v_fmac_f32_e32 v186, v181, v56
	v_add_f32_e32 v4, v4, v5
	v_mul_f32_e32 v5, v167, v43
	v_add_f32_e32 v60, v60, v186
	s_waitcnt vmcnt(42) lgkmcnt(0)
	v_mul_f32_e32 v186, v182, v59
	v_fma_f32 v5, v166, v37, -v5
	v_fmac_f32_e32 v186, v183, v58
	v_add_f32_e32 v4, v4, v5
	v_mul_f32_e32 v5, v169, v45
	v_add_f32_e32 v60, v60, v186
	ds_read_b128 v[186:189], v1 offset:800
	v_fma_f32 v5, v168, v44, -v5
	v_add_f32_e32 v4, v4, v5
	v_mul_f32_e32 v5, v171, v47
	s_waitcnt vmcnt(40)
	v_mul_f32_e32 v190, v184, v62
	v_fma_f32 v5, v170, v46, -v5
	v_fmac_f32_e32 v190, v185, v61
	v_add_f32_e32 v4, v4, v5
	v_mul_f32_e32 v5, v173, v49
	v_add_f32_e32 v60, v60, v190
	ds_read_b128 v[190:193], v1 offset:816
	v_fma_f32 v5, v172, v48, -v5
	s_waitcnt vmcnt(38) lgkmcnt(1)
	v_mul_f32_e32 v194, v186, v65
	v_add_f32_e32 v4, v4, v5
	v_mul_f32_e32 v5, v175, v51
	v_fmac_f32_e32 v194, v187, v64
	v_fma_f32 v5, v174, v50, -v5
	v_add_f32_e32 v60, v60, v194
	s_waitcnt vmcnt(37)
	v_mul_f32_e32 v194, v188, v66
	v_add_f32_e32 v4, v4, v5
	v_mul_f32_e32 v5, v177, v53
	s_waitcnt vmcnt(34)
	v_fmac_f32_e32 v194, v189, v69
	v_fma_f32 v5, v176, v52, -v5
	v_add_f32_e32 v60, v60, v194
	s_waitcnt lgkmcnt(0)
	v_mul_f32_e32 v194, v190, v68
	v_add_f32_e32 v4, v4, v5
	v_mul_f32_e32 v5, v179, v55
	v_fmac_f32_e32 v194, v191, v67
	v_fma_f32 v5, v178, v54, -v5
	v_add_f32_e32 v60, v60, v194
	ds_read_b128 v[194:197], v1 offset:832
	v_add_f32_e32 v4, v4, v5
	v_mul_f32_e32 v5, v181, v57
	v_fma_f32 v5, v180, v56, -v5
	s_waitcnt vmcnt(32)
	v_mul_f32_e32 v198, v192, v226
	v_add_f32_e32 v4, v4, v5
	v_mul_f32_e32 v5, v183, v59
	v_fmac_f32_e32 v198, v193, v70
	v_fma_f32 v5, v182, v58, -v5
	v_add_f32_e32 v60, v60, v198
	ds_read_b128 v[198:201], v1 offset:848
	v_add_f32_e32 v4, v4, v5
	v_mul_f32_e32 v5, v185, v62
	s_waitcnt vmcnt(30) lgkmcnt(1)
	v_mul_f32_e32 v202, v194, v228
	v_fma_f32 v5, v184, v61, -v5
	v_fmac_f32_e32 v202, v195, v227
	v_add_f32_e32 v4, v4, v5
	v_mul_f32_e32 v5, v187, v65
	v_add_f32_e32 v60, v60, v202
	s_waitcnt vmcnt(29)
	v_mul_f32_e32 v202, v196, v229
	v_fma_f32 v5, v186, v64, -v5
	s_waitcnt vmcnt(26)
	v_fmac_f32_e32 v202, v197, v232
	v_add_f32_e32 v4, v4, v5
	v_mul_f32_e32 v5, v189, v66
	v_add_f32_e32 v60, v60, v202
	s_waitcnt lgkmcnt(0)
	v_mul_f32_e32 v202, v198, v231
	v_fma_f32 v5, v188, v69, -v5
	v_fmac_f32_e32 v202, v199, v230
	v_add_f32_e32 v4, v4, v5
	v_mul_f32_e32 v5, v191, v68
	v_add_f32_e32 v60, v60, v202
	ds_read_b128 v[202:205], v1 offset:864
	v_fma_f32 v5, v190, v67, -v5
	v_add_f32_e32 v4, v4, v5
	v_mul_f32_e32 v5, v193, v226
	s_waitcnt vmcnt(24)
	v_mul_f32_e32 v206, v200, v234
	v_fma_f32 v5, v192, v70, -v5
	v_fmac_f32_e32 v206, v201, v233
	v_add_f32_e32 v4, v4, v5
	v_mul_f32_e32 v5, v195, v228
	v_add_f32_e32 v60, v60, v206
	ds_read_b128 v[206:209], v1 offset:880
	v_fma_f32 v5, v194, v227, -v5
	s_waitcnt vmcnt(22) lgkmcnt(1)
	v_mul_f32_e32 v210, v202, v235
	v_add_f32_e32 v4, v4, v5
	v_mul_f32_e32 v5, v197, v229
	v_fmac_f32_e32 v210, v203, v63
	v_fma_f32 v5, v196, v232, -v5
	v_add_f32_e32 v60, v60, v210
	s_waitcnt vmcnt(21)
	v_mul_f32_e32 v210, v204, v236
	v_add_f32_e32 v4, v4, v5
	v_mul_f32_e32 v5, v199, v231
	s_waitcnt vmcnt(18)
	v_fmac_f32_e32 v210, v205, v239
	v_fma_f32 v5, v198, v230, -v5
	v_add_f32_e32 v60, v60, v210
	s_waitcnt lgkmcnt(0)
	v_mul_f32_e32 v210, v206, v238
	v_add_f32_e32 v4, v4, v5
	v_mul_f32_e32 v5, v201, v234
	v_fmac_f32_e32 v210, v207, v237
	v_fma_f32 v5, v200, v233, -v5
	v_add_f32_e32 v60, v60, v210
	ds_read_b128 v[210:213], v1 offset:896
	v_add_f32_e32 v4, v4, v5
	v_mul_f32_e32 v5, v203, v235
	v_fma_f32 v5, v202, v63, -v5
	s_waitcnt vmcnt(16)
	v_mul_f32_e32 v214, v208, v241
	v_add_f32_e32 v4, v4, v5
	v_mul_f32_e32 v5, v205, v236
	v_fmac_f32_e32 v214, v209, v240
	v_fma_f32 v5, v204, v239, -v5
	v_add_f32_e32 v60, v60, v214
	ds_read_b128 v[214:217], v1 offset:912
	v_add_f32_e32 v4, v4, v5
	v_mul_f32_e32 v5, v207, v238
	s_waitcnt vmcnt(14) lgkmcnt(1)
	v_mul_f32_e32 v218, v210, v243
	v_fma_f32 v5, v206, v237, -v5
	v_fmac_f32_e32 v218, v211, v242
	v_add_f32_e32 v4, v4, v5
	v_mul_f32_e32 v5, v209, v241
	v_add_f32_e32 v60, v60, v218
	s_waitcnt vmcnt(13)
	v_mul_f32_e32 v218, v212, v244
	v_fma_f32 v5, v208, v240, -v5
	s_waitcnt vmcnt(10)
	v_fmac_f32_e32 v218, v213, v247
	v_add_f32_e32 v4, v4, v5
	v_mul_f32_e32 v5, v211, v243
	v_add_f32_e32 v60, v60, v218
	s_waitcnt lgkmcnt(0)
	v_mul_f32_e32 v218, v214, v246
	v_fma_f32 v5, v210, v242, -v5
	v_fmac_f32_e32 v218, v215, v245
	v_add_f32_e32 v4, v4, v5
	v_mul_f32_e32 v5, v213, v244
	v_add_f32_e32 v60, v60, v218
	ds_read_b128 v[218:221], v1 offset:928
	v_fma_f32 v5, v212, v247, -v5
	v_add_f32_e32 v4, v4, v5
	v_mul_f32_e32 v5, v215, v246
	s_waitcnt vmcnt(8)
	v_mul_f32_e32 v222, v216, v249
	v_fma_f32 v5, v214, v245, -v5
	v_fmac_f32_e32 v222, v217, v248
	v_add_f32_e32 v4, v4, v5
	v_mul_f32_e32 v5, v217, v249
	v_add_f32_e32 v60, v60, v222
	ds_read_b128 v[222:225], v1 offset:944
	v_fma_f32 v5, v216, v248, -v5
	v_add_f32_e32 v4, v4, v5
	s_waitcnt vmcnt(6) lgkmcnt(1)
	v_mul_f32_e32 v5, v219, v251
	v_mul_f32_e32 v1, v218, v251
	v_fma_f32 v5, v218, v250, -v5
	v_fmac_f32_e32 v1, v219, v250
	v_add_f32_e32 v4, v4, v5
	s_waitcnt vmcnt(5)
	v_mul_f32_e32 v5, v221, v252
	v_add_f32_e32 v1, v60, v1
	v_mul_f32_e32 v60, v220, v252
	s_waitcnt vmcnt(2)
	v_fma_f32 v5, v220, v255, -v5
	v_fmac_f32_e32 v60, v221, v255
	v_add_f32_e32 v4, v4, v5
	s_waitcnt lgkmcnt(0)
	v_mul_f32_e32 v5, v223, v254
	v_add_f32_e32 v1, v1, v60
	v_mul_f32_e32 v60, v222, v254
	v_fma_f32 v5, v222, v253, -v5
	v_fmac_f32_e32 v60, v223, v253
	v_add_f32_e32 v4, v4, v5
	s_waitcnt vmcnt(0)
	v_mul_f32_e32 v5, v225, v72
	v_add_f32_e32 v1, v1, v60
	v_mul_f32_e32 v60, v224, v72
	v_fma_f32 v5, v224, v71, -v5
	v_fmac_f32_e32 v60, v225, v71
	v_add_f32_e32 v4, v4, v5
	v_add_f32_e32 v1, v1, v60
	v_sub_f32_e32 v2, v2, v4
	v_sub_f32_e32 v1, v3, v1
	buffer_store_dword v2, off, s[0:3], 0 offset:120
	buffer_store_dword v1, off, s[0:3], 0 offset:124
	s_and_saveexec_b64 s[4:5], vcc
	s_cbranch_execz .LBB123_345
; %bb.344:
	buffer_load_dword v1, off, s[0:3], 0 offset:112
	buffer_load_dword v2, off, s[0:3], 0 offset:116
	v_mov_b32_e32 v3, 0
	buffer_store_dword v3, off, s[0:3], 0 offset:112
	buffer_store_dword v3, off, s[0:3], 0 offset:116
	s_waitcnt vmcnt(2)
	ds_write_b64 v145, v[1:2]
.LBB123_345:
	s_or_b64 exec, exec, s[4:5]
	s_waitcnt lgkmcnt(0)
	; wave barrier
	buffer_load_dword v24, off, s[0:3], 0 offset:124
	buffer_load_dword v29, off, s[0:3], 0 offset:132
	;; [unrolled: 1-line block ×32, first 2 shown]
	v_mov_b32_e32 v1, 0
	buffer_load_dword v58, off, s[0:3], 0 offset:240
	buffer_load_dword v59, off, s[0:3], 0 offset:244
	;; [unrolled: 1-line block ×16, first 2 shown]
	ds_read2_b64 v[4:7], v1 offset0:75 offset1:76
	ds_read2_b64 v[8:11], v1 offset0:77 offset1:78
	;; [unrolled: 1-line block ×7, first 2 shown]
	v_cmp_lt_u32_e32 vcc, 13, v0
	s_waitcnt vmcnt(47) lgkmcnt(6)
	v_mul_f32_e32 v27, v4, v24
	s_waitcnt vmcnt(46)
	v_mul_f32_e32 v28, v6, v29
	s_waitcnt vmcnt(45) lgkmcnt(5)
	v_mul_f32_e32 v154, v8, v30
	s_waitcnt vmcnt(44)
	v_mul_f32_e32 v155, v10, v31
	s_waitcnt vmcnt(43) lgkmcnt(4)
	v_mul_f32_e32 v156, v12, v32
	s_waitcnt vmcnt(42)
	v_mul_f32_e32 v157, v14, v33
	s_waitcnt vmcnt(41) lgkmcnt(3)
	v_mul_f32_e32 v158, v16, v34
	s_waitcnt vmcnt(40)
	v_mul_f32_e32 v159, v18, v35
	s_waitcnt vmcnt(39) lgkmcnt(2)
	v_mul_f32_e32 v160, v20, v36
	s_waitcnt vmcnt(38)
	v_mul_f32_e32 v161, v22, v37
	s_waitcnt vmcnt(37) lgkmcnt(1)
	v_mul_f32_e32 v162, v146, v38
	s_waitcnt vmcnt(36)
	v_mul_f32_e32 v163, v148, v39
	s_waitcnt vmcnt(35)
	v_fmac_f32_e32 v154, v9, v40
	s_waitcnt vmcnt(34)
	v_fmac_f32_e32 v28, v7, v41
	;; [unrolled: 2-line block ×3, first 2 shown]
	v_add_f32_e32 v27, 0, v27
	v_add_f32_e32 v27, v27, v28
	;; [unrolled: 1-line block ×3, first 2 shown]
	s_waitcnt vmcnt(29)
	v_fmac_f32_e32 v155, v11, v46
	v_fmac_f32_e32 v156, v13, v45
	v_add_f32_e32 v27, v27, v155
	v_fmac_f32_e32 v157, v15, v44
	v_add_f32_e32 v27, v27, v156
	v_add_f32_e32 v27, v27, v157
	ds_read2_b64 v[154:157], v1 offset0:89 offset1:90
	buffer_load_dword v215, off, s[0:3], 0 offset:304
	buffer_load_dword v216, off, s[0:3], 0 offset:308
	;; [unrolled: 1-line block ×10, first 2 shown]
	v_fmac_f32_e32 v158, v17, v43
	s_waitcnt vmcnt(35)
	v_fmac_f32_e32 v159, v19, v50
	v_add_f32_e32 v27, v27, v158
	buffer_load_dword v225, off, s[0:3], 0 offset:344
	buffer_load_dword v226, off, s[0:3], 0 offset:348
	;; [unrolled: 1-line block ×6, first 2 shown]
	v_fmac_f32_e32 v160, v21, v49
	v_add_f32_e32 v27, v27, v159
	v_fmac_f32_e32 v161, v23, v48
	v_add_f32_e32 v27, v27, v160
	v_add_f32_e32 v27, v27, v161
	ds_read2_b64 v[158:161], v1 offset0:91 offset1:92
	buffer_load_dword v231, off, s[0:3], 0 offset:368
	buffer_load_dword v232, off, s[0:3], 0 offset:372
	v_fmac_f32_e32 v162, v147, v47
	s_waitcnt vmcnt(39)
	v_fmac_f32_e32 v163, v149, v54
	v_add_f32_e32 v27, v27, v162
	v_add_f32_e32 v27, v27, v163
	ds_read2_b64 v[162:165], v1 offset0:93 offset1:94
	buffer_load_dword v233, off, s[0:3], 0 offset:376
	buffer_load_dword v234, off, s[0:3], 0 offset:380
	;; [unrolled: 1-line block ×16, first 2 shown]
	v_mul_f32_e32 v5, v5, v24
	ds_read2_b64 v[166:169], v1 offset0:95 offset1:96
	buffer_load_dword v249, off, s[0:3], 0 offset:440
	buffer_load_dword v250, off, s[0:3], 0 offset:444
	;; [unrolled: 1-line block ×6, first 2 shown]
	v_fma_f32 v4, v4, v42, -v5
	v_mul_f32_e32 v5, v7, v29
	v_add_f32_e32 v4, 0, v4
	v_fma_f32 v5, v6, v41, -v5
	v_add_f32_e32 v4, v4, v5
	v_mul_f32_e32 v5, v9, v30
	v_fma_f32 v5, v8, v40, -v5
	v_add_f32_e32 v4, v4, v5
	v_mul_f32_e32 v5, v11, v31
	ds_read2_b64 v[170:173], v1 offset0:97 offset1:98
	buffer_load_dword v255, off, s[0:3], 0 offset:468
	buffer_load_dword v73, off, s[0:3], 0 offset:472
	;; [unrolled: 1-line block ×4, first 2 shown]
	v_fma_f32 v5, v10, v46, -v5
	v_add_f32_e32 v4, v4, v5
	v_mul_f32_e32 v5, v13, v32
	v_fma_f32 v5, v12, v45, -v5
	v_add_f32_e32 v4, v4, v5
	v_mul_f32_e32 v5, v15, v33
	;; [unrolled: 3-line block ×8, first 2 shown]
	s_waitcnt vmcnt(62) lgkmcnt(5)
	v_mul_f32_e32 v28, v150, v55
	v_fma_f32 v5, v148, v54, -v5
	v_fmac_f32_e32 v28, v151, v53
	v_add_f32_e32 v4, v4, v5
	v_mul_f32_e32 v5, v151, v55
	v_add_f32_e32 v27, v27, v28
	v_mul_f32_e32 v28, v152, v56
	v_fma_f32 v5, v150, v53, -v5
	v_fmac_f32_e32 v28, v153, v52
	v_add_f32_e32 v4, v4, v5
	v_mul_f32_e32 v5, v153, v56
	v_add_f32_e32 v27, v27, v28
	s_waitcnt lgkmcnt(4)
	v_mul_f32_e32 v28, v154, v57
	v_fma_f32 v5, v152, v52, -v5
	v_fmac_f32_e32 v28, v155, v51
	v_add_f32_e32 v4, v4, v5
	v_mul_f32_e32 v5, v155, v57
	v_add_f32_e32 v27, v27, v28
	s_waitcnt vmcnt(58)
	v_mul_f32_e32 v28, v156, v59
	v_fma_f32 v5, v154, v51, -v5
	v_fmac_f32_e32 v28, v157, v58
	v_add_f32_e32 v4, v4, v5
	v_mul_f32_e32 v5, v157, v59
	v_add_f32_e32 v27, v27, v28
	s_waitcnt vmcnt(56) lgkmcnt(3)
	v_mul_f32_e32 v28, v158, v61
	v_fma_f32 v5, v156, v58, -v5
	v_fmac_f32_e32 v28, v159, v60
	v_add_f32_e32 v4, v4, v5
	v_mul_f32_e32 v5, v159, v61
	v_add_f32_e32 v27, v27, v28
	s_waitcnt vmcnt(54)
	v_mul_f32_e32 v28, v160, v63
	v_fma_f32 v5, v158, v60, -v5
	v_fmac_f32_e32 v28, v161, v62
	v_add_f32_e32 v4, v4, v5
	v_mul_f32_e32 v5, v161, v63
	v_add_f32_e32 v27, v27, v28
	s_waitcnt vmcnt(52) lgkmcnt(2)
	;; [unrolled: 14-line block ×3, first 2 shown]
	v_mul_f32_e32 v28, v166, v69
	v_fma_f32 v5, v164, v66, -v5
	v_fmac_f32_e32 v28, v167, v68
	v_add_f32_e32 v4, v4, v5
	v_mul_f32_e32 v5, v167, v69
	v_add_f32_e32 v27, v27, v28
	s_waitcnt vmcnt(46)
	v_mul_f32_e32 v28, v168, v71
	v_fma_f32 v5, v166, v68, -v5
	v_fmac_f32_e32 v28, v169, v70
	ds_read2_b64 v[174:177], v1 offset0:99 offset1:100
	ds_read2_b64 v[178:181], v1 offset0:101 offset1:102
	v_add_f32_e32 v4, v4, v5
	v_mul_f32_e32 v5, v169, v71
	v_add_f32_e32 v27, v27, v28
	s_waitcnt vmcnt(44) lgkmcnt(2)
	v_mul_f32_e32 v28, v170, v214
	v_fma_f32 v5, v168, v70, -v5
	v_fmac_f32_e32 v28, v171, v72
	v_add_f32_e32 v4, v4, v5
	v_mul_f32_e32 v5, v171, v214
	v_add_f32_e32 v27, v27, v28
	s_waitcnt vmcnt(42)
	v_mul_f32_e32 v28, v172, v216
	v_fma_f32 v5, v170, v72, -v5
	v_fmac_f32_e32 v28, v173, v215
	v_add_f32_e32 v4, v4, v5
	v_mul_f32_e32 v5, v173, v216
	v_add_f32_e32 v27, v27, v28
	s_waitcnt vmcnt(40) lgkmcnt(1)
	v_mul_f32_e32 v28, v174, v218
	v_fma_f32 v5, v172, v215, -v5
	v_fmac_f32_e32 v28, v175, v217
	v_add_f32_e32 v4, v4, v5
	v_mul_f32_e32 v5, v175, v218
	v_add_f32_e32 v27, v27, v28
	s_waitcnt vmcnt(39)
	v_mul_f32_e32 v28, v176, v219
	v_fma_f32 v5, v174, v217, -v5
	s_waitcnt vmcnt(36)
	v_fmac_f32_e32 v28, v177, v222
	ds_read2_b64 v[182:185], v1 offset0:103 offset1:104
	ds_read2_b64 v[186:189], v1 offset0:105 offset1:106
	v_add_f32_e32 v4, v4, v5
	v_mul_f32_e32 v5, v177, v219
	v_add_f32_e32 v27, v27, v28
	s_waitcnt lgkmcnt(2)
	v_mul_f32_e32 v28, v178, v221
	v_fma_f32 v5, v176, v222, -v5
	v_fmac_f32_e32 v28, v179, v220
	v_add_f32_e32 v4, v4, v5
	v_mul_f32_e32 v5, v179, v221
	v_add_f32_e32 v27, v27, v28
	s_waitcnt vmcnt(34)
	v_mul_f32_e32 v28, v180, v224
	v_fma_f32 v5, v178, v220, -v5
	v_fmac_f32_e32 v28, v181, v223
	v_add_f32_e32 v4, v4, v5
	v_mul_f32_e32 v5, v181, v224
	v_add_f32_e32 v27, v27, v28
	s_waitcnt vmcnt(32) lgkmcnt(1)
	v_mul_f32_e32 v28, v182, v226
	v_fma_f32 v5, v180, v223, -v5
	v_fmac_f32_e32 v28, v183, v225
	v_add_f32_e32 v4, v4, v5
	v_mul_f32_e32 v5, v183, v226
	v_add_f32_e32 v27, v27, v28
	s_waitcnt vmcnt(31)
	v_mul_f32_e32 v28, v184, v227
	v_fma_f32 v5, v182, v225, -v5
	s_waitcnt vmcnt(28)
	v_fmac_f32_e32 v28, v185, v230
	ds_read2_b64 v[190:193], v1 offset0:107 offset1:108
	ds_read2_b64 v[194:197], v1 offset0:109 offset1:110
	v_add_f32_e32 v4, v4, v5
	v_mul_f32_e32 v5, v185, v227
	v_add_f32_e32 v27, v27, v28
	s_waitcnt lgkmcnt(2)
	;; [unrolled: 31-line block ×4, first 2 shown]
	v_mul_f32_e32 v28, v202, v245
	v_fma_f32 v5, v200, v246, -v5
	v_fmac_f32_e32 v28, v203, v244
	v_add_f32_e32 v4, v4, v5
	v_mul_f32_e32 v5, v203, v245
	v_add_f32_e32 v27, v27, v28
	s_waitcnt vmcnt(10)
	v_mul_f32_e32 v28, v204, v248
	v_fma_f32 v5, v202, v244, -v5
	v_fmac_f32_e32 v28, v205, v247
	v_add_f32_e32 v4, v4, v5
	v_mul_f32_e32 v5, v205, v248
	v_add_f32_e32 v27, v27, v28
	s_waitcnt vmcnt(8) lgkmcnt(1)
	v_mul_f32_e32 v28, v206, v250
	v_fma_f32 v5, v204, v247, -v5
	v_fmac_f32_e32 v28, v207, v249
	v_add_f32_e32 v4, v4, v5
	v_mul_f32_e32 v5, v207, v250
	v_add_f32_e32 v27, v27, v28
	s_waitcnt vmcnt(7)
	v_mul_f32_e32 v28, v208, v251
	v_fma_f32 v5, v206, v249, -v5
	s_waitcnt vmcnt(4)
	v_fmac_f32_e32 v28, v209, v254
	v_add_f32_e32 v4, v4, v5
	v_mul_f32_e32 v5, v209, v251
	v_add_f32_e32 v76, v27, v28
	ds_read_b64 v[27:28], v1 offset:952
	v_fma_f32 v5, v208, v254, -v5
	v_add_f32_e32 v4, v4, v5
	s_waitcnt lgkmcnt(1)
	v_mul_f32_e32 v5, v211, v253
	v_mul_f32_e32 v77, v210, v253
	v_fma_f32 v5, v210, v252, -v5
	v_fmac_f32_e32 v77, v211, v252
	v_add_f32_e32 v4, v4, v5
	s_waitcnt vmcnt(3)
	v_mul_f32_e32 v5, v213, v255
	v_add_f32_e32 v76, v76, v77
	v_mul_f32_e32 v77, v212, v255
	s_waitcnt vmcnt(0)
	v_fma_f32 v5, v212, v75, -v5
	v_fmac_f32_e32 v77, v213, v75
	v_add_f32_e32 v4, v4, v5
	s_waitcnt lgkmcnt(0)
	v_mul_f32_e32 v5, v28, v74
	v_add_f32_e32 v76, v76, v77
	v_mul_f32_e32 v77, v27, v74
	v_fma_f32 v5, v27, v73, -v5
	v_fmac_f32_e32 v77, v28, v73
	v_add_f32_e32 v4, v4, v5
	v_add_f32_e32 v76, v76, v77
	v_sub_f32_e32 v2, v2, v4
	v_sub_f32_e32 v3, v3, v76
	buffer_store_dword v2, off, s[0:3], 0 offset:112
	buffer_store_dword v3, off, s[0:3], 0 offset:116
	s_and_saveexec_b64 s[4:5], vcc
	s_cbranch_execz .LBB123_347
; %bb.346:
	buffer_load_dword v2, off, s[0:3], 0 offset:104
	buffer_load_dword v3, off, s[0:3], 0 offset:108
	s_waitcnt vmcnt(0)
	ds_write_b64 v145, v[2:3]
	buffer_store_dword v1, off, s[0:3], 0 offset:104
	buffer_store_dword v1, off, s[0:3], 0 offset:108
.LBB123_347:
	s_or_b64 exec, exec, s[4:5]
	s_waitcnt lgkmcnt(0)
	; wave barrier
	buffer_load_dword v10, off, s[0:3], 0 offset:116
	buffer_load_dword v9, off, s[0:3], 0 offset:124
	;; [unrolled: 1-line block ×33, first 2 shown]
	ds_read_b128 v[11:14], v1 offset:592
	ds_read_b128 v[15:18], v1 offset:608
	;; [unrolled: 1-line block ×6, first 2 shown]
	buffer_load_dword v49, off, s[0:3], 0 offset:232
	buffer_load_dword v50, off, s[0:3], 0 offset:244
	;; [unrolled: 1-line block ×7, first 2 shown]
	ds_read_b128 v[158:161], v1 offset:688
	ds_read_b128 v[162:165], v1 offset:704
	buffer_load_dword v56, off, s[0:3], 0 offset:264
	buffer_load_dword v57, off, s[0:3], 0 offset:268
	;; [unrolled: 1-line block ×8, first 2 shown]
	v_cmp_lt_u32_e32 vcc, 12, v0
	s_waitcnt vmcnt(47) lgkmcnt(7)
	v_mul_f32_e32 v64, v11, v10
	s_waitcnt vmcnt(46)
	v_mul_f32_e32 v65, v13, v9
	s_waitcnt vmcnt(45) lgkmcnt(6)
	v_mul_f32_e32 v66, v15, v8
	s_waitcnt vmcnt(44)
	v_mul_f32_e32 v67, v17, v7
	;; [unrolled: 4-line block ×6, first 2 shown]
	s_waitcnt vmcnt(35)
	v_fmac_f32_e32 v66, v16, v30
	s_waitcnt vmcnt(34)
	v_fmac_f32_e32 v65, v14, v31
	;; [unrolled: 2-line block ×3, first 2 shown]
	v_add_f32_e32 v64, 0, v64
	v_add_f32_e32 v64, v64, v65
	;; [unrolled: 1-line block ×3, first 2 shown]
	s_waitcnt vmcnt(29)
	v_fmac_f32_e32 v67, v18, v36
	v_fmac_f32_e32 v68, v20, v35
	v_add_f32_e32 v64, v64, v67
	v_fmac_f32_e32 v69, v22, v34
	v_add_f32_e32 v64, v64, v68
	;; [unrolled: 2-line block ×3, first 2 shown]
	s_waitcnt vmcnt(25)
	v_fmac_f32_e32 v71, v149, v40
	v_add_f32_e32 v64, v64, v70
	v_fmac_f32_e32 v72, v151, v39
	v_add_f32_e32 v64, v64, v71
	;; [unrolled: 2-line block ×4, first 2 shown]
	s_waitcnt vmcnt(21)
	v_fmac_f32_e32 v75, v157, v44
	v_add_f32_e32 v64, v64, v74
	s_waitcnt vmcnt(20) lgkmcnt(1)
	v_mul_f32_e32 v65, v158, v45
	v_add_f32_e32 v64, v64, v75
	v_fmac_f32_e32 v65, v159, v43
	v_add_f32_e32 v64, v64, v65
	buffer_load_dword v65, off, s[0:3], 0 offset:296
	buffer_load_dword v66, off, s[0:3], 0 offset:300
	;; [unrolled: 1-line block ×8, first 2 shown]
	s_waitcnt vmcnt(27)
	v_mul_f32_e32 v67, v160, v46
	v_fmac_f32_e32 v67, v161, v42
	v_add_f32_e32 v64, v64, v67
	s_waitcnt vmcnt(26) lgkmcnt(0)
	v_mul_f32_e32 v67, v162, v47
	v_fmac_f32_e32 v67, v163, v41
	v_add_f32_e32 v64, v64, v67
	buffer_load_dword v67, off, s[0:3], 0 offset:328
	buffer_load_dword v74, off, s[0:3], 0 offset:332
	ds_read_b128 v[166:169], v1 offset:720
	buffer_load_dword v76, off, s[0:3], 0 offset:336
	buffer_load_dword v77, off, s[0:3], 0 offset:340
	;; [unrolled: 1-line block ×6, first 2 shown]
	ds_read_b128 v[170:173], v1 offset:736
	buffer_load_dword v229, off, s[0:3], 0 offset:360
	buffer_load_dword v230, off, s[0:3], 0 offset:364
	s_waitcnt vmcnt(35)
	v_mul_f32_e32 v75, v164, v48
	s_waitcnt vmcnt(32)
	v_fmac_f32_e32 v75, v165, v49
	v_add_f32_e32 v64, v64, v75
	s_waitcnt vmcnt(31) lgkmcnt(1)
	v_mul_f32_e32 v75, v166, v50
	s_waitcnt vmcnt(26)
	v_fmac_f32_e32 v75, v167, v55
	v_add_f32_e32 v64, v64, v75
	buffer_load_dword v75, off, s[0:3], 0 offset:368
	buffer_load_dword v231, off, s[0:3], 0 offset:372
	;; [unrolled: 1-line block ×14, first 2 shown]
	v_mul_f32_e32 v174, v168, v52
	v_fmac_f32_e32 v174, v169, v51
	v_add_f32_e32 v64, v64, v174
	s_waitcnt lgkmcnt(0)
	v_mul_f32_e32 v174, v170, v54
	v_fmac_f32_e32 v174, v171, v53
	v_add_f32_e32 v64, v64, v174
	ds_read_b128 v[174:177], v1 offset:752
	buffer_load_dword v244, off, s[0:3], 0 offset:424
	buffer_load_dword v245, off, s[0:3], 0 offset:428
	s_waitcnt vmcnt(40)
	v_mul_f32_e32 v178, v172, v57
	v_fmac_f32_e32 v178, v173, v56
	v_add_f32_e32 v64, v64, v178
	ds_read_b128 v[178:181], v1 offset:768
	buffer_load_dword v246, off, s[0:3], 0 offset:432
	buffer_load_dword v247, off, s[0:3], 0 offset:436
	;; [unrolled: 1-line block ×6, first 2 shown]
	v_mul_f32_e32 v10, v12, v10
	v_fma_f32 v10, v11, v32, -v10
	v_mul_f32_e32 v9, v14, v9
	v_add_f32_e32 v10, 0, v10
	v_fma_f32 v9, v13, v31, -v9
	v_mul_f32_e32 v8, v16, v8
	buffer_load_dword v252, off, s[0:3], 0 offset:456
	buffer_load_dword v253, off, s[0:3], 0 offset:460
	;; [unrolled: 1-line block ×6, first 2 shown]
	v_add_f32_e32 v9, v10, v9
	v_fma_f32 v8, v15, v30, -v8
	v_mul_f32_e32 v7, v18, v7
	v_add_f32_e32 v8, v9, v8
	v_fma_f32 v7, v17, v36, -v7
	v_mul_f32_e32 v6, v20, v6
	;; [unrolled: 3-line block ×4, first 2 shown]
	v_add_f32_e32 v5, v6, v5
	v_fma_f32 v4, v146, v33, -v4
	v_add_f32_e32 v4, v5, v4
	v_mul_f32_e32 v5, v149, v23
	v_fma_f32 v5, v148, v40, -v5
	v_add_f32_e32 v4, v4, v5
	v_mul_f32_e32 v5, v151, v24
	;; [unrolled: 3-line block ×5, first 2 shown]
	v_fma_f32 v5, v156, v44, -v5
	s_waitcnt vmcnt(50) lgkmcnt(1)
	v_mul_f32_e32 v182, v174, v59
	v_add_f32_e32 v4, v4, v5
	v_mul_f32_e32 v5, v159, v45
	v_fmac_f32_e32 v182, v175, v58
	v_fma_f32 v5, v158, v43, -v5
	v_add_f32_e32 v64, v64, v182
	s_waitcnt vmcnt(48)
	v_mul_f32_e32 v182, v176, v61
	v_add_f32_e32 v4, v4, v5
	v_mul_f32_e32 v5, v161, v46
	v_fmac_f32_e32 v182, v177, v60
	v_fma_f32 v5, v160, v42, -v5
	v_add_f32_e32 v64, v64, v182
	s_waitcnt vmcnt(46) lgkmcnt(0)
	v_mul_f32_e32 v182, v178, v63
	v_add_f32_e32 v4, v4, v5
	v_mul_f32_e32 v5, v163, v47
	v_fmac_f32_e32 v182, v179, v62
	v_fma_f32 v5, v162, v41, -v5
	v_add_f32_e32 v64, v64, v182
	ds_read_b128 v[182:185], v1 offset:784
	v_add_f32_e32 v4, v4, v5
	v_mul_f32_e32 v5, v165, v48
	v_fma_f32 v5, v164, v49, -v5
	s_waitcnt vmcnt(44)
	v_mul_f32_e32 v186, v180, v66
	v_add_f32_e32 v4, v4, v5
	v_mul_f32_e32 v5, v167, v50
	v_fmac_f32_e32 v186, v181, v65
	v_fma_f32 v5, v166, v55, -v5
	v_add_f32_e32 v64, v64, v186
	ds_read_b128 v[186:189], v1 offset:800
	v_add_f32_e32 v4, v4, v5
	v_mul_f32_e32 v5, v169, v52
	s_waitcnt vmcnt(42) lgkmcnt(1)
	v_mul_f32_e32 v190, v182, v69
	v_fma_f32 v5, v168, v51, -v5
	v_fmac_f32_e32 v190, v183, v68
	v_add_f32_e32 v4, v4, v5
	v_mul_f32_e32 v5, v171, v54
	v_add_f32_e32 v64, v64, v190
	s_waitcnt vmcnt(41)
	v_mul_f32_e32 v190, v184, v70
	v_fma_f32 v5, v170, v53, -v5
	s_waitcnt vmcnt(38)
	v_fmac_f32_e32 v190, v185, v73
	v_add_f32_e32 v4, v4, v5
	v_mul_f32_e32 v5, v173, v57
	v_add_f32_e32 v64, v64, v190
	s_waitcnt lgkmcnt(0)
	v_mul_f32_e32 v190, v186, v72
	v_fma_f32 v5, v172, v56, -v5
	v_fmac_f32_e32 v190, v187, v71
	v_add_f32_e32 v4, v4, v5
	v_mul_f32_e32 v5, v175, v59
	v_add_f32_e32 v64, v64, v190
	ds_read_b128 v[190:193], v1 offset:816
	v_fma_f32 v5, v174, v58, -v5
	v_add_f32_e32 v4, v4, v5
	v_mul_f32_e32 v5, v177, v61
	s_waitcnt vmcnt(36)
	v_mul_f32_e32 v194, v188, v74
	v_fma_f32 v5, v176, v60, -v5
	v_fmac_f32_e32 v194, v189, v67
	v_add_f32_e32 v4, v4, v5
	v_mul_f32_e32 v5, v179, v63
	v_add_f32_e32 v64, v64, v194
	ds_read_b128 v[194:197], v1 offset:832
	v_fma_f32 v5, v178, v62, -v5
	s_waitcnt vmcnt(34) lgkmcnt(1)
	v_mul_f32_e32 v198, v190, v77
	v_add_f32_e32 v4, v4, v5
	v_mul_f32_e32 v5, v181, v66
	v_fmac_f32_e32 v198, v191, v76
	v_fma_f32 v5, v180, v65, -v5
	v_add_f32_e32 v64, v64, v198
	s_waitcnt vmcnt(33)
	v_mul_f32_e32 v198, v192, v78
	v_add_f32_e32 v4, v4, v5
	v_mul_f32_e32 v5, v183, v69
	s_waitcnt vmcnt(30)
	v_fmac_f32_e32 v198, v193, v228
	v_fma_f32 v5, v182, v68, -v5
	v_add_f32_e32 v64, v64, v198
	s_waitcnt lgkmcnt(0)
	v_mul_f32_e32 v198, v194, v227
	v_add_f32_e32 v4, v4, v5
	v_mul_f32_e32 v5, v185, v70
	v_fmac_f32_e32 v198, v195, v226
	v_fma_f32 v5, v184, v73, -v5
	v_add_f32_e32 v64, v64, v198
	ds_read_b128 v[198:201], v1 offset:848
	v_add_f32_e32 v4, v4, v5
	v_mul_f32_e32 v5, v187, v72
	v_fma_f32 v5, v186, v71, -v5
	s_waitcnt vmcnt(28)
	v_mul_f32_e32 v202, v196, v230
	v_add_f32_e32 v4, v4, v5
	v_mul_f32_e32 v5, v189, v74
	v_fmac_f32_e32 v202, v197, v229
	v_fma_f32 v5, v188, v67, -v5
	v_add_f32_e32 v64, v64, v202
	ds_read_b128 v[202:205], v1 offset:864
	v_add_f32_e32 v4, v4, v5
	v_mul_f32_e32 v5, v191, v77
	s_waitcnt vmcnt(26) lgkmcnt(1)
	v_mul_f32_e32 v206, v198, v231
	v_fma_f32 v5, v190, v76, -v5
	v_fmac_f32_e32 v206, v199, v75
	v_add_f32_e32 v4, v4, v5
	v_mul_f32_e32 v5, v193, v78
	v_add_f32_e32 v64, v64, v206
	s_waitcnt vmcnt(25)
	v_mul_f32_e32 v206, v200, v232
	v_fma_f32 v5, v192, v228, -v5
	s_waitcnt vmcnt(22)
	v_fmac_f32_e32 v206, v201, v235
	v_add_f32_e32 v4, v4, v5
	v_mul_f32_e32 v5, v195, v227
	v_add_f32_e32 v64, v64, v206
	s_waitcnt lgkmcnt(0)
	v_mul_f32_e32 v206, v202, v234
	v_fma_f32 v5, v194, v226, -v5
	v_fmac_f32_e32 v206, v203, v233
	v_add_f32_e32 v4, v4, v5
	v_mul_f32_e32 v5, v197, v230
	v_add_f32_e32 v64, v64, v206
	ds_read_b128 v[206:209], v1 offset:880
	v_fma_f32 v5, v196, v229, -v5
	v_add_f32_e32 v4, v4, v5
	v_mul_f32_e32 v5, v199, v231
	s_waitcnt vmcnt(20)
	v_mul_f32_e32 v210, v204, v237
	v_fma_f32 v5, v198, v75, -v5
	v_fmac_f32_e32 v210, v205, v236
	v_add_f32_e32 v4, v4, v5
	v_mul_f32_e32 v5, v201, v232
	v_add_f32_e32 v64, v64, v210
	ds_read_b128 v[210:213], v1 offset:896
	v_fma_f32 v5, v200, v235, -v5
	s_waitcnt vmcnt(18) lgkmcnt(1)
	v_mul_f32_e32 v214, v206, v239
	v_add_f32_e32 v4, v4, v5
	v_mul_f32_e32 v5, v203, v234
	v_fmac_f32_e32 v214, v207, v238
	v_fma_f32 v5, v202, v233, -v5
	v_add_f32_e32 v64, v64, v214
	s_waitcnt vmcnt(17)
	v_mul_f32_e32 v214, v208, v240
	v_add_f32_e32 v4, v4, v5
	v_mul_f32_e32 v5, v205, v237
	s_waitcnt vmcnt(14)
	v_fmac_f32_e32 v214, v209, v243
	v_fma_f32 v5, v204, v236, -v5
	v_add_f32_e32 v64, v64, v214
	s_waitcnt lgkmcnt(0)
	v_mul_f32_e32 v214, v210, v242
	v_add_f32_e32 v4, v4, v5
	v_mul_f32_e32 v5, v207, v239
	v_fmac_f32_e32 v214, v211, v241
	v_fma_f32 v5, v206, v238, -v5
	v_add_f32_e32 v64, v64, v214
	ds_read_b128 v[214:217], v1 offset:912
	v_add_f32_e32 v4, v4, v5
	v_mul_f32_e32 v5, v209, v240
	v_fma_f32 v5, v208, v243, -v5
	v_add_f32_e32 v4, v4, v5
	v_mul_f32_e32 v5, v211, v242
	s_waitcnt vmcnt(12)
	v_mul_f32_e32 v218, v212, v245
	v_fma_f32 v5, v210, v241, -v5
	v_fmac_f32_e32 v218, v213, v244
	v_add_f32_e32 v4, v4, v5
	v_mul_f32_e32 v5, v213, v245
	v_add_f32_e32 v64, v64, v218
	ds_read_b128 v[218:221], v1 offset:928
	s_waitcnt vmcnt(10) lgkmcnt(1)
	v_mul_f32_e32 v222, v214, v247
	v_fma_f32 v5, v212, v244, -v5
	v_fmac_f32_e32 v222, v215, v246
	v_add_f32_e32 v4, v4, v5
	v_mul_f32_e32 v5, v215, v247
	v_add_f32_e32 v64, v64, v222
	s_waitcnt vmcnt(9)
	v_mul_f32_e32 v222, v216, v248
	v_fma_f32 v5, v214, v246, -v5
	s_waitcnt vmcnt(6)
	v_fmac_f32_e32 v222, v217, v251
	v_add_f32_e32 v4, v4, v5
	v_mul_f32_e32 v5, v217, v248
	v_add_f32_e32 v64, v64, v222
	ds_read_b128 v[222:225], v1 offset:944
	v_fma_f32 v5, v216, v251, -v5
	v_add_f32_e32 v4, v4, v5
	s_waitcnt lgkmcnt(1)
	v_mul_f32_e32 v5, v219, v250
	v_mul_f32_e32 v81, v218, v250
	v_fma_f32 v5, v218, v249, -v5
	v_fmac_f32_e32 v81, v219, v249
	v_add_f32_e32 v4, v4, v5
	s_waitcnt vmcnt(4)
	v_mul_f32_e32 v5, v221, v253
	v_add_f32_e32 v1, v64, v81
	v_mul_f32_e32 v64, v220, v253
	v_fma_f32 v5, v220, v252, -v5
	v_fmac_f32_e32 v64, v221, v252
	v_add_f32_e32 v4, v4, v5
	s_waitcnt vmcnt(3) lgkmcnt(0)
	v_mul_f32_e32 v5, v223, v254
	v_add_f32_e32 v1, v1, v64
	v_mul_f32_e32 v64, v222, v254
	s_waitcnt vmcnt(0)
	v_fma_f32 v5, v222, v80, -v5
	v_fmac_f32_e32 v64, v223, v80
	v_add_f32_e32 v4, v4, v5
	v_mul_f32_e32 v5, v225, v79
	v_add_f32_e32 v1, v1, v64
	v_mul_f32_e32 v64, v224, v79
	v_fma_f32 v5, v224, v255, -v5
	v_fmac_f32_e32 v64, v225, v255
	v_add_f32_e32 v4, v4, v5
	v_add_f32_e32 v1, v1, v64
	v_sub_f32_e32 v2, v2, v4
	v_sub_f32_e32 v1, v3, v1
	buffer_store_dword v2, off, s[0:3], 0 offset:104
	buffer_store_dword v1, off, s[0:3], 0 offset:108
	s_and_saveexec_b64 s[4:5], vcc
	s_cbranch_execz .LBB123_349
; %bb.348:
	buffer_load_dword v1, off, s[0:3], 0 offset:96
	buffer_load_dword v2, off, s[0:3], 0 offset:100
	v_mov_b32_e32 v3, 0
	buffer_store_dword v3, off, s[0:3], 0 offset:96
	buffer_store_dword v3, off, s[0:3], 0 offset:100
	s_waitcnt vmcnt(2)
	ds_write_b64 v145, v[1:2]
.LBB123_349:
	s_or_b64 exec, exec, s[4:5]
	s_waitcnt lgkmcnt(0)
	; wave barrier
	buffer_load_dword v8, off, s[0:3], 0 offset:108
	buffer_load_dword v7, off, s[0:3], 0 offset:116
	;; [unrolled: 1-line block ×40, first 2 shown]
	v_mov_b32_e32 v1, 0
	buffer_load_dword v58, off, s[0:3], 0 offset:256
	buffer_load_dword v59, off, s[0:3], 0 offset:260
	;; [unrolled: 1-line block ×8, first 2 shown]
	ds_read2_b64 v[11:14], v1 offset0:73 offset1:74
	ds_read2_b64 v[15:18], v1 offset0:75 offset1:76
	;; [unrolled: 1-line block ×8, first 2 shown]
	v_cmp_lt_u32_e32 vcc, 11, v0
	s_waitcnt vmcnt(47) lgkmcnt(7)
	v_mul_f32_e32 v23, v11, v8
	s_waitcnt vmcnt(46)
	v_mul_f32_e32 v24, v13, v7
	s_waitcnt vmcnt(45) lgkmcnt(6)
	v_mul_f32_e32 v66, v15, v6
	s_waitcnt vmcnt(44)
	v_mul_f32_e32 v67, v17, v5
	;; [unrolled: 4-line block ×6, first 2 shown]
	s_waitcnt vmcnt(35)
	v_fmac_f32_e32 v66, v16, v32
	s_waitcnt vmcnt(34)
	v_fmac_f32_e32 v24, v14, v33
	;; [unrolled: 2-line block ×3, first 2 shown]
	v_add_f32_e32 v23, 0, v23
	v_add_f32_e32 v23, v23, v24
	;; [unrolled: 1-line block ×3, first 2 shown]
	s_waitcnt vmcnt(29)
	v_fmac_f32_e32 v67, v18, v38
	v_fmac_f32_e32 v68, v20, v37
	v_add_f32_e32 v23, v23, v67
	v_fmac_f32_e32 v69, v22, v36
	v_add_f32_e32 v23, v23, v68
	buffer_load_dword v66, off, s[0:3], 0 offset:288
	buffer_load_dword v67, off, s[0:3], 0 offset:292
	v_fmac_f32_e32 v70, v147, v35
	v_add_f32_e32 v23, v23, v69
	s_waitcnt vmcnt(27)
	v_fmac_f32_e32 v71, v149, v42
	v_add_f32_e32 v23, v23, v70
	v_fmac_f32_e32 v72, v151, v41
	v_add_f32_e32 v23, v23, v71
	;; [unrolled: 2-line block ×3, first 2 shown]
	v_add_f32_e32 v23, v23, v73
	buffer_load_dword v68, off, s[0:3], 0 offset:296
	buffer_load_dword v69, off, s[0:3], 0 offset:300
	buffer_load_dword v70, off, s[0:3], 0 offset:308
	buffer_load_dword v71, off, s[0:3], 0 offset:312
	buffer_load_dword v72, off, s[0:3], 0 offset:316
	buffer_load_dword v73, off, s[0:3], 0 offset:304
	v_fmac_f32_e32 v74, v155, v39
	s_waitcnt vmcnt(29)
	v_fmac_f32_e32 v75, v157, v46
	v_add_f32_e32 v23, v23, v74
	v_add_f32_e32 v23, v23, v75
	buffer_load_dword v74, off, s[0:3], 0 offset:320
	buffer_load_dword v75, off, s[0:3], 0 offset:324
	ds_read2_b64 v[166:169], v1 offset0:89 offset1:90
	buffer_load_dword v76, off, s[0:3], 0 offset:328
	buffer_load_dword v77, off, s[0:3], 0 offset:332
	;; [unrolled: 1-line block ×6, first 2 shown]
	ds_read2_b64 v[170:173], v1 offset0:91 offset1:92
	buffer_load_dword v82, off, s[0:3], 0 offset:352
	buffer_load_dword v226, off, s[0:3], 0 offset:356
	buffer_load_dword v227, off, s[0:3], 0 offset:360
	buffer_load_dword v228, off, s[0:3], 0 offset:364
	buffer_load_dword v229, off, s[0:3], 0 offset:372
	buffer_load_dword v230, off, s[0:3], 0 offset:376
	buffer_load_dword v231, off, s[0:3], 0 offset:380
	buffer_load_dword v232, off, s[0:3], 0 offset:368
	buffer_load_dword v233, off, s[0:3], 0 offset:384
	buffer_load_dword v234, off, s[0:3], 0 offset:388
	ds_read2_b64 v[174:177], v1 offset0:93 offset1:94
	buffer_load_dword v235, off, s[0:3], 0 offset:392
	buffer_load_dword v236, off, s[0:3], 0 offset:396
	;; [unrolled: 1-line block ×6, first 2 shown]
	ds_read2_b64 v[178:181], v1 offset0:95 offset1:96
	buffer_load_dword v241, off, s[0:3], 0 offset:416
	buffer_load_dword v242, off, s[0:3], 0 offset:420
	;; [unrolled: 1-line block ×10, first 2 shown]
	v_mul_f32_e32 v8, v12, v8
	v_fma_f32 v8, v11, v34, -v8
	v_mul_f32_e32 v7, v14, v7
	v_add_f32_e32 v8, 0, v8
	v_fma_f32 v7, v13, v33, -v7
	v_mul_f32_e32 v6, v16, v6
	v_add_f32_e32 v7, v8, v7
	v_fma_f32 v6, v15, v32, -v6
	v_mul_f32_e32 v5, v18, v5
	v_add_f32_e32 v6, v7, v6
	v_fma_f32 v5, v17, v38, -v5
	v_mul_f32_e32 v4, v20, v4
	buffer_load_dword v251, off, s[0:3], 0 offset:456
	buffer_load_dword v252, off, s[0:3], 0 offset:460
	;; [unrolled: 1-line block ×6, first 2 shown]
	v_add_f32_e32 v5, v6, v5
	v_fma_f32 v4, v19, v37, -v4
	v_mul_f32_e32 v3, v22, v3
	v_add_f32_e32 v4, v5, v4
	v_fma_f32 v3, v21, v36, -v3
	v_mul_f32_e32 v2, v147, v2
	v_add_f32_e32 v3, v4, v3
	v_fma_f32 v2, v146, v35, -v2
	v_add_f32_e32 v2, v3, v2
	v_mul_f32_e32 v3, v149, v27
	v_fma_f32 v3, v148, v42, -v3
	v_add_f32_e32 v2, v2, v3
	v_mul_f32_e32 v3, v151, v28
	;; [unrolled: 3-line block ×5, first 2 shown]
	s_waitcnt vmcnt(62) lgkmcnt(5)
	v_mul_f32_e32 v24, v158, v47
	v_fma_f32 v3, v156, v46, -v3
	v_fmac_f32_e32 v24, v159, v45
	v_add_f32_e32 v2, v2, v3
	v_mul_f32_e32 v3, v159, v47
	v_add_f32_e32 v23, v23, v24
	v_mul_f32_e32 v24, v160, v48
	v_fma_f32 v3, v158, v45, -v3
	v_fmac_f32_e32 v24, v161, v44
	v_add_f32_e32 v2, v2, v3
	v_mul_f32_e32 v3, v161, v48
	v_add_f32_e32 v23, v23, v24
	s_waitcnt lgkmcnt(4)
	v_mul_f32_e32 v24, v162, v49
	v_fma_f32 v3, v160, v44, -v3
	v_fmac_f32_e32 v24, v163, v43
	v_add_f32_e32 v2, v2, v3
	v_mul_f32_e32 v3, v163, v49
	v_add_f32_e32 v23, v23, v24
	v_mul_f32_e32 v24, v164, v50
	v_fma_f32 v3, v162, v43, -v3
	s_waitcnt vmcnt(58)
	v_fmac_f32_e32 v24, v165, v57
	v_add_f32_e32 v2, v2, v3
	v_mul_f32_e32 v3, v165, v50
	v_add_f32_e32 v23, v23, v24
	s_waitcnt lgkmcnt(3)
	v_mul_f32_e32 v24, v166, v52
	v_fma_f32 v3, v164, v57, -v3
	v_fmac_f32_e32 v24, v167, v51
	v_add_f32_e32 v2, v2, v3
	v_mul_f32_e32 v3, v167, v52
	v_add_f32_e32 v23, v23, v24
	v_mul_f32_e32 v24, v168, v54
	v_fma_f32 v3, v166, v51, -v3
	v_fmac_f32_e32 v24, v169, v53
	v_add_f32_e32 v2, v2, v3
	v_mul_f32_e32 v3, v169, v54
	v_add_f32_e32 v23, v23, v24
	s_waitcnt lgkmcnt(2)
	v_mul_f32_e32 v24, v170, v56
	v_fma_f32 v3, v168, v53, -v3
	v_fmac_f32_e32 v24, v171, v55
	v_add_f32_e32 v2, v2, v3
	v_mul_f32_e32 v3, v171, v56
	v_add_f32_e32 v23, v23, v24
	s_waitcnt vmcnt(54)
	v_mul_f32_e32 v24, v172, v59
	v_fma_f32 v3, v170, v55, -v3
	v_fmac_f32_e32 v24, v173, v58
	v_add_f32_e32 v2, v2, v3
	v_mul_f32_e32 v3, v173, v59
	v_add_f32_e32 v23, v23, v24
	s_waitcnt vmcnt(52) lgkmcnt(1)
	v_mul_f32_e32 v24, v174, v61
	v_fma_f32 v3, v172, v58, -v3
	v_fmac_f32_e32 v24, v175, v60
	v_add_f32_e32 v2, v2, v3
	v_mul_f32_e32 v3, v175, v61
	v_add_f32_e32 v23, v23, v24
	s_waitcnt vmcnt(50)
	v_mul_f32_e32 v24, v176, v63
	v_fma_f32 v3, v174, v60, -v3
	v_fmac_f32_e32 v24, v177, v62
	ds_read2_b64 v[182:185], v1 offset0:97 offset1:98
	ds_read2_b64 v[186:189], v1 offset0:99 offset1:100
	v_add_f32_e32 v2, v2, v3
	v_mul_f32_e32 v3, v177, v63
	v_add_f32_e32 v23, v23, v24
	s_waitcnt vmcnt(48) lgkmcnt(2)
	v_mul_f32_e32 v24, v178, v65
	v_fma_f32 v3, v176, v62, -v3
	v_fmac_f32_e32 v24, v179, v64
	v_add_f32_e32 v2, v2, v3
	v_mul_f32_e32 v3, v179, v65
	v_add_f32_e32 v23, v23, v24
	s_waitcnt vmcnt(46)
	v_mul_f32_e32 v24, v180, v67
	v_fma_f32 v3, v178, v64, -v3
	v_fmac_f32_e32 v24, v181, v66
	v_add_f32_e32 v2, v2, v3
	v_mul_f32_e32 v3, v181, v67
	v_add_f32_e32 v23, v23, v24
	s_waitcnt vmcnt(44) lgkmcnt(1)
	v_mul_f32_e32 v24, v182, v69
	v_fma_f32 v3, v180, v66, -v3
	v_fmac_f32_e32 v24, v183, v68
	v_add_f32_e32 v2, v2, v3
	v_mul_f32_e32 v3, v183, v69
	v_add_f32_e32 v23, v23, v24
	s_waitcnt vmcnt(43)
	v_mul_f32_e32 v24, v184, v70
	v_fma_f32 v3, v182, v68, -v3
	s_waitcnt vmcnt(40)
	v_fmac_f32_e32 v24, v185, v73
	ds_read2_b64 v[190:193], v1 offset0:101 offset1:102
	ds_read2_b64 v[194:197], v1 offset0:103 offset1:104
	v_add_f32_e32 v2, v2, v3
	v_mul_f32_e32 v3, v185, v70
	v_add_f32_e32 v23, v23, v24
	s_waitcnt lgkmcnt(2)
	v_mul_f32_e32 v24, v186, v72
	v_fma_f32 v3, v184, v73, -v3
	v_fmac_f32_e32 v24, v187, v71
	v_add_f32_e32 v2, v2, v3
	v_mul_f32_e32 v3, v187, v72
	v_add_f32_e32 v23, v23, v24
	s_waitcnt vmcnt(38)
	v_mul_f32_e32 v24, v188, v75
	v_fma_f32 v3, v186, v71, -v3
	v_fmac_f32_e32 v24, v189, v74
	v_add_f32_e32 v2, v2, v3
	v_mul_f32_e32 v3, v189, v75
	v_add_f32_e32 v23, v23, v24
	s_waitcnt vmcnt(36) lgkmcnt(1)
	v_mul_f32_e32 v24, v190, v77
	v_fma_f32 v3, v188, v74, -v3
	v_fmac_f32_e32 v24, v191, v76
	v_add_f32_e32 v2, v2, v3
	v_mul_f32_e32 v3, v191, v77
	v_add_f32_e32 v23, v23, v24
	s_waitcnt vmcnt(35)
	v_mul_f32_e32 v24, v192, v78
	v_fma_f32 v3, v190, v76, -v3
	s_waitcnt vmcnt(32)
	v_fmac_f32_e32 v24, v193, v81
	ds_read2_b64 v[198:201], v1 offset0:105 offset1:106
	ds_read2_b64 v[202:205], v1 offset0:107 offset1:108
	v_add_f32_e32 v2, v2, v3
	v_mul_f32_e32 v3, v193, v78
	v_add_f32_e32 v23, v23, v24
	s_waitcnt lgkmcnt(2)
	;; [unrolled: 31-line block ×4, first 2 shown]
	v_mul_f32_e32 v24, v210, v239
	v_fma_f32 v3, v208, v240, -v3
	v_fmac_f32_e32 v24, v211, v238
	v_add_f32_e32 v2, v2, v3
	v_mul_f32_e32 v3, v211, v239
	v_add_f32_e32 v23, v23, v24
	s_waitcnt vmcnt(14)
	v_mul_f32_e32 v24, v212, v242
	v_fma_f32 v3, v210, v238, -v3
	v_fmac_f32_e32 v24, v213, v241
	v_add_f32_e32 v2, v2, v3
	v_mul_f32_e32 v3, v213, v242
	v_add_f32_e32 v23, v23, v24
	s_waitcnt vmcnt(12) lgkmcnt(1)
	v_mul_f32_e32 v24, v214, v244
	v_fma_f32 v3, v212, v241, -v3
	v_fmac_f32_e32 v24, v215, v243
	v_add_f32_e32 v2, v2, v3
	v_mul_f32_e32 v3, v215, v244
	v_add_f32_e32 v23, v23, v24
	s_waitcnt vmcnt(11)
	v_mul_f32_e32 v24, v216, v245
	v_fma_f32 v3, v214, v243, -v3
	s_waitcnt vmcnt(8)
	v_fmac_f32_e32 v24, v217, v248
	v_add_f32_e32 v2, v2, v3
	v_mul_f32_e32 v3, v217, v245
	v_add_f32_e32 v23, v23, v24
	s_waitcnt lgkmcnt(0)
	v_mul_f32_e32 v24, v218, v247
	ds_read2_b64 v[222:225], v1 offset0:117 offset1:118
	v_fma_f32 v3, v216, v248, -v3
	v_fmac_f32_e32 v24, v219, v246
	v_add_f32_e32 v2, v2, v3
	v_mul_f32_e32 v3, v219, v247
	v_add_f32_e32 v23, v23, v24
	s_waitcnt vmcnt(6)
	v_mul_f32_e32 v24, v220, v250
	v_fma_f32 v3, v218, v246, -v3
	v_fmac_f32_e32 v24, v221, v249
	v_add_f32_e32 v2, v2, v3
	v_mul_f32_e32 v3, v221, v250
	v_add_f32_e32 v84, v23, v24
	ds_read_b64 v[23:24], v1 offset:952
	v_fma_f32 v3, v220, v249, -v3
	v_add_f32_e32 v2, v2, v3
	s_waitcnt vmcnt(4) lgkmcnt(1)
	v_mul_f32_e32 v3, v223, v252
	v_mul_f32_e32 v85, v222, v252
	v_fma_f32 v3, v222, v251, -v3
	v_fmac_f32_e32 v85, v223, v251
	v_add_f32_e32 v2, v2, v3
	s_waitcnt vmcnt(3)
	v_mul_f32_e32 v3, v225, v253
	v_add_f32_e32 v84, v84, v85
	v_mul_f32_e32 v85, v224, v253
	s_waitcnt vmcnt(0)
	v_fma_f32 v3, v224, v83, -v3
	v_fmac_f32_e32 v85, v225, v83
	v_add_f32_e32 v2, v2, v3
	s_waitcnt lgkmcnt(0)
	v_mul_f32_e32 v3, v24, v255
	v_add_f32_e32 v84, v84, v85
	v_mul_f32_e32 v85, v23, v255
	v_fma_f32 v3, v23, v254, -v3
	v_fmac_f32_e32 v85, v24, v254
	v_add_f32_e32 v2, v2, v3
	v_add_f32_e32 v84, v84, v85
	v_sub_f32_e32 v2, v9, v2
	v_sub_f32_e32 v3, v10, v84
	buffer_store_dword v2, off, s[0:3], 0 offset:96
	buffer_store_dword v3, off, s[0:3], 0 offset:100
	s_and_saveexec_b64 s[4:5], vcc
	s_cbranch_execz .LBB123_351
; %bb.350:
	buffer_load_dword v2, off, s[0:3], 0 offset:88
	buffer_load_dword v3, off, s[0:3], 0 offset:92
	s_waitcnt vmcnt(0)
	ds_write_b64 v145, v[2:3]
	buffer_store_dword v1, off, s[0:3], 0 offset:88
	buffer_store_dword v1, off, s[0:3], 0 offset:92
.LBB123_351:
	s_or_b64 exec, exec, s[4:5]
	s_waitcnt lgkmcnt(0)
	; wave barrier
	buffer_load_dword v8, off, s[0:3], 0 offset:100
	buffer_load_dword v7, off, s[0:3], 0 offset:108
	;; [unrolled: 1-line block ×40, first 2 shown]
	ds_read_b128 v[160:163], v1 offset:576
	ds_read_b128 v[164:167], v1 offset:592
	;; [unrolled: 1-line block ×7, first 2 shown]
	buffer_load_dword v30, off, s[0:3], 0 offset:248
	buffer_load_dword v31, off, s[0:3], 0 offset:252
	;; [unrolled: 1-line block ×8, first 2 shown]
	v_cmp_lt_u32_e32 vcc, 10, v0
	s_waitcnt vmcnt(47) lgkmcnt(6)
	v_mul_f32_e32 v38, v160, v8
	s_waitcnt vmcnt(46)
	v_mul_f32_e32 v39, v162, v7
	s_waitcnt vmcnt(45) lgkmcnt(5)
	v_mul_f32_e32 v40, v164, v6
	s_waitcnt vmcnt(44)
	v_mul_f32_e32 v41, v166, v5
	;; [unrolled: 4-line block ×6, first 2 shown]
	s_waitcnt vmcnt(35)
	v_fmac_f32_e32 v40, v165, v21
	s_waitcnt vmcnt(34)
	v_fmac_f32_e32 v39, v163, v24
	s_waitcnt vmcnt(33)
	v_fmac_f32_e32 v38, v161, v148
	v_add_f32_e32 v38, 0, v38
	v_add_f32_e32 v38, v38, v39
	;; [unrolled: 1-line block ×3, first 2 shown]
	buffer_load_dword v39, off, s[0:3], 0 offset:280
	buffer_load_dword v40, off, s[0:3], 0 offset:284
	s_waitcnt vmcnt(31)
	v_fmac_f32_e32 v41, v167, v147
	v_fmac_f32_e32 v42, v169, v23
	v_add_f32_e32 v38, v38, v41
	v_fmac_f32_e32 v43, v171, v20
	v_add_f32_e32 v38, v38, v42
	;; [unrolled: 2-line block ×3, first 2 shown]
	s_waitcnt vmcnt(27)
	v_fmac_f32_e32 v45, v175, v22
	v_add_f32_e32 v38, v38, v44
	v_fmac_f32_e32 v46, v177, v19
	v_add_f32_e32 v38, v38, v45
	;; [unrolled: 2-line block ×4, first 2 shown]
	ds_read_b128 v[188:191], v1 offset:688
	s_waitcnt vmcnt(23)
	v_fmac_f32_e32 v49, v183, v155
	v_add_f32_e32 v38, v38, v48
	s_waitcnt vmcnt(22) lgkmcnt(1)
	v_mul_f32_e32 v41, v184, v154
	v_add_f32_e32 v38, v38, v49
	v_fmac_f32_e32 v41, v185, v151
	v_add_f32_e32 v38, v38, v41
	s_waitcnt vmcnt(21)
	v_mul_f32_e32 v41, v186, v152
	v_fmac_f32_e32 v41, v187, v149
	v_add_f32_e32 v38, v38, v41
	s_waitcnt vmcnt(20) lgkmcnt(0)
	v_mul_f32_e32 v41, v188, v150
	v_fmac_f32_e32 v41, v189, v146
	v_add_f32_e32 v38, v38, v41
	buffer_load_dword v41, off, s[0:3], 0 offset:288
	buffer_load_dword v42, off, s[0:3], 0 offset:292
	;; [unrolled: 1-line block ×6, first 2 shown]
	s_waitcnt vmcnt(25)
	v_mul_f32_e32 v47, v190, v153
	s_waitcnt vmcnt(18)
	v_fmac_f32_e32 v47, v191, v29
	ds_read_b128 v[192:195], v1 offset:704
	v_add_f32_e32 v38, v38, v47
	buffer_load_dword v47, off, s[0:3], 0 offset:312
	buffer_load_dword v48, off, s[0:3], 0 offset:316
	ds_read_b128 v[196:199], v1 offset:720
	buffer_load_dword v50, off, s[0:3], 0 offset:320
	buffer_load_dword v51, off, s[0:3], 0 offset:324
	;; [unrolled: 1-line block ×14, first 2 shown]
	s_waitcnt lgkmcnt(1)
	v_mul_f32_e32 v49, v192, v157
	v_fmac_f32_e32 v49, v193, v156
	v_add_f32_e32 v38, v38, v49
	v_mul_f32_e32 v49, v194, v159
	buffer_load_dword v64, off, s[0:3], 0 offset:376
	buffer_load_dword v65, off, s[0:3], 0 offset:380
	v_fmac_f32_e32 v49, v195, v158
	v_add_f32_e32 v38, v38, v49
	s_waitcnt lgkmcnt(0)
	v_mul_f32_e32 v49, v196, v28
	v_fmac_f32_e32 v49, v197, v27
	v_add_f32_e32 v38, v38, v49
	s_waitcnt vmcnt(32)
	v_mul_f32_e32 v49, v198, v31
	ds_read_b128 v[200:203], v1 offset:736
	v_fmac_f32_e32 v49, v199, v30
	v_add_f32_e32 v38, v38, v49
	buffer_load_dword v49, off, s[0:3], 0 offset:384
	buffer_load_dword v66, off, s[0:3], 0 offset:388
	buffer_load_dword v67, off, s[0:3], 0 offset:396
	buffer_load_dword v68, off, s[0:3], 0 offset:400
	buffer_load_dword v69, off, s[0:3], 0 offset:404
	buffer_load_dword v70, off, s[0:3], 0 offset:392
	ds_read_b128 v[204:207], v1 offset:752
	s_waitcnt vmcnt(36) lgkmcnt(1)
	v_mul_f32_e32 v71, v200, v33
	v_fmac_f32_e32 v71, v201, v32
	v_add_f32_e32 v38, v38, v71
	buffer_load_dword v71, off, s[0:3], 0 offset:408
	buffer_load_dword v72, off, s[0:3], 0 offset:412
	;; [unrolled: 1-line block ×8, first 2 shown]
	s_waitcnt vmcnt(42)
	v_mul_f32_e32 v73, v202, v35
	v_fmac_f32_e32 v73, v203, v34
	v_add_f32_e32 v38, v38, v73
	s_waitcnt vmcnt(40) lgkmcnt(0)
	v_mul_f32_e32 v73, v204, v37
	v_fmac_f32_e32 v73, v205, v36
	v_add_f32_e32 v38, v38, v73
	buffer_load_dword v73, off, s[0:3], 0 offset:440
	buffer_load_dword v80, off, s[0:3], 0 offset:444
	v_mul_f32_e32 v8, v161, v8
	v_fma_f32 v8, v160, v148, -v8
	v_mul_f32_e32 v7, v163, v7
	v_add_f32_e32 v8, 0, v8
	v_fma_f32 v7, v162, v24, -v7
	v_mul_f32_e32 v6, v165, v6
	v_add_f32_e32 v7, v8, v7
	v_fma_f32 v6, v164, v21, -v6
	v_mul_f32_e32 v5, v167, v5
	v_add_f32_e32 v6, v7, v6
	v_fma_f32 v5, v166, v147, -v5
	v_mul_f32_e32 v4, v169, v4
	buffer_load_dword v82, off, s[0:3], 0 offset:448
	buffer_load_dword v83, off, s[0:3], 0 offset:452
	;; [unrolled: 1-line block ×6, first 2 shown]
	v_add_f32_e32 v5, v6, v5
	v_fma_f32 v4, v168, v23, -v4
	v_mul_f32_e32 v3, v171, v3
	s_waitcnt vmcnt(46)
	v_mul_f32_e32 v81, v206, v40
	v_add_f32_e32 v4, v5, v4
	v_fma_f32 v3, v170, v20, -v3
	v_mul_f32_e32 v2, v173, v2
	v_fmac_f32_e32 v81, v207, v39
	v_add_f32_e32 v3, v4, v3
	v_fma_f32 v2, v172, v18, -v2
	ds_read_b128 v[208:211], v1 offset:768
	ds_read_b128 v[212:215], v1 offset:784
	v_add_f32_e32 v38, v38, v81
	buffer_load_dword v81, off, s[0:3], 0 offset:472
	buffer_load_dword v88, off, s[0:3], 0 offset:476
	v_add_f32_e32 v2, v3, v2
	v_mul_f32_e32 v3, v175, v11
	v_fma_f32 v3, v174, v22, -v3
	v_add_f32_e32 v2, v2, v3
	v_mul_f32_e32 v3, v177, v12
	v_fma_f32 v3, v176, v19, -v3
	;; [unrolled: 3-line block ×9, first 2 shown]
	v_add_f32_e32 v2, v2, v3
	v_mul_f32_e32 v3, v193, v157
	s_waitcnt vmcnt(46) lgkmcnt(1)
	v_mul_f32_e32 v216, v208, v42
	v_fma_f32 v3, v192, v156, -v3
	v_fmac_f32_e32 v216, v209, v41
	v_add_f32_e32 v2, v2, v3
	v_mul_f32_e32 v3, v195, v159
	v_add_f32_e32 v38, v38, v216
	s_waitcnt vmcnt(45)
	v_mul_f32_e32 v216, v210, v43
	v_fma_f32 v3, v194, v158, -v3
	s_waitcnt vmcnt(42)
	v_fmac_f32_e32 v216, v211, v46
	v_add_f32_e32 v2, v2, v3
	v_mul_f32_e32 v3, v197, v28
	v_add_f32_e32 v38, v38, v216
	s_waitcnt lgkmcnt(0)
	v_mul_f32_e32 v216, v212, v45
	v_fma_f32 v3, v196, v27, -v3
	v_fmac_f32_e32 v216, v213, v44
	v_add_f32_e32 v2, v2, v3
	v_mul_f32_e32 v3, v199, v31
	v_add_f32_e32 v38, v38, v216
	ds_read_b128 v[216:219], v1 offset:800
	v_fma_f32 v3, v198, v30, -v3
	v_add_f32_e32 v2, v2, v3
	v_mul_f32_e32 v3, v201, v33
	s_waitcnt vmcnt(40)
	v_mul_f32_e32 v220, v214, v48
	v_fma_f32 v3, v200, v32, -v3
	v_fmac_f32_e32 v220, v215, v47
	v_add_f32_e32 v2, v2, v3
	v_mul_f32_e32 v3, v203, v35
	v_add_f32_e32 v38, v38, v220
	ds_read_b128 v[220:223], v1 offset:816
	v_fma_f32 v3, v202, v34, -v3
	s_waitcnt vmcnt(38) lgkmcnt(1)
	v_mul_f32_e32 v224, v216, v51
	v_add_f32_e32 v2, v2, v3
	v_mul_f32_e32 v3, v205, v37
	v_fmac_f32_e32 v224, v217, v50
	v_fma_f32 v3, v204, v36, -v3
	v_add_f32_e32 v38, v38, v224
	s_waitcnt vmcnt(37)
	v_mul_f32_e32 v224, v218, v52
	v_add_f32_e32 v2, v2, v3
	v_mul_f32_e32 v3, v207, v40
	s_waitcnt vmcnt(34)
	v_fmac_f32_e32 v224, v219, v55
	v_fma_f32 v3, v206, v39, -v3
	v_add_f32_e32 v38, v38, v224
	s_waitcnt lgkmcnt(0)
	v_mul_f32_e32 v224, v220, v54
	v_add_f32_e32 v2, v2, v3
	v_mul_f32_e32 v3, v209, v42
	v_fmac_f32_e32 v224, v221, v53
	v_fma_f32 v3, v208, v41, -v3
	v_add_f32_e32 v38, v38, v224
	ds_read_b128 v[224:227], v1 offset:832
	v_add_f32_e32 v2, v2, v3
	v_mul_f32_e32 v3, v211, v43
	v_fma_f32 v3, v210, v46, -v3
	s_waitcnt vmcnt(32)
	v_mul_f32_e32 v228, v222, v57
	v_add_f32_e32 v2, v2, v3
	v_mul_f32_e32 v3, v213, v45
	v_fmac_f32_e32 v228, v223, v56
	v_fma_f32 v3, v212, v44, -v3
	v_add_f32_e32 v38, v38, v228
	ds_read_b128 v[228:231], v1 offset:848
	v_add_f32_e32 v2, v2, v3
	v_mul_f32_e32 v3, v215, v48
	s_waitcnt vmcnt(30) lgkmcnt(1)
	v_mul_f32_e32 v232, v224, v59
	v_fma_f32 v3, v214, v47, -v3
	v_fmac_f32_e32 v232, v225, v58
	v_add_f32_e32 v2, v2, v3
	v_mul_f32_e32 v3, v217, v51
	v_add_f32_e32 v38, v38, v232
	s_waitcnt vmcnt(29)
	v_mul_f32_e32 v232, v226, v60
	v_fma_f32 v3, v216, v50, -v3
	s_waitcnt vmcnt(26)
	v_fmac_f32_e32 v232, v227, v63
	v_add_f32_e32 v2, v2, v3
	v_mul_f32_e32 v3, v219, v52
	v_add_f32_e32 v38, v38, v232
	s_waitcnt lgkmcnt(0)
	v_mul_f32_e32 v232, v228, v62
	v_fma_f32 v3, v218, v55, -v3
	v_fmac_f32_e32 v232, v229, v61
	v_add_f32_e32 v2, v2, v3
	v_mul_f32_e32 v3, v221, v54
	v_add_f32_e32 v38, v38, v232
	ds_read_b128 v[232:235], v1 offset:864
	v_fma_f32 v3, v220, v53, -v3
	v_add_f32_e32 v2, v2, v3
	v_mul_f32_e32 v3, v223, v57
	s_waitcnt vmcnt(24)
	v_mul_f32_e32 v236, v230, v65
	v_fma_f32 v3, v222, v56, -v3
	v_fmac_f32_e32 v236, v231, v64
	v_add_f32_e32 v2, v2, v3
	v_mul_f32_e32 v3, v225, v59
	v_add_f32_e32 v38, v38, v236
	ds_read_b128 v[236:239], v1 offset:880
	v_fma_f32 v3, v224, v58, -v3
	s_waitcnt vmcnt(22) lgkmcnt(1)
	v_mul_f32_e32 v240, v232, v66
	v_add_f32_e32 v2, v2, v3
	v_mul_f32_e32 v3, v227, v60
	v_fmac_f32_e32 v240, v233, v49
	v_fma_f32 v3, v226, v63, -v3
	v_add_f32_e32 v38, v38, v240
	s_waitcnt vmcnt(21)
	v_mul_f32_e32 v240, v234, v67
	v_add_f32_e32 v2, v2, v3
	v_mul_f32_e32 v3, v229, v62
	s_waitcnt vmcnt(18)
	v_fmac_f32_e32 v240, v235, v70
	v_fma_f32 v3, v228, v61, -v3
	v_add_f32_e32 v38, v38, v240
	s_waitcnt lgkmcnt(0)
	v_mul_f32_e32 v240, v236, v69
	v_add_f32_e32 v2, v2, v3
	v_mul_f32_e32 v3, v231, v65
	v_fmac_f32_e32 v240, v237, v68
	v_fma_f32 v3, v230, v64, -v3
	v_add_f32_e32 v38, v38, v240
	ds_read_b128 v[240:243], v1 offset:896
	v_add_f32_e32 v2, v2, v3
	v_mul_f32_e32 v3, v233, v66
	v_fma_f32 v3, v232, v49, -v3
	s_waitcnt vmcnt(16)
	v_mul_f32_e32 v244, v238, v72
	v_add_f32_e32 v2, v2, v3
	v_mul_f32_e32 v3, v235, v67
	v_fmac_f32_e32 v244, v239, v71
	v_fma_f32 v3, v234, v70, -v3
	v_add_f32_e32 v38, v38, v244
	ds_read_b128 v[244:247], v1 offset:912
	v_add_f32_e32 v2, v2, v3
	v_mul_f32_e32 v3, v237, v69
	s_waitcnt vmcnt(14) lgkmcnt(1)
	v_mul_f32_e32 v248, v240, v75
	v_fma_f32 v3, v236, v68, -v3
	v_fmac_f32_e32 v248, v241, v74
	v_add_f32_e32 v2, v2, v3
	v_mul_f32_e32 v3, v239, v72
	v_add_f32_e32 v38, v38, v248
	s_waitcnt vmcnt(13)
	v_mul_f32_e32 v248, v242, v76
	v_fma_f32 v3, v238, v71, -v3
	s_waitcnt vmcnt(10)
	v_fmac_f32_e32 v248, v243, v79
	v_add_f32_e32 v2, v2, v3
	v_mul_f32_e32 v3, v241, v75
	v_add_f32_e32 v38, v38, v248
	s_waitcnt lgkmcnt(0)
	v_mul_f32_e32 v248, v244, v78
	v_fma_f32 v3, v240, v74, -v3
	v_fmac_f32_e32 v248, v245, v77
	v_add_f32_e32 v2, v2, v3
	v_mul_f32_e32 v3, v243, v76
	v_add_f32_e32 v38, v38, v248
	ds_read_b128 v[248:251], v1 offset:928
	v_fma_f32 v3, v242, v79, -v3
	v_add_f32_e32 v2, v2, v3
	v_mul_f32_e32 v3, v245, v78
	s_waitcnt vmcnt(8)
	v_mul_f32_e32 v252, v246, v80
	v_fma_f32 v3, v244, v77, -v3
	v_fmac_f32_e32 v252, v247, v73
	v_add_f32_e32 v2, v2, v3
	v_mul_f32_e32 v3, v247, v80
	v_add_f32_e32 v38, v38, v252
	ds_read_b128 v[252:255], v1 offset:944
	v_fma_f32 v3, v246, v73, -v3
	v_add_f32_e32 v2, v2, v3
	s_waitcnt vmcnt(6) lgkmcnt(1)
	v_mul_f32_e32 v3, v249, v83
	v_mul_f32_e32 v1, v248, v83
	v_fma_f32 v3, v248, v82, -v3
	v_fmac_f32_e32 v1, v249, v82
	v_add_f32_e32 v2, v2, v3
	s_waitcnt vmcnt(5)
	v_mul_f32_e32 v3, v251, v84
	v_add_f32_e32 v1, v38, v1
	v_mul_f32_e32 v38, v250, v84
	s_waitcnt vmcnt(2)
	v_fma_f32 v3, v250, v87, -v3
	v_fmac_f32_e32 v38, v251, v87
	v_add_f32_e32 v2, v2, v3
	s_waitcnt lgkmcnt(0)
	v_mul_f32_e32 v3, v253, v86
	v_add_f32_e32 v1, v1, v38
	v_mul_f32_e32 v38, v252, v86
	v_fma_f32 v3, v252, v85, -v3
	v_fmac_f32_e32 v38, v253, v85
	v_add_f32_e32 v2, v2, v3
	s_waitcnt vmcnt(0)
	v_mul_f32_e32 v3, v255, v88
	v_add_f32_e32 v1, v1, v38
	v_mul_f32_e32 v38, v254, v88
	v_fma_f32 v3, v254, v81, -v3
	v_fmac_f32_e32 v38, v255, v81
	v_add_f32_e32 v2, v2, v3
	v_add_f32_e32 v1, v1, v38
	v_sub_f32_e32 v2, v9, v2
	v_sub_f32_e32 v1, v10, v1
	buffer_store_dword v2, off, s[0:3], 0 offset:88
	buffer_store_dword v1, off, s[0:3], 0 offset:92
	s_and_saveexec_b64 s[4:5], vcc
	s_cbranch_execz .LBB123_353
; %bb.352:
	buffer_load_dword v1, off, s[0:3], 0 offset:80
	buffer_load_dword v2, off, s[0:3], 0 offset:84
	v_mov_b32_e32 v3, 0
	buffer_store_dword v3, off, s[0:3], 0 offset:80
	buffer_store_dword v3, off, s[0:3], 0 offset:84
	s_waitcnt vmcnt(2)
	ds_write_b64 v145, v[1:2]
.LBB123_353:
	s_or_b64 exec, exec, s[4:5]
	s_waitcnt lgkmcnt(0)
	; wave barrier
	buffer_load_dword v8, off, s[0:3], 0 offset:92
	buffer_load_dword v7, off, s[0:3], 0 offset:100
	;; [unrolled: 1-line block ×40, first 2 shown]
	v_mov_b32_e32 v1, 0
	buffer_load_dword v54, off, s[0:3], 0 offset:240
	buffer_load_dword v55, off, s[0:3], 0 offset:244
	;; [unrolled: 1-line block ×10, first 2 shown]
	ds_read2_b64 v[15:18], v1 offset0:71 offset1:72
	ds_read2_b64 v[19:22], v1 offset0:73 offset1:74
	;; [unrolled: 1-line block ×8, first 2 shown]
	v_cmp_lt_u32_e32 vcc, 9, v0
	s_waitcnt vmcnt(49) lgkmcnt(7)
	v_mul_f32_e32 v23, v15, v8
	s_waitcnt vmcnt(48)
	v_mul_f32_e32 v24, v17, v7
	s_waitcnt vmcnt(47) lgkmcnt(6)
	v_mul_f32_e32 v64, v19, v6
	s_waitcnt vmcnt(46)
	v_mul_f32_e32 v65, v21, v5
	;; [unrolled: 4-line block ×5, first 2 shown]
	s_waitcnt vmcnt(39) lgkmcnt(2)
	v_mul_f32_e32 v72, v158, v14
	s_waitcnt vmcnt(38)
	v_fmac_f32_e32 v64, v20, v27
	s_waitcnt vmcnt(37)
	v_fmac_f32_e32 v24, v18, v28
	;; [unrolled: 2-line block ×3, first 2 shown]
	v_add_f32_e32 v23, 0, v23
	v_add_f32_e32 v23, v23, v24
	;; [unrolled: 1-line block ×3, first 2 shown]
	s_waitcnt vmcnt(32)
	v_fmac_f32_e32 v65, v22, v33
	v_fmac_f32_e32 v66, v147, v32
	v_add_f32_e32 v23, v23, v65
	v_fmac_f32_e32 v67, v149, v31
	v_add_f32_e32 v23, v23, v66
	buffer_load_dword v64, off, s[0:3], 0 offset:280
	buffer_load_dword v65, off, s[0:3], 0 offset:284
	v_fmac_f32_e32 v68, v151, v30
	v_add_f32_e32 v23, v23, v67
	s_waitcnt vmcnt(30)
	v_fmac_f32_e32 v69, v153, v37
	v_add_f32_e32 v23, v23, v68
	v_add_f32_e32 v23, v23, v69
	ds_read2_b64 v[170:173], v1 offset0:87 offset1:88
	buffer_load_dword v66, off, s[0:3], 0 offset:292
	buffer_load_dword v67, off, s[0:3], 0 offset:296
	;; [unrolled: 1-line block ×4, first 2 shown]
	v_fmac_f32_e32 v70, v155, v36
	v_fmac_f32_e32 v71, v157, v35
	v_add_f32_e32 v23, v23, v70
	v_add_f32_e32 v23, v23, v71
	ds_read2_b64 v[174:177], v1 offset0:89 offset1:90
	buffer_load_dword v70, off, s[0:3], 0 offset:304
	buffer_load_dword v71, off, s[0:3], 0 offset:308
	v_fmac_f32_e32 v72, v159, v34
	v_add_f32_e32 v23, v23, v72
	buffer_load_dword v72, off, s[0:3], 0 offset:312
	buffer_load_dword v73, off, s[0:3], 0 offset:316
	;; [unrolled: 1-line block ×14, first 2 shown]
	ds_read2_b64 v[178:181], v1 offset0:91 offset1:92
	buffer_load_dword v86, off, s[0:3], 0 offset:368
	buffer_load_dword v87, off, s[0:3], 0 offset:372
	ds_read2_b64 v[182:185], v1 offset0:93 offset1:94
	buffer_load_dword v88, off, s[0:3], 0 offset:376
	buffer_load_dword v234, off, s[0:3], 0 offset:380
	;; [unrolled: 1-line block ×16, first 2 shown]
	v_mul_f32_e32 v8, v16, v8
	v_fma_f32 v8, v15, v29, -v8
	v_mul_f32_e32 v7, v18, v7
	v_add_f32_e32 v8, 0, v8
	v_fma_f32 v7, v17, v28, -v7
	v_mul_f32_e32 v6, v20, v6
	v_add_f32_e32 v7, v8, v7
	v_fma_f32 v6, v19, v27, -v6
	v_mul_f32_e32 v5, v22, v5
	ds_read2_b64 v[186:189], v1 offset0:95 offset1:96
	buffer_load_dword v249, off, s[0:3], 0 offset:440
	buffer_load_dword v250, off, s[0:3], 0 offset:444
	;; [unrolled: 1-line block ×6, first 2 shown]
	v_add_f32_e32 v6, v7, v6
	v_fma_f32 v5, v21, v33, -v5
	v_mul_f32_e32 v4, v147, v4
	v_add_f32_e32 v5, v6, v5
	v_fma_f32 v4, v146, v32, -v4
	v_mul_f32_e32 v3, v149, v3
	v_add_f32_e32 v4, v5, v4
	v_fma_f32 v3, v148, v31, -v3
	v_mul_f32_e32 v2, v151, v2
	v_add_f32_e32 v3, v4, v3
	v_fma_f32 v2, v150, v30, -v2
	v_add_f32_e32 v2, v3, v2
	v_mul_f32_e32 v3, v153, v11
	ds_read2_b64 v[190:193], v1 offset0:97 offset1:98
	buffer_load_dword v255, off, s[0:3], 0 offset:468
	buffer_load_dword v89, off, s[0:3], 0 offset:472
	;; [unrolled: 1-line block ×4, first 2 shown]
	v_fma_f32 v3, v152, v37, -v3
	v_add_f32_e32 v2, v2, v3
	v_mul_f32_e32 v3, v155, v12
	v_fma_f32 v3, v154, v36, -v3
	v_add_f32_e32 v2, v2, v3
	v_mul_f32_e32 v3, v157, v13
	;; [unrolled: 3-line block ×3, first 2 shown]
	s_waitcnt vmcnt(62)
	v_mul_f32_e32 v24, v160, v38
	v_fma_f32 v3, v158, v34, -v3
	v_fmac_f32_e32 v24, v161, v42
	v_add_f32_e32 v2, v2, v3
	v_mul_f32_e32 v3, v161, v38
	v_add_f32_e32 v23, v23, v24
	s_waitcnt lgkmcnt(7)
	v_mul_f32_e32 v24, v162, v43
	v_fma_f32 v3, v160, v42, -v3
	v_fmac_f32_e32 v24, v163, v41
	v_add_f32_e32 v2, v2, v3
	v_mul_f32_e32 v3, v163, v43
	v_add_f32_e32 v23, v23, v24
	v_mul_f32_e32 v24, v164, v44
	v_fma_f32 v3, v162, v41, -v3
	v_fmac_f32_e32 v24, v165, v40
	v_add_f32_e32 v2, v2, v3
	v_mul_f32_e32 v3, v165, v44
	v_add_f32_e32 v23, v23, v24
	s_waitcnt lgkmcnt(6)
	v_mul_f32_e32 v24, v166, v45
	v_fma_f32 v3, v164, v40, -v3
	v_fmac_f32_e32 v24, v167, v39
	v_add_f32_e32 v2, v2, v3
	v_mul_f32_e32 v3, v167, v45
	v_add_f32_e32 v23, v23, v24
	;; [unrolled: 13-line block ×4, first 2 shown]
	s_waitcnt vmcnt(58)
	v_mul_f32_e32 v24, v176, v55
	v_fma_f32 v3, v174, v49, -v3
	v_fmac_f32_e32 v24, v177, v54
	v_add_f32_e32 v2, v2, v3
	v_mul_f32_e32 v3, v177, v55
	v_add_f32_e32 v23, v23, v24
	s_waitcnt vmcnt(56) lgkmcnt(3)
	v_mul_f32_e32 v24, v178, v57
	v_fma_f32 v3, v176, v54, -v3
	v_fmac_f32_e32 v24, v179, v56
	v_add_f32_e32 v2, v2, v3
	v_mul_f32_e32 v3, v179, v57
	v_add_f32_e32 v23, v23, v24
	s_waitcnt vmcnt(54)
	v_mul_f32_e32 v24, v180, v59
	v_fma_f32 v3, v178, v56, -v3
	v_fmac_f32_e32 v24, v181, v58
	v_add_f32_e32 v2, v2, v3
	v_mul_f32_e32 v3, v181, v59
	v_add_f32_e32 v23, v23, v24
	s_waitcnt vmcnt(52) lgkmcnt(2)
	v_mul_f32_e32 v24, v182, v61
	v_fma_f32 v3, v180, v58, -v3
	v_fmac_f32_e32 v24, v183, v60
	v_add_f32_e32 v2, v2, v3
	v_mul_f32_e32 v3, v183, v61
	v_add_f32_e32 v23, v23, v24
	s_waitcnt vmcnt(50)
	v_mul_f32_e32 v24, v184, v63
	v_fma_f32 v3, v182, v60, -v3
	v_fmac_f32_e32 v24, v185, v62
	v_add_f32_e32 v2, v2, v3
	v_mul_f32_e32 v3, v185, v63
	v_add_f32_e32 v23, v23, v24
	s_waitcnt vmcnt(48) lgkmcnt(1)
	v_mul_f32_e32 v24, v186, v65
	v_fma_f32 v3, v184, v62, -v3
	v_fmac_f32_e32 v24, v187, v64
	v_add_f32_e32 v2, v2, v3
	v_mul_f32_e32 v3, v187, v65
	v_add_f32_e32 v23, v23, v24
	s_waitcnt vmcnt(47)
	v_mul_f32_e32 v24, v188, v66
	v_fma_f32 v3, v186, v64, -v3
	s_waitcnt vmcnt(44)
	v_fmac_f32_e32 v24, v189, v69
	ds_read2_b64 v[194:197], v1 offset0:99 offset1:100
	ds_read2_b64 v[198:201], v1 offset0:101 offset1:102
	v_add_f32_e32 v2, v2, v3
	v_mul_f32_e32 v3, v189, v66
	v_add_f32_e32 v23, v23, v24
	s_waitcnt lgkmcnt(2)
	v_mul_f32_e32 v24, v190, v68
	v_fma_f32 v3, v188, v69, -v3
	v_fmac_f32_e32 v24, v191, v67
	v_add_f32_e32 v2, v2, v3
	v_mul_f32_e32 v3, v191, v68
	v_add_f32_e32 v23, v23, v24
	s_waitcnt vmcnt(42)
	v_mul_f32_e32 v24, v192, v71
	v_fma_f32 v3, v190, v67, -v3
	v_fmac_f32_e32 v24, v193, v70
	v_add_f32_e32 v2, v2, v3
	v_mul_f32_e32 v3, v193, v71
	v_add_f32_e32 v23, v23, v24
	s_waitcnt vmcnt(40) lgkmcnt(1)
	v_mul_f32_e32 v24, v194, v73
	v_fma_f32 v3, v192, v70, -v3
	v_fmac_f32_e32 v24, v195, v72
	v_add_f32_e32 v2, v2, v3
	v_mul_f32_e32 v3, v195, v73
	v_add_f32_e32 v23, v23, v24
	s_waitcnt vmcnt(39)
	v_mul_f32_e32 v24, v196, v74
	v_fma_f32 v3, v194, v72, -v3
	s_waitcnt vmcnt(36)
	v_fmac_f32_e32 v24, v197, v77
	ds_read2_b64 v[202:205], v1 offset0:103 offset1:104
	ds_read2_b64 v[206:209], v1 offset0:105 offset1:106
	v_add_f32_e32 v2, v2, v3
	v_mul_f32_e32 v3, v197, v74
	v_add_f32_e32 v23, v23, v24
	s_waitcnt lgkmcnt(2)
	v_mul_f32_e32 v24, v198, v76
	v_fma_f32 v3, v196, v77, -v3
	v_fmac_f32_e32 v24, v199, v75
	v_add_f32_e32 v2, v2, v3
	v_mul_f32_e32 v3, v199, v76
	v_add_f32_e32 v23, v23, v24
	s_waitcnt vmcnt(34)
	v_mul_f32_e32 v24, v200, v79
	v_fma_f32 v3, v198, v75, -v3
	v_fmac_f32_e32 v24, v201, v78
	v_add_f32_e32 v2, v2, v3
	v_mul_f32_e32 v3, v201, v79
	v_add_f32_e32 v23, v23, v24
	s_waitcnt vmcnt(32) lgkmcnt(1)
	v_mul_f32_e32 v24, v202, v81
	v_fma_f32 v3, v200, v78, -v3
	v_fmac_f32_e32 v24, v203, v80
	v_add_f32_e32 v2, v2, v3
	v_mul_f32_e32 v3, v203, v81
	v_add_f32_e32 v23, v23, v24
	;; [unrolled: 31-line block ×5, first 2 shown]
	s_waitcnt vmcnt(7)
	v_mul_f32_e32 v24, v228, v251
	v_fma_f32 v3, v226, v249, -v3
	s_waitcnt vmcnt(4)
	v_fmac_f32_e32 v24, v229, v254
	v_add_f32_e32 v2, v2, v3
	v_mul_f32_e32 v3, v229, v251
	v_add_f32_e32 v92, v23, v24
	ds_read_b64 v[23:24], v1 offset:952
	v_fma_f32 v3, v228, v254, -v3
	v_add_f32_e32 v2, v2, v3
	s_waitcnt lgkmcnt(1)
	v_mul_f32_e32 v3, v231, v253
	v_mul_f32_e32 v93, v230, v253
	v_fma_f32 v3, v230, v252, -v3
	v_fmac_f32_e32 v93, v231, v252
	v_add_f32_e32 v2, v2, v3
	s_waitcnt vmcnt(3)
	v_mul_f32_e32 v3, v233, v255
	v_add_f32_e32 v92, v92, v93
	v_mul_f32_e32 v93, v232, v255
	s_waitcnt vmcnt(0)
	v_fma_f32 v3, v232, v91, -v3
	v_fmac_f32_e32 v93, v233, v91
	v_add_f32_e32 v2, v2, v3
	s_waitcnt lgkmcnt(0)
	v_mul_f32_e32 v3, v24, v90
	v_add_f32_e32 v92, v92, v93
	v_mul_f32_e32 v93, v23, v90
	v_fma_f32 v3, v23, v89, -v3
	v_fmac_f32_e32 v93, v24, v89
	v_add_f32_e32 v2, v2, v3
	v_add_f32_e32 v92, v92, v93
	v_sub_f32_e32 v2, v9, v2
	v_sub_f32_e32 v3, v10, v92
	buffer_store_dword v2, off, s[0:3], 0 offset:80
	buffer_store_dword v3, off, s[0:3], 0 offset:84
	s_and_saveexec_b64 s[4:5], vcc
	s_cbranch_execz .LBB123_355
; %bb.354:
	buffer_load_dword v2, off, s[0:3], 0 offset:72
	buffer_load_dword v3, off, s[0:3], 0 offset:76
	s_waitcnt vmcnt(0)
	ds_write_b64 v145, v[2:3]
	buffer_store_dword v1, off, s[0:3], 0 offset:72
	buffer_store_dword v1, off, s[0:3], 0 offset:76
.LBB123_355:
	s_or_b64 exec, exec, s[4:5]
	s_waitcnt lgkmcnt(0)
	; wave barrier
	buffer_load_dword v8, off, s[0:3], 0 offset:84
	buffer_load_dword v7, off, s[0:3], 0 offset:92
	;; [unrolled: 1-line block ×40, first 2 shown]
	ds_read_b128 v[16:19], v1 offset:560
	ds_read_b128 v[20:23], v1 offset:576
	;; [unrolled: 1-line block ×7, first 2 shown]
	buffer_load_dword v52, off, s[0:3], 0 offset:232
	buffer_load_dword v53, off, s[0:3], 0 offset:236
	;; [unrolled: 1-line block ×10, first 2 shown]
	ds_read_b128 v[166:169], v1 offset:672
	v_cmp_lt_u32_e32 vcc, 8, v0
	s_waitcnt vmcnt(49) lgkmcnt(7)
	v_mul_f32_e32 v62, v16, v8
	s_waitcnt vmcnt(48)
	v_mul_f32_e32 v63, v18, v7
	s_waitcnt vmcnt(47) lgkmcnt(6)
	v_mul_f32_e32 v64, v20, v6
	s_waitcnt vmcnt(46)
	v_mul_f32_e32 v65, v22, v5
	;; [unrolled: 4-line block ×6, first 2 shown]
	s_waitcnt vmcnt(37)
	v_fmac_f32_e32 v64, v21, v24
	s_waitcnt vmcnt(36)
	v_fmac_f32_e32 v63, v19, v27
	;; [unrolled: 2-line block ×3, first 2 shown]
	v_add_f32_e32 v62, 0, v62
	v_add_f32_e32 v62, v62, v63
	;; [unrolled: 1-line block ×3, first 2 shown]
	s_waitcnt vmcnt(31)
	v_fmac_f32_e32 v65, v23, v32
	v_fmac_f32_e32 v66, v147, v31
	v_add_f32_e32 v62, v62, v65
	v_fmac_f32_e32 v67, v149, v30
	v_add_f32_e32 v62, v62, v66
	;; [unrolled: 2-line block ×3, first 2 shown]
	s_waitcnt vmcnt(27)
	v_fmac_f32_e32 v69, v153, v36
	v_add_f32_e32 v62, v62, v68
	v_fmac_f32_e32 v70, v155, v35
	v_add_f32_e32 v62, v62, v69
	;; [unrolled: 2-line block ×4, first 2 shown]
	v_add_f32_e32 v62, v62, v72
	s_waitcnt vmcnt(23)
	v_fmac_f32_e32 v73, v161, v40
	s_waitcnt vmcnt(22) lgkmcnt(1)
	v_mul_f32_e32 v63, v162, v41
	v_add_f32_e32 v62, v62, v73
	v_fmac_f32_e32 v63, v163, v39
	buffer_load_dword v64, off, s[0:3], 0 offset:276
	v_add_f32_e32 v62, v62, v63
	s_waitcnt vmcnt(22)
	v_mul_f32_e32 v63, v164, v42
	v_fmac_f32_e32 v63, v165, v38
	buffer_load_dword v65, off, s[0:3], 0 offset:272
	buffer_load_dword v66, off, s[0:3], 0 offset:280
	;; [unrolled: 1-line block ×3, first 2 shown]
	ds_read_b128 v[170:173], v1 offset:688
	v_add_f32_e32 v62, v62, v63
	s_waitcnt vmcnt(24) lgkmcnt(1)
	v_mul_f32_e32 v63, v166, v43
	v_fmac_f32_e32 v63, v167, v37
	v_add_f32_e32 v62, v62, v63
	s_waitcnt vmcnt(23)
	v_mul_f32_e32 v63, v168, v44
	buffer_load_dword v68, off, s[0:3], 0 offset:288
	buffer_load_dword v69, off, s[0:3], 0 offset:292
	s_waitcnt vmcnt(19)
	v_fmac_f32_e32 v63, v169, v50
	v_add_f32_e32 v62, v62, v63
	s_waitcnt vmcnt(18) lgkmcnt(0)
	v_mul_f32_e32 v63, v170, v51
	v_fmac_f32_e32 v63, v171, v49
	ds_read_b128 v[174:177], v1 offset:704
	v_add_f32_e32 v62, v62, v63
	buffer_load_dword v63, off, s[0:3], 0 offset:296
	buffer_load_dword v70, off, s[0:3], 0 offset:300
	;; [unrolled: 1-line block ×8, first 2 shown]
	v_mul_f32_e32 v71, v172, v46
	v_fmac_f32_e32 v71, v173, v45
	v_add_f32_e32 v62, v62, v71
	s_waitcnt lgkmcnt(0)
	v_mul_f32_e32 v71, v174, v48
	v_fmac_f32_e32 v71, v175, v47
	v_add_f32_e32 v62, v62, v71
	buffer_load_dword v71, off, s[0:3], 0 offset:328
	buffer_load_dword v78, off, s[0:3], 0 offset:332
	ds_read_b128 v[178:181], v1 offset:720
	buffer_load_dword v80, off, s[0:3], 0 offset:336
	buffer_load_dword v81, off, s[0:3], 0 offset:340
	;; [unrolled: 1-line block ×6, first 2 shown]
	ds_read_b128 v[182:185], v1 offset:736
	buffer_load_dword v86, off, s[0:3], 0 offset:360
	buffer_load_dword v87, off, s[0:3], 0 offset:364
	s_waitcnt vmcnt(32)
	v_mul_f32_e32 v79, v176, v53
	v_fmac_f32_e32 v79, v177, v52
	v_add_f32_e32 v62, v62, v79
	s_waitcnt vmcnt(30) lgkmcnt(1)
	v_mul_f32_e32 v79, v178, v55
	v_fmac_f32_e32 v79, v179, v54
	v_add_f32_e32 v62, v62, v79
	buffer_load_dword v79, off, s[0:3], 0 offset:368
	buffer_load_dword v88, off, s[0:3], 0 offset:372
	;; [unrolled: 1-line block ×8, first 2 shown]
	s_waitcnt vmcnt(36)
	v_mul_f32_e32 v93, v180, v57
	v_fmac_f32_e32 v93, v181, v56
	v_add_f32_e32 v62, v62, v93
	s_waitcnt vmcnt(34) lgkmcnt(0)
	v_mul_f32_e32 v93, v182, v59
	v_fmac_f32_e32 v93, v183, v58
	v_add_f32_e32 v62, v62, v93
	buffer_load_dword v93, off, s[0:3], 0 offset:400
	buffer_load_dword v239, off, s[0:3], 0 offset:404
	;; [unrolled: 1-line block ×6, first 2 shown]
	ds_read_b128 v[186:189], v1 offset:752
	buffer_load_dword v244, off, s[0:3], 0 offset:424
	buffer_load_dword v245, off, s[0:3], 0 offset:428
	v_mul_f32_e32 v8, v17, v8
	v_fma_f32 v8, v16, v28, -v8
	v_mul_f32_e32 v7, v19, v7
	s_waitcnt vmcnt(40)
	v_mul_f32_e32 v190, v184, v61
	v_add_f32_e32 v8, 0, v8
	v_fma_f32 v7, v18, v27, -v7
	v_mul_f32_e32 v6, v21, v6
	v_fmac_f32_e32 v190, v185, v60
	v_add_f32_e32 v7, v8, v7
	v_fma_f32 v6, v20, v24, -v6
	v_mul_f32_e32 v5, v23, v5
	v_add_f32_e32 v62, v62, v190
	ds_read_b128 v[190:193], v1 offset:768
	buffer_load_dword v246, off, s[0:3], 0 offset:432
	buffer_load_dword v247, off, s[0:3], 0 offset:436
	;; [unrolled: 1-line block ×6, first 2 shown]
	v_add_f32_e32 v6, v7, v6
	v_fma_f32 v5, v22, v32, -v5
	v_mul_f32_e32 v4, v147, v4
	v_add_f32_e32 v5, v6, v5
	v_fma_f32 v4, v146, v31, -v4
	v_mul_f32_e32 v3, v149, v3
	;; [unrolled: 3-line block ×3, first 2 shown]
	v_add_f32_e32 v3, v4, v3
	v_fma_f32 v2, v150, v29, -v2
	v_add_f32_e32 v2, v3, v2
	v_mul_f32_e32 v3, v153, v11
	v_fma_f32 v3, v152, v36, -v3
	v_add_f32_e32 v2, v2, v3
	v_mul_f32_e32 v3, v155, v12
	buffer_load_dword v252, off, s[0:3], 0 offset:456
	buffer_load_dword v253, off, s[0:3], 0 offset:460
	;; [unrolled: 1-line block ×6, first 2 shown]
	v_fma_f32 v3, v154, v35, -v3
	v_add_f32_e32 v2, v2, v3
	v_mul_f32_e32 v3, v157, v13
	v_fma_f32 v3, v156, v34, -v3
	v_add_f32_e32 v2, v2, v3
	v_mul_f32_e32 v3, v159, v14
	v_fma_f32 v3, v158, v33, -v3
	v_add_f32_e32 v2, v2, v3
	v_mul_f32_e32 v3, v161, v15
	v_fma_f32 v3, v160, v40, -v3
	v_add_f32_e32 v2, v2, v3
	v_mul_f32_e32 v3, v163, v41
	v_fma_f32 v3, v162, v39, -v3
	v_add_f32_e32 v2, v2, v3
	v_mul_f32_e32 v3, v165, v42
	v_fma_f32 v3, v164, v38, -v3
	v_add_f32_e32 v2, v2, v3
	v_mul_f32_e32 v3, v167, v43
	v_fma_f32 v3, v166, v37, -v3
	v_add_f32_e32 v2, v2, v3
	v_mul_f32_e32 v3, v169, v44
	v_fma_f32 v3, v168, v50, -v3
	s_waitcnt vmcnt(51) lgkmcnt(1)
	v_mul_f32_e32 v194, v186, v64
	v_add_f32_e32 v2, v2, v3
	v_mul_f32_e32 v3, v171, v51
	s_waitcnt vmcnt(50)
	v_fmac_f32_e32 v194, v187, v65
	v_fma_f32 v3, v170, v49, -v3
	v_add_f32_e32 v62, v62, v194
	s_waitcnt vmcnt(48)
	v_mul_f32_e32 v194, v188, v67
	v_add_f32_e32 v2, v2, v3
	v_mul_f32_e32 v3, v173, v46
	v_fmac_f32_e32 v194, v189, v66
	v_fma_f32 v3, v172, v45, -v3
	v_add_f32_e32 v62, v62, v194
	s_waitcnt vmcnt(46) lgkmcnt(0)
	v_mul_f32_e32 v194, v190, v69
	v_add_f32_e32 v2, v2, v3
	v_mul_f32_e32 v3, v175, v48
	v_fmac_f32_e32 v194, v191, v68
	v_fma_f32 v3, v174, v47, -v3
	v_add_f32_e32 v62, v62, v194
	ds_read_b128 v[194:197], v1 offset:784
	v_add_f32_e32 v2, v2, v3
	v_mul_f32_e32 v3, v177, v53
	v_fma_f32 v3, v176, v52, -v3
	s_waitcnt vmcnt(44)
	v_mul_f32_e32 v198, v192, v70
	v_add_f32_e32 v2, v2, v3
	v_mul_f32_e32 v3, v179, v55
	v_fmac_f32_e32 v198, v193, v63
	v_fma_f32 v3, v178, v54, -v3
	v_add_f32_e32 v62, v62, v198
	ds_read_b128 v[198:201], v1 offset:800
	v_add_f32_e32 v2, v2, v3
	v_mul_f32_e32 v3, v181, v57
	s_waitcnt vmcnt(42) lgkmcnt(1)
	v_mul_f32_e32 v202, v194, v73
	v_fma_f32 v3, v180, v56, -v3
	v_fmac_f32_e32 v202, v195, v72
	v_add_f32_e32 v2, v2, v3
	v_mul_f32_e32 v3, v183, v59
	v_add_f32_e32 v62, v62, v202
	s_waitcnt vmcnt(41)
	v_mul_f32_e32 v202, v196, v74
	v_fma_f32 v3, v182, v58, -v3
	s_waitcnt vmcnt(38)
	v_fmac_f32_e32 v202, v197, v77
	v_add_f32_e32 v2, v2, v3
	v_mul_f32_e32 v3, v185, v61
	v_add_f32_e32 v62, v62, v202
	s_waitcnt lgkmcnt(0)
	v_mul_f32_e32 v202, v198, v76
	v_fma_f32 v3, v184, v60, -v3
	v_fmac_f32_e32 v202, v199, v75
	v_add_f32_e32 v2, v2, v3
	v_mul_f32_e32 v3, v187, v64
	v_add_f32_e32 v62, v62, v202
	ds_read_b128 v[202:205], v1 offset:816
	v_fma_f32 v3, v186, v65, -v3
	v_add_f32_e32 v2, v2, v3
	v_mul_f32_e32 v3, v189, v67
	s_waitcnt vmcnt(36)
	v_mul_f32_e32 v206, v200, v78
	v_fma_f32 v3, v188, v66, -v3
	v_fmac_f32_e32 v206, v201, v71
	v_add_f32_e32 v2, v2, v3
	v_mul_f32_e32 v3, v191, v69
	v_add_f32_e32 v62, v62, v206
	ds_read_b128 v[206:209], v1 offset:832
	v_fma_f32 v3, v190, v68, -v3
	s_waitcnt vmcnt(34) lgkmcnt(1)
	v_mul_f32_e32 v210, v202, v81
	v_add_f32_e32 v2, v2, v3
	v_mul_f32_e32 v3, v193, v70
	v_fmac_f32_e32 v210, v203, v80
	v_fma_f32 v3, v192, v63, -v3
	v_add_f32_e32 v62, v62, v210
	s_waitcnt vmcnt(33)
	v_mul_f32_e32 v210, v204, v82
	v_add_f32_e32 v2, v2, v3
	v_mul_f32_e32 v3, v195, v73
	s_waitcnt vmcnt(30)
	v_fmac_f32_e32 v210, v205, v85
	v_fma_f32 v3, v194, v72, -v3
	v_add_f32_e32 v62, v62, v210
	s_waitcnt lgkmcnt(0)
	v_mul_f32_e32 v210, v206, v84
	v_add_f32_e32 v2, v2, v3
	v_mul_f32_e32 v3, v197, v74
	v_fmac_f32_e32 v210, v207, v83
	v_fma_f32 v3, v196, v77, -v3
	v_add_f32_e32 v62, v62, v210
	ds_read_b128 v[210:213], v1 offset:848
	v_add_f32_e32 v2, v2, v3
	v_mul_f32_e32 v3, v199, v76
	v_fma_f32 v3, v198, v75, -v3
	s_waitcnt vmcnt(28)
	v_mul_f32_e32 v214, v208, v87
	v_add_f32_e32 v2, v2, v3
	v_mul_f32_e32 v3, v201, v78
	v_fmac_f32_e32 v214, v209, v86
	v_fma_f32 v3, v200, v71, -v3
	v_add_f32_e32 v62, v62, v214
	ds_read_b128 v[214:217], v1 offset:864
	v_add_f32_e32 v2, v2, v3
	v_mul_f32_e32 v3, v203, v81
	s_waitcnt vmcnt(26) lgkmcnt(1)
	v_mul_f32_e32 v218, v210, v88
	v_fma_f32 v3, v202, v80, -v3
	v_fmac_f32_e32 v218, v211, v79
	v_add_f32_e32 v2, v2, v3
	v_mul_f32_e32 v3, v205, v82
	v_add_f32_e32 v62, v62, v218
	s_waitcnt vmcnt(25)
	v_mul_f32_e32 v218, v212, v89
	v_fma_f32 v3, v204, v85, -v3
	s_waitcnt vmcnt(22)
	v_fmac_f32_e32 v218, v213, v92
	v_add_f32_e32 v2, v2, v3
	v_mul_f32_e32 v3, v207, v84
	v_add_f32_e32 v62, v62, v218
	s_waitcnt lgkmcnt(0)
	v_mul_f32_e32 v218, v214, v91
	v_fma_f32 v3, v206, v83, -v3
	v_fmac_f32_e32 v218, v215, v90
	v_add_f32_e32 v2, v2, v3
	v_mul_f32_e32 v3, v209, v87
	v_add_f32_e32 v62, v62, v218
	ds_read_b128 v[218:221], v1 offset:880
	v_fma_f32 v3, v208, v86, -v3
	v_add_f32_e32 v2, v2, v3
	v_mul_f32_e32 v3, v211, v88
	s_waitcnt vmcnt(20)
	v_mul_f32_e32 v222, v216, v238
	v_fma_f32 v3, v210, v79, -v3
	v_fmac_f32_e32 v222, v217, v94
	v_add_f32_e32 v2, v2, v3
	v_mul_f32_e32 v3, v213, v89
	v_add_f32_e32 v62, v62, v222
	ds_read_b128 v[222:225], v1 offset:896
	v_fma_f32 v3, v212, v92, -v3
	s_waitcnt vmcnt(18) lgkmcnt(1)
	v_mul_f32_e32 v226, v218, v239
	v_add_f32_e32 v2, v2, v3
	v_mul_f32_e32 v3, v215, v91
	v_fmac_f32_e32 v226, v219, v93
	v_fma_f32 v3, v214, v90, -v3
	v_add_f32_e32 v62, v62, v226
	s_waitcnt vmcnt(17)
	v_mul_f32_e32 v226, v220, v240
	v_add_f32_e32 v2, v2, v3
	v_mul_f32_e32 v3, v217, v238
	s_waitcnt vmcnt(14)
	v_fmac_f32_e32 v226, v221, v243
	v_fma_f32 v3, v216, v94, -v3
	v_add_f32_e32 v62, v62, v226
	s_waitcnt lgkmcnt(0)
	v_mul_f32_e32 v226, v222, v242
	v_add_f32_e32 v2, v2, v3
	v_mul_f32_e32 v3, v219, v239
	v_fmac_f32_e32 v226, v223, v241
	v_fma_f32 v3, v218, v93, -v3
	v_add_f32_e32 v62, v62, v226
	ds_read_b128 v[226:229], v1 offset:912
	v_add_f32_e32 v2, v2, v3
	v_mul_f32_e32 v3, v221, v240
	v_fma_f32 v3, v220, v243, -v3
	v_add_f32_e32 v2, v2, v3
	v_mul_f32_e32 v3, v223, v242
	s_waitcnt vmcnt(12)
	v_mul_f32_e32 v230, v224, v245
	v_fma_f32 v3, v222, v241, -v3
	v_fmac_f32_e32 v230, v225, v244
	v_add_f32_e32 v2, v2, v3
	v_mul_f32_e32 v3, v225, v245
	v_add_f32_e32 v62, v62, v230
	ds_read_b128 v[230:233], v1 offset:928
	s_waitcnt vmcnt(10) lgkmcnt(1)
	v_mul_f32_e32 v234, v226, v247
	v_fma_f32 v3, v224, v244, -v3
	v_fmac_f32_e32 v234, v227, v246
	v_add_f32_e32 v2, v2, v3
	v_mul_f32_e32 v3, v227, v247
	v_add_f32_e32 v62, v62, v234
	s_waitcnt vmcnt(9)
	v_mul_f32_e32 v234, v228, v248
	v_fma_f32 v3, v226, v246, -v3
	s_waitcnt vmcnt(6)
	v_fmac_f32_e32 v234, v229, v251
	v_add_f32_e32 v2, v2, v3
	v_mul_f32_e32 v3, v229, v248
	v_add_f32_e32 v62, v62, v234
	ds_read_b128 v[234:237], v1 offset:944
	v_fma_f32 v3, v228, v251, -v3
	v_add_f32_e32 v2, v2, v3
	s_waitcnt lgkmcnt(1)
	v_mul_f32_e32 v3, v231, v250
	v_mul_f32_e32 v97, v230, v250
	v_fma_f32 v3, v230, v249, -v3
	v_fmac_f32_e32 v97, v231, v249
	v_add_f32_e32 v2, v2, v3
	s_waitcnt vmcnt(4)
	v_mul_f32_e32 v3, v233, v253
	v_add_f32_e32 v1, v62, v97
	v_mul_f32_e32 v62, v232, v253
	v_fma_f32 v3, v232, v252, -v3
	v_fmac_f32_e32 v62, v233, v252
	v_add_f32_e32 v2, v2, v3
	s_waitcnt vmcnt(3) lgkmcnt(0)
	v_mul_f32_e32 v3, v235, v254
	v_add_f32_e32 v1, v1, v62
	v_mul_f32_e32 v62, v234, v254
	s_waitcnt vmcnt(0)
	v_fma_f32 v3, v234, v96, -v3
	v_fmac_f32_e32 v62, v235, v96
	v_add_f32_e32 v2, v2, v3
	v_mul_f32_e32 v3, v237, v95
	v_add_f32_e32 v1, v1, v62
	v_mul_f32_e32 v62, v236, v95
	v_fma_f32 v3, v236, v255, -v3
	v_fmac_f32_e32 v62, v237, v255
	v_add_f32_e32 v2, v2, v3
	v_add_f32_e32 v1, v1, v62
	v_sub_f32_e32 v2, v9, v2
	v_sub_f32_e32 v1, v10, v1
	buffer_store_dword v2, off, s[0:3], 0 offset:72
	buffer_store_dword v1, off, s[0:3], 0 offset:76
	s_and_saveexec_b64 s[4:5], vcc
	s_cbranch_execz .LBB123_357
; %bb.356:
	buffer_load_dword v1, off, s[0:3], 0 offset:64
	buffer_load_dword v2, off, s[0:3], 0 offset:68
	v_mov_b32_e32 v3, 0
	buffer_store_dword v3, off, s[0:3], 0 offset:64
	buffer_store_dword v3, off, s[0:3], 0 offset:68
	s_waitcnt vmcnt(2)
	ds_write_b64 v145, v[1:2]
.LBB123_357:
	s_or_b64 exec, exec, s[4:5]
	s_waitcnt lgkmcnt(0)
	; wave barrier
	buffer_load_dword v10, off, s[0:3], 0 offset:76
	buffer_load_dword v9, off, s[0:3], 0 offset:84
	;; [unrolled: 1-line block ×40, first 2 shown]
	v_mov_b32_e32 v1, 0
	buffer_load_dword v54, off, s[0:3], 0 offset:224
	buffer_load_dword v55, off, s[0:3], 0 offset:228
	;; [unrolled: 1-line block ×10, first 2 shown]
	ds_read2_b64 v[17:20], v1 offset0:69 offset1:70
	ds_read2_b64 v[21:24], v1 offset0:71 offset1:72
	;; [unrolled: 1-line block ×7, first 2 shown]
	v_cmp_lt_u32_e32 vcc, 7, v0
	s_waitcnt vmcnt(49) lgkmcnt(6)
	v_mul_f32_e32 v27, v17, v10
	s_waitcnt vmcnt(48)
	v_mul_f32_e32 v28, v19, v9
	s_waitcnt vmcnt(47) lgkmcnt(5)
	v_mul_f32_e32 v64, v21, v6
	s_waitcnt vmcnt(46)
	v_mul_f32_e32 v65, v23, v5
	;; [unrolled: 4-line block ×6, first 2 shown]
	s_waitcnt vmcnt(37)
	v_fmac_f32_e32 v64, v22, v29
	s_waitcnt vmcnt(36)
	v_fmac_f32_e32 v28, v20, v30
	s_waitcnt vmcnt(35)
	v_fmac_f32_e32 v27, v18, v31
	v_add_f32_e32 v27, 0, v27
	v_add_f32_e32 v27, v27, v28
	v_add_f32_e32 v27, v27, v64
	s_waitcnt vmcnt(31)
	v_fmac_f32_e32 v65, v24, v35
	v_fmac_f32_e32 v66, v147, v34
	v_add_f32_e32 v27, v27, v65
	buffer_load_dword v64, off, s[0:3], 0 offset:264
	buffer_load_dword v65, off, s[0:3], 0 offset:268
	v_fmac_f32_e32 v67, v149, v33
	v_add_f32_e32 v27, v27, v66
	v_fmac_f32_e32 v68, v151, v32
	v_add_f32_e32 v27, v27, v67
	s_waitcnt vmcnt(29)
	v_fmac_f32_e32 v69, v153, v38
	v_add_f32_e32 v27, v27, v68
	v_fmac_f32_e32 v70, v155, v37
	v_add_f32_e32 v27, v27, v69
	ds_read2_b64 v[166:169], v1 offset0:83 offset1:84
	buffer_load_dword v66, off, s[0:3], 0 offset:276
	buffer_load_dword v67, off, s[0:3], 0 offset:272
	;; [unrolled: 1-line block ×4, first 2 shown]
	v_fmac_f32_e32 v71, v157, v36
	v_add_f32_e32 v27, v27, v70
	v_add_f32_e32 v27, v27, v71
	ds_read2_b64 v[170:173], v1 offset0:85 offset1:86
	ds_read2_b64 v[174:177], v1 offset0:87 offset1:88
	buffer_load_dword v70, off, s[0:3], 0 offset:288
	buffer_load_dword v71, off, s[0:3], 0 offset:292
	v_fmac_f32_e32 v72, v159, v16
	v_add_f32_e32 v27, v27, v72
	s_waitcnt vmcnt(31)
	v_fmac_f32_e32 v73, v161, v42
	v_add_f32_e32 v27, v27, v73
	buffer_load_dword v72, off, s[0:3], 0 offset:296
	buffer_load_dword v73, off, s[0:3], 0 offset:300
	;; [unrolled: 1-line block ×8, first 2 shown]
	ds_read2_b64 v[178:181], v1 offset0:89 offset1:90
	buffer_load_dword v80, off, s[0:3], 0 offset:328
	buffer_load_dword v81, off, s[0:3], 0 offset:332
	;; [unrolled: 1-line block ×6, first 2 shown]
	ds_read2_b64 v[182:185], v1 offset0:91 offset1:92
	buffer_load_dword v86, off, s[0:3], 0 offset:352
	buffer_load_dword v87, off, s[0:3], 0 offset:356
	;; [unrolled: 1-line block ×10, first 2 shown]
	ds_read2_b64 v[186:189], v1 offset0:93 offset1:94
	buffer_load_dword v96, off, s[0:3], 0 offset:392
	buffer_load_dword v97, off, s[0:3], 0 offset:396
	;; [unrolled: 1-line block ×6, first 2 shown]
	ds_read2_b64 v[190:193], v1 offset0:95 offset1:96
	buffer_load_dword v241, off, s[0:3], 0 offset:416
	buffer_load_dword v242, off, s[0:3], 0 offset:420
	v_mul_f32_e32 v10, v18, v10
	v_fma_f32 v10, v17, v31, -v10
	v_mul_f32_e32 v9, v20, v9
	v_add_f32_e32 v10, 0, v10
	v_fma_f32 v9, v19, v30, -v9
	v_mul_f32_e32 v6, v22, v6
	v_add_f32_e32 v9, v10, v9
	v_fma_f32 v6, v21, v29, -v6
	v_mul_f32_e32 v5, v24, v5
	buffer_load_dword v243, off, s[0:3], 0 offset:424
	buffer_load_dword v244, off, s[0:3], 0 offset:428
	;; [unrolled: 1-line block ×6, first 2 shown]
	v_add_f32_e32 v6, v9, v6
	v_fma_f32 v5, v23, v35, -v5
	v_mul_f32_e32 v4, v147, v4
	v_add_f32_e32 v5, v6, v5
	v_fma_f32 v4, v146, v34, -v4
	v_mul_f32_e32 v3, v149, v3
	;; [unrolled: 3-line block ×3, first 2 shown]
	buffer_load_dword v249, off, s[0:3], 0 offset:448
	buffer_load_dword v250, off, s[0:3], 0 offset:452
	v_add_f32_e32 v3, v4, v3
	v_fma_f32 v2, v150, v32, -v2
	v_add_f32_e32 v2, v3, v2
	v_mul_f32_e32 v3, v153, v11
	v_fma_f32 v3, v152, v38, -v3
	v_add_f32_e32 v2, v2, v3
	v_mul_f32_e32 v3, v155, v12
	;; [unrolled: 3-line block ×3, first 2 shown]
	buffer_load_dword v251, off, s[0:3], 0 offset:456
	buffer_load_dword v252, off, s[0:3], 0 offset:460
	;; [unrolled: 1-line block ×6, first 2 shown]
	v_fma_f32 v3, v156, v36, -v3
	v_add_f32_e32 v2, v2, v3
	v_mul_f32_e32 v3, v159, v14
	v_fma_f32 v3, v158, v16, -v3
	v_add_f32_e32 v2, v2, v3
	v_mul_f32_e32 v3, v161, v15
	s_waitcnt vmcnt(62) lgkmcnt(7)
	v_mul_f32_e32 v28, v162, v43
	v_fma_f32 v3, v160, v42, -v3
	v_fmac_f32_e32 v28, v163, v41
	v_add_f32_e32 v2, v2, v3
	v_mul_f32_e32 v3, v163, v43
	v_add_f32_e32 v27, v27, v28
	v_mul_f32_e32 v28, v164, v44
	v_fma_f32 v3, v162, v41, -v3
	v_fmac_f32_e32 v28, v165, v40
	v_add_f32_e32 v2, v2, v3
	v_mul_f32_e32 v3, v165, v44
	v_add_f32_e32 v27, v27, v28
	s_waitcnt lgkmcnt(6)
	v_mul_f32_e32 v28, v166, v45
	v_fma_f32 v3, v164, v40, -v3
	v_fmac_f32_e32 v28, v167, v39
	v_add_f32_e32 v2, v2, v3
	v_mul_f32_e32 v3, v167, v45
	v_add_f32_e32 v27, v27, v28
	v_mul_f32_e32 v28, v168, v46
	v_fma_f32 v3, v166, v39, -v3
	v_fmac_f32_e32 v28, v169, v53
	v_add_f32_e32 v2, v2, v3
	v_mul_f32_e32 v3, v169, v46
	v_add_f32_e32 v27, v27, v28
	s_waitcnt lgkmcnt(5)
	;; [unrolled: 13-line block ×3, first 2 shown]
	v_mul_f32_e32 v28, v174, v52
	v_fma_f32 v3, v172, v49, -v3
	v_fmac_f32_e32 v28, v175, v51
	v_add_f32_e32 v2, v2, v3
	v_mul_f32_e32 v3, v175, v52
	v_add_f32_e32 v27, v27, v28
	v_mul_f32_e32 v28, v176, v55
	v_fma_f32 v3, v174, v51, -v3
	v_fmac_f32_e32 v28, v177, v54
	v_add_f32_e32 v2, v2, v3
	v_mul_f32_e32 v3, v177, v55
	v_add_f32_e32 v27, v27, v28
	s_waitcnt vmcnt(60) lgkmcnt(3)
	v_mul_f32_e32 v28, v178, v57
	v_fma_f32 v3, v176, v54, -v3
	v_fmac_f32_e32 v28, v179, v56
	v_add_f32_e32 v2, v2, v3
	v_mul_f32_e32 v3, v179, v57
	v_add_f32_e32 v27, v27, v28
	s_waitcnt vmcnt(58)
	v_mul_f32_e32 v28, v180, v59
	v_fma_f32 v3, v178, v56, -v3
	v_fmac_f32_e32 v28, v181, v58
	v_add_f32_e32 v2, v2, v3
	v_mul_f32_e32 v3, v181, v59
	v_add_f32_e32 v27, v27, v28
	s_waitcnt vmcnt(56) lgkmcnt(2)
	v_mul_f32_e32 v28, v182, v61
	v_fma_f32 v3, v180, v58, -v3
	v_fmac_f32_e32 v28, v183, v60
	v_add_f32_e32 v2, v2, v3
	v_mul_f32_e32 v3, v183, v61
	v_add_f32_e32 v27, v27, v28
	s_waitcnt vmcnt(54)
	;; [unrolled: 14-line block ×3, first 2 shown]
	v_mul_f32_e32 v28, v188, v66
	v_fma_f32 v3, v186, v64, -v3
	s_waitcnt vmcnt(50)
	v_fmac_f32_e32 v28, v189, v67
	ds_read2_b64 v[194:197], v1 offset0:97 offset1:98
	ds_read2_b64 v[198:201], v1 offset0:99 offset1:100
	v_add_f32_e32 v2, v2, v3
	v_mul_f32_e32 v3, v189, v66
	v_add_f32_e32 v27, v27, v28
	s_waitcnt vmcnt(48) lgkmcnt(2)
	v_mul_f32_e32 v28, v190, v69
	v_fma_f32 v3, v188, v67, -v3
	v_fmac_f32_e32 v28, v191, v68
	v_add_f32_e32 v2, v2, v3
	v_mul_f32_e32 v3, v191, v69
	v_add_f32_e32 v27, v27, v28
	s_waitcnt vmcnt(46)
	v_mul_f32_e32 v28, v192, v71
	v_fma_f32 v3, v190, v68, -v3
	v_fmac_f32_e32 v28, v193, v70
	v_add_f32_e32 v2, v2, v3
	v_mul_f32_e32 v3, v193, v71
	v_add_f32_e32 v27, v27, v28
	s_waitcnt vmcnt(44) lgkmcnt(1)
	v_mul_f32_e32 v28, v194, v73
	v_fma_f32 v3, v192, v70, -v3
	v_fmac_f32_e32 v28, v195, v72
	v_add_f32_e32 v2, v2, v3
	v_mul_f32_e32 v3, v195, v73
	v_add_f32_e32 v27, v27, v28
	s_waitcnt vmcnt(43)
	v_mul_f32_e32 v28, v196, v74
	v_fma_f32 v3, v194, v72, -v3
	s_waitcnt vmcnt(40)
	v_fmac_f32_e32 v28, v197, v77
	ds_read2_b64 v[202:205], v1 offset0:101 offset1:102
	ds_read2_b64 v[206:209], v1 offset0:103 offset1:104
	v_add_f32_e32 v2, v2, v3
	v_mul_f32_e32 v3, v197, v74
	v_add_f32_e32 v27, v27, v28
	s_waitcnt lgkmcnt(2)
	v_mul_f32_e32 v28, v198, v76
	v_fma_f32 v3, v196, v77, -v3
	v_fmac_f32_e32 v28, v199, v75
	v_add_f32_e32 v2, v2, v3
	v_mul_f32_e32 v3, v199, v76
	v_add_f32_e32 v27, v27, v28
	s_waitcnt vmcnt(38)
	v_mul_f32_e32 v28, v200, v79
	v_fma_f32 v3, v198, v75, -v3
	v_fmac_f32_e32 v28, v201, v78
	v_add_f32_e32 v2, v2, v3
	v_mul_f32_e32 v3, v201, v79
	v_add_f32_e32 v27, v27, v28
	s_waitcnt vmcnt(36) lgkmcnt(1)
	v_mul_f32_e32 v28, v202, v81
	v_fma_f32 v3, v200, v78, -v3
	v_fmac_f32_e32 v28, v203, v80
	v_add_f32_e32 v2, v2, v3
	v_mul_f32_e32 v3, v203, v81
	v_add_f32_e32 v27, v27, v28
	s_waitcnt vmcnt(35)
	v_mul_f32_e32 v28, v204, v82
	v_fma_f32 v3, v202, v80, -v3
	s_waitcnt vmcnt(32)
	v_fmac_f32_e32 v28, v205, v85
	ds_read2_b64 v[210:213], v1 offset0:105 offset1:106
	ds_read2_b64 v[214:217], v1 offset0:107 offset1:108
	v_add_f32_e32 v2, v2, v3
	v_mul_f32_e32 v3, v205, v82
	v_add_f32_e32 v27, v27, v28
	s_waitcnt lgkmcnt(2)
	;; [unrolled: 31-line block ×4, first 2 shown]
	v_mul_f32_e32 v28, v222, v239
	v_fma_f32 v3, v220, v240, -v3
	v_fmac_f32_e32 v28, v223, v238
	v_add_f32_e32 v2, v2, v3
	v_mul_f32_e32 v3, v223, v239
	v_add_f32_e32 v27, v27, v28
	s_waitcnt vmcnt(14)
	v_mul_f32_e32 v28, v224, v242
	v_fma_f32 v3, v222, v238, -v3
	v_fmac_f32_e32 v28, v225, v241
	v_add_f32_e32 v2, v2, v3
	v_mul_f32_e32 v3, v225, v242
	v_add_f32_e32 v27, v27, v28
	s_waitcnt vmcnt(12) lgkmcnt(1)
	v_mul_f32_e32 v28, v226, v244
	v_fma_f32 v3, v224, v241, -v3
	v_fmac_f32_e32 v28, v227, v243
	v_add_f32_e32 v2, v2, v3
	v_mul_f32_e32 v3, v227, v244
	v_add_f32_e32 v27, v27, v28
	s_waitcnt vmcnt(11)
	v_mul_f32_e32 v28, v228, v245
	v_fma_f32 v3, v226, v243, -v3
	s_waitcnt vmcnt(8)
	v_fmac_f32_e32 v28, v229, v248
	v_add_f32_e32 v2, v2, v3
	v_mul_f32_e32 v3, v229, v245
	v_add_f32_e32 v27, v27, v28
	s_waitcnt lgkmcnt(0)
	v_mul_f32_e32 v28, v230, v247
	ds_read2_b64 v[234:237], v1 offset0:117 offset1:118
	v_fma_f32 v3, v228, v248, -v3
	v_fmac_f32_e32 v28, v231, v246
	v_add_f32_e32 v2, v2, v3
	v_mul_f32_e32 v3, v231, v247
	v_add_f32_e32 v27, v27, v28
	s_waitcnt vmcnt(6)
	v_mul_f32_e32 v28, v232, v250
	v_fma_f32 v3, v230, v246, -v3
	v_fmac_f32_e32 v28, v233, v249
	v_add_f32_e32 v2, v2, v3
	v_mul_f32_e32 v3, v233, v250
	v_add_f32_e32 v100, v27, v28
	ds_read_b64 v[27:28], v1 offset:952
	v_fma_f32 v3, v232, v249, -v3
	v_add_f32_e32 v2, v2, v3
	s_waitcnt vmcnt(4) lgkmcnt(1)
	v_mul_f32_e32 v3, v235, v252
	v_mul_f32_e32 v101, v234, v252
	v_fma_f32 v3, v234, v251, -v3
	v_fmac_f32_e32 v101, v235, v251
	v_add_f32_e32 v2, v2, v3
	s_waitcnt vmcnt(3)
	v_mul_f32_e32 v3, v237, v253
	v_add_f32_e32 v100, v100, v101
	v_mul_f32_e32 v101, v236, v253
	s_waitcnt vmcnt(0)
	v_fma_f32 v3, v236, v99, -v3
	v_fmac_f32_e32 v101, v237, v99
	v_add_f32_e32 v2, v2, v3
	s_waitcnt lgkmcnt(0)
	v_mul_f32_e32 v3, v28, v255
	v_add_f32_e32 v100, v100, v101
	v_mul_f32_e32 v101, v27, v255
	v_fma_f32 v3, v27, v254, -v3
	v_fmac_f32_e32 v101, v28, v254
	v_add_f32_e32 v2, v2, v3
	v_add_f32_e32 v100, v100, v101
	v_sub_f32_e32 v2, v7, v2
	v_sub_f32_e32 v3, v8, v100
	buffer_store_dword v2, off, s[0:3], 0 offset:64
	buffer_store_dword v3, off, s[0:3], 0 offset:68
	s_and_saveexec_b64 s[4:5], vcc
	s_cbranch_execz .LBB123_359
; %bb.358:
	buffer_load_dword v2, off, s[0:3], 0 offset:56
	buffer_load_dword v3, off, s[0:3], 0 offset:60
	s_waitcnt vmcnt(0)
	ds_write_b64 v145, v[2:3]
	buffer_store_dword v1, off, s[0:3], 0 offset:56
	buffer_store_dword v1, off, s[0:3], 0 offset:60
.LBB123_359:
	s_or_b64 exec, exec, s[4:5]
	s_waitcnt lgkmcnt(0)
	; wave barrier
	buffer_load_dword v10, off, s[0:3], 0 offset:68
	buffer_load_dword v7, off, s[0:3], 0 offset:76
	;; [unrolled: 1-line block ×40, first 2 shown]
	ds_read_b128 v[146:149], v1 offset:544
	ds_read_b128 v[150:153], v1 offset:560
	;; [unrolled: 1-line block ×6, first 2 shown]
	buffer_load_dword v44, off, s[0:3], 0 offset:216
	buffer_load_dword v45, off, s[0:3], 0 offset:220
	;; [unrolled: 1-line block ×12, first 2 shown]
	ds_read_b128 v[170:173], v1 offset:640
	ds_read_b128 v[174:177], v1 offset:656
	v_cmp_lt_u32_e32 vcc, 6, v0
	s_waitcnt vmcnt(51) lgkmcnt(7)
	v_mul_f32_e32 v56, v146, v10
	s_waitcnt vmcnt(50)
	v_mul_f32_e32 v57, v148, v7
	s_waitcnt vmcnt(49) lgkmcnt(6)
	v_mul_f32_e32 v58, v150, v6
	s_waitcnt vmcnt(48)
	v_mul_f32_e32 v59, v152, v5
	;; [unrolled: 4-line block ×5, first 2 shown]
	s_waitcnt vmcnt(41) lgkmcnt(2)
	v_mul_f32_e32 v66, v166, v14
	s_waitcnt vmcnt(40)
	v_fmac_f32_e32 v58, v151, v21
	s_waitcnt vmcnt(39)
	v_fmac_f32_e32 v57, v149, v24
	;; [unrolled: 2-line block ×3, first 2 shown]
	v_add_f32_e32 v56, 0, v56
	v_add_f32_e32 v56, v56, v57
	;; [unrolled: 1-line block ×3, first 2 shown]
	s_waitcnt vmcnt(34)
	v_fmac_f32_e32 v59, v153, v28
	v_fmac_f32_e32 v60, v155, v23
	v_add_f32_e32 v56, v56, v59
	buffer_load_dword v58, off, s[0:3], 0 offset:264
	buffer_load_dword v59, off, s[0:3], 0 offset:268
	v_fmac_f32_e32 v61, v157, v20
	v_add_f32_e32 v56, v56, v60
	v_add_f32_e32 v56, v56, v61
	buffer_load_dword v60, off, s[0:3], 0 offset:272
	buffer_load_dword v61, off, s[0:3], 0 offset:276
	v_fmac_f32_e32 v62, v159, v17
	s_waitcnt vmcnt(34)
	v_fmac_f32_e32 v63, v161, v22
	v_add_f32_e32 v56, v56, v62
	v_add_f32_e32 v56, v56, v63
	ds_read_b128 v[178:181], v1 offset:672
	buffer_load_dword v62, off, s[0:3], 0 offset:280
	buffer_load_dword v63, off, s[0:3], 0 offset:284
	v_fmac_f32_e32 v64, v163, v19
	v_fmac_f32_e32 v65, v165, v16
	v_add_f32_e32 v56, v56, v64
	v_fmac_f32_e32 v66, v167, v15
	v_add_f32_e32 v56, v56, v65
	s_waitcnt vmcnt(35)
	v_mul_f32_e32 v57, v168, v18
	v_add_f32_e32 v56, v56, v66
	s_waitcnt vmcnt(31)
	v_fmac_f32_e32 v57, v169, v32
	v_add_f32_e32 v56, v56, v57
	s_waitcnt vmcnt(30) lgkmcnt(2)
	v_mul_f32_e32 v57, v170, v33
	v_fmac_f32_e32 v57, v171, v31
	v_add_f32_e32 v56, v56, v57
	s_waitcnt vmcnt(29)
	v_mul_f32_e32 v57, v172, v34
	v_fmac_f32_e32 v57, v173, v30
	v_add_f32_e32 v56, v56, v57
	s_waitcnt vmcnt(28) lgkmcnt(1)
	v_mul_f32_e32 v57, v174, v35
	v_fmac_f32_e32 v57, v175, v29
	v_add_f32_e32 v56, v56, v57
	s_waitcnt vmcnt(27)
	v_mul_f32_e32 v57, v176, v36
	s_waitcnt vmcnt(21)
	v_fmac_f32_e32 v57, v177, v42
	ds_read_b128 v[182:185], v1 offset:688
	v_add_f32_e32 v56, v56, v57
	s_waitcnt vmcnt(20) lgkmcnt(1)
	v_mul_f32_e32 v57, v178, v43
	v_fmac_f32_e32 v57, v179, v41
	v_add_f32_e32 v56, v56, v57
	v_mul_f32_e32 v57, v180, v38
	v_fmac_f32_e32 v57, v181, v37
	v_add_f32_e32 v56, v56, v57
	s_waitcnt lgkmcnt(0)
	v_mul_f32_e32 v57, v182, v40
	v_fmac_f32_e32 v57, v183, v39
	v_add_f32_e32 v56, v56, v57
	buffer_load_dword v57, off, s[0:3], 0 offset:288
	buffer_load_dword v64, off, s[0:3], 0 offset:292
	;; [unrolled: 1-line block ×6, first 2 shown]
	s_waitcnt vmcnt(22)
	v_mul_f32_e32 v69, v184, v45
	v_fmac_f32_e32 v69, v185, v44
	ds_read_b128 v[186:189], v1 offset:704
	v_add_f32_e32 v56, v56, v69
	buffer_load_dword v69, off, s[0:3], 0 offset:312
	buffer_load_dword v70, off, s[0:3], 0 offset:316
	ds_read_b128 v[190:193], v1 offset:720
	buffer_load_dword v72, off, s[0:3], 0 offset:320
	buffer_load_dword v73, off, s[0:3], 0 offset:324
	;; [unrolled: 1-line block ×14, first 2 shown]
	s_waitcnt vmcnt(36) lgkmcnt(1)
	v_mul_f32_e32 v71, v186, v47
	v_fmac_f32_e32 v71, v187, v46
	v_add_f32_e32 v56, v56, v71
	s_waitcnt vmcnt(34)
	v_mul_f32_e32 v71, v188, v49
	buffer_load_dword v86, off, s[0:3], 0 offset:376
	buffer_load_dword v87, off, s[0:3], 0 offset:380
	v_fmac_f32_e32 v71, v189, v48
	v_add_f32_e32 v56, v56, v71
	s_waitcnt vmcnt(34) lgkmcnt(0)
	v_mul_f32_e32 v71, v190, v51
	v_fmac_f32_e32 v71, v191, v50
	v_add_f32_e32 v56, v56, v71
	s_waitcnt vmcnt(32)
	v_mul_f32_e32 v71, v192, v53
	ds_read_b128 v[194:197], v1 offset:736
	v_fmac_f32_e32 v71, v193, v52
	v_add_f32_e32 v56, v56, v71
	buffer_load_dword v71, off, s[0:3], 0 offset:384
	buffer_load_dword v88, off, s[0:3], 0 offset:388
	;; [unrolled: 1-line block ×6, first 2 shown]
	ds_read_b128 v[198:201], v1 offset:752
	s_waitcnt vmcnt(36) lgkmcnt(1)
	v_mul_f32_e32 v93, v194, v55
	v_fmac_f32_e32 v93, v195, v54
	v_add_f32_e32 v56, v56, v93
	buffer_load_dword v93, off, s[0:3], 0 offset:408
	buffer_load_dword v94, off, s[0:3], 0 offset:412
	v_mul_f32_e32 v10, v147, v10
	v_fma_f32 v10, v146, v27, -v10
	v_mul_f32_e32 v7, v149, v7
	buffer_load_dword v96, off, s[0:3], 0 offset:416
	buffer_load_dword v97, off, s[0:3], 0 offset:420
	;; [unrolled: 1-line block ×6, first 2 shown]
	v_add_f32_e32 v10, 0, v10
	v_fma_f32 v7, v148, v24, -v7
	v_mul_f32_e32 v6, v151, v6
	v_add_f32_e32 v7, v10, v7
	s_waitcnt vmcnt(42)
	v_mul_f32_e32 v95, v196, v59
	v_fma_f32 v6, v150, v21, -v6
	v_mul_f32_e32 v5, v153, v5
	v_fmac_f32_e32 v95, v197, v58
	v_add_f32_e32 v6, v7, v6
	v_fma_f32 v5, v152, v28, -v5
	v_mul_f32_e32 v4, v155, v4
	v_add_f32_e32 v56, v56, v95
	s_waitcnt vmcnt(40) lgkmcnt(0)
	v_mul_f32_e32 v95, v198, v61
	v_add_f32_e32 v5, v6, v5
	v_fma_f32 v4, v154, v23, -v4
	v_mul_f32_e32 v3, v157, v3
	v_fmac_f32_e32 v95, v199, v60
	v_add_f32_e32 v4, v5, v4
	v_fma_f32 v3, v156, v20, -v3
	v_mul_f32_e32 v2, v159, v2
	v_add_f32_e32 v56, v56, v95
	buffer_load_dword v95, off, s[0:3], 0 offset:440
	buffer_load_dword v102, off, s[0:3], 0 offset:444
	v_add_f32_e32 v3, v4, v3
	v_fma_f32 v2, v158, v17, -v2
	v_add_f32_e32 v2, v3, v2
	v_mul_f32_e32 v3, v161, v11
	v_fma_f32 v3, v160, v22, -v3
	v_add_f32_e32 v2, v2, v3
	v_mul_f32_e32 v3, v163, v12
	;; [unrolled: 3-line block ×3, first 2 shown]
	buffer_load_dword v250, off, s[0:3], 0 offset:448
	buffer_load_dword v251, off, s[0:3], 0 offset:452
	;; [unrolled: 1-line block ×6, first 2 shown]
	v_fma_f32 v3, v164, v16, -v3
	s_waitcnt vmcnt(46)
	v_mul_f32_e32 v206, v200, v63
	v_add_f32_e32 v2, v2, v3
	v_mul_f32_e32 v3, v167, v14
	v_fmac_f32_e32 v206, v201, v62
	v_fma_f32 v3, v166, v15, -v3
	ds_read_b128 v[202:205], v1 offset:768
	v_add_f32_e32 v56, v56, v206
	ds_read_b128 v[206:209], v1 offset:784
	buffer_load_dword v103, off, s[0:3], 0 offset:472
	buffer_load_dword v104, off, s[0:3], 0 offset:476
	v_add_f32_e32 v2, v2, v3
	v_mul_f32_e32 v3, v169, v18
	v_fma_f32 v3, v168, v32, -v3
	v_add_f32_e32 v2, v2, v3
	v_mul_f32_e32 v3, v171, v33
	v_fma_f32 v3, v170, v31, -v3
	;; [unrolled: 3-line block ×9, first 2 shown]
	v_add_f32_e32 v2, v2, v3
	v_mul_f32_e32 v3, v187, v47
	s_waitcnt vmcnt(46) lgkmcnt(1)
	v_mul_f32_e32 v210, v202, v64
	v_fma_f32 v3, v186, v46, -v3
	v_fmac_f32_e32 v210, v203, v57
	v_add_f32_e32 v2, v2, v3
	v_mul_f32_e32 v3, v189, v49
	v_add_f32_e32 v56, v56, v210
	s_waitcnt vmcnt(45)
	v_mul_f32_e32 v210, v204, v65
	v_fma_f32 v3, v188, v48, -v3
	s_waitcnt vmcnt(42)
	v_fmac_f32_e32 v210, v205, v68
	v_add_f32_e32 v2, v2, v3
	v_mul_f32_e32 v3, v191, v51
	v_add_f32_e32 v56, v56, v210
	s_waitcnt lgkmcnt(0)
	v_mul_f32_e32 v210, v206, v67
	v_fma_f32 v3, v190, v50, -v3
	v_fmac_f32_e32 v210, v207, v66
	v_add_f32_e32 v2, v2, v3
	v_mul_f32_e32 v3, v193, v53
	v_add_f32_e32 v56, v56, v210
	ds_read_b128 v[210:213], v1 offset:800
	v_fma_f32 v3, v192, v52, -v3
	v_add_f32_e32 v2, v2, v3
	v_mul_f32_e32 v3, v195, v55
	s_waitcnt vmcnt(40)
	v_mul_f32_e32 v214, v208, v70
	v_fma_f32 v3, v194, v54, -v3
	v_fmac_f32_e32 v214, v209, v69
	v_add_f32_e32 v2, v2, v3
	v_mul_f32_e32 v3, v197, v59
	v_add_f32_e32 v56, v56, v214
	ds_read_b128 v[214:217], v1 offset:816
	v_fma_f32 v3, v196, v58, -v3
	s_waitcnt vmcnt(38) lgkmcnt(1)
	v_mul_f32_e32 v218, v210, v73
	v_add_f32_e32 v2, v2, v3
	v_mul_f32_e32 v3, v199, v61
	v_fmac_f32_e32 v218, v211, v72
	v_fma_f32 v3, v198, v60, -v3
	v_add_f32_e32 v56, v56, v218
	s_waitcnt vmcnt(37)
	v_mul_f32_e32 v218, v212, v74
	v_add_f32_e32 v2, v2, v3
	v_mul_f32_e32 v3, v201, v63
	s_waitcnt vmcnt(34)
	v_fmac_f32_e32 v218, v213, v77
	v_fma_f32 v3, v200, v62, -v3
	v_add_f32_e32 v56, v56, v218
	s_waitcnt lgkmcnt(0)
	v_mul_f32_e32 v218, v214, v76
	v_add_f32_e32 v2, v2, v3
	v_mul_f32_e32 v3, v203, v64
	v_fmac_f32_e32 v218, v215, v75
	v_fma_f32 v3, v202, v57, -v3
	v_add_f32_e32 v56, v56, v218
	ds_read_b128 v[218:221], v1 offset:832
	v_add_f32_e32 v2, v2, v3
	v_mul_f32_e32 v3, v205, v65
	v_fma_f32 v3, v204, v68, -v3
	s_waitcnt vmcnt(32)
	v_mul_f32_e32 v222, v216, v79
	v_add_f32_e32 v2, v2, v3
	v_mul_f32_e32 v3, v207, v67
	v_fmac_f32_e32 v222, v217, v78
	v_fma_f32 v3, v206, v66, -v3
	v_add_f32_e32 v56, v56, v222
	ds_read_b128 v[222:225], v1 offset:848
	v_add_f32_e32 v2, v2, v3
	v_mul_f32_e32 v3, v209, v70
	s_waitcnt vmcnt(30) lgkmcnt(1)
	v_mul_f32_e32 v226, v218, v81
	v_fma_f32 v3, v208, v69, -v3
	v_fmac_f32_e32 v226, v219, v80
	v_add_f32_e32 v2, v2, v3
	v_mul_f32_e32 v3, v211, v73
	v_add_f32_e32 v56, v56, v226
	s_waitcnt vmcnt(29)
	v_mul_f32_e32 v226, v220, v82
	v_fma_f32 v3, v210, v72, -v3
	s_waitcnt vmcnt(26)
	v_fmac_f32_e32 v226, v221, v85
	v_add_f32_e32 v2, v2, v3
	v_mul_f32_e32 v3, v213, v74
	v_add_f32_e32 v56, v56, v226
	s_waitcnt lgkmcnt(0)
	v_mul_f32_e32 v226, v222, v84
	v_fma_f32 v3, v212, v77, -v3
	v_fmac_f32_e32 v226, v223, v83
	v_add_f32_e32 v2, v2, v3
	v_mul_f32_e32 v3, v215, v76
	v_add_f32_e32 v56, v56, v226
	ds_read_b128 v[226:229], v1 offset:864
	v_fma_f32 v3, v214, v75, -v3
	v_add_f32_e32 v2, v2, v3
	v_mul_f32_e32 v3, v217, v79
	s_waitcnt vmcnt(24)
	v_mul_f32_e32 v230, v224, v87
	v_fma_f32 v3, v216, v78, -v3
	v_fmac_f32_e32 v230, v225, v86
	v_add_f32_e32 v2, v2, v3
	v_mul_f32_e32 v3, v219, v81
	v_add_f32_e32 v56, v56, v230
	ds_read_b128 v[230:233], v1 offset:880
	v_fma_f32 v3, v218, v80, -v3
	s_waitcnt vmcnt(22) lgkmcnt(1)
	v_mul_f32_e32 v234, v226, v88
	v_add_f32_e32 v2, v2, v3
	v_mul_f32_e32 v3, v221, v82
	v_fmac_f32_e32 v234, v227, v71
	v_fma_f32 v3, v220, v85, -v3
	v_add_f32_e32 v56, v56, v234
	s_waitcnt vmcnt(21)
	v_mul_f32_e32 v234, v228, v89
	v_add_f32_e32 v2, v2, v3
	v_mul_f32_e32 v3, v223, v84
	s_waitcnt vmcnt(18)
	v_fmac_f32_e32 v234, v229, v92
	v_fma_f32 v3, v222, v83, -v3
	v_add_f32_e32 v56, v56, v234
	s_waitcnt lgkmcnt(0)
	v_mul_f32_e32 v234, v230, v91
	v_add_f32_e32 v2, v2, v3
	v_mul_f32_e32 v3, v225, v87
	v_fmac_f32_e32 v234, v231, v90
	v_fma_f32 v3, v224, v86, -v3
	v_add_f32_e32 v56, v56, v234
	ds_read_b128 v[234:237], v1 offset:896
	v_add_f32_e32 v2, v2, v3
	v_mul_f32_e32 v3, v227, v88
	v_fma_f32 v3, v226, v71, -v3
	s_waitcnt vmcnt(16)
	v_mul_f32_e32 v238, v232, v94
	v_add_f32_e32 v2, v2, v3
	v_mul_f32_e32 v3, v229, v89
	v_fmac_f32_e32 v238, v233, v93
	v_fma_f32 v3, v228, v92, -v3
	v_add_f32_e32 v56, v56, v238
	ds_read_b128 v[238:241], v1 offset:912
	v_add_f32_e32 v2, v2, v3
	v_mul_f32_e32 v3, v231, v91
	s_waitcnt vmcnt(14) lgkmcnt(1)
	v_mul_f32_e32 v242, v234, v97
	v_fma_f32 v3, v230, v90, -v3
	v_fmac_f32_e32 v242, v235, v96
	v_add_f32_e32 v2, v2, v3
	v_mul_f32_e32 v3, v233, v94
	v_add_f32_e32 v56, v56, v242
	s_waitcnt vmcnt(13)
	v_mul_f32_e32 v242, v236, v98
	v_fma_f32 v3, v232, v93, -v3
	s_waitcnt vmcnt(10)
	v_fmac_f32_e32 v242, v237, v101
	v_add_f32_e32 v2, v2, v3
	v_mul_f32_e32 v3, v235, v97
	v_add_f32_e32 v56, v56, v242
	s_waitcnt lgkmcnt(0)
	v_mul_f32_e32 v242, v238, v100
	v_fma_f32 v3, v234, v96, -v3
	v_fmac_f32_e32 v242, v239, v99
	v_add_f32_e32 v2, v2, v3
	v_mul_f32_e32 v3, v237, v98
	v_add_f32_e32 v56, v56, v242
	ds_read_b128 v[242:245], v1 offset:928
	v_fma_f32 v3, v236, v101, -v3
	v_add_f32_e32 v2, v2, v3
	v_mul_f32_e32 v3, v239, v100
	s_waitcnt vmcnt(8)
	v_mul_f32_e32 v246, v240, v102
	v_fma_f32 v3, v238, v99, -v3
	v_fmac_f32_e32 v246, v241, v95
	v_add_f32_e32 v2, v2, v3
	v_mul_f32_e32 v3, v241, v102
	v_add_f32_e32 v56, v56, v246
	ds_read_b128 v[246:249], v1 offset:944
	v_fma_f32 v3, v240, v95, -v3
	v_add_f32_e32 v2, v2, v3
	s_waitcnt vmcnt(6) lgkmcnt(1)
	v_mul_f32_e32 v3, v243, v251
	v_mul_f32_e32 v1, v242, v251
	v_fma_f32 v3, v242, v250, -v3
	v_fmac_f32_e32 v1, v243, v250
	v_add_f32_e32 v2, v2, v3
	s_waitcnt vmcnt(5)
	v_mul_f32_e32 v3, v245, v252
	v_add_f32_e32 v1, v56, v1
	v_mul_f32_e32 v56, v244, v252
	s_waitcnt vmcnt(2)
	v_fma_f32 v3, v244, v255, -v3
	v_fmac_f32_e32 v56, v245, v255
	v_add_f32_e32 v2, v2, v3
	s_waitcnt lgkmcnt(0)
	v_mul_f32_e32 v3, v247, v254
	v_add_f32_e32 v1, v1, v56
	v_mul_f32_e32 v56, v246, v254
	v_fma_f32 v3, v246, v253, -v3
	v_fmac_f32_e32 v56, v247, v253
	v_add_f32_e32 v2, v2, v3
	s_waitcnt vmcnt(0)
	v_mul_f32_e32 v3, v249, v104
	v_add_f32_e32 v1, v1, v56
	v_mul_f32_e32 v56, v248, v104
	v_fma_f32 v3, v248, v103, -v3
	v_fmac_f32_e32 v56, v249, v103
	v_add_f32_e32 v2, v2, v3
	v_add_f32_e32 v1, v1, v56
	v_sub_f32_e32 v2, v8, v2
	v_sub_f32_e32 v1, v9, v1
	buffer_store_dword v2, off, s[0:3], 0 offset:56
	buffer_store_dword v1, off, s[0:3], 0 offset:60
	s_and_saveexec_b64 s[4:5], vcc
	s_cbranch_execz .LBB123_361
; %bb.360:
	buffer_load_dword v1, off, s[0:3], 0 offset:48
	buffer_load_dword v2, off, s[0:3], 0 offset:52
	v_mov_b32_e32 v3, 0
	buffer_store_dword v3, off, s[0:3], 0 offset:48
	buffer_store_dword v3, off, s[0:3], 0 offset:52
	s_waitcnt vmcnt(2)
	ds_write_b64 v145, v[1:2]
.LBB123_361:
	s_or_b64 exec, exec, s[4:5]
	s_waitcnt lgkmcnt(0)
	; wave barrier
	buffer_load_dword v10, off, s[0:3], 0 offset:60
	buffer_load_dword v9, off, s[0:3], 0 offset:68
	;; [unrolled: 1-line block ×40, first 2 shown]
	v_mov_b32_e32 v1, 0
	buffer_load_dword v41, off, s[0:3], 0 offset:208
	buffer_load_dword v42, off, s[0:3], 0 offset:212
	;; [unrolled: 1-line block ×11, first 2 shown]
	ds_read2_b64 v[159:162], v1 offset0:67 offset1:68
	ds_read2_b64 v[163:166], v1 offset0:69 offset1:70
	;; [unrolled: 1-line block ×8, first 2 shown]
	v_cmp_lt_u32_e32 vcc, 5, v0
	s_waitcnt vmcnt(50) lgkmcnt(7)
	v_mul_f32_e32 v27, v159, v10
	s_waitcnt vmcnt(49)
	v_mul_f32_e32 v28, v161, v9
	s_waitcnt vmcnt(48) lgkmcnt(6)
	v_mul_f32_e32 v29, v163, v8
	s_waitcnt vmcnt(47)
	v_mul_f32_e32 v30, v165, v7
	;; [unrolled: 4-line block ×5, first 2 shown]
	s_waitcnt vmcnt(40) lgkmcnt(2)
	v_mul_f32_e32 v52, v179, v14
	s_waitcnt vmcnt(39)
	v_fmac_f32_e32 v29, v164, v21
	s_waitcnt vmcnt(38)
	v_fmac_f32_e32 v28, v162, v24
	;; [unrolled: 2-line block ×3, first 2 shown]
	v_add_f32_e32 v27, 0, v27
	v_add_f32_e32 v27, v27, v28
	;; [unrolled: 1-line block ×3, first 2 shown]
	s_waitcnt vmcnt(33)
	v_fmac_f32_e32 v30, v166, v146
	v_fmac_f32_e32 v31, v168, v23
	v_add_f32_e32 v27, v27, v30
	v_fmac_f32_e32 v32, v170, v20
	v_add_f32_e32 v27, v27, v31
	;; [unrolled: 2-line block ×3, first 2 shown]
	s_waitcnt vmcnt(29)
	v_fmac_f32_e32 v34, v174, v22
	v_add_f32_e32 v27, v27, v33
	v_fmac_f32_e32 v35, v176, v19
	v_add_f32_e32 v27, v27, v34
	;; [unrolled: 2-line block ×4, first 2 shown]
	v_add_f32_e32 v27, v27, v52
	buffer_load_dword v52, off, s[0:3], 0 offset:248
	buffer_load_dword v53, off, s[0:3], 0 offset:256
	;; [unrolled: 1-line block ×5, first 2 shown]
	ds_read2_b64 v[191:194], v1 offset0:83 offset1:84
	buffer_load_dword v57, off, s[0:3], 0 offset:272
	buffer_load_dword v58, off, s[0:3], 0 offset:276
	ds_read2_b64 v[195:198], v1 offset0:85 offset1:86
	buffer_load_dword v59, off, s[0:3], 0 offset:280
	buffer_load_dword v60, off, s[0:3], 0 offset:284
	;; [unrolled: 3-line block ×3, first 2 shown]
	buffer_load_dword v63, off, s[0:3], 0 offset:300
	buffer_load_dword v64, off, s[0:3], 0 offset:288
	ds_read2_b64 v[203:206], v1 offset0:89 offset1:90
	buffer_load_dword v65, off, s[0:3], 0 offset:304
	buffer_load_dword v66, off, s[0:3], 0 offset:308
	;; [unrolled: 1-line block ×16, first 2 shown]
	ds_read2_b64 v[207:210], v1 offset0:91 offset1:92
	buffer_load_dword v81, off, s[0:3], 0 offset:368
	buffer_load_dword v82, off, s[0:3], 0 offset:372
	ds_read2_b64 v[211:214], v1 offset0:93 offset1:94
	buffer_load_dword v83, off, s[0:3], 0 offset:376
	buffer_load_dword v84, off, s[0:3], 0 offset:380
	buffer_load_dword v85, off, s[0:3], 0 offset:388
	buffer_load_dword v86, off, s[0:3], 0 offset:392
	buffer_load_dword v87, off, s[0:3], 0 offset:396
	buffer_load_dword v88, off, s[0:3], 0 offset:384
	buffer_load_dword v89, off, s[0:3], 0 offset:400
	buffer_load_dword v90, off, s[0:3], 0 offset:404
	v_mul_f32_e32 v10, v160, v10
	buffer_load_dword v91, off, s[0:3], 0 offset:408
	buffer_load_dword v92, off, s[0:3], 0 offset:412
	buffer_load_dword v93, off, s[0:3], 0 offset:420
	buffer_load_dword v94, off, s[0:3], 0 offset:424
	buffer_load_dword v95, off, s[0:3], 0 offset:428
	buffer_load_dword v96, off, s[0:3], 0 offset:416
	v_fma_f32 v10, v159, v147, -v10
	v_mul_f32_e32 v9, v162, v9
	v_add_f32_e32 v10, 0, v10
	v_fma_f32 v9, v161, v24, -v9
	v_mul_f32_e32 v8, v164, v8
	v_add_f32_e32 v9, v10, v9
	;; [unrolled: 3-line block ×5, first 2 shown]
	v_fma_f32 v5, v169, v20, -v5
	v_mul_f32_e32 v4, v172, v4
	buffer_load_dword v97, off, s[0:3], 0 offset:432
	buffer_load_dword v98, off, s[0:3], 0 offset:436
	v_add_f32_e32 v5, v6, v5
	v_fma_f32 v4, v171, v17, -v4
	v_add_f32_e32 v4, v5, v4
	v_mul_f32_e32 v5, v174, v11
	v_fma_f32 v5, v173, v22, -v5
	v_add_f32_e32 v4, v4, v5
	v_mul_f32_e32 v5, v176, v12
	v_fma_f32 v5, v175, v19, -v5
	s_waitcnt vmcnt(62)
	v_mul_f32_e32 v28, v181, v18
	ds_read2_b64 v[215:218], v1 offset0:95 offset1:96
	buffer_load_dword v99, off, s[0:3], 0 offset:440
	buffer_load_dword v100, off, s[0:3], 0 offset:444
	;; [unrolled: 1-line block ×6, first 2 shown]
	v_add_f32_e32 v4, v4, v5
	v_mul_f32_e32 v5, v178, v13
	v_fmac_f32_e32 v28, v182, v154
	v_fma_f32 v5, v177, v16, -v5
	v_add_f32_e32 v27, v27, v28
	s_waitcnt lgkmcnt(8)
	v_mul_f32_e32 v28, v183, v153
	v_add_f32_e32 v4, v4, v5
	v_mul_f32_e32 v5, v180, v14
	v_fmac_f32_e32 v28, v184, v151
	v_fma_f32 v5, v179, v15, -v5
	v_add_f32_e32 v27, v27, v28
	v_mul_f32_e32 v28, v185, v152
	v_add_f32_e32 v4, v4, v5
	v_mul_f32_e32 v5, v182, v18
	v_fmac_f32_e32 v28, v186, v149
	ds_read2_b64 v[219:222], v1 offset0:97 offset1:98
	buffer_load_dword v255, off, s[0:3], 0 offset:468
	buffer_load_dword v105, off, s[0:3], 0 offset:472
	;; [unrolled: 1-line block ×4, first 2 shown]
	v_fma_f32 v5, v181, v154, -v5
	v_add_f32_e32 v27, v27, v28
	s_waitcnt lgkmcnt(8)
	v_mul_f32_e32 v28, v187, v150
	v_add_f32_e32 v4, v4, v5
	v_mul_f32_e32 v5, v184, v153
	v_fmac_f32_e32 v28, v188, v148
	v_fma_f32 v5, v183, v151, -v5
	v_add_f32_e32 v27, v27, v28
	v_mul_f32_e32 v28, v189, v155
	v_add_f32_e32 v4, v4, v5
	v_mul_f32_e32 v5, v186, v152
	s_waitcnt vmcnt(62)
	v_fmac_f32_e32 v28, v190, v40
	v_fma_f32 v5, v185, v149, -v5
	v_add_f32_e32 v27, v27, v28
	s_waitcnt lgkmcnt(7)
	v_mul_f32_e32 v28, v191, v157
	v_add_f32_e32 v4, v4, v5
	v_mul_f32_e32 v5, v188, v150
	v_fmac_f32_e32 v28, v192, v156
	v_fma_f32 v5, v187, v148, -v5
	v_add_f32_e32 v27, v27, v28
	v_mul_f32_e32 v28, v193, v37
	v_add_f32_e32 v4, v4, v5
	v_mul_f32_e32 v5, v190, v155
	v_fmac_f32_e32 v28, v194, v158
	v_fma_f32 v5, v189, v40, -v5
	v_add_f32_e32 v27, v27, v28
	s_waitcnt lgkmcnt(6)
	v_mul_f32_e32 v28, v195, v39
	v_add_f32_e32 v4, v4, v5
	v_mul_f32_e32 v5, v192, v157
	v_fmac_f32_e32 v28, v196, v38
	v_fma_f32 v5, v191, v156, -v5
	v_add_f32_e32 v27, v27, v28
	v_mul_f32_e32 v28, v197, v42
	v_add_f32_e32 v4, v4, v5
	v_mul_f32_e32 v5, v194, v37
	;; [unrolled: 13-line block ×3, first 2 shown]
	v_fmac_f32_e32 v28, v202, v45
	v_fma_f32 v5, v197, v41, -v5
	v_add_f32_e32 v27, v27, v28
	s_waitcnt vmcnt(60) lgkmcnt(4)
	v_mul_f32_e32 v28, v203, v48
	v_add_f32_e32 v4, v4, v5
	v_mul_f32_e32 v5, v200, v44
	v_fmac_f32_e32 v28, v204, v47
	v_fma_f32 v5, v199, v43, -v5
	v_add_f32_e32 v27, v27, v28
	s_waitcnt vmcnt(58)
	v_mul_f32_e32 v28, v205, v50
	v_add_f32_e32 v4, v4, v5
	v_mul_f32_e32 v5, v202, v46
	v_fmac_f32_e32 v28, v206, v49
	v_fma_f32 v5, v201, v45, -v5
	v_add_f32_e32 v27, v27, v28
	s_waitcnt vmcnt(57) lgkmcnt(3)
	v_mul_f32_e32 v28, v207, v51
	v_add_f32_e32 v4, v4, v5
	v_mul_f32_e32 v5, v204, v48
	s_waitcnt vmcnt(56)
	v_fmac_f32_e32 v28, v208, v52
	v_fma_f32 v5, v203, v47, -v5
	v_add_f32_e32 v27, v27, v28
	s_waitcnt vmcnt(54)
	v_mul_f32_e32 v28, v209, v54
	v_add_f32_e32 v4, v4, v5
	v_mul_f32_e32 v5, v206, v50
	v_fmac_f32_e32 v28, v210, v53
	v_fma_f32 v5, v205, v49, -v5
	v_add_f32_e32 v27, v27, v28
	s_waitcnt vmcnt(52) lgkmcnt(2)
	v_mul_f32_e32 v28, v211, v56
	v_add_f32_e32 v4, v4, v5
	v_mul_f32_e32 v5, v208, v51
	v_fmac_f32_e32 v28, v212, v55
	v_fma_f32 v5, v207, v52, -v5
	v_add_f32_e32 v27, v27, v28
	s_waitcnt vmcnt(50)
	v_mul_f32_e32 v28, v213, v58
	v_add_f32_e32 v4, v4, v5
	v_mul_f32_e32 v5, v210, v54
	v_fmac_f32_e32 v28, v214, v57
	v_fma_f32 v5, v209, v53, -v5
	v_add_f32_e32 v27, v27, v28
	s_waitcnt vmcnt(48) lgkmcnt(1)
	v_mul_f32_e32 v28, v215, v60
	v_add_f32_e32 v4, v4, v5
	v_mul_f32_e32 v5, v212, v56
	v_fmac_f32_e32 v28, v216, v59
	v_fma_f32 v5, v211, v55, -v5
	v_add_f32_e32 v27, v27, v28
	s_waitcnt vmcnt(47)
	v_mul_f32_e32 v28, v217, v61
	v_add_f32_e32 v4, v4, v5
	v_mul_f32_e32 v5, v214, v58
	s_waitcnt vmcnt(44)
	v_fmac_f32_e32 v28, v218, v64
	ds_read2_b64 v[223:226], v1 offset0:99 offset1:100
	ds_read2_b64 v[227:230], v1 offset0:101 offset1:102
	v_fma_f32 v5, v213, v57, -v5
	v_add_f32_e32 v27, v27, v28
	s_waitcnt lgkmcnt(2)
	v_mul_f32_e32 v28, v219, v63
	v_add_f32_e32 v4, v4, v5
	v_mul_f32_e32 v5, v216, v60
	v_fmac_f32_e32 v28, v220, v62
	v_fma_f32 v5, v215, v59, -v5
	v_add_f32_e32 v27, v27, v28
	s_waitcnt vmcnt(42)
	v_mul_f32_e32 v28, v221, v66
	v_add_f32_e32 v4, v4, v5
	v_mul_f32_e32 v5, v218, v61
	v_fmac_f32_e32 v28, v222, v65
	v_fma_f32 v5, v217, v64, -v5
	v_add_f32_e32 v27, v27, v28
	s_waitcnt vmcnt(40) lgkmcnt(1)
	v_mul_f32_e32 v28, v223, v68
	v_add_f32_e32 v4, v4, v5
	v_mul_f32_e32 v5, v220, v63
	v_fmac_f32_e32 v28, v224, v67
	v_fma_f32 v5, v219, v62, -v5
	v_add_f32_e32 v27, v27, v28
	s_waitcnt vmcnt(39)
	v_mul_f32_e32 v28, v225, v69
	v_add_f32_e32 v4, v4, v5
	v_mul_f32_e32 v5, v222, v66
	s_waitcnt vmcnt(36)
	v_fmac_f32_e32 v28, v226, v72
	ds_read2_b64 v[231:234], v1 offset0:103 offset1:104
	ds_read2_b64 v[235:238], v1 offset0:105 offset1:106
	v_fma_f32 v5, v221, v65, -v5
	v_add_f32_e32 v27, v27, v28
	s_waitcnt lgkmcnt(2)
	v_mul_f32_e32 v28, v227, v71
	v_add_f32_e32 v4, v4, v5
	v_mul_f32_e32 v5, v224, v68
	v_fmac_f32_e32 v28, v228, v70
	v_fma_f32 v5, v223, v67, -v5
	v_add_f32_e32 v27, v27, v28
	s_waitcnt vmcnt(34)
	v_mul_f32_e32 v28, v229, v74
	v_add_f32_e32 v4, v4, v5
	v_mul_f32_e32 v5, v226, v69
	v_fmac_f32_e32 v28, v230, v73
	v_fma_f32 v5, v225, v72, -v5
	v_add_f32_e32 v27, v27, v28
	s_waitcnt vmcnt(32) lgkmcnt(1)
	v_mul_f32_e32 v28, v231, v76
	v_add_f32_e32 v4, v4, v5
	v_mul_f32_e32 v5, v228, v71
	v_fmac_f32_e32 v28, v232, v75
	v_fma_f32 v5, v227, v70, -v5
	v_add_f32_e32 v27, v27, v28
	s_waitcnt vmcnt(31)
	v_mul_f32_e32 v28, v233, v77
	v_add_f32_e32 v4, v4, v5
	v_mul_f32_e32 v5, v230, v74
	s_waitcnt vmcnt(28)
	v_fmac_f32_e32 v28, v234, v80
	ds_read2_b64 v[239:242], v1 offset0:107 offset1:108
	ds_read2_b64 v[243:246], v1 offset0:109 offset1:110
	v_fma_f32 v5, v229, v73, -v5
	v_add_f32_e32 v27, v27, v28
	s_waitcnt lgkmcnt(2)
	v_mul_f32_e32 v28, v235, v79
	v_add_f32_e32 v4, v4, v5
	v_mul_f32_e32 v5, v232, v76
	v_fmac_f32_e32 v28, v236, v78
	v_fma_f32 v5, v231, v75, -v5
	v_add_f32_e32 v27, v27, v28
	s_waitcnt vmcnt(26)
	v_mul_f32_e32 v28, v237, v82
	v_add_f32_e32 v4, v4, v5
	v_mul_f32_e32 v5, v234, v77
	v_fmac_f32_e32 v28, v238, v81
	v_fma_f32 v5, v233, v80, -v5
	v_add_f32_e32 v27, v27, v28
	s_waitcnt vmcnt(24) lgkmcnt(1)
	v_mul_f32_e32 v28, v239, v84
	v_add_f32_e32 v4, v4, v5
	v_mul_f32_e32 v5, v236, v79
	v_fmac_f32_e32 v28, v240, v83
	v_fma_f32 v5, v235, v78, -v5
	v_add_f32_e32 v27, v27, v28
	s_waitcnt vmcnt(23)
	v_mul_f32_e32 v28, v241, v85
	v_add_f32_e32 v4, v4, v5
	v_mul_f32_e32 v5, v238, v82
	s_waitcnt vmcnt(20)
	v_fmac_f32_e32 v28, v242, v88
	ds_read2_b64 v[247:250], v1 offset0:111 offset1:112
	ds_read2_b64 v[251:254], v1 offset0:113 offset1:114
	v_fma_f32 v5, v237, v81, -v5
	v_add_f32_e32 v27, v27, v28
	s_waitcnt lgkmcnt(2)
	v_mul_f32_e32 v28, v243, v87
	v_add_f32_e32 v4, v4, v5
	v_mul_f32_e32 v5, v240, v84
	v_fmac_f32_e32 v28, v244, v86
	v_fma_f32 v5, v239, v83, -v5
	v_add_f32_e32 v27, v27, v28
	s_waitcnt vmcnt(18)
	v_mul_f32_e32 v28, v245, v90
	v_add_f32_e32 v4, v4, v5
	v_mul_f32_e32 v5, v242, v85
	v_fmac_f32_e32 v28, v246, v89
	v_fma_f32 v5, v241, v88, -v5
	v_add_f32_e32 v27, v27, v28
	s_waitcnt vmcnt(16) lgkmcnt(1)
	v_mul_f32_e32 v28, v247, v92
	v_add_f32_e32 v4, v4, v5
	v_mul_f32_e32 v5, v244, v87
	v_fmac_f32_e32 v28, v248, v91
	v_fma_f32 v5, v243, v86, -v5
	v_add_f32_e32 v27, v27, v28
	s_waitcnt vmcnt(15)
	v_mul_f32_e32 v28, v249, v93
	v_add_f32_e32 v4, v4, v5
	v_mul_f32_e32 v5, v246, v90
	s_waitcnt vmcnt(12)
	v_fmac_f32_e32 v28, v250, v96
	v_fma_f32 v5, v245, v89, -v5
	v_add_f32_e32 v27, v27, v28
	s_waitcnt lgkmcnt(0)
	v_mul_f32_e32 v28, v251, v95
	v_add_f32_e32 v4, v4, v5
	v_mul_f32_e32 v5, v248, v92
	v_fmac_f32_e32 v28, v252, v94
	v_fma_f32 v5, v247, v91, -v5
	v_add_f32_e32 v31, v27, v28
	ds_read2_b64 v[27:30], v1 offset0:115 offset1:116
	v_add_f32_e32 v4, v4, v5
	v_mul_f32_e32 v5, v250, v93
	v_fma_f32 v5, v249, v96, -v5
	v_add_f32_e32 v4, v4, v5
	v_mul_f32_e32 v5, v252, v95
	s_waitcnt vmcnt(10)
	v_mul_f32_e32 v32, v253, v98
	v_fma_f32 v5, v251, v94, -v5
	v_fmac_f32_e32 v32, v254, v97
	v_add_f32_e32 v4, v4, v5
	v_mul_f32_e32 v5, v254, v98
	v_add_f32_e32 v35, v31, v32
	ds_read2_b64 v[31:34], v1 offset0:117 offset1:118
	s_waitcnt vmcnt(8) lgkmcnt(1)
	v_mul_f32_e32 v36, v27, v100
	v_fma_f32 v5, v253, v97, -v5
	v_fmac_f32_e32 v36, v28, v99
	v_add_f32_e32 v4, v4, v5
	v_mul_f32_e32 v5, v28, v100
	v_add_f32_e32 v35, v35, v36
	s_waitcnt vmcnt(7)
	v_mul_f32_e32 v36, v29, v101
	v_fma_f32 v5, v27, v99, -v5
	s_waitcnt vmcnt(4)
	v_fmac_f32_e32 v36, v30, v104
	v_add_f32_e32 v4, v4, v5
	v_mul_f32_e32 v5, v30, v101
	v_add_f32_e32 v108, v35, v36
	ds_read_b64 v[35:36], v1 offset:952
	v_fma_f32 v5, v29, v104, -v5
	v_add_f32_e32 v4, v4, v5
	s_waitcnt lgkmcnt(1)
	v_mul_f32_e32 v5, v32, v103
	v_mul_f32_e32 v109, v31, v103
	v_fma_f32 v5, v31, v102, -v5
	v_fmac_f32_e32 v109, v32, v102
	v_add_f32_e32 v4, v4, v5
	s_waitcnt vmcnt(3)
	v_mul_f32_e32 v5, v34, v255
	v_add_f32_e32 v108, v108, v109
	v_mul_f32_e32 v109, v33, v255
	s_waitcnt vmcnt(0)
	v_fma_f32 v5, v33, v107, -v5
	v_fmac_f32_e32 v109, v34, v107
	v_add_f32_e32 v4, v4, v5
	s_waitcnt lgkmcnt(0)
	v_mul_f32_e32 v5, v36, v106
	v_add_f32_e32 v108, v108, v109
	v_mul_f32_e32 v109, v35, v106
	v_fma_f32 v5, v35, v105, -v5
	v_fmac_f32_e32 v109, v36, v105
	v_add_f32_e32 v4, v4, v5
	v_add_f32_e32 v108, v108, v109
	v_sub_f32_e32 v2, v2, v4
	v_sub_f32_e32 v3, v3, v108
	buffer_store_dword v2, off, s[0:3], 0 offset:48
	buffer_store_dword v3, off, s[0:3], 0 offset:52
	s_and_saveexec_b64 s[4:5], vcc
	s_cbranch_execz .LBB123_363
; %bb.362:
	buffer_load_dword v2, off, s[0:3], 0 offset:40
	buffer_load_dword v3, off, s[0:3], 0 offset:44
	s_waitcnt vmcnt(0)
	ds_write_b64 v145, v[2:3]
	buffer_store_dword v1, off, s[0:3], 0 offset:40
	buffer_store_dword v1, off, s[0:3], 0 offset:44
.LBB123_363:
	s_or_b64 exec, exec, s[4:5]
	s_waitcnt lgkmcnt(0)
	; wave barrier
	buffer_load_dword v10, off, s[0:3], 0 offset:52
	buffer_load_dword v9, off, s[0:3], 0 offset:60
	;; [unrolled: 1-line block ×40, first 2 shown]
	ds_read_b128 v[27:30], v1 offset:528
	ds_read_b128 v[31:34], v1 offset:544
	;; [unrolled: 1-line block ×6, first 2 shown]
	buffer_load_dword v42, off, s[0:3], 0 offset:200
	buffer_load_dword v43, off, s[0:3], 0 offset:204
	;; [unrolled: 1-line block ×12, first 2 shown]
	ds_read_b128 v[172:175], v1 offset:624
	ds_read_b128 v[176:179], v1 offset:640
	v_cmp_lt_u32_e32 vcc, 4, v0
	s_waitcnt vmcnt(51) lgkmcnt(7)
	v_mul_f32_e32 v54, v27, v10
	s_waitcnt vmcnt(50)
	v_mul_f32_e32 v55, v29, v9
	s_waitcnt vmcnt(49) lgkmcnt(6)
	v_mul_f32_e32 v56, v31, v8
	s_waitcnt vmcnt(48)
	v_mul_f32_e32 v57, v33, v7
	;; [unrolled: 4-line block ×5, first 2 shown]
	s_waitcnt vmcnt(41) lgkmcnt(2)
	v_mul_f32_e32 v64, v168, v14
	s_waitcnt vmcnt(40)
	v_fmac_f32_e32 v56, v32, v21
	s_waitcnt vmcnt(39)
	v_fmac_f32_e32 v55, v30, v24
	;; [unrolled: 2-line block ×3, first 2 shown]
	v_add_f32_e32 v54, 0, v54
	v_add_f32_e32 v54, v54, v55
	;; [unrolled: 1-line block ×3, first 2 shown]
	s_waitcnt vmcnt(34)
	v_fmac_f32_e32 v57, v34, v146
	v_fmac_f32_e32 v58, v157, v23
	v_add_f32_e32 v54, v54, v57
	v_fmac_f32_e32 v59, v159, v20
	v_add_f32_e32 v54, v54, v58
	;; [unrolled: 2-line block ×3, first 2 shown]
	s_waitcnt vmcnt(30)
	v_fmac_f32_e32 v61, v163, v22
	v_add_f32_e32 v54, v54, v60
	v_fmac_f32_e32 v62, v165, v19
	v_add_f32_e32 v54, v54, v61
	;; [unrolled: 2-line block ×4, first 2 shown]
	s_waitcnt vmcnt(29)
	v_mul_f32_e32 v55, v170, v18
	v_add_f32_e32 v54, v54, v64
	s_waitcnt vmcnt(25)
	v_fmac_f32_e32 v55, v171, v154
	v_add_f32_e32 v54, v54, v55
	s_waitcnt vmcnt(24) lgkmcnt(1)
	v_mul_f32_e32 v55, v172, v153
	buffer_load_dword v56, off, s[0:3], 0 offset:252
	buffer_load_dword v57, off, s[0:3], 0 offset:248
	buffer_load_dword v58, off, s[0:3], 0 offset:256
	buffer_load_dword v59, off, s[0:3], 0 offset:260
	v_fmac_f32_e32 v55, v173, v151
	v_add_f32_e32 v54, v54, v55
	s_waitcnt vmcnt(27)
	v_mul_f32_e32 v55, v174, v152
	v_fmac_f32_e32 v55, v175, v149
	v_add_f32_e32 v54, v54, v55
	buffer_load_dword v55, off, s[0:3], 0 offset:264
	buffer_load_dword v60, off, s[0:3], 0 offset:268
	ds_read_b128 v[180:183], v1 offset:656
	ds_read_b128 v[184:187], v1 offset:672
	s_waitcnt vmcnt(28) lgkmcnt(2)
	v_mul_f32_e32 v61, v176, v150
	v_fmac_f32_e32 v61, v177, v148
	v_add_f32_e32 v54, v54, v61
	s_waitcnt vmcnt(27)
	v_mul_f32_e32 v61, v178, v155
	s_waitcnt vmcnt(21)
	v_fmac_f32_e32 v61, v179, v40
	v_add_f32_e32 v54, v54, v61
	s_waitcnt vmcnt(20) lgkmcnt(1)
	v_mul_f32_e32 v61, v180, v41
	v_fmac_f32_e32 v61, v181, v39
	v_add_f32_e32 v54, v54, v61
	v_mul_f32_e32 v61, v182, v36
	buffer_load_dword v62, off, s[0:3], 0 offset:276
	v_fmac_f32_e32 v61, v183, v35
	buffer_load_dword v63, off, s[0:3], 0 offset:272
	buffer_load_dword v64, off, s[0:3], 0 offset:280
	;; [unrolled: 1-line block ×3, first 2 shown]
	ds_read_b128 v[188:191], v1 offset:688
	v_add_f32_e32 v54, v54, v61
	s_waitcnt lgkmcnt(1)
	v_mul_f32_e32 v61, v184, v38
	v_fmac_f32_e32 v61, v185, v37
	v_add_f32_e32 v54, v54, v61
	s_waitcnt vmcnt(20)
	v_mul_f32_e32 v61, v186, v43
	v_fmac_f32_e32 v61, v187, v42
	buffer_load_dword v66, off, s[0:3], 0 offset:288
	buffer_load_dword v67, off, s[0:3], 0 offset:292
	v_add_f32_e32 v54, v54, v61
	s_waitcnt vmcnt(20) lgkmcnt(0)
	v_mul_f32_e32 v61, v188, v45
	v_fmac_f32_e32 v61, v189, v44
	ds_read_b128 v[192:195], v1 offset:704
	v_add_f32_e32 v54, v54, v61
	buffer_load_dword v61, off, s[0:3], 0 offset:296
	buffer_load_dword v68, off, s[0:3], 0 offset:300
	s_waitcnt vmcnt(20)
	v_mul_f32_e32 v69, v190, v47
	v_fmac_f32_e32 v69, v191, v46
	buffer_load_dword v70, off, s[0:3], 0 offset:304
	buffer_load_dword v71, off, s[0:3], 0 offset:308
	;; [unrolled: 1-line block ×6, first 2 shown]
	v_add_f32_e32 v54, v54, v69
	s_waitcnt vmcnt(24) lgkmcnt(0)
	v_mul_f32_e32 v69, v192, v49
	v_fmac_f32_e32 v69, v193, v48
	v_add_f32_e32 v54, v54, v69
	buffer_load_dword v69, off, s[0:3], 0 offset:328
	buffer_load_dword v76, off, s[0:3], 0 offset:332
	ds_read_b128 v[196:199], v1 offset:720
	buffer_load_dword v78, off, s[0:3], 0 offset:336
	buffer_load_dword v79, off, s[0:3], 0 offset:340
	buffer_load_dword v80, off, s[0:3], 0 offset:348
	buffer_load_dword v81, off, s[0:3], 0 offset:352
	buffer_load_dword v82, off, s[0:3], 0 offset:356
	buffer_load_dword v83, off, s[0:3], 0 offset:344
	ds_read_b128 v[200:203], v1 offset:736
	buffer_load_dword v84, off, s[0:3], 0 offset:360
	buffer_load_dword v85, off, s[0:3], 0 offset:364
	s_waitcnt vmcnt(32)
	v_mul_f32_e32 v77, v194, v51
	v_fmac_f32_e32 v77, v195, v50
	v_add_f32_e32 v54, v54, v77
	s_waitcnt vmcnt(30) lgkmcnt(1)
	v_mul_f32_e32 v77, v196, v53
	v_fmac_f32_e32 v77, v197, v52
	v_add_f32_e32 v54, v54, v77
	buffer_load_dword v77, off, s[0:3], 0 offset:368
	buffer_load_dword v86, off, s[0:3], 0 offset:372
	;; [unrolled: 1-line block ×8, first 2 shown]
	v_mul_f32_e32 v10, v28, v10
	v_fma_f32 v10, v27, v147, -v10
	v_mul_f32_e32 v9, v30, v9
	v_add_f32_e32 v10, 0, v10
	v_fma_f32 v9, v29, v24, -v9
	v_mul_f32_e32 v8, v32, v8
	v_add_f32_e32 v9, v10, v9
	;; [unrolled: 3-line block ×6, first 2 shown]
	v_fma_f32 v2, v160, v17, -v2
	v_add_f32_e32 v2, v3, v2
	s_waitcnt vmcnt(37)
	v_mul_f32_e32 v91, v198, v56
	s_waitcnt vmcnt(36)
	v_fmac_f32_e32 v91, v199, v57
	v_add_f32_e32 v54, v54, v91
	s_waitcnt vmcnt(34) lgkmcnt(0)
	v_mul_f32_e32 v91, v200, v59
	v_fmac_f32_e32 v91, v201, v58
	v_add_f32_e32 v54, v54, v91
	buffer_load_dword v91, off, s[0:3], 0 offset:400
	buffer_load_dword v94, off, s[0:3], 0 offset:404
	buffer_load_dword v95, off, s[0:3], 0 offset:412
	buffer_load_dword v96, off, s[0:3], 0 offset:416
	buffer_load_dword v97, off, s[0:3], 0 offset:420
	buffer_load_dword v98, off, s[0:3], 0 offset:408
	ds_read_b128 v[204:207], v1 offset:752
	v_mul_f32_e32 v3, v163, v11
	s_waitcnt vmcnt(38)
	v_mul_f32_e32 v99, v202, v60
	v_fmac_f32_e32 v99, v203, v55
	v_add_f32_e32 v54, v54, v99
	buffer_load_dword v99, off, s[0:3], 0 offset:424
	buffer_load_dword v100, off, s[0:3], 0 offset:428
	v_fma_f32 v3, v162, v22, -v3
	v_add_f32_e32 v2, v2, v3
	v_mul_f32_e32 v3, v165, v12
	v_fma_f32 v3, v164, v19, -v3
	v_add_f32_e32 v2, v2, v3
	v_mul_f32_e32 v3, v167, v13
	ds_read_b128 v[208:211], v1 offset:768
	buffer_load_dword v102, off, s[0:3], 0 offset:432
	buffer_load_dword v103, off, s[0:3], 0 offset:436
	;; [unrolled: 1-line block ×6, first 2 shown]
	v_fma_f32 v3, v166, v16, -v3
	v_add_f32_e32 v2, v2, v3
	v_mul_f32_e32 v3, v169, v14
	v_fma_f32 v3, v168, v15, -v3
	v_add_f32_e32 v2, v2, v3
	v_mul_f32_e32 v3, v171, v18
	;; [unrolled: 3-line block ×3, first 2 shown]
	buffer_load_dword v108, off, s[0:3], 0 offset:456
	buffer_load_dword v109, off, s[0:3], 0 offset:460
	;; [unrolled: 1-line block ×6, first 2 shown]
	v_fma_f32 v3, v172, v151, -v3
	v_add_f32_e32 v2, v2, v3
	v_mul_f32_e32 v3, v175, v152
	v_fma_f32 v3, v174, v149, -v3
	v_add_f32_e32 v2, v2, v3
	v_mul_f32_e32 v3, v177, v150
	;; [unrolled: 3-line block ×15, first 2 shown]
	v_fma_f32 v3, v202, v55, -v3
	v_add_f32_e32 v2, v2, v3
	s_waitcnt vmcnt(51) lgkmcnt(1)
	v_mul_f32_e32 v3, v205, v62
	v_mul_f32_e32 v101, v204, v62
	s_waitcnt vmcnt(50)
	v_fma_f32 v3, v204, v63, -v3
	v_fmac_f32_e32 v101, v205, v63
	v_add_f32_e32 v2, v2, v3
	s_waitcnt vmcnt(48)
	v_mul_f32_e32 v3, v207, v65
	v_add_f32_e32 v54, v54, v101
	v_mul_f32_e32 v101, v206, v65
	ds_read_b128 v[212:215], v1 offset:784
	ds_read_b128 v[216:219], v1 offset:800
	v_fma_f32 v3, v206, v64, -v3
	v_fmac_f32_e32 v101, v207, v64
	v_add_f32_e32 v2, v2, v3
	s_waitcnt vmcnt(46) lgkmcnt(2)
	v_mul_f32_e32 v3, v209, v67
	v_add_f32_e32 v54, v54, v101
	v_mul_f32_e32 v101, v208, v67
	v_fma_f32 v3, v208, v66, -v3
	v_fmac_f32_e32 v101, v209, v66
	v_add_f32_e32 v2, v2, v3
	s_waitcnt vmcnt(44)
	v_mul_f32_e32 v3, v211, v68
	v_add_f32_e32 v54, v54, v101
	v_mul_f32_e32 v101, v210, v68
	v_fma_f32 v3, v210, v61, -v3
	v_fmac_f32_e32 v101, v211, v61
	v_add_f32_e32 v2, v2, v3
	s_waitcnt vmcnt(42) lgkmcnt(1)
	v_mul_f32_e32 v3, v213, v71
	v_add_f32_e32 v54, v54, v101
	v_mul_f32_e32 v101, v212, v71
	v_fma_f32 v3, v212, v70, -v3
	v_fmac_f32_e32 v101, v213, v70
	v_add_f32_e32 v2, v2, v3
	s_waitcnt vmcnt(41)
	v_mul_f32_e32 v3, v215, v72
	v_add_f32_e32 v54, v54, v101
	v_mul_f32_e32 v101, v214, v72
	ds_read_b128 v[220:223], v1 offset:816
	ds_read_b128 v[224:227], v1 offset:832
	s_waitcnt vmcnt(38)
	v_fma_f32 v3, v214, v75, -v3
	v_fmac_f32_e32 v101, v215, v75
	v_add_f32_e32 v2, v2, v3
	s_waitcnt lgkmcnt(2)
	v_mul_f32_e32 v3, v217, v74
	v_add_f32_e32 v54, v54, v101
	v_mul_f32_e32 v101, v216, v74
	v_fma_f32 v3, v216, v73, -v3
	v_fmac_f32_e32 v101, v217, v73
	v_add_f32_e32 v2, v2, v3
	s_waitcnt vmcnt(36)
	v_mul_f32_e32 v3, v219, v76
	v_add_f32_e32 v54, v54, v101
	v_mul_f32_e32 v101, v218, v76
	v_fma_f32 v3, v218, v69, -v3
	v_fmac_f32_e32 v101, v219, v69
	v_add_f32_e32 v2, v2, v3
	s_waitcnt vmcnt(34) lgkmcnt(1)
	v_mul_f32_e32 v3, v221, v79
	v_add_f32_e32 v54, v54, v101
	v_mul_f32_e32 v101, v220, v79
	v_fma_f32 v3, v220, v78, -v3
	v_fmac_f32_e32 v101, v221, v78
	v_add_f32_e32 v2, v2, v3
	s_waitcnt vmcnt(33)
	v_mul_f32_e32 v3, v223, v80
	v_add_f32_e32 v54, v54, v101
	v_mul_f32_e32 v101, v222, v80
	ds_read_b128 v[228:231], v1 offset:848
	ds_read_b128 v[232:235], v1 offset:864
	s_waitcnt vmcnt(30)
	v_fma_f32 v3, v222, v83, -v3
	v_fmac_f32_e32 v101, v223, v83
	v_add_f32_e32 v2, v2, v3
	s_waitcnt lgkmcnt(2)
	;; [unrolled: 31-line block ×4, first 2 shown]
	v_mul_f32_e32 v3, v241, v97
	v_add_f32_e32 v54, v54, v101
	v_mul_f32_e32 v101, v240, v97
	v_fma_f32 v3, v240, v96, -v3
	v_fmac_f32_e32 v101, v241, v96
	v_add_f32_e32 v2, v2, v3
	s_waitcnt vmcnt(12)
	v_mul_f32_e32 v3, v243, v100
	v_add_f32_e32 v54, v54, v101
	v_mul_f32_e32 v101, v242, v100
	v_fma_f32 v3, v242, v99, -v3
	v_fmac_f32_e32 v101, v243, v99
	v_add_f32_e32 v2, v2, v3
	s_waitcnt vmcnt(10) lgkmcnt(1)
	v_mul_f32_e32 v3, v245, v103
	v_add_f32_e32 v54, v54, v101
	v_mul_f32_e32 v101, v244, v103
	v_fma_f32 v3, v244, v102, -v3
	v_fmac_f32_e32 v101, v245, v102
	v_add_f32_e32 v2, v2, v3
	s_waitcnt vmcnt(9)
	v_mul_f32_e32 v3, v247, v104
	v_add_f32_e32 v54, v54, v101
	v_mul_f32_e32 v101, v246, v104
	ds_read_b128 v[252:255], v1 offset:944
	s_waitcnt vmcnt(6)
	v_fma_f32 v3, v246, v107, -v3
	v_fmac_f32_e32 v101, v247, v107
	v_add_f32_e32 v2, v2, v3
	s_waitcnt lgkmcnt(1)
	v_mul_f32_e32 v3, v249, v106
	v_add_f32_e32 v54, v54, v101
	v_mul_f32_e32 v101, v248, v106
	v_fma_f32 v3, v248, v105, -v3
	v_fmac_f32_e32 v101, v249, v105
	v_add_f32_e32 v2, v2, v3
	s_waitcnt vmcnt(4)
	v_mul_f32_e32 v3, v251, v109
	v_add_f32_e32 v1, v54, v101
	v_mul_f32_e32 v54, v250, v109
	v_fma_f32 v3, v250, v108, -v3
	v_fmac_f32_e32 v54, v251, v108
	v_add_f32_e32 v2, v2, v3
	s_waitcnt vmcnt(3) lgkmcnt(0)
	v_mul_f32_e32 v3, v253, v110
	v_add_f32_e32 v1, v1, v54
	v_mul_f32_e32 v54, v252, v110
	s_waitcnt vmcnt(0)
	v_fma_f32 v3, v252, v113, -v3
	v_fmac_f32_e32 v54, v253, v113
	v_add_f32_e32 v2, v2, v3
	v_mul_f32_e32 v3, v255, v112
	v_add_f32_e32 v1, v1, v54
	v_mul_f32_e32 v54, v254, v112
	v_fma_f32 v3, v254, v111, -v3
	v_fmac_f32_e32 v54, v255, v111
	v_add_f32_e32 v2, v2, v3
	v_add_f32_e32 v1, v1, v54
	v_sub_f32_e32 v2, v4, v2
	v_sub_f32_e32 v1, v5, v1
	buffer_store_dword v2, off, s[0:3], 0 offset:40
	buffer_store_dword v1, off, s[0:3], 0 offset:44
	s_and_saveexec_b64 s[4:5], vcc
	s_cbranch_execz .LBB123_365
; %bb.364:
	buffer_load_dword v1, off, s[0:3], 0 offset:32
	buffer_load_dword v2, off, s[0:3], 0 offset:36
	v_mov_b32_e32 v3, 0
	buffer_store_dword v3, off, s[0:3], 0 offset:32
	buffer_store_dword v3, off, s[0:3], 0 offset:36
	s_waitcnt vmcnt(2)
	ds_write_b64 v145, v[1:2]
.LBB123_365:
	s_or_b64 exec, exec, s[4:5]
	s_waitcnt lgkmcnt(0)
	; wave barrier
	buffer_load_dword v10, off, s[0:3], 0 offset:44
	buffer_load_dword v9, off, s[0:3], 0 offset:52
	;; [unrolled: 1-line block ×40, first 2 shown]
	v_mov_b32_e32 v1, 0
	buffer_load_dword v46, off, s[0:3], 0 offset:192
	buffer_load_dword v47, off, s[0:3], 0 offset:196
	;; [unrolled: 1-line block ×12, first 2 shown]
	ds_read2_b64 v[27:30], v1 offset0:65 offset1:66
	ds_read2_b64 v[31:34], v1 offset0:67 offset1:68
	;; [unrolled: 1-line block ×6, first 2 shown]
	buffer_load_dword v59, off, s[0:3], 0 offset:240
	buffer_load_dword v60, off, s[0:3], 0 offset:244
	ds_read2_b64 v[178:181], v1 offset0:77 offset1:78
	v_cmp_lt_u32_e32 vcc, 3, v0
	s_waitcnt vmcnt(53) lgkmcnt(6)
	v_mul_f32_e32 v35, v27, v10
	s_waitcnt vmcnt(52)
	v_mul_f32_e32 v36, v29, v9
	s_waitcnt vmcnt(51) lgkmcnt(5)
	v_mul_f32_e32 v37, v31, v8
	s_waitcnt vmcnt(50)
	v_mul_f32_e32 v38, v33, v7
	;; [unrolled: 4-line block ×5, first 2 shown]
	s_waitcnt vmcnt(43) lgkmcnt(1)
	v_mul_f32_e32 v58, v174, v14
	s_waitcnt vmcnt(42)
	v_fmac_f32_e32 v37, v32, v21
	s_waitcnt vmcnt(41)
	v_fmac_f32_e32 v36, v30, v24
	;; [unrolled: 2-line block ×3, first 2 shown]
	v_add_f32_e32 v35, 0, v35
	v_add_f32_e32 v35, v35, v36
	;; [unrolled: 1-line block ×3, first 2 shown]
	s_waitcnt vmcnt(36)
	v_fmac_f32_e32 v38, v34, v146
	v_fmac_f32_e32 v39, v163, v23
	v_add_f32_e32 v35, v35, v38
	v_fmac_f32_e32 v40, v165, v20
	v_add_f32_e32 v35, v35, v39
	;; [unrolled: 2-line block ×3, first 2 shown]
	s_waitcnt vmcnt(32)
	v_fmac_f32_e32 v42, v169, v22
	v_add_f32_e32 v35, v35, v41
	v_fmac_f32_e32 v43, v171, v19
	v_add_f32_e32 v35, v35, v42
	;; [unrolled: 2-line block ×3, first 2 shown]
	v_add_f32_e32 v35, v35, v44
	v_fmac_f32_e32 v58, v175, v15
	v_add_f32_e32 v35, v35, v58
	buffer_load_dword v58, off, s[0:3], 0 offset:248
	buffer_load_dword v61, off, s[0:3], 0 offset:252
	ds_read2_b64 v[182:185], v1 offset0:79 offset1:80
	buffer_load_dword v62, off, s[0:3], 0 offset:256
	buffer_load_dword v63, off, s[0:3], 0 offset:260
	ds_read2_b64 v[186:189], v1 offset0:81 offset1:82
	;; [unrolled: 3-line block ×3, first 2 shown]
	buffer_load_dword v66, off, s[0:3], 0 offset:276
	buffer_load_dword v67, off, s[0:3], 0 offset:272
	;; [unrolled: 1-line block ×4, first 2 shown]
	ds_read2_b64 v[194:197], v1 offset0:85 offset1:86
	ds_read2_b64 v[198:201], v1 offset0:87 offset1:88
	buffer_load_dword v70, off, s[0:3], 0 offset:288
	buffer_load_dword v71, off, s[0:3], 0 offset:292
	;; [unrolled: 1-line block ×10, first 2 shown]
	ds_read2_b64 v[202:205], v1 offset0:89 offset1:90
	buffer_load_dword v80, off, s[0:3], 0 offset:328
	buffer_load_dword v81, off, s[0:3], 0 offset:332
	;; [unrolled: 1-line block ×6, first 2 shown]
	ds_read2_b64 v[206:209], v1 offset0:91 offset1:92
	buffer_load_dword v86, off, s[0:3], 0 offset:352
	buffer_load_dword v87, off, s[0:3], 0 offset:356
	;; [unrolled: 1-line block ×10, first 2 shown]
	v_mul_f32_e32 v10, v28, v10
	ds_read2_b64 v[210:213], v1 offset0:93 offset1:94
	buffer_load_dword v96, off, s[0:3], 0 offset:392
	buffer_load_dword v97, off, s[0:3], 0 offset:396
	;; [unrolled: 1-line block ×6, first 2 shown]
	v_fma_f32 v10, v27, v147, -v10
	v_mul_f32_e32 v9, v30, v9
	v_add_f32_e32 v10, 0, v10
	v_fma_f32 v9, v29, v24, -v9
	v_mul_f32_e32 v8, v32, v8
	v_add_f32_e32 v9, v10, v9
	v_fma_f32 v8, v31, v21, -v8
	v_mul_f32_e32 v7, v34, v7
	ds_read2_b64 v[214:217], v1 offset0:95 offset1:96
	buffer_load_dword v102, off, s[0:3], 0 offset:416
	buffer_load_dword v103, off, s[0:3], 0 offset:420
	v_add_f32_e32 v8, v9, v8
	v_fma_f32 v7, v33, v146, -v7
	v_mul_f32_e32 v6, v163, v6
	v_add_f32_e32 v7, v8, v7
	v_fma_f32 v6, v162, v23, -v6
	v_mul_f32_e32 v5, v165, v5
	;; [unrolled: 3-line block ×3, first 2 shown]
	v_add_f32_e32 v5, v6, v5
	v_fma_f32 v4, v166, v17, -v4
	v_add_f32_e32 v4, v5, v4
	v_mul_f32_e32 v5, v169, v11
	v_fma_f32 v5, v168, v22, -v5
	buffer_load_dword v104, off, s[0:3], 0 offset:424
	buffer_load_dword v105, off, s[0:3], 0 offset:428
	;; [unrolled: 1-line block ×6, first 2 shown]
	v_add_f32_e32 v4, v4, v5
	v_mul_f32_e32 v5, v171, v12
	v_fma_f32 v5, v170, v19, -v5
	s_waitcnt vmcnt(62)
	v_mul_f32_e32 v36, v176, v18
	v_add_f32_e32 v4, v4, v5
	v_mul_f32_e32 v5, v173, v13
	v_fmac_f32_e32 v36, v177, v155
	v_fma_f32 v5, v172, v16, -v5
	v_add_f32_e32 v35, v35, v36
	s_waitcnt lgkmcnt(9)
	v_mul_f32_e32 v36, v178, v153
	v_add_f32_e32 v4, v4, v5
	v_mul_f32_e32 v5, v175, v14
	v_fmac_f32_e32 v36, v179, v151
	buffer_load_dword v110, off, s[0:3], 0 offset:448
	buffer_load_dword v111, off, s[0:3], 0 offset:452
	v_fma_f32 v5, v174, v15, -v5
	v_add_f32_e32 v35, v35, v36
	v_mul_f32_e32 v36, v180, v152
	v_add_f32_e32 v4, v4, v5
	v_mul_f32_e32 v5, v177, v18
	v_fmac_f32_e32 v36, v181, v150
	v_fma_f32 v5, v176, v155, -v5
	v_add_f32_e32 v35, v35, v36
	s_waitcnt lgkmcnt(8)
	v_mul_f32_e32 v36, v182, v149
	v_add_f32_e32 v4, v4, v5
	v_mul_f32_e32 v5, v179, v153
	v_fmac_f32_e32 v36, v183, v148
	v_fma_f32 v5, v178, v151, -v5
	v_add_f32_e32 v35, v35, v36
	v_mul_f32_e32 v36, v184, v154
	v_add_f32_e32 v4, v4, v5
	v_mul_f32_e32 v5, v181, v152
	v_fmac_f32_e32 v36, v185, v45
	buffer_load_dword v112, off, s[0:3], 0 offset:456
	buffer_load_dword v113, off, s[0:3], 0 offset:460
	;; [unrolled: 1-line block ×6, first 2 shown]
	v_fma_f32 v5, v180, v150, -v5
	v_add_f32_e32 v35, v35, v36
	s_waitcnt lgkmcnt(7)
	v_mul_f32_e32 v36, v186, v157
	v_add_f32_e32 v4, v4, v5
	v_mul_f32_e32 v5, v183, v149
	v_fmac_f32_e32 v36, v187, v156
	v_fma_f32 v5, v182, v148, -v5
	v_add_f32_e32 v35, v35, v36
	v_mul_f32_e32 v36, v188, v159
	v_add_f32_e32 v4, v4, v5
	v_mul_f32_e32 v5, v185, v154
	v_fmac_f32_e32 v36, v189, v158
	v_fma_f32 v5, v184, v45, -v5
	v_add_f32_e32 v35, v35, v36
	s_waitcnt lgkmcnt(6)
	v_mul_f32_e32 v36, v190, v161
	v_add_f32_e32 v4, v4, v5
	v_mul_f32_e32 v5, v187, v157
	v_fmac_f32_e32 v36, v191, v160
	v_fma_f32 v5, v186, v156, -v5
	v_add_f32_e32 v35, v35, v36
	v_mul_f32_e32 v36, v192, v47
	v_add_f32_e32 v4, v4, v5
	v_mul_f32_e32 v5, v189, v159
	v_fmac_f32_e32 v36, v193, v46
	v_fma_f32 v5, v188, v158, -v5
	v_add_f32_e32 v35, v35, v36
	s_waitcnt vmcnt(62) lgkmcnt(5)
	v_mul_f32_e32 v36, v194, v49
	v_add_f32_e32 v4, v4, v5
	v_mul_f32_e32 v5, v191, v161
	v_fmac_f32_e32 v36, v195, v48
	v_fma_f32 v5, v190, v160, -v5
	v_add_f32_e32 v35, v35, v36
	v_mul_f32_e32 v36, v196, v51
	v_add_f32_e32 v4, v4, v5
	v_mul_f32_e32 v5, v193, v47
	v_fmac_f32_e32 v36, v197, v50
	v_fma_f32 v5, v192, v46, -v5
	v_add_f32_e32 v35, v35, v36
	s_waitcnt lgkmcnt(4)
	v_mul_f32_e32 v36, v198, v53
	v_add_f32_e32 v4, v4, v5
	v_mul_f32_e32 v5, v195, v49
	v_fmac_f32_e32 v36, v199, v52
	v_fma_f32 v5, v194, v48, -v5
	v_add_f32_e32 v35, v35, v36
	v_mul_f32_e32 v36, v200, v55
	v_add_f32_e32 v4, v4, v5
	v_mul_f32_e32 v5, v197, v51
	v_fmac_f32_e32 v36, v201, v54
	v_fma_f32 v5, v196, v50, -v5
	v_add_f32_e32 v35, v35, v36
	s_waitcnt vmcnt(60) lgkmcnt(3)
	v_mul_f32_e32 v36, v202, v57
	v_add_f32_e32 v4, v4, v5
	v_mul_f32_e32 v5, v199, v53
	v_fmac_f32_e32 v36, v203, v56
	v_fma_f32 v5, v198, v52, -v5
	v_add_f32_e32 v35, v35, v36
	s_waitcnt vmcnt(58)
	v_mul_f32_e32 v36, v204, v60
	v_add_f32_e32 v4, v4, v5
	v_mul_f32_e32 v5, v201, v55
	v_fmac_f32_e32 v36, v205, v59
	v_fma_f32 v5, v200, v54, -v5
	v_add_f32_e32 v35, v35, v36
	s_waitcnt vmcnt(56) lgkmcnt(2)
	v_mul_f32_e32 v36, v206, v61
	v_add_f32_e32 v4, v4, v5
	v_mul_f32_e32 v5, v203, v57
	v_fmac_f32_e32 v36, v207, v58
	v_fma_f32 v5, v202, v56, -v5
	v_add_f32_e32 v35, v35, v36
	s_waitcnt vmcnt(54)
	;; [unrolled: 14-line block ×3, first 2 shown]
	v_mul_f32_e32 v36, v212, v66
	v_add_f32_e32 v4, v4, v5
	v_mul_f32_e32 v5, v209, v63
	s_waitcnt vmcnt(50)
	v_fmac_f32_e32 v36, v213, v67
	ds_read2_b64 v[218:221], v1 offset0:97 offset1:98
	ds_read2_b64 v[222:225], v1 offset0:99 offset1:100
	v_fma_f32 v5, v208, v62, -v5
	v_add_f32_e32 v35, v35, v36
	s_waitcnt vmcnt(48) lgkmcnt(2)
	v_mul_f32_e32 v36, v214, v69
	v_add_f32_e32 v4, v4, v5
	v_mul_f32_e32 v5, v211, v65
	v_fmac_f32_e32 v36, v215, v68
	v_fma_f32 v5, v210, v64, -v5
	v_add_f32_e32 v35, v35, v36
	s_waitcnt vmcnt(46)
	v_mul_f32_e32 v36, v216, v71
	v_add_f32_e32 v4, v4, v5
	v_mul_f32_e32 v5, v213, v66
	v_fmac_f32_e32 v36, v217, v70
	v_fma_f32 v5, v212, v67, -v5
	v_add_f32_e32 v35, v35, v36
	s_waitcnt vmcnt(44) lgkmcnt(1)
	v_mul_f32_e32 v36, v218, v73
	v_add_f32_e32 v4, v4, v5
	v_mul_f32_e32 v5, v215, v69
	v_fmac_f32_e32 v36, v219, v72
	v_fma_f32 v5, v214, v68, -v5
	v_add_f32_e32 v35, v35, v36
	s_waitcnt vmcnt(43)
	v_mul_f32_e32 v36, v220, v74
	v_add_f32_e32 v4, v4, v5
	v_mul_f32_e32 v5, v217, v71
	s_waitcnt vmcnt(40)
	v_fmac_f32_e32 v36, v221, v77
	ds_read2_b64 v[226:229], v1 offset0:101 offset1:102
	ds_read2_b64 v[230:233], v1 offset0:103 offset1:104
	v_fma_f32 v5, v216, v70, -v5
	v_add_f32_e32 v35, v35, v36
	s_waitcnt lgkmcnt(2)
	v_mul_f32_e32 v36, v222, v76
	v_add_f32_e32 v4, v4, v5
	v_mul_f32_e32 v5, v219, v73
	v_fmac_f32_e32 v36, v223, v75
	v_fma_f32 v5, v218, v72, -v5
	v_add_f32_e32 v35, v35, v36
	s_waitcnt vmcnt(38)
	v_mul_f32_e32 v36, v224, v79
	v_add_f32_e32 v4, v4, v5
	v_mul_f32_e32 v5, v221, v74
	v_fmac_f32_e32 v36, v225, v78
	v_fma_f32 v5, v220, v77, -v5
	v_add_f32_e32 v35, v35, v36
	s_waitcnt vmcnt(36) lgkmcnt(1)
	v_mul_f32_e32 v36, v226, v81
	v_add_f32_e32 v4, v4, v5
	v_mul_f32_e32 v5, v223, v76
	v_fmac_f32_e32 v36, v227, v80
	v_fma_f32 v5, v222, v75, -v5
	v_add_f32_e32 v35, v35, v36
	s_waitcnt vmcnt(35)
	v_mul_f32_e32 v36, v228, v82
	v_add_f32_e32 v4, v4, v5
	v_mul_f32_e32 v5, v225, v79
	s_waitcnt vmcnt(32)
	v_fmac_f32_e32 v36, v229, v85
	ds_read2_b64 v[234:237], v1 offset0:105 offset1:106
	ds_read2_b64 v[238:241], v1 offset0:107 offset1:108
	v_fma_f32 v5, v224, v78, -v5
	v_add_f32_e32 v35, v35, v36
	s_waitcnt lgkmcnt(2)
	;; [unrolled: 31-line block ×3, first 2 shown]
	v_mul_f32_e32 v36, v238, v92
	v_add_f32_e32 v4, v4, v5
	v_mul_f32_e32 v5, v235, v89
	v_fmac_f32_e32 v36, v239, v91
	v_fma_f32 v5, v234, v88, -v5
	v_add_f32_e32 v35, v35, v36
	s_waitcnt vmcnt(22)
	v_mul_f32_e32 v36, v240, v95
	v_add_f32_e32 v4, v4, v5
	v_mul_f32_e32 v5, v237, v90
	v_fmac_f32_e32 v36, v241, v94
	v_fma_f32 v5, v236, v93, -v5
	v_add_f32_e32 v35, v35, v36
	s_waitcnt vmcnt(20) lgkmcnt(1)
	v_mul_f32_e32 v36, v242, v97
	v_add_f32_e32 v4, v4, v5
	v_mul_f32_e32 v5, v239, v92
	v_fmac_f32_e32 v36, v243, v96
	v_fma_f32 v5, v238, v91, -v5
	v_add_f32_e32 v35, v35, v36
	s_waitcnt vmcnt(19)
	v_mul_f32_e32 v36, v244, v98
	v_add_f32_e32 v4, v4, v5
	v_mul_f32_e32 v5, v241, v95
	s_waitcnt vmcnt(16)
	v_fmac_f32_e32 v36, v245, v101
	v_fma_f32 v5, v240, v94, -v5
	v_add_f32_e32 v35, v35, v36
	s_waitcnt lgkmcnt(0)
	v_mul_f32_e32 v36, v246, v100
	ds_read2_b64 v[250:253], v1 offset0:113 offset1:114
	v_add_f32_e32 v4, v4, v5
	v_mul_f32_e32 v5, v243, v97
	v_fmac_f32_e32 v36, v247, v99
	v_fma_f32 v5, v242, v96, -v5
	v_add_f32_e32 v35, v35, v36
	s_waitcnt vmcnt(14)
	v_mul_f32_e32 v36, v248, v103
	v_add_f32_e32 v4, v4, v5
	v_mul_f32_e32 v5, v245, v98
	v_fmac_f32_e32 v36, v249, v102
	v_fma_f32 v5, v244, v101, -v5
	v_add_f32_e32 v39, v35, v36
	ds_read2_b64 v[35:38], v1 offset0:115 offset1:116
	v_add_f32_e32 v4, v4, v5
	v_mul_f32_e32 v5, v247, v100
	s_waitcnt vmcnt(12) lgkmcnt(1)
	v_mul_f32_e32 v40, v250, v105
	v_fma_f32 v5, v246, v99, -v5
	v_fmac_f32_e32 v40, v251, v104
	v_add_f32_e32 v4, v4, v5
	v_mul_f32_e32 v5, v249, v103
	v_add_f32_e32 v39, v39, v40
	s_waitcnt vmcnt(11)
	v_mul_f32_e32 v40, v252, v106
	v_fma_f32 v5, v248, v102, -v5
	s_waitcnt vmcnt(8)
	v_fmac_f32_e32 v40, v253, v109
	v_add_f32_e32 v4, v4, v5
	v_mul_f32_e32 v5, v251, v105
	v_add_f32_e32 v39, v39, v40
	s_waitcnt lgkmcnt(0)
	v_mul_f32_e32 v40, v35, v108
	v_fma_f32 v5, v250, v104, -v5
	v_fmac_f32_e32 v40, v36, v107
	v_add_f32_e32 v4, v4, v5
	v_mul_f32_e32 v5, v253, v106
	v_add_f32_e32 v43, v39, v40
	ds_read2_b64 v[39:42], v1 offset0:117 offset1:118
	v_fma_f32 v5, v252, v109, -v5
	v_add_f32_e32 v4, v4, v5
	v_mul_f32_e32 v5, v36, v108
	s_waitcnt vmcnt(6)
	v_mul_f32_e32 v44, v37, v111
	v_fma_f32 v5, v35, v107, -v5
	v_fmac_f32_e32 v44, v38, v110
	v_add_f32_e32 v4, v4, v5
	v_mul_f32_e32 v5, v38, v111
	v_add_f32_e32 v116, v43, v44
	ds_read_b64 v[43:44], v1 offset:952
	v_fma_f32 v5, v37, v110, -v5
	v_add_f32_e32 v4, v4, v5
	s_waitcnt vmcnt(4) lgkmcnt(1)
	v_mul_f32_e32 v5, v40, v113
	v_mul_f32_e32 v117, v39, v113
	v_fma_f32 v5, v39, v112, -v5
	v_fmac_f32_e32 v117, v40, v112
	v_add_f32_e32 v4, v4, v5
	s_waitcnt vmcnt(3)
	v_mul_f32_e32 v5, v42, v114
	v_add_f32_e32 v116, v116, v117
	v_mul_f32_e32 v117, v41, v114
	s_waitcnt vmcnt(0)
	v_fma_f32 v5, v41, v115, -v5
	v_fmac_f32_e32 v117, v42, v115
	v_add_f32_e32 v4, v4, v5
	s_waitcnt lgkmcnt(0)
	v_mul_f32_e32 v5, v44, v255
	v_add_f32_e32 v116, v116, v117
	v_mul_f32_e32 v117, v43, v255
	v_fma_f32 v5, v43, v254, -v5
	v_fmac_f32_e32 v117, v44, v254
	v_add_f32_e32 v4, v4, v5
	v_add_f32_e32 v116, v116, v117
	v_sub_f32_e32 v2, v2, v4
	v_sub_f32_e32 v3, v3, v116
	buffer_store_dword v2, off, s[0:3], 0 offset:32
	buffer_store_dword v3, off, s[0:3], 0 offset:36
	s_and_saveexec_b64 s[4:5], vcc
	s_cbranch_execz .LBB123_367
; %bb.366:
	buffer_load_dword v2, off, s[0:3], 0 offset:24
	buffer_load_dword v3, off, s[0:3], 0 offset:28
	s_waitcnt vmcnt(0)
	ds_write_b64 v145, v[2:3]
	buffer_store_dword v1, off, s[0:3], 0 offset:24
	buffer_store_dword v1, off, s[0:3], 0 offset:28
.LBB123_367:
	s_or_b64 exec, exec, s[4:5]
	s_waitcnt lgkmcnt(0)
	; wave barrier
	buffer_load_dword v10, off, s[0:3], 0 offset:36
	buffer_load_dword v9, off, s[0:3], 0 offset:44
	;; [unrolled: 1-line block ×40, first 2 shown]
	ds_read_b128 v[27:30], v1 offset:512
	ds_read_b128 v[31:34], v1 offset:528
	;; [unrolled: 1-line block ×6, first 2 shown]
	buffer_load_dword v48, off, s[0:3], 0 offset:184
	buffer_load_dword v49, off, s[0:3], 0 offset:188
	;; [unrolled: 1-line block ×14, first 2 shown]
	v_cmp_lt_u32_e32 vcc, 2, v0
	s_waitcnt vmcnt(53) lgkmcnt(5)
	v_mul_f32_e32 v43, v27, v10
	s_waitcnt vmcnt(52)
	v_mul_f32_e32 v44, v29, v9
	s_waitcnt vmcnt(51) lgkmcnt(4)
	v_mul_f32_e32 v45, v31, v8
	s_waitcnt vmcnt(50)
	v_mul_f32_e32 v46, v33, v7
	;; [unrolled: 4-line block ×5, first 2 shown]
	s_waitcnt vmcnt(43)
	v_fmac_f32_e32 v45, v32, v17
	s_waitcnt vmcnt(42)
	v_fmac_f32_e32 v44, v30, v21
	;; [unrolled: 2-line block ×3, first 2 shown]
	v_add_f32_e32 v43, 0, v43
	v_add_f32_e32 v43, v43, v44
	;; [unrolled: 1-line block ×3, first 2 shown]
	s_waitcnt vmcnt(37)
	v_fmac_f32_e32 v46, v34, v24
	v_fmac_f32_e32 v62, v36, v20
	v_add_f32_e32 v43, v43, v46
	v_fmac_f32_e32 v63, v38, v16
	v_add_f32_e32 v43, v43, v62
	;; [unrolled: 2-line block ×3, first 2 shown]
	buffer_load_dword v62, off, s[0:3], 0 offset:240
	buffer_load_dword v63, off, s[0:3], 0 offset:244
	s_waitcnt vmcnt(35)
	v_fmac_f32_e32 v65, v42, v147
	v_add_f32_e32 v43, v43, v64
	v_fmac_f32_e32 v66, v163, v22
	v_add_f32_e32 v43, v43, v65
	ds_read_b128 v[170:173], v1 offset:608
	ds_read_b128 v[174:177], v1 offset:624
	buffer_load_dword v64, off, s[0:3], 0 offset:248
	buffer_load_dword v65, off, s[0:3], 0 offset:252
	v_fmac_f32_e32 v67, v165, v18
	v_add_f32_e32 v43, v43, v66
	v_add_f32_e32 v43, v43, v67
	buffer_load_dword v66, off, s[0:3], 0 offset:256
	buffer_load_dword v67, off, s[0:3], 0 offset:260
	ds_read_b128 v[178:181], v1 offset:640
	ds_read_b128 v[182:185], v1 offset:656
	buffer_load_dword v68, off, s[0:3], 0 offset:264
	buffer_load_dword v69, off, s[0:3], 0 offset:268
	;; [unrolled: 1-line block ×4, first 2 shown]
	ds_read_b128 v[186:189], v1 offset:672
	buffer_load_dword v72, off, s[0:3], 0 offset:280
	buffer_load_dword v73, off, s[0:3], 0 offset:284
	ds_read_b128 v[190:193], v1 offset:688
	buffer_load_dword v74, off, s[0:3], 0 offset:288
	buffer_load_dword v75, off, s[0:3], 0 offset:292
	;; [unrolled: 1-line block ×6, first 2 shown]
	ds_read_b128 v[194:197], v1 offset:704
	buffer_load_dword v80, off, s[0:3], 0 offset:312
	buffer_load_dword v81, off, s[0:3], 0 offset:316
	ds_read_b128 v[198:201], v1 offset:720
	buffer_load_dword v82, off, s[0:3], 0 offset:320
	buffer_load_dword v83, off, s[0:3], 0 offset:324
	;; [unrolled: 1-line block ×16, first 2 shown]
	v_mul_f32_e32 v10, v28, v10
	v_fma_f32 v10, v27, v146, -v10
	v_mul_f32_e32 v9, v30, v9
	v_add_f32_e32 v10, 0, v10
	v_fma_f32 v9, v29, v21, -v9
	v_mul_f32_e32 v8, v32, v8
	v_add_f32_e32 v9, v10, v9
	v_fma_f32 v8, v31, v17, -v8
	v_mul_f32_e32 v7, v34, v7
	ds_read_b128 v[202:205], v1 offset:736
	buffer_load_dword v98, off, s[0:3], 0 offset:384
	buffer_load_dword v99, off, s[0:3], 0 offset:388
	;; [unrolled: 1-line block ×6, first 2 shown]
	v_add_f32_e32 v8, v9, v8
	v_fma_f32 v7, v33, v24, -v7
	v_mul_f32_e32 v6, v36, v6
	v_add_f32_e32 v7, v8, v7
	v_fma_f32 v6, v35, v20, -v6
	v_mul_f32_e32 v5, v38, v5
	;; [unrolled: 3-line block ×3, first 2 shown]
	ds_read_b128 v[206:209], v1 offset:752
	buffer_load_dword v104, off, s[0:3], 0 offset:408
	buffer_load_dword v105, off, s[0:3], 0 offset:412
	v_add_f32_e32 v5, v6, v5
	v_fma_f32 v4, v39, v14, -v4
	v_add_f32_e32 v4, v5, v4
	v_mul_f32_e32 v5, v42, v11
	v_fma_f32 v5, v41, v147, -v5
	v_add_f32_e32 v4, v4, v5
	v_mul_f32_e32 v5, v163, v12
	v_fma_f32 v5, v162, v22, -v5
	buffer_load_dword v106, off, s[0:3], 0 offset:416
	buffer_load_dword v107, off, s[0:3], 0 offset:420
	;; [unrolled: 1-line block ×6, first 2 shown]
	v_add_f32_e32 v4, v4, v5
	v_mul_f32_e32 v5, v165, v13
	s_waitcnt vmcnt(62) lgkmcnt(10)
	v_mul_f32_e32 v44, v166, v19
	v_fma_f32 v5, v164, v18, -v5
	v_fmac_f32_e32 v44, v167, v15
	v_add_f32_e32 v4, v4, v5
	v_mul_f32_e32 v5, v167, v19
	v_add_f32_e32 v43, v43, v44
	v_mul_f32_e32 v44, v168, v23
	buffer_load_dword v112, off, s[0:3], 0 offset:440
	buffer_load_dword v113, off, s[0:3], 0 offset:444
	v_fma_f32 v5, v166, v15, -v5
	v_fmac_f32_e32 v44, v169, v154
	v_add_f32_e32 v4, v4, v5
	v_mul_f32_e32 v5, v169, v23
	v_add_f32_e32 v43, v43, v44
	s_waitcnt lgkmcnt(9)
	v_mul_f32_e32 v44, v170, v153
	v_fma_f32 v5, v168, v154, -v5
	v_fmac_f32_e32 v44, v171, v151
	v_add_f32_e32 v4, v4, v5
	v_mul_f32_e32 v5, v171, v153
	v_add_f32_e32 v43, v43, v44
	v_mul_f32_e32 v44, v172, v152
	v_fma_f32 v5, v170, v151, -v5
	v_fmac_f32_e32 v44, v173, v149
	v_add_f32_e32 v4, v4, v5
	v_mul_f32_e32 v5, v173, v152
	v_add_f32_e32 v43, v43, v44
	s_waitcnt lgkmcnt(8)
	v_mul_f32_e32 v44, v174, v150
	buffer_load_dword v114, off, s[0:3], 0 offset:448
	buffer_load_dword v115, off, s[0:3], 0 offset:452
	;; [unrolled: 1-line block ×6, first 2 shown]
	v_fma_f32 v5, v172, v149, -v5
	v_fmac_f32_e32 v44, v175, v148
	v_add_f32_e32 v4, v4, v5
	v_mul_f32_e32 v5, v175, v150
	v_add_f32_e32 v43, v43, v44
	v_mul_f32_e32 v44, v176, v155
	v_fma_f32 v5, v174, v148, -v5
	v_fmac_f32_e32 v44, v177, v47
	ds_read_b128 v[210:213], v1 offset:768
	ds_read_b128 v[214:217], v1 offset:784
	buffer_load_dword v255, off, s[0:3], 0 offset:472
	buffer_load_dword v119, off, s[0:3], 0 offset:476
	v_add_f32_e32 v4, v4, v5
	v_mul_f32_e32 v5, v177, v155
	v_add_f32_e32 v43, v43, v44
	s_waitcnt lgkmcnt(9)
	v_mul_f32_e32 v44, v178, v157
	v_fma_f32 v5, v176, v47, -v5
	v_fmac_f32_e32 v44, v179, v156
	v_add_f32_e32 v4, v4, v5
	v_mul_f32_e32 v5, v179, v157
	v_add_f32_e32 v43, v43, v44
	v_mul_f32_e32 v44, v180, v159
	v_fma_f32 v5, v178, v156, -v5
	v_fmac_f32_e32 v44, v181, v158
	v_add_f32_e32 v4, v4, v5
	v_mul_f32_e32 v5, v181, v159
	v_add_f32_e32 v43, v43, v44
	s_waitcnt lgkmcnt(8)
	v_mul_f32_e32 v44, v182, v161
	v_fma_f32 v5, v180, v158, -v5
	v_fmac_f32_e32 v44, v183, v160
	v_add_f32_e32 v4, v4, v5
	v_mul_f32_e32 v5, v183, v161
	v_add_f32_e32 v43, v43, v44
	v_mul_f32_e32 v44, v184, v49
	v_fma_f32 v5, v182, v160, -v5
	v_fmac_f32_e32 v44, v185, v48
	v_add_f32_e32 v4, v4, v5
	v_mul_f32_e32 v5, v185, v49
	v_add_f32_e32 v43, v43, v44
	s_waitcnt vmcnt(62) lgkmcnt(7)
	v_mul_f32_e32 v44, v186, v51
	v_fma_f32 v5, v184, v48, -v5
	v_fmac_f32_e32 v44, v187, v50
	v_add_f32_e32 v4, v4, v5
	v_mul_f32_e32 v5, v187, v51
	v_add_f32_e32 v43, v43, v44
	v_mul_f32_e32 v44, v188, v53
	v_fma_f32 v5, v186, v50, -v5
	v_fmac_f32_e32 v44, v189, v52
	v_add_f32_e32 v4, v4, v5
	v_mul_f32_e32 v5, v189, v53
	v_add_f32_e32 v43, v43, v44
	s_waitcnt lgkmcnt(6)
	v_mul_f32_e32 v44, v190, v55
	v_fma_f32 v5, v188, v52, -v5
	v_fmac_f32_e32 v44, v191, v54
	v_add_f32_e32 v4, v4, v5
	v_mul_f32_e32 v5, v191, v55
	v_add_f32_e32 v43, v43, v44
	v_mul_f32_e32 v44, v192, v57
	v_fma_f32 v5, v190, v54, -v5
	v_fmac_f32_e32 v44, v193, v56
	v_add_f32_e32 v4, v4, v5
	v_mul_f32_e32 v5, v193, v57
	v_add_f32_e32 v43, v43, v44
	s_waitcnt lgkmcnt(5)
	v_mul_f32_e32 v44, v194, v59
	v_fma_f32 v5, v192, v56, -v5
	v_fmac_f32_e32 v44, v195, v58
	v_add_f32_e32 v4, v4, v5
	v_mul_f32_e32 v5, v195, v59
	v_add_f32_e32 v43, v43, v44
	s_waitcnt vmcnt(60)
	v_mul_f32_e32 v44, v196, v61
	v_fma_f32 v5, v194, v58, -v5
	v_fmac_f32_e32 v44, v197, v60
	v_add_f32_e32 v4, v4, v5
	v_mul_f32_e32 v5, v197, v61
	v_add_f32_e32 v43, v43, v44
	s_waitcnt vmcnt(58) lgkmcnt(4)
	v_mul_f32_e32 v44, v198, v63
	v_fma_f32 v5, v196, v60, -v5
	v_fmac_f32_e32 v44, v199, v62
	v_add_f32_e32 v4, v4, v5
	v_mul_f32_e32 v5, v199, v63
	v_add_f32_e32 v43, v43, v44
	s_waitcnt vmcnt(56)
	v_mul_f32_e32 v44, v200, v65
	v_fma_f32 v5, v198, v62, -v5
	v_fmac_f32_e32 v44, v201, v64
	v_add_f32_e32 v4, v4, v5
	v_mul_f32_e32 v5, v201, v65
	v_add_f32_e32 v43, v43, v44
	s_waitcnt vmcnt(54) lgkmcnt(3)
	;; [unrolled: 14-line block ×4, first 2 shown]
	v_mul_f32_e32 v44, v210, v75
	v_fma_f32 v5, v208, v72, -v5
	v_fmac_f32_e32 v44, v211, v74
	v_add_f32_e32 v4, v4, v5
	v_mul_f32_e32 v5, v211, v75
	v_add_f32_e32 v43, v43, v44
	s_waitcnt vmcnt(45)
	v_mul_f32_e32 v44, v212, v76
	v_fma_f32 v5, v210, v74, -v5
	s_waitcnt vmcnt(42)
	v_fmac_f32_e32 v44, v213, v79
	ds_read_b128 v[218:221], v1 offset:800
	ds_read_b128 v[222:225], v1 offset:816
	v_add_f32_e32 v4, v4, v5
	v_mul_f32_e32 v5, v213, v76
	v_add_f32_e32 v43, v43, v44
	s_waitcnt lgkmcnt(2)
	v_mul_f32_e32 v44, v214, v78
	v_fma_f32 v5, v212, v79, -v5
	v_fmac_f32_e32 v44, v215, v77
	v_add_f32_e32 v4, v4, v5
	v_mul_f32_e32 v5, v215, v78
	v_add_f32_e32 v43, v43, v44
	s_waitcnt vmcnt(40)
	v_mul_f32_e32 v44, v216, v81
	v_fma_f32 v5, v214, v77, -v5
	v_fmac_f32_e32 v44, v217, v80
	v_add_f32_e32 v4, v4, v5
	v_mul_f32_e32 v5, v217, v81
	v_add_f32_e32 v43, v43, v44
	s_waitcnt vmcnt(38) lgkmcnt(1)
	v_mul_f32_e32 v44, v218, v83
	v_fma_f32 v5, v216, v80, -v5
	v_fmac_f32_e32 v44, v219, v82
	v_add_f32_e32 v4, v4, v5
	v_mul_f32_e32 v5, v219, v83
	v_add_f32_e32 v43, v43, v44
	s_waitcnt vmcnt(37)
	v_mul_f32_e32 v44, v220, v84
	v_fma_f32 v5, v218, v82, -v5
	s_waitcnt vmcnt(34)
	v_fmac_f32_e32 v44, v221, v87
	ds_read_b128 v[226:229], v1 offset:832
	ds_read_b128 v[230:233], v1 offset:848
	v_add_f32_e32 v4, v4, v5
	v_mul_f32_e32 v5, v221, v84
	v_add_f32_e32 v43, v43, v44
	s_waitcnt lgkmcnt(2)
	v_mul_f32_e32 v44, v222, v86
	v_fma_f32 v5, v220, v87, -v5
	v_fmac_f32_e32 v44, v223, v85
	v_add_f32_e32 v4, v4, v5
	v_mul_f32_e32 v5, v223, v86
	v_add_f32_e32 v43, v43, v44
	s_waitcnt vmcnt(32)
	v_mul_f32_e32 v44, v224, v89
	v_fma_f32 v5, v222, v85, -v5
	v_fmac_f32_e32 v44, v225, v88
	v_add_f32_e32 v4, v4, v5
	v_mul_f32_e32 v5, v225, v89
	v_add_f32_e32 v43, v43, v44
	s_waitcnt vmcnt(30) lgkmcnt(1)
	;; [unrolled: 31-line block ×4, first 2 shown]
	v_mul_f32_e32 v44, v242, v107
	v_fma_f32 v5, v240, v104, -v5
	v_fmac_f32_e32 v44, v243, v106
	v_add_f32_e32 v4, v4, v5
	v_mul_f32_e32 v5, v243, v107
	v_add_f32_e32 v43, v43, v44
	s_waitcnt vmcnt(13)
	v_mul_f32_e32 v44, v244, v108
	v_fma_f32 v5, v242, v106, -v5
	s_waitcnt vmcnt(10)
	v_fmac_f32_e32 v44, v245, v111
	v_add_f32_e32 v4, v4, v5
	v_mul_f32_e32 v5, v245, v108
	v_add_f32_e32 v43, v43, v44
	s_waitcnt lgkmcnt(0)
	v_mul_f32_e32 v44, v246, v110
	ds_read_b128 v[250:253], v1 offset:928
	v_fma_f32 v5, v244, v111, -v5
	v_fmac_f32_e32 v44, v247, v109
	v_add_f32_e32 v4, v4, v5
	v_mul_f32_e32 v5, v247, v110
	v_add_f32_e32 v43, v43, v44
	s_waitcnt vmcnt(8)
	v_mul_f32_e32 v44, v248, v113
	v_fma_f32 v5, v246, v109, -v5
	v_fmac_f32_e32 v44, v249, v112
	v_add_f32_e32 v4, v4, v5
	v_mul_f32_e32 v5, v249, v113
	v_add_f32_e32 v120, v43, v44
	ds_read_b128 v[43:46], v1 offset:944
	v_fma_f32 v5, v248, v112, -v5
	v_add_f32_e32 v4, v4, v5
	s_waitcnt vmcnt(6) lgkmcnt(1)
	v_mul_f32_e32 v5, v251, v115
	v_mul_f32_e32 v1, v250, v115
	v_fma_f32 v5, v250, v114, -v5
	v_fmac_f32_e32 v1, v251, v114
	v_add_f32_e32 v4, v4, v5
	s_waitcnt vmcnt(5)
	v_mul_f32_e32 v5, v253, v116
	v_add_f32_e32 v1, v120, v1
	v_mul_f32_e32 v120, v252, v116
	s_waitcnt vmcnt(2)
	v_fma_f32 v5, v252, v254, -v5
	v_fmac_f32_e32 v120, v253, v254
	v_add_f32_e32 v4, v4, v5
	s_waitcnt lgkmcnt(0)
	v_mul_f32_e32 v5, v44, v118
	v_add_f32_e32 v1, v1, v120
	v_mul_f32_e32 v120, v43, v118
	v_fma_f32 v5, v43, v117, -v5
	v_fmac_f32_e32 v120, v44, v117
	v_add_f32_e32 v4, v4, v5
	s_waitcnt vmcnt(0)
	v_mul_f32_e32 v5, v46, v119
	v_add_f32_e32 v1, v1, v120
	v_mul_f32_e32 v120, v45, v119
	v_fma_f32 v5, v45, v255, -v5
	v_fmac_f32_e32 v120, v46, v255
	v_add_f32_e32 v4, v4, v5
	v_add_f32_e32 v1, v1, v120
	v_sub_f32_e32 v2, v2, v4
	v_sub_f32_e32 v1, v3, v1
	buffer_store_dword v2, off, s[0:3], 0 offset:24
	buffer_store_dword v1, off, s[0:3], 0 offset:28
	s_and_saveexec_b64 s[4:5], vcc
	s_cbranch_execz .LBB123_369
; %bb.368:
	buffer_load_dword v1, off, s[0:3], 0 offset:16
	buffer_load_dword v2, off, s[0:3], 0 offset:20
	v_mov_b32_e32 v3, 0
	buffer_store_dword v3, off, s[0:3], 0 offset:16
	buffer_store_dword v3, off, s[0:3], 0 offset:20
	s_waitcnt vmcnt(2)
	ds_write_b64 v145, v[1:2]
.LBB123_369:
	s_or_b64 exec, exec, s[4:5]
	s_waitcnt lgkmcnt(0)
	; wave barrier
	buffer_load_dword v9, off, s[0:3], 0 offset:28
	buffer_load_dword v8, off, s[0:3], 0 offset:36
	;; [unrolled: 1-line block ×52, first 2 shown]
	v_mov_b32_e32 v146, 0
	ds_read2_b64 v[27:30], v146 offset0:63 offset1:64
	ds_read2_b64 v[31:34], v146 offset0:65 offset1:66
	;; [unrolled: 1-line block ×6, first 2 shown]
	buffer_load_dword v61, off, s[0:3], 0 offset:228
	buffer_load_dword v62, off, s[0:3], 0 offset:224
	;; [unrolled: 1-line block ×4, first 2 shown]
	ds_read2_b64 v[179:182], v146 offset0:75 offset1:76
	buffer_load_dword v65, off, s[0:3], 0 offset:240
	buffer_load_dword v66, off, s[0:3], 0 offset:244
	;; [unrolled: 1-line block ×3, first 2 shown]
	ds_read2_b64 v[183:186], v146 offset0:77 offset1:78
	ds_read2_b64 v[187:190], v146 offset0:79 offset1:80
	;; [unrolled: 1-line block ×3, first 2 shown]
	buffer_load_dword v68, off, s[0:3], 0 offset:248
	buffer_load_dword v69, off, s[0:3], 0 offset:256
	;; [unrolled: 1-line block ×5, first 2 shown]
	ds_read2_b64 v[195:198], v146 offset0:83 offset1:84
	buffer_load_dword v73, off, s[0:3], 0 offset:272
	buffer_load_dword v74, off, s[0:3], 0 offset:276
	ds_read2_b64 v[199:202], v146 offset0:85 offset1:86
	buffer_load_dword v75, off, s[0:3], 0 offset:280
	buffer_load_dword v76, off, s[0:3], 0 offset:284
	;; [unrolled: 3-line block ×3, first 2 shown]
	buffer_load_dword v79, off, s[0:3], 0 offset:300
	buffer_load_dword v80, off, s[0:3], 0 offset:288
	ds_read2_b64 v[207:210], v146 offset0:89 offset1:90
	buffer_load_dword v81, off, s[0:3], 0 offset:304
	buffer_load_dword v82, off, s[0:3], 0 offset:308
	;; [unrolled: 1-line block ×16, first 2 shown]
	ds_read2_b64 v[211:214], v146 offset0:91 offset1:92
	buffer_load_dword v97, off, s[0:3], 0 offset:368
	buffer_load_dword v98, off, s[0:3], 0 offset:372
	ds_read2_b64 v[215:218], v146 offset0:93 offset1:94
	buffer_load_dword v99, off, s[0:3], 0 offset:376
	buffer_load_dword v100, off, s[0:3], 0 offset:380
	;; [unrolled: 1-line block ×16, first 2 shown]
	ds_read2_b64 v[219:222], v146 offset0:95 offset1:96
	buffer_load_dword v115, off, s[0:3], 0 offset:440
	buffer_load_dword v116, off, s[0:3], 0 offset:444
	;; [unrolled: 1-line block ×6, first 2 shown]
	ds_read2_b64 v[223:226], v146 offset0:97 offset1:98
	buffer_load_dword v255, off, s[0:3], 0 offset:468
	buffer_load_dword v121, off, s[0:3], 0 offset:472
	;; [unrolled: 1-line block ×4, first 2 shown]
	ds_read2_b64 v[227:230], v146 offset0:99 offset1:100
	ds_read2_b64 v[231:234], v146 offset0:101 offset1:102
	;; [unrolled: 1-line block ×7, first 2 shown]
	v_cmp_lt_u32_e32 vcc, 1, v0
	s_waitcnt vmcnt(62) lgkmcnt(14)
	v_mul_f32_e32 v47, v27, v9
	v_mul_f32_e32 v9, v28, v9
	;; [unrolled: 1-line block ×7, first 2 shown]
	v_fmac_f32_e32 v49, v32, v14
	v_fmac_f32_e32 v48, v30, v16
	;; [unrolled: 1-line block ×3, first 2 shown]
	v_fma_f32 v9, v27, v19, -v9
	v_add_f32_e32 v47, 0, v47
	v_add_f32_e32 v9, 0, v9
	v_fma_f32 v8, v29, v16, -v8
	v_add_f32_e32 v47, v47, v48
	v_add_f32_e32 v8, v9, v8
	v_fma_f32 v7, v31, v14, -v7
	v_mul_f32_e32 v6, v34, v6
	v_mul_f32_e32 v51, v35, v5
	v_fmac_f32_e32 v50, v34, v147
	v_add_f32_e32 v47, v47, v49
	v_add_f32_e32 v7, v8, v7
	v_fma_f32 v6, v33, v147, -v6
	v_mul_f32_e32 v5, v36, v5
	v_mul_f32_e32 v52, v37, v4
	v_fmac_f32_e32 v51, v36, v24
	;; [unrolled: 6-line block ×4, first 2 shown]
	v_add_f32_e32 v47, v47, v52
	v_add_f32_e32 v4, v5, v4
	v_fma_f32 v3, v39, v20, -v3
	v_mul_f32_e32 v55, v43, v11
	v_fmac_f32_e32 v54, v42, v23
	v_add_f32_e32 v47, v47, v53
	v_add_f32_e32 v3, v4, v3
	v_mul_f32_e32 v4, v42, v12
	v_mul_f32_e32 v56, v45, v10
	v_fmac_f32_e32 v55, v44, v21
	v_add_f32_e32 v47, v47, v54
	v_fma_f32 v4, v41, v23, -v4
	v_mul_f32_e32 v57, v175, v13
	v_fmac_f32_e32 v56, v46, v17
	v_add_f32_e32 v47, v47, v55
	v_add_f32_e32 v3, v3, v4
	v_mul_f32_e32 v4, v44, v11
	v_add_f32_e32 v47, v47, v56
	v_fmac_f32_e32 v57, v176, v15
	v_mul_f32_e32 v48, v177, v18
	v_fma_f32 v4, v43, v21, -v4
	v_add_f32_e32 v47, v47, v57
	v_fmac_f32_e32 v48, v178, v154
	v_add_f32_e32 v3, v3, v4
	v_mul_f32_e32 v4, v46, v10
	v_add_f32_e32 v47, v47, v48
	v_mul_f32_e32 v48, v179, v153
	v_fma_f32 v4, v45, v17, -v4
	v_fmac_f32_e32 v48, v180, v151
	v_add_f32_e32 v3, v3, v4
	v_mul_f32_e32 v4, v176, v13
	v_add_f32_e32 v47, v47, v48
	v_mul_f32_e32 v48, v181, v152
	v_fma_f32 v4, v175, v15, -v4
	;; [unrolled: 6-line block ×10, first 2 shown]
	v_fmac_f32_e32 v48, v198, v167
	v_add_f32_e32 v3, v3, v4
	v_mul_f32_e32 v4, v194, v164
	v_add_f32_e32 v47, v47, v48
	s_waitcnt lgkmcnt(13)
	v_mul_f32_e32 v48, v199, v170
	v_fma_f32 v4, v193, v163, -v4
	v_fmac_f32_e32 v48, v200, v169
	v_add_f32_e32 v3, v3, v4
	v_mul_f32_e32 v4, v196, v166
	v_add_f32_e32 v47, v47, v48
	v_mul_f32_e32 v48, v201, v172
	v_fma_f32 v4, v195, v165, -v4
	v_fmac_f32_e32 v48, v202, v171
	v_add_f32_e32 v3, v3, v4
	v_mul_f32_e32 v4, v198, v168
	v_add_f32_e32 v47, v47, v48
	s_waitcnt lgkmcnt(12)
	v_mul_f32_e32 v48, v203, v174
	v_fma_f32 v4, v197, v167, -v4
	v_fmac_f32_e32 v48, v204, v173
	v_add_f32_e32 v3, v3, v4
	v_mul_f32_e32 v4, v200, v170
	v_add_f32_e32 v47, v47, v48
	v_mul_f32_e32 v48, v205, v61
	v_fma_f32 v4, v199, v169, -v4
	v_fmac_f32_e32 v48, v206, v62
	v_add_f32_e32 v3, v3, v4
	v_mul_f32_e32 v4, v202, v172
	v_add_f32_e32 v47, v47, v48
	s_waitcnt vmcnt(60) lgkmcnt(11)
	v_mul_f32_e32 v48, v207, v64
	v_fma_f32 v4, v201, v171, -v4
	v_fmac_f32_e32 v48, v208, v63
	v_add_f32_e32 v3, v3, v4
	v_mul_f32_e32 v4, v204, v174
	v_add_f32_e32 v47, v47, v48
	s_waitcnt vmcnt(58)
	v_mul_f32_e32 v48, v209, v66
	v_fma_f32 v4, v203, v173, -v4
	v_fmac_f32_e32 v48, v210, v65
	v_add_f32_e32 v3, v3, v4
	v_mul_f32_e32 v4, v206, v61
	v_add_f32_e32 v47, v47, v48
	s_waitcnt vmcnt(57) lgkmcnt(10)
	v_mul_f32_e32 v48, v211, v67
	v_fma_f32 v4, v205, v62, -v4
	s_waitcnt vmcnt(56)
	v_fmac_f32_e32 v48, v212, v68
	v_add_f32_e32 v3, v3, v4
	v_mul_f32_e32 v4, v208, v64
	v_add_f32_e32 v47, v47, v48
	s_waitcnt vmcnt(54)
	v_mul_f32_e32 v48, v213, v70
	v_fma_f32 v4, v207, v63, -v4
	v_fmac_f32_e32 v48, v214, v69
	v_add_f32_e32 v3, v3, v4
	v_mul_f32_e32 v4, v210, v66
	v_add_f32_e32 v47, v47, v48
	s_waitcnt vmcnt(52) lgkmcnt(9)
	v_mul_f32_e32 v48, v215, v72
	v_fma_f32 v4, v209, v65, -v4
	v_fmac_f32_e32 v48, v216, v71
	v_add_f32_e32 v3, v3, v4
	v_mul_f32_e32 v4, v212, v67
	v_add_f32_e32 v47, v47, v48
	s_waitcnt vmcnt(50)
	v_mul_f32_e32 v48, v217, v74
	v_fma_f32 v4, v211, v68, -v4
	v_fmac_f32_e32 v48, v218, v73
	v_add_f32_e32 v3, v3, v4
	v_mul_f32_e32 v4, v214, v70
	v_add_f32_e32 v47, v47, v48
	s_waitcnt vmcnt(48) lgkmcnt(8)
	v_mul_f32_e32 v48, v219, v76
	v_fma_f32 v4, v213, v69, -v4
	v_fmac_f32_e32 v48, v220, v75
	v_add_f32_e32 v3, v3, v4
	v_mul_f32_e32 v4, v216, v72
	v_add_f32_e32 v47, v47, v48
	s_waitcnt vmcnt(47)
	v_mul_f32_e32 v48, v221, v77
	v_fma_f32 v4, v215, v71, -v4
	s_waitcnt vmcnt(44)
	v_fmac_f32_e32 v48, v222, v80
	v_add_f32_e32 v3, v3, v4
	v_mul_f32_e32 v4, v218, v74
	v_add_f32_e32 v47, v47, v48
	s_waitcnt lgkmcnt(7)
	v_mul_f32_e32 v48, v223, v79
	v_fma_f32 v4, v217, v73, -v4
	v_fmac_f32_e32 v48, v224, v78
	v_add_f32_e32 v3, v3, v4
	v_mul_f32_e32 v4, v220, v76
	v_add_f32_e32 v47, v47, v48
	s_waitcnt vmcnt(42)
	v_mul_f32_e32 v48, v225, v82
	v_fma_f32 v4, v219, v75, -v4
	v_fmac_f32_e32 v48, v226, v81
	v_add_f32_e32 v3, v3, v4
	v_mul_f32_e32 v4, v222, v77
	v_add_f32_e32 v47, v47, v48
	s_waitcnt vmcnt(40) lgkmcnt(6)
	v_mul_f32_e32 v48, v227, v84
	v_fma_f32 v4, v221, v80, -v4
	v_fmac_f32_e32 v48, v228, v83
	v_add_f32_e32 v3, v3, v4
	v_mul_f32_e32 v4, v224, v79
	v_add_f32_e32 v47, v47, v48
	s_waitcnt vmcnt(39)
	v_mul_f32_e32 v48, v229, v85
	v_fma_f32 v4, v223, v78, -v4
	s_waitcnt vmcnt(36)
	v_fmac_f32_e32 v48, v230, v88
	v_add_f32_e32 v3, v3, v4
	v_mul_f32_e32 v4, v226, v82
	v_add_f32_e32 v47, v47, v48
	s_waitcnt lgkmcnt(5)
	;; [unrolled: 29-line block ×4, first 2 shown]
	v_mul_f32_e32 v48, v247, v103
	v_fma_f32 v4, v241, v97, -v4
	v_fmac_f32_e32 v48, v248, v102
	v_add_f32_e32 v3, v3, v4
	v_mul_f32_e32 v4, v244, v100
	v_add_f32_e32 v47, v47, v48
	s_waitcnt vmcnt(18)
	v_mul_f32_e32 v48, v249, v106
	v_fma_f32 v4, v243, v99, -v4
	v_fmac_f32_e32 v48, v250, v105
	v_add_f32_e32 v3, v3, v4
	v_mul_f32_e32 v4, v246, v101
	v_add_f32_e32 v51, v47, v48
	ds_read2_b64 v[47:50], v146 offset0:113 offset1:114
	v_fma_f32 v4, v245, v104, -v4
	s_waitcnt vmcnt(16) lgkmcnt(1)
	v_mul_f32_e32 v52, v251, v108
	v_add_f32_e32 v3, v3, v4
	v_mul_f32_e32 v4, v248, v103
	v_fmac_f32_e32 v52, v252, v107
	v_fma_f32 v4, v247, v102, -v4
	v_add_f32_e32 v51, v51, v52
	s_waitcnt vmcnt(15)
	v_mul_f32_e32 v52, v253, v109
	v_add_f32_e32 v3, v3, v4
	v_mul_f32_e32 v4, v250, v106
	s_waitcnt vmcnt(12)
	v_fmac_f32_e32 v52, v254, v112
	v_fma_f32 v4, v249, v105, -v4
	v_add_f32_e32 v51, v51, v52
	s_waitcnt lgkmcnt(0)
	v_mul_f32_e32 v52, v47, v111
	v_add_f32_e32 v3, v3, v4
	v_mul_f32_e32 v4, v252, v108
	v_fmac_f32_e32 v52, v48, v110
	v_fma_f32 v4, v251, v107, -v4
	v_add_f32_e32 v55, v51, v52
	ds_read2_b64 v[51:54], v146 offset0:115 offset1:116
	v_add_f32_e32 v3, v3, v4
	v_mul_f32_e32 v4, v254, v109
	v_fma_f32 v4, v253, v112, -v4
	v_add_f32_e32 v3, v3, v4
	v_mul_f32_e32 v4, v48, v111
	s_waitcnt vmcnt(10)
	v_mul_f32_e32 v56, v49, v114
	v_fma_f32 v4, v47, v110, -v4
	v_fmac_f32_e32 v56, v50, v113
	v_add_f32_e32 v3, v3, v4
	v_mul_f32_e32 v4, v50, v114
	v_add_f32_e32 v59, v55, v56
	ds_read2_b64 v[55:58], v146 offset0:117 offset1:118
	s_waitcnt vmcnt(8) lgkmcnt(1)
	v_mul_f32_e32 v60, v51, v116
	v_fma_f32 v4, v49, v113, -v4
	v_fmac_f32_e32 v60, v52, v115
	v_add_f32_e32 v3, v3, v4
	v_mul_f32_e32 v4, v52, v116
	v_add_f32_e32 v59, v59, v60
	s_waitcnt vmcnt(7)
	v_mul_f32_e32 v60, v53, v117
	v_fma_f32 v4, v51, v115, -v4
	s_waitcnt vmcnt(4)
	v_fmac_f32_e32 v60, v54, v120
	v_add_f32_e32 v3, v3, v4
	v_mul_f32_e32 v4, v54, v117
	v_add_f32_e32 v124, v59, v60
	ds_read_b64 v[59:60], v146 offset:952
	v_fma_f32 v4, v53, v120, -v4
	v_add_f32_e32 v3, v3, v4
	s_waitcnt lgkmcnt(1)
	v_mul_f32_e32 v4, v56, v119
	v_mul_f32_e32 v125, v55, v119
	v_fma_f32 v4, v55, v118, -v4
	v_fmac_f32_e32 v125, v56, v118
	v_add_f32_e32 v3, v3, v4
	s_waitcnt vmcnt(3)
	v_mul_f32_e32 v4, v58, v255
	v_add_f32_e32 v124, v124, v125
	v_mul_f32_e32 v125, v57, v255
	s_waitcnt vmcnt(0)
	v_fma_f32 v4, v57, v123, -v4
	v_fmac_f32_e32 v125, v58, v123
	v_add_f32_e32 v3, v3, v4
	s_waitcnt lgkmcnt(0)
	v_mul_f32_e32 v4, v60, v122
	v_add_f32_e32 v124, v124, v125
	v_mul_f32_e32 v125, v59, v122
	v_fma_f32 v4, v59, v121, -v4
	v_fmac_f32_e32 v125, v60, v121
	v_add_f32_e32 v3, v3, v4
	v_add_f32_e32 v124, v124, v125
	v_sub_f32_e32 v1, v1, v3
	v_sub_f32_e32 v2, v2, v124
	buffer_store_dword v1, off, s[0:3], 0 offset:16
	buffer_store_dword v2, off, s[0:3], 0 offset:20
	s_and_saveexec_b64 s[4:5], vcc
	s_cbranch_execz .LBB123_371
; %bb.370:
	buffer_load_dword v1, off, s[0:3], 0 offset:8
	buffer_load_dword v2, off, s[0:3], 0 offset:12
	s_waitcnt vmcnt(0)
	ds_write_b64 v145, v[1:2]
	buffer_store_dword v146, off, s[0:3], 0 offset:8
	buffer_store_dword v146, off, s[0:3], 0 offset:12
.LBB123_371:
	s_or_b64 exec, exec, s[4:5]
	s_waitcnt lgkmcnt(0)
	; wave barrier
	buffer_load_dword v155, off, s[0:3], 0 offset:20
	buffer_load_dword v154, off, s[0:3], 0 offset:28
	buffer_load_dword v153, off, s[0:3], 0 offset:36
	buffer_load_dword v152, off, s[0:3], 0 offset:44
	buffer_load_dword v151, off, s[0:3], 0 offset:52
	buffer_load_dword v150, off, s[0:3], 0 offset:60
	buffer_load_dword v149, off, s[0:3], 0 offset:68
	buffer_load_dword v156, off, s[0:3], 0 offset:76
	buffer_load_dword v157, off, s[0:3], 0 offset:84
	buffer_load_dword v160, off, s[0:3], 0 offset:32
	buffer_load_dword v163, off, s[0:3], 0 offset:24
	buffer_load_dword v166, off, s[0:3], 0 offset:16
	buffer_load_dword v158, off, s[0:3], 0 offset:64
	buffer_load_dword v159, off, s[0:3], 0 offset:56
	buffer_load_dword v161, off, s[0:3], 0 offset:48
	buffer_load_dword v164, off, s[0:3], 0 offset:40
	buffer_load_dword v162, off, s[0:3], 0 offset:96
	buffer_load_dword v165, off, s[0:3], 0 offset:88
	buffer_load_dword v168, off, s[0:3], 0 offset:80
	buffer_load_dword v171, off, s[0:3], 0 offset:72
	buffer_load_dword v169, off, s[0:3], 0 offset:92
	buffer_load_dword v167, off, s[0:3], 0 offset:100
	buffer_load_dword v170, off, s[0:3], 0 offset:108
	buffer_load_dword v172, off, s[0:3], 0 offset:128
	buffer_load_dword v173, off, s[0:3], 0 offset:120
	buffer_load_dword v175, off, s[0:3], 0 offset:112
	buffer_load_dword v178, off, s[0:3], 0 offset:104
	buffer_load_dword v177, off, s[0:3], 0 offset:116
	buffer_load_dword v176, off, s[0:3], 0 offset:124
	buffer_load_dword v174, off, s[0:3], 0 offset:132
	buffer_load_dword v147, off, s[0:3], 0 offset:8
	buffer_load_dword v148, off, s[0:3], 0 offset:12
	buffer_load_dword v179, off, s[0:3], 0 offset:136
	buffer_load_dword v180, off, s[0:3], 0 offset:140
	ds_read_b128 v[17:20], v146 offset:496
	ds_read_b128 v[9:12], v146 offset:512
	;; [unrolled: 1-line block ×4, first 2 shown]
	buffer_load_dword v181, off, s[0:3], 0 offset:148
	buffer_load_dword v182, off, s[0:3], 0 offset:152
	;; [unrolled: 1-line block ×6, first 2 shown]
	ds_read_b128 v[21:24], v146 offset:560
	ds_read_b128 v[13:16], v146 offset:576
	buffer_load_dword v186, off, s[0:3], 0 offset:168
	buffer_load_dword v188, off, s[0:3], 0 offset:172
	;; [unrolled: 1-line block ×16, first 2 shown]
	v_cmp_ne_u32_e32 vcc, 0, v0
	s_waitcnt vmcnt(55) lgkmcnt(5)
	v_mul_f32_e32 v27, v17, v155
	s_waitcnt vmcnt(54)
	v_mul_f32_e32 v28, v19, v154
	s_waitcnt vmcnt(53) lgkmcnt(4)
	v_mul_f32_e32 v29, v9, v153
	s_waitcnt vmcnt(52)
	v_mul_f32_e32 v30, v11, v152
	;; [unrolled: 4-line block ×4, first 2 shown]
	s_waitcnt vmcnt(47) lgkmcnt(1)
	v_mul_f32_e32 v35, v21, v157
	s_waitcnt vmcnt(46)
	v_fmac_f32_e32 v29, v10, v160
	s_waitcnt vmcnt(45)
	v_fmac_f32_e32 v28, v20, v163
	s_waitcnt vmcnt(44)
	v_fmac_f32_e32 v27, v18, v166
	v_add_f32_e32 v27, 0, v27
	v_add_f32_e32 v27, v27, v28
	;; [unrolled: 1-line block ×3, first 2 shown]
	s_waitcnt vmcnt(40)
	v_fmac_f32_e32 v30, v12, v164
	v_fmac_f32_e32 v31, v6, v161
	v_add_f32_e32 v27, v27, v30
	v_fmac_f32_e32 v32, v8, v159
	v_add_f32_e32 v27, v27, v31
	;; [unrolled: 2-line block ×3, first 2 shown]
	s_waitcnt vmcnt(36)
	v_fmac_f32_e32 v34, v4, v171
	v_add_f32_e32 v27, v27, v33
	v_fmac_f32_e32 v35, v22, v168
	v_add_f32_e32 v27, v27, v34
	s_waitcnt vmcnt(35)
	v_mul_f32_e32 v28, v23, v169
	v_add_f32_e32 v27, v27, v35
	v_fmac_f32_e32 v28, v24, v165
	v_add_f32_e32 v27, v27, v28
	s_waitcnt vmcnt(34) lgkmcnt(0)
	v_mul_f32_e32 v28, v13, v167
	v_fmac_f32_e32 v28, v14, v162
	v_add_f32_e32 v31, v27, v28
	ds_read_b128 v[27:30], v146 offset:592
	s_waitcnt vmcnt(33)
	v_mul_f32_e32 v32, v15, v170
	s_waitcnt vmcnt(29)
	v_fmac_f32_e32 v32, v16, v178
	buffer_load_dword v66, off, s[0:3], 0 offset:232
	buffer_load_dword v67, off, s[0:3], 0 offset:236
	v_add_f32_e32 v35, v31, v32
	ds_read_b128 v[31:34], v146 offset:608
	s_waitcnt vmcnt(30) lgkmcnt(1)
	v_mul_f32_e32 v36, v27, v177
	v_fmac_f32_e32 v36, v28, v175
	v_add_f32_e32 v35, v35, v36
	s_waitcnt vmcnt(29)
	v_mul_f32_e32 v36, v29, v176
	v_fmac_f32_e32 v36, v30, v173
	v_add_f32_e32 v35, v35, v36
	s_waitcnt vmcnt(28) lgkmcnt(0)
	v_mul_f32_e32 v36, v31, v174
	v_fmac_f32_e32 v36, v32, v172
	buffer_load_dword v68, off, s[0:3], 0 offset:240
	buffer_load_dword v69, off, s[0:3], 0 offset:244
	v_add_f32_e32 v39, v35, v36
	ds_read_b128 v[35:38], v146 offset:624
	s_waitcnt vmcnt(26)
	v_mul_f32_e32 v40, v33, v180
	v_fmac_f32_e32 v40, v34, v179
	v_add_f32_e32 v43, v39, v40
	ds_read_b128 v[39:42], v146 offset:640
	s_waitcnt vmcnt(25) lgkmcnt(1)
	v_mul_f32_e32 v44, v35, v181
	s_waitcnt vmcnt(20)
	v_fmac_f32_e32 v44, v36, v187
	v_add_f32_e32 v43, v43, v44
	v_mul_f32_e32 v44, v37, v183
	v_fmac_f32_e32 v44, v38, v182
	v_add_f32_e32 v43, v43, v44
	s_waitcnt lgkmcnt(0)
	v_mul_f32_e32 v44, v39, v185
	v_fmac_f32_e32 v44, v40, v184
	buffer_load_dword v70, off, s[0:3], 0 offset:252
	buffer_load_dword v71, off, s[0:3], 0 offset:248
	;; [unrolled: 1-line block ×6, first 2 shown]
	v_add_f32_e32 v47, v43, v44
	ds_read_b128 v[43:46], v146 offset:656
	s_waitcnt vmcnt(24)
	v_mul_f32_e32 v48, v41, v188
	v_fmac_f32_e32 v48, v42, v186
	v_add_f32_e32 v51, v47, v48
	ds_read_b128 v[47:50], v146 offset:672
	s_waitcnt vmcnt(22) lgkmcnt(1)
	v_mul_f32_e32 v52, v43, v190
	v_fmac_f32_e32 v52, v44, v189
	buffer_load_dword v76, off, s[0:3], 0 offset:276
	v_add_f32_e32 v51, v51, v52
	s_waitcnt vmcnt(21)
	v_mul_f32_e32 v52, v45, v192
	v_fmac_f32_e32 v52, v46, v191
	v_add_f32_e32 v51, v51, v52
	s_waitcnt vmcnt(19) lgkmcnt(0)
	v_mul_f32_e32 v52, v47, v194
	buffer_load_dword v77, off, s[0:3], 0 offset:272
	buffer_load_dword v78, off, s[0:3], 0 offset:280
	buffer_load_dword v79, off, s[0:3], 0 offset:284
	v_fmac_f32_e32 v52, v48, v193
	v_add_f32_e32 v55, v51, v52
	s_waitcnt vmcnt(20)
	v_mul_f32_e32 v56, v49, v196
	ds_read_b128 v[51:54], v146 offset:688
	buffer_load_dword v80, off, s[0:3], 0 offset:288
	buffer_load_dword v81, off, s[0:3], 0 offset:292
	v_fmac_f32_e32 v56, v50, v195
	v_add_f32_e32 v59, v55, v56
	ds_read_b128 v[55:58], v146 offset:704
	buffer_load_dword v82, off, s[0:3], 0 offset:296
	buffer_load_dword v83, off, s[0:3], 0 offset:300
	;; [unrolled: 1-line block ×10, first 2 shown]
	ds_read_b128 v[200:203], v146 offset:720
	buffer_load_dword v92, off, s[0:3], 0 offset:336
	buffer_load_dword v93, off, s[0:3], 0 offset:340
	;; [unrolled: 1-line block ×6, first 2 shown]
	ds_read_b128 v[204:207], v146 offset:736
	buffer_load_dword v98, off, s[0:3], 0 offset:360
	buffer_load_dword v99, off, s[0:3], 0 offset:364
	v_mul_f32_e32 v18, v18, v155
	v_fma_f32 v17, v17, v166, -v18
	v_mul_f32_e32 v18, v20, v154
	v_add_f32_e32 v17, 0, v17
	v_fma_f32 v18, v19, v163, -v18
	v_mul_f32_e32 v10, v10, v153
	buffer_load_dword v100, off, s[0:3], 0 offset:368
	buffer_load_dword v101, off, s[0:3], 0 offset:372
	;; [unrolled: 1-line block ×6, first 2 shown]
	v_add_f32_e32 v17, v17, v18
	v_fma_f32 v9, v9, v160, -v10
	v_mul_f32_e32 v10, v12, v152
	v_add_f32_e32 v9, v17, v9
	v_fma_f32 v10, v11, v164, -v10
	v_mul_f32_e32 v6, v6, v151
	v_add_f32_e32 v9, v9, v10
	v_fma_f32 v5, v5, v161, -v6
	v_mul_f32_e32 v6, v8, v150
	buffer_load_dword v106, off, s[0:3], 0 offset:392
	buffer_load_dword v107, off, s[0:3], 0 offset:396
	v_add_f32_e32 v5, v9, v5
	v_fma_f32 v6, v7, v159, -v6
	v_mul_f32_e32 v2, v2, v149
	v_add_f32_e32 v5, v5, v6
	v_fma_f32 v1, v1, v158, -v2
	v_mul_f32_e32 v2, v4, v156
	v_add_f32_e32 v1, v5, v1
	v_fma_f32 v2, v3, v171, -v2
	v_add_f32_e32 v1, v1, v2
	v_mul_f32_e32 v2, v22, v157
	v_fma_f32 v2, v21, v168, -v2
	buffer_load_dword v108, off, s[0:3], 0 offset:400
	buffer_load_dword v109, off, s[0:3], 0 offset:404
	;; [unrolled: 1-line block ×6, first 2 shown]
	v_add_f32_e32 v1, v1, v2
	v_mul_f32_e32 v2, v24, v169
	v_fma_f32 v2, v23, v165, -v2
	v_add_f32_e32 v1, v1, v2
	v_mul_f32_e32 v2, v14, v167
	ds_read_b128 v[208:211], v146 offset:752
	buffer_load_dword v114, off, s[0:3], 0 offset:424
	buffer_load_dword v115, off, s[0:3], 0 offset:428
	v_fma_f32 v2, v13, v162, -v2
	v_add_f32_e32 v1, v1, v2
	v_mul_f32_e32 v2, v16, v170
	v_fma_f32 v2, v15, v178, -v2
	v_add_f32_e32 v1, v1, v2
	v_mul_f32_e32 v2, v28, v177
	v_fma_f32 v2, v27, v175, -v2
	ds_read_b128 v[212:215], v146 offset:768
	buffer_load_dword v116, off, s[0:3], 0 offset:432
	buffer_load_dword v117, off, s[0:3], 0 offset:436
	;; [unrolled: 1-line block ×6, first 2 shown]
	v_add_f32_e32 v1, v1, v2
	v_mul_f32_e32 v2, v30, v176
	v_fma_f32 v2, v29, v173, -v2
	v_add_f32_e32 v1, v1, v2
	v_mul_f32_e32 v2, v32, v174
	v_fma_f32 v2, v31, v172, -v2
	;; [unrolled: 3-line block ×3, first 2 shown]
	v_add_f32_e32 v1, v1, v2
	v_mul_f32_e32 v2, v36, v181
	buffer_load_dword v122, off, s[0:3], 0 offset:456
	buffer_load_dword v123, off, s[0:3], 0 offset:460
	;; [unrolled: 1-line block ×6, first 2 shown]
	v_fma_f32 v2, v35, v187, -v2
	v_add_f32_e32 v1, v1, v2
	v_mul_f32_e32 v2, v38, v183
	v_fma_f32 v2, v37, v182, -v2
	v_add_f32_e32 v1, v1, v2
	v_mul_f32_e32 v2, v40, v185
	;; [unrolled: 3-line block ×7, first 2 shown]
	s_waitcnt vmcnt(62) lgkmcnt(5)
	v_mul_f32_e32 v60, v51, v198
	v_fma_f32 v2, v49, v195, -v2
	v_fmac_f32_e32 v60, v52, v197
	v_add_f32_e32 v1, v1, v2
	v_mul_f32_e32 v2, v52, v198
	v_add_f32_e32 v59, v59, v60
	v_mul_f32_e32 v60, v53, v63
	v_fma_f32 v2, v51, v197, -v2
	v_fmac_f32_e32 v60, v54, v199
	v_add_f32_e32 v1, v1, v2
	v_mul_f32_e32 v2, v54, v63
	v_add_f32_e32 v59, v59, v60
	s_waitcnt lgkmcnt(4)
	v_mul_f32_e32 v60, v55, v65
	v_fma_f32 v2, v53, v199, -v2
	v_fmac_f32_e32 v60, v56, v64
	v_add_f32_e32 v1, v1, v2
	v_mul_f32_e32 v2, v56, v65
	v_add_f32_e32 v59, v59, v60
	s_waitcnt vmcnt(60)
	v_mul_f32_e32 v60, v57, v67
	v_fma_f32 v2, v55, v64, -v2
	v_fmac_f32_e32 v60, v58, v66
	v_add_f32_e32 v1, v1, v2
	v_mul_f32_e32 v2, v58, v67
	v_add_f32_e32 v59, v59, v60
	s_waitcnt vmcnt(58) lgkmcnt(3)
	v_mul_f32_e32 v60, v200, v69
	v_fma_f32 v2, v57, v66, -v2
	v_fmac_f32_e32 v60, v201, v68
	v_add_f32_e32 v1, v1, v2
	v_mul_f32_e32 v2, v201, v69
	v_add_f32_e32 v59, v59, v60
	s_waitcnt vmcnt(57)
	v_mul_f32_e32 v60, v202, v70
	v_fma_f32 v2, v200, v68, -v2
	s_waitcnt vmcnt(56)
	v_fmac_f32_e32 v60, v203, v71
	v_add_f32_e32 v1, v1, v2
	v_mul_f32_e32 v2, v203, v70
	v_add_f32_e32 v59, v59, v60
	s_waitcnt vmcnt(54) lgkmcnt(2)
	v_mul_f32_e32 v60, v204, v73
	v_fma_f32 v2, v202, v71, -v2
	v_fmac_f32_e32 v60, v205, v72
	v_add_f32_e32 v1, v1, v2
	v_mul_f32_e32 v2, v205, v73
	v_add_f32_e32 v59, v59, v60
	s_waitcnt vmcnt(52)
	v_mul_f32_e32 v60, v206, v75
	v_fma_f32 v2, v204, v72, -v2
	v_fmac_f32_e32 v60, v207, v74
	v_add_f32_e32 v1, v1, v2
	v_mul_f32_e32 v2, v207, v75
	v_add_f32_e32 v59, v59, v60
	s_waitcnt vmcnt(51) lgkmcnt(1)
	v_mul_f32_e32 v60, v208, v76
	v_fma_f32 v2, v206, v74, -v2
	s_waitcnt vmcnt(50)
	v_fmac_f32_e32 v60, v209, v77
	v_add_f32_e32 v1, v1, v2
	v_mul_f32_e32 v2, v209, v76
	v_add_f32_e32 v59, v59, v60
	s_waitcnt vmcnt(48)
	v_mul_f32_e32 v60, v210, v79
	v_fma_f32 v2, v208, v77, -v2
	v_fmac_f32_e32 v60, v211, v78
	ds_read_b128 v[216:219], v146 offset:784
	ds_read_b128 v[220:223], v146 offset:800
	v_add_f32_e32 v1, v1, v2
	v_mul_f32_e32 v2, v211, v79
	v_add_f32_e32 v59, v59, v60
	s_waitcnt vmcnt(46) lgkmcnt(2)
	v_mul_f32_e32 v60, v212, v81
	v_fma_f32 v2, v210, v78, -v2
	v_fmac_f32_e32 v60, v213, v80
	v_add_f32_e32 v1, v1, v2
	v_mul_f32_e32 v2, v213, v81
	v_add_f32_e32 v59, v59, v60
	s_waitcnt vmcnt(44)
	v_mul_f32_e32 v60, v214, v83
	v_fma_f32 v2, v212, v80, -v2
	v_fmac_f32_e32 v60, v215, v82
	v_add_f32_e32 v1, v1, v2
	v_mul_f32_e32 v2, v215, v83
	v_add_f32_e32 v59, v59, v60
	s_waitcnt vmcnt(42) lgkmcnt(1)
	v_mul_f32_e32 v60, v216, v85
	v_fma_f32 v2, v214, v82, -v2
	v_fmac_f32_e32 v60, v217, v84
	v_add_f32_e32 v1, v1, v2
	v_mul_f32_e32 v2, v217, v85
	v_add_f32_e32 v59, v59, v60
	s_waitcnt vmcnt(41)
	v_mul_f32_e32 v60, v218, v86
	v_fma_f32 v2, v216, v84, -v2
	s_waitcnt vmcnt(38)
	v_fmac_f32_e32 v60, v219, v89
	ds_read_b128 v[224:227], v146 offset:816
	ds_read_b128 v[228:231], v146 offset:832
	v_add_f32_e32 v1, v1, v2
	v_mul_f32_e32 v2, v219, v86
	v_add_f32_e32 v59, v59, v60
	s_waitcnt lgkmcnt(2)
	v_mul_f32_e32 v60, v220, v88
	v_fma_f32 v2, v218, v89, -v2
	v_fmac_f32_e32 v60, v221, v87
	v_add_f32_e32 v1, v1, v2
	v_mul_f32_e32 v2, v221, v88
	v_add_f32_e32 v59, v59, v60
	s_waitcnt vmcnt(36)
	v_mul_f32_e32 v60, v222, v91
	v_fma_f32 v2, v220, v87, -v2
	v_fmac_f32_e32 v60, v223, v90
	v_add_f32_e32 v1, v1, v2
	v_mul_f32_e32 v2, v223, v91
	v_add_f32_e32 v59, v59, v60
	s_waitcnt vmcnt(34) lgkmcnt(1)
	v_mul_f32_e32 v60, v224, v93
	v_fma_f32 v2, v222, v90, -v2
	v_fmac_f32_e32 v60, v225, v92
	v_add_f32_e32 v1, v1, v2
	v_mul_f32_e32 v2, v225, v93
	v_add_f32_e32 v59, v59, v60
	s_waitcnt vmcnt(33)
	v_mul_f32_e32 v60, v226, v94
	v_fma_f32 v2, v224, v92, -v2
	s_waitcnt vmcnt(30)
	v_fmac_f32_e32 v60, v227, v97
	ds_read_b128 v[232:235], v146 offset:848
	ds_read_b128 v[236:239], v146 offset:864
	v_add_f32_e32 v1, v1, v2
	v_mul_f32_e32 v2, v227, v94
	v_add_f32_e32 v59, v59, v60
	s_waitcnt lgkmcnt(2)
	v_mul_f32_e32 v60, v228, v96
	v_fma_f32 v2, v226, v97, -v2
	v_fmac_f32_e32 v60, v229, v95
	v_add_f32_e32 v1, v1, v2
	v_mul_f32_e32 v2, v229, v96
	v_add_f32_e32 v59, v59, v60
	s_waitcnt vmcnt(28)
	v_mul_f32_e32 v60, v230, v99
	v_fma_f32 v2, v228, v95, -v2
	v_fmac_f32_e32 v60, v231, v98
	v_add_f32_e32 v1, v1, v2
	v_mul_f32_e32 v2, v231, v99
	v_add_f32_e32 v59, v59, v60
	s_waitcnt vmcnt(26) lgkmcnt(1)
	v_mul_f32_e32 v60, v232, v101
	v_fma_f32 v2, v230, v98, -v2
	v_fmac_f32_e32 v60, v233, v100
	v_add_f32_e32 v1, v1, v2
	v_mul_f32_e32 v2, v233, v101
	v_add_f32_e32 v59, v59, v60
	s_waitcnt vmcnt(25)
	v_mul_f32_e32 v60, v234, v102
	v_fma_f32 v2, v232, v100, -v2
	s_waitcnt vmcnt(22)
	v_fmac_f32_e32 v60, v235, v105
	ds_read_b128 v[240:243], v146 offset:880
	ds_read_b128 v[244:247], v146 offset:896
	v_add_f32_e32 v1, v1, v2
	v_mul_f32_e32 v2, v235, v102
	v_add_f32_e32 v59, v59, v60
	s_waitcnt lgkmcnt(2)
	v_mul_f32_e32 v60, v236, v104
	v_fma_f32 v2, v234, v105, -v2
	v_fmac_f32_e32 v60, v237, v103
	v_add_f32_e32 v1, v1, v2
	v_mul_f32_e32 v2, v237, v104
	v_add_f32_e32 v59, v59, v60
	s_waitcnt vmcnt(20)
	v_mul_f32_e32 v60, v238, v107
	v_fma_f32 v2, v236, v103, -v2
	v_fmac_f32_e32 v60, v239, v106
	v_add_f32_e32 v1, v1, v2
	v_mul_f32_e32 v2, v239, v107
	v_add_f32_e32 v59, v59, v60
	s_waitcnt vmcnt(18) lgkmcnt(1)
	v_mul_f32_e32 v60, v240, v109
	v_fma_f32 v2, v238, v106, -v2
	v_fmac_f32_e32 v60, v241, v108
	v_add_f32_e32 v1, v1, v2
	v_mul_f32_e32 v2, v241, v109
	v_add_f32_e32 v59, v59, v60
	s_waitcnt vmcnt(17)
	v_mul_f32_e32 v60, v242, v110
	v_fma_f32 v2, v240, v108, -v2
	s_waitcnt vmcnt(14)
	v_fmac_f32_e32 v60, v243, v113
	ds_read_b128 v[248:251], v146 offset:912
	ds_read_b128 v[252:255], v146 offset:928
	v_add_f32_e32 v1, v1, v2
	v_mul_f32_e32 v2, v243, v110
	v_add_f32_e32 v59, v59, v60
	s_waitcnt lgkmcnt(2)
	v_mul_f32_e32 v60, v244, v112
	v_fma_f32 v2, v242, v113, -v2
	v_fmac_f32_e32 v60, v245, v111
	v_add_f32_e32 v1, v1, v2
	v_mul_f32_e32 v2, v245, v112
	v_add_f32_e32 v59, v59, v60
	s_waitcnt vmcnt(12)
	v_mul_f32_e32 v60, v246, v115
	v_fma_f32 v2, v244, v111, -v2
	v_fmac_f32_e32 v60, v247, v114
	v_add_f32_e32 v1, v1, v2
	v_mul_f32_e32 v2, v247, v115
	v_add_f32_e32 v59, v59, v60
	s_waitcnt vmcnt(10) lgkmcnt(1)
	v_mul_f32_e32 v60, v248, v117
	v_fma_f32 v2, v246, v114, -v2
	v_fmac_f32_e32 v60, v249, v116
	v_add_f32_e32 v1, v1, v2
	v_mul_f32_e32 v2, v249, v117
	v_add_f32_e32 v59, v59, v60
	s_waitcnt vmcnt(9)
	v_mul_f32_e32 v60, v250, v118
	v_fma_f32 v2, v248, v116, -v2
	s_waitcnt vmcnt(6)
	v_fmac_f32_e32 v60, v251, v121
	v_add_f32_e32 v1, v1, v2
	v_mul_f32_e32 v2, v251, v118
	v_add_f32_e32 v128, v59, v60
	ds_read_b128 v[59:62], v146 offset:944
	v_fma_f32 v2, v250, v121, -v2
	v_add_f32_e32 v1, v1, v2
	s_waitcnt lgkmcnt(1)
	v_mul_f32_e32 v2, v253, v120
	v_mul_f32_e32 v129, v252, v120
	v_fma_f32 v2, v252, v119, -v2
	v_fmac_f32_e32 v129, v253, v119
	v_add_f32_e32 v1, v1, v2
	s_waitcnt vmcnt(4)
	v_mul_f32_e32 v2, v255, v123
	v_add_f32_e32 v128, v128, v129
	v_mul_f32_e32 v129, v254, v123
	v_fma_f32 v2, v254, v122, -v2
	v_fmac_f32_e32 v129, v255, v122
	v_add_f32_e32 v1, v1, v2
	s_waitcnt vmcnt(3) lgkmcnt(0)
	v_mul_f32_e32 v2, v60, v124
	v_add_f32_e32 v128, v128, v129
	v_mul_f32_e32 v129, v59, v124
	s_waitcnt vmcnt(0)
	v_fma_f32 v2, v59, v127, -v2
	v_fmac_f32_e32 v129, v60, v127
	v_add_f32_e32 v1, v1, v2
	v_mul_f32_e32 v2, v62, v126
	v_add_f32_e32 v128, v128, v129
	v_mul_f32_e32 v129, v61, v126
	v_fma_f32 v2, v61, v125, -v2
	v_fmac_f32_e32 v129, v62, v125
	v_add_f32_e32 v1, v1, v2
	v_add_f32_e32 v128, v128, v129
	v_sub_f32_e32 v1, v147, v1
	v_sub_f32_e32 v2, v148, v128
	buffer_store_dword v1, off, s[0:3], 0 offset:8
	buffer_store_dword v2, off, s[0:3], 0 offset:12
	s_and_saveexec_b64 s[4:5], vcc
	s_cbranch_execz .LBB123_373
; %bb.372:
	buffer_load_dword v0, off, s[0:3], 0
	buffer_load_dword v1, off, s[0:3], 0 offset:4
	v_mov_b32_e32 v2, 0
	buffer_store_dword v2, off, s[0:3], 0
	buffer_store_dword v2, off, s[0:3], 0 offset:4
	s_waitcnt vmcnt(2)
	ds_write_b64 v145, v[0:1]
.LBB123_373:
	s_or_b64 exec, exec, s[4:5]
	s_waitcnt lgkmcnt(0)
	; wave barrier
	buffer_load_dword v9, off, s[0:3], 0 offset:12
	buffer_load_dword v8, off, s[0:3], 0 offset:20
	;; [unrolled: 1-line block ×30, first 2 shown]
	buffer_load_dword v1, off, s[0:3], 0
	buffer_load_dword v2, off, s[0:3], 0 offset:4
	v_mov_b32_e32 v0, 0
	buffer_load_dword v151, off, s[0:3], 0 offset:128
	buffer_load_dword v154, off, s[0:3], 0 offset:132
	;; [unrolled: 1-line block ×24, first 2 shown]
	ds_read2_b64 v[27:30], v0 offset0:61 offset1:62
	ds_read2_b64 v[31:34], v0 offset0:63 offset1:64
	;; [unrolled: 1-line block ×6, first 2 shown]
	buffer_load_dword v67, off, s[0:3], 0 offset:224
	buffer_load_dword v68, off, s[0:3], 0 offset:228
	s_and_b64 vcc, exec, s[14:15]
	s_waitcnt vmcnt(57) lgkmcnt(5)
	v_mul_f32_e32 v51, v27, v9
	s_waitcnt vmcnt(56)
	v_mul_f32_e32 v52, v29, v8
	s_waitcnt vmcnt(55) lgkmcnt(4)
	v_mul_f32_e32 v53, v31, v7
	s_waitcnt vmcnt(54)
	v_mul_f32_e32 v54, v33, v6
	;; [unrolled: 4-line block ×4, first 2 shown]
	s_waitcnt vmcnt(49) lgkmcnt(1)
	v_mul_f32_e32 v59, v43, v11
	s_waitcnt vmcnt(48)
	v_fmac_f32_e32 v53, v32, v14
	s_waitcnt vmcnt(47)
	v_fmac_f32_e32 v52, v30, v17
	;; [unrolled: 2-line block ×3, first 2 shown]
	v_add_f32_e32 v51, 0, v51
	v_add_f32_e32 v51, v51, v52
	v_add_f32_e32 v51, v51, v53
	s_waitcnt vmcnt(42)
	v_fmac_f32_e32 v54, v34, v18
	v_fmac_f32_e32 v55, v36, v15
	v_add_f32_e32 v51, v51, v54
	v_fmac_f32_e32 v56, v38, v13
	v_add_f32_e32 v51, v51, v55
	;; [unrolled: 2-line block ×3, first 2 shown]
	s_waitcnt vmcnt(38)
	v_fmac_f32_e32 v58, v42, v145
	v_add_f32_e32 v51, v51, v57
	v_add_f32_e32 v51, v51, v58
	v_fmac_f32_e32 v59, v44, v22
	s_waitcnt vmcnt(37)
	v_mul_f32_e32 v52, v45, v23
	v_add_f32_e32 v51, v51, v59
	v_fmac_f32_e32 v52, v46, v19
	v_add_f32_e32 v51, v51, v52
	s_waitcnt vmcnt(36) lgkmcnt(0)
	v_mul_f32_e32 v52, v47, v21
	v_fmac_f32_e32 v52, v48, v16
	v_add_f32_e32 v55, v51, v52
	ds_read2_b64 v[51:54], v0 offset0:73 offset1:74
	s_waitcnt vmcnt(35)
	v_mul_f32_e32 v56, v49, v24
	s_waitcnt vmcnt(30)
	v_fmac_f32_e32 v56, v50, v153
	v_add_f32_e32 v59, v55, v56
	ds_read2_b64 v[55:58], v0 offset0:75 offset1:76
	s_waitcnt vmcnt(29) lgkmcnt(1)
	v_mul_f32_e32 v60, v51, v152
	v_fmac_f32_e32 v60, v52, v149
	buffer_load_dword v69, off, s[0:3], 0 offset:232
	buffer_load_dword v70, off, s[0:3], 0 offset:236
	v_add_f32_e32 v59, v59, v60
	s_waitcnt vmcnt(30)
	v_mul_f32_e32 v60, v53, v150
	v_fmac_f32_e32 v60, v54, v148
	v_add_f32_e32 v59, v59, v60
	s_waitcnt lgkmcnt(0)
	v_mul_f32_e32 v60, v55, v147
	buffer_load_dword v71, off, s[0:3], 0 offset:240
	buffer_load_dword v72, off, s[0:3], 0 offset:244
	v_fmac_f32_e32 v60, v56, v146
	v_add_f32_e32 v63, v59, v60
	ds_read2_b64 v[59:62], v0 offset0:77 offset1:78
	buffer_load_dword v73, off, s[0:3], 0 offset:248
	buffer_load_dword v74, off, s[0:3], 0 offset:252
	ds_read2_b64 v[177:180], v0 offset0:79 offset1:80
	buffer_load_dword v75, off, s[0:3], 0 offset:256
	buffer_load_dword v76, off, s[0:3], 0 offset:260
	;; [unrolled: 3-line block ×4, first 2 shown]
	buffer_load_dword v81, off, s[0:3], 0 offset:280
	buffer_load_dword v82, off, s[0:3], 0 offset:284
	ds_read2_b64 v[189:192], v0 offset0:85 offset1:86
	ds_read2_b64 v[193:196], v0 offset0:87 offset1:88
	buffer_load_dword v83, off, s[0:3], 0 offset:288
	buffer_load_dword v84, off, s[0:3], 0 offset:292
	buffer_load_dword v85, off, s[0:3], 0 offset:296
	buffer_load_dword v86, off, s[0:3], 0 offset:300
	buffer_load_dword v87, off, s[0:3], 0 offset:308
	buffer_load_dword v88, off, s[0:3], 0 offset:312
	buffer_load_dword v89, off, s[0:3], 0 offset:316
	buffer_load_dword v90, off, s[0:3], 0 offset:304
	buffer_load_dword v91, off, s[0:3], 0 offset:320
	buffer_load_dword v92, off, s[0:3], 0 offset:324
	ds_read2_b64 v[197:200], v0 offset0:89 offset1:90
	buffer_load_dword v93, off, s[0:3], 0 offset:328
	buffer_load_dword v94, off, s[0:3], 0 offset:332
	;; [unrolled: 1-line block ×6, first 2 shown]
	ds_read2_b64 v[201:204], v0 offset0:91 offset1:92
	buffer_load_dword v99, off, s[0:3], 0 offset:352
	buffer_load_dword v100, off, s[0:3], 0 offset:356
	v_mul_f32_e32 v9, v28, v9
	v_fma_f32 v9, v27, v20, -v9
	v_mul_f32_e32 v8, v30, v8
	buffer_load_dword v101, off, s[0:3], 0 offset:360
	buffer_load_dword v102, off, s[0:3], 0 offset:364
	;; [unrolled: 1-line block ×6, first 2 shown]
	v_add_f32_e32 v9, 0, v9
	v_fma_f32 v8, v29, v17, -v8
	v_mul_f32_e32 v7, v32, v7
	v_add_f32_e32 v8, v9, v8
	v_fma_f32 v7, v31, v14, -v7
	v_mul_f32_e32 v6, v34, v6
	v_add_f32_e32 v7, v8, v7
	v_fma_f32 v6, v33, v18, -v6
	v_mul_f32_e32 v5, v36, v5
	buffer_load_dword v107, off, s[0:3], 0 offset:384
	buffer_load_dword v108, off, s[0:3], 0 offset:388
	v_add_f32_e32 v6, v7, v6
	v_fma_f32 v5, v35, v15, -v5
	v_mul_f32_e32 v4, v38, v4
	v_add_f32_e32 v5, v6, v5
	v_fma_f32 v4, v37, v13, -v4
	v_mul_f32_e32 v3, v40, v3
	v_add_f32_e32 v4, v5, v4
	v_fma_f32 v3, v39, v12, -v3
	v_add_f32_e32 v3, v4, v3
	v_mul_f32_e32 v4, v42, v10
	v_fma_f32 v4, v41, v145, -v4
	ds_read2_b64 v[205:208], v0 offset0:93 offset1:94
	buffer_load_dword v109, off, s[0:3], 0 offset:392
	buffer_load_dword v110, off, s[0:3], 0 offset:396
	;; [unrolled: 1-line block ×6, first 2 shown]
	v_add_f32_e32 v3, v3, v4
	v_mul_f32_e32 v4, v44, v11
	v_fma_f32 v4, v43, v22, -v4
	v_add_f32_e32 v3, v3, v4
	v_mul_f32_e32 v4, v46, v23
	ds_read2_b64 v[209:212], v0 offset0:95 offset1:96
	buffer_load_dword v115, off, s[0:3], 0 offset:416
	buffer_load_dword v116, off, s[0:3], 0 offset:420
	v_fma_f32 v4, v45, v19, -v4
	v_add_f32_e32 v3, v3, v4
	v_mul_f32_e32 v4, v48, v21
	v_fma_f32 v4, v47, v16, -v4
	v_add_f32_e32 v3, v3, v4
	v_mul_f32_e32 v4, v50, v24
	v_fma_f32 v4, v49, v153, -v4
	buffer_load_dword v117, off, s[0:3], 0 offset:424
	buffer_load_dword v118, off, s[0:3], 0 offset:428
	;; [unrolled: 1-line block ×6, first 2 shown]
	v_add_f32_e32 v3, v3, v4
	v_mul_f32_e32 v4, v52, v152
	v_fma_f32 v4, v51, v149, -v4
	v_add_f32_e32 v3, v3, v4
	v_mul_f32_e32 v4, v54, v150
	s_waitcnt vmcnt(62)
	v_mul_f32_e32 v64, v57, v154
	v_fma_f32 v4, v53, v148, -v4
	v_fmac_f32_e32 v64, v58, v151
	v_add_f32_e32 v3, v3, v4
	v_mul_f32_e32 v4, v56, v147
	v_add_f32_e32 v63, v63, v64
	s_waitcnt lgkmcnt(9)
	v_mul_f32_e32 v64, v59, v156
	buffer_load_dword v123, off, s[0:3], 0 offset:448
	buffer_load_dword v124, off, s[0:3], 0 offset:452
	v_fma_f32 v4, v55, v146, -v4
	v_fmac_f32_e32 v64, v60, v155
	v_add_f32_e32 v3, v3, v4
	v_mul_f32_e32 v4, v58, v154
	v_add_f32_e32 v63, v63, v64
	v_mul_f32_e32 v64, v61, v158
	v_fma_f32 v4, v57, v151, -v4
	v_fmac_f32_e32 v64, v62, v157
	v_add_f32_e32 v3, v3, v4
	v_mul_f32_e32 v4, v60, v156
	v_add_f32_e32 v63, v63, v64
	s_waitcnt lgkmcnt(8)
	v_mul_f32_e32 v64, v177, v160
	v_fma_f32 v4, v59, v155, -v4
	v_fmac_f32_e32 v64, v178, v159
	v_add_f32_e32 v3, v3, v4
	v_mul_f32_e32 v4, v62, v158
	v_add_f32_e32 v63, v63, v64
	v_mul_f32_e32 v64, v179, v162
	buffer_load_dword v125, off, s[0:3], 0 offset:456
	buffer_load_dword v126, off, s[0:3], 0 offset:460
	;; [unrolled: 1-line block ×6, first 2 shown]
	v_fma_f32 v4, v61, v157, -v4
	v_fmac_f32_e32 v64, v180, v161
	v_add_f32_e32 v3, v3, v4
	v_mul_f32_e32 v4, v178, v160
	v_add_f32_e32 v63, v63, v64
	s_waitcnt lgkmcnt(7)
	v_mul_f32_e32 v64, v181, v164
	v_fma_f32 v4, v177, v159, -v4
	v_fmac_f32_e32 v64, v182, v163
	v_add_f32_e32 v3, v3, v4
	v_mul_f32_e32 v4, v180, v162
	v_add_f32_e32 v63, v63, v64
	v_mul_f32_e32 v64, v183, v166
	v_fma_f32 v4, v179, v161, -v4
	v_fmac_f32_e32 v64, v184, v165
	v_add_f32_e32 v3, v3, v4
	v_mul_f32_e32 v4, v182, v164
	v_add_f32_e32 v63, v63, v64
	s_waitcnt lgkmcnt(6)
	v_mul_f32_e32 v64, v185, v168
	v_fma_f32 v4, v181, v163, -v4
	v_fmac_f32_e32 v64, v186, v167
	v_add_f32_e32 v3, v3, v4
	v_mul_f32_e32 v4, v184, v166
	v_add_f32_e32 v63, v63, v64
	v_mul_f32_e32 v64, v187, v170
	v_fma_f32 v4, v183, v165, -v4
	v_fmac_f32_e32 v64, v188, v169
	v_add_f32_e32 v3, v3, v4
	v_mul_f32_e32 v4, v186, v168
	v_add_f32_e32 v63, v63, v64
	s_waitcnt vmcnt(62) lgkmcnt(5)
	v_mul_f32_e32 v64, v189, v172
	v_fma_f32 v4, v185, v167, -v4
	v_fmac_f32_e32 v64, v190, v171
	v_add_f32_e32 v3, v3, v4
	v_mul_f32_e32 v4, v188, v170
	v_add_f32_e32 v63, v63, v64
	v_mul_f32_e32 v64, v191, v174
	v_fma_f32 v4, v187, v169, -v4
	v_fmac_f32_e32 v64, v192, v173
	v_add_f32_e32 v3, v3, v4
	v_mul_f32_e32 v4, v190, v172
	v_add_f32_e32 v63, v63, v64
	s_waitcnt lgkmcnt(4)
	v_mul_f32_e32 v64, v193, v176
	v_fma_f32 v4, v189, v171, -v4
	v_fmac_f32_e32 v64, v194, v175
	v_add_f32_e32 v3, v3, v4
	v_mul_f32_e32 v4, v192, v174
	v_add_f32_e32 v63, v63, v64
	v_mul_f32_e32 v64, v195, v68
	v_fma_f32 v4, v191, v173, -v4
	v_fmac_f32_e32 v64, v196, v67
	v_add_f32_e32 v3, v3, v4
	v_mul_f32_e32 v4, v194, v176
	v_add_f32_e32 v63, v63, v64
	s_waitcnt vmcnt(60) lgkmcnt(3)
	v_mul_f32_e32 v64, v197, v70
	v_fma_f32 v4, v193, v175, -v4
	v_fmac_f32_e32 v64, v198, v69
	v_add_f32_e32 v3, v3, v4
	v_mul_f32_e32 v4, v196, v68
	v_add_f32_e32 v63, v63, v64
	s_waitcnt vmcnt(58)
	v_mul_f32_e32 v64, v199, v72
	v_fma_f32 v4, v195, v67, -v4
	v_fmac_f32_e32 v64, v200, v71
	v_add_f32_e32 v3, v3, v4
	v_mul_f32_e32 v4, v198, v70
	v_add_f32_e32 v63, v63, v64
	s_waitcnt vmcnt(56) lgkmcnt(2)
	v_mul_f32_e32 v64, v201, v74
	v_fma_f32 v4, v197, v69, -v4
	v_fmac_f32_e32 v64, v202, v73
	v_add_f32_e32 v3, v3, v4
	v_mul_f32_e32 v4, v200, v72
	v_add_f32_e32 v63, v63, v64
	s_waitcnt vmcnt(54)
	;; [unrolled: 14-line block ×3, first 2 shown]
	v_mul_f32_e32 v64, v207, v79
	v_fma_f32 v4, v203, v75, -v4
	s_waitcnt vmcnt(50)
	v_fmac_f32_e32 v64, v208, v80
	ds_read2_b64 v[213:216], v0 offset0:97 offset1:98
	ds_read2_b64 v[217:220], v0 offset0:99 offset1:100
	v_add_f32_e32 v3, v3, v4
	v_mul_f32_e32 v4, v206, v78
	v_add_f32_e32 v63, v63, v64
	s_waitcnt vmcnt(48) lgkmcnt(2)
	v_mul_f32_e32 v64, v209, v82
	v_fma_f32 v4, v205, v77, -v4
	v_fmac_f32_e32 v64, v210, v81
	v_add_f32_e32 v3, v3, v4
	v_mul_f32_e32 v4, v208, v79
	v_add_f32_e32 v63, v63, v64
	s_waitcnt vmcnt(46)
	v_mul_f32_e32 v64, v211, v84
	v_fma_f32 v4, v207, v80, -v4
	v_fmac_f32_e32 v64, v212, v83
	v_add_f32_e32 v3, v3, v4
	v_mul_f32_e32 v4, v210, v82
	v_add_f32_e32 v63, v63, v64
	s_waitcnt vmcnt(44) lgkmcnt(1)
	v_mul_f32_e32 v64, v213, v86
	v_fma_f32 v4, v209, v81, -v4
	v_fmac_f32_e32 v64, v214, v85
	v_add_f32_e32 v3, v3, v4
	v_mul_f32_e32 v4, v212, v84
	v_add_f32_e32 v63, v63, v64
	s_waitcnt vmcnt(43)
	v_mul_f32_e32 v64, v215, v87
	v_fma_f32 v4, v211, v83, -v4
	s_waitcnt vmcnt(40)
	v_fmac_f32_e32 v64, v216, v90
	ds_read2_b64 v[221:224], v0 offset0:101 offset1:102
	ds_read2_b64 v[225:228], v0 offset0:103 offset1:104
	v_add_f32_e32 v3, v3, v4
	v_mul_f32_e32 v4, v214, v86
	v_add_f32_e32 v63, v63, v64
	s_waitcnt lgkmcnt(2)
	v_mul_f32_e32 v64, v217, v89
	v_fma_f32 v4, v213, v85, -v4
	v_fmac_f32_e32 v64, v218, v88
	v_add_f32_e32 v3, v3, v4
	v_mul_f32_e32 v4, v216, v87
	v_add_f32_e32 v63, v63, v64
	s_waitcnt vmcnt(38)
	v_mul_f32_e32 v64, v219, v92
	v_fma_f32 v4, v215, v90, -v4
	v_fmac_f32_e32 v64, v220, v91
	v_add_f32_e32 v3, v3, v4
	v_mul_f32_e32 v4, v218, v89
	v_add_f32_e32 v63, v63, v64
	s_waitcnt vmcnt(36) lgkmcnt(1)
	v_mul_f32_e32 v64, v221, v94
	v_fma_f32 v4, v217, v88, -v4
	v_fmac_f32_e32 v64, v222, v93
	v_add_f32_e32 v3, v3, v4
	v_mul_f32_e32 v4, v220, v92
	v_add_f32_e32 v63, v63, v64
	s_waitcnt vmcnt(35)
	v_mul_f32_e32 v64, v223, v95
	v_fma_f32 v4, v219, v91, -v4
	s_waitcnt vmcnt(32)
	v_fmac_f32_e32 v64, v224, v98
	ds_read2_b64 v[229:232], v0 offset0:105 offset1:106
	ds_read2_b64 v[233:236], v0 offset0:107 offset1:108
	v_add_f32_e32 v3, v3, v4
	v_mul_f32_e32 v4, v222, v94
	v_add_f32_e32 v63, v63, v64
	s_waitcnt lgkmcnt(2)
	;; [unrolled: 31-line block ×4, first 2 shown]
	v_mul_f32_e32 v64, v241, v113
	v_fma_f32 v4, v237, v109, -v4
	v_fmac_f32_e32 v64, v242, v112
	v_add_f32_e32 v3, v3, v4
	v_mul_f32_e32 v4, v240, v111
	v_add_f32_e32 v63, v63, v64
	s_waitcnt vmcnt(14)
	v_mul_f32_e32 v64, v243, v116
	v_fma_f32 v4, v239, v114, -v4
	v_fmac_f32_e32 v64, v244, v115
	v_add_f32_e32 v3, v3, v4
	v_mul_f32_e32 v4, v242, v113
	v_add_f32_e32 v63, v63, v64
	s_waitcnt vmcnt(12) lgkmcnt(1)
	v_mul_f32_e32 v64, v245, v118
	v_fma_f32 v4, v241, v112, -v4
	v_fmac_f32_e32 v64, v246, v117
	v_add_f32_e32 v3, v3, v4
	v_mul_f32_e32 v4, v244, v116
	v_add_f32_e32 v63, v63, v64
	s_waitcnt vmcnt(11)
	v_mul_f32_e32 v64, v247, v119
	v_fma_f32 v4, v243, v115, -v4
	s_waitcnt vmcnt(8)
	v_fmac_f32_e32 v64, v248, v122
	v_add_f32_e32 v3, v3, v4
	v_mul_f32_e32 v4, v246, v118
	v_add_f32_e32 v63, v63, v64
	s_waitcnt lgkmcnt(0)
	v_mul_f32_e32 v64, v249, v121
	v_fma_f32 v4, v245, v117, -v4
	v_fmac_f32_e32 v64, v250, v120
	v_add_f32_e32 v3, v3, v4
	v_mul_f32_e32 v4, v248, v119
	v_add_f32_e32 v253, v63, v64
	ds_read2_b64 v[63:66], v0 offset0:117 offset1:118
	v_fma_f32 v4, v247, v122, -v4
	v_add_f32_e32 v3, v3, v4
	v_mul_f32_e32 v4, v250, v121
	s_waitcnt vmcnt(6)
	v_mul_f32_e32 v254, v251, v124
	v_fma_f32 v4, v249, v120, -v4
	v_fmac_f32_e32 v254, v252, v123
	v_add_f32_e32 v3, v3, v4
	v_mul_f32_e32 v4, v252, v124
	v_add_f32_e32 v255, v253, v254
	ds_read_b64 v[253:254], v0 offset:952
	v_fma_f32 v4, v251, v123, -v4
	v_add_f32_e32 v3, v3, v4
	s_waitcnt vmcnt(4) lgkmcnt(1)
	v_mul_f32_e32 v4, v64, v126
	v_fma_f32 v4, v63, v125, -v4
	v_mul_f32_e32 v131, v63, v126
	v_add_f32_e32 v3, v3, v4
	s_waitcnt vmcnt(3)
	v_mul_f32_e32 v4, v66, v127
	v_fmac_f32_e32 v131, v64, v125
	v_mul_f32_e32 v132, v65, v127
	s_waitcnt vmcnt(0)
	v_fma_f32 v4, v65, v130, -v4
	v_add_f32_e32 v131, v255, v131
	v_fmac_f32_e32 v132, v66, v130
	v_add_f32_e32 v3, v3, v4
	s_waitcnt lgkmcnt(0)
	v_mul_f32_e32 v4, v254, v129
	v_add_f32_e32 v131, v131, v132
	v_mul_f32_e32 v132, v253, v129
	v_fma_f32 v4, v253, v128, -v4
	v_fmac_f32_e32 v132, v254, v128
	v_add_f32_e32 v3, v3, v4
	v_add_f32_e32 v131, v131, v132
	v_sub_f32_e32 v1, v1, v3
	v_sub_f32_e32 v2, v2, v131
	buffer_store_dword v1, off, s[0:3], 0
	buffer_store_dword v2, off, s[0:3], 0 offset:4
	s_cbranch_vccz .LBB123_492
; %bb.374:
	global_load_dword v0, v0, s[12:13] offset:232
	s_waitcnt vmcnt(0)
	v_add_u32_e32 v0, -1, v0
	v_cmp_ne_u32_e32 vcc, 58, v0
	s_cbranch_vccz .LBB123_376
; %bb.375:
	v_lshlrev_b32_e32 v0, 3, v0
	buffer_load_dword v1, v0, s[0:3], 0 offen
	buffer_load_dword v2, v0, s[0:3], 0 offen offset:4
	buffer_load_dword v3, off, s[0:3], 0 offset:468
	buffer_load_dword v4, off, s[0:3], 0 offset:464
	s_waitcnt vmcnt(3)
	buffer_store_dword v1, off, s[0:3], 0 offset:464
	s_waitcnt vmcnt(3)
	buffer_store_dword v2, off, s[0:3], 0 offset:468
	s_waitcnt vmcnt(3)
	buffer_store_dword v3, v0, s[0:3], 0 offen offset:4
	s_waitcnt vmcnt(3)
	buffer_store_dword v4, v0, s[0:3], 0 offen
.LBB123_376:
	v_mov_b32_e32 v0, 0
	global_load_dword v1, v0, s[12:13] offset:228
	s_waitcnt vmcnt(0)
	v_add_u32_e32 v1, -1, v1
	v_cmp_eq_u32_e32 vcc, 57, v1
	s_cbranch_vccnz .LBB123_378
; %bb.377:
	v_lshlrev_b32_e32 v1, 3, v1
	buffer_load_dword v2, v1, s[0:3], 0 offen
	buffer_load_dword v3, v1, s[0:3], 0 offen offset:4
	buffer_load_dword v4, off, s[0:3], 0 offset:456
	buffer_load_dword v5, off, s[0:3], 0 offset:460
	s_waitcnt vmcnt(3)
	buffer_store_dword v2, off, s[0:3], 0 offset:456
	s_waitcnt vmcnt(3)
	buffer_store_dword v3, off, s[0:3], 0 offset:460
	s_waitcnt vmcnt(3)
	buffer_store_dword v4, v1, s[0:3], 0 offen
	s_waitcnt vmcnt(3)
	buffer_store_dword v5, v1, s[0:3], 0 offen offset:4
.LBB123_378:
	global_load_dword v0, v0, s[12:13] offset:224
	s_waitcnt vmcnt(0)
	v_add_u32_e32 v0, -1, v0
	v_cmp_eq_u32_e32 vcc, 56, v0
	s_cbranch_vccnz .LBB123_380
; %bb.379:
	v_lshlrev_b32_e32 v0, 3, v0
	buffer_load_dword v1, v0, s[0:3], 0 offen
	buffer_load_dword v2, v0, s[0:3], 0 offen offset:4
	buffer_load_dword v3, off, s[0:3], 0 offset:452
	buffer_load_dword v4, off, s[0:3], 0 offset:448
	s_waitcnt vmcnt(3)
	buffer_store_dword v1, off, s[0:3], 0 offset:448
	s_waitcnt vmcnt(3)
	buffer_store_dword v2, off, s[0:3], 0 offset:452
	s_waitcnt vmcnt(3)
	buffer_store_dword v3, v0, s[0:3], 0 offen offset:4
	s_waitcnt vmcnt(3)
	buffer_store_dword v4, v0, s[0:3], 0 offen
.LBB123_380:
	v_mov_b32_e32 v0, 0
	global_load_dword v1, v0, s[12:13] offset:220
	s_waitcnt vmcnt(0)
	v_add_u32_e32 v1, -1, v1
	v_cmp_eq_u32_e32 vcc, 55, v1
	s_cbranch_vccnz .LBB123_382
; %bb.381:
	v_lshlrev_b32_e32 v1, 3, v1
	buffer_load_dword v2, v1, s[0:3], 0 offen
	buffer_load_dword v3, v1, s[0:3], 0 offen offset:4
	buffer_load_dword v4, off, s[0:3], 0 offset:440
	buffer_load_dword v5, off, s[0:3], 0 offset:444
	s_waitcnt vmcnt(3)
	buffer_store_dword v2, off, s[0:3], 0 offset:440
	s_waitcnt vmcnt(3)
	buffer_store_dword v3, off, s[0:3], 0 offset:444
	s_waitcnt vmcnt(3)
	buffer_store_dword v4, v1, s[0:3], 0 offen
	s_waitcnt vmcnt(3)
	buffer_store_dword v5, v1, s[0:3], 0 offen offset:4
.LBB123_382:
	global_load_dword v0, v0, s[12:13] offset:216
	s_waitcnt vmcnt(0)
	v_add_u32_e32 v0, -1, v0
	v_cmp_eq_u32_e32 vcc, 54, v0
	s_cbranch_vccnz .LBB123_384
; %bb.383:
	v_lshlrev_b32_e32 v0, 3, v0
	buffer_load_dword v1, v0, s[0:3], 0 offen
	buffer_load_dword v2, v0, s[0:3], 0 offen offset:4
	buffer_load_dword v3, off, s[0:3], 0 offset:436
	buffer_load_dword v4, off, s[0:3], 0 offset:432
	s_waitcnt vmcnt(3)
	buffer_store_dword v1, off, s[0:3], 0 offset:432
	s_waitcnt vmcnt(3)
	buffer_store_dword v2, off, s[0:3], 0 offset:436
	s_waitcnt vmcnt(3)
	buffer_store_dword v3, v0, s[0:3], 0 offen offset:4
	s_waitcnt vmcnt(3)
	buffer_store_dword v4, v0, s[0:3], 0 offen
.LBB123_384:
	v_mov_b32_e32 v0, 0
	global_load_dword v1, v0, s[12:13] offset:212
	s_waitcnt vmcnt(0)
	v_add_u32_e32 v1, -1, v1
	v_cmp_eq_u32_e32 vcc, 53, v1
	s_cbranch_vccnz .LBB123_386
; %bb.385:
	v_lshlrev_b32_e32 v1, 3, v1
	buffer_load_dword v2, v1, s[0:3], 0 offen
	buffer_load_dword v3, v1, s[0:3], 0 offen offset:4
	buffer_load_dword v4, off, s[0:3], 0 offset:424
	buffer_load_dword v5, off, s[0:3], 0 offset:428
	s_waitcnt vmcnt(3)
	buffer_store_dword v2, off, s[0:3], 0 offset:424
	s_waitcnt vmcnt(3)
	buffer_store_dword v3, off, s[0:3], 0 offset:428
	s_waitcnt vmcnt(3)
	buffer_store_dword v4, v1, s[0:3], 0 offen
	s_waitcnt vmcnt(3)
	buffer_store_dword v5, v1, s[0:3], 0 offen offset:4
.LBB123_386:
	global_load_dword v0, v0, s[12:13] offset:208
	s_waitcnt vmcnt(0)
	v_add_u32_e32 v0, -1, v0
	v_cmp_eq_u32_e32 vcc, 52, v0
	s_cbranch_vccnz .LBB123_388
; %bb.387:
	v_lshlrev_b32_e32 v0, 3, v0
	buffer_load_dword v1, v0, s[0:3], 0 offen
	buffer_load_dword v2, v0, s[0:3], 0 offen offset:4
	buffer_load_dword v3, off, s[0:3], 0 offset:420
	buffer_load_dword v4, off, s[0:3], 0 offset:416
	s_waitcnt vmcnt(3)
	buffer_store_dword v1, off, s[0:3], 0 offset:416
	s_waitcnt vmcnt(3)
	buffer_store_dword v2, off, s[0:3], 0 offset:420
	s_waitcnt vmcnt(3)
	buffer_store_dword v3, v0, s[0:3], 0 offen offset:4
	s_waitcnt vmcnt(3)
	buffer_store_dword v4, v0, s[0:3], 0 offen
.LBB123_388:
	v_mov_b32_e32 v0, 0
	global_load_dword v1, v0, s[12:13] offset:204
	s_waitcnt vmcnt(0)
	v_add_u32_e32 v1, -1, v1
	v_cmp_eq_u32_e32 vcc, 51, v1
	s_cbranch_vccnz .LBB123_390
; %bb.389:
	v_lshlrev_b32_e32 v1, 3, v1
	buffer_load_dword v2, v1, s[0:3], 0 offen
	buffer_load_dword v3, v1, s[0:3], 0 offen offset:4
	buffer_load_dword v4, off, s[0:3], 0 offset:408
	buffer_load_dword v5, off, s[0:3], 0 offset:412
	s_waitcnt vmcnt(3)
	buffer_store_dword v2, off, s[0:3], 0 offset:408
	s_waitcnt vmcnt(3)
	buffer_store_dword v3, off, s[0:3], 0 offset:412
	s_waitcnt vmcnt(3)
	buffer_store_dword v4, v1, s[0:3], 0 offen
	s_waitcnt vmcnt(3)
	buffer_store_dword v5, v1, s[0:3], 0 offen offset:4
.LBB123_390:
	global_load_dword v0, v0, s[12:13] offset:200
	s_waitcnt vmcnt(0)
	v_add_u32_e32 v0, -1, v0
	v_cmp_eq_u32_e32 vcc, 50, v0
	s_cbranch_vccnz .LBB123_392
; %bb.391:
	v_lshlrev_b32_e32 v0, 3, v0
	buffer_load_dword v1, v0, s[0:3], 0 offen
	buffer_load_dword v2, v0, s[0:3], 0 offen offset:4
	buffer_load_dword v3, off, s[0:3], 0 offset:404
	buffer_load_dword v4, off, s[0:3], 0 offset:400
	s_waitcnt vmcnt(3)
	buffer_store_dword v1, off, s[0:3], 0 offset:400
	s_waitcnt vmcnt(3)
	buffer_store_dword v2, off, s[0:3], 0 offset:404
	s_waitcnt vmcnt(3)
	buffer_store_dword v3, v0, s[0:3], 0 offen offset:4
	s_waitcnt vmcnt(3)
	buffer_store_dword v4, v0, s[0:3], 0 offen
.LBB123_392:
	v_mov_b32_e32 v0, 0
	global_load_dword v1, v0, s[12:13] offset:196
	s_waitcnt vmcnt(0)
	v_add_u32_e32 v1, -1, v1
	v_cmp_eq_u32_e32 vcc, 49, v1
	s_cbranch_vccnz .LBB123_394
; %bb.393:
	v_lshlrev_b32_e32 v1, 3, v1
	buffer_load_dword v2, v1, s[0:3], 0 offen
	buffer_load_dword v3, v1, s[0:3], 0 offen offset:4
	buffer_load_dword v4, off, s[0:3], 0 offset:392
	buffer_load_dword v5, off, s[0:3], 0 offset:396
	s_waitcnt vmcnt(3)
	buffer_store_dword v2, off, s[0:3], 0 offset:392
	s_waitcnt vmcnt(3)
	buffer_store_dword v3, off, s[0:3], 0 offset:396
	s_waitcnt vmcnt(3)
	buffer_store_dword v4, v1, s[0:3], 0 offen
	s_waitcnt vmcnt(3)
	buffer_store_dword v5, v1, s[0:3], 0 offen offset:4
.LBB123_394:
	global_load_dword v0, v0, s[12:13] offset:192
	s_waitcnt vmcnt(0)
	v_add_u32_e32 v0, -1, v0
	v_cmp_eq_u32_e32 vcc, 48, v0
	s_cbranch_vccnz .LBB123_396
; %bb.395:
	v_lshlrev_b32_e32 v0, 3, v0
	buffer_load_dword v1, v0, s[0:3], 0 offen
	buffer_load_dword v2, v0, s[0:3], 0 offen offset:4
	buffer_load_dword v3, off, s[0:3], 0 offset:388
	buffer_load_dword v4, off, s[0:3], 0 offset:384
	s_waitcnt vmcnt(3)
	buffer_store_dword v1, off, s[0:3], 0 offset:384
	s_waitcnt vmcnt(3)
	buffer_store_dword v2, off, s[0:3], 0 offset:388
	s_waitcnt vmcnt(3)
	buffer_store_dword v3, v0, s[0:3], 0 offen offset:4
	s_waitcnt vmcnt(3)
	buffer_store_dword v4, v0, s[0:3], 0 offen
.LBB123_396:
	v_mov_b32_e32 v0, 0
	global_load_dword v1, v0, s[12:13] offset:188
	s_waitcnt vmcnt(0)
	v_add_u32_e32 v1, -1, v1
	v_cmp_eq_u32_e32 vcc, 47, v1
	s_cbranch_vccnz .LBB123_398
; %bb.397:
	v_lshlrev_b32_e32 v1, 3, v1
	buffer_load_dword v2, v1, s[0:3], 0 offen
	buffer_load_dword v3, v1, s[0:3], 0 offen offset:4
	buffer_load_dword v4, off, s[0:3], 0 offset:376
	buffer_load_dword v5, off, s[0:3], 0 offset:380
	s_waitcnt vmcnt(3)
	buffer_store_dword v2, off, s[0:3], 0 offset:376
	s_waitcnt vmcnt(3)
	buffer_store_dword v3, off, s[0:3], 0 offset:380
	s_waitcnt vmcnt(3)
	buffer_store_dword v4, v1, s[0:3], 0 offen
	s_waitcnt vmcnt(3)
	buffer_store_dword v5, v1, s[0:3], 0 offen offset:4
.LBB123_398:
	global_load_dword v0, v0, s[12:13] offset:184
	s_waitcnt vmcnt(0)
	v_add_u32_e32 v0, -1, v0
	v_cmp_eq_u32_e32 vcc, 46, v0
	s_cbranch_vccnz .LBB123_400
; %bb.399:
	v_lshlrev_b32_e32 v0, 3, v0
	buffer_load_dword v1, v0, s[0:3], 0 offen
	buffer_load_dword v2, v0, s[0:3], 0 offen offset:4
	buffer_load_dword v3, off, s[0:3], 0 offset:372
	buffer_load_dword v4, off, s[0:3], 0 offset:368
	s_waitcnt vmcnt(3)
	buffer_store_dword v1, off, s[0:3], 0 offset:368
	s_waitcnt vmcnt(3)
	buffer_store_dword v2, off, s[0:3], 0 offset:372
	s_waitcnt vmcnt(3)
	buffer_store_dword v3, v0, s[0:3], 0 offen offset:4
	s_waitcnt vmcnt(3)
	buffer_store_dword v4, v0, s[0:3], 0 offen
.LBB123_400:
	v_mov_b32_e32 v0, 0
	global_load_dword v1, v0, s[12:13] offset:180
	s_waitcnt vmcnt(0)
	v_add_u32_e32 v1, -1, v1
	v_cmp_eq_u32_e32 vcc, 45, v1
	s_cbranch_vccnz .LBB123_402
; %bb.401:
	v_lshlrev_b32_e32 v1, 3, v1
	buffer_load_dword v2, v1, s[0:3], 0 offen
	buffer_load_dword v3, v1, s[0:3], 0 offen offset:4
	buffer_load_dword v4, off, s[0:3], 0 offset:360
	buffer_load_dword v5, off, s[0:3], 0 offset:364
	s_waitcnt vmcnt(3)
	buffer_store_dword v2, off, s[0:3], 0 offset:360
	s_waitcnt vmcnt(3)
	buffer_store_dword v3, off, s[0:3], 0 offset:364
	s_waitcnt vmcnt(3)
	buffer_store_dword v4, v1, s[0:3], 0 offen
	s_waitcnt vmcnt(3)
	buffer_store_dword v5, v1, s[0:3], 0 offen offset:4
.LBB123_402:
	global_load_dword v0, v0, s[12:13] offset:176
	s_waitcnt vmcnt(0)
	v_add_u32_e32 v0, -1, v0
	v_cmp_eq_u32_e32 vcc, 44, v0
	s_cbranch_vccnz .LBB123_404
; %bb.403:
	v_lshlrev_b32_e32 v0, 3, v0
	buffer_load_dword v1, v0, s[0:3], 0 offen
	buffer_load_dword v2, v0, s[0:3], 0 offen offset:4
	buffer_load_dword v3, off, s[0:3], 0 offset:356
	buffer_load_dword v4, off, s[0:3], 0 offset:352
	s_waitcnt vmcnt(3)
	buffer_store_dword v1, off, s[0:3], 0 offset:352
	s_waitcnt vmcnt(3)
	buffer_store_dword v2, off, s[0:3], 0 offset:356
	s_waitcnt vmcnt(3)
	buffer_store_dword v3, v0, s[0:3], 0 offen offset:4
	s_waitcnt vmcnt(3)
	buffer_store_dword v4, v0, s[0:3], 0 offen
.LBB123_404:
	v_mov_b32_e32 v0, 0
	global_load_dword v1, v0, s[12:13] offset:172
	s_waitcnt vmcnt(0)
	v_add_u32_e32 v1, -1, v1
	v_cmp_eq_u32_e32 vcc, 43, v1
	s_cbranch_vccnz .LBB123_406
; %bb.405:
	v_lshlrev_b32_e32 v1, 3, v1
	buffer_load_dword v2, v1, s[0:3], 0 offen
	buffer_load_dword v3, v1, s[0:3], 0 offen offset:4
	buffer_load_dword v4, off, s[0:3], 0 offset:344
	buffer_load_dword v5, off, s[0:3], 0 offset:348
	s_waitcnt vmcnt(3)
	buffer_store_dword v2, off, s[0:3], 0 offset:344
	s_waitcnt vmcnt(3)
	buffer_store_dword v3, off, s[0:3], 0 offset:348
	s_waitcnt vmcnt(3)
	buffer_store_dword v4, v1, s[0:3], 0 offen
	s_waitcnt vmcnt(3)
	buffer_store_dword v5, v1, s[0:3], 0 offen offset:4
.LBB123_406:
	global_load_dword v0, v0, s[12:13] offset:168
	s_waitcnt vmcnt(0)
	v_add_u32_e32 v0, -1, v0
	v_cmp_eq_u32_e32 vcc, 42, v0
	s_cbranch_vccnz .LBB123_408
; %bb.407:
	v_lshlrev_b32_e32 v0, 3, v0
	buffer_load_dword v1, v0, s[0:3], 0 offen
	buffer_load_dword v2, v0, s[0:3], 0 offen offset:4
	buffer_load_dword v3, off, s[0:3], 0 offset:340
	buffer_load_dword v4, off, s[0:3], 0 offset:336
	s_waitcnt vmcnt(3)
	buffer_store_dword v1, off, s[0:3], 0 offset:336
	s_waitcnt vmcnt(3)
	buffer_store_dword v2, off, s[0:3], 0 offset:340
	s_waitcnt vmcnt(3)
	buffer_store_dword v3, v0, s[0:3], 0 offen offset:4
	s_waitcnt vmcnt(3)
	buffer_store_dword v4, v0, s[0:3], 0 offen
.LBB123_408:
	v_mov_b32_e32 v0, 0
	global_load_dword v1, v0, s[12:13] offset:164
	s_waitcnt vmcnt(0)
	v_add_u32_e32 v1, -1, v1
	v_cmp_eq_u32_e32 vcc, 41, v1
	s_cbranch_vccnz .LBB123_410
; %bb.409:
	v_lshlrev_b32_e32 v1, 3, v1
	buffer_load_dword v2, v1, s[0:3], 0 offen
	buffer_load_dword v3, v1, s[0:3], 0 offen offset:4
	buffer_load_dword v4, off, s[0:3], 0 offset:328
	buffer_load_dword v5, off, s[0:3], 0 offset:332
	s_waitcnt vmcnt(3)
	buffer_store_dword v2, off, s[0:3], 0 offset:328
	s_waitcnt vmcnt(3)
	buffer_store_dword v3, off, s[0:3], 0 offset:332
	s_waitcnt vmcnt(3)
	buffer_store_dword v4, v1, s[0:3], 0 offen
	s_waitcnt vmcnt(3)
	buffer_store_dword v5, v1, s[0:3], 0 offen offset:4
.LBB123_410:
	global_load_dword v0, v0, s[12:13] offset:160
	s_waitcnt vmcnt(0)
	v_add_u32_e32 v0, -1, v0
	v_cmp_eq_u32_e32 vcc, 40, v0
	s_cbranch_vccnz .LBB123_412
; %bb.411:
	v_lshlrev_b32_e32 v0, 3, v0
	buffer_load_dword v1, v0, s[0:3], 0 offen
	buffer_load_dword v2, v0, s[0:3], 0 offen offset:4
	buffer_load_dword v3, off, s[0:3], 0 offset:324
	buffer_load_dword v4, off, s[0:3], 0 offset:320
	s_waitcnt vmcnt(3)
	buffer_store_dword v1, off, s[0:3], 0 offset:320
	s_waitcnt vmcnt(3)
	buffer_store_dword v2, off, s[0:3], 0 offset:324
	s_waitcnt vmcnt(3)
	buffer_store_dword v3, v0, s[0:3], 0 offen offset:4
	s_waitcnt vmcnt(3)
	buffer_store_dword v4, v0, s[0:3], 0 offen
.LBB123_412:
	v_mov_b32_e32 v0, 0
	global_load_dword v1, v0, s[12:13] offset:156
	s_waitcnt vmcnt(0)
	v_add_u32_e32 v1, -1, v1
	v_cmp_eq_u32_e32 vcc, 39, v1
	s_cbranch_vccnz .LBB123_414
; %bb.413:
	v_lshlrev_b32_e32 v1, 3, v1
	buffer_load_dword v2, v1, s[0:3], 0 offen
	buffer_load_dword v3, v1, s[0:3], 0 offen offset:4
	buffer_load_dword v4, off, s[0:3], 0 offset:312
	buffer_load_dword v5, off, s[0:3], 0 offset:316
	s_waitcnt vmcnt(3)
	buffer_store_dword v2, off, s[0:3], 0 offset:312
	s_waitcnt vmcnt(3)
	buffer_store_dword v3, off, s[0:3], 0 offset:316
	s_waitcnt vmcnt(3)
	buffer_store_dword v4, v1, s[0:3], 0 offen
	s_waitcnt vmcnt(3)
	buffer_store_dword v5, v1, s[0:3], 0 offen offset:4
.LBB123_414:
	global_load_dword v0, v0, s[12:13] offset:152
	s_waitcnt vmcnt(0)
	v_add_u32_e32 v0, -1, v0
	v_cmp_eq_u32_e32 vcc, 38, v0
	s_cbranch_vccnz .LBB123_416
; %bb.415:
	v_lshlrev_b32_e32 v0, 3, v0
	buffer_load_dword v1, v0, s[0:3], 0 offen
	buffer_load_dword v2, v0, s[0:3], 0 offen offset:4
	buffer_load_dword v3, off, s[0:3], 0 offset:308
	buffer_load_dword v4, off, s[0:3], 0 offset:304
	s_waitcnt vmcnt(3)
	buffer_store_dword v1, off, s[0:3], 0 offset:304
	s_waitcnt vmcnt(3)
	buffer_store_dword v2, off, s[0:3], 0 offset:308
	s_waitcnt vmcnt(3)
	buffer_store_dword v3, v0, s[0:3], 0 offen offset:4
	s_waitcnt vmcnt(3)
	buffer_store_dword v4, v0, s[0:3], 0 offen
.LBB123_416:
	v_mov_b32_e32 v0, 0
	global_load_dword v1, v0, s[12:13] offset:148
	s_waitcnt vmcnt(0)
	v_add_u32_e32 v1, -1, v1
	v_cmp_eq_u32_e32 vcc, 37, v1
	s_cbranch_vccnz .LBB123_418
; %bb.417:
	v_lshlrev_b32_e32 v1, 3, v1
	buffer_load_dword v2, v1, s[0:3], 0 offen
	buffer_load_dword v3, v1, s[0:3], 0 offen offset:4
	buffer_load_dword v4, off, s[0:3], 0 offset:296
	buffer_load_dword v5, off, s[0:3], 0 offset:300
	s_waitcnt vmcnt(3)
	buffer_store_dword v2, off, s[0:3], 0 offset:296
	s_waitcnt vmcnt(3)
	buffer_store_dword v3, off, s[0:3], 0 offset:300
	s_waitcnt vmcnt(3)
	buffer_store_dword v4, v1, s[0:3], 0 offen
	s_waitcnt vmcnt(3)
	buffer_store_dword v5, v1, s[0:3], 0 offen offset:4
.LBB123_418:
	global_load_dword v0, v0, s[12:13] offset:144
	s_waitcnt vmcnt(0)
	v_add_u32_e32 v0, -1, v0
	v_cmp_eq_u32_e32 vcc, 36, v0
	s_cbranch_vccnz .LBB123_420
; %bb.419:
	v_lshlrev_b32_e32 v0, 3, v0
	buffer_load_dword v1, v0, s[0:3], 0 offen
	buffer_load_dword v2, v0, s[0:3], 0 offen offset:4
	buffer_load_dword v3, off, s[0:3], 0 offset:292
	buffer_load_dword v4, off, s[0:3], 0 offset:288
	s_waitcnt vmcnt(3)
	buffer_store_dword v1, off, s[0:3], 0 offset:288
	s_waitcnt vmcnt(3)
	buffer_store_dword v2, off, s[0:3], 0 offset:292
	s_waitcnt vmcnt(3)
	buffer_store_dword v3, v0, s[0:3], 0 offen offset:4
	s_waitcnt vmcnt(3)
	buffer_store_dword v4, v0, s[0:3], 0 offen
.LBB123_420:
	v_mov_b32_e32 v0, 0
	global_load_dword v1, v0, s[12:13] offset:140
	s_waitcnt vmcnt(0)
	v_add_u32_e32 v1, -1, v1
	v_cmp_eq_u32_e32 vcc, 35, v1
	s_cbranch_vccnz .LBB123_422
; %bb.421:
	v_lshlrev_b32_e32 v1, 3, v1
	buffer_load_dword v2, v1, s[0:3], 0 offen
	buffer_load_dword v3, v1, s[0:3], 0 offen offset:4
	buffer_load_dword v4, off, s[0:3], 0 offset:280
	buffer_load_dword v5, off, s[0:3], 0 offset:284
	s_waitcnt vmcnt(3)
	buffer_store_dword v2, off, s[0:3], 0 offset:280
	s_waitcnt vmcnt(3)
	buffer_store_dword v3, off, s[0:3], 0 offset:284
	s_waitcnt vmcnt(3)
	buffer_store_dword v4, v1, s[0:3], 0 offen
	s_waitcnt vmcnt(3)
	buffer_store_dword v5, v1, s[0:3], 0 offen offset:4
.LBB123_422:
	global_load_dword v0, v0, s[12:13] offset:136
	s_waitcnt vmcnt(0)
	v_add_u32_e32 v0, -1, v0
	v_cmp_eq_u32_e32 vcc, 34, v0
	s_cbranch_vccnz .LBB123_424
; %bb.423:
	v_lshlrev_b32_e32 v0, 3, v0
	buffer_load_dword v1, v0, s[0:3], 0 offen
	buffer_load_dword v2, v0, s[0:3], 0 offen offset:4
	buffer_load_dword v3, off, s[0:3], 0 offset:276
	buffer_load_dword v4, off, s[0:3], 0 offset:272
	s_waitcnt vmcnt(3)
	buffer_store_dword v1, off, s[0:3], 0 offset:272
	s_waitcnt vmcnt(3)
	buffer_store_dword v2, off, s[0:3], 0 offset:276
	s_waitcnt vmcnt(3)
	buffer_store_dword v3, v0, s[0:3], 0 offen offset:4
	s_waitcnt vmcnt(3)
	buffer_store_dword v4, v0, s[0:3], 0 offen
.LBB123_424:
	v_mov_b32_e32 v0, 0
	global_load_dword v1, v0, s[12:13] offset:132
	s_waitcnt vmcnt(0)
	v_add_u32_e32 v1, -1, v1
	v_cmp_eq_u32_e32 vcc, 33, v1
	s_cbranch_vccnz .LBB123_426
; %bb.425:
	v_lshlrev_b32_e32 v1, 3, v1
	buffer_load_dword v2, v1, s[0:3], 0 offen
	buffer_load_dword v3, v1, s[0:3], 0 offen offset:4
	buffer_load_dword v4, off, s[0:3], 0 offset:264
	buffer_load_dword v5, off, s[0:3], 0 offset:268
	s_waitcnt vmcnt(3)
	buffer_store_dword v2, off, s[0:3], 0 offset:264
	s_waitcnt vmcnt(3)
	buffer_store_dword v3, off, s[0:3], 0 offset:268
	s_waitcnt vmcnt(3)
	buffer_store_dword v4, v1, s[0:3], 0 offen
	s_waitcnt vmcnt(3)
	buffer_store_dword v5, v1, s[0:3], 0 offen offset:4
.LBB123_426:
	global_load_dword v0, v0, s[12:13] offset:128
	s_waitcnt vmcnt(0)
	v_add_u32_e32 v0, -1, v0
	v_cmp_eq_u32_e32 vcc, 32, v0
	s_cbranch_vccnz .LBB123_428
; %bb.427:
	v_lshlrev_b32_e32 v0, 3, v0
	buffer_load_dword v1, v0, s[0:3], 0 offen
	buffer_load_dword v2, v0, s[0:3], 0 offen offset:4
	buffer_load_dword v3, off, s[0:3], 0 offset:260
	buffer_load_dword v4, off, s[0:3], 0 offset:256
	s_waitcnt vmcnt(3)
	buffer_store_dword v1, off, s[0:3], 0 offset:256
	s_waitcnt vmcnt(3)
	buffer_store_dword v2, off, s[0:3], 0 offset:260
	s_waitcnt vmcnt(3)
	buffer_store_dword v3, v0, s[0:3], 0 offen offset:4
	s_waitcnt vmcnt(3)
	buffer_store_dword v4, v0, s[0:3], 0 offen
.LBB123_428:
	v_mov_b32_e32 v0, 0
	global_load_dword v1, v0, s[12:13] offset:124
	s_waitcnt vmcnt(0)
	v_add_u32_e32 v1, -1, v1
	v_cmp_eq_u32_e32 vcc, 31, v1
	s_cbranch_vccnz .LBB123_430
; %bb.429:
	v_lshlrev_b32_e32 v1, 3, v1
	buffer_load_dword v2, v1, s[0:3], 0 offen
	buffer_load_dword v3, v1, s[0:3], 0 offen offset:4
	buffer_load_dword v4, off, s[0:3], 0 offset:248
	buffer_load_dword v5, off, s[0:3], 0 offset:252
	s_waitcnt vmcnt(3)
	buffer_store_dword v2, off, s[0:3], 0 offset:248
	s_waitcnt vmcnt(3)
	buffer_store_dword v3, off, s[0:3], 0 offset:252
	s_waitcnt vmcnt(3)
	buffer_store_dword v4, v1, s[0:3], 0 offen
	s_waitcnt vmcnt(3)
	buffer_store_dword v5, v1, s[0:3], 0 offen offset:4
.LBB123_430:
	global_load_dword v0, v0, s[12:13] offset:120
	s_waitcnt vmcnt(0)
	v_add_u32_e32 v0, -1, v0
	v_cmp_eq_u32_e32 vcc, 30, v0
	s_cbranch_vccnz .LBB123_432
; %bb.431:
	v_lshlrev_b32_e32 v0, 3, v0
	buffer_load_dword v1, v0, s[0:3], 0 offen
	buffer_load_dword v2, v0, s[0:3], 0 offen offset:4
	buffer_load_dword v3, off, s[0:3], 0 offset:244
	buffer_load_dword v4, off, s[0:3], 0 offset:240
	s_waitcnt vmcnt(3)
	buffer_store_dword v1, off, s[0:3], 0 offset:240
	s_waitcnt vmcnt(3)
	buffer_store_dword v2, off, s[0:3], 0 offset:244
	s_waitcnt vmcnt(3)
	buffer_store_dword v3, v0, s[0:3], 0 offen offset:4
	s_waitcnt vmcnt(3)
	buffer_store_dword v4, v0, s[0:3], 0 offen
.LBB123_432:
	v_mov_b32_e32 v0, 0
	global_load_dword v1, v0, s[12:13] offset:116
	s_waitcnt vmcnt(0)
	v_add_u32_e32 v1, -1, v1
	v_cmp_eq_u32_e32 vcc, 29, v1
	s_cbranch_vccnz .LBB123_434
; %bb.433:
	v_lshlrev_b32_e32 v1, 3, v1
	buffer_load_dword v2, v1, s[0:3], 0 offen
	buffer_load_dword v3, v1, s[0:3], 0 offen offset:4
	buffer_load_dword v4, off, s[0:3], 0 offset:232
	buffer_load_dword v5, off, s[0:3], 0 offset:236
	s_waitcnt vmcnt(3)
	buffer_store_dword v2, off, s[0:3], 0 offset:232
	s_waitcnt vmcnt(3)
	buffer_store_dword v3, off, s[0:3], 0 offset:236
	s_waitcnt vmcnt(3)
	buffer_store_dword v4, v1, s[0:3], 0 offen
	s_waitcnt vmcnt(3)
	buffer_store_dword v5, v1, s[0:3], 0 offen offset:4
.LBB123_434:
	global_load_dword v0, v0, s[12:13] offset:112
	s_waitcnt vmcnt(0)
	v_add_u32_e32 v0, -1, v0
	v_cmp_eq_u32_e32 vcc, 28, v0
	s_cbranch_vccnz .LBB123_436
; %bb.435:
	v_lshlrev_b32_e32 v0, 3, v0
	buffer_load_dword v1, v0, s[0:3], 0 offen
	buffer_load_dword v2, v0, s[0:3], 0 offen offset:4
	buffer_load_dword v3, off, s[0:3], 0 offset:228
	buffer_load_dword v4, off, s[0:3], 0 offset:224
	s_waitcnt vmcnt(3)
	buffer_store_dword v1, off, s[0:3], 0 offset:224
	s_waitcnt vmcnt(3)
	buffer_store_dword v2, off, s[0:3], 0 offset:228
	s_waitcnt vmcnt(3)
	buffer_store_dword v3, v0, s[0:3], 0 offen offset:4
	s_waitcnt vmcnt(3)
	buffer_store_dword v4, v0, s[0:3], 0 offen
.LBB123_436:
	v_mov_b32_e32 v0, 0
	global_load_dword v1, v0, s[12:13] offset:108
	s_waitcnt vmcnt(0)
	v_add_u32_e32 v1, -1, v1
	v_cmp_eq_u32_e32 vcc, 27, v1
	s_cbranch_vccnz .LBB123_438
; %bb.437:
	v_lshlrev_b32_e32 v1, 3, v1
	buffer_load_dword v2, v1, s[0:3], 0 offen
	buffer_load_dword v3, v1, s[0:3], 0 offen offset:4
	buffer_load_dword v4, off, s[0:3], 0 offset:216
	buffer_load_dword v5, off, s[0:3], 0 offset:220
	s_waitcnt vmcnt(3)
	buffer_store_dword v2, off, s[0:3], 0 offset:216
	s_waitcnt vmcnt(3)
	buffer_store_dword v3, off, s[0:3], 0 offset:220
	s_waitcnt vmcnt(3)
	buffer_store_dword v4, v1, s[0:3], 0 offen
	s_waitcnt vmcnt(3)
	buffer_store_dword v5, v1, s[0:3], 0 offen offset:4
.LBB123_438:
	global_load_dword v0, v0, s[12:13] offset:104
	s_waitcnt vmcnt(0)
	v_add_u32_e32 v0, -1, v0
	v_cmp_eq_u32_e32 vcc, 26, v0
	s_cbranch_vccnz .LBB123_440
; %bb.439:
	v_lshlrev_b32_e32 v0, 3, v0
	buffer_load_dword v1, v0, s[0:3], 0 offen
	buffer_load_dword v2, v0, s[0:3], 0 offen offset:4
	buffer_load_dword v3, off, s[0:3], 0 offset:212
	buffer_load_dword v4, off, s[0:3], 0 offset:208
	s_waitcnt vmcnt(3)
	buffer_store_dword v1, off, s[0:3], 0 offset:208
	s_waitcnt vmcnt(3)
	buffer_store_dword v2, off, s[0:3], 0 offset:212
	s_waitcnt vmcnt(3)
	buffer_store_dword v3, v0, s[0:3], 0 offen offset:4
	s_waitcnt vmcnt(3)
	buffer_store_dword v4, v0, s[0:3], 0 offen
.LBB123_440:
	v_mov_b32_e32 v0, 0
	global_load_dword v1, v0, s[12:13] offset:100
	s_waitcnt vmcnt(0)
	v_add_u32_e32 v1, -1, v1
	v_cmp_eq_u32_e32 vcc, 25, v1
	s_cbranch_vccnz .LBB123_442
; %bb.441:
	v_lshlrev_b32_e32 v1, 3, v1
	buffer_load_dword v2, v1, s[0:3], 0 offen
	buffer_load_dword v3, v1, s[0:3], 0 offen offset:4
	buffer_load_dword v4, off, s[0:3], 0 offset:200
	buffer_load_dword v5, off, s[0:3], 0 offset:204
	s_waitcnt vmcnt(3)
	buffer_store_dword v2, off, s[0:3], 0 offset:200
	s_waitcnt vmcnt(3)
	buffer_store_dword v3, off, s[0:3], 0 offset:204
	s_waitcnt vmcnt(3)
	buffer_store_dword v4, v1, s[0:3], 0 offen
	s_waitcnt vmcnt(3)
	buffer_store_dword v5, v1, s[0:3], 0 offen offset:4
.LBB123_442:
	global_load_dword v0, v0, s[12:13] offset:96
	s_waitcnt vmcnt(0)
	v_add_u32_e32 v0, -1, v0
	v_cmp_eq_u32_e32 vcc, 24, v0
	s_cbranch_vccnz .LBB123_444
; %bb.443:
	v_lshlrev_b32_e32 v0, 3, v0
	buffer_load_dword v1, v0, s[0:3], 0 offen
	buffer_load_dword v2, v0, s[0:3], 0 offen offset:4
	buffer_load_dword v3, off, s[0:3], 0 offset:196
	buffer_load_dword v4, off, s[0:3], 0 offset:192
	s_waitcnt vmcnt(3)
	buffer_store_dword v1, off, s[0:3], 0 offset:192
	s_waitcnt vmcnt(3)
	buffer_store_dword v2, off, s[0:3], 0 offset:196
	s_waitcnt vmcnt(3)
	buffer_store_dword v3, v0, s[0:3], 0 offen offset:4
	s_waitcnt vmcnt(3)
	buffer_store_dword v4, v0, s[0:3], 0 offen
.LBB123_444:
	v_mov_b32_e32 v0, 0
	global_load_dword v1, v0, s[12:13] offset:92
	s_waitcnt vmcnt(0)
	v_add_u32_e32 v1, -1, v1
	v_cmp_eq_u32_e32 vcc, 23, v1
	s_cbranch_vccnz .LBB123_446
; %bb.445:
	v_lshlrev_b32_e32 v1, 3, v1
	buffer_load_dword v2, v1, s[0:3], 0 offen
	buffer_load_dword v3, v1, s[0:3], 0 offen offset:4
	buffer_load_dword v4, off, s[0:3], 0 offset:184
	buffer_load_dword v5, off, s[0:3], 0 offset:188
	s_waitcnt vmcnt(3)
	buffer_store_dword v2, off, s[0:3], 0 offset:184
	s_waitcnt vmcnt(3)
	buffer_store_dword v3, off, s[0:3], 0 offset:188
	s_waitcnt vmcnt(3)
	buffer_store_dword v4, v1, s[0:3], 0 offen
	s_waitcnt vmcnt(3)
	buffer_store_dword v5, v1, s[0:3], 0 offen offset:4
.LBB123_446:
	global_load_dword v0, v0, s[12:13] offset:88
	s_waitcnt vmcnt(0)
	v_add_u32_e32 v0, -1, v0
	v_cmp_eq_u32_e32 vcc, 22, v0
	s_cbranch_vccnz .LBB123_448
; %bb.447:
	v_lshlrev_b32_e32 v0, 3, v0
	buffer_load_dword v1, v0, s[0:3], 0 offen
	buffer_load_dword v2, v0, s[0:3], 0 offen offset:4
	buffer_load_dword v3, off, s[0:3], 0 offset:180
	buffer_load_dword v4, off, s[0:3], 0 offset:176
	s_waitcnt vmcnt(3)
	buffer_store_dword v1, off, s[0:3], 0 offset:176
	s_waitcnt vmcnt(3)
	buffer_store_dword v2, off, s[0:3], 0 offset:180
	s_waitcnt vmcnt(3)
	buffer_store_dword v3, v0, s[0:3], 0 offen offset:4
	s_waitcnt vmcnt(3)
	buffer_store_dword v4, v0, s[0:3], 0 offen
.LBB123_448:
	v_mov_b32_e32 v0, 0
	global_load_dword v1, v0, s[12:13] offset:84
	s_waitcnt vmcnt(0)
	v_add_u32_e32 v1, -1, v1
	v_cmp_eq_u32_e32 vcc, 21, v1
	s_cbranch_vccnz .LBB123_450
; %bb.449:
	v_lshlrev_b32_e32 v1, 3, v1
	buffer_load_dword v2, v1, s[0:3], 0 offen
	buffer_load_dword v3, v1, s[0:3], 0 offen offset:4
	buffer_load_dword v4, off, s[0:3], 0 offset:168
	buffer_load_dword v5, off, s[0:3], 0 offset:172
	s_waitcnt vmcnt(3)
	buffer_store_dword v2, off, s[0:3], 0 offset:168
	s_waitcnt vmcnt(3)
	buffer_store_dword v3, off, s[0:3], 0 offset:172
	s_waitcnt vmcnt(3)
	buffer_store_dword v4, v1, s[0:3], 0 offen
	s_waitcnt vmcnt(3)
	buffer_store_dword v5, v1, s[0:3], 0 offen offset:4
.LBB123_450:
	global_load_dword v0, v0, s[12:13] offset:80
	s_waitcnt vmcnt(0)
	v_add_u32_e32 v0, -1, v0
	v_cmp_eq_u32_e32 vcc, 20, v0
	s_cbranch_vccnz .LBB123_452
; %bb.451:
	v_lshlrev_b32_e32 v0, 3, v0
	buffer_load_dword v1, v0, s[0:3], 0 offen
	buffer_load_dword v2, v0, s[0:3], 0 offen offset:4
	buffer_load_dword v3, off, s[0:3], 0 offset:164
	buffer_load_dword v4, off, s[0:3], 0 offset:160
	s_waitcnt vmcnt(3)
	buffer_store_dword v1, off, s[0:3], 0 offset:160
	s_waitcnt vmcnt(3)
	buffer_store_dword v2, off, s[0:3], 0 offset:164
	s_waitcnt vmcnt(3)
	buffer_store_dword v3, v0, s[0:3], 0 offen offset:4
	s_waitcnt vmcnt(3)
	buffer_store_dword v4, v0, s[0:3], 0 offen
.LBB123_452:
	v_mov_b32_e32 v0, 0
	global_load_dword v1, v0, s[12:13] offset:76
	s_waitcnt vmcnt(0)
	v_add_u32_e32 v1, -1, v1
	v_cmp_eq_u32_e32 vcc, 19, v1
	s_cbranch_vccnz .LBB123_454
; %bb.453:
	v_lshlrev_b32_e32 v1, 3, v1
	buffer_load_dword v2, v1, s[0:3], 0 offen
	buffer_load_dword v3, v1, s[0:3], 0 offen offset:4
	buffer_load_dword v4, off, s[0:3], 0 offset:152
	buffer_load_dword v5, off, s[0:3], 0 offset:156
	s_waitcnt vmcnt(3)
	buffer_store_dword v2, off, s[0:3], 0 offset:152
	s_waitcnt vmcnt(3)
	buffer_store_dword v3, off, s[0:3], 0 offset:156
	s_waitcnt vmcnt(3)
	buffer_store_dword v4, v1, s[0:3], 0 offen
	s_waitcnt vmcnt(3)
	buffer_store_dword v5, v1, s[0:3], 0 offen offset:4
.LBB123_454:
	global_load_dword v0, v0, s[12:13] offset:72
	s_waitcnt vmcnt(0)
	v_add_u32_e32 v0, -1, v0
	v_cmp_eq_u32_e32 vcc, 18, v0
	s_cbranch_vccnz .LBB123_456
; %bb.455:
	v_lshlrev_b32_e32 v0, 3, v0
	buffer_load_dword v1, v0, s[0:3], 0 offen
	buffer_load_dword v2, v0, s[0:3], 0 offen offset:4
	buffer_load_dword v3, off, s[0:3], 0 offset:148
	buffer_load_dword v4, off, s[0:3], 0 offset:144
	s_waitcnt vmcnt(3)
	buffer_store_dword v1, off, s[0:3], 0 offset:144
	s_waitcnt vmcnt(3)
	buffer_store_dword v2, off, s[0:3], 0 offset:148
	s_waitcnt vmcnt(3)
	buffer_store_dword v3, v0, s[0:3], 0 offen offset:4
	s_waitcnt vmcnt(3)
	buffer_store_dword v4, v0, s[0:3], 0 offen
.LBB123_456:
	v_mov_b32_e32 v0, 0
	global_load_dword v1, v0, s[12:13] offset:68
	s_waitcnt vmcnt(0)
	v_add_u32_e32 v1, -1, v1
	v_cmp_eq_u32_e32 vcc, 17, v1
	s_cbranch_vccnz .LBB123_458
; %bb.457:
	v_lshlrev_b32_e32 v1, 3, v1
	buffer_load_dword v2, v1, s[0:3], 0 offen
	buffer_load_dword v3, v1, s[0:3], 0 offen offset:4
	buffer_load_dword v4, off, s[0:3], 0 offset:136
	buffer_load_dword v5, off, s[0:3], 0 offset:140
	s_waitcnt vmcnt(3)
	buffer_store_dword v2, off, s[0:3], 0 offset:136
	s_waitcnt vmcnt(3)
	buffer_store_dword v3, off, s[0:3], 0 offset:140
	s_waitcnt vmcnt(3)
	buffer_store_dword v4, v1, s[0:3], 0 offen
	s_waitcnt vmcnt(3)
	buffer_store_dword v5, v1, s[0:3], 0 offen offset:4
.LBB123_458:
	global_load_dword v0, v0, s[12:13] offset:64
	s_waitcnt vmcnt(0)
	v_add_u32_e32 v0, -1, v0
	v_cmp_eq_u32_e32 vcc, 16, v0
	s_cbranch_vccnz .LBB123_460
; %bb.459:
	v_lshlrev_b32_e32 v0, 3, v0
	buffer_load_dword v1, v0, s[0:3], 0 offen
	buffer_load_dword v2, v0, s[0:3], 0 offen offset:4
	buffer_load_dword v3, off, s[0:3], 0 offset:132
	buffer_load_dword v4, off, s[0:3], 0 offset:128
	s_waitcnt vmcnt(3)
	buffer_store_dword v1, off, s[0:3], 0 offset:128
	s_waitcnt vmcnt(3)
	buffer_store_dword v2, off, s[0:3], 0 offset:132
	s_waitcnt vmcnt(3)
	buffer_store_dword v3, v0, s[0:3], 0 offen offset:4
	s_waitcnt vmcnt(3)
	buffer_store_dword v4, v0, s[0:3], 0 offen
.LBB123_460:
	v_mov_b32_e32 v0, 0
	global_load_dword v1, v0, s[12:13] offset:60
	s_waitcnt vmcnt(0)
	v_add_u32_e32 v1, -1, v1
	v_cmp_eq_u32_e32 vcc, 15, v1
	s_cbranch_vccnz .LBB123_462
; %bb.461:
	v_lshlrev_b32_e32 v1, 3, v1
	buffer_load_dword v2, v1, s[0:3], 0 offen
	buffer_load_dword v3, v1, s[0:3], 0 offen offset:4
	buffer_load_dword v4, off, s[0:3], 0 offset:120
	buffer_load_dword v5, off, s[0:3], 0 offset:124
	s_waitcnt vmcnt(3)
	buffer_store_dword v2, off, s[0:3], 0 offset:120
	s_waitcnt vmcnt(3)
	buffer_store_dword v3, off, s[0:3], 0 offset:124
	s_waitcnt vmcnt(3)
	buffer_store_dword v4, v1, s[0:3], 0 offen
	s_waitcnt vmcnt(3)
	buffer_store_dword v5, v1, s[0:3], 0 offen offset:4
.LBB123_462:
	global_load_dword v0, v0, s[12:13] offset:56
	s_waitcnt vmcnt(0)
	v_add_u32_e32 v0, -1, v0
	v_cmp_eq_u32_e32 vcc, 14, v0
	s_cbranch_vccnz .LBB123_464
; %bb.463:
	v_lshlrev_b32_e32 v0, 3, v0
	buffer_load_dword v1, v0, s[0:3], 0 offen
	buffer_load_dword v2, v0, s[0:3], 0 offen offset:4
	buffer_load_dword v3, off, s[0:3], 0 offset:116
	buffer_load_dword v4, off, s[0:3], 0 offset:112
	s_waitcnt vmcnt(3)
	buffer_store_dword v1, off, s[0:3], 0 offset:112
	s_waitcnt vmcnt(3)
	buffer_store_dword v2, off, s[0:3], 0 offset:116
	s_waitcnt vmcnt(3)
	buffer_store_dword v3, v0, s[0:3], 0 offen offset:4
	s_waitcnt vmcnt(3)
	buffer_store_dword v4, v0, s[0:3], 0 offen
.LBB123_464:
	v_mov_b32_e32 v0, 0
	global_load_dword v1, v0, s[12:13] offset:52
	s_waitcnt vmcnt(0)
	v_add_u32_e32 v1, -1, v1
	v_cmp_eq_u32_e32 vcc, 13, v1
	s_cbranch_vccnz .LBB123_466
; %bb.465:
	v_lshlrev_b32_e32 v1, 3, v1
	buffer_load_dword v2, v1, s[0:3], 0 offen
	buffer_load_dword v3, v1, s[0:3], 0 offen offset:4
	buffer_load_dword v4, off, s[0:3], 0 offset:104
	buffer_load_dword v5, off, s[0:3], 0 offset:108
	s_waitcnt vmcnt(3)
	buffer_store_dword v2, off, s[0:3], 0 offset:104
	s_waitcnt vmcnt(3)
	buffer_store_dword v3, off, s[0:3], 0 offset:108
	s_waitcnt vmcnt(3)
	buffer_store_dword v4, v1, s[0:3], 0 offen
	s_waitcnt vmcnt(3)
	buffer_store_dword v5, v1, s[0:3], 0 offen offset:4
.LBB123_466:
	global_load_dword v0, v0, s[12:13] offset:48
	s_waitcnt vmcnt(0)
	v_add_u32_e32 v0, -1, v0
	v_cmp_eq_u32_e32 vcc, 12, v0
	s_cbranch_vccnz .LBB123_468
; %bb.467:
	v_lshlrev_b32_e32 v0, 3, v0
	buffer_load_dword v1, v0, s[0:3], 0 offen
	buffer_load_dword v2, v0, s[0:3], 0 offen offset:4
	buffer_load_dword v3, off, s[0:3], 0 offset:100
	buffer_load_dword v4, off, s[0:3], 0 offset:96
	s_waitcnt vmcnt(3)
	buffer_store_dword v1, off, s[0:3], 0 offset:96
	s_waitcnt vmcnt(3)
	buffer_store_dword v2, off, s[0:3], 0 offset:100
	s_waitcnt vmcnt(3)
	buffer_store_dword v3, v0, s[0:3], 0 offen offset:4
	s_waitcnt vmcnt(3)
	buffer_store_dword v4, v0, s[0:3], 0 offen
.LBB123_468:
	v_mov_b32_e32 v0, 0
	global_load_dword v1, v0, s[12:13] offset:44
	s_waitcnt vmcnt(0)
	v_add_u32_e32 v1, -1, v1
	v_cmp_eq_u32_e32 vcc, 11, v1
	s_cbranch_vccnz .LBB123_470
; %bb.469:
	v_lshlrev_b32_e32 v1, 3, v1
	buffer_load_dword v2, v1, s[0:3], 0 offen
	buffer_load_dword v3, v1, s[0:3], 0 offen offset:4
	buffer_load_dword v4, off, s[0:3], 0 offset:88
	buffer_load_dword v5, off, s[0:3], 0 offset:92
	s_waitcnt vmcnt(3)
	buffer_store_dword v2, off, s[0:3], 0 offset:88
	s_waitcnt vmcnt(3)
	buffer_store_dword v3, off, s[0:3], 0 offset:92
	s_waitcnt vmcnt(3)
	buffer_store_dword v4, v1, s[0:3], 0 offen
	s_waitcnt vmcnt(3)
	buffer_store_dword v5, v1, s[0:3], 0 offen offset:4
.LBB123_470:
	global_load_dword v0, v0, s[12:13] offset:40
	s_waitcnt vmcnt(0)
	v_add_u32_e32 v0, -1, v0
	v_cmp_eq_u32_e32 vcc, 10, v0
	s_cbranch_vccnz .LBB123_472
; %bb.471:
	v_lshlrev_b32_e32 v0, 3, v0
	buffer_load_dword v1, v0, s[0:3], 0 offen
	buffer_load_dword v2, v0, s[0:3], 0 offen offset:4
	buffer_load_dword v3, off, s[0:3], 0 offset:84
	buffer_load_dword v4, off, s[0:3], 0 offset:80
	s_waitcnt vmcnt(3)
	buffer_store_dword v1, off, s[0:3], 0 offset:80
	s_waitcnt vmcnt(3)
	buffer_store_dword v2, off, s[0:3], 0 offset:84
	s_waitcnt vmcnt(3)
	buffer_store_dword v3, v0, s[0:3], 0 offen offset:4
	s_waitcnt vmcnt(3)
	buffer_store_dword v4, v0, s[0:3], 0 offen
.LBB123_472:
	v_mov_b32_e32 v0, 0
	global_load_dword v1, v0, s[12:13] offset:36
	s_waitcnt vmcnt(0)
	v_add_u32_e32 v1, -1, v1
	v_cmp_eq_u32_e32 vcc, 9, v1
	s_cbranch_vccnz .LBB123_474
; %bb.473:
	v_lshlrev_b32_e32 v1, 3, v1
	buffer_load_dword v2, v1, s[0:3], 0 offen
	buffer_load_dword v3, v1, s[0:3], 0 offen offset:4
	buffer_load_dword v4, off, s[0:3], 0 offset:72
	buffer_load_dword v5, off, s[0:3], 0 offset:76
	s_waitcnt vmcnt(3)
	buffer_store_dword v2, off, s[0:3], 0 offset:72
	s_waitcnt vmcnt(3)
	buffer_store_dword v3, off, s[0:3], 0 offset:76
	s_waitcnt vmcnt(3)
	buffer_store_dword v4, v1, s[0:3], 0 offen
	s_waitcnt vmcnt(3)
	buffer_store_dword v5, v1, s[0:3], 0 offen offset:4
.LBB123_474:
	global_load_dword v0, v0, s[12:13] offset:32
	s_waitcnt vmcnt(0)
	v_add_u32_e32 v0, -1, v0
	v_cmp_eq_u32_e32 vcc, 8, v0
	s_cbranch_vccnz .LBB123_476
; %bb.475:
	v_lshlrev_b32_e32 v0, 3, v0
	buffer_load_dword v1, v0, s[0:3], 0 offen
	buffer_load_dword v2, v0, s[0:3], 0 offen offset:4
	buffer_load_dword v3, off, s[0:3], 0 offset:68
	buffer_load_dword v4, off, s[0:3], 0 offset:64
	s_waitcnt vmcnt(3)
	buffer_store_dword v1, off, s[0:3], 0 offset:64
	s_waitcnt vmcnt(3)
	buffer_store_dword v2, off, s[0:3], 0 offset:68
	s_waitcnt vmcnt(3)
	buffer_store_dword v3, v0, s[0:3], 0 offen offset:4
	s_waitcnt vmcnt(3)
	buffer_store_dword v4, v0, s[0:3], 0 offen
.LBB123_476:
	v_mov_b32_e32 v0, 0
	global_load_dword v1, v0, s[12:13] offset:28
	s_waitcnt vmcnt(0)
	v_add_u32_e32 v1, -1, v1
	v_cmp_eq_u32_e32 vcc, 7, v1
	s_cbranch_vccnz .LBB123_478
; %bb.477:
	v_lshlrev_b32_e32 v1, 3, v1
	buffer_load_dword v2, v1, s[0:3], 0 offen
	buffer_load_dword v3, v1, s[0:3], 0 offen offset:4
	buffer_load_dword v4, off, s[0:3], 0 offset:56
	buffer_load_dword v5, off, s[0:3], 0 offset:60
	s_waitcnt vmcnt(3)
	buffer_store_dword v2, off, s[0:3], 0 offset:56
	s_waitcnt vmcnt(3)
	buffer_store_dword v3, off, s[0:3], 0 offset:60
	s_waitcnt vmcnt(3)
	buffer_store_dword v4, v1, s[0:3], 0 offen
	s_waitcnt vmcnt(3)
	buffer_store_dword v5, v1, s[0:3], 0 offen offset:4
.LBB123_478:
	global_load_dword v0, v0, s[12:13] offset:24
	s_waitcnt vmcnt(0)
	v_add_u32_e32 v0, -1, v0
	v_cmp_eq_u32_e32 vcc, 6, v0
	s_cbranch_vccnz .LBB123_480
; %bb.479:
	v_lshlrev_b32_e32 v0, 3, v0
	buffer_load_dword v1, v0, s[0:3], 0 offen
	buffer_load_dword v2, v0, s[0:3], 0 offen offset:4
	buffer_load_dword v3, off, s[0:3], 0 offset:52
	buffer_load_dword v4, off, s[0:3], 0 offset:48
	s_waitcnt vmcnt(3)
	buffer_store_dword v1, off, s[0:3], 0 offset:48
	s_waitcnt vmcnt(3)
	buffer_store_dword v2, off, s[0:3], 0 offset:52
	s_waitcnt vmcnt(3)
	buffer_store_dword v3, v0, s[0:3], 0 offen offset:4
	s_waitcnt vmcnt(3)
	buffer_store_dword v4, v0, s[0:3], 0 offen
.LBB123_480:
	v_mov_b32_e32 v0, 0
	global_load_dword v1, v0, s[12:13] offset:20
	s_waitcnt vmcnt(0)
	v_add_u32_e32 v1, -1, v1
	v_cmp_eq_u32_e32 vcc, 5, v1
	s_cbranch_vccnz .LBB123_482
; %bb.481:
	v_lshlrev_b32_e32 v1, 3, v1
	buffer_load_dword v2, v1, s[0:3], 0 offen
	buffer_load_dword v3, v1, s[0:3], 0 offen offset:4
	buffer_load_dword v4, off, s[0:3], 0 offset:40
	buffer_load_dword v5, off, s[0:3], 0 offset:44
	s_waitcnt vmcnt(3)
	buffer_store_dword v2, off, s[0:3], 0 offset:40
	s_waitcnt vmcnt(3)
	buffer_store_dword v3, off, s[0:3], 0 offset:44
	s_waitcnt vmcnt(3)
	buffer_store_dword v4, v1, s[0:3], 0 offen
	s_waitcnt vmcnt(3)
	buffer_store_dword v5, v1, s[0:3], 0 offen offset:4
.LBB123_482:
	global_load_dword v0, v0, s[12:13] offset:16
	s_waitcnt vmcnt(0)
	v_add_u32_e32 v0, -1, v0
	v_cmp_eq_u32_e32 vcc, 4, v0
	s_cbranch_vccnz .LBB123_484
; %bb.483:
	v_lshlrev_b32_e32 v0, 3, v0
	buffer_load_dword v1, v0, s[0:3], 0 offen
	buffer_load_dword v2, v0, s[0:3], 0 offen offset:4
	buffer_load_dword v3, off, s[0:3], 0 offset:36
	buffer_load_dword v4, off, s[0:3], 0 offset:32
	s_waitcnt vmcnt(3)
	buffer_store_dword v1, off, s[0:3], 0 offset:32
	s_waitcnt vmcnt(3)
	buffer_store_dword v2, off, s[0:3], 0 offset:36
	s_waitcnt vmcnt(3)
	buffer_store_dword v3, v0, s[0:3], 0 offen offset:4
	s_waitcnt vmcnt(3)
	buffer_store_dword v4, v0, s[0:3], 0 offen
.LBB123_484:
	v_mov_b32_e32 v0, 0
	global_load_dword v1, v0, s[12:13] offset:12
	s_waitcnt vmcnt(0)
	v_add_u32_e32 v1, -1, v1
	v_cmp_eq_u32_e32 vcc, 3, v1
	s_cbranch_vccnz .LBB123_486
; %bb.485:
	v_lshlrev_b32_e32 v1, 3, v1
	buffer_load_dword v2, v1, s[0:3], 0 offen
	buffer_load_dword v3, v1, s[0:3], 0 offen offset:4
	buffer_load_dword v4, off, s[0:3], 0 offset:24
	buffer_load_dword v5, off, s[0:3], 0 offset:28
	s_waitcnt vmcnt(3)
	buffer_store_dword v2, off, s[0:3], 0 offset:24
	s_waitcnt vmcnt(3)
	buffer_store_dword v3, off, s[0:3], 0 offset:28
	s_waitcnt vmcnt(3)
	buffer_store_dword v4, v1, s[0:3], 0 offen
	s_waitcnt vmcnt(3)
	buffer_store_dword v5, v1, s[0:3], 0 offen offset:4
.LBB123_486:
	global_load_dword v0, v0, s[12:13] offset:8
	s_waitcnt vmcnt(0)
	v_add_u32_e32 v0, -1, v0
	v_cmp_eq_u32_e32 vcc, 2, v0
	s_cbranch_vccnz .LBB123_488
; %bb.487:
	v_lshlrev_b32_e32 v0, 3, v0
	buffer_load_dword v1, v0, s[0:3], 0 offen
	buffer_load_dword v2, v0, s[0:3], 0 offen offset:4
	buffer_load_dword v3, off, s[0:3], 0 offset:20
	buffer_load_dword v4, off, s[0:3], 0 offset:16
	s_waitcnt vmcnt(3)
	buffer_store_dword v1, off, s[0:3], 0 offset:16
	s_waitcnt vmcnt(3)
	buffer_store_dword v2, off, s[0:3], 0 offset:20
	s_waitcnt vmcnt(3)
	buffer_store_dword v3, v0, s[0:3], 0 offen offset:4
	s_waitcnt vmcnt(3)
	buffer_store_dword v4, v0, s[0:3], 0 offen
.LBB123_488:
	v_mov_b32_e32 v0, 0
	global_load_dword v1, v0, s[12:13] offset:4
	s_waitcnt vmcnt(0)
	v_add_u32_e32 v1, -1, v1
	v_cmp_eq_u32_e32 vcc, 1, v1
	s_cbranch_vccnz .LBB123_490
; %bb.489:
	v_lshlrev_b32_e32 v1, 3, v1
	buffer_load_dword v2, v1, s[0:3], 0 offen
	buffer_load_dword v3, v1, s[0:3], 0 offen offset:4
	buffer_load_dword v4, off, s[0:3], 0 offset:8
	buffer_load_dword v5, off, s[0:3], 0 offset:12
	s_waitcnt vmcnt(3)
	buffer_store_dword v2, off, s[0:3], 0 offset:8
	s_waitcnt vmcnt(3)
	buffer_store_dword v3, off, s[0:3], 0 offset:12
	s_waitcnt vmcnt(3)
	buffer_store_dword v4, v1, s[0:3], 0 offen
	s_waitcnt vmcnt(3)
	buffer_store_dword v5, v1, s[0:3], 0 offen offset:4
.LBB123_490:
	global_load_dword v0, v0, s[12:13]
	s_waitcnt vmcnt(0)
	v_add_u32_e32 v0, -1, v0
	v_cmp_eq_u32_e32 vcc, 0, v0
	s_cbranch_vccnz .LBB123_492
; %bb.491:
	v_lshlrev_b32_e32 v0, 3, v0
	buffer_load_dword v1, v0, s[0:3], 0 offen
	buffer_load_dword v2, v0, s[0:3], 0 offen offset:4
	buffer_load_dword v3, off, s[0:3], 0 offset:4
	buffer_load_dword v4, off, s[0:3], 0
	s_waitcnt vmcnt(3)
	buffer_store_dword v1, off, s[0:3], 0
	s_waitcnt vmcnt(3)
	buffer_store_dword v2, off, s[0:3], 0 offset:4
	s_waitcnt vmcnt(3)
	buffer_store_dword v3, v0, s[0:3], 0 offen offset:4
	s_waitcnt vmcnt(3)
	buffer_store_dword v4, v0, s[0:3], 0 offen
.LBB123_492:
	buffer_load_dword v0, off, s[0:3], 0
	s_nop 0
	buffer_load_dword v1, off, s[0:3], 0 offset:4
	s_waitcnt vmcnt(0)
	flat_store_dwordx2 v[25:26], v[0:1]
	buffer_load_dword v0, off, s[0:3], 0 offset:8
	s_nop 0
	buffer_load_dword v1, off, s[0:3], 0 offset:12
	buffer_load_dword v2, off, s[0:3], 0 offset:480 ; 4-byte Folded Reload
	buffer_load_dword v3, off, s[0:3], 0 offset:484 ; 4-byte Folded Reload
	s_waitcnt vmcnt(0)
	flat_store_dwordx2 v[2:3], v[0:1]
	buffer_load_dword v0, off, s[0:3], 0 offset:16
	s_nop 0
	buffer_load_dword v1, off, s[0:3], 0 offset:20
	buffer_load_dword v2, off, s[0:3], 0 offset:488 ; 4-byte Folded Reload
	buffer_load_dword v3, off, s[0:3], 0 offset:492 ; 4-byte Folded Reload
	;; [unrolled: 7-line block ×53, first 2 shown]
	s_waitcnt vmcnt(0)
	flat_store_dwordx2 v[2:3], v[0:1]
	buffer_load_dword v0, off, s[0:3], 0 offset:432
	s_nop 0
	buffer_load_dword v1, off, s[0:3], 0 offset:436
	s_waitcnt vmcnt(0)
	flat_store_dwordx2 v[133:134], v[0:1]
	buffer_load_dword v0, off, s[0:3], 0 offset:440
	s_nop 0
	buffer_load_dword v1, off, s[0:3], 0 offset:444
	;; [unrolled: 5-line block ×6, first 2 shown]
	s_waitcnt vmcnt(0)
	flat_store_dwordx2 v[143:144], v[0:1]
	s_endpgm
	.section	.rodata,"a",@progbits
	.p2align	6, 0x0
	.amdhsa_kernel _ZN9rocsolver6v33100L18getri_kernel_smallILi60E19rocblas_complex_numIfEPKPS3_EEvT1_iilPiilS8_bb
		.amdhsa_group_segment_fixed_size 964
		.amdhsa_private_segment_fixed_size 912
		.amdhsa_kernarg_size 60
		.amdhsa_user_sgpr_count 6
		.amdhsa_user_sgpr_private_segment_buffer 1
		.amdhsa_user_sgpr_dispatch_ptr 0
		.amdhsa_user_sgpr_queue_ptr 0
		.amdhsa_user_sgpr_kernarg_segment_ptr 1
		.amdhsa_user_sgpr_dispatch_id 0
		.amdhsa_user_sgpr_flat_scratch_init 0
		.amdhsa_user_sgpr_private_segment_size 0
		.amdhsa_uses_dynamic_stack 0
		.amdhsa_system_sgpr_private_segment_wavefront_offset 1
		.amdhsa_system_sgpr_workgroup_id_x 1
		.amdhsa_system_sgpr_workgroup_id_y 0
		.amdhsa_system_sgpr_workgroup_id_z 0
		.amdhsa_system_sgpr_workgroup_info 0
		.amdhsa_system_vgpr_workitem_id 0
		.amdhsa_next_free_vgpr 256
		.amdhsa_next_free_sgpr 21
		.amdhsa_reserve_vcc 1
		.amdhsa_reserve_flat_scratch 0
		.amdhsa_float_round_mode_32 0
		.amdhsa_float_round_mode_16_64 0
		.amdhsa_float_denorm_mode_32 3
		.amdhsa_float_denorm_mode_16_64 3
		.amdhsa_dx10_clamp 1
		.amdhsa_ieee_mode 1
		.amdhsa_fp16_overflow 0
		.amdhsa_exception_fp_ieee_invalid_op 0
		.amdhsa_exception_fp_denorm_src 0
		.amdhsa_exception_fp_ieee_div_zero 0
		.amdhsa_exception_fp_ieee_overflow 0
		.amdhsa_exception_fp_ieee_underflow 0
		.amdhsa_exception_fp_ieee_inexact 0
		.amdhsa_exception_int_div_zero 0
	.end_amdhsa_kernel
	.section	.text._ZN9rocsolver6v33100L18getri_kernel_smallILi60E19rocblas_complex_numIfEPKPS3_EEvT1_iilPiilS8_bb,"axG",@progbits,_ZN9rocsolver6v33100L18getri_kernel_smallILi60E19rocblas_complex_numIfEPKPS3_EEvT1_iilPiilS8_bb,comdat
.Lfunc_end123:
	.size	_ZN9rocsolver6v33100L18getri_kernel_smallILi60E19rocblas_complex_numIfEPKPS3_EEvT1_iilPiilS8_bb, .Lfunc_end123-_ZN9rocsolver6v33100L18getri_kernel_smallILi60E19rocblas_complex_numIfEPKPS3_EEvT1_iilPiilS8_bb
                                        ; -- End function
	.set _ZN9rocsolver6v33100L18getri_kernel_smallILi60E19rocblas_complex_numIfEPKPS3_EEvT1_iilPiilS8_bb.num_vgpr, 256
	.set _ZN9rocsolver6v33100L18getri_kernel_smallILi60E19rocblas_complex_numIfEPKPS3_EEvT1_iilPiilS8_bb.num_agpr, 0
	.set _ZN9rocsolver6v33100L18getri_kernel_smallILi60E19rocblas_complex_numIfEPKPS3_EEvT1_iilPiilS8_bb.numbered_sgpr, 21
	.set _ZN9rocsolver6v33100L18getri_kernel_smallILi60E19rocblas_complex_numIfEPKPS3_EEvT1_iilPiilS8_bb.num_named_barrier, 0
	.set _ZN9rocsolver6v33100L18getri_kernel_smallILi60E19rocblas_complex_numIfEPKPS3_EEvT1_iilPiilS8_bb.private_seg_size, 912
	.set _ZN9rocsolver6v33100L18getri_kernel_smallILi60E19rocblas_complex_numIfEPKPS3_EEvT1_iilPiilS8_bb.uses_vcc, 1
	.set _ZN9rocsolver6v33100L18getri_kernel_smallILi60E19rocblas_complex_numIfEPKPS3_EEvT1_iilPiilS8_bb.uses_flat_scratch, 0
	.set _ZN9rocsolver6v33100L18getri_kernel_smallILi60E19rocblas_complex_numIfEPKPS3_EEvT1_iilPiilS8_bb.has_dyn_sized_stack, 0
	.set _ZN9rocsolver6v33100L18getri_kernel_smallILi60E19rocblas_complex_numIfEPKPS3_EEvT1_iilPiilS8_bb.has_recursion, 0
	.set _ZN9rocsolver6v33100L18getri_kernel_smallILi60E19rocblas_complex_numIfEPKPS3_EEvT1_iilPiilS8_bb.has_indirect_call, 0
	.section	.AMDGPU.csdata,"",@progbits
; Kernel info:
; codeLenInByte = 128440
; TotalNumSgprs: 25
; NumVgprs: 256
; ScratchSize: 912
; MemoryBound: 0
; FloatMode: 240
; IeeeMode: 1
; LDSByteSize: 964 bytes/workgroup (compile time only)
; SGPRBlocks: 3
; VGPRBlocks: 63
; NumSGPRsForWavesPerEU: 25
; NumVGPRsForWavesPerEU: 256
; Occupancy: 1
; WaveLimiterHint : 1
; COMPUTE_PGM_RSRC2:SCRATCH_EN: 1
; COMPUTE_PGM_RSRC2:USER_SGPR: 6
; COMPUTE_PGM_RSRC2:TRAP_HANDLER: 0
; COMPUTE_PGM_RSRC2:TGID_X_EN: 1
; COMPUTE_PGM_RSRC2:TGID_Y_EN: 0
; COMPUTE_PGM_RSRC2:TGID_Z_EN: 0
; COMPUTE_PGM_RSRC2:TIDIG_COMP_CNT: 0
	.section	.text._ZN9rocsolver6v33100L18getri_kernel_smallILi61E19rocblas_complex_numIfEPKPS3_EEvT1_iilPiilS8_bb,"axG",@progbits,_ZN9rocsolver6v33100L18getri_kernel_smallILi61E19rocblas_complex_numIfEPKPS3_EEvT1_iilPiilS8_bb,comdat
	.globl	_ZN9rocsolver6v33100L18getri_kernel_smallILi61E19rocblas_complex_numIfEPKPS3_EEvT1_iilPiilS8_bb ; -- Begin function _ZN9rocsolver6v33100L18getri_kernel_smallILi61E19rocblas_complex_numIfEPKPS3_EEvT1_iilPiilS8_bb
	.p2align	8
	.type	_ZN9rocsolver6v33100L18getri_kernel_smallILi61E19rocblas_complex_numIfEPKPS3_EEvT1_iilPiilS8_bb,@function
_ZN9rocsolver6v33100L18getri_kernel_smallILi61E19rocblas_complex_numIfEPKPS3_EEvT1_iilPiilS8_bb: ; @_ZN9rocsolver6v33100L18getri_kernel_smallILi61E19rocblas_complex_numIfEPKPS3_EEvT1_iilPiilS8_bb
; %bb.0:
	s_add_u32 s0, s0, s7
	s_addc_u32 s1, s1, 0
	v_cmp_gt_u32_e32 vcc, 61, v0
	s_and_saveexec_b64 s[8:9], vcc
	s_cbranch_execz .LBB124_258
; %bb.1:
	s_load_dword s18, s[4:5], 0x38
	s_load_dwordx2 s[12:13], s[4:5], 0x0
	s_load_dwordx4 s[8:11], s[4:5], 0x28
	s_waitcnt lgkmcnt(0)
	s_bitcmp1_b32 s18, 8
	s_cselect_b64 s[14:15], -1, 0
	s_ashr_i32 s7, s6, 31
	s_lshl_b64 s[16:17], s[6:7], 3
	s_add_u32 s12, s12, s16
	s_addc_u32 s13, s13, s17
	s_load_dwordx2 s[16:17], s[12:13], 0x0
	s_bfe_u32 s12, s18, 0x10008
	s_cmp_eq_u32 s12, 0
                                        ; implicit-def: $sgpr12_sgpr13
	s_cbranch_scc1 .LBB124_3
; %bb.2:
	s_load_dword s12, s[4:5], 0x20
	s_load_dwordx2 s[18:19], s[4:5], 0x18
	s_mul_i32 s13, s8, s7
	s_mul_hi_u32 s20, s8, s6
	s_add_i32 s20, s20, s13
	s_mul_i32 s9, s9, s6
	s_add_i32 s9, s20, s9
	s_mul_i32 s8, s8, s6
	s_waitcnt lgkmcnt(0)
	s_ashr_i32 s13, s12, 31
	s_lshl_b64 s[8:9], s[8:9], 2
	s_add_u32 s18, s18, s8
	s_addc_u32 s19, s19, s9
	s_lshl_b64 s[8:9], s[12:13], 2
	s_add_u32 s12, s18, s8
	s_addc_u32 s13, s19, s9
.LBB124_3:
	s_load_dwordx2 s[8:9], s[4:5], 0x8
	s_load_dword s18, s[4:5], 0x38
	v_lshlrev_b32_e32 v3, 3, v0
	s_waitcnt lgkmcnt(0)
	s_ashr_i32 s5, s8, 31
	s_mov_b32 s4, s8
	s_lshl_b64 s[4:5], s[4:5], 3
	s_add_u32 s4, s16, s4
	s_addc_u32 s5, s17, s5
	v_mov_b32_e32 v1, s5
	v_add_co_u32_e32 v25, vcc, s4, v3
	v_addc_co_u32_e32 v26, vcc, 0, v1, vcc
	flat_load_dwordx2 v[1:2], v[25:26]
	s_mov_b32 s16, s9
	s_ashr_i32 s17, s9, 31
	s_lshl_b64 s[16:17], s[16:17], 3
	v_mov_b32_e32 v4, s17
	v_add_co_u32_e32 v5, vcc, s16, v25
	v_addc_co_u32_e32 v6, vcc, v26, v4, vcc
	s_add_i32 s8, s9, s9
	v_add_u32_e32 v4, s8, v0
	v_mov_b32_e32 v7, s5
	s_bitcmp0_b32 s18, 0
	s_waitcnt vmcnt(0) lgkmcnt(0)
	buffer_store_dword v2, off, s[0:3], 0 offset:4
	buffer_store_dword v1, off, s[0:3], 0
	buffer_store_dword v5, off, s[0:3], 0 offset:488 ; 4-byte Folded Spill
	s_nop 0
	buffer_store_dword v6, off, s[0:3], 0 offset:492 ; 4-byte Folded Spill
	flat_load_dwordx2 v[1:2], v[5:6]
	v_ashrrev_i32_e32 v5, 31, v4
	v_lshlrev_b64 v[5:6], 3, v[4:5]
	v_add_u32_e32 v4, s9, v4
	v_add_co_u32_e32 v5, vcc, s4, v5
	v_addc_co_u32_e32 v6, vcc, v7, v6, vcc
	s_waitcnt vmcnt(0) lgkmcnt(0)
	buffer_store_dword v2, off, s[0:3], 0 offset:12
	buffer_store_dword v1, off, s[0:3], 0 offset:8
	buffer_store_dword v5, off, s[0:3], 0 offset:496 ; 4-byte Folded Spill
	s_nop 0
	buffer_store_dword v6, off, s[0:3], 0 offset:500 ; 4-byte Folded Spill
	flat_load_dwordx2 v[1:2], v[5:6]
	v_ashrrev_i32_e32 v5, 31, v4
	v_lshlrev_b64 v[5:6], 3, v[4:5]
	v_add_u32_e32 v4, s9, v4
	v_add_co_u32_e32 v5, vcc, s4, v5
	v_addc_co_u32_e32 v6, vcc, v7, v6, vcc
	s_waitcnt vmcnt(0) lgkmcnt(0)
	buffer_store_dword v2, off, s[0:3], 0 offset:20
	buffer_store_dword v1, off, s[0:3], 0 offset:16
	;; [unrolled: 12-line block ×54, first 2 shown]
	buffer_store_dword v5, off, s[0:3], 0 offset:920 ; 4-byte Folded Spill
	s_nop 0
	buffer_store_dword v6, off, s[0:3], 0 offset:924 ; 4-byte Folded Spill
	flat_load_dwordx2 v[1:2], v[5:6]
	v_ashrrev_i32_e32 v5, 31, v4
	v_lshlrev_b64 v[5:6], 3, v[4:5]
	v_add_u32_e32 v4, s9, v4
	v_add_co_u32_e32 v137, vcc, s4, v5
	v_addc_co_u32_e32 v138, vcc, v7, v6, vcc
	v_ashrrev_i32_e32 v5, 31, v4
	v_lshlrev_b64 v[5:6], 3, v[4:5]
	v_add_u32_e32 v4, s9, v4
	v_add_co_u32_e32 v139, vcc, s4, v5
	v_addc_co_u32_e32 v140, vcc, v7, v6, vcc
	;; [unrolled: 5-line block ×4, first 2 shown]
	v_ashrrev_i32_e32 v5, 31, v4
	v_lshlrev_b64 v[4:5], 3, v[4:5]
	v_mov_b32_e32 v6, s5
	v_add_co_u32_e32 v145, vcc, s4, v4
	v_addc_co_u32_e32 v146, vcc, v6, v5, vcc
	s_mov_b64 s[8:9], -1
	s_waitcnt vmcnt(0) lgkmcnt(0)
	buffer_store_dword v2, off, s[0:3], 0 offset:444
	buffer_store_dword v1, off, s[0:3], 0 offset:440
	flat_load_dwordx2 v[1:2], v[137:138]
	s_waitcnt vmcnt(0) lgkmcnt(0)
	buffer_store_dword v2, off, s[0:3], 0 offset:452
	buffer_store_dword v1, off, s[0:3], 0 offset:448
	flat_load_dwordx2 v[1:2], v[139:140]
	s_waitcnt vmcnt(0) lgkmcnt(0)
	buffer_store_dword v2, off, s[0:3], 0 offset:460
	buffer_store_dword v1, off, s[0:3], 0 offset:456
	flat_load_dwordx2 v[1:2], v[141:142]
	s_waitcnt vmcnt(0) lgkmcnt(0)
	buffer_store_dword v2, off, s[0:3], 0 offset:468
	buffer_store_dword v1, off, s[0:3], 0 offset:464
	flat_load_dwordx2 v[1:2], v[143:144]
	s_waitcnt vmcnt(0) lgkmcnt(0)
	buffer_store_dword v2, off, s[0:3], 0 offset:476
	buffer_store_dword v1, off, s[0:3], 0 offset:472
	flat_load_dwordx2 v[1:2], v[145:146]
	s_waitcnt vmcnt(0) lgkmcnt(0)
	buffer_store_dword v2, off, s[0:3], 0 offset:484
	buffer_store_dword v1, off, s[0:3], 0 offset:480
	s_cbranch_scc1 .LBB124_256
; %bb.4:
	v_cmp_eq_u32_e64 s[4:5], 0, v0
	s_and_saveexec_b64 s[8:9], s[4:5]
; %bb.5:
	v_mov_b32_e32 v1, 0
	ds_write_b32 v1, v1 offset:488
; %bb.6:
	s_or_b64 exec, exec, s[8:9]
	v_mov_b32_e32 v1, 0
	v_lshl_add_u32 v5, v0, 3, v1
	s_waitcnt lgkmcnt(0)
	; wave barrier
	buffer_load_dword v1, v5, s[0:3], 0 offen
	buffer_load_dword v2, v5, s[0:3], 0 offen offset:4
	s_waitcnt vmcnt(1)
	v_cmp_eq_f32_e32 vcc, 0, v1
	s_waitcnt vmcnt(0)
	v_cmp_eq_f32_e64 s[8:9], 0, v2
	s_and_b64 s[8:9], vcc, s[8:9]
	s_and_saveexec_b64 s[16:17], s[8:9]
	s_cbranch_execz .LBB124_10
; %bb.7:
	v_mov_b32_e32 v1, 0
	ds_read_b32 v4, v1 offset:488
	v_add_u32_e32 v2, 1, v0
	s_waitcnt lgkmcnt(0)
	v_readfirstlane_b32 s8, v4
	s_cmp_eq_u32 s8, 0
	s_cselect_b64 s[18:19], -1, 0
	v_cmp_gt_i32_e32 vcc, s8, v2
	s_or_b64 s[18:19], s[18:19], vcc
	s_and_b64 exec, exec, s[18:19]
	s_cbranch_execz .LBB124_10
; %bb.8:
	s_mov_b64 s[18:19], 0
	v_mov_b32_e32 v4, s8
.LBB124_9:                              ; =>This Inner Loop Header: Depth=1
	ds_cmpst_rtn_b32 v4, v1, v4, v2 offset:488
	s_waitcnt lgkmcnt(0)
	v_cmp_ne_u32_e32 vcc, 0, v4
	v_cmp_le_i32_e64 s[8:9], v4, v2
	s_and_b64 s[8:9], vcc, s[8:9]
	s_and_b64 s[8:9], exec, s[8:9]
	s_or_b64 s[18:19], s[8:9], s[18:19]
	s_andn2_b64 exec, exec, s[18:19]
	s_cbranch_execnz .LBB124_9
.LBB124_10:
	s_or_b64 exec, exec, s[16:17]
	v_mov_b32_e32 v2, 0
	; wave barrier
	ds_read_b32 v1, v2 offset:488
	s_and_saveexec_b64 s[8:9], s[4:5]
	s_cbranch_execz .LBB124_12
; %bb.11:
	s_lshl_b64 s[16:17], s[6:7], 2
	s_add_u32 s16, s10, s16
	s_addc_u32 s17, s11, s17
	s_waitcnt lgkmcnt(0)
	global_store_dword v2, v1, s[16:17]
.LBB124_12:
	s_or_b64 exec, exec, s[8:9]
	s_waitcnt lgkmcnt(0)
	v_cmp_ne_u32_e32 vcc, 0, v1
	s_mov_b64 s[8:9], 0
	s_cbranch_vccnz .LBB124_256
; %bb.13:
	buffer_load_dword v2, v5, s[0:3], 0 offen
	buffer_load_dword v4, v5, s[0:3], 0 offen offset:4
                                        ; implicit-def: $vgpr7
                                        ; implicit-def: $vgpr6
                                        ; implicit-def: $vgpr1
	s_waitcnt vmcnt(0)
	v_cmp_ngt_f32_e64 s[8:9], |v2|, |v4|
	s_and_saveexec_b64 s[16:17], s[8:9]
	s_xor_b64 s[8:9], exec, s[16:17]
	s_cbranch_execz .LBB124_15
; %bb.14:
	v_div_scale_f32 v1, s[16:17], v4, v4, v2
	v_div_scale_f32 v6, vcc, v2, v4, v2
	v_rcp_f32_e32 v7, v1
	v_fma_f32 v8, -v1, v7, 1.0
	v_fmac_f32_e32 v7, v8, v7
	v_mul_f32_e32 v8, v6, v7
	v_fma_f32 v9, -v1, v8, v6
	v_fmac_f32_e32 v8, v9, v7
	v_fma_f32 v1, -v1, v8, v6
	v_div_fmas_f32 v1, v1, v7, v8
	v_div_fixup_f32 v1, v1, v4, v2
	v_fmac_f32_e32 v4, v2, v1
	v_div_scale_f32 v2, s[16:17], v4, v4, 1.0
	v_div_scale_f32 v6, vcc, 1.0, v4, 1.0
	v_rcp_f32_e32 v7, v2
	v_fma_f32 v8, -v2, v7, 1.0
	v_fmac_f32_e32 v7, v8, v7
	v_mul_f32_e32 v8, v6, v7
	v_fma_f32 v9, -v2, v8, v6
	v_fmac_f32_e32 v8, v9, v7
	v_fma_f32 v2, -v2, v8, v6
	v_div_fmas_f32 v2, v2, v7, v8
	v_div_fixup_f32 v2, v2, v4, 1.0
	v_mul_f32_e32 v7, v1, v2
	v_xor_b32_e32 v6, 0x80000000, v2
	v_xor_b32_e32 v1, 0x80000000, v7
                                        ; implicit-def: $vgpr2
                                        ; implicit-def: $vgpr4
.LBB124_15:
	s_andn2_saveexec_b64 s[8:9], s[8:9]
	s_cbranch_execz .LBB124_17
; %bb.16:
	v_div_scale_f32 v1, s[16:17], v2, v2, v4
	v_div_scale_f32 v6, vcc, v4, v2, v4
	v_rcp_f32_e32 v7, v1
	v_fma_f32 v8, -v1, v7, 1.0
	v_fmac_f32_e32 v7, v8, v7
	v_mul_f32_e32 v8, v6, v7
	v_fma_f32 v9, -v1, v8, v6
	v_fmac_f32_e32 v8, v9, v7
	v_fma_f32 v1, -v1, v8, v6
	v_div_fmas_f32 v1, v1, v7, v8
	v_div_fixup_f32 v6, v1, v2, v4
	v_fmac_f32_e32 v2, v4, v6
	v_div_scale_f32 v1, s[16:17], v2, v2, 1.0
	v_div_scale_f32 v4, vcc, 1.0, v2, 1.0
	v_rcp_f32_e32 v7, v1
	v_fma_f32 v8, -v1, v7, 1.0
	v_fmac_f32_e32 v7, v8, v7
	v_mul_f32_e32 v8, v4, v7
	v_fma_f32 v9, -v1, v8, v4
	v_fmac_f32_e32 v8, v9, v7
	v_fma_f32 v1, -v1, v8, v4
	v_div_fmas_f32 v1, v1, v7, v8
	v_div_fixup_f32 v7, v1, v2, 1.0
	v_xor_b32_e32 v1, 0x80000000, v7
	v_mul_f32_e64 v6, v6, -v7
.LBB124_17:
	s_or_b64 exec, exec, s[8:9]
	buffer_store_dword v7, v5, s[0:3], 0 offen
	buffer_store_dword v6, v5, s[0:3], 0 offen offset:4
	buffer_load_dword v8, off, s[0:3], 0 offset:12
	s_nop 0
	buffer_load_dword v7, off, s[0:3], 0 offset:8
	v_xor_b32_e32 v2, 0x80000000, v6
	v_add_u32_e32 v4, 0x1f0, v3
	s_waitcnt vmcnt(0)
	ds_write2_b64 v3, v[1:2], v[7:8] offset1:62
	s_waitcnt lgkmcnt(0)
	; wave barrier
	s_and_saveexec_b64 s[8:9], s[4:5]
	s_cbranch_execz .LBB124_19
; %bb.18:
	buffer_load_dword v8, v5, s[0:3], 0 offen offset:4
	buffer_load_dword v9, v5, s[0:3], 0 offen
	ds_read_b64 v[1:2], v4
	v_mov_b32_e32 v6, 0
	ds_read_b64 v[6:7], v6 offset:8
	s_waitcnt vmcnt(1) lgkmcnt(1)
	v_mul_f32_e32 v10, v2, v8
	v_mul_f32_e32 v8, v1, v8
	s_waitcnt vmcnt(0)
	v_fmac_f32_e32 v8, v2, v9
	v_fma_f32 v1, v1, v9, -v10
	v_add_f32_e32 v2, 0, v8
	v_add_f32_e32 v1, 0, v1
	s_waitcnt lgkmcnt(0)
	v_mul_f32_e32 v8, v2, v7
	v_mul_f32_e32 v7, v1, v7
	v_fma_f32 v1, v1, v6, -v8
	v_fmac_f32_e32 v7, v2, v6
	buffer_store_dword v1, off, s[0:3], 0 offset:8
	buffer_store_dword v7, off, s[0:3], 0 offset:12
.LBB124_19:
	s_or_b64 exec, exec, s[8:9]
	; wave barrier
	buffer_load_dword v1, off, s[0:3], 0 offset:16
	buffer_load_dword v2, off, s[0:3], 0 offset:20
	v_cmp_gt_u32_e32 vcc, 2, v0
	s_waitcnt vmcnt(0)
	ds_write_b64 v4, v[1:2]
	s_waitcnt lgkmcnt(0)
	; wave barrier
	s_and_saveexec_b64 s[8:9], vcc
	s_cbranch_execz .LBB124_23
; %bb.20:
	buffer_load_dword v6, v5, s[0:3], 0 offen offset:4
	buffer_load_dword v7, v5, s[0:3], 0 offen
	ds_read_b64 v[1:2], v4
	s_waitcnt vmcnt(1) lgkmcnt(0)
	v_mul_f32_e32 v5, v2, v6
	v_mul_f32_e32 v6, v1, v6
	s_waitcnt vmcnt(0)
	v_fma_f32 v1, v1, v7, -v5
	v_fmac_f32_e32 v6, v2, v7
	v_add_f32_e32 v2, 0, v1
	v_add_f32_e32 v1, 0, v6
	s_and_saveexec_b64 s[16:17], s[4:5]
	s_cbranch_execz .LBB124_22
; %bb.21:
	buffer_load_dword v7, off, s[0:3], 0 offset:12
	buffer_load_dword v8, off, s[0:3], 0 offset:8
	v_mov_b32_e32 v5, 0
	ds_read_b64 v[5:6], v5 offset:504
	s_waitcnt vmcnt(1) lgkmcnt(0)
	v_mul_f32_e32 v9, v5, v7
	v_mul_f32_e32 v7, v6, v7
	s_waitcnt vmcnt(0)
	v_fmac_f32_e32 v9, v6, v8
	v_fma_f32 v5, v5, v8, -v7
	v_add_f32_e32 v1, v1, v9
	v_add_f32_e32 v2, v2, v5
.LBB124_22:
	s_or_b64 exec, exec, s[16:17]
	v_mov_b32_e32 v5, 0
	ds_read_b64 v[5:6], v5 offset:16
	s_waitcnt lgkmcnt(0)
	v_mul_f32_e32 v7, v1, v6
	v_mul_f32_e32 v6, v2, v6
	v_fma_f32 v2, v2, v5, -v7
	v_fmac_f32_e32 v6, v1, v5
	buffer_store_dword v2, off, s[0:3], 0 offset:16
	buffer_store_dword v6, off, s[0:3], 0 offset:20
.LBB124_23:
	s_or_b64 exec, exec, s[8:9]
	; wave barrier
	buffer_load_dword v1, off, s[0:3], 0 offset:24
	buffer_load_dword v2, off, s[0:3], 0 offset:28
	v_cmp_gt_u32_e32 vcc, 3, v0
	s_waitcnt vmcnt(0)
	ds_write_b64 v4, v[1:2]
	v_add_u32_e32 v1, -1, v0
	s_waitcnt lgkmcnt(0)
	; wave barrier
	s_and_saveexec_b64 s[4:5], vcc
	s_cbranch_execz .LBB124_27
; %bb.24:
	v_add_u32_e32 v5, -1, v0
	v_add_u32_e32 v6, 0x1f0, v3
	v_mov_b32_e32 v7, v3
	v_mov_b32_e32 v2, 0
	s_mov_b64 s[8:9], 0
	v_mov_b32_e32 v8, 0
.LBB124_25:                             ; =>This Inner Loop Header: Depth=1
	buffer_load_dword v11, v7, s[0:3], 0 offen offset:4
	buffer_load_dword v12, v7, s[0:3], 0 offen
	ds_read_b64 v[9:10], v6
	v_add_u32_e32 v5, 1, v5
	v_cmp_lt_u32_e32 vcc, 1, v5
	v_add_u32_e32 v6, 8, v6
	v_add_u32_e32 v7, 8, v7
	s_or_b64 s[8:9], vcc, s[8:9]
	s_waitcnt vmcnt(1) lgkmcnt(0)
	v_mul_f32_e32 v13, v10, v11
	v_mul_f32_e32 v11, v9, v11
	s_waitcnt vmcnt(0)
	v_fma_f32 v9, v9, v12, -v13
	v_fmac_f32_e32 v11, v10, v12
	v_add_f32_e32 v8, v8, v9
	v_add_f32_e32 v2, v2, v11
	s_andn2_b64 exec, exec, s[8:9]
	s_cbranch_execnz .LBB124_25
; %bb.26:
	s_or_b64 exec, exec, s[8:9]
	v_mov_b32_e32 v5, 0
	ds_read_b64 v[5:6], v5 offset:24
	s_waitcnt lgkmcnt(0)
	v_mul_f32_e32 v7, v2, v6
	v_mul_f32_e32 v6, v8, v6
	v_fma_f32 v7, v8, v5, -v7
	v_fmac_f32_e32 v6, v2, v5
	buffer_store_dword v7, off, s[0:3], 0 offset:24
	buffer_store_dword v6, off, s[0:3], 0 offset:28
.LBB124_27:
	s_or_b64 exec, exec, s[4:5]
	; wave barrier
	buffer_load_dword v5, off, s[0:3], 0 offset:32
	buffer_load_dword v6, off, s[0:3], 0 offset:36
	v_cmp_gt_u32_e32 vcc, 4, v0
	s_waitcnt vmcnt(0)
	ds_write_b64 v4, v[5:6]
	s_waitcnt lgkmcnt(0)
	; wave barrier
	s_and_saveexec_b64 s[4:5], vcc
	s_cbranch_execz .LBB124_31
; %bb.28:
	v_add_u32_e32 v5, -1, v0
	v_add_u32_e32 v6, 0x1f0, v3
	v_mov_b32_e32 v7, v3
	v_mov_b32_e32 v2, 0
	s_mov_b64 s[8:9], 0
	v_mov_b32_e32 v8, 0
.LBB124_29:                             ; =>This Inner Loop Header: Depth=1
	buffer_load_dword v11, v7, s[0:3], 0 offen offset:4
	buffer_load_dword v12, v7, s[0:3], 0 offen
	ds_read_b64 v[9:10], v6
	v_add_u32_e32 v5, 1, v5
	v_cmp_lt_u32_e32 vcc, 2, v5
	v_add_u32_e32 v6, 8, v6
	v_add_u32_e32 v7, 8, v7
	s_or_b64 s[8:9], vcc, s[8:9]
	s_waitcnt vmcnt(1) lgkmcnt(0)
	v_mul_f32_e32 v13, v10, v11
	v_mul_f32_e32 v11, v9, v11
	s_waitcnt vmcnt(0)
	v_fma_f32 v9, v9, v12, -v13
	v_fmac_f32_e32 v11, v10, v12
	v_add_f32_e32 v8, v8, v9
	v_add_f32_e32 v2, v2, v11
	s_andn2_b64 exec, exec, s[8:9]
	s_cbranch_execnz .LBB124_29
; %bb.30:
	s_or_b64 exec, exec, s[8:9]
	v_mov_b32_e32 v5, 0
	ds_read_b64 v[5:6], v5 offset:32
	s_waitcnt lgkmcnt(0)
	v_mul_f32_e32 v7, v2, v6
	v_mul_f32_e32 v6, v8, v6
	v_fma_f32 v7, v8, v5, -v7
	v_fmac_f32_e32 v6, v2, v5
	buffer_store_dword v7, off, s[0:3], 0 offset:32
	buffer_store_dword v6, off, s[0:3], 0 offset:36
.LBB124_31:
	s_or_b64 exec, exec, s[4:5]
	; wave barrier
	buffer_load_dword v5, off, s[0:3], 0 offset:40
	buffer_load_dword v6, off, s[0:3], 0 offset:44
	v_cmp_gt_u32_e32 vcc, 5, v0
	s_waitcnt vmcnt(0)
	ds_write_b64 v4, v[5:6]
	;; [unrolled: 49-line block ×19, first 2 shown]
	s_waitcnt lgkmcnt(0)
	; wave barrier
	s_and_saveexec_b64 s[4:5], vcc
	s_cbranch_execz .LBB124_103
; %bb.100:
	v_add_u32_e32 v5, -1, v0
	v_add_u32_e32 v6, 0x1f0, v3
	v_mov_b32_e32 v7, v3
	v_mov_b32_e32 v2, 0
	s_mov_b64 s[8:9], 0
	v_mov_b32_e32 v8, 0
.LBB124_101:                            ; =>This Inner Loop Header: Depth=1
	buffer_load_dword v11, v7, s[0:3], 0 offen offset:4
	buffer_load_dword v12, v7, s[0:3], 0 offen
	ds_read_b64 v[9:10], v6
	v_add_u32_e32 v5, 1, v5
	v_cmp_lt_u32_e32 vcc, 20, v5
	v_add_u32_e32 v6, 8, v6
	v_add_u32_e32 v7, 8, v7
	s_or_b64 s[8:9], vcc, s[8:9]
	s_waitcnt vmcnt(1) lgkmcnt(0)
	v_mul_f32_e32 v13, v10, v11
	v_mul_f32_e32 v11, v9, v11
	s_waitcnt vmcnt(0)
	v_fma_f32 v9, v9, v12, -v13
	v_fmac_f32_e32 v11, v10, v12
	v_add_f32_e32 v8, v8, v9
	v_add_f32_e32 v2, v2, v11
	s_andn2_b64 exec, exec, s[8:9]
	s_cbranch_execnz .LBB124_101
; %bb.102:
	s_or_b64 exec, exec, s[8:9]
	v_mov_b32_e32 v5, 0
	ds_read_b64 v[5:6], v5 offset:176
	s_waitcnt lgkmcnt(0)
	v_mul_f32_e32 v7, v2, v6
	v_mul_f32_e32 v6, v8, v6
	v_fma_f32 v7, v8, v5, -v7
	v_fmac_f32_e32 v6, v2, v5
	buffer_store_dword v7, off, s[0:3], 0 offset:176
	buffer_store_dword v6, off, s[0:3], 0 offset:180
.LBB124_103:
	s_or_b64 exec, exec, s[4:5]
	; wave barrier
	buffer_load_dword v5, off, s[0:3], 0 offset:184
	buffer_load_dword v6, off, s[0:3], 0 offset:188
	v_cmp_gt_u32_e32 vcc, 23, v0
	s_waitcnt vmcnt(0)
	ds_write_b64 v4, v[5:6]
	s_waitcnt lgkmcnt(0)
	; wave barrier
	s_and_saveexec_b64 s[4:5], vcc
	s_cbranch_execz .LBB124_107
; %bb.104:
	v_add_u32_e32 v5, -1, v0
	v_add_u32_e32 v6, 0x1f0, v3
	v_mov_b32_e32 v7, v3
	v_mov_b32_e32 v2, 0
	s_mov_b64 s[8:9], 0
	v_mov_b32_e32 v8, 0
.LBB124_105:                            ; =>This Inner Loop Header: Depth=1
	buffer_load_dword v11, v7, s[0:3], 0 offen offset:4
	buffer_load_dword v12, v7, s[0:3], 0 offen
	ds_read_b64 v[9:10], v6
	v_add_u32_e32 v5, 1, v5
	v_cmp_lt_u32_e32 vcc, 21, v5
	v_add_u32_e32 v6, 8, v6
	v_add_u32_e32 v7, 8, v7
	s_or_b64 s[8:9], vcc, s[8:9]
	s_waitcnt vmcnt(1) lgkmcnt(0)
	v_mul_f32_e32 v13, v10, v11
	v_mul_f32_e32 v11, v9, v11
	s_waitcnt vmcnt(0)
	v_fma_f32 v9, v9, v12, -v13
	v_fmac_f32_e32 v11, v10, v12
	v_add_f32_e32 v8, v8, v9
	v_add_f32_e32 v2, v2, v11
	s_andn2_b64 exec, exec, s[8:9]
	s_cbranch_execnz .LBB124_105
; %bb.106:
	s_or_b64 exec, exec, s[8:9]
	v_mov_b32_e32 v5, 0
	ds_read_b64 v[5:6], v5 offset:184
	s_waitcnt lgkmcnt(0)
	v_mul_f32_e32 v7, v2, v6
	v_mul_f32_e32 v6, v8, v6
	v_fma_f32 v7, v8, v5, -v7
	v_fmac_f32_e32 v6, v2, v5
	buffer_store_dword v7, off, s[0:3], 0 offset:184
	buffer_store_dword v6, off, s[0:3], 0 offset:188
.LBB124_107:
	s_or_b64 exec, exec, s[4:5]
	; wave barrier
	buffer_load_dword v5, off, s[0:3], 0 offset:192
	buffer_load_dword v6, off, s[0:3], 0 offset:196
	v_cmp_gt_u32_e32 vcc, 24, v0
	s_waitcnt vmcnt(0)
	ds_write_b64 v4, v[5:6]
	;; [unrolled: 49-line block ×37, first 2 shown]
	s_waitcnt lgkmcnt(0)
	; wave barrier
	s_and_saveexec_b64 s[4:5], vcc
	s_cbranch_execz .LBB124_251
; %bb.248:
	v_add_u32_e32 v5, -1, v0
	v_add_u32_e32 v6, 0x1f0, v3
	v_mov_b32_e32 v7, v3
	v_mov_b32_e32 v2, 0
	s_mov_b64 s[8:9], 0
	v_mov_b32_e32 v8, 0
.LBB124_249:                            ; =>This Inner Loop Header: Depth=1
	buffer_load_dword v11, v7, s[0:3], 0 offen offset:4
	buffer_load_dword v12, v7, s[0:3], 0 offen
	ds_read_b64 v[9:10], v6
	v_add_u32_e32 v5, 1, v5
	v_cmp_lt_u32_e32 vcc, 57, v5
	v_add_u32_e32 v6, 8, v6
	v_add_u32_e32 v7, 8, v7
	s_or_b64 s[8:9], vcc, s[8:9]
	s_waitcnt vmcnt(1) lgkmcnt(0)
	v_mul_f32_e32 v13, v10, v11
	v_mul_f32_e32 v11, v9, v11
	s_waitcnt vmcnt(0)
	v_fma_f32 v9, v9, v12, -v13
	v_fmac_f32_e32 v11, v10, v12
	v_add_f32_e32 v8, v8, v9
	v_add_f32_e32 v2, v2, v11
	s_andn2_b64 exec, exec, s[8:9]
	s_cbranch_execnz .LBB124_249
; %bb.250:
	s_or_b64 exec, exec, s[8:9]
	v_mov_b32_e32 v5, 0
	ds_read_b64 v[5:6], v5 offset:472
	s_waitcnt lgkmcnt(0)
	v_mul_f32_e32 v7, v2, v6
	v_mul_f32_e32 v6, v8, v6
	v_fma_f32 v7, v8, v5, -v7
	v_fmac_f32_e32 v6, v2, v5
	buffer_store_dword v7, off, s[0:3], 0 offset:472
	buffer_store_dword v6, off, s[0:3], 0 offset:476
.LBB124_251:
	s_or_b64 exec, exec, s[4:5]
	; wave barrier
	buffer_load_dword v5, off, s[0:3], 0 offset:480
	buffer_load_dword v6, off, s[0:3], 0 offset:484
	v_cmp_ne_u32_e32 vcc, 60, v0
	s_waitcnt vmcnt(0)
	ds_write_b64 v4, v[5:6]
	s_waitcnt lgkmcnt(0)
	; wave barrier
	s_and_saveexec_b64 s[4:5], vcc
	s_cbranch_execz .LBB124_255
; %bb.252:
	v_add_u32_e32 v4, 0x1f0, v3
	v_mov_b32_e32 v2, 0
	s_mov_b64 s[8:9], 0
	v_mov_b32_e32 v5, 0
.LBB124_253:                            ; =>This Inner Loop Header: Depth=1
	buffer_load_dword v8, v3, s[0:3], 0 offen offset:4
	buffer_load_dword v9, v3, s[0:3], 0 offen
	ds_read_b64 v[6:7], v4
	v_add_u32_e32 v1, 1, v1
	v_cmp_lt_u32_e32 vcc, 58, v1
	v_add_u32_e32 v4, 8, v4
	v_add_u32_e32 v3, 8, v3
	s_or_b64 s[8:9], vcc, s[8:9]
	s_waitcnt vmcnt(1) lgkmcnt(0)
	v_mul_f32_e32 v10, v7, v8
	v_mul_f32_e32 v8, v6, v8
	s_waitcnt vmcnt(0)
	v_fma_f32 v6, v6, v9, -v10
	v_fmac_f32_e32 v8, v7, v9
	v_add_f32_e32 v5, v5, v6
	v_add_f32_e32 v2, v2, v8
	s_andn2_b64 exec, exec, s[8:9]
	s_cbranch_execnz .LBB124_253
; %bb.254:
	s_or_b64 exec, exec, s[8:9]
	v_mov_b32_e32 v1, 0
	ds_read_b64 v[3:4], v1 offset:480
	s_waitcnt lgkmcnt(0)
	v_mul_f32_e32 v1, v2, v4
	v_mul_f32_e32 v4, v5, v4
	v_fma_f32 v1, v5, v3, -v1
	v_fmac_f32_e32 v4, v2, v3
	buffer_store_dword v1, off, s[0:3], 0 offset:480
	buffer_store_dword v4, off, s[0:3], 0 offset:484
.LBB124_255:
	s_or_b64 exec, exec, s[4:5]
	s_mov_b64 s[8:9], -1
	; wave barrier
.LBB124_256:
	s_and_b64 vcc, exec, s[8:9]
	s_cbranch_vccz .LBB124_258
; %bb.257:
	s_lshl_b64 s[4:5], s[6:7], 2
	s_add_u32 s4, s10, s4
	s_addc_u32 s5, s11, s5
	v_mov_b32_e32 v1, 0
	global_load_dword v1, v1, s[4:5]
	s_waitcnt vmcnt(0)
	v_cmp_ne_u32_e32 vcc, 0, v1
	s_cbranch_vccz .LBB124_259
.LBB124_258:
	s_endpgm
.LBB124_259:
	v_mov_b32_e32 v1, 0x1f0
	v_lshl_add_u32 v147, v0, 3, v1
	v_cmp_eq_u32_e32 vcc, 60, v0
	s_and_saveexec_b64 s[4:5], vcc
	s_cbranch_execz .LBB124_261
; %bb.260:
	buffer_load_dword v1, off, s[0:3], 0 offset:472
	buffer_load_dword v2, off, s[0:3], 0 offset:476
	v_mov_b32_e32 v3, 0
	buffer_store_dword v3, off, s[0:3], 0 offset:472
	buffer_store_dword v3, off, s[0:3], 0 offset:476
	s_waitcnt vmcnt(2)
	ds_write_b64 v147, v[1:2]
.LBB124_261:
	s_or_b64 exec, exec, s[4:5]
	s_waitcnt lgkmcnt(0)
	; wave barrier
	buffer_load_dword v4, off, s[0:3], 0 offset:484
	buffer_load_dword v5, off, s[0:3], 0 offset:480
	;; [unrolled: 1-line block ×4, first 2 shown]
	v_mov_b32_e32 v1, 0
	ds_read_b64 v[2:3], v1 offset:976
	v_cmp_lt_u32_e32 vcc, 58, v0
	s_waitcnt vmcnt(3) lgkmcnt(0)
	v_mul_f32_e32 v8, v2, v4
	v_mul_f32_e32 v4, v3, v4
	s_waitcnt vmcnt(2)
	v_fma_f32 v2, v2, v5, -v4
	v_fmac_f32_e32 v8, v3, v5
	v_add_f32_e32 v2, 0, v2
	v_add_f32_e32 v3, 0, v8
	s_waitcnt vmcnt(1)
	v_sub_f32_e32 v2, v6, v2
	s_waitcnt vmcnt(0)
	v_sub_f32_e32 v3, v7, v3
	buffer_store_dword v2, off, s[0:3], 0 offset:472
	buffer_store_dword v3, off, s[0:3], 0 offset:476
	s_and_saveexec_b64 s[4:5], vcc
	s_cbranch_execz .LBB124_263
; %bb.262:
	buffer_load_dword v2, off, s[0:3], 0 offset:464
	buffer_load_dword v3, off, s[0:3], 0 offset:468
	s_waitcnt vmcnt(0)
	ds_write_b64 v147, v[2:3]
	buffer_store_dword v1, off, s[0:3], 0 offset:464
	buffer_store_dword v1, off, s[0:3], 0 offset:468
.LBB124_263:
	s_or_b64 exec, exec, s[4:5]
	s_waitcnt lgkmcnt(0)
	; wave barrier
	buffer_load_dword v5, off, s[0:3], 0 offset:476
	buffer_load_dword v6, off, s[0:3], 0 offset:484
	buffer_load_dword v7, off, s[0:3], 0 offset:472
	buffer_load_dword v8, off, s[0:3], 0 offset:480
	buffer_load_dword v9, off, s[0:3], 0 offset:464
	buffer_load_dword v10, off, s[0:3], 0 offset:468
	ds_read2_b64 v[1:4], v1 offset0:121 offset1:122
	v_cmp_lt_u32_e32 vcc, 57, v0
	s_waitcnt vmcnt(5) lgkmcnt(0)
	v_mul_f32_e32 v11, v1, v5
	v_mul_f32_e32 v5, v2, v5
	s_waitcnt vmcnt(4)
	v_mul_f32_e32 v12, v3, v6
	v_mul_f32_e32 v6, v4, v6
	s_waitcnt vmcnt(3)
	v_fma_f32 v1, v1, v7, -v5
	v_fmac_f32_e32 v11, v2, v7
	s_waitcnt vmcnt(2)
	v_fma_f32 v2, v3, v8, -v6
	v_add_f32_e32 v1, 0, v1
	v_fmac_f32_e32 v12, v4, v8
	v_add_f32_e32 v3, 0, v11
	v_add_f32_e32 v1, v1, v2
	;; [unrolled: 1-line block ×3, first 2 shown]
	s_waitcnt vmcnt(1)
	v_sub_f32_e32 v1, v9, v1
	s_waitcnt vmcnt(0)
	v_sub_f32_e32 v2, v10, v3
	buffer_store_dword v1, off, s[0:3], 0 offset:464
	buffer_store_dword v2, off, s[0:3], 0 offset:468
	s_and_saveexec_b64 s[4:5], vcc
	s_cbranch_execz .LBB124_265
; %bb.264:
	buffer_load_dword v1, off, s[0:3], 0 offset:456
	buffer_load_dword v2, off, s[0:3], 0 offset:460
	v_mov_b32_e32 v3, 0
	buffer_store_dword v3, off, s[0:3], 0 offset:456
	buffer_store_dword v3, off, s[0:3], 0 offset:460
	s_waitcnt vmcnt(2)
	ds_write_b64 v147, v[1:2]
.LBB124_265:
	s_or_b64 exec, exec, s[4:5]
	s_waitcnt lgkmcnt(0)
	; wave barrier
	buffer_load_dword v8, off, s[0:3], 0 offset:468
	buffer_load_dword v9, off, s[0:3], 0 offset:476
	;; [unrolled: 1-line block ×8, first 2 shown]
	v_mov_b32_e32 v1, 0
	ds_read_b128 v[2:5], v1 offset:960
	ds_read_b64 v[6:7], v1 offset:976
	v_cmp_lt_u32_e32 vcc, 56, v0
	s_waitcnt vmcnt(7) lgkmcnt(1)
	v_mul_f32_e32 v16, v2, v8
	v_mul_f32_e32 v8, v3, v8
	s_waitcnt vmcnt(6)
	v_mul_f32_e32 v17, v4, v9
	v_mul_f32_e32 v9, v5, v9
	s_waitcnt vmcnt(4)
	v_fma_f32 v2, v2, v11, -v8
	s_waitcnt lgkmcnt(0)
	v_mul_f32_e32 v18, v6, v10
	v_mul_f32_e32 v10, v7, v10
	v_fmac_f32_e32 v16, v3, v11
	s_waitcnt vmcnt(3)
	v_fma_f32 v3, v4, v12, -v9
	v_add_f32_e32 v2, 0, v2
	v_fmac_f32_e32 v17, v5, v12
	s_waitcnt vmcnt(2)
	v_fma_f32 v4, v6, v13, -v10
	v_add_f32_e32 v5, 0, v16
	v_add_f32_e32 v2, v2, v3
	v_fmac_f32_e32 v18, v7, v13
	v_add_f32_e32 v5, v5, v17
	v_add_f32_e32 v2, v2, v4
	v_add_f32_e32 v3, v5, v18
	s_waitcnt vmcnt(1)
	v_sub_f32_e32 v2, v14, v2
	s_waitcnt vmcnt(0)
	v_sub_f32_e32 v3, v15, v3
	buffer_store_dword v2, off, s[0:3], 0 offset:456
	buffer_store_dword v3, off, s[0:3], 0 offset:460
	s_and_saveexec_b64 s[4:5], vcc
	s_cbranch_execz .LBB124_267
; %bb.266:
	buffer_load_dword v2, off, s[0:3], 0 offset:448
	buffer_load_dword v3, off, s[0:3], 0 offset:452
	s_waitcnt vmcnt(0)
	ds_write_b64 v147, v[2:3]
	buffer_store_dword v1, off, s[0:3], 0 offset:448
	buffer_store_dword v1, off, s[0:3], 0 offset:452
.LBB124_267:
	s_or_b64 exec, exec, s[4:5]
	s_waitcnt lgkmcnt(0)
	; wave barrier
	buffer_load_dword v10, off, s[0:3], 0 offset:460
	buffer_load_dword v11, off, s[0:3], 0 offset:468
	;; [unrolled: 1-line block ×10, first 2 shown]
	ds_read2_b64 v[2:5], v1 offset0:119 offset1:120
	ds_read2_b64 v[6:9], v1 offset0:121 offset1:122
	v_cmp_lt_u32_e32 vcc, 55, v0
	s_waitcnt vmcnt(9) lgkmcnt(1)
	v_mul_f32_e32 v1, v2, v10
	v_mul_f32_e32 v10, v3, v10
	s_waitcnt vmcnt(8)
	v_mul_f32_e32 v20, v4, v11
	v_mul_f32_e32 v11, v5, v11
	s_waitcnt vmcnt(5)
	v_fma_f32 v2, v2, v14, -v10
	s_waitcnt lgkmcnt(0)
	v_mul_f32_e32 v21, v6, v12
	v_mul_f32_e32 v12, v7, v12
	v_fmac_f32_e32 v1, v3, v14
	s_waitcnt vmcnt(4)
	v_fma_f32 v3, v4, v15, -v11
	v_add_f32_e32 v2, 0, v2
	v_mul_f32_e32 v22, v8, v13
	v_mul_f32_e32 v13, v9, v13
	v_fmac_f32_e32 v20, v5, v15
	s_waitcnt vmcnt(3)
	v_fma_f32 v4, v6, v16, -v12
	v_add_f32_e32 v1, 0, v1
	v_add_f32_e32 v2, v2, v3
	v_fmac_f32_e32 v21, v7, v16
	s_waitcnt vmcnt(2)
	v_fma_f32 v5, v8, v17, -v13
	v_add_f32_e32 v1, v1, v20
	v_add_f32_e32 v2, v2, v4
	v_fmac_f32_e32 v22, v9, v17
	v_add_f32_e32 v1, v1, v21
	v_add_f32_e32 v2, v2, v5
	;; [unrolled: 1-line block ×3, first 2 shown]
	s_waitcnt vmcnt(1)
	v_sub_f32_e32 v2, v18, v2
	s_waitcnt vmcnt(0)
	v_sub_f32_e32 v1, v19, v1
	buffer_store_dword v2, off, s[0:3], 0 offset:448
	buffer_store_dword v1, off, s[0:3], 0 offset:452
	s_and_saveexec_b64 s[4:5], vcc
	s_cbranch_execz .LBB124_269
; %bb.268:
	buffer_load_dword v1, off, s[0:3], 0 offset:440
	buffer_load_dword v2, off, s[0:3], 0 offset:444
	v_mov_b32_e32 v3, 0
	buffer_store_dword v3, off, s[0:3], 0 offset:440
	buffer_store_dword v3, off, s[0:3], 0 offset:444
	s_waitcnt vmcnt(2)
	ds_write_b64 v147, v[1:2]
.LBB124_269:
	s_or_b64 exec, exec, s[4:5]
	s_waitcnt lgkmcnt(0)
	; wave barrier
	buffer_load_dword v12, off, s[0:3], 0 offset:452
	buffer_load_dword v13, off, s[0:3], 0 offset:460
	;; [unrolled: 1-line block ×12, first 2 shown]
	v_mov_b32_e32 v1, 0
	ds_read_b128 v[2:5], v1 offset:944
	ds_read_b128 v[6:9], v1 offset:960
	ds_read_b64 v[10:11], v1 offset:976
	v_cmp_lt_u32_e32 vcc, 54, v0
	s_waitcnt vmcnt(11) lgkmcnt(2)
	v_mul_f32_e32 v24, v2, v12
	v_mul_f32_e32 v12, v3, v12
	s_waitcnt vmcnt(10)
	v_mul_f32_e32 v27, v4, v13
	v_mul_f32_e32 v13, v5, v13
	s_waitcnt vmcnt(9) lgkmcnt(1)
	v_mul_f32_e32 v28, v6, v14
	s_waitcnt vmcnt(6)
	v_fma_f32 v2, v2, v17, -v12
	v_mul_f32_e32 v14, v7, v14
	v_fmac_f32_e32 v24, v3, v17
	s_waitcnt vmcnt(5)
	v_fma_f32 v3, v4, v18, -v13
	v_add_f32_e32 v2, 0, v2
	v_mul_f32_e32 v29, v8, v15
	v_mul_f32_e32 v15, v9, v15
	v_fmac_f32_e32 v27, v5, v18
	s_waitcnt vmcnt(4)
	v_fmac_f32_e32 v28, v7, v19
	v_fma_f32 v4, v6, v19, -v14
	v_add_f32_e32 v7, 0, v24
	v_add_f32_e32 v2, v2, v3
	s_waitcnt lgkmcnt(0)
	v_mul_f32_e32 v30, v10, v16
	v_mul_f32_e32 v16, v11, v16
	s_waitcnt vmcnt(3)
	v_fma_f32 v5, v8, v20, -v15
	v_add_f32_e32 v7, v7, v27
	v_add_f32_e32 v2, v2, v4
	v_fmac_f32_e32 v29, v9, v20
	s_waitcnt vmcnt(2)
	v_fma_f32 v6, v10, v21, -v16
	v_add_f32_e32 v3, v7, v28
	v_add_f32_e32 v2, v2, v5
	v_fmac_f32_e32 v30, v11, v21
	v_add_f32_e32 v3, v3, v29
	v_add_f32_e32 v2, v2, v6
	;; [unrolled: 1-line block ×3, first 2 shown]
	s_waitcnt vmcnt(1)
	v_sub_f32_e32 v2, v22, v2
	s_waitcnt vmcnt(0)
	v_sub_f32_e32 v3, v23, v3
	buffer_store_dword v2, off, s[0:3], 0 offset:440
	buffer_store_dword v3, off, s[0:3], 0 offset:444
	s_and_saveexec_b64 s[4:5], vcc
	s_cbranch_execz .LBB124_271
; %bb.270:
	buffer_load_dword v2, off, s[0:3], 0 offset:432
	buffer_load_dword v3, off, s[0:3], 0 offset:436
	s_waitcnt vmcnt(0)
	ds_write_b64 v147, v[2:3]
	buffer_store_dword v1, off, s[0:3], 0 offset:432
	buffer_store_dword v1, off, s[0:3], 0 offset:436
.LBB124_271:
	s_or_b64 exec, exec, s[4:5]
	s_waitcnt lgkmcnt(0)
	; wave barrier
	buffer_load_dword v14, off, s[0:3], 0 offset:444
	buffer_load_dword v15, off, s[0:3], 0 offset:452
	;; [unrolled: 1-line block ×14, first 2 shown]
	ds_read2_b64 v[2:5], v1 offset0:117 offset1:118
	ds_read2_b64 v[6:9], v1 offset0:119 offset1:120
	;; [unrolled: 1-line block ×3, first 2 shown]
	v_cmp_lt_u32_e32 vcc, 53, v0
	s_waitcnt vmcnt(13) lgkmcnt(2)
	v_mul_f32_e32 v1, v2, v14
	v_mul_f32_e32 v14, v3, v14
	s_waitcnt vmcnt(12)
	v_mul_f32_e32 v30, v4, v15
	v_mul_f32_e32 v15, v5, v15
	s_waitcnt vmcnt(11) lgkmcnt(1)
	v_mul_f32_e32 v31, v6, v16
	v_mul_f32_e32 v16, v7, v16
	s_waitcnt vmcnt(7)
	v_fma_f32 v2, v2, v20, -v14
	v_fmac_f32_e32 v1, v3, v20
	s_waitcnt vmcnt(6)
	v_fma_f32 v3, v4, v21, -v15
	v_add_f32_e32 v2, 0, v2
	v_mul_f32_e32 v32, v8, v17
	v_mul_f32_e32 v17, v9, v17
	v_fmac_f32_e32 v30, v5, v21
	s_waitcnt vmcnt(5)
	v_fma_f32 v4, v6, v22, -v16
	v_add_f32_e32 v1, 0, v1
	v_add_f32_e32 v2, v2, v3
	s_waitcnt lgkmcnt(0)
	v_mul_f32_e32 v33, v10, v18
	v_mul_f32_e32 v18, v11, v18
	v_fmac_f32_e32 v31, v7, v22
	s_waitcnt vmcnt(4)
	v_fma_f32 v5, v8, v23, -v17
	v_add_f32_e32 v1, v1, v30
	v_add_f32_e32 v2, v2, v4
	v_mul_f32_e32 v34, v12, v19
	v_mul_f32_e32 v19, v13, v19
	v_fmac_f32_e32 v32, v9, v23
	s_waitcnt vmcnt(3)
	v_fma_f32 v6, v10, v24, -v18
	v_add_f32_e32 v1, v1, v31
	v_add_f32_e32 v2, v2, v5
	v_fmac_f32_e32 v33, v11, v24
	s_waitcnt vmcnt(2)
	v_fma_f32 v7, v12, v27, -v19
	v_add_f32_e32 v1, v1, v32
	v_add_f32_e32 v2, v2, v6
	v_fmac_f32_e32 v34, v13, v27
	v_add_f32_e32 v1, v1, v33
	v_add_f32_e32 v2, v2, v7
	;; [unrolled: 1-line block ×3, first 2 shown]
	s_waitcnt vmcnt(1)
	v_sub_f32_e32 v2, v28, v2
	s_waitcnt vmcnt(0)
	v_sub_f32_e32 v1, v29, v1
	buffer_store_dword v2, off, s[0:3], 0 offset:432
	buffer_store_dword v1, off, s[0:3], 0 offset:436
	s_and_saveexec_b64 s[4:5], vcc
	s_cbranch_execz .LBB124_273
; %bb.272:
	buffer_load_dword v1, off, s[0:3], 0 offset:424
	buffer_load_dword v2, off, s[0:3], 0 offset:428
	v_mov_b32_e32 v3, 0
	buffer_store_dword v3, off, s[0:3], 0 offset:424
	buffer_store_dword v3, off, s[0:3], 0 offset:428
	s_waitcnt vmcnt(2)
	ds_write_b64 v147, v[1:2]
.LBB124_273:
	s_or_b64 exec, exec, s[4:5]
	s_waitcnt lgkmcnt(0)
	; wave barrier
	buffer_load_dword v16, off, s[0:3], 0 offset:436
	buffer_load_dword v17, off, s[0:3], 0 offset:444
	;; [unrolled: 1-line block ×16, first 2 shown]
	v_mov_b32_e32 v1, 0
	ds_read_b128 v[2:5], v1 offset:928
	ds_read_b128 v[6:9], v1 offset:944
	;; [unrolled: 1-line block ×3, first 2 shown]
	ds_read_b64 v[14:15], v1 offset:976
	v_cmp_lt_u32_e32 vcc, 52, v0
	s_waitcnt vmcnt(15) lgkmcnt(3)
	v_mul_f32_e32 v34, v2, v16
	v_mul_f32_e32 v16, v3, v16
	s_waitcnt vmcnt(14)
	v_mul_f32_e32 v35, v4, v17
	v_mul_f32_e32 v17, v5, v17
	s_waitcnt vmcnt(13) lgkmcnt(2)
	v_mul_f32_e32 v36, v6, v18
	s_waitcnt vmcnt(12)
	v_mul_f32_e32 v37, v8, v19
	v_mul_f32_e32 v18, v7, v18
	s_waitcnt vmcnt(8)
	v_fma_f32 v2, v2, v23, -v16
	v_fmac_f32_e32 v34, v3, v23
	s_waitcnt vmcnt(7)
	v_fma_f32 v3, v4, v24, -v17
	v_add_f32_e32 v2, 0, v2
	v_mul_f32_e32 v19, v9, v19
	v_fmac_f32_e32 v35, v5, v24
	s_waitcnt vmcnt(5)
	v_fmac_f32_e32 v37, v9, v28
	v_fma_f32 v4, v6, v27, -v18
	v_add_f32_e32 v9, 0, v34
	v_add_f32_e32 v2, v2, v3
	s_waitcnt lgkmcnt(1)
	v_mul_f32_e32 v38, v10, v20
	v_mul_f32_e32 v20, v11, v20
	v_fmac_f32_e32 v36, v7, v27
	v_fma_f32 v5, v8, v28, -v19
	v_add_f32_e32 v9, v9, v35
	v_add_f32_e32 v2, v2, v4
	v_mul_f32_e32 v39, v12, v21
	v_mul_f32_e32 v21, v13, v21
	s_waitcnt vmcnt(4)
	v_fma_f32 v6, v10, v29, -v20
	v_add_f32_e32 v3, v9, v36
	v_add_f32_e32 v2, v2, v5
	s_waitcnt lgkmcnt(0)
	v_mul_f32_e32 v40, v14, v22
	v_mul_f32_e32 v22, v15, v22
	v_fmac_f32_e32 v38, v11, v29
	s_waitcnt vmcnt(3)
	v_fma_f32 v7, v12, v30, -v21
	v_add_f32_e32 v3, v3, v37
	v_add_f32_e32 v2, v2, v6
	v_fmac_f32_e32 v39, v13, v30
	s_waitcnt vmcnt(2)
	v_fma_f32 v8, v14, v31, -v22
	v_add_f32_e32 v3, v3, v38
	v_add_f32_e32 v2, v2, v7
	v_fmac_f32_e32 v40, v15, v31
	v_add_f32_e32 v3, v3, v39
	v_add_f32_e32 v2, v2, v8
	;; [unrolled: 1-line block ×3, first 2 shown]
	s_waitcnt vmcnt(1)
	v_sub_f32_e32 v2, v32, v2
	s_waitcnt vmcnt(0)
	v_sub_f32_e32 v3, v33, v3
	buffer_store_dword v2, off, s[0:3], 0 offset:424
	buffer_store_dword v3, off, s[0:3], 0 offset:428
	s_and_saveexec_b64 s[4:5], vcc
	s_cbranch_execz .LBB124_275
; %bb.274:
	buffer_load_dword v2, off, s[0:3], 0 offset:416
	buffer_load_dword v3, off, s[0:3], 0 offset:420
	s_waitcnt vmcnt(0)
	ds_write_b64 v147, v[2:3]
	buffer_store_dword v1, off, s[0:3], 0 offset:416
	buffer_store_dword v1, off, s[0:3], 0 offset:420
.LBB124_275:
	s_or_b64 exec, exec, s[4:5]
	s_waitcnt lgkmcnt(0)
	; wave barrier
	buffer_load_dword v18, off, s[0:3], 0 offset:428
	buffer_load_dword v19, off, s[0:3], 0 offset:436
	;; [unrolled: 1-line block ×18, first 2 shown]
	ds_read2_b64 v[2:5], v1 offset0:115 offset1:116
	ds_read2_b64 v[6:9], v1 offset0:117 offset1:118
	;; [unrolled: 1-line block ×4, first 2 shown]
	v_cmp_lt_u32_e32 vcc, 51, v0
	s_waitcnt vmcnt(17) lgkmcnt(3)
	v_mul_f32_e32 v1, v2, v18
	v_mul_f32_e32 v18, v3, v18
	s_waitcnt vmcnt(16)
	v_mul_f32_e32 v38, v4, v19
	v_mul_f32_e32 v19, v5, v19
	s_waitcnt vmcnt(15) lgkmcnt(2)
	v_mul_f32_e32 v39, v6, v20
	v_mul_f32_e32 v20, v7, v20
	s_waitcnt vmcnt(14)
	v_mul_f32_e32 v40, v8, v21
	v_mul_f32_e32 v21, v9, v21
	s_waitcnt vmcnt(9)
	v_fma_f32 v2, v2, v28, -v18
	v_fmac_f32_e32 v1, v3, v28
	s_waitcnt vmcnt(8)
	v_fma_f32 v3, v4, v29, -v19
	v_add_f32_e32 v2, 0, v2
	v_fmac_f32_e32 v38, v5, v29
	s_waitcnt vmcnt(7)
	v_fma_f32 v4, v6, v30, -v20
	v_add_f32_e32 v1, 0, v1
	v_add_f32_e32 v2, v2, v3
	s_waitcnt lgkmcnt(1)
	v_mul_f32_e32 v41, v10, v22
	v_mul_f32_e32 v22, v11, v22
	v_fmac_f32_e32 v39, v7, v30
	s_waitcnt vmcnt(6)
	v_fma_f32 v5, v8, v31, -v21
	v_add_f32_e32 v1, v1, v38
	v_add_f32_e32 v2, v2, v4
	v_mul_f32_e32 v42, v12, v23
	v_mul_f32_e32 v23, v13, v23
	v_fmac_f32_e32 v40, v9, v31
	s_waitcnt vmcnt(5)
	v_fma_f32 v6, v10, v32, -v22
	v_add_f32_e32 v1, v1, v39
	v_add_f32_e32 v2, v2, v5
	s_waitcnt lgkmcnt(0)
	v_mul_f32_e32 v43, v14, v24
	v_mul_f32_e32 v24, v15, v24
	v_fmac_f32_e32 v41, v11, v32
	s_waitcnt vmcnt(4)
	v_fma_f32 v7, v12, v33, -v23
	v_add_f32_e32 v1, v1, v40
	v_add_f32_e32 v2, v2, v6
	v_mul_f32_e32 v44, v16, v27
	v_mul_f32_e32 v27, v17, v27
	v_fmac_f32_e32 v42, v13, v33
	s_waitcnt vmcnt(3)
	v_fma_f32 v8, v14, v34, -v24
	v_add_f32_e32 v1, v1, v41
	v_add_f32_e32 v2, v2, v7
	v_fmac_f32_e32 v43, v15, v34
	s_waitcnt vmcnt(2)
	v_fma_f32 v9, v16, v35, -v27
	v_add_f32_e32 v1, v1, v42
	v_add_f32_e32 v2, v2, v8
	v_fmac_f32_e32 v44, v17, v35
	v_add_f32_e32 v1, v1, v43
	v_add_f32_e32 v2, v2, v9
	;; [unrolled: 1-line block ×3, first 2 shown]
	s_waitcnt vmcnt(1)
	v_sub_f32_e32 v2, v36, v2
	s_waitcnt vmcnt(0)
	v_sub_f32_e32 v1, v37, v1
	buffer_store_dword v2, off, s[0:3], 0 offset:416
	buffer_store_dword v1, off, s[0:3], 0 offset:420
	s_and_saveexec_b64 s[4:5], vcc
	s_cbranch_execz .LBB124_277
; %bb.276:
	buffer_load_dword v1, off, s[0:3], 0 offset:408
	buffer_load_dword v2, off, s[0:3], 0 offset:412
	v_mov_b32_e32 v3, 0
	buffer_store_dword v3, off, s[0:3], 0 offset:408
	buffer_store_dword v3, off, s[0:3], 0 offset:412
	s_waitcnt vmcnt(2)
	ds_write_b64 v147, v[1:2]
.LBB124_277:
	s_or_b64 exec, exec, s[4:5]
	s_waitcnt lgkmcnt(0)
	; wave barrier
	buffer_load_dword v20, off, s[0:3], 0 offset:420
	buffer_load_dword v21, off, s[0:3], 0 offset:428
	;; [unrolled: 1-line block ×20, first 2 shown]
	v_mov_b32_e32 v1, 0
	ds_read_b128 v[2:5], v1 offset:912
	ds_read_b128 v[6:9], v1 offset:928
	;; [unrolled: 1-line block ×4, first 2 shown]
	ds_read_b64 v[18:19], v1 offset:976
	v_cmp_lt_u32_e32 vcc, 50, v0
	s_waitcnt vmcnt(19) lgkmcnt(4)
	v_mul_f32_e32 v42, v2, v20
	v_mul_f32_e32 v20, v3, v20
	s_waitcnt vmcnt(18)
	v_mul_f32_e32 v43, v4, v21
	v_mul_f32_e32 v21, v5, v21
	s_waitcnt vmcnt(17) lgkmcnt(3)
	v_mul_f32_e32 v44, v6, v22
	s_waitcnt vmcnt(15) lgkmcnt(2)
	v_mul_f32_e32 v46, v10, v24
	v_mul_f32_e32 v22, v7, v22
	;; [unrolled: 1-line block ×4, first 2 shown]
	s_waitcnt vmcnt(10)
	v_fma_f32 v2, v2, v31, -v20
	v_fmac_f32_e32 v42, v3, v31
	s_waitcnt vmcnt(9)
	v_fma_f32 v3, v4, v32, -v21
	v_add_f32_e32 v2, 0, v2
	v_mul_f32_e32 v24, v11, v24
	v_fmac_f32_e32 v43, v5, v32
	s_waitcnt vmcnt(6)
	v_fmac_f32_e32 v46, v11, v35
	v_fma_f32 v4, v6, v33, -v22
	v_add_f32_e32 v11, 0, v42
	v_add_f32_e32 v2, v2, v3
	v_fmac_f32_e32 v44, v7, v33
	v_fma_f32 v5, v8, v34, -v23
	v_add_f32_e32 v11, v11, v43
	v_add_f32_e32 v2, v2, v4
	v_mul_f32_e32 v47, v12, v27
	v_mul_f32_e32 v27, v13, v27
	v_fmac_f32_e32 v45, v9, v34
	v_fma_f32 v6, v10, v35, -v24
	v_add_f32_e32 v3, v11, v44
	v_add_f32_e32 v2, v2, v5
	s_waitcnt lgkmcnt(1)
	v_mul_f32_e32 v48, v14, v28
	v_mul_f32_e32 v28, v15, v28
	s_waitcnt vmcnt(5)
	v_fma_f32 v7, v12, v36, -v27
	v_add_f32_e32 v3, v3, v45
	v_add_f32_e32 v2, v2, v6
	v_mul_f32_e32 v49, v16, v29
	v_mul_f32_e32 v29, v17, v29
	v_fmac_f32_e32 v47, v13, v36
	s_waitcnt vmcnt(4)
	v_fma_f32 v8, v14, v37, -v28
	v_add_f32_e32 v3, v3, v46
	v_add_f32_e32 v2, v2, v7
	s_waitcnt lgkmcnt(0)
	v_mul_f32_e32 v50, v18, v30
	v_mul_f32_e32 v30, v19, v30
	v_fmac_f32_e32 v48, v15, v37
	s_waitcnt vmcnt(3)
	v_fma_f32 v9, v16, v38, -v29
	v_add_f32_e32 v3, v3, v47
	v_add_f32_e32 v2, v2, v8
	v_fmac_f32_e32 v49, v17, v38
	s_waitcnt vmcnt(2)
	v_fma_f32 v10, v18, v39, -v30
	v_add_f32_e32 v3, v3, v48
	v_add_f32_e32 v2, v2, v9
	v_fmac_f32_e32 v50, v19, v39
	v_add_f32_e32 v3, v3, v49
	v_add_f32_e32 v2, v2, v10
	;; [unrolled: 1-line block ×3, first 2 shown]
	s_waitcnt vmcnt(1)
	v_sub_f32_e32 v2, v40, v2
	s_waitcnt vmcnt(0)
	v_sub_f32_e32 v3, v41, v3
	buffer_store_dword v2, off, s[0:3], 0 offset:408
	buffer_store_dword v3, off, s[0:3], 0 offset:412
	s_and_saveexec_b64 s[4:5], vcc
	s_cbranch_execz .LBB124_279
; %bb.278:
	buffer_load_dword v2, off, s[0:3], 0 offset:400
	buffer_load_dword v3, off, s[0:3], 0 offset:404
	s_waitcnt vmcnt(0)
	ds_write_b64 v147, v[2:3]
	buffer_store_dword v1, off, s[0:3], 0 offset:400
	buffer_store_dword v1, off, s[0:3], 0 offset:404
.LBB124_279:
	s_or_b64 exec, exec, s[4:5]
	s_waitcnt lgkmcnt(0)
	; wave barrier
	buffer_load_dword v22, off, s[0:3], 0 offset:412
	buffer_load_dword v23, off, s[0:3], 0 offset:420
	;; [unrolled: 1-line block ×22, first 2 shown]
	ds_read2_b64 v[2:5], v1 offset0:113 offset1:114
	ds_read2_b64 v[6:9], v1 offset0:115 offset1:116
	;; [unrolled: 1-line block ×5, first 2 shown]
	v_cmp_lt_u32_e32 vcc, 49, v0
	s_waitcnt vmcnt(21) lgkmcnt(4)
	v_mul_f32_e32 v1, v2, v22
	v_mul_f32_e32 v22, v3, v22
	s_waitcnt vmcnt(20)
	v_mul_f32_e32 v46, v4, v23
	v_mul_f32_e32 v23, v5, v23
	s_waitcnt vmcnt(19) lgkmcnt(3)
	v_mul_f32_e32 v47, v6, v24
	v_mul_f32_e32 v24, v7, v24
	s_waitcnt vmcnt(18)
	v_mul_f32_e32 v48, v8, v27
	v_mul_f32_e32 v27, v9, v27
	s_waitcnt vmcnt(17) lgkmcnt(2)
	v_mul_f32_e32 v49, v10, v28
	v_mul_f32_e32 v28, v11, v28
	s_waitcnt vmcnt(11)
	v_fma_f32 v2, v2, v34, -v22
	v_fmac_f32_e32 v1, v3, v34
	s_waitcnt vmcnt(10)
	v_fma_f32 v3, v4, v35, -v23
	v_add_f32_e32 v2, 0, v2
	v_fmac_f32_e32 v46, v5, v35
	s_waitcnt vmcnt(9)
	v_fma_f32 v4, v6, v36, -v24
	v_add_f32_e32 v1, 0, v1
	v_add_f32_e32 v2, v2, v3
	v_fmac_f32_e32 v47, v7, v36
	s_waitcnt vmcnt(8)
	v_fma_f32 v5, v8, v37, -v27
	v_add_f32_e32 v1, v1, v46
	v_add_f32_e32 v2, v2, v4
	v_mul_f32_e32 v50, v12, v29
	v_mul_f32_e32 v29, v13, v29
	v_fmac_f32_e32 v48, v9, v37
	s_waitcnt vmcnt(7)
	v_fma_f32 v6, v10, v38, -v28
	v_add_f32_e32 v1, v1, v47
	v_add_f32_e32 v2, v2, v5
	s_waitcnt lgkmcnt(1)
	v_mul_f32_e32 v51, v14, v30
	v_mul_f32_e32 v30, v15, v30
	v_fmac_f32_e32 v49, v11, v38
	s_waitcnt vmcnt(6)
	v_fma_f32 v7, v12, v39, -v29
	v_add_f32_e32 v1, v1, v48
	v_add_f32_e32 v2, v2, v6
	v_mul_f32_e32 v52, v16, v31
	v_mul_f32_e32 v31, v17, v31
	v_fmac_f32_e32 v50, v13, v39
	s_waitcnt vmcnt(5)
	v_fma_f32 v8, v14, v40, -v30
	v_add_f32_e32 v1, v1, v49
	v_add_f32_e32 v2, v2, v7
	s_waitcnt lgkmcnt(0)
	v_mul_f32_e32 v53, v18, v32
	v_mul_f32_e32 v32, v19, v32
	v_fmac_f32_e32 v51, v15, v40
	s_waitcnt vmcnt(4)
	v_fma_f32 v9, v16, v41, -v31
	v_add_f32_e32 v1, v1, v50
	v_add_f32_e32 v2, v2, v8
	v_mul_f32_e32 v54, v20, v33
	v_mul_f32_e32 v33, v21, v33
	v_fmac_f32_e32 v52, v17, v41
	s_waitcnt vmcnt(3)
	v_fma_f32 v10, v18, v42, -v32
	v_add_f32_e32 v1, v1, v51
	v_add_f32_e32 v2, v2, v9
	v_fmac_f32_e32 v53, v19, v42
	s_waitcnt vmcnt(2)
	v_fma_f32 v11, v20, v43, -v33
	v_add_f32_e32 v1, v1, v52
	v_add_f32_e32 v2, v2, v10
	v_fmac_f32_e32 v54, v21, v43
	v_add_f32_e32 v1, v1, v53
	v_add_f32_e32 v2, v2, v11
	;; [unrolled: 1-line block ×3, first 2 shown]
	s_waitcnt vmcnt(1)
	v_sub_f32_e32 v2, v44, v2
	s_waitcnt vmcnt(0)
	v_sub_f32_e32 v1, v45, v1
	buffer_store_dword v2, off, s[0:3], 0 offset:400
	buffer_store_dword v1, off, s[0:3], 0 offset:404
	s_and_saveexec_b64 s[4:5], vcc
	s_cbranch_execz .LBB124_281
; %bb.280:
	buffer_load_dword v1, off, s[0:3], 0 offset:392
	buffer_load_dword v2, off, s[0:3], 0 offset:396
	v_mov_b32_e32 v3, 0
	buffer_store_dword v3, off, s[0:3], 0 offset:392
	buffer_store_dword v3, off, s[0:3], 0 offset:396
	s_waitcnt vmcnt(2)
	ds_write_b64 v147, v[1:2]
.LBB124_281:
	s_or_b64 exec, exec, s[4:5]
	s_waitcnt lgkmcnt(0)
	; wave barrier
	buffer_load_dword v24, off, s[0:3], 0 offset:404
	buffer_load_dword v27, off, s[0:3], 0 offset:412
	;; [unrolled: 1-line block ×24, first 2 shown]
	v_mov_b32_e32 v1, 0
	ds_read_b128 v[2:5], v1 offset:896
	ds_read_b128 v[6:9], v1 offset:912
	;; [unrolled: 1-line block ×5, first 2 shown]
	ds_read_b64 v[22:23], v1 offset:976
	v_cmp_lt_u32_e32 vcc, 48, v0
	s_waitcnt vmcnt(23) lgkmcnt(5)
	v_mul_f32_e32 v50, v2, v24
	v_mul_f32_e32 v24, v3, v24
	s_waitcnt vmcnt(22)
	v_mul_f32_e32 v51, v4, v27
	v_mul_f32_e32 v27, v5, v27
	s_waitcnt vmcnt(21) lgkmcnt(4)
	v_mul_f32_e32 v52, v6, v28
	v_mul_f32_e32 v28, v7, v28
	s_waitcnt vmcnt(20)
	v_mul_f32_e32 v53, v8, v29
	s_waitcnt vmcnt(19) lgkmcnt(3)
	v_mul_f32_e32 v54, v10, v30
	v_mul_f32_e32 v29, v9, v29
	;; [unrolled: 1-line block ×3, first 2 shown]
	s_waitcnt vmcnt(18)
	v_mul_f32_e32 v55, v12, v31
	s_waitcnt vmcnt(12)
	v_fma_f32 v2, v2, v37, -v24
	v_fmac_f32_e32 v50, v3, v37
	s_waitcnt vmcnt(11)
	v_fma_f32 v3, v4, v38, -v27
	v_add_f32_e32 v2, 0, v2
	s_waitcnt vmcnt(10)
	v_fma_f32 v4, v6, v39, -v28
	v_add_f32_e32 v2, v2, v3
	v_fmac_f32_e32 v51, v5, v38
	s_waitcnt vmcnt(8)
	v_fmac_f32_e32 v54, v11, v41
	v_fma_f32 v5, v8, v40, -v29
	v_add_f32_e32 v11, 0, v50
	v_add_f32_e32 v2, v2, v4
	v_mul_f32_e32 v31, v13, v31
	v_fmac_f32_e32 v52, v7, v39
	v_fma_f32 v6, v10, v41, -v30
	v_add_f32_e32 v11, v11, v51
	v_add_f32_e32 v2, v2, v5
	s_waitcnt lgkmcnt(2)
	v_mul_f32_e32 v56, v14, v32
	v_mul_f32_e32 v32, v15, v32
	v_fmac_f32_e32 v53, v9, v40
	s_waitcnt vmcnt(7)
	v_fma_f32 v7, v12, v42, -v31
	v_add_f32_e32 v3, v11, v52
	v_add_f32_e32 v2, v2, v6
	v_mul_f32_e32 v57, v16, v33
	v_mul_f32_e32 v33, v17, v33
	s_waitcnt vmcnt(6)
	v_fma_f32 v8, v14, v43, -v32
	v_add_f32_e32 v3, v3, v53
	v_add_f32_e32 v2, v2, v7
	s_waitcnt lgkmcnt(1)
	v_mul_f32_e32 v58, v18, v34
	v_mul_f32_e32 v34, v19, v34
	v_fmac_f32_e32 v55, v13, v42
	s_waitcnt vmcnt(5)
	v_fma_f32 v9, v16, v44, -v33
	v_add_f32_e32 v3, v3, v54
	v_add_f32_e32 v2, v2, v8
	v_fmac_f32_e32 v56, v15, v43
	s_waitcnt vmcnt(4)
	v_fma_f32 v10, v18, v45, -v34
	v_add_f32_e32 v3, v3, v55
	v_add_f32_e32 v2, v2, v9
	v_mul_f32_e32 v4, v21, v35
	v_fmac_f32_e32 v57, v17, v44
	v_add_f32_e32 v3, v3, v56
	v_add_f32_e32 v2, v2, v10
	s_waitcnt vmcnt(3)
	v_fma_f32 v4, v20, v46, -v4
	v_mul_f32_e32 v59, v20, v35
	v_fmac_f32_e32 v58, v19, v45
	v_add_f32_e32 v3, v3, v57
	v_add_f32_e32 v2, v2, v4
	s_waitcnt lgkmcnt(0)
	v_mul_f32_e32 v4, v23, v36
	v_mul_f32_e32 v60, v22, v36
	v_fmac_f32_e32 v59, v21, v46
	v_add_f32_e32 v3, v3, v58
	s_waitcnt vmcnt(2)
	v_fma_f32 v4, v22, v47, -v4
	v_fmac_f32_e32 v60, v23, v47
	v_add_f32_e32 v3, v3, v59
	v_add_f32_e32 v2, v2, v4
	;; [unrolled: 1-line block ×3, first 2 shown]
	s_waitcnt vmcnt(1)
	v_sub_f32_e32 v2, v48, v2
	s_waitcnt vmcnt(0)
	v_sub_f32_e32 v3, v49, v3
	buffer_store_dword v2, off, s[0:3], 0 offset:392
	buffer_store_dword v3, off, s[0:3], 0 offset:396
	s_and_saveexec_b64 s[4:5], vcc
	s_cbranch_execz .LBB124_283
; %bb.282:
	buffer_load_dword v2, off, s[0:3], 0 offset:384
	buffer_load_dword v3, off, s[0:3], 0 offset:388
	s_waitcnt vmcnt(0)
	ds_write_b64 v147, v[2:3]
	buffer_store_dword v1, off, s[0:3], 0 offset:384
	buffer_store_dword v1, off, s[0:3], 0 offset:388
.LBB124_283:
	s_or_b64 exec, exec, s[4:5]
	s_waitcnt lgkmcnt(0)
	; wave barrier
	buffer_load_dword v22, off, s[0:3], 0 offset:396
	buffer_load_dword v23, off, s[0:3], 0 offset:404
	;; [unrolled: 1-line block ×26, first 2 shown]
	ds_read2_b64 v[2:5], v1 offset0:111 offset1:112
	ds_read2_b64 v[6:9], v1 offset0:113 offset1:114
	;; [unrolled: 1-line block ×6, first 2 shown]
	v_cmp_lt_u32_e32 vcc, 47, v0
	s_waitcnt vmcnt(25) lgkmcnt(5)
	v_mul_f32_e32 v1, v2, v22
	v_mul_f32_e32 v22, v3, v22
	s_waitcnt vmcnt(24)
	v_mul_f32_e32 v50, v4, v23
	v_mul_f32_e32 v23, v5, v23
	s_waitcnt vmcnt(23) lgkmcnt(4)
	v_mul_f32_e32 v51, v6, v24
	v_mul_f32_e32 v24, v7, v24
	s_waitcnt vmcnt(22)
	v_mul_f32_e32 v52, v8, v27
	v_mul_f32_e32 v27, v9, v27
	;; [unrolled: 6-line block ×3, first 2 shown]
	s_waitcnt vmcnt(13)
	v_fma_f32 v2, v2, v36, -v22
	v_fmac_f32_e32 v1, v3, v36
	s_waitcnt vmcnt(12)
	v_fma_f32 v3, v4, v37, -v23
	v_add_f32_e32 v2, 0, v2
	s_waitcnt vmcnt(11)
	v_fma_f32 v4, v6, v38, -v24
	v_add_f32_e32 v2, v2, v3
	v_fmac_f32_e32 v50, v5, v37
	s_waitcnt vmcnt(10)
	v_fma_f32 v5, v8, v39, -v27
	v_add_f32_e32 v2, v2, v4
	s_waitcnt vmcnt(9)
	v_fma_f32 v6, v10, v40, -v28
	v_add_f32_e32 v2, v2, v5
	s_waitcnt lgkmcnt(2)
	v_mul_f32_e32 v55, v14, v30
	v_mul_f32_e32 v30, v15, v30
	v_fmac_f32_e32 v51, v7, v38
	s_waitcnt vmcnt(8)
	v_fma_f32 v7, v12, v41, -v29
	v_add_f32_e32 v1, 0, v1
	v_add_f32_e32 v2, v2, v6
	v_mul_f32_e32 v56, v16, v31
	v_mul_f32_e32 v31, v17, v31
	s_waitcnt vmcnt(7)
	v_fma_f32 v8, v14, v42, -v30
	v_add_f32_e32 v1, v1, v50
	v_add_f32_e32 v2, v2, v7
	v_fmac_f32_e32 v52, v9, v39
	s_waitcnt vmcnt(6)
	v_fma_f32 v9, v16, v43, -v31
	v_add_f32_e32 v1, v1, v51
	v_add_f32_e32 v2, v2, v8
	s_waitcnt lgkmcnt(1)
	v_mul_f32_e32 v3, v19, v32
	v_fmac_f32_e32 v53, v11, v40
	v_add_f32_e32 v1, v1, v52
	v_add_f32_e32 v2, v2, v9
	s_waitcnt vmcnt(5)
	v_fma_f32 v3, v18, v44, -v3
	v_fmac_f32_e32 v54, v13, v41
	v_add_f32_e32 v1, v1, v53
	v_add_f32_e32 v2, v2, v3
	v_mul_f32_e32 v3, v21, v33
	v_fmac_f32_e32 v55, v15, v42
	v_add_f32_e32 v1, v1, v54
	s_waitcnt vmcnt(4)
	v_fma_f32 v3, v20, v45, -v3
	v_mul_f32_e32 v57, v18, v32
	v_fmac_f32_e32 v56, v17, v43
	v_add_f32_e32 v1, v1, v55
	v_add_f32_e32 v2, v2, v3
	s_waitcnt lgkmcnt(0)
	v_mul_f32_e32 v3, v149, v34
	v_mul_f32_e32 v58, v20, v33
	v_fmac_f32_e32 v57, v19, v44
	v_add_f32_e32 v1, v1, v56
	s_waitcnt vmcnt(3)
	v_fma_f32 v3, v148, v46, -v3
	v_mul_f32_e32 v59, v148, v34
	v_fmac_f32_e32 v58, v21, v45
	v_add_f32_e32 v1, v1, v57
	v_add_f32_e32 v2, v2, v3
	v_mul_f32_e32 v3, v151, v35
	v_mul_f32_e32 v60, v150, v35
	v_fmac_f32_e32 v59, v149, v46
	v_add_f32_e32 v1, v1, v58
	s_waitcnt vmcnt(2)
	v_fma_f32 v3, v150, v47, -v3
	v_fmac_f32_e32 v60, v151, v47
	v_add_f32_e32 v1, v1, v59
	v_add_f32_e32 v2, v2, v3
	;; [unrolled: 1-line block ×3, first 2 shown]
	s_waitcnt vmcnt(1)
	v_sub_f32_e32 v2, v48, v2
	s_waitcnt vmcnt(0)
	v_sub_f32_e32 v1, v49, v1
	buffer_store_dword v2, off, s[0:3], 0 offset:384
	buffer_store_dword v1, off, s[0:3], 0 offset:388
	s_and_saveexec_b64 s[4:5], vcc
	s_cbranch_execz .LBB124_285
; %bb.284:
	buffer_load_dword v1, off, s[0:3], 0 offset:376
	buffer_load_dword v2, off, s[0:3], 0 offset:380
	v_mov_b32_e32 v3, 0
	buffer_store_dword v3, off, s[0:3], 0 offset:376
	buffer_store_dword v3, off, s[0:3], 0 offset:380
	s_waitcnt vmcnt(2)
	ds_write_b64 v147, v[1:2]
.LBB124_285:
	s_or_b64 exec, exec, s[4:5]
	s_waitcnt lgkmcnt(0)
	; wave barrier
	buffer_load_dword v24, off, s[0:3], 0 offset:388
	buffer_load_dword v27, off, s[0:3], 0 offset:396
	;; [unrolled: 1-line block ×28, first 2 shown]
	v_mov_b32_e32 v1, 0
	ds_read_b128 v[2:5], v1 offset:880
	ds_read_b128 v[6:9], v1 offset:896
	;; [unrolled: 1-line block ×6, first 2 shown]
	ds_read_b64 v[22:23], v1 offset:976
	v_cmp_lt_u32_e32 vcc, 46, v0
	s_waitcnt vmcnt(27) lgkmcnt(6)
	v_mul_f32_e32 v54, v2, v24
	v_mul_f32_e32 v24, v3, v24
	s_waitcnt vmcnt(26)
	v_mul_f32_e32 v55, v4, v27
	v_mul_f32_e32 v27, v5, v27
	s_waitcnt vmcnt(25) lgkmcnt(5)
	v_mul_f32_e32 v56, v6, v28
	v_mul_f32_e32 v28, v7, v28
	s_waitcnt vmcnt(24)
	v_mul_f32_e32 v57, v8, v29
	v_mul_f32_e32 v29, v9, v29
	;; [unrolled: 6-line block ×3, first 2 shown]
	s_waitcnt vmcnt(21) lgkmcnt(3)
	v_mul_f32_e32 v60, v14, v32
	s_waitcnt vmcnt(14)
	v_fma_f32 v2, v2, v39, -v24
	v_fmac_f32_e32 v54, v3, v39
	s_waitcnt vmcnt(13)
	v_fma_f32 v3, v4, v40, -v27
	v_add_f32_e32 v2, 0, v2
	s_waitcnt vmcnt(12)
	v_fma_f32 v4, v6, v41, -v28
	v_add_f32_e32 v2, v2, v3
	v_fmac_f32_e32 v55, v5, v40
	s_waitcnt vmcnt(11)
	v_fma_f32 v5, v8, v42, -v29
	v_add_f32_e32 v2, v2, v4
	s_waitcnt vmcnt(10)
	v_fma_f32 v6, v10, v43, -v30
	v_add_f32_e32 v2, v2, v5
	v_fmac_f32_e32 v56, v7, v41
	s_waitcnt vmcnt(9)
	v_fma_f32 v7, v12, v44, -v31
	v_add_f32_e32 v2, v2, v6
	v_mul_f32_e32 v4, v15, v32
	v_add_f32_e32 v2, v2, v7
	s_waitcnt vmcnt(8)
	v_fma_f32 v4, v14, v45, -v4
	v_add_f32_e32 v2, v2, v4
	v_mul_f32_e32 v4, v17, v33
	v_add_f32_e32 v8, 0, v54
	s_waitcnt vmcnt(7)
	v_fma_f32 v4, v16, v46, -v4
	v_add_f32_e32 v8, v8, v55
	v_add_f32_e32 v2, v2, v4
	s_waitcnt lgkmcnt(2)
	v_mul_f32_e32 v4, v19, v34
	v_fmac_f32_e32 v57, v9, v42
	v_add_f32_e32 v3, v8, v56
	s_waitcnt vmcnt(6)
	v_fma_f32 v4, v18, v47, -v4
	v_fmac_f32_e32 v58, v11, v43
	v_add_f32_e32 v3, v3, v57
	v_add_f32_e32 v2, v2, v4
	v_mul_f32_e32 v4, v21, v35
	v_fmac_f32_e32 v59, v13, v44
	v_add_f32_e32 v3, v3, v58
	s_waitcnt vmcnt(5)
	v_fma_f32 v4, v20, v48, -v4
	v_mul_f32_e32 v61, v16, v33
	v_fmac_f32_e32 v60, v15, v45
	v_add_f32_e32 v3, v3, v59
	v_add_f32_e32 v2, v2, v4
	s_waitcnt lgkmcnt(1)
	v_mul_f32_e32 v4, v149, v36
	v_mul_f32_e32 v62, v18, v34
	v_fmac_f32_e32 v61, v17, v46
	v_add_f32_e32 v3, v3, v60
	s_waitcnt vmcnt(4)
	v_fma_f32 v4, v148, v49, -v4
	v_mul_f32_e32 v63, v20, v35
	v_fmac_f32_e32 v62, v19, v47
	v_add_f32_e32 v3, v3, v61
	v_add_f32_e32 v2, v2, v4
	v_mul_f32_e32 v4, v151, v37
	v_mul_f32_e32 v64, v148, v36
	v_fmac_f32_e32 v63, v21, v48
	v_add_f32_e32 v3, v3, v62
	s_waitcnt vmcnt(3)
	v_fma_f32 v4, v150, v50, -v4
	v_mul_f32_e32 v65, v150, v37
	v_fmac_f32_e32 v64, v149, v49
	v_add_f32_e32 v3, v3, v63
	v_add_f32_e32 v2, v2, v4
	s_waitcnt lgkmcnt(0)
	v_mul_f32_e32 v4, v23, v38
	v_mul_f32_e32 v66, v22, v38
	v_fmac_f32_e32 v65, v151, v50
	v_add_f32_e32 v3, v3, v64
	s_waitcnt vmcnt(2)
	v_fma_f32 v4, v22, v51, -v4
	v_fmac_f32_e32 v66, v23, v51
	v_add_f32_e32 v3, v3, v65
	v_add_f32_e32 v2, v2, v4
	;; [unrolled: 1-line block ×3, first 2 shown]
	s_waitcnt vmcnt(1)
	v_sub_f32_e32 v2, v52, v2
	s_waitcnt vmcnt(0)
	v_sub_f32_e32 v3, v53, v3
	buffer_store_dword v2, off, s[0:3], 0 offset:376
	buffer_store_dword v3, off, s[0:3], 0 offset:380
	s_and_saveexec_b64 s[4:5], vcc
	s_cbranch_execz .LBB124_287
; %bb.286:
	buffer_load_dword v2, off, s[0:3], 0 offset:368
	buffer_load_dword v3, off, s[0:3], 0 offset:372
	s_waitcnt vmcnt(0)
	ds_write_b64 v147, v[2:3]
	buffer_store_dword v1, off, s[0:3], 0 offset:368
	buffer_store_dword v1, off, s[0:3], 0 offset:372
.LBB124_287:
	s_or_b64 exec, exec, s[4:5]
	s_waitcnt lgkmcnt(0)
	; wave barrier
	buffer_load_dword v22, off, s[0:3], 0 offset:380
	buffer_load_dword v23, off, s[0:3], 0 offset:388
	buffer_load_dword v24, off, s[0:3], 0 offset:396
	buffer_load_dword v27, off, s[0:3], 0 offset:404
	buffer_load_dword v28, off, s[0:3], 0 offset:412
	buffer_load_dword v29, off, s[0:3], 0 offset:420
	buffer_load_dword v30, off, s[0:3], 0 offset:428
	buffer_load_dword v31, off, s[0:3], 0 offset:436
	buffer_load_dword v32, off, s[0:3], 0 offset:444
	buffer_load_dword v33, off, s[0:3], 0 offset:452
	buffer_load_dword v34, off, s[0:3], 0 offset:460
	buffer_load_dword v35, off, s[0:3], 0 offset:468
	buffer_load_dword v36, off, s[0:3], 0 offset:476
	buffer_load_dword v37, off, s[0:3], 0 offset:484
	buffer_load_dword v38, off, s[0:3], 0 offset:376
	buffer_load_dword v39, off, s[0:3], 0 offset:384
	buffer_load_dword v40, off, s[0:3], 0 offset:392
	buffer_load_dword v41, off, s[0:3], 0 offset:400
	buffer_load_dword v42, off, s[0:3], 0 offset:408
	buffer_load_dword v43, off, s[0:3], 0 offset:416
	buffer_load_dword v44, off, s[0:3], 0 offset:424
	buffer_load_dword v45, off, s[0:3], 0 offset:432
	buffer_load_dword v46, off, s[0:3], 0 offset:440
	buffer_load_dword v47, off, s[0:3], 0 offset:448
	buffer_load_dword v48, off, s[0:3], 0 offset:456
	buffer_load_dword v49, off, s[0:3], 0 offset:464
	buffer_load_dword v50, off, s[0:3], 0 offset:472
	buffer_load_dword v51, off, s[0:3], 0 offset:480
	buffer_load_dword v52, off, s[0:3], 0 offset:368
	buffer_load_dword v53, off, s[0:3], 0 offset:372
	ds_read2_b64 v[2:5], v1 offset0:109 offset1:110
	ds_read2_b64 v[6:9], v1 offset0:111 offset1:112
	ds_read2_b64 v[10:13], v1 offset0:113 offset1:114
	ds_read2_b64 v[14:17], v1 offset0:115 offset1:116
	ds_read2_b64 v[18:21], v1 offset0:117 offset1:118
	ds_read2_b64 v[148:151], v1 offset0:119 offset1:120
	ds_read2_b64 v[152:155], v1 offset0:121 offset1:122
	v_cmp_lt_u32_e32 vcc, 45, v0
	s_waitcnt vmcnt(29) lgkmcnt(6)
	v_mul_f32_e32 v1, v2, v22
	v_mul_f32_e32 v22, v3, v22
	s_waitcnt vmcnt(28)
	v_mul_f32_e32 v54, v4, v23
	v_mul_f32_e32 v23, v5, v23
	s_waitcnt vmcnt(27) lgkmcnt(5)
	v_mul_f32_e32 v55, v6, v24
	v_mul_f32_e32 v24, v7, v24
	s_waitcnt vmcnt(26)
	v_mul_f32_e32 v56, v8, v27
	v_mul_f32_e32 v27, v9, v27
	s_waitcnt vmcnt(25) lgkmcnt(4)
	v_mul_f32_e32 v57, v10, v28
	v_mul_f32_e32 v28, v11, v28
	s_waitcnt vmcnt(24)
	v_mul_f32_e32 v58, v12, v29
	s_waitcnt vmcnt(23) lgkmcnt(3)
	v_mul_f32_e32 v59, v14, v30
	s_waitcnt vmcnt(22)
	v_mul_f32_e32 v60, v16, v31
	s_waitcnt vmcnt(21) lgkmcnt(2)
	v_mul_f32_e32 v61, v18, v32
	s_waitcnt vmcnt(15)
	v_fma_f32 v2, v2, v38, -v22
	v_fmac_f32_e32 v1, v3, v38
	s_waitcnt vmcnt(14)
	v_fma_f32 v3, v4, v39, -v23
	v_add_f32_e32 v2, 0, v2
	s_waitcnt vmcnt(13)
	v_fma_f32 v4, v6, v40, -v24
	v_add_f32_e32 v2, v2, v3
	v_fmac_f32_e32 v54, v5, v39
	s_waitcnt vmcnt(12)
	v_fma_f32 v5, v8, v41, -v27
	v_add_f32_e32 v2, v2, v4
	s_waitcnt vmcnt(11)
	v_fma_f32 v6, v10, v42, -v28
	v_add_f32_e32 v2, v2, v5
	v_mul_f32_e32 v3, v13, v29
	v_add_f32_e32 v2, v2, v6
	s_waitcnt vmcnt(10)
	v_fma_f32 v3, v12, v43, -v3
	v_add_f32_e32 v2, v2, v3
	v_mul_f32_e32 v3, v15, v30
	s_waitcnt vmcnt(9)
	v_fma_f32 v3, v14, v44, -v3
	v_add_f32_e32 v2, v2, v3
	v_mul_f32_e32 v3, v17, v31
	s_waitcnt vmcnt(8)
	v_fma_f32 v3, v16, v45, -v3
	v_add_f32_e32 v1, 0, v1
	v_add_f32_e32 v2, v2, v3
	v_mul_f32_e32 v3, v19, v32
	v_fmac_f32_e32 v55, v7, v40
	v_add_f32_e32 v1, v1, v54
	s_waitcnt vmcnt(7)
	v_fma_f32 v3, v18, v46, -v3
	v_fmac_f32_e32 v56, v9, v41
	v_add_f32_e32 v1, v1, v55
	v_add_f32_e32 v2, v2, v3
	v_mul_f32_e32 v3, v21, v33
	v_fmac_f32_e32 v57, v11, v42
	v_add_f32_e32 v1, v1, v56
	s_waitcnt vmcnt(6)
	v_fma_f32 v3, v20, v47, -v3
	v_fmac_f32_e32 v58, v13, v43
	v_add_f32_e32 v1, v1, v57
	v_add_f32_e32 v2, v2, v3
	s_waitcnt lgkmcnt(1)
	v_mul_f32_e32 v3, v149, v34
	v_fmac_f32_e32 v59, v15, v44
	v_add_f32_e32 v1, v1, v58
	s_waitcnt vmcnt(5)
	v_fma_f32 v3, v148, v48, -v3
	v_fmac_f32_e32 v60, v17, v45
	v_add_f32_e32 v1, v1, v59
	v_add_f32_e32 v2, v2, v3
	v_mul_f32_e32 v3, v151, v35
	v_mul_f32_e32 v62, v20, v33
	v_fmac_f32_e32 v61, v19, v46
	v_add_f32_e32 v1, v1, v60
	s_waitcnt vmcnt(4)
	v_fma_f32 v3, v150, v49, -v3
	v_mul_f32_e32 v63, v148, v34
	v_fmac_f32_e32 v62, v21, v47
	v_add_f32_e32 v1, v1, v61
	v_add_f32_e32 v2, v2, v3
	s_waitcnt lgkmcnt(0)
	v_mul_f32_e32 v3, v153, v36
	v_mul_f32_e32 v64, v150, v35
	v_fmac_f32_e32 v63, v149, v48
	v_add_f32_e32 v1, v1, v62
	s_waitcnt vmcnt(3)
	v_fma_f32 v3, v152, v50, -v3
	v_mul_f32_e32 v65, v152, v36
	v_fmac_f32_e32 v64, v151, v49
	v_add_f32_e32 v1, v1, v63
	v_add_f32_e32 v2, v2, v3
	v_mul_f32_e32 v3, v155, v37
	v_mul_f32_e32 v66, v154, v37
	v_fmac_f32_e32 v65, v153, v50
	v_add_f32_e32 v1, v1, v64
	s_waitcnt vmcnt(2)
	v_fma_f32 v3, v154, v51, -v3
	v_fmac_f32_e32 v66, v155, v51
	v_add_f32_e32 v1, v1, v65
	v_add_f32_e32 v2, v2, v3
	;; [unrolled: 1-line block ×3, first 2 shown]
	s_waitcnt vmcnt(1)
	v_sub_f32_e32 v2, v52, v2
	s_waitcnt vmcnt(0)
	v_sub_f32_e32 v1, v53, v1
	buffer_store_dword v2, off, s[0:3], 0 offset:368
	buffer_store_dword v1, off, s[0:3], 0 offset:372
	s_and_saveexec_b64 s[4:5], vcc
	s_cbranch_execz .LBB124_289
; %bb.288:
	buffer_load_dword v1, off, s[0:3], 0 offset:360
	buffer_load_dword v2, off, s[0:3], 0 offset:364
	v_mov_b32_e32 v3, 0
	buffer_store_dword v3, off, s[0:3], 0 offset:360
	buffer_store_dword v3, off, s[0:3], 0 offset:364
	s_waitcnt vmcnt(2)
	ds_write_b64 v147, v[1:2]
.LBB124_289:
	s_or_b64 exec, exec, s[4:5]
	s_waitcnt lgkmcnt(0)
	; wave barrier
	buffer_load_dword v24, off, s[0:3], 0 offset:372
	buffer_load_dword v27, off, s[0:3], 0 offset:380
	;; [unrolled: 1-line block ×32, first 2 shown]
	v_mov_b32_e32 v1, 0
	ds_read_b128 v[2:5], v1 offset:864
	ds_read_b128 v[6:9], v1 offset:880
	;; [unrolled: 1-line block ×7, first 2 shown]
	ds_read_b64 v[22:23], v1 offset:976
	v_cmp_lt_u32_e32 vcc, 44, v0
	s_waitcnt vmcnt(31) lgkmcnt(7)
	v_mul_f32_e32 v58, v2, v24
	v_mul_f32_e32 v24, v3, v24
	s_waitcnt vmcnt(30)
	v_mul_f32_e32 v59, v4, v27
	v_mul_f32_e32 v27, v5, v27
	s_waitcnt vmcnt(29) lgkmcnt(6)
	v_mul_f32_e32 v60, v6, v28
	v_mul_f32_e32 v28, v7, v28
	s_waitcnt vmcnt(28)
	v_mul_f32_e32 v61, v8, v29
	s_waitcnt vmcnt(27) lgkmcnt(5)
	v_mul_f32_e32 v62, v10, v30
	s_waitcnt vmcnt(26)
	v_mul_f32_e32 v63, v12, v31
	s_waitcnt vmcnt(25) lgkmcnt(4)
	;; [unrolled: 4-line block ×4, first 2 shown]
	v_mul_f32_e32 v68, v148, v36
	s_waitcnt vmcnt(20)
	v_mul_f32_e32 v69, v150, v37
	s_waitcnt vmcnt(16)
	v_fma_f32 v2, v2, v41, -v24
	v_fmac_f32_e32 v58, v3, v41
	s_waitcnt vmcnt(15)
	v_fma_f32 v3, v4, v42, -v27
	v_add_f32_e32 v2, 0, v2
	s_waitcnt vmcnt(14)
	v_fma_f32 v4, v6, v43, -v28
	v_add_f32_e32 v2, v2, v3
	v_add_f32_e32 v2, v2, v4
	v_mul_f32_e32 v4, v9, v29
	s_waitcnt vmcnt(13)
	v_fma_f32 v4, v8, v44, -v4
	v_add_f32_e32 v2, v2, v4
	v_mul_f32_e32 v4, v11, v30
	s_waitcnt vmcnt(12)
	v_fma_f32 v4, v10, v45, -v4
	;; [unrolled: 4-line block ×5, first 2 shown]
	v_add_f32_e32 v2, v2, v4
	v_mul_f32_e32 v4, v19, v34
	v_fmac_f32_e32 v59, v5, v42
	v_add_f32_e32 v5, 0, v58
	s_waitcnt vmcnt(8)
	v_fma_f32 v4, v18, v49, -v4
	v_fmac_f32_e32 v60, v7, v43
	v_add_f32_e32 v5, v5, v59
	v_add_f32_e32 v2, v2, v4
	v_mul_f32_e32 v4, v21, v35
	v_fmac_f32_e32 v61, v9, v44
	v_add_f32_e32 v3, v5, v60
	s_waitcnt vmcnt(7)
	v_fma_f32 v4, v20, v50, -v4
	v_fmac_f32_e32 v62, v11, v45
	v_add_f32_e32 v3, v3, v61
	;; [unrolled: 8-line block ×4, first 2 shown]
	v_add_f32_e32 v2, v2, v4
	s_waitcnt lgkmcnt(1)
	v_mul_f32_e32 v4, v153, v38
	v_fmac_f32_e32 v67, v21, v50
	v_add_f32_e32 v3, v3, v66
	s_waitcnt vmcnt(4)
	v_fma_f32 v4, v152, v53, -v4
	v_fmac_f32_e32 v68, v149, v51
	v_add_f32_e32 v3, v3, v67
	v_add_f32_e32 v2, v2, v4
	v_mul_f32_e32 v4, v155, v39
	v_mul_f32_e32 v70, v152, v38
	v_fmac_f32_e32 v69, v151, v52
	v_add_f32_e32 v3, v3, v68
	s_waitcnt vmcnt(3)
	v_fma_f32 v4, v154, v54, -v4
	v_mul_f32_e32 v156, v154, v39
	v_fmac_f32_e32 v70, v153, v53
	v_add_f32_e32 v3, v3, v69
	v_add_f32_e32 v2, v2, v4
	s_waitcnt lgkmcnt(0)
	v_mul_f32_e32 v4, v23, v40
	v_mul_f32_e32 v157, v22, v40
	v_fmac_f32_e32 v156, v155, v54
	v_add_f32_e32 v3, v3, v70
	s_waitcnt vmcnt(2)
	v_fma_f32 v4, v22, v55, -v4
	v_fmac_f32_e32 v157, v23, v55
	v_add_f32_e32 v3, v3, v156
	v_add_f32_e32 v2, v2, v4
	;; [unrolled: 1-line block ×3, first 2 shown]
	s_waitcnt vmcnt(1)
	v_sub_f32_e32 v2, v56, v2
	s_waitcnt vmcnt(0)
	v_sub_f32_e32 v3, v57, v3
	buffer_store_dword v2, off, s[0:3], 0 offset:360
	buffer_store_dword v3, off, s[0:3], 0 offset:364
	s_and_saveexec_b64 s[4:5], vcc
	s_cbranch_execz .LBB124_291
; %bb.290:
	buffer_load_dword v2, off, s[0:3], 0 offset:352
	buffer_load_dword v3, off, s[0:3], 0 offset:356
	s_waitcnt vmcnt(0)
	ds_write_b64 v147, v[2:3]
	buffer_store_dword v1, off, s[0:3], 0 offset:352
	buffer_store_dword v1, off, s[0:3], 0 offset:356
.LBB124_291:
	s_or_b64 exec, exec, s[4:5]
	s_waitcnt lgkmcnt(0)
	; wave barrier
	buffer_load_dword v22, off, s[0:3], 0 offset:364
	buffer_load_dword v23, off, s[0:3], 0 offset:372
	;; [unrolled: 1-line block ×34, first 2 shown]
	ds_read2_b64 v[2:5], v1 offset0:107 offset1:108
	ds_read2_b64 v[6:9], v1 offset0:109 offset1:110
	;; [unrolled: 1-line block ×8, first 2 shown]
	v_cmp_lt_u32_e32 vcc, 43, v0
	s_waitcnt vmcnt(33) lgkmcnt(7)
	v_mul_f32_e32 v1, v2, v22
	v_mul_f32_e32 v22, v3, v22
	s_waitcnt vmcnt(32)
	v_mul_f32_e32 v58, v4, v23
	v_mul_f32_e32 v23, v5, v23
	s_waitcnt vmcnt(31) lgkmcnt(6)
	v_mul_f32_e32 v59, v6, v24
	s_waitcnt vmcnt(30)
	v_mul_f32_e32 v60, v8, v27
	s_waitcnt vmcnt(29) lgkmcnt(5)
	v_mul_f32_e32 v61, v10, v28
	s_waitcnt vmcnt(28)
	;; [unrolled: 4-line block ×6, first 2 shown]
	v_mul_f32_e32 v70, v154, v37
	s_waitcnt vmcnt(17)
	v_fma_f32 v2, v2, v40, -v22
	v_fmac_f32_e32 v1, v3, v40
	s_waitcnt vmcnt(16)
	v_fma_f32 v3, v4, v41, -v23
	v_add_f32_e32 v2, 0, v2
	v_add_f32_e32 v2, v2, v3
	v_mul_f32_e32 v3, v7, v24
	s_waitcnt vmcnt(15)
	v_fma_f32 v3, v6, v42, -v3
	v_add_f32_e32 v2, v2, v3
	v_mul_f32_e32 v3, v9, v27
	s_waitcnt vmcnt(14)
	v_fma_f32 v3, v8, v43, -v3
	;; [unrolled: 4-line block ×7, first 2 shown]
	v_fmac_f32_e32 v58, v5, v41
	v_add_f32_e32 v1, 0, v1
	v_add_f32_e32 v2, v2, v3
	v_mul_f32_e32 v3, v21, v33
	v_fmac_f32_e32 v59, v7, v42
	v_add_f32_e32 v1, v1, v58
	s_waitcnt vmcnt(8)
	v_fma_f32 v3, v20, v49, -v3
	v_fmac_f32_e32 v60, v9, v43
	v_add_f32_e32 v1, v1, v59
	v_add_f32_e32 v2, v2, v3
	v_mul_f32_e32 v3, v149, v34
	v_fmac_f32_e32 v61, v11, v44
	v_add_f32_e32 v1, v1, v60
	s_waitcnt vmcnt(7)
	v_fma_f32 v3, v148, v50, -v3
	;; [unrolled: 8-line block ×5, first 2 shown]
	v_fmac_f32_e32 v68, v151, v51
	v_add_f32_e32 v1, v1, v67
	v_add_f32_e32 v2, v2, v3
	s_waitcnt lgkmcnt(0)
	v_mul_f32_e32 v3, v157, v38
	v_fmac_f32_e32 v69, v153, v52
	v_add_f32_e32 v1, v1, v68
	s_waitcnt vmcnt(3)
	v_fma_f32 v3, v156, v54, -v3
	v_mul_f32_e32 v160, v156, v38
	v_fmac_f32_e32 v70, v155, v53
	v_add_f32_e32 v1, v1, v69
	v_add_f32_e32 v2, v2, v3
	v_mul_f32_e32 v3, v159, v39
	v_mul_f32_e32 v161, v158, v39
	v_fmac_f32_e32 v160, v157, v54
	v_add_f32_e32 v1, v1, v70
	s_waitcnt vmcnt(2)
	v_fma_f32 v3, v158, v55, -v3
	v_fmac_f32_e32 v161, v159, v55
	v_add_f32_e32 v1, v1, v160
	v_add_f32_e32 v2, v2, v3
	;; [unrolled: 1-line block ×3, first 2 shown]
	s_waitcnt vmcnt(1)
	v_sub_f32_e32 v2, v56, v2
	s_waitcnt vmcnt(0)
	v_sub_f32_e32 v1, v57, v1
	buffer_store_dword v2, off, s[0:3], 0 offset:352
	buffer_store_dword v1, off, s[0:3], 0 offset:356
	s_and_saveexec_b64 s[4:5], vcc
	s_cbranch_execz .LBB124_293
; %bb.292:
	buffer_load_dword v1, off, s[0:3], 0 offset:344
	buffer_load_dword v2, off, s[0:3], 0 offset:348
	v_mov_b32_e32 v3, 0
	buffer_store_dword v3, off, s[0:3], 0 offset:344
	buffer_store_dword v3, off, s[0:3], 0 offset:348
	s_waitcnt vmcnt(2)
	ds_write_b64 v147, v[1:2]
.LBB124_293:
	s_or_b64 exec, exec, s[4:5]
	s_waitcnt lgkmcnt(0)
	; wave barrier
	buffer_load_dword v24, off, s[0:3], 0 offset:356
	buffer_load_dword v27, off, s[0:3], 0 offset:364
	;; [unrolled: 1-line block ×36, first 2 shown]
	v_mov_b32_e32 v1, 0
	ds_read_b128 v[2:5], v1 offset:848
	ds_read_b128 v[6:9], v1 offset:864
	;; [unrolled: 1-line block ×8, first 2 shown]
	ds_read_b64 v[22:23], v1 offset:976
	v_cmp_lt_u32_e32 vcc, 42, v0
	s_waitcnt vmcnt(35) lgkmcnt(8)
	v_mul_f32_e32 v62, v2, v24
	s_waitcnt vmcnt(34)
	v_mul_f32_e32 v63, v4, v27
	s_waitcnt vmcnt(33) lgkmcnt(7)
	v_mul_f32_e32 v64, v6, v28
	s_waitcnt vmcnt(32)
	v_mul_f32_e32 v65, v8, v29
	;; [unrolled: 4-line block ×8, first 2 shown]
	s_waitcnt vmcnt(19) lgkmcnt(0)
	v_mul_f32_e32 v167, v22, v42
	s_waitcnt vmcnt(18)
	v_fmac_f32_e32 v62, v3, v43
	v_mul_f32_e32 v3, v3, v24
	v_fma_f32 v2, v2, v43, -v3
	v_mul_f32_e32 v3, v5, v27
	v_add_f32_e32 v2, 0, v2
	s_waitcnt vmcnt(17)
	v_fma_f32 v3, v4, v44, -v3
	v_add_f32_e32 v2, v2, v3
	v_mul_f32_e32 v3, v7, v28
	s_waitcnt vmcnt(16)
	v_fma_f32 v3, v6, v45, -v3
	v_add_f32_e32 v2, v2, v3
	v_mul_f32_e32 v3, v9, v29
	;; [unrolled: 4-line block ×8, first 2 shown]
	v_fmac_f32_e32 v63, v5, v44
	v_add_f32_e32 v62, 0, v62
	s_waitcnt vmcnt(9)
	v_fma_f32 v3, v20, v52, -v3
	v_fmac_f32_e32 v64, v7, v45
	v_add_f32_e32 v62, v62, v63
	v_add_f32_e32 v2, v2, v3
	v_mul_f32_e32 v3, v149, v36
	v_fmac_f32_e32 v65, v9, v46
	v_add_f32_e32 v62, v62, v64
	s_waitcnt vmcnt(8)
	v_fma_f32 v3, v148, v53, -v3
	v_fmac_f32_e32 v66, v11, v47
	v_add_f32_e32 v62, v62, v65
	v_add_f32_e32 v2, v2, v3
	v_mul_f32_e32 v3, v151, v37
	;; [unrolled: 8-line block ×7, first 2 shown]
	v_fmac_f32_e32 v166, v159, v58
	v_add_f32_e32 v62, v62, v165
	s_waitcnt vmcnt(2)
	v_fma_f32 v3, v22, v59, -v3
	v_fmac_f32_e32 v167, v23, v59
	v_add_f32_e32 v62, v62, v166
	v_add_f32_e32 v2, v2, v3
	;; [unrolled: 1-line block ×3, first 2 shown]
	s_waitcnt vmcnt(1)
	v_sub_f32_e32 v2, v60, v2
	s_waitcnt vmcnt(0)
	v_sub_f32_e32 v3, v61, v62
	buffer_store_dword v2, off, s[0:3], 0 offset:344
	buffer_store_dword v3, off, s[0:3], 0 offset:348
	s_and_saveexec_b64 s[4:5], vcc
	s_cbranch_execz .LBB124_295
; %bb.294:
	buffer_load_dword v2, off, s[0:3], 0 offset:336
	buffer_load_dword v3, off, s[0:3], 0 offset:340
	s_waitcnt vmcnt(0)
	ds_write_b64 v147, v[2:3]
	buffer_store_dword v1, off, s[0:3], 0 offset:336
	buffer_store_dword v1, off, s[0:3], 0 offset:340
.LBB124_295:
	s_or_b64 exec, exec, s[4:5]
	s_waitcnt lgkmcnt(0)
	; wave barrier
	buffer_load_dword v22, off, s[0:3], 0 offset:348
	buffer_load_dword v23, off, s[0:3], 0 offset:356
	;; [unrolled: 1-line block ×38, first 2 shown]
	ds_read2_b64 v[2:5], v1 offset0:105 offset1:106
	ds_read2_b64 v[6:9], v1 offset0:107 offset1:108
	;; [unrolled: 1-line block ×9, first 2 shown]
	v_cmp_lt_u32_e32 vcc, 41, v0
	s_waitcnt vmcnt(37) lgkmcnt(8)
	v_mul_f32_e32 v1, v2, v22
	s_waitcnt vmcnt(36)
	v_mul_f32_e32 v62, v4, v23
	s_waitcnt vmcnt(35) lgkmcnt(7)
	v_mul_f32_e32 v63, v6, v24
	s_waitcnt vmcnt(34)
	v_mul_f32_e32 v64, v8, v27
	;; [unrolled: 4-line block ×8, first 2 shown]
	s_waitcnt vmcnt(21) lgkmcnt(0)
	v_mul_f32_e32 v170, v160, v40
	s_waitcnt vmcnt(20)
	v_fmac_f32_e32 v1, v3, v41
	v_mul_f32_e32 v3, v3, v22
	v_fma_f32 v2, v2, v41, -v3
	v_mul_f32_e32 v3, v5, v23
	v_add_f32_e32 v2, 0, v2
	s_waitcnt vmcnt(19)
	v_fma_f32 v3, v4, v42, -v3
	v_add_f32_e32 v2, v2, v3
	v_mul_f32_e32 v3, v7, v24
	s_waitcnt vmcnt(18)
	v_fma_f32 v3, v6, v43, -v3
	v_add_f32_e32 v2, v2, v3
	v_mul_f32_e32 v3, v9, v27
	;; [unrolled: 4-line block ×8, first 2 shown]
	s_waitcnt vmcnt(11)
	v_fma_f32 v3, v20, v50, -v3
	v_fmac_f32_e32 v62, v5, v42
	v_add_f32_e32 v1, 0, v1
	v_add_f32_e32 v2, v2, v3
	v_mul_f32_e32 v3, v149, v34
	v_fmac_f32_e32 v63, v7, v43
	v_add_f32_e32 v1, v1, v62
	s_waitcnt vmcnt(10)
	v_fma_f32 v3, v148, v51, -v3
	v_fmac_f32_e32 v64, v9, v44
	v_add_f32_e32 v1, v1, v63
	v_add_f32_e32 v2, v2, v3
	v_mul_f32_e32 v3, v151, v35
	v_fmac_f32_e32 v65, v11, v45
	v_add_f32_e32 v1, v1, v64
	;; [unrolled: 8-line block ×7, first 2 shown]
	s_waitcnt vmcnt(4)
	v_fma_f32 v3, v160, v57, -v3
	v_fmac_f32_e32 v169, v159, v56
	v_add_f32_e32 v1, v1, v168
	v_add_f32_e32 v2, v2, v3
	s_waitcnt vmcnt(3)
	v_mul_f32_e32 v3, v163, v58
	v_add_f32_e32 v1, v1, v169
	v_fmac_f32_e32 v170, v161, v57
	v_mul_f32_e32 v62, v162, v58
	s_waitcnt vmcnt(2)
	v_fma_f32 v3, v162, v59, -v3
	v_add_f32_e32 v1, v1, v170
	v_fmac_f32_e32 v62, v163, v59
	v_add_f32_e32 v2, v2, v3
	v_add_f32_e32 v1, v1, v62
	s_waitcnt vmcnt(1)
	v_sub_f32_e32 v2, v60, v2
	s_waitcnt vmcnt(0)
	v_sub_f32_e32 v1, v61, v1
	buffer_store_dword v2, off, s[0:3], 0 offset:336
	buffer_store_dword v1, off, s[0:3], 0 offset:340
	s_and_saveexec_b64 s[4:5], vcc
	s_cbranch_execz .LBB124_297
; %bb.296:
	buffer_load_dword v1, off, s[0:3], 0 offset:328
	buffer_load_dword v2, off, s[0:3], 0 offset:332
	v_mov_b32_e32 v3, 0
	buffer_store_dword v3, off, s[0:3], 0 offset:328
	buffer_store_dword v3, off, s[0:3], 0 offset:332
	s_waitcnt vmcnt(2)
	ds_write_b64 v147, v[1:2]
.LBB124_297:
	s_or_b64 exec, exec, s[4:5]
	s_waitcnt lgkmcnt(0)
	; wave barrier
	buffer_load_dword v24, off, s[0:3], 0 offset:340
	buffer_load_dword v27, off, s[0:3], 0 offset:348
	buffer_load_dword v28, off, s[0:3], 0 offset:356
	buffer_load_dword v29, off, s[0:3], 0 offset:364
	buffer_load_dword v30, off, s[0:3], 0 offset:372
	buffer_load_dword v31, off, s[0:3], 0 offset:380
	buffer_load_dword v32, off, s[0:3], 0 offset:388
	buffer_load_dword v33, off, s[0:3], 0 offset:396
	buffer_load_dword v34, off, s[0:3], 0 offset:404
	buffer_load_dword v35, off, s[0:3], 0 offset:412
	buffer_load_dword v36, off, s[0:3], 0 offset:420
	buffer_load_dword v37, off, s[0:3], 0 offset:428
	buffer_load_dword v38, off, s[0:3], 0 offset:436
	buffer_load_dword v39, off, s[0:3], 0 offset:444
	buffer_load_dword v40, off, s[0:3], 0 offset:452
	buffer_load_dword v41, off, s[0:3], 0 offset:336
	buffer_load_dword v42, off, s[0:3], 0 offset:344
	buffer_load_dword v43, off, s[0:3], 0 offset:352
	buffer_load_dword v44, off, s[0:3], 0 offset:360
	buffer_load_dword v45, off, s[0:3], 0 offset:368
	buffer_load_dword v46, off, s[0:3], 0 offset:376
	buffer_load_dword v47, off, s[0:3], 0 offset:384
	buffer_load_dword v48, off, s[0:3], 0 offset:392
	buffer_load_dword v49, off, s[0:3], 0 offset:400
	buffer_load_dword v50, off, s[0:3], 0 offset:408
	buffer_load_dword v51, off, s[0:3], 0 offset:416
	buffer_load_dword v52, off, s[0:3], 0 offset:424
	buffer_load_dword v53, off, s[0:3], 0 offset:432
	buffer_load_dword v54, off, s[0:3], 0 offset:440
	buffer_load_dword v55, off, s[0:3], 0 offset:448
	buffer_load_dword v56, off, s[0:3], 0 offset:460
	buffer_load_dword v57, off, s[0:3], 0 offset:456
	buffer_load_dword v58, off, s[0:3], 0 offset:468
	buffer_load_dword v59, off, s[0:3], 0 offset:464
	buffer_load_dword v60, off, s[0:3], 0 offset:476
	buffer_load_dword v61, off, s[0:3], 0 offset:472
	buffer_load_dword v62, off, s[0:3], 0 offset:484
	buffer_load_dword v63, off, s[0:3], 0 offset:480
	buffer_load_dword v64, off, s[0:3], 0 offset:328
	buffer_load_dword v65, off, s[0:3], 0 offset:332
	v_mov_b32_e32 v1, 0
	ds_read_b128 v[2:5], v1 offset:832
	ds_read_b128 v[6:9], v1 offset:848
	;; [unrolled: 1-line block ×9, first 2 shown]
	v_cmp_lt_u32_e32 vcc, 40, v0
	s_waitcnt vmcnt(39) lgkmcnt(8)
	v_mul_f32_e32 v22, v2, v24
	s_waitcnt vmcnt(38)
	v_mul_f32_e32 v23, v4, v27
	s_waitcnt vmcnt(37) lgkmcnt(7)
	v_mul_f32_e32 v66, v6, v28
	s_waitcnt vmcnt(36)
	v_mul_f32_e32 v67, v8, v29
	;; [unrolled: 4-line block ×7, first 2 shown]
	s_waitcnt vmcnt(25) lgkmcnt(1)
	v_mul_f32_e32 v171, v156, v40
	s_waitcnt vmcnt(24)
	v_fmac_f32_e32 v22, v3, v41
	v_mul_f32_e32 v3, v3, v24
	v_fma_f32 v2, v2, v41, -v3
	v_mul_f32_e32 v3, v5, v27
	v_add_f32_e32 v2, 0, v2
	s_waitcnt vmcnt(23)
	v_fma_f32 v3, v4, v42, -v3
	v_add_f32_e32 v2, v2, v3
	v_mul_f32_e32 v3, v7, v28
	s_waitcnt vmcnt(22)
	v_fma_f32 v3, v6, v43, -v3
	v_add_f32_e32 v2, v2, v3
	v_mul_f32_e32 v3, v9, v29
	;; [unrolled: 4-line block ×6, first 2 shown]
	s_waitcnt vmcnt(17)
	v_fma_f32 v3, v16, v48, -v3
	v_fmac_f32_e32 v23, v5, v42
	v_add_f32_e32 v22, 0, v22
	v_add_f32_e32 v2, v2, v3
	v_mul_f32_e32 v3, v19, v34
	v_fmac_f32_e32 v66, v7, v43
	v_add_f32_e32 v22, v22, v23
	s_waitcnt vmcnt(16)
	v_fma_f32 v3, v18, v49, -v3
	v_fmac_f32_e32 v67, v9, v44
	v_add_f32_e32 v22, v22, v66
	v_add_f32_e32 v2, v2, v3
	v_mul_f32_e32 v3, v21, v35
	v_fmac_f32_e32 v68, v11, v45
	v_add_f32_e32 v22, v22, v67
	s_waitcnt vmcnt(15)
	v_fma_f32 v3, v20, v50, -v3
	v_fmac_f32_e32 v69, v13, v46
	v_add_f32_e32 v22, v22, v68
	v_add_f32_e32 v2, v2, v3
	v_mul_f32_e32 v3, v149, v36
	v_fmac_f32_e32 v70, v15, v47
	v_add_f32_e32 v22, v22, v69
	s_waitcnt vmcnt(14)
	v_fma_f32 v3, v148, v51, -v3
	v_fmac_f32_e32 v164, v17, v48
	v_add_f32_e32 v22, v22, v70
	v_add_f32_e32 v2, v2, v3
	v_mul_f32_e32 v3, v151, v37
	v_fmac_f32_e32 v165, v19, v49
	v_add_f32_e32 v22, v22, v164
	s_waitcnt vmcnt(13)
	v_fma_f32 v3, v150, v52, -v3
	v_fmac_f32_e32 v166, v21, v50
	v_add_f32_e32 v22, v22, v165
	v_add_f32_e32 v2, v2, v3
	v_mul_f32_e32 v3, v153, v38
	v_fmac_f32_e32 v167, v149, v51
	v_add_f32_e32 v22, v22, v166
	s_waitcnt vmcnt(12)
	v_fma_f32 v3, v152, v53, -v3
	v_fmac_f32_e32 v168, v151, v52
	v_add_f32_e32 v22, v22, v167
	v_add_f32_e32 v2, v2, v3
	v_mul_f32_e32 v3, v155, v39
	v_fmac_f32_e32 v169, v153, v53
	v_add_f32_e32 v22, v22, v168
	s_waitcnt vmcnt(11)
	v_fma_f32 v3, v154, v54, -v3
	v_fmac_f32_e32 v170, v155, v54
	v_add_f32_e32 v22, v22, v169
	v_add_f32_e32 v2, v2, v3
	v_mul_f32_e32 v3, v157, v40
	s_waitcnt vmcnt(10)
	v_fmac_f32_e32 v171, v157, v55
	v_add_f32_e32 v22, v22, v170
	s_waitcnt vmcnt(9)
	v_mul_f32_e32 v23, v158, v56
	v_fma_f32 v3, v156, v55, -v3
	v_add_f32_e32 v22, v22, v171
	s_waitcnt vmcnt(8)
	v_fmac_f32_e32 v23, v159, v57
	v_add_f32_e32 v2, v2, v3
	v_mul_f32_e32 v3, v159, v56
	v_add_f32_e32 v66, v22, v23
	ds_read_b64 v[22:23], v1 offset:976
	v_fma_f32 v3, v158, v57, -v3
	v_add_f32_e32 v2, v2, v3
	s_waitcnt vmcnt(7) lgkmcnt(1)
	v_mul_f32_e32 v3, v161, v58
	v_mul_f32_e32 v67, v160, v58
	s_waitcnt vmcnt(6)
	v_fma_f32 v3, v160, v59, -v3
	v_fmac_f32_e32 v67, v161, v59
	v_add_f32_e32 v2, v2, v3
	s_waitcnt vmcnt(5)
	v_mul_f32_e32 v3, v163, v60
	v_add_f32_e32 v66, v66, v67
	v_mul_f32_e32 v67, v162, v60
	s_waitcnt vmcnt(4)
	v_fma_f32 v3, v162, v61, -v3
	v_fmac_f32_e32 v67, v163, v61
	v_add_f32_e32 v2, v2, v3
	s_waitcnt vmcnt(3) lgkmcnt(0)
	v_mul_f32_e32 v3, v23, v62
	v_add_f32_e32 v66, v66, v67
	v_mul_f32_e32 v67, v22, v62
	s_waitcnt vmcnt(2)
	v_fma_f32 v3, v22, v63, -v3
	v_fmac_f32_e32 v67, v23, v63
	v_add_f32_e32 v2, v2, v3
	v_add_f32_e32 v66, v66, v67
	s_waitcnt vmcnt(1)
	v_sub_f32_e32 v2, v64, v2
	s_waitcnt vmcnt(0)
	v_sub_f32_e32 v3, v65, v66
	buffer_store_dword v2, off, s[0:3], 0 offset:328
	buffer_store_dword v3, off, s[0:3], 0 offset:332
	s_and_saveexec_b64 s[4:5], vcc
	s_cbranch_execz .LBB124_299
; %bb.298:
	buffer_load_dword v2, off, s[0:3], 0 offset:320
	buffer_load_dword v3, off, s[0:3], 0 offset:324
	s_waitcnt vmcnt(0)
	ds_write_b64 v147, v[2:3]
	buffer_store_dword v1, off, s[0:3], 0 offset:320
	buffer_store_dword v1, off, s[0:3], 0 offset:324
.LBB124_299:
	s_or_b64 exec, exec, s[4:5]
	s_waitcnt lgkmcnt(0)
	; wave barrier
	buffer_load_dword v22, off, s[0:3], 0 offset:332
	buffer_load_dword v23, off, s[0:3], 0 offset:340
	;; [unrolled: 1-line block ×42, first 2 shown]
	ds_read2_b64 v[2:5], v1 offset0:103 offset1:104
	ds_read2_b64 v[6:9], v1 offset0:105 offset1:106
	;; [unrolled: 1-line block ×8, first 2 shown]
	v_cmp_lt_u32_e32 vcc, 39, v0
	s_waitcnt vmcnt(41) lgkmcnt(7)
	v_mul_f32_e32 v66, v2, v22
	s_waitcnt vmcnt(40)
	v_mul_f32_e32 v67, v4, v23
	s_waitcnt vmcnt(39) lgkmcnt(6)
	v_mul_f32_e32 v68, v6, v24
	s_waitcnt vmcnt(38)
	v_mul_f32_e32 v69, v8, v27
	;; [unrolled: 4-line block ×7, first 2 shown]
	s_waitcnt vmcnt(27) lgkmcnt(0)
	v_mul_f32_e32 v169, v156, v38
	s_waitcnt vmcnt(26)
	v_fmac_f32_e32 v66, v3, v39
	v_mul_f32_e32 v3, v3, v22
	v_fma_f32 v2, v2, v39, -v3
	v_mul_f32_e32 v3, v5, v23
	v_add_f32_e32 v2, 0, v2
	s_waitcnt vmcnt(25)
	v_fma_f32 v3, v4, v40, -v3
	v_add_f32_e32 v2, v2, v3
	v_mul_f32_e32 v3, v7, v24
	s_waitcnt vmcnt(24)
	v_fma_f32 v3, v6, v41, -v3
	v_add_f32_e32 v2, v2, v3
	v_mul_f32_e32 v3, v9, v27
	;; [unrolled: 4-line block ×8, first 2 shown]
	v_fmac_f32_e32 v67, v5, v40
	v_add_f32_e32 v66, 0, v66
	s_waitcnt vmcnt(17)
	v_fma_f32 v3, v20, v48, -v3
	v_fmac_f32_e32 v68, v7, v41
	v_add_f32_e32 v66, v66, v67
	v_add_f32_e32 v2, v2, v3
	v_mul_f32_e32 v3, v149, v34
	v_fmac_f32_e32 v69, v9, v42
	v_add_f32_e32 v66, v66, v68
	s_waitcnt vmcnt(16)
	v_fma_f32 v3, v148, v49, -v3
	v_fmac_f32_e32 v70, v11, v43
	v_add_f32_e32 v66, v66, v69
	v_add_f32_e32 v2, v2, v3
	v_mul_f32_e32 v3, v151, v35
	;; [unrolled: 8-line block ×4, first 2 shown]
	v_fmac_f32_e32 v164, v21, v48
	v_add_f32_e32 v66, v66, v163
	ds_read2_b64 v[160:163], v1 offset0:119 offset1:120
	s_waitcnt vmcnt(13)
	v_fma_f32 v3, v154, v52, -v3
	v_fmac_f32_e32 v165, v149, v49
	v_add_f32_e32 v66, v66, v164
	v_add_f32_e32 v2, v2, v3
	v_mul_f32_e32 v3, v157, v38
	v_fmac_f32_e32 v166, v151, v50
	v_add_f32_e32 v66, v66, v165
	s_waitcnt vmcnt(12)
	v_fma_f32 v3, v156, v53, -v3
	v_fmac_f32_e32 v167, v153, v51
	v_add_f32_e32 v66, v66, v166
	v_add_f32_e32 v2, v2, v3
	s_waitcnt vmcnt(11)
	v_mul_f32_e32 v3, v159, v54
	v_fmac_f32_e32 v168, v155, v52
	v_add_f32_e32 v66, v66, v167
	ds_read2_b64 v[164:167], v1 offset0:121 offset1:122
	s_waitcnt vmcnt(10)
	v_fma_f32 v3, v158, v55, -v3
	v_fmac_f32_e32 v169, v157, v53
	v_add_f32_e32 v66, v66, v168
	v_mul_f32_e32 v67, v158, v54
	v_add_f32_e32 v2, v2, v3
	s_waitcnt vmcnt(9) lgkmcnt(1)
	v_mul_f32_e32 v3, v161, v56
	v_add_f32_e32 v66, v66, v169
	v_fmac_f32_e32 v67, v159, v55
	v_mul_f32_e32 v1, v160, v56
	s_waitcnt vmcnt(8)
	v_fma_f32 v3, v160, v57, -v3
	v_add_f32_e32 v66, v66, v67
	v_fmac_f32_e32 v1, v161, v57
	v_add_f32_e32 v2, v2, v3
	s_waitcnt vmcnt(7)
	v_mul_f32_e32 v3, v163, v58
	v_add_f32_e32 v1, v66, v1
	v_mul_f32_e32 v66, v162, v58
	s_waitcnt vmcnt(6)
	v_fma_f32 v3, v162, v59, -v3
	v_fmac_f32_e32 v66, v163, v59
	v_add_f32_e32 v2, v2, v3
	s_waitcnt vmcnt(5) lgkmcnt(0)
	v_mul_f32_e32 v3, v165, v60
	v_add_f32_e32 v1, v1, v66
	v_mul_f32_e32 v66, v164, v60
	s_waitcnt vmcnt(4)
	v_fma_f32 v3, v164, v61, -v3
	v_fmac_f32_e32 v66, v165, v61
	v_add_f32_e32 v2, v2, v3
	s_waitcnt vmcnt(3)
	v_mul_f32_e32 v3, v167, v62
	v_add_f32_e32 v1, v1, v66
	v_mul_f32_e32 v66, v166, v62
	s_waitcnt vmcnt(2)
	v_fma_f32 v3, v166, v63, -v3
	v_fmac_f32_e32 v66, v167, v63
	v_add_f32_e32 v2, v2, v3
	v_add_f32_e32 v1, v1, v66
	s_waitcnt vmcnt(1)
	v_sub_f32_e32 v2, v64, v2
	s_waitcnt vmcnt(0)
	v_sub_f32_e32 v1, v65, v1
	buffer_store_dword v2, off, s[0:3], 0 offset:320
	buffer_store_dword v1, off, s[0:3], 0 offset:324
	s_and_saveexec_b64 s[4:5], vcc
	s_cbranch_execz .LBB124_301
; %bb.300:
	buffer_load_dword v1, off, s[0:3], 0 offset:312
	buffer_load_dword v2, off, s[0:3], 0 offset:316
	v_mov_b32_e32 v3, 0
	buffer_store_dword v3, off, s[0:3], 0 offset:312
	buffer_store_dword v3, off, s[0:3], 0 offset:316
	s_waitcnt vmcnt(2)
	ds_write_b64 v147, v[1:2]
.LBB124_301:
	s_or_b64 exec, exec, s[4:5]
	s_waitcnt lgkmcnt(0)
	; wave barrier
	buffer_load_dword v24, off, s[0:3], 0 offset:324
	buffer_load_dword v27, off, s[0:3], 0 offset:332
	;; [unrolled: 1-line block ×44, first 2 shown]
	v_mov_b32_e32 v1, 0
	ds_read_b128 v[2:5], v1 offset:816
	ds_read_b128 v[6:9], v1 offset:832
	;; [unrolled: 1-line block ×8, first 2 shown]
	v_cmp_lt_u32_e32 vcc, 38, v0
	s_waitcnt vmcnt(43) lgkmcnt(7)
	v_mul_f32_e32 v22, v2, v24
	s_waitcnt vmcnt(42)
	v_mul_f32_e32 v23, v4, v27
	s_waitcnt vmcnt(41) lgkmcnt(6)
	v_mul_f32_e32 v70, v6, v28
	s_waitcnt vmcnt(40)
	v_mul_f32_e32 v160, v8, v29
	;; [unrolled: 4-line block ×7, first 2 shown]
	s_waitcnt vmcnt(29)
	v_fmac_f32_e32 v22, v3, v40
	v_mul_f32_e32 v3, v3, v24
	v_fma_f32 v2, v2, v40, -v3
	v_mul_f32_e32 v3, v5, v27
	v_add_f32_e32 v2, 0, v2
	s_waitcnt vmcnt(28)
	v_fma_f32 v3, v4, v41, -v3
	v_add_f32_e32 v2, v2, v3
	v_mul_f32_e32 v3, v7, v28
	s_waitcnt vmcnt(27)
	v_fma_f32 v3, v6, v42, -v3
	v_add_f32_e32 v2, v2, v3
	v_mul_f32_e32 v3, v9, v29
	;; [unrolled: 4-line block ×6, first 2 shown]
	v_fmac_f32_e32 v23, v5, v41
	v_add_f32_e32 v22, 0, v22
	s_waitcnt vmcnt(22)
	v_fma_f32 v3, v16, v47, -v3
	v_fmac_f32_e32 v70, v7, v42
	v_add_f32_e32 v22, v22, v23
	v_add_f32_e32 v2, v2, v3
	v_mul_f32_e32 v3, v19, v34
	v_fmac_f32_e32 v160, v9, v43
	v_add_f32_e32 v22, v22, v70
	s_waitcnt vmcnt(21)
	v_fma_f32 v3, v18, v48, -v3
	v_fmac_f32_e32 v161, v11, v44
	v_add_f32_e32 v22, v22, v160
	v_add_f32_e32 v2, v2, v3
	v_mul_f32_e32 v3, v21, v35
	v_fmac_f32_e32 v162, v13, v45
	v_add_f32_e32 v22, v22, v161
	s_waitcnt vmcnt(20)
	v_fma_f32 v3, v20, v49, -v3
	v_fmac_f32_e32 v163, v15, v46
	v_add_f32_e32 v22, v22, v162
	v_add_f32_e32 v2, v2, v3
	v_mul_f32_e32 v3, v149, v36
	v_fmac_f32_e32 v164, v17, v47
	v_add_f32_e32 v22, v22, v163
	s_waitcnt vmcnt(19)
	v_fma_f32 v3, v148, v50, -v3
	v_fmac_f32_e32 v165, v19, v48
	v_add_f32_e32 v22, v22, v164
	v_add_f32_e32 v2, v2, v3
	v_mul_f32_e32 v3, v151, v37
	v_fmac_f32_e32 v166, v21, v49
	v_add_f32_e32 v22, v22, v165
	s_waitcnt vmcnt(18)
	v_fma_f32 v3, v150, v51, -v3
	v_fmac_f32_e32 v167, v149, v50
	v_add_f32_e32 v22, v22, v166
	v_add_f32_e32 v2, v2, v3
	v_mul_f32_e32 v3, v153, v38
	v_fmac_f32_e32 v168, v151, v51
	v_add_f32_e32 v22, v22, v167
	s_waitcnt vmcnt(17)
	v_fma_f32 v3, v152, v52, -v3
	v_fmac_f32_e32 v169, v153, v52
	v_add_f32_e32 v22, v22, v168
	ds_read_b128 v[160:163], v1 offset:944
	ds_read_b128 v[164:167], v1 offset:960
	v_add_f32_e32 v2, v2, v3
	v_mul_f32_e32 v3, v155, v39
	v_add_f32_e32 v22, v22, v169
	s_waitcnt vmcnt(16)
	v_fmac_f32_e32 v170, v155, v53
	s_waitcnt vmcnt(15) lgkmcnt(2)
	v_mul_f32_e32 v23, v156, v54
	v_fma_f32 v3, v154, v53, -v3
	v_add_f32_e32 v22, v22, v170
	s_waitcnt vmcnt(14)
	v_fmac_f32_e32 v23, v157, v55
	v_add_f32_e32 v2, v2, v3
	v_mul_f32_e32 v3, v157, v54
	v_add_f32_e32 v22, v22, v23
	s_waitcnt vmcnt(13)
	v_mul_f32_e32 v23, v158, v56
	v_fma_f32 v3, v156, v55, -v3
	s_waitcnt vmcnt(12)
	v_fmac_f32_e32 v23, v159, v57
	v_add_f32_e32 v2, v2, v3
	v_mul_f32_e32 v3, v159, v56
	v_add_f32_e32 v22, v22, v23
	s_waitcnt vmcnt(11) lgkmcnt(1)
	v_mul_f32_e32 v23, v160, v58
	v_fma_f32 v3, v158, v57, -v3
	s_waitcnt vmcnt(10)
	v_fmac_f32_e32 v23, v161, v59
	v_add_f32_e32 v2, v2, v3
	v_mul_f32_e32 v3, v161, v58
	v_add_f32_e32 v22, v22, v23
	s_waitcnt vmcnt(9)
	v_mul_f32_e32 v23, v162, v60
	v_fma_f32 v3, v160, v59, -v3
	s_waitcnt vmcnt(8)
	v_fmac_f32_e32 v23, v163, v61
	v_add_f32_e32 v2, v2, v3
	v_mul_f32_e32 v3, v163, v60
	v_add_f32_e32 v70, v22, v23
	ds_read_b64 v[22:23], v1 offset:976
	v_fma_f32 v3, v162, v61, -v3
	v_add_f32_e32 v2, v2, v3
	s_waitcnt vmcnt(7) lgkmcnt(1)
	v_mul_f32_e32 v3, v165, v62
	v_mul_f32_e32 v168, v164, v62
	s_waitcnt vmcnt(6)
	v_fma_f32 v3, v164, v63, -v3
	v_fmac_f32_e32 v168, v165, v63
	v_add_f32_e32 v2, v2, v3
	s_waitcnt vmcnt(5)
	v_mul_f32_e32 v3, v167, v64
	v_add_f32_e32 v70, v70, v168
	v_mul_f32_e32 v168, v166, v64
	s_waitcnt vmcnt(4)
	v_fma_f32 v3, v166, v65, -v3
	v_fmac_f32_e32 v168, v167, v65
	v_add_f32_e32 v2, v2, v3
	s_waitcnt vmcnt(3) lgkmcnt(0)
	v_mul_f32_e32 v3, v23, v66
	v_add_f32_e32 v70, v70, v168
	v_mul_f32_e32 v168, v22, v66
	s_waitcnt vmcnt(2)
	v_fma_f32 v3, v22, v67, -v3
	v_fmac_f32_e32 v168, v23, v67
	v_add_f32_e32 v2, v2, v3
	v_add_f32_e32 v70, v70, v168
	s_waitcnt vmcnt(1)
	v_sub_f32_e32 v2, v68, v2
	s_waitcnt vmcnt(0)
	v_sub_f32_e32 v3, v69, v70
	buffer_store_dword v2, off, s[0:3], 0 offset:312
	buffer_store_dword v3, off, s[0:3], 0 offset:316
	s_and_saveexec_b64 s[4:5], vcc
	s_cbranch_execz .LBB124_303
; %bb.302:
	buffer_load_dword v2, off, s[0:3], 0 offset:304
	buffer_load_dword v3, off, s[0:3], 0 offset:308
	s_waitcnt vmcnt(0)
	ds_write_b64 v147, v[2:3]
	buffer_store_dword v1, off, s[0:3], 0 offset:304
	buffer_store_dword v1, off, s[0:3], 0 offset:308
.LBB124_303:
	s_or_b64 exec, exec, s[4:5]
	s_waitcnt lgkmcnt(0)
	; wave barrier
	buffer_load_dword v22, off, s[0:3], 0 offset:316
	buffer_load_dword v23, off, s[0:3], 0 offset:324
	;; [unrolled: 1-line block ×46, first 2 shown]
	ds_read2_b64 v[2:5], v1 offset0:101 offset1:102
	ds_read2_b64 v[6:9], v1 offset0:103 offset1:104
	;; [unrolled: 1-line block ×8, first 2 shown]
	v_cmp_lt_u32_e32 vcc, 37, v0
	s_waitcnt vmcnt(45) lgkmcnt(7)
	v_mul_f32_e32 v70, v2, v22
	s_waitcnt vmcnt(44)
	v_mul_f32_e32 v160, v4, v23
	s_waitcnt vmcnt(43) lgkmcnt(6)
	v_mul_f32_e32 v161, v6, v24
	s_waitcnt vmcnt(42)
	v_mul_f32_e32 v162, v8, v27
	;; [unrolled: 4-line block ×6, first 2 shown]
	s_waitcnt vmcnt(33) lgkmcnt(1)
	v_mul_f32_e32 v171, v152, v36
	s_waitcnt vmcnt(32)
	v_fmac_f32_e32 v70, v3, v37
	v_mul_f32_e32 v3, v3, v22
	v_fma_f32 v2, v2, v37, -v3
	v_mul_f32_e32 v3, v5, v23
	v_add_f32_e32 v2, 0, v2
	s_waitcnt vmcnt(31)
	v_fma_f32 v3, v4, v38, -v3
	v_add_f32_e32 v2, v2, v3
	v_mul_f32_e32 v3, v7, v24
	s_waitcnt vmcnt(30)
	v_fma_f32 v3, v6, v39, -v3
	v_add_f32_e32 v2, v2, v3
	v_mul_f32_e32 v3, v9, v27
	;; [unrolled: 4-line block ×4, first 2 shown]
	v_fmac_f32_e32 v160, v5, v38
	v_add_f32_e32 v70, 0, v70
	s_waitcnt vmcnt(27)
	v_fma_f32 v3, v12, v42, -v3
	v_fmac_f32_e32 v161, v7, v39
	v_add_f32_e32 v70, v70, v160
	v_add_f32_e32 v2, v2, v3
	v_mul_f32_e32 v3, v15, v30
	v_fmac_f32_e32 v162, v9, v40
	v_add_f32_e32 v70, v70, v161
	s_waitcnt vmcnt(26)
	v_fma_f32 v3, v14, v43, -v3
	v_fmac_f32_e32 v163, v11, v41
	v_add_f32_e32 v70, v70, v162
	v_add_f32_e32 v2, v2, v3
	v_mul_f32_e32 v3, v17, v31
	;; [unrolled: 8-line block ×4, first 2 shown]
	s_waitcnt vmcnt(23)
	v_fmac_f32_e32 v168, v21, v46
	v_add_f32_e32 v70, v70, v167
	v_fma_f32 v3, v20, v46, -v3
	s_waitcnt vmcnt(22)
	v_fmac_f32_e32 v169, v149, v47
	v_add_f32_e32 v70, v70, v168
	v_add_f32_e32 v2, v2, v3
	v_mul_f32_e32 v3, v149, v34
	s_waitcnt vmcnt(21)
	v_fmac_f32_e32 v170, v151, v48
	v_add_f32_e32 v70, v70, v169
	v_fma_f32 v3, v148, v47, -v3
	s_waitcnt vmcnt(20)
	v_fmac_f32_e32 v171, v153, v49
	v_add_f32_e32 v70, v70, v170
	s_waitcnt vmcnt(19)
	v_mul_f32_e32 v160, v154, v50
	v_add_f32_e32 v2, v2, v3
	v_mul_f32_e32 v3, v151, v35
	v_add_f32_e32 v70, v70, v171
	s_waitcnt vmcnt(18)
	v_fmac_f32_e32 v160, v155, v51
	v_fma_f32 v3, v150, v48, -v3
	v_add_f32_e32 v70, v70, v160
	s_waitcnt vmcnt(17) lgkmcnt(0)
	v_mul_f32_e32 v160, v156, v52
	v_add_f32_e32 v2, v2, v3
	v_mul_f32_e32 v3, v153, v36
	s_waitcnt vmcnt(16)
	v_fmac_f32_e32 v160, v157, v53
	v_fma_f32 v3, v152, v49, -v3
	v_add_f32_e32 v70, v70, v160
	ds_read2_b64 v[160:163], v1 offset0:117 offset1:118
	v_add_f32_e32 v2, v2, v3
	v_mul_f32_e32 v3, v155, v50
	v_fma_f32 v3, v154, v51, -v3
	v_add_f32_e32 v2, v2, v3
	v_mul_f32_e32 v3, v157, v52
	s_waitcnt vmcnt(15)
	v_mul_f32_e32 v164, v158, v54
	v_fma_f32 v3, v156, v53, -v3
	s_waitcnt vmcnt(14)
	v_fmac_f32_e32 v164, v159, v55
	v_add_f32_e32 v2, v2, v3
	v_mul_f32_e32 v3, v159, v54
	v_add_f32_e32 v70, v70, v164
	ds_read2_b64 v[164:167], v1 offset0:119 offset1:120
	s_waitcnt vmcnt(13) lgkmcnt(1)
	v_mul_f32_e32 v168, v160, v56
	v_fma_f32 v3, v158, v55, -v3
	s_waitcnt vmcnt(12)
	v_fmac_f32_e32 v168, v161, v57
	v_add_f32_e32 v2, v2, v3
	v_mul_f32_e32 v3, v161, v56
	v_add_f32_e32 v70, v70, v168
	s_waitcnt vmcnt(11)
	v_mul_f32_e32 v168, v162, v58
	v_fma_f32 v3, v160, v57, -v3
	s_waitcnt vmcnt(10)
	v_fmac_f32_e32 v168, v163, v59
	v_add_f32_e32 v2, v2, v3
	v_mul_f32_e32 v3, v163, v58
	v_add_f32_e32 v70, v70, v168
	ds_read2_b64 v[168:171], v1 offset0:121 offset1:122
	v_fma_f32 v3, v162, v59, -v3
	v_add_f32_e32 v2, v2, v3
	s_waitcnt vmcnt(9) lgkmcnt(1)
	v_mul_f32_e32 v3, v165, v60
	v_mul_f32_e32 v172, v164, v60
	s_waitcnt vmcnt(8)
	v_fma_f32 v3, v164, v61, -v3
	v_fmac_f32_e32 v172, v165, v61
	v_add_f32_e32 v2, v2, v3
	s_waitcnt vmcnt(7)
	v_mul_f32_e32 v3, v167, v62
	v_add_f32_e32 v1, v70, v172
	v_mul_f32_e32 v70, v166, v62
	s_waitcnt vmcnt(6)
	v_fma_f32 v3, v166, v63, -v3
	v_fmac_f32_e32 v70, v167, v63
	v_add_f32_e32 v2, v2, v3
	s_waitcnt vmcnt(5) lgkmcnt(0)
	v_mul_f32_e32 v3, v169, v64
	v_add_f32_e32 v1, v1, v70
	v_mul_f32_e32 v70, v168, v64
	s_waitcnt vmcnt(4)
	v_fma_f32 v3, v168, v65, -v3
	v_fmac_f32_e32 v70, v169, v65
	v_add_f32_e32 v2, v2, v3
	s_waitcnt vmcnt(3)
	v_mul_f32_e32 v3, v171, v66
	v_add_f32_e32 v1, v1, v70
	v_mul_f32_e32 v70, v170, v66
	s_waitcnt vmcnt(2)
	v_fma_f32 v3, v170, v67, -v3
	v_fmac_f32_e32 v70, v171, v67
	v_add_f32_e32 v2, v2, v3
	v_add_f32_e32 v1, v1, v70
	s_waitcnt vmcnt(1)
	v_sub_f32_e32 v2, v68, v2
	s_waitcnt vmcnt(0)
	v_sub_f32_e32 v1, v69, v1
	buffer_store_dword v2, off, s[0:3], 0 offset:304
	buffer_store_dword v1, off, s[0:3], 0 offset:308
	s_and_saveexec_b64 s[4:5], vcc
	s_cbranch_execz .LBB124_305
; %bb.304:
	buffer_load_dword v1, off, s[0:3], 0 offset:296
	buffer_load_dword v2, off, s[0:3], 0 offset:300
	v_mov_b32_e32 v3, 0
	buffer_store_dword v3, off, s[0:3], 0 offset:296
	buffer_store_dword v3, off, s[0:3], 0 offset:300
	s_waitcnt vmcnt(2)
	ds_write_b64 v147, v[1:2]
.LBB124_305:
	s_or_b64 exec, exec, s[4:5]
	s_waitcnt lgkmcnt(0)
	; wave barrier
	buffer_load_dword v24, off, s[0:3], 0 offset:308
	buffer_load_dword v27, off, s[0:3], 0 offset:316
	buffer_load_dword v28, off, s[0:3], 0 offset:324
	buffer_load_dword v29, off, s[0:3], 0 offset:332
	buffer_load_dword v30, off, s[0:3], 0 offset:340
	buffer_load_dword v31, off, s[0:3], 0 offset:348
	buffer_load_dword v32, off, s[0:3], 0 offset:356
	buffer_load_dword v33, off, s[0:3], 0 offset:364
	buffer_load_dword v34, off, s[0:3], 0 offset:372
	buffer_load_dword v35, off, s[0:3], 0 offset:380
	buffer_load_dword v36, off, s[0:3], 0 offset:388
	buffer_load_dword v37, off, s[0:3], 0 offset:396
	buffer_load_dword v38, off, s[0:3], 0 offset:304
	buffer_load_dword v39, off, s[0:3], 0 offset:312
	buffer_load_dword v40, off, s[0:3], 0 offset:320
	buffer_load_dword v41, off, s[0:3], 0 offset:328
	buffer_load_dword v42, off, s[0:3], 0 offset:336
	buffer_load_dword v43, off, s[0:3], 0 offset:344
	buffer_load_dword v44, off, s[0:3], 0 offset:352
	buffer_load_dword v45, off, s[0:3], 0 offset:360
	buffer_load_dword v46, off, s[0:3], 0 offset:368
	buffer_load_dword v47, off, s[0:3], 0 offset:376
	buffer_load_dword v48, off, s[0:3], 0 offset:384
	buffer_load_dword v49, off, s[0:3], 0 offset:392
	buffer_load_dword v50, off, s[0:3], 0 offset:404
	buffer_load_dword v51, off, s[0:3], 0 offset:400
	buffer_load_dword v52, off, s[0:3], 0 offset:412
	buffer_load_dword v53, off, s[0:3], 0 offset:408
	buffer_load_dword v54, off, s[0:3], 0 offset:420
	buffer_load_dword v55, off, s[0:3], 0 offset:416
	buffer_load_dword v56, off, s[0:3], 0 offset:428
	buffer_load_dword v57, off, s[0:3], 0 offset:424
	buffer_load_dword v58, off, s[0:3], 0 offset:436
	buffer_load_dword v59, off, s[0:3], 0 offset:432
	buffer_load_dword v60, off, s[0:3], 0 offset:444
	buffer_load_dword v61, off, s[0:3], 0 offset:440
	buffer_load_dword v62, off, s[0:3], 0 offset:452
	buffer_load_dword v63, off, s[0:3], 0 offset:448
	buffer_load_dword v64, off, s[0:3], 0 offset:460
	buffer_load_dword v65, off, s[0:3], 0 offset:456
	buffer_load_dword v66, off, s[0:3], 0 offset:464
	buffer_load_dword v67, off, s[0:3], 0 offset:468
	buffer_load_dword v68, off, s[0:3], 0 offset:296
	buffer_load_dword v69, off, s[0:3], 0 offset:300
	buffer_load_dword v70, off, s[0:3], 0 offset:476
	buffer_load_dword v172, off, s[0:3], 0 offset:472
	buffer_load_dword v173, off, s[0:3], 0 offset:480
	buffer_load_dword v174, off, s[0:3], 0 offset:484
	v_mov_b32_e32 v1, 0
	ds_read_b128 v[2:5], v1 offset:800
	ds_read_b128 v[6:9], v1 offset:816
	;; [unrolled: 1-line block ×7, first 2 shown]
	v_cmp_lt_u32_e32 vcc, 36, v0
	ds_read_b128 v[168:171], v1 offset:960
	s_waitcnt vmcnt(47) lgkmcnt(7)
	v_mul_f32_e32 v22, v2, v24
	s_waitcnt vmcnt(46)
	v_mul_f32_e32 v23, v4, v27
	s_waitcnt vmcnt(45) lgkmcnt(6)
	v_mul_f32_e32 v156, v6, v28
	s_waitcnt vmcnt(44)
	v_mul_f32_e32 v157, v8, v29
	;; [unrolled: 4-line block ×6, first 2 shown]
	s_waitcnt vmcnt(35)
	v_fmac_f32_e32 v22, v3, v38
	v_mul_f32_e32 v3, v3, v24
	v_fma_f32 v2, v2, v38, -v3
	v_mul_f32_e32 v3, v5, v27
	v_add_f32_e32 v2, 0, v2
	s_waitcnt vmcnt(34)
	v_fma_f32 v3, v4, v39, -v3
	v_add_f32_e32 v2, v2, v3
	v_mul_f32_e32 v3, v7, v28
	s_waitcnt vmcnt(33)
	v_fma_f32 v3, v6, v40, -v3
	v_add_f32_e32 v2, v2, v3
	v_mul_f32_e32 v3, v9, v29
	;; [unrolled: 4-line block ×5, first 2 shown]
	v_fmac_f32_e32 v23, v5, v39
	v_add_f32_e32 v22, 0, v22
	s_waitcnt vmcnt(29)
	v_fma_f32 v3, v14, v44, -v3
	v_fmac_f32_e32 v156, v7, v40
	v_add_f32_e32 v22, v22, v23
	v_add_f32_e32 v2, v2, v3
	v_mul_f32_e32 v3, v17, v33
	v_fmac_f32_e32 v157, v9, v41
	v_add_f32_e32 v22, v22, v156
	s_waitcnt vmcnt(28)
	v_fma_f32 v3, v16, v45, -v3
	v_fmac_f32_e32 v158, v11, v42
	v_add_f32_e32 v22, v22, v157
	v_add_f32_e32 v2, v2, v3
	v_mul_f32_e32 v3, v19, v34
	;; [unrolled: 8-line block ×4, first 2 shown]
	v_fmac_f32_e32 v163, v21, v47
	v_add_f32_e32 v22, v22, v162
	s_waitcnt vmcnt(25)
	v_fma_f32 v3, v148, v48, -v3
	v_fmac_f32_e32 v164, v149, v48
	v_add_f32_e32 v22, v22, v163
	ds_read_b128 v[156:159], v1 offset:912
	ds_read_b128 v[160:163], v1 offset:928
	v_add_f32_e32 v2, v2, v3
	v_mul_f32_e32 v3, v151, v37
	s_waitcnt vmcnt(24)
	v_fmac_f32_e32 v165, v151, v49
	v_add_f32_e32 v22, v22, v164
	s_waitcnt vmcnt(23) lgkmcnt(3)
	v_mul_f32_e32 v23, v152, v50
	v_fma_f32 v3, v150, v49, -v3
	v_add_f32_e32 v22, v22, v165
	s_waitcnt vmcnt(22)
	v_fmac_f32_e32 v23, v153, v51
	v_add_f32_e32 v2, v2, v3
	v_mul_f32_e32 v3, v153, v50
	v_add_f32_e32 v22, v22, v23
	s_waitcnt vmcnt(21)
	v_mul_f32_e32 v23, v154, v52
	v_fma_f32 v3, v152, v51, -v3
	s_waitcnt vmcnt(20)
	v_fmac_f32_e32 v23, v155, v53
	v_add_f32_e32 v2, v2, v3
	v_mul_f32_e32 v3, v155, v52
	v_add_f32_e32 v22, v22, v23
	s_waitcnt vmcnt(19) lgkmcnt(1)
	v_mul_f32_e32 v23, v156, v54
	v_fma_f32 v3, v154, v53, -v3
	s_waitcnt vmcnt(18)
	v_fmac_f32_e32 v23, v157, v55
	v_add_f32_e32 v2, v2, v3
	v_mul_f32_e32 v3, v157, v54
	v_add_f32_e32 v22, v22, v23
	s_waitcnt vmcnt(17)
	v_mul_f32_e32 v23, v158, v56
	v_fma_f32 v3, v156, v55, -v3
	s_waitcnt vmcnt(16)
	v_fmac_f32_e32 v23, v159, v57
	ds_read_b128 v[164:167], v1 offset:944
	v_add_f32_e32 v2, v2, v3
	v_mul_f32_e32 v3, v159, v56
	v_add_f32_e32 v22, v22, v23
	s_waitcnt vmcnt(15) lgkmcnt(1)
	v_mul_f32_e32 v23, v160, v58
	v_fma_f32 v3, v158, v57, -v3
	s_waitcnt vmcnt(14)
	v_fmac_f32_e32 v23, v161, v59
	v_add_f32_e32 v2, v2, v3
	v_mul_f32_e32 v3, v161, v58
	v_add_f32_e32 v22, v22, v23
	s_waitcnt vmcnt(13)
	v_mul_f32_e32 v23, v162, v60
	v_fma_f32 v3, v160, v59, -v3
	s_waitcnt vmcnt(12)
	v_fmac_f32_e32 v23, v163, v61
	v_add_f32_e32 v2, v2, v3
	v_mul_f32_e32 v3, v163, v60
	v_add_f32_e32 v22, v22, v23
	s_waitcnt vmcnt(11) lgkmcnt(0)
	v_mul_f32_e32 v23, v164, v62
	v_fma_f32 v3, v162, v61, -v3
	s_waitcnt vmcnt(10)
	v_fmac_f32_e32 v23, v165, v63
	v_add_f32_e32 v2, v2, v3
	v_mul_f32_e32 v3, v165, v62
	v_add_f32_e32 v22, v22, v23
	s_waitcnt vmcnt(9)
	v_mul_f32_e32 v23, v166, v64
	v_fma_f32 v3, v164, v63, -v3
	s_waitcnt vmcnt(8)
	v_fmac_f32_e32 v23, v167, v65
	v_add_f32_e32 v2, v2, v3
	v_mul_f32_e32 v3, v167, v64
	v_add_f32_e32 v175, v22, v23
	ds_read_b64 v[22:23], v1 offset:976
	v_fma_f32 v3, v166, v65, -v3
	v_add_f32_e32 v2, v2, v3
	s_waitcnt vmcnt(6)
	v_mul_f32_e32 v3, v169, v67
	v_mul_f32_e32 v176, v168, v67
	v_fma_f32 v3, v168, v66, -v3
	v_fmac_f32_e32 v176, v169, v66
	v_add_f32_e32 v2, v2, v3
	s_waitcnt vmcnt(3)
	v_mul_f32_e32 v3, v171, v70
	v_add_f32_e32 v175, v175, v176
	v_mul_f32_e32 v176, v170, v70
	s_waitcnt vmcnt(2)
	v_fma_f32 v3, v170, v172, -v3
	v_fmac_f32_e32 v176, v171, v172
	v_add_f32_e32 v2, v2, v3
	s_waitcnt vmcnt(0) lgkmcnt(0)
	v_mul_f32_e32 v3, v23, v174
	v_add_f32_e32 v175, v175, v176
	v_mul_f32_e32 v176, v22, v174
	v_fma_f32 v3, v22, v173, -v3
	v_fmac_f32_e32 v176, v23, v173
	v_add_f32_e32 v2, v2, v3
	v_add_f32_e32 v175, v175, v176
	v_sub_f32_e32 v2, v68, v2
	v_sub_f32_e32 v3, v69, v175
	buffer_store_dword v2, off, s[0:3], 0 offset:296
	buffer_store_dword v3, off, s[0:3], 0 offset:300
	s_and_saveexec_b64 s[4:5], vcc
	s_cbranch_execz .LBB124_307
; %bb.306:
	buffer_load_dword v2, off, s[0:3], 0 offset:288
	buffer_load_dword v3, off, s[0:3], 0 offset:292
	s_waitcnt vmcnt(0)
	ds_write_b64 v147, v[2:3]
	buffer_store_dword v1, off, s[0:3], 0 offset:288
	buffer_store_dword v1, off, s[0:3], 0 offset:292
.LBB124_307:
	s_or_b64 exec, exec, s[4:5]
	s_waitcnt lgkmcnt(0)
	; wave barrier
	buffer_load_dword v22, off, s[0:3], 0 offset:300
	buffer_load_dword v23, off, s[0:3], 0 offset:308
	;; [unrolled: 1-line block ×48, first 2 shown]
	ds_read2_b64 v[2:5], v1 offset0:99 offset1:100
	ds_read2_b64 v[6:9], v1 offset0:101 offset1:102
	buffer_load_dword v177, off, s[0:3], 0 offset:480
	buffer_load_dword v178, off, s[0:3], 0 offset:484
	ds_read2_b64 v[10:13], v1 offset0:103 offset1:104
	ds_read2_b64 v[14:17], v1 offset0:105 offset1:106
	;; [unrolled: 1-line block ×5, first 2 shown]
	v_cmp_lt_u32_e32 vcc, 35, v0
	s_waitcnt vmcnt(49) lgkmcnt(6)
	v_mul_f32_e32 v156, v2, v22
	s_waitcnt vmcnt(48)
	v_mul_f32_e32 v157, v4, v23
	s_waitcnt vmcnt(47) lgkmcnt(5)
	v_mul_f32_e32 v158, v6, v24
	s_waitcnt vmcnt(46)
	v_mul_f32_e32 v159, v8, v27
	;; [unrolled: 4-line block ×6, first 2 shown]
	s_waitcnt vmcnt(37)
	v_fmac_f32_e32 v156, v3, v36
	v_mul_f32_e32 v3, v3, v22
	v_fma_f32 v2, v2, v36, -v3
	v_mul_f32_e32 v3, v5, v23
	v_add_f32_e32 v2, 0, v2
	s_waitcnt vmcnt(36)
	v_fma_f32 v3, v4, v37, -v3
	v_add_f32_e32 v2, v2, v3
	v_mul_f32_e32 v3, v7, v24
	s_waitcnt vmcnt(35)
	v_fma_f32 v3, v6, v38, -v3
	v_fmac_f32_e32 v157, v5, v37
	v_add_f32_e32 v156, 0, v156
	v_add_f32_e32 v2, v2, v3
	v_mul_f32_e32 v3, v9, v27
	v_fmac_f32_e32 v158, v7, v38
	v_add_f32_e32 v156, v156, v157
	s_waitcnt vmcnt(34)
	v_fma_f32 v3, v8, v39, -v3
	v_fmac_f32_e32 v159, v9, v39
	v_add_f32_e32 v156, v156, v158
	v_add_f32_e32 v2, v2, v3
	v_mul_f32_e32 v3, v11, v28
	s_waitcnt vmcnt(33)
	v_fmac_f32_e32 v160, v11, v40
	v_add_f32_e32 v156, v156, v159
	v_fma_f32 v3, v10, v40, -v3
	s_waitcnt vmcnt(32)
	v_fmac_f32_e32 v161, v13, v41
	v_add_f32_e32 v156, v156, v160
	v_add_f32_e32 v2, v2, v3
	v_mul_f32_e32 v3, v13, v29
	s_waitcnt vmcnt(31)
	v_fmac_f32_e32 v162, v15, v42
	v_add_f32_e32 v156, v156, v161
	v_fma_f32 v3, v12, v41, -v3
	s_waitcnt vmcnt(30)
	;; [unrolled: 9-line block ×3, first 2 shown]
	v_fmac_f32_e32 v165, v21, v45
	v_add_f32_e32 v156, v156, v164
	v_add_f32_e32 v2, v2, v3
	v_mul_f32_e32 v3, v17, v31
	s_waitcnt vmcnt(27)
	v_fmac_f32_e32 v166, v149, v46
	v_add_f32_e32 v156, v156, v165
	v_fma_f32 v3, v16, v43, -v3
	v_add_f32_e32 v156, v156, v166
	s_waitcnt vmcnt(26)
	v_fmac_f32_e32 v167, v151, v47
	v_add_f32_e32 v2, v2, v3
	v_mul_f32_e32 v3, v19, v32
	v_add_f32_e32 v160, v156, v167
	ds_read2_b64 v[156:159], v1 offset0:113 offset1:114
	v_fma_f32 v3, v18, v44, -v3
	s_waitcnt vmcnt(25) lgkmcnt(1)
	v_mul_f32_e32 v161, v152, v48
	v_add_f32_e32 v2, v2, v3
	v_mul_f32_e32 v3, v21, v33
	s_waitcnt vmcnt(24)
	v_fmac_f32_e32 v161, v153, v49
	v_fma_f32 v3, v20, v45, -v3
	v_add_f32_e32 v160, v160, v161
	s_waitcnt vmcnt(23)
	v_mul_f32_e32 v161, v154, v50
	v_add_f32_e32 v2, v2, v3
	v_mul_f32_e32 v3, v149, v34
	s_waitcnt vmcnt(22)
	v_fmac_f32_e32 v161, v155, v51
	v_fma_f32 v3, v148, v46, -v3
	v_add_f32_e32 v160, v160, v161
	s_waitcnt vmcnt(21) lgkmcnt(0)
	v_mul_f32_e32 v161, v156, v52
	v_add_f32_e32 v2, v2, v3
	v_mul_f32_e32 v3, v151, v35
	s_waitcnt vmcnt(20)
	v_fmac_f32_e32 v161, v157, v53
	v_fma_f32 v3, v150, v47, -v3
	v_add_f32_e32 v164, v160, v161
	ds_read2_b64 v[160:163], v1 offset0:115 offset1:116
	v_add_f32_e32 v2, v2, v3
	v_mul_f32_e32 v3, v153, v48
	v_fma_f32 v3, v152, v49, -v3
	s_waitcnt vmcnt(19)
	v_mul_f32_e32 v165, v158, v54
	v_add_f32_e32 v2, v2, v3
	v_mul_f32_e32 v3, v155, v50
	s_waitcnt vmcnt(18)
	v_fmac_f32_e32 v165, v159, v55
	v_fma_f32 v3, v154, v51, -v3
	v_add_f32_e32 v168, v164, v165
	ds_read2_b64 v[164:167], v1 offset0:117 offset1:118
	v_add_f32_e32 v2, v2, v3
	v_mul_f32_e32 v3, v157, v52
	s_waitcnt vmcnt(17) lgkmcnt(1)
	v_mul_f32_e32 v169, v160, v56
	v_fma_f32 v3, v156, v53, -v3
	s_waitcnt vmcnt(16)
	v_fmac_f32_e32 v169, v161, v57
	v_add_f32_e32 v2, v2, v3
	v_mul_f32_e32 v3, v159, v54
	v_add_f32_e32 v168, v168, v169
	s_waitcnt vmcnt(15)
	v_mul_f32_e32 v169, v162, v58
	v_fma_f32 v3, v158, v55, -v3
	s_waitcnt vmcnt(14)
	v_fmac_f32_e32 v169, v163, v59
	v_add_f32_e32 v2, v2, v3
	v_mul_f32_e32 v3, v161, v56
	v_add_f32_e32 v168, v168, v169
	s_waitcnt vmcnt(13) lgkmcnt(0)
	v_mul_f32_e32 v169, v164, v60
	v_fma_f32 v3, v160, v57, -v3
	s_waitcnt vmcnt(12)
	v_fmac_f32_e32 v169, v165, v61
	v_add_f32_e32 v2, v2, v3
	v_mul_f32_e32 v3, v163, v58
	v_add_f32_e32 v172, v168, v169
	ds_read2_b64 v[168:171], v1 offset0:119 offset1:120
	v_fma_f32 v3, v162, v59, -v3
	v_add_f32_e32 v2, v2, v3
	v_mul_f32_e32 v3, v165, v60
	s_waitcnt vmcnt(11)
	v_mul_f32_e32 v173, v166, v62
	v_fma_f32 v3, v164, v61, -v3
	s_waitcnt vmcnt(10)
	v_fmac_f32_e32 v173, v167, v63
	v_add_f32_e32 v2, v2, v3
	v_mul_f32_e32 v3, v167, v62
	v_add_f32_e32 v179, v172, v173
	ds_read2_b64 v[172:175], v1 offset0:121 offset1:122
	v_fma_f32 v3, v166, v63, -v3
	v_add_f32_e32 v2, v2, v3
	s_waitcnt vmcnt(7) lgkmcnt(1)
	v_mul_f32_e32 v3, v169, v66
	v_mul_f32_e32 v1, v168, v66
	s_waitcnt vmcnt(6)
	v_fma_f32 v3, v168, v67, -v3
	v_fmac_f32_e32 v1, v169, v67
	v_add_f32_e32 v2, v2, v3
	s_waitcnt vmcnt(4)
	v_mul_f32_e32 v3, v171, v69
	v_add_f32_e32 v1, v179, v1
	v_mul_f32_e32 v179, v170, v69
	v_fma_f32 v3, v170, v68, -v3
	v_fmac_f32_e32 v179, v171, v68
	v_add_f32_e32 v2, v2, v3
	s_waitcnt vmcnt(2) lgkmcnt(0)
	v_mul_f32_e32 v3, v173, v176
	v_add_f32_e32 v1, v1, v179
	v_mul_f32_e32 v179, v172, v176
	v_fma_f32 v3, v172, v70, -v3
	v_fmac_f32_e32 v179, v173, v70
	v_add_f32_e32 v2, v2, v3
	s_waitcnt vmcnt(0)
	v_mul_f32_e32 v3, v175, v178
	v_add_f32_e32 v1, v1, v179
	v_mul_f32_e32 v179, v174, v178
	v_fma_f32 v3, v174, v177, -v3
	v_fmac_f32_e32 v179, v175, v177
	v_add_f32_e32 v2, v2, v3
	v_add_f32_e32 v1, v1, v179
	v_sub_f32_e32 v2, v64, v2
	v_sub_f32_e32 v1, v65, v1
	buffer_store_dword v2, off, s[0:3], 0 offset:288
	buffer_store_dword v1, off, s[0:3], 0 offset:292
	s_and_saveexec_b64 s[4:5], vcc
	s_cbranch_execz .LBB124_309
; %bb.308:
	buffer_load_dword v1, off, s[0:3], 0 offset:280
	buffer_load_dword v2, off, s[0:3], 0 offset:284
	v_mov_b32_e32 v3, 0
	buffer_store_dword v3, off, s[0:3], 0 offset:280
	buffer_store_dword v3, off, s[0:3], 0 offset:284
	s_waitcnt vmcnt(2)
	ds_write_b64 v147, v[1:2]
.LBB124_309:
	s_or_b64 exec, exec, s[4:5]
	s_waitcnt lgkmcnt(0)
	; wave barrier
	buffer_load_dword v24, off, s[0:3], 0 offset:292
	buffer_load_dword v27, off, s[0:3], 0 offset:300
	;; [unrolled: 1-line block ×52, first 2 shown]
	v_mov_b32_e32 v1, 0
	ds_read_b128 v[2:5], v1 offset:784
	ds_read_b128 v[6:9], v1 offset:800
	ds_read_b128 v[10:13], v1 offset:816
	ds_read_b128 v[14:17], v1 offset:832
	ds_read_b128 v[18:21], v1 offset:848
	ds_read_b128 v[148:151], v1 offset:864
	ds_read_b128 v[168:171], v1 offset:944
	ds_read_b128 v[172:175], v1 offset:960
	v_cmp_lt_u32_e32 vcc, 34, v0
	ds_read_b128 v[164:167], v1 offset:928
	s_waitcnt vmcnt(51) lgkmcnt(8)
	v_mul_f32_e32 v22, v2, v24
	s_waitcnt vmcnt(50)
	v_mul_f32_e32 v23, v4, v27
	s_waitcnt vmcnt(49) lgkmcnt(7)
	v_mul_f32_e32 v152, v6, v28
	s_waitcnt vmcnt(48)
	v_mul_f32_e32 v153, v8, v29
	;; [unrolled: 4-line block ×5, first 2 shown]
	s_waitcnt vmcnt(41) lgkmcnt(3)
	v_mul_f32_e32 v160, v148, v36
	s_waitcnt vmcnt(40)
	v_fmac_f32_e32 v22, v3, v37
	v_mul_f32_e32 v3, v3, v24
	v_fma_f32 v2, v2, v37, -v3
	v_mul_f32_e32 v3, v5, v27
	v_add_f32_e32 v2, 0, v2
	s_waitcnt vmcnt(39)
	v_fma_f32 v3, v4, v38, -v3
	v_add_f32_e32 v2, v2, v3
	v_mul_f32_e32 v3, v7, v28
	s_waitcnt vmcnt(38)
	v_fma_f32 v3, v6, v39, -v3
	v_add_f32_e32 v2, v2, v3
	v_mul_f32_e32 v3, v9, v29
	;; [unrolled: 4-line block ×4, first 2 shown]
	s_waitcnt vmcnt(35)
	v_fma_f32 v3, v12, v42, -v3
	v_fmac_f32_e32 v23, v5, v38
	v_add_f32_e32 v22, 0, v22
	v_add_f32_e32 v2, v2, v3
	v_mul_f32_e32 v3, v15, v32
	v_fmac_f32_e32 v152, v7, v39
	v_add_f32_e32 v22, v22, v23
	s_waitcnt vmcnt(34)
	v_fma_f32 v3, v14, v43, -v3
	v_fmac_f32_e32 v153, v9, v40
	v_add_f32_e32 v22, v22, v152
	v_add_f32_e32 v2, v2, v3
	v_mul_f32_e32 v3, v17, v33
	v_fmac_f32_e32 v154, v11, v41
	v_add_f32_e32 v22, v22, v153
	;; [unrolled: 8-line block ×3, first 2 shown]
	s_waitcnt vmcnt(32)
	v_fma_f32 v3, v18, v45, -v3
	v_fmac_f32_e32 v157, v17, v44
	v_add_f32_e32 v22, v22, v156
	ds_read_b128 v[152:155], v1 offset:880
	v_add_f32_e32 v2, v2, v3
	v_mul_f32_e32 v3, v21, v35
	v_fmac_f32_e32 v158, v19, v45
	v_add_f32_e32 v22, v22, v157
	s_waitcnt vmcnt(31)
	v_fma_f32 v3, v20, v46, -v3
	v_fmac_f32_e32 v159, v21, v46
	v_add_f32_e32 v22, v22, v158
	v_add_f32_e32 v2, v2, v3
	v_mul_f32_e32 v3, v149, v36
	v_add_f32_e32 v22, v22, v159
	s_waitcnt vmcnt(30)
	v_fmac_f32_e32 v160, v149, v47
	s_waitcnt vmcnt(29)
	v_mul_f32_e32 v23, v150, v48
	v_fma_f32 v3, v148, v47, -v3
	v_add_f32_e32 v22, v22, v160
	s_waitcnt vmcnt(28)
	v_fmac_f32_e32 v23, v151, v49
	ds_read_b128 v[156:159], v1 offset:896
	v_add_f32_e32 v2, v2, v3
	v_mul_f32_e32 v3, v151, v48
	v_add_f32_e32 v22, v22, v23
	s_waitcnt vmcnt(27) lgkmcnt(1)
	v_mul_f32_e32 v23, v152, v50
	v_fma_f32 v3, v150, v49, -v3
	s_waitcnt vmcnt(26)
	v_fmac_f32_e32 v23, v153, v51
	v_add_f32_e32 v2, v2, v3
	v_mul_f32_e32 v3, v153, v50
	v_add_f32_e32 v22, v22, v23
	s_waitcnt vmcnt(25)
	v_mul_f32_e32 v23, v154, v52
	v_fma_f32 v3, v152, v51, -v3
	s_waitcnt vmcnt(24)
	v_fmac_f32_e32 v23, v155, v53
	ds_read_b128 v[160:163], v1 offset:912
	v_add_f32_e32 v2, v2, v3
	v_mul_f32_e32 v3, v155, v52
	v_add_f32_e32 v22, v22, v23
	s_waitcnt vmcnt(23) lgkmcnt(1)
	v_mul_f32_e32 v23, v156, v54
	v_fma_f32 v3, v154, v53, -v3
	s_waitcnt vmcnt(22)
	v_fmac_f32_e32 v23, v157, v55
	v_add_f32_e32 v2, v2, v3
	v_mul_f32_e32 v3, v157, v54
	v_add_f32_e32 v22, v22, v23
	s_waitcnt vmcnt(21)
	v_mul_f32_e32 v23, v158, v56
	v_fma_f32 v3, v156, v55, -v3
	s_waitcnt vmcnt(20)
	v_fmac_f32_e32 v23, v159, v57
	v_add_f32_e32 v2, v2, v3
	v_mul_f32_e32 v3, v159, v56
	v_add_f32_e32 v22, v22, v23
	s_waitcnt vmcnt(19) lgkmcnt(0)
	v_mul_f32_e32 v23, v160, v58
	v_fma_f32 v3, v158, v57, -v3
	s_waitcnt vmcnt(18)
	v_fmac_f32_e32 v23, v161, v59
	v_add_f32_e32 v2, v2, v3
	v_mul_f32_e32 v3, v161, v58
	v_add_f32_e32 v22, v22, v23
	s_waitcnt vmcnt(17)
	v_mul_f32_e32 v23, v162, v60
	v_fma_f32 v3, v160, v59, -v3
	s_waitcnt vmcnt(16)
	v_fmac_f32_e32 v23, v163, v61
	v_add_f32_e32 v2, v2, v3
	v_mul_f32_e32 v3, v163, v60
	v_add_f32_e32 v22, v22, v23
	s_waitcnt vmcnt(14)
	v_mul_f32_e32 v23, v164, v63
	v_fma_f32 v3, v162, v61, -v3
	v_fmac_f32_e32 v23, v165, v62
	v_add_f32_e32 v2, v2, v3
	v_mul_f32_e32 v3, v165, v63
	v_add_f32_e32 v22, v22, v23
	s_waitcnt vmcnt(11)
	v_mul_f32_e32 v23, v166, v66
	v_fma_f32 v3, v164, v62, -v3
	s_waitcnt vmcnt(10)
	v_fmac_f32_e32 v23, v167, v67
	v_add_f32_e32 v2, v2, v3
	v_mul_f32_e32 v3, v167, v66
	v_add_f32_e32 v22, v22, v23
	s_waitcnt vmcnt(8)
	v_mul_f32_e32 v23, v168, v69
	v_fma_f32 v3, v166, v67, -v3
	v_fmac_f32_e32 v23, v169, v68
	v_add_f32_e32 v2, v2, v3
	v_mul_f32_e32 v3, v169, v69
	v_add_f32_e32 v22, v22, v23
	s_waitcnt vmcnt(6)
	v_mul_f32_e32 v23, v170, v176
	v_fma_f32 v3, v168, v68, -v3
	v_fmac_f32_e32 v23, v171, v70
	v_add_f32_e32 v2, v2, v3
	v_mul_f32_e32 v3, v171, v176
	v_add_f32_e32 v183, v22, v23
	ds_read_b64 v[22:23], v1 offset:976
	v_fma_f32 v3, v170, v70, -v3
	v_add_f32_e32 v2, v2, v3
	s_waitcnt vmcnt(4)
	v_mul_f32_e32 v3, v173, v178
	v_mul_f32_e32 v184, v172, v178
	v_fma_f32 v3, v172, v177, -v3
	v_fmac_f32_e32 v184, v173, v177
	v_add_f32_e32 v2, v2, v3
	s_waitcnt vmcnt(2)
	v_mul_f32_e32 v3, v175, v180
	v_add_f32_e32 v183, v183, v184
	v_mul_f32_e32 v184, v174, v180
	v_fma_f32 v3, v174, v179, -v3
	v_fmac_f32_e32 v184, v175, v179
	v_add_f32_e32 v2, v2, v3
	s_waitcnt vmcnt(0) lgkmcnt(0)
	v_mul_f32_e32 v3, v23, v182
	v_add_f32_e32 v183, v183, v184
	v_mul_f32_e32 v184, v22, v182
	v_fma_f32 v3, v22, v181, -v3
	v_fmac_f32_e32 v184, v23, v181
	v_add_f32_e32 v2, v2, v3
	v_add_f32_e32 v183, v183, v184
	v_sub_f32_e32 v2, v64, v2
	v_sub_f32_e32 v3, v65, v183
	buffer_store_dword v2, off, s[0:3], 0 offset:280
	buffer_store_dword v3, off, s[0:3], 0 offset:284
	s_and_saveexec_b64 s[4:5], vcc
	s_cbranch_execz .LBB124_311
; %bb.310:
	buffer_load_dword v2, off, s[0:3], 0 offset:272
	buffer_load_dword v3, off, s[0:3], 0 offset:276
	s_waitcnt vmcnt(0)
	ds_write_b64 v147, v[2:3]
	buffer_store_dword v1, off, s[0:3], 0 offset:272
	buffer_store_dword v1, off, s[0:3], 0 offset:276
.LBB124_311:
	s_or_b64 exec, exec, s[4:5]
	s_waitcnt lgkmcnt(0)
	; wave barrier
	buffer_load_dword v22, off, s[0:3], 0 offset:284
	buffer_load_dword v23, off, s[0:3], 0 offset:292
	buffer_load_dword v24, off, s[0:3], 0 offset:300
	buffer_load_dword v27, off, s[0:3], 0 offset:308
	buffer_load_dword v28, off, s[0:3], 0 offset:316
	buffer_load_dword v29, off, s[0:3], 0 offset:324
	buffer_load_dword v30, off, s[0:3], 0 offset:332
	buffer_load_dword v31, off, s[0:3], 0 offset:340
	buffer_load_dword v32, off, s[0:3], 0 offset:348
	buffer_load_dword v33, off, s[0:3], 0 offset:356
	buffer_load_dword v34, off, s[0:3], 0 offset:280
	buffer_load_dword v35, off, s[0:3], 0 offset:288
	buffer_load_dword v36, off, s[0:3], 0 offset:296
	buffer_load_dword v37, off, s[0:3], 0 offset:304
	buffer_load_dword v38, off, s[0:3], 0 offset:312
	buffer_load_dword v39, off, s[0:3], 0 offset:320
	buffer_load_dword v40, off, s[0:3], 0 offset:328
	buffer_load_dword v41, off, s[0:3], 0 offset:336
	buffer_load_dword v42, off, s[0:3], 0 offset:344
	buffer_load_dword v43, off, s[0:3], 0 offset:352
	buffer_load_dword v44, off, s[0:3], 0 offset:364
	buffer_load_dword v45, off, s[0:3], 0 offset:360
	buffer_load_dword v46, off, s[0:3], 0 offset:372
	buffer_load_dword v47, off, s[0:3], 0 offset:368
	buffer_load_dword v48, off, s[0:3], 0 offset:380
	buffer_load_dword v49, off, s[0:3], 0 offset:376
	buffer_load_dword v50, off, s[0:3], 0 offset:388
	buffer_load_dword v51, off, s[0:3], 0 offset:384
	buffer_load_dword v52, off, s[0:3], 0 offset:396
	buffer_load_dword v53, off, s[0:3], 0 offset:392
	buffer_load_dword v54, off, s[0:3], 0 offset:404
	buffer_load_dword v55, off, s[0:3], 0 offset:400
	buffer_load_dword v56, off, s[0:3], 0 offset:412
	buffer_load_dword v57, off, s[0:3], 0 offset:408
	buffer_load_dword v58, off, s[0:3], 0 offset:416
	buffer_load_dword v59, off, s[0:3], 0 offset:420
	buffer_load_dword v60, off, s[0:3], 0 offset:272
	buffer_load_dword v61, off, s[0:3], 0 offset:276
	buffer_load_dword v62, off, s[0:3], 0 offset:428
	buffer_load_dword v63, off, s[0:3], 0 offset:424
	buffer_load_dword v64, off, s[0:3], 0 offset:432
	buffer_load_dword v65, off, s[0:3], 0 offset:436
	ds_read2_b64 v[2:5], v1 offset0:97 offset1:98
	ds_read2_b64 v[6:9], v1 offset0:99 offset1:100
	;; [unrolled: 1-line block ×4, first 2 shown]
	buffer_load_dword v66, off, s[0:3], 0 offset:444
	buffer_load_dword v67, off, s[0:3], 0 offset:440
	;; [unrolled: 1-line block ×6, first 2 shown]
	ds_read2_b64 v[18:21], v1 offset0:105 offset1:106
	ds_read2_b64 v[148:151], v1 offset0:107 offset1:108
	buffer_load_dword v181, off, s[0:3], 0 offset:464
	buffer_load_dword v182, off, s[0:3], 0 offset:468
	;; [unrolled: 1-line block ×6, first 2 shown]
	v_cmp_lt_u32_e32 vcc, 33, v0
	s_waitcnt vmcnt(53) lgkmcnt(5)
	v_mul_f32_e32 v152, v2, v22
	s_waitcnt vmcnt(52)
	v_mul_f32_e32 v153, v4, v23
	s_waitcnt vmcnt(51) lgkmcnt(4)
	v_mul_f32_e32 v154, v6, v24
	s_waitcnt vmcnt(50)
	v_mul_f32_e32 v155, v8, v27
	;; [unrolled: 4-line block ×5, first 2 shown]
	s_waitcnt vmcnt(43)
	v_fmac_f32_e32 v152, v3, v34
	v_mul_f32_e32 v3, v3, v22
	s_waitcnt vmcnt(42)
	v_fmac_f32_e32 v153, v5, v35
	v_add_f32_e32 v152, 0, v152
	v_fma_f32 v2, v2, v34, -v3
	v_mul_f32_e32 v3, v5, v23
	s_waitcnt vmcnt(41)
	v_fmac_f32_e32 v154, v7, v36
	v_add_f32_e32 v152, v152, v153
	v_add_f32_e32 v2, 0, v2
	v_fma_f32 v3, v4, v35, -v3
	s_waitcnt vmcnt(40)
	v_fmac_f32_e32 v155, v9, v37
	v_add_f32_e32 v152, v152, v154
	v_add_f32_e32 v2, v2, v3
	v_mul_f32_e32 v3, v7, v24
	s_waitcnt vmcnt(39)
	v_fmac_f32_e32 v156, v11, v38
	v_add_f32_e32 v152, v152, v155
	v_fma_f32 v3, v6, v36, -v3
	s_waitcnt vmcnt(38)
	v_fmac_f32_e32 v157, v13, v39
	v_add_f32_e32 v152, v152, v156
	v_add_f32_e32 v2, v2, v3
	v_mul_f32_e32 v3, v9, v27
	s_waitcnt vmcnt(37)
	v_fmac_f32_e32 v158, v15, v40
	;; [unrolled: 9-line block ×3, first 2 shown]
	v_add_f32_e32 v152, v152, v159
	v_fma_f32 v3, v10, v38, -v3
	s_waitcnt vmcnt(34)
	v_fmac_f32_e32 v161, v21, v43
	v_add_f32_e32 v152, v152, v160
	s_waitcnt vmcnt(33) lgkmcnt(0)
	v_mul_f32_e32 v153, v148, v44
	v_add_f32_e32 v2, v2, v3
	v_mul_f32_e32 v3, v13, v29
	v_add_f32_e32 v152, v152, v161
	s_waitcnt vmcnt(32)
	v_fmac_f32_e32 v153, v149, v45
	v_fma_f32 v3, v12, v39, -v3
	v_add_f32_e32 v156, v152, v153
	ds_read2_b64 v[152:155], v1 offset0:109 offset1:110
	v_add_f32_e32 v2, v2, v3
	v_mul_f32_e32 v3, v15, v30
	v_fma_f32 v3, v14, v40, -v3
	s_waitcnt vmcnt(31)
	v_mul_f32_e32 v157, v150, v46
	v_add_f32_e32 v2, v2, v3
	v_mul_f32_e32 v3, v17, v31
	s_waitcnt vmcnt(30)
	v_fmac_f32_e32 v157, v151, v47
	v_fma_f32 v3, v16, v41, -v3
	v_add_f32_e32 v160, v156, v157
	ds_read2_b64 v[156:159], v1 offset0:111 offset1:112
	v_add_f32_e32 v2, v2, v3
	v_mul_f32_e32 v3, v19, v32
	s_waitcnt vmcnt(29) lgkmcnt(1)
	v_mul_f32_e32 v161, v152, v48
	v_fma_f32 v3, v18, v42, -v3
	s_waitcnt vmcnt(28)
	v_fmac_f32_e32 v161, v153, v49
	v_add_f32_e32 v2, v2, v3
	v_mul_f32_e32 v3, v21, v33
	v_add_f32_e32 v160, v160, v161
	s_waitcnt vmcnt(27)
	v_mul_f32_e32 v161, v154, v50
	v_fma_f32 v3, v20, v43, -v3
	s_waitcnt vmcnt(26)
	v_fmac_f32_e32 v161, v155, v51
	v_add_f32_e32 v2, v2, v3
	v_mul_f32_e32 v3, v149, v44
	v_add_f32_e32 v160, v160, v161
	s_waitcnt vmcnt(25) lgkmcnt(0)
	v_mul_f32_e32 v161, v156, v52
	v_fma_f32 v3, v148, v45, -v3
	s_waitcnt vmcnt(24)
	v_fmac_f32_e32 v161, v157, v53
	v_add_f32_e32 v2, v2, v3
	v_mul_f32_e32 v3, v151, v46
	v_add_f32_e32 v164, v160, v161
	ds_read2_b64 v[160:163], v1 offset0:113 offset1:114
	v_fma_f32 v3, v150, v47, -v3
	v_add_f32_e32 v2, v2, v3
	v_mul_f32_e32 v3, v153, v48
	s_waitcnt vmcnt(23)
	v_mul_f32_e32 v165, v158, v54
	v_fma_f32 v3, v152, v49, -v3
	s_waitcnt vmcnt(22)
	v_fmac_f32_e32 v165, v159, v55
	v_add_f32_e32 v2, v2, v3
	v_mul_f32_e32 v3, v155, v50
	v_add_f32_e32 v168, v164, v165
	ds_read2_b64 v[164:167], v1 offset0:115 offset1:116
	v_fma_f32 v3, v154, v51, -v3
	s_waitcnt vmcnt(21) lgkmcnt(1)
	v_mul_f32_e32 v169, v160, v56
	v_add_f32_e32 v2, v2, v3
	v_mul_f32_e32 v3, v157, v52
	s_waitcnt vmcnt(20)
	v_fmac_f32_e32 v169, v161, v57
	v_fma_f32 v3, v156, v53, -v3
	v_add_f32_e32 v168, v168, v169
	s_waitcnt vmcnt(18)
	v_mul_f32_e32 v169, v162, v59
	v_add_f32_e32 v2, v2, v3
	v_mul_f32_e32 v3, v159, v54
	v_fmac_f32_e32 v169, v163, v58
	v_fma_f32 v3, v158, v55, -v3
	v_add_f32_e32 v168, v168, v169
	s_waitcnt vmcnt(15) lgkmcnt(0)
	v_mul_f32_e32 v169, v164, v62
	v_add_f32_e32 v2, v2, v3
	v_mul_f32_e32 v3, v161, v56
	s_waitcnt vmcnt(14)
	v_fmac_f32_e32 v169, v165, v63
	v_fma_f32 v3, v160, v57, -v3
	v_add_f32_e32 v172, v168, v169
	ds_read2_b64 v[168:171], v1 offset0:117 offset1:118
	v_add_f32_e32 v2, v2, v3
	v_mul_f32_e32 v3, v163, v59
	v_fma_f32 v3, v162, v58, -v3
	v_add_f32_e32 v2, v2, v3
	v_mul_f32_e32 v3, v165, v62
	s_waitcnt vmcnt(12)
	v_mul_f32_e32 v173, v166, v65
	v_fma_f32 v3, v164, v63, -v3
	v_fmac_f32_e32 v173, v167, v64
	v_add_f32_e32 v2, v2, v3
	v_mul_f32_e32 v3, v167, v65
	v_add_f32_e32 v176, v172, v173
	ds_read2_b64 v[172:175], v1 offset0:119 offset1:120
	s_waitcnt vmcnt(11) lgkmcnt(1)
	v_mul_f32_e32 v177, v168, v66
	v_fma_f32 v3, v166, v64, -v3
	s_waitcnt vmcnt(10)
	v_fmac_f32_e32 v177, v169, v67
	v_add_f32_e32 v2, v2, v3
	v_mul_f32_e32 v3, v169, v66
	v_add_f32_e32 v176, v176, v177
	s_waitcnt vmcnt(8)
	v_mul_f32_e32 v177, v170, v69
	v_fma_f32 v3, v168, v67, -v3
	v_fmac_f32_e32 v177, v171, v68
	v_add_f32_e32 v2, v2, v3
	v_mul_f32_e32 v3, v171, v69
	v_add_f32_e32 v187, v176, v177
	ds_read2_b64 v[176:179], v1 offset0:121 offset1:122
	v_fma_f32 v3, v170, v68, -v3
	v_add_f32_e32 v2, v2, v3
	s_waitcnt vmcnt(6) lgkmcnt(1)
	v_mul_f32_e32 v3, v173, v180
	v_mul_f32_e32 v188, v172, v180
	v_fma_f32 v3, v172, v70, -v3
	v_fmac_f32_e32 v188, v173, v70
	v_add_f32_e32 v2, v2, v3
	s_waitcnt vmcnt(4)
	v_mul_f32_e32 v3, v175, v182
	v_add_f32_e32 v1, v187, v188
	v_mul_f32_e32 v187, v174, v182
	v_fma_f32 v3, v174, v181, -v3
	v_fmac_f32_e32 v187, v175, v181
	v_add_f32_e32 v2, v2, v3
	s_waitcnt vmcnt(2) lgkmcnt(0)
	v_mul_f32_e32 v3, v177, v184
	v_add_f32_e32 v1, v1, v187
	v_mul_f32_e32 v187, v176, v184
	v_fma_f32 v3, v176, v183, -v3
	v_fmac_f32_e32 v187, v177, v183
	v_add_f32_e32 v2, v2, v3
	s_waitcnt vmcnt(0)
	v_mul_f32_e32 v3, v179, v186
	v_add_f32_e32 v1, v1, v187
	v_mul_f32_e32 v187, v178, v186
	v_fma_f32 v3, v178, v185, -v3
	v_fmac_f32_e32 v187, v179, v185
	v_add_f32_e32 v2, v2, v3
	v_add_f32_e32 v1, v1, v187
	v_sub_f32_e32 v2, v60, v2
	v_sub_f32_e32 v1, v61, v1
	buffer_store_dword v2, off, s[0:3], 0 offset:272
	buffer_store_dword v1, off, s[0:3], 0 offset:276
	s_and_saveexec_b64 s[4:5], vcc
	s_cbranch_execz .LBB124_313
; %bb.312:
	buffer_load_dword v1, off, s[0:3], 0 offset:264
	buffer_load_dword v2, off, s[0:3], 0 offset:268
	v_mov_b32_e32 v3, 0
	buffer_store_dword v3, off, s[0:3], 0 offset:264
	buffer_store_dword v3, off, s[0:3], 0 offset:268
	s_waitcnt vmcnt(2)
	ds_write_b64 v147, v[1:2]
.LBB124_313:
	s_or_b64 exec, exec, s[4:5]
	s_waitcnt lgkmcnt(0)
	; wave barrier
	buffer_load_dword v24, off, s[0:3], 0 offset:276
	buffer_load_dword v27, off, s[0:3], 0 offset:284
	;; [unrolled: 1-line block ×56, first 2 shown]
	v_mov_b32_e32 v1, 0
	ds_read_b128 v[2:5], v1 offset:768
	ds_read_b128 v[6:9], v1 offset:784
	;; [unrolled: 1-line block ×11, first 2 shown]
	v_cmp_lt_u32_e32 vcc, 32, v0
	s_waitcnt vmcnt(55) lgkmcnt(10)
	v_mul_f32_e32 v22, v2, v24
	s_waitcnt vmcnt(54)
	v_mul_f32_e32 v23, v4, v27
	s_waitcnt vmcnt(53) lgkmcnt(9)
	v_mul_f32_e32 v152, v6, v28
	s_waitcnt vmcnt(52)
	v_mul_f32_e32 v153, v8, v29
	s_waitcnt vmcnt(51) lgkmcnt(8)
	v_mul_f32_e32 v154, v10, v30
	s_waitcnt vmcnt(50)
	v_mul_f32_e32 v155, v12, v31
	s_waitcnt vmcnt(49) lgkmcnt(7)
	v_mul_f32_e32 v156, v14, v32
	s_waitcnt vmcnt(48)
	v_mul_f32_e32 v157, v16, v33
	s_waitcnt vmcnt(47) lgkmcnt(6)
	v_mul_f32_e32 v158, v18, v34
	s_waitcnt vmcnt(46)
	v_fmac_f32_e32 v22, v3, v35
	v_mul_f32_e32 v3, v3, v24
	v_fma_f32 v2, v2, v35, -v3
	v_mul_f32_e32 v3, v5, v27
	v_add_f32_e32 v2, 0, v2
	s_waitcnt vmcnt(45)
	v_fma_f32 v3, v4, v36, -v3
	v_add_f32_e32 v2, v2, v3
	v_mul_f32_e32 v3, v7, v28
	s_waitcnt vmcnt(44)
	v_fma_f32 v3, v6, v37, -v3
	v_add_f32_e32 v2, v2, v3
	v_mul_f32_e32 v3, v9, v29
	;; [unrolled: 4-line block ×3, first 2 shown]
	s_waitcnt vmcnt(42)
	v_fma_f32 v3, v10, v39, -v3
	v_fmac_f32_e32 v23, v5, v36
	v_add_f32_e32 v22, 0, v22
	v_add_f32_e32 v2, v2, v3
	v_mul_f32_e32 v3, v13, v31
	v_fmac_f32_e32 v152, v7, v37
	v_add_f32_e32 v22, v22, v23
	s_waitcnt vmcnt(41)
	v_fma_f32 v3, v12, v40, -v3
	v_fmac_f32_e32 v153, v9, v38
	v_add_f32_e32 v22, v22, v152
	v_add_f32_e32 v2, v2, v3
	v_mul_f32_e32 v3, v15, v32
	v_fmac_f32_e32 v154, v11, v39
	v_add_f32_e32 v22, v22, v153
	;; [unrolled: 8-line block ×3, first 2 shown]
	s_waitcnt vmcnt(39)
	v_fma_f32 v3, v16, v42, -v3
	v_fmac_f32_e32 v157, v17, v42
	v_add_f32_e32 v22, v22, v156
	v_add_f32_e32 v2, v2, v3
	v_mul_f32_e32 v3, v19, v34
	v_add_f32_e32 v22, v22, v157
	s_waitcnt vmcnt(38)
	v_fmac_f32_e32 v158, v19, v43
	s_waitcnt vmcnt(37)
	v_mul_f32_e32 v23, v20, v44
	v_fma_f32 v3, v18, v43, -v3
	v_add_f32_e32 v22, v22, v158
	s_waitcnt vmcnt(36)
	v_fmac_f32_e32 v23, v21, v45
	ds_read_b128 v[152:155], v1 offset:864
	ds_read_b128 v[156:159], v1 offset:880
	v_add_f32_e32 v2, v2, v3
	v_mul_f32_e32 v3, v21, v44
	v_add_f32_e32 v22, v22, v23
	s_waitcnt vmcnt(35) lgkmcnt(7)
	v_mul_f32_e32 v23, v148, v46
	v_fma_f32 v3, v20, v45, -v3
	s_waitcnt vmcnt(34)
	v_fmac_f32_e32 v23, v149, v47
	v_add_f32_e32 v2, v2, v3
	v_mul_f32_e32 v3, v149, v46
	v_add_f32_e32 v22, v22, v23
	s_waitcnt vmcnt(33)
	v_mul_f32_e32 v23, v150, v48
	v_fma_f32 v3, v148, v47, -v3
	s_waitcnt vmcnt(32)
	v_fmac_f32_e32 v23, v151, v49
	v_add_f32_e32 v2, v2, v3
	v_mul_f32_e32 v3, v151, v48
	v_add_f32_e32 v22, v22, v23
	s_waitcnt vmcnt(31) lgkmcnt(1)
	v_mul_f32_e32 v23, v152, v50
	v_fma_f32 v3, v150, v49, -v3
	s_waitcnt vmcnt(30)
	v_fmac_f32_e32 v23, v153, v51
	v_add_f32_e32 v2, v2, v3
	v_mul_f32_e32 v3, v153, v50
	v_add_f32_e32 v22, v22, v23
	s_waitcnt vmcnt(29)
	v_mul_f32_e32 v23, v154, v52
	v_fma_f32 v3, v152, v51, -v3
	s_waitcnt vmcnt(28)
	v_fmac_f32_e32 v23, v155, v53
	v_add_f32_e32 v2, v2, v3
	v_mul_f32_e32 v3, v155, v52
	v_add_f32_e32 v22, v22, v23
	s_waitcnt vmcnt(27) lgkmcnt(0)
	v_mul_f32_e32 v23, v156, v54
	v_fma_f32 v3, v154, v53, -v3
	s_waitcnt vmcnt(26)
	v_fmac_f32_e32 v23, v157, v55
	v_add_f32_e32 v2, v2, v3
	v_mul_f32_e32 v3, v157, v54
	v_add_f32_e32 v22, v22, v23
	s_waitcnt vmcnt(24)
	v_mul_f32_e32 v23, v158, v57
	v_fma_f32 v3, v156, v55, -v3
	v_fmac_f32_e32 v23, v159, v56
	v_add_f32_e32 v2, v2, v3
	v_mul_f32_e32 v3, v159, v57
	v_add_f32_e32 v22, v22, v23
	s_waitcnt vmcnt(21)
	v_mul_f32_e32 v23, v160, v60
	v_fma_f32 v3, v158, v56, -v3
	s_waitcnt vmcnt(20)
	v_fmac_f32_e32 v23, v161, v61
	v_add_f32_e32 v2, v2, v3
	v_mul_f32_e32 v3, v161, v60
	v_add_f32_e32 v22, v22, v23
	s_waitcnt vmcnt(18)
	v_mul_f32_e32 v23, v162, v63
	v_fma_f32 v3, v160, v61, -v3
	v_fmac_f32_e32 v23, v163, v62
	v_add_f32_e32 v2, v2, v3
	v_mul_f32_e32 v3, v163, v63
	v_add_f32_e32 v22, v22, v23
	s_waitcnt vmcnt(16)
	v_mul_f32_e32 v23, v164, v65
	v_fma_f32 v3, v162, v62, -v3
	;; [unrolled: 7-line block ×7, first 2 shown]
	v_fmac_f32_e32 v23, v175, v183
	v_add_f32_e32 v2, v2, v3
	v_mul_f32_e32 v3, v175, v184
	v_add_f32_e32 v191, v22, v23
	ds_read_b64 v[22:23], v1 offset:976
	v_fma_f32 v3, v174, v183, -v3
	v_add_f32_e32 v2, v2, v3
	s_waitcnt vmcnt(4)
	v_mul_f32_e32 v3, v177, v186
	v_mul_f32_e32 v192, v176, v186
	v_fma_f32 v3, v176, v185, -v3
	v_fmac_f32_e32 v192, v177, v185
	v_add_f32_e32 v2, v2, v3
	s_waitcnt vmcnt(2)
	v_mul_f32_e32 v3, v179, v188
	v_add_f32_e32 v191, v191, v192
	v_mul_f32_e32 v192, v178, v188
	v_fma_f32 v3, v178, v187, -v3
	v_fmac_f32_e32 v192, v179, v187
	v_add_f32_e32 v2, v2, v3
	s_waitcnt vmcnt(0) lgkmcnt(0)
	v_mul_f32_e32 v3, v23, v190
	v_add_f32_e32 v191, v191, v192
	v_mul_f32_e32 v192, v22, v190
	v_fma_f32 v3, v22, v189, -v3
	v_fmac_f32_e32 v192, v23, v189
	v_add_f32_e32 v2, v2, v3
	v_add_f32_e32 v191, v191, v192
	v_sub_f32_e32 v2, v58, v2
	v_sub_f32_e32 v3, v59, v191
	buffer_store_dword v2, off, s[0:3], 0 offset:264
	buffer_store_dword v3, off, s[0:3], 0 offset:268
	s_and_saveexec_b64 s[4:5], vcc
	s_cbranch_execz .LBB124_315
; %bb.314:
	buffer_load_dword v2, off, s[0:3], 0 offset:256
	buffer_load_dword v3, off, s[0:3], 0 offset:260
	s_waitcnt vmcnt(0)
	ds_write_b64 v147, v[2:3]
	buffer_store_dword v1, off, s[0:3], 0 offset:256
	buffer_store_dword v1, off, s[0:3], 0 offset:260
.LBB124_315:
	s_or_b64 exec, exec, s[4:5]
	s_waitcnt lgkmcnt(0)
	; wave barrier
	buffer_load_dword v22, off, s[0:3], 0 offset:268
	buffer_load_dword v23, off, s[0:3], 0 offset:276
	buffer_load_dword v24, off, s[0:3], 0 offset:284
	buffer_load_dword v27, off, s[0:3], 0 offset:292
	buffer_load_dword v28, off, s[0:3], 0 offset:300
	buffer_load_dword v29, off, s[0:3], 0 offset:308
	buffer_load_dword v30, off, s[0:3], 0 offset:316
	buffer_load_dword v31, off, s[0:3], 0 offset:324
	buffer_load_dword v32, off, s[0:3], 0 offset:264
	buffer_load_dword v33, off, s[0:3], 0 offset:272
	buffer_load_dword v34, off, s[0:3], 0 offset:280
	buffer_load_dword v35, off, s[0:3], 0 offset:288
	buffer_load_dword v36, off, s[0:3], 0 offset:296
	buffer_load_dword v37, off, s[0:3], 0 offset:304
	buffer_load_dword v38, off, s[0:3], 0 offset:312
	buffer_load_dword v39, off, s[0:3], 0 offset:320
	buffer_load_dword v40, off, s[0:3], 0 offset:332
	buffer_load_dword v41, off, s[0:3], 0 offset:328
	buffer_load_dword v42, off, s[0:3], 0 offset:340
	buffer_load_dword v43, off, s[0:3], 0 offset:336
	buffer_load_dword v44, off, s[0:3], 0 offset:348
	buffer_load_dword v45, off, s[0:3], 0 offset:344
	buffer_load_dword v46, off, s[0:3], 0 offset:356
	buffer_load_dword v47, off, s[0:3], 0 offset:352
	buffer_load_dword v48, off, s[0:3], 0 offset:364
	buffer_load_dword v49, off, s[0:3], 0 offset:360
	buffer_load_dword v50, off, s[0:3], 0 offset:372
	buffer_load_dword v51, off, s[0:3], 0 offset:368
	buffer_load_dword v52, off, s[0:3], 0 offset:380
	buffer_load_dword v53, off, s[0:3], 0 offset:376
	buffer_load_dword v54, off, s[0:3], 0 offset:256
	buffer_load_dword v55, off, s[0:3], 0 offset:260
	buffer_load_dword v56, off, s[0:3], 0 offset:388
	buffer_load_dword v57, off, s[0:3], 0 offset:384
	ds_read2_b64 v[2:5], v1 offset0:95 offset1:96
	ds_read2_b64 v[6:9], v1 offset0:97 offset1:98
	buffer_load_dword v58, off, s[0:3], 0 offset:396
	buffer_load_dword v59, off, s[0:3], 0 offset:392
	;; [unrolled: 1-line block ×6, first 2 shown]
	ds_read2_b64 v[10:13], v1 offset0:99 offset1:100
	ds_read2_b64 v[14:17], v1 offset0:101 offset1:102
	;; [unrolled: 1-line block ×4, first 2 shown]
	buffer_load_dword v64, off, s[0:3], 0 offset:420
	buffer_load_dword v65, off, s[0:3], 0 offset:416
	;; [unrolled: 1-line block ×18, first 2 shown]
	v_cmp_lt_u32_e32 vcc, 31, v0
	s_waitcnt vmcnt(57) lgkmcnt(5)
	v_mul_f32_e32 v152, v2, v22
	s_waitcnt vmcnt(56)
	v_mul_f32_e32 v153, v4, v23
	s_waitcnt vmcnt(55) lgkmcnt(4)
	v_mul_f32_e32 v154, v6, v24
	s_waitcnt vmcnt(54)
	v_mul_f32_e32 v155, v8, v27
	;; [unrolled: 4-line block ×4, first 2 shown]
	s_waitcnt vmcnt(49)
	v_fmac_f32_e32 v152, v3, v32
	s_waitcnt vmcnt(48)
	v_fmac_f32_e32 v153, v5, v33
	v_add_f32_e32 v152, 0, v152
	s_waitcnt vmcnt(47)
	v_fmac_f32_e32 v154, v7, v34
	v_add_f32_e32 v152, v152, v153
	;; [unrolled: 3-line block ×4, first 2 shown]
	v_mul_f32_e32 v3, v3, v22
	s_waitcnt vmcnt(44)
	v_fmac_f32_e32 v157, v13, v37
	v_add_f32_e32 v152, v152, v156
	v_fma_f32 v2, v2, v32, -v3
	v_mul_f32_e32 v3, v5, v23
	s_waitcnt vmcnt(43)
	v_fmac_f32_e32 v158, v15, v38
	v_add_f32_e32 v152, v152, v157
	v_add_f32_e32 v2, 0, v2
	v_fma_f32 v3, v4, v33, -v3
	s_waitcnt vmcnt(42)
	v_fmac_f32_e32 v159, v17, v39
	v_add_f32_e32 v152, v152, v158
	s_waitcnt vmcnt(41) lgkmcnt(1)
	v_mul_f32_e32 v153, v18, v40
	v_add_f32_e32 v2, v2, v3
	v_mul_f32_e32 v3, v7, v24
	v_add_f32_e32 v152, v152, v159
	s_waitcnt vmcnt(40)
	v_fmac_f32_e32 v153, v19, v41
	v_fma_f32 v3, v6, v34, -v3
	v_add_f32_e32 v152, v152, v153
	s_waitcnt vmcnt(39)
	v_mul_f32_e32 v153, v20, v42
	v_add_f32_e32 v2, v2, v3
	v_mul_f32_e32 v3, v9, v27
	s_waitcnt vmcnt(38)
	v_fmac_f32_e32 v153, v21, v43
	v_fma_f32 v3, v8, v35, -v3
	v_add_f32_e32 v152, v152, v153
	s_waitcnt vmcnt(37) lgkmcnt(0)
	v_mul_f32_e32 v153, v148, v44
	v_add_f32_e32 v2, v2, v3
	v_mul_f32_e32 v3, v11, v28
	s_waitcnt vmcnt(36)
	v_fmac_f32_e32 v153, v149, v45
	v_fma_f32 v3, v10, v36, -v3
	v_add_f32_e32 v156, v152, v153
	ds_read2_b64 v[152:155], v1 offset0:107 offset1:108
	v_add_f32_e32 v2, v2, v3
	v_mul_f32_e32 v3, v13, v29
	v_fma_f32 v3, v12, v37, -v3
	s_waitcnt vmcnt(35)
	v_mul_f32_e32 v157, v150, v46
	v_add_f32_e32 v2, v2, v3
	v_mul_f32_e32 v3, v15, v30
	s_waitcnt vmcnt(34)
	v_fmac_f32_e32 v157, v151, v47
	v_fma_f32 v3, v14, v38, -v3
	v_add_f32_e32 v160, v156, v157
	ds_read2_b64 v[156:159], v1 offset0:109 offset1:110
	v_add_f32_e32 v2, v2, v3
	v_mul_f32_e32 v3, v17, v31
	s_waitcnt vmcnt(33) lgkmcnt(1)
	v_mul_f32_e32 v161, v152, v48
	v_fma_f32 v3, v16, v39, -v3
	s_waitcnt vmcnt(32)
	v_fmac_f32_e32 v161, v153, v49
	v_add_f32_e32 v2, v2, v3
	v_mul_f32_e32 v3, v19, v40
	v_add_f32_e32 v160, v160, v161
	s_waitcnt vmcnt(31)
	v_mul_f32_e32 v161, v154, v50
	v_fma_f32 v3, v18, v41, -v3
	s_waitcnt vmcnt(30)
	v_fmac_f32_e32 v161, v155, v51
	v_add_f32_e32 v2, v2, v3
	v_mul_f32_e32 v3, v21, v42
	v_add_f32_e32 v160, v160, v161
	s_waitcnt vmcnt(29) lgkmcnt(0)
	v_mul_f32_e32 v161, v156, v52
	v_fma_f32 v3, v20, v43, -v3
	s_waitcnt vmcnt(28)
	v_fmac_f32_e32 v161, v157, v53
	v_add_f32_e32 v2, v2, v3
	v_mul_f32_e32 v3, v149, v44
	v_add_f32_e32 v164, v160, v161
	ds_read2_b64 v[160:163], v1 offset0:111 offset1:112
	v_fma_f32 v3, v148, v45, -v3
	v_add_f32_e32 v2, v2, v3
	v_mul_f32_e32 v3, v151, v46
	s_waitcnt vmcnt(25)
	v_mul_f32_e32 v165, v158, v56
	v_fma_f32 v3, v150, v47, -v3
	s_waitcnt vmcnt(24)
	v_fmac_f32_e32 v165, v159, v57
	v_add_f32_e32 v2, v2, v3
	v_mul_f32_e32 v3, v153, v48
	v_add_f32_e32 v168, v164, v165
	ds_read2_b64 v[164:167], v1 offset0:113 offset1:114
	v_fma_f32 v3, v152, v49, -v3
	s_waitcnt vmcnt(23) lgkmcnt(1)
	v_mul_f32_e32 v169, v160, v58
	v_add_f32_e32 v2, v2, v3
	v_mul_f32_e32 v3, v155, v50
	s_waitcnt vmcnt(22)
	v_fmac_f32_e32 v169, v161, v59
	v_fma_f32 v3, v154, v51, -v3
	v_add_f32_e32 v168, v168, v169
	s_waitcnt vmcnt(20)
	v_mul_f32_e32 v169, v162, v61
	v_add_f32_e32 v2, v2, v3
	v_mul_f32_e32 v3, v157, v52
	v_fmac_f32_e32 v169, v163, v60
	v_fma_f32 v3, v156, v53, -v3
	v_add_f32_e32 v168, v168, v169
	s_waitcnt vmcnt(18) lgkmcnt(0)
	v_mul_f32_e32 v169, v164, v63
	v_add_f32_e32 v2, v2, v3
	v_mul_f32_e32 v3, v159, v56
	v_fmac_f32_e32 v169, v165, v62
	v_fma_f32 v3, v158, v57, -v3
	v_add_f32_e32 v172, v168, v169
	ds_read2_b64 v[168:171], v1 offset0:115 offset1:116
	v_add_f32_e32 v2, v2, v3
	v_mul_f32_e32 v3, v161, v58
	v_fma_f32 v3, v160, v59, -v3
	s_waitcnt vmcnt(17)
	v_mul_f32_e32 v173, v166, v64
	v_add_f32_e32 v2, v2, v3
	v_mul_f32_e32 v3, v163, v61
	s_waitcnt vmcnt(16)
	v_fmac_f32_e32 v173, v167, v65
	v_fma_f32 v3, v162, v60, -v3
	v_add_f32_e32 v176, v172, v173
	ds_read2_b64 v[172:175], v1 offset0:117 offset1:118
	v_add_f32_e32 v2, v2, v3
	v_mul_f32_e32 v3, v165, v63
	s_waitcnt vmcnt(14) lgkmcnt(1)
	v_mul_f32_e32 v177, v168, v67
	v_fma_f32 v3, v164, v62, -v3
	v_fmac_f32_e32 v177, v169, v66
	v_add_f32_e32 v2, v2, v3
	v_mul_f32_e32 v3, v167, v64
	v_add_f32_e32 v176, v176, v177
	s_waitcnt vmcnt(12)
	v_mul_f32_e32 v177, v170, v69
	v_fma_f32 v3, v166, v65, -v3
	v_fmac_f32_e32 v177, v171, v68
	v_add_f32_e32 v2, v2, v3
	v_mul_f32_e32 v3, v169, v67
	v_add_f32_e32 v176, v176, v177
	s_waitcnt vmcnt(10) lgkmcnt(0)
	v_mul_f32_e32 v177, v172, v184
	v_fma_f32 v3, v168, v66, -v3
	v_fmac_f32_e32 v177, v173, v70
	v_add_f32_e32 v2, v2, v3
	v_mul_f32_e32 v3, v171, v69
	v_add_f32_e32 v180, v176, v177
	ds_read2_b64 v[176:179], v1 offset0:119 offset1:120
	v_fma_f32 v3, v170, v68, -v3
	v_add_f32_e32 v2, v2, v3
	v_mul_f32_e32 v3, v173, v184
	s_waitcnt vmcnt(8)
	v_mul_f32_e32 v181, v174, v186
	v_fma_f32 v3, v172, v70, -v3
	v_fmac_f32_e32 v181, v175, v185
	v_add_f32_e32 v2, v2, v3
	v_mul_f32_e32 v3, v175, v186
	v_add_f32_e32 v195, v180, v181
	ds_read2_b64 v[180:183], v1 offset0:121 offset1:122
	v_fma_f32 v3, v174, v185, -v3
	v_add_f32_e32 v2, v2, v3
	s_waitcnt vmcnt(6) lgkmcnt(1)
	v_mul_f32_e32 v3, v177, v188
	v_mul_f32_e32 v1, v176, v188
	v_fma_f32 v3, v176, v187, -v3
	v_fmac_f32_e32 v1, v177, v187
	v_add_f32_e32 v2, v2, v3
	s_waitcnt vmcnt(4)
	v_mul_f32_e32 v3, v179, v190
	v_add_f32_e32 v1, v195, v1
	v_mul_f32_e32 v195, v178, v190
	v_fma_f32 v3, v178, v189, -v3
	v_fmac_f32_e32 v195, v179, v189
	v_add_f32_e32 v2, v2, v3
	s_waitcnt vmcnt(2) lgkmcnt(0)
	v_mul_f32_e32 v3, v181, v192
	v_add_f32_e32 v1, v1, v195
	v_mul_f32_e32 v195, v180, v192
	v_fma_f32 v3, v180, v191, -v3
	v_fmac_f32_e32 v195, v181, v191
	v_add_f32_e32 v2, v2, v3
	s_waitcnt vmcnt(0)
	v_mul_f32_e32 v3, v183, v194
	v_add_f32_e32 v1, v1, v195
	v_mul_f32_e32 v195, v182, v194
	v_fma_f32 v3, v182, v193, -v3
	v_fmac_f32_e32 v195, v183, v193
	v_add_f32_e32 v2, v2, v3
	v_add_f32_e32 v1, v1, v195
	v_sub_f32_e32 v2, v54, v2
	v_sub_f32_e32 v1, v55, v1
	buffer_store_dword v2, off, s[0:3], 0 offset:256
	buffer_store_dword v1, off, s[0:3], 0 offset:260
	s_and_saveexec_b64 s[4:5], vcc
	s_cbranch_execz .LBB124_317
; %bb.316:
	buffer_load_dword v1, off, s[0:3], 0 offset:248
	buffer_load_dword v2, off, s[0:3], 0 offset:252
	v_mov_b32_e32 v3, 0
	buffer_store_dword v3, off, s[0:3], 0 offset:248
	buffer_store_dword v3, off, s[0:3], 0 offset:252
	s_waitcnt vmcnt(2)
	ds_write_b64 v147, v[1:2]
.LBB124_317:
	s_or_b64 exec, exec, s[4:5]
	s_waitcnt lgkmcnt(0)
	; wave barrier
	buffer_load_dword v24, off, s[0:3], 0 offset:260
	buffer_load_dword v27, off, s[0:3], 0 offset:268
	;; [unrolled: 1-line block ×60, first 2 shown]
	v_mov_b32_e32 v1, 0
	ds_read_b128 v[2:5], v1 offset:752
	ds_read_b128 v[6:9], v1 offset:768
	;; [unrolled: 1-line block ×12, first 2 shown]
	v_cmp_lt_u32_e32 vcc, 30, v0
	s_waitcnt vmcnt(59) lgkmcnt(11)
	v_mul_f32_e32 v22, v2, v24
	s_waitcnt vmcnt(58)
	v_mul_f32_e32 v23, v4, v27
	s_waitcnt vmcnt(57) lgkmcnt(10)
	v_mul_f32_e32 v148, v6, v28
	s_waitcnt vmcnt(56)
	v_mul_f32_e32 v149, v8, v29
	;; [unrolled: 4-line block ×3, first 2 shown]
	s_waitcnt vmcnt(53) lgkmcnt(8)
	v_mul_f32_e32 v152, v14, v32
	s_waitcnt vmcnt(52)
	v_fmac_f32_e32 v22, v3, v33
	v_mul_f32_e32 v3, v3, v24
	v_fma_f32 v2, v2, v33, -v3
	v_mul_f32_e32 v3, v5, v27
	v_add_f32_e32 v2, 0, v2
	s_waitcnt vmcnt(51)
	v_fma_f32 v3, v4, v34, -v3
	v_add_f32_e32 v2, v2, v3
	v_mul_f32_e32 v3, v7, v28
	s_waitcnt vmcnt(50)
	v_fma_f32 v3, v6, v35, -v3
	v_add_f32_e32 v2, v2, v3
	v_mul_f32_e32 v3, v9, v29
	s_waitcnt vmcnt(49)
	v_fma_f32 v3, v8, v36, -v3
	v_fmac_f32_e32 v23, v5, v34
	v_add_f32_e32 v22, 0, v22
	v_add_f32_e32 v2, v2, v3
	v_mul_f32_e32 v3, v11, v30
	v_fmac_f32_e32 v148, v7, v35
	v_add_f32_e32 v22, v22, v23
	s_waitcnt vmcnt(48)
	v_fma_f32 v3, v10, v37, -v3
	v_fmac_f32_e32 v149, v9, v36
	v_add_f32_e32 v22, v22, v148
	v_add_f32_e32 v2, v2, v3
	v_mul_f32_e32 v3, v13, v31
	v_fmac_f32_e32 v150, v11, v37
	v_add_f32_e32 v22, v22, v149
	s_waitcnt vmcnt(47)
	v_fma_f32 v3, v12, v38, -v3
	v_fmac_f32_e32 v151, v13, v38
	v_add_f32_e32 v22, v22, v150
	v_add_f32_e32 v2, v2, v3
	v_mul_f32_e32 v3, v15, v32
	s_waitcnt vmcnt(46)
	v_fmac_f32_e32 v152, v15, v39
	v_add_f32_e32 v22, v22, v151
	s_waitcnt vmcnt(45)
	v_mul_f32_e32 v23, v16, v40
	v_fma_f32 v3, v14, v39, -v3
	v_add_f32_e32 v22, v22, v152
	s_waitcnt vmcnt(44)
	v_fmac_f32_e32 v23, v17, v41
	ds_read_b128 v[148:151], v1 offset:832
	ds_read_b128 v[152:155], v1 offset:848
	v_add_f32_e32 v2, v2, v3
	v_mul_f32_e32 v3, v17, v40
	v_add_f32_e32 v22, v22, v23
	s_waitcnt vmcnt(43) lgkmcnt(9)
	v_mul_f32_e32 v23, v18, v42
	v_fma_f32 v3, v16, v41, -v3
	s_waitcnt vmcnt(42)
	v_fmac_f32_e32 v23, v19, v43
	v_add_f32_e32 v2, v2, v3
	v_mul_f32_e32 v3, v19, v42
	v_add_f32_e32 v22, v22, v23
	s_waitcnt vmcnt(41)
	v_mul_f32_e32 v23, v20, v44
	v_fma_f32 v3, v18, v43, -v3
	s_waitcnt vmcnt(40)
	v_fmac_f32_e32 v23, v21, v45
	v_add_f32_e32 v2, v2, v3
	v_mul_f32_e32 v3, v21, v44
	v_add_f32_e32 v22, v22, v23
	s_waitcnt vmcnt(39) lgkmcnt(1)
	v_mul_f32_e32 v23, v148, v46
	v_fma_f32 v3, v20, v45, -v3
	s_waitcnt vmcnt(38)
	v_fmac_f32_e32 v23, v149, v47
	v_add_f32_e32 v2, v2, v3
	v_mul_f32_e32 v3, v149, v46
	v_add_f32_e32 v22, v22, v23
	s_waitcnt vmcnt(37)
	v_mul_f32_e32 v23, v150, v48
	v_fma_f32 v3, v148, v47, -v3
	s_waitcnt vmcnt(36)
	v_fmac_f32_e32 v23, v151, v49
	v_add_f32_e32 v2, v2, v3
	v_mul_f32_e32 v3, v151, v48
	v_add_f32_e32 v22, v22, v23
	s_waitcnt vmcnt(34) lgkmcnt(0)
	v_mul_f32_e32 v23, v152, v51
	v_fma_f32 v3, v150, v49, -v3
	v_fmac_f32_e32 v23, v153, v50
	v_add_f32_e32 v2, v2, v3
	v_mul_f32_e32 v3, v153, v51
	v_add_f32_e32 v22, v22, v23
	s_waitcnt vmcnt(31)
	v_mul_f32_e32 v23, v154, v54
	v_fma_f32 v3, v152, v50, -v3
	s_waitcnt vmcnt(30)
	v_fmac_f32_e32 v23, v155, v55
	v_add_f32_e32 v2, v2, v3
	v_mul_f32_e32 v3, v155, v54
	v_add_f32_e32 v22, v22, v23
	s_waitcnt vmcnt(28)
	v_mul_f32_e32 v23, v156, v57
	v_fma_f32 v3, v154, v55, -v3
	v_fmac_f32_e32 v23, v157, v56
	v_add_f32_e32 v2, v2, v3
	v_mul_f32_e32 v3, v157, v57
	v_add_f32_e32 v22, v22, v23
	s_waitcnt vmcnt(26)
	v_mul_f32_e32 v23, v158, v59
	v_fma_f32 v3, v156, v56, -v3
	;; [unrolled: 7-line block ×12, first 2 shown]
	v_fmac_f32_e32 v23, v179, v191
	v_add_f32_e32 v2, v2, v3
	v_mul_f32_e32 v3, v179, v192
	v_add_f32_e32 v199, v22, v23
	ds_read_b64 v[22:23], v1 offset:976
	v_fma_f32 v3, v178, v191, -v3
	v_add_f32_e32 v2, v2, v3
	s_waitcnt vmcnt(4)
	v_mul_f32_e32 v3, v181, v194
	v_mul_f32_e32 v200, v180, v194
	v_fma_f32 v3, v180, v193, -v3
	v_fmac_f32_e32 v200, v181, v193
	v_add_f32_e32 v2, v2, v3
	s_waitcnt vmcnt(2)
	v_mul_f32_e32 v3, v183, v196
	v_add_f32_e32 v199, v199, v200
	v_mul_f32_e32 v200, v182, v196
	v_fma_f32 v3, v182, v195, -v3
	v_fmac_f32_e32 v200, v183, v195
	v_add_f32_e32 v2, v2, v3
	s_waitcnt vmcnt(0) lgkmcnt(0)
	v_mul_f32_e32 v3, v23, v198
	v_add_f32_e32 v199, v199, v200
	v_mul_f32_e32 v200, v22, v198
	v_fma_f32 v3, v22, v197, -v3
	v_fmac_f32_e32 v200, v23, v197
	v_add_f32_e32 v2, v2, v3
	v_add_f32_e32 v199, v199, v200
	v_sub_f32_e32 v2, v52, v2
	v_sub_f32_e32 v3, v53, v199
	buffer_store_dword v2, off, s[0:3], 0 offset:248
	buffer_store_dword v3, off, s[0:3], 0 offset:252
	s_and_saveexec_b64 s[4:5], vcc
	s_cbranch_execz .LBB124_319
; %bb.318:
	buffer_load_dword v2, off, s[0:3], 0 offset:240
	buffer_load_dword v3, off, s[0:3], 0 offset:244
	s_waitcnt vmcnt(0)
	ds_write_b64 v147, v[2:3]
	buffer_store_dword v1, off, s[0:3], 0 offset:240
	buffer_store_dword v1, off, s[0:3], 0 offset:244
.LBB124_319:
	s_or_b64 exec, exec, s[4:5]
	s_waitcnt lgkmcnt(0)
	; wave barrier
	buffer_load_dword v22, off, s[0:3], 0 offset:252
	buffer_load_dword v23, off, s[0:3], 0 offset:260
	;; [unrolled: 1-line block ×32, first 2 shown]
	ds_read2_b64 v[2:5], v1 offset0:93 offset1:94
	ds_read2_b64 v[6:9], v1 offset0:95 offset1:96
	;; [unrolled: 1-line block ×4, first 2 shown]
	buffer_load_dword v56, off, s[0:3], 0 offset:372
	buffer_load_dword v57, off, s[0:3], 0 offset:368
	buffer_load_dword v58, off, s[0:3], 0 offset:376
	buffer_load_dword v59, off, s[0:3], 0 offset:380
	buffer_load_dword v60, off, s[0:3], 0 offset:384
	buffer_load_dword v61, off, s[0:3], 0 offset:388
	buffer_load_dword v62, off, s[0:3], 0 offset:392
	buffer_load_dword v63, off, s[0:3], 0 offset:396
	buffer_load_dword v64, off, s[0:3], 0 offset:400
	buffer_load_dword v65, off, s[0:3], 0 offset:404
	buffer_load_dword v66, off, s[0:3], 0 offset:408
	buffer_load_dword v67, off, s[0:3], 0 offset:412
	buffer_load_dword v68, off, s[0:3], 0 offset:416
	buffer_load_dword v69, off, s[0:3], 0 offset:420
	buffer_load_dword v70, off, s[0:3], 0 offset:424
	buffer_load_dword v188, off, s[0:3], 0 offset:428
	buffer_load_dword v189, off, s[0:3], 0 offset:432
	buffer_load_dword v190, off, s[0:3], 0 offset:436
	buffer_load_dword v191, off, s[0:3], 0 offset:440
	buffer_load_dword v192, off, s[0:3], 0 offset:444
	buffer_load_dword v193, off, s[0:3], 0 offset:448
	buffer_load_dword v194, off, s[0:3], 0 offset:452
	buffer_load_dword v195, off, s[0:3], 0 offset:456
	buffer_load_dword v196, off, s[0:3], 0 offset:460
	buffer_load_dword v197, off, s[0:3], 0 offset:464
	buffer_load_dword v198, off, s[0:3], 0 offset:468
	buffer_load_dword v199, off, s[0:3], 0 offset:472
	buffer_load_dword v200, off, s[0:3], 0 offset:476
	buffer_load_dword v201, off, s[0:3], 0 offset:480
	buffer_load_dword v202, off, s[0:3], 0 offset:484
	v_cmp_lt_u32_e32 vcc, 29, v0
	s_waitcnt vmcnt(61) lgkmcnt(3)
	v_mul_f32_e32 v18, v2, v22
	s_waitcnt vmcnt(60)
	v_mul_f32_e32 v19, v4, v23
	s_waitcnt vmcnt(59) lgkmcnt(2)
	v_mul_f32_e32 v20, v6, v24
	s_waitcnt vmcnt(58)
	v_mul_f32_e32 v21, v8, v27
	;; [unrolled: 4-line block ×3, first 2 shown]
	s_waitcnt vmcnt(55) lgkmcnt(0)
	v_mul_f32_e32 v150, v14, v30
	s_waitcnt vmcnt(54)
	v_fmac_f32_e32 v18, v3, v31
	s_waitcnt vmcnt(53)
	v_fmac_f32_e32 v19, v5, v32
	v_add_f32_e32 v18, 0, v18
	s_waitcnt vmcnt(52)
	v_fmac_f32_e32 v20, v7, v33
	v_add_f32_e32 v18, v18, v19
	;; [unrolled: 3-line block ×6, first 2 shown]
	v_add_f32_e32 v148, v18, v150
	ds_read2_b64 v[18:21], v1 offset0:101 offset1:102
	s_waitcnt vmcnt(47)
	v_mul_f32_e32 v149, v16, v38
	s_waitcnt vmcnt(46)
	v_fmac_f32_e32 v149, v17, v39
	v_mul_f32_e32 v3, v3, v22
	v_add_f32_e32 v152, v148, v149
	ds_read2_b64 v[148:151], v1 offset0:103 offset1:104
	v_fma_f32 v2, v2, v31, -v3
	v_mul_f32_e32 v3, v5, v23
	s_waitcnt vmcnt(45) lgkmcnt(1)
	v_mul_f32_e32 v153, v18, v40
	v_add_f32_e32 v2, 0, v2
	v_fma_f32 v3, v4, v32, -v3
	s_waitcnt vmcnt(44)
	v_fmac_f32_e32 v153, v19, v41
	v_add_f32_e32 v2, v2, v3
	v_mul_f32_e32 v3, v7, v24
	v_add_f32_e32 v152, v152, v153
	s_waitcnt vmcnt(43)
	v_mul_f32_e32 v153, v20, v42
	v_fma_f32 v3, v6, v33, -v3
	s_waitcnt vmcnt(42)
	v_fmac_f32_e32 v153, v21, v43
	v_add_f32_e32 v2, v2, v3
	v_mul_f32_e32 v3, v9, v27
	v_add_f32_e32 v152, v152, v153
	s_waitcnt vmcnt(41) lgkmcnt(0)
	v_mul_f32_e32 v153, v148, v44
	v_fma_f32 v3, v8, v34, -v3
	s_waitcnt vmcnt(40)
	v_fmac_f32_e32 v153, v149, v45
	v_add_f32_e32 v2, v2, v3
	v_mul_f32_e32 v3, v11, v28
	v_add_f32_e32 v156, v152, v153
	ds_read2_b64 v[152:155], v1 offset0:105 offset1:106
	v_fma_f32 v3, v10, v35, -v3
	v_add_f32_e32 v2, v2, v3
	v_mul_f32_e32 v3, v13, v29
	s_waitcnt vmcnt(39)
	v_mul_f32_e32 v157, v150, v46
	v_fma_f32 v3, v12, v36, -v3
	s_waitcnt vmcnt(38)
	v_fmac_f32_e32 v157, v151, v47
	v_add_f32_e32 v2, v2, v3
	v_mul_f32_e32 v3, v15, v30
	v_add_f32_e32 v160, v156, v157
	ds_read2_b64 v[156:159], v1 offset0:107 offset1:108
	v_fma_f32 v3, v14, v37, -v3
	s_waitcnt vmcnt(35) lgkmcnt(1)
	v_mul_f32_e32 v161, v152, v50
	v_add_f32_e32 v2, v2, v3
	v_mul_f32_e32 v3, v17, v38
	s_waitcnt vmcnt(34)
	v_fmac_f32_e32 v161, v153, v51
	v_fma_f32 v3, v16, v39, -v3
	v_add_f32_e32 v160, v160, v161
	s_waitcnt vmcnt(32)
	v_mul_f32_e32 v161, v154, v53
	v_add_f32_e32 v2, v2, v3
	v_mul_f32_e32 v3, v19, v40
	v_fmac_f32_e32 v161, v155, v52
	v_fma_f32 v3, v18, v41, -v3
	v_add_f32_e32 v160, v160, v161
	s_waitcnt vmcnt(30) lgkmcnt(0)
	v_mul_f32_e32 v161, v156, v55
	v_add_f32_e32 v2, v2, v3
	v_mul_f32_e32 v3, v21, v42
	v_fmac_f32_e32 v161, v157, v54
	v_fma_f32 v3, v20, v43, -v3
	v_add_f32_e32 v164, v160, v161
	ds_read2_b64 v[160:163], v1 offset0:109 offset1:110
	v_add_f32_e32 v2, v2, v3
	v_mul_f32_e32 v3, v149, v44
	v_fma_f32 v3, v148, v45, -v3
	s_waitcnt vmcnt(29)
	v_mul_f32_e32 v165, v158, v56
	v_add_f32_e32 v2, v2, v3
	v_mul_f32_e32 v3, v151, v46
	s_waitcnt vmcnt(28)
	v_fmac_f32_e32 v165, v159, v57
	v_fma_f32 v3, v150, v47, -v3
	v_add_f32_e32 v168, v164, v165
	ds_read2_b64 v[164:167], v1 offset0:111 offset1:112
	v_add_f32_e32 v2, v2, v3
	v_mul_f32_e32 v3, v153, v50
	s_waitcnt vmcnt(26) lgkmcnt(1)
	v_mul_f32_e32 v169, v160, v59
	v_fma_f32 v3, v152, v51, -v3
	v_fmac_f32_e32 v169, v161, v58
	v_add_f32_e32 v2, v2, v3
	v_mul_f32_e32 v3, v155, v53
	v_add_f32_e32 v168, v168, v169
	s_waitcnt vmcnt(24)
	v_mul_f32_e32 v169, v162, v61
	v_fma_f32 v3, v154, v52, -v3
	v_fmac_f32_e32 v169, v163, v60
	v_add_f32_e32 v2, v2, v3
	v_mul_f32_e32 v3, v157, v55
	v_add_f32_e32 v168, v168, v169
	s_waitcnt vmcnt(22) lgkmcnt(0)
	v_mul_f32_e32 v169, v164, v63
	v_fma_f32 v3, v156, v54, -v3
	v_fmac_f32_e32 v169, v165, v62
	v_add_f32_e32 v2, v2, v3
	v_mul_f32_e32 v3, v159, v56
	v_add_f32_e32 v172, v168, v169
	ds_read2_b64 v[168:171], v1 offset0:113 offset1:114
	v_fma_f32 v3, v158, v57, -v3
	v_add_f32_e32 v2, v2, v3
	v_mul_f32_e32 v3, v161, v59
	s_waitcnt vmcnt(20)
	v_mul_f32_e32 v173, v166, v65
	v_fma_f32 v3, v160, v58, -v3
	v_fmac_f32_e32 v173, v167, v64
	v_add_f32_e32 v2, v2, v3
	v_mul_f32_e32 v3, v163, v61
	v_add_f32_e32 v176, v172, v173
	ds_read2_b64 v[172:175], v1 offset0:115 offset1:116
	v_fma_f32 v3, v162, v60, -v3
	s_waitcnt vmcnt(18) lgkmcnt(1)
	v_mul_f32_e32 v177, v168, v67
	v_add_f32_e32 v2, v2, v3
	v_mul_f32_e32 v3, v165, v63
	v_fmac_f32_e32 v177, v169, v66
	v_fma_f32 v3, v164, v62, -v3
	v_add_f32_e32 v176, v176, v177
	s_waitcnt vmcnt(16)
	v_mul_f32_e32 v177, v170, v69
	v_add_f32_e32 v2, v2, v3
	v_mul_f32_e32 v3, v167, v65
	v_fmac_f32_e32 v177, v171, v68
	v_fma_f32 v3, v166, v64, -v3
	v_add_f32_e32 v176, v176, v177
	s_waitcnt vmcnt(14) lgkmcnt(0)
	v_mul_f32_e32 v177, v172, v188
	v_add_f32_e32 v2, v2, v3
	v_mul_f32_e32 v3, v169, v67
	v_fmac_f32_e32 v177, v173, v70
	v_fma_f32 v3, v168, v66, -v3
	v_add_f32_e32 v180, v176, v177
	ds_read2_b64 v[176:179], v1 offset0:117 offset1:118
	v_add_f32_e32 v2, v2, v3
	v_mul_f32_e32 v3, v171, v69
	v_fma_f32 v3, v170, v68, -v3
	v_add_f32_e32 v2, v2, v3
	v_mul_f32_e32 v3, v173, v188
	s_waitcnt vmcnt(12)
	v_mul_f32_e32 v181, v174, v190
	v_fma_f32 v3, v172, v70, -v3
	v_fmac_f32_e32 v181, v175, v189
	v_add_f32_e32 v2, v2, v3
	v_mul_f32_e32 v3, v175, v190
	v_add_f32_e32 v184, v180, v181
	ds_read2_b64 v[180:183], v1 offset0:119 offset1:120
	s_waitcnt vmcnt(10) lgkmcnt(1)
	v_mul_f32_e32 v185, v176, v192
	v_fma_f32 v3, v174, v189, -v3
	v_fmac_f32_e32 v185, v177, v191
	v_add_f32_e32 v2, v2, v3
	v_mul_f32_e32 v3, v177, v192
	v_add_f32_e32 v184, v184, v185
	s_waitcnt vmcnt(8)
	v_mul_f32_e32 v185, v178, v194
	v_fma_f32 v3, v176, v191, -v3
	v_fmac_f32_e32 v185, v179, v193
	v_add_f32_e32 v2, v2, v3
	v_mul_f32_e32 v3, v179, v194
	v_add_f32_e32 v203, v184, v185
	ds_read2_b64 v[184:187], v1 offset0:121 offset1:122
	v_fma_f32 v3, v178, v193, -v3
	v_add_f32_e32 v2, v2, v3
	s_waitcnt vmcnt(6) lgkmcnt(1)
	v_mul_f32_e32 v3, v181, v196
	v_mul_f32_e32 v204, v180, v196
	v_fma_f32 v3, v180, v195, -v3
	v_fmac_f32_e32 v204, v181, v195
	v_add_f32_e32 v2, v2, v3
	s_waitcnt vmcnt(4)
	v_mul_f32_e32 v3, v183, v198
	v_add_f32_e32 v1, v203, v204
	v_mul_f32_e32 v203, v182, v198
	v_fma_f32 v3, v182, v197, -v3
	v_fmac_f32_e32 v203, v183, v197
	v_add_f32_e32 v2, v2, v3
	s_waitcnt vmcnt(2) lgkmcnt(0)
	v_mul_f32_e32 v3, v185, v200
	v_add_f32_e32 v1, v1, v203
	v_mul_f32_e32 v203, v184, v200
	v_fma_f32 v3, v184, v199, -v3
	v_fmac_f32_e32 v203, v185, v199
	v_add_f32_e32 v2, v2, v3
	s_waitcnt vmcnt(0)
	v_mul_f32_e32 v3, v187, v202
	v_add_f32_e32 v1, v1, v203
	v_mul_f32_e32 v203, v186, v202
	v_fma_f32 v3, v186, v201, -v3
	v_fmac_f32_e32 v203, v187, v201
	v_add_f32_e32 v2, v2, v3
	v_add_f32_e32 v1, v1, v203
	v_sub_f32_e32 v2, v48, v2
	v_sub_f32_e32 v1, v49, v1
	buffer_store_dword v2, off, s[0:3], 0 offset:240
	buffer_store_dword v1, off, s[0:3], 0 offset:244
	s_and_saveexec_b64 s[4:5], vcc
	s_cbranch_execz .LBB124_321
; %bb.320:
	buffer_load_dword v1, off, s[0:3], 0 offset:232
	buffer_load_dword v2, off, s[0:3], 0 offset:236
	v_mov_b32_e32 v3, 0
	buffer_store_dword v3, off, s[0:3], 0 offset:232
	buffer_store_dword v3, off, s[0:3], 0 offset:236
	s_waitcnt vmcnt(2)
	ds_write_b64 v147, v[1:2]
.LBB124_321:
	s_or_b64 exec, exec, s[4:5]
	s_waitcnt lgkmcnt(0)
	; wave barrier
	buffer_load_dword v24, off, s[0:3], 0 offset:244
	buffer_load_dword v27, off, s[0:3], 0 offset:252
	;; [unrolled: 1-line block ×24, first 2 shown]
	v_mov_b32_e32 v1, 0
	buffer_load_dword v50, off, s[0:3], 0 offset:332
	buffer_load_dword v51, off, s[0:3], 0 offset:328
	;; [unrolled: 1-line block ×32, first 2 shown]
	ds_read_b128 v[2:5], v1 offset:736
	buffer_load_dword v199, off, s[0:3], 0 offset:456
	buffer_load_dword v200, off, s[0:3], 0 offset:460
	;; [unrolled: 1-line block ×4, first 2 shown]
	ds_read_b128 v[6:9], v1 offset:752
	ds_read_b128 v[10:13], v1 offset:768
	ds_read_b128 v[14:17], v1 offset:784
	v_cmp_lt_u32_e32 vcc, 28, v0
	s_waitcnt vmcnt(59) lgkmcnt(3)
	v_mul_f32_e32 v18, v2, v24
	s_waitcnt vmcnt(58)
	v_mul_f32_e32 v19, v4, v27
	s_waitcnt vmcnt(57) lgkmcnt(2)
	v_mul_f32_e32 v20, v6, v28
	s_waitcnt vmcnt(56)
	v_mul_f32_e32 v21, v8, v29
	;; [unrolled: 4-line block ×4, first 2 shown]
	s_waitcnt vmcnt(51)
	v_fmac_f32_e32 v18, v3, v34
	s_waitcnt vmcnt(50)
	v_fmac_f32_e32 v19, v5, v35
	v_add_f32_e32 v18, 0, v18
	s_waitcnt vmcnt(49)
	v_fmac_f32_e32 v20, v7, v36
	v_add_f32_e32 v18, v18, v19
	;; [unrolled: 3-line block ×6, first 2 shown]
	v_add_f32_e32 v22, v18, v148
	ds_read_b128 v[18:21], v1 offset:800
	buffer_load_dword v203, off, s[0:3], 0 offset:476
	buffer_load_dword v204, off, s[0:3], 0 offset:472
	;; [unrolled: 1-line block ×4, first 2 shown]
	v_mul_f32_e32 v3, v3, v24
	v_fma_f32 v2, v2, v34, -v3
	v_mul_f32_e32 v3, v5, v27
	v_add_f32_e32 v2, 0, v2
	v_fma_f32 v3, v4, v35, -v3
	v_add_f32_e32 v2, v2, v3
	v_mul_f32_e32 v3, v7, v28
	v_fma_f32 v3, v6, v36, -v3
	v_add_f32_e32 v2, v2, v3
	v_mul_f32_e32 v3, v9, v29
	;; [unrolled: 3-line block ×5, first 2 shown]
	s_waitcnt vmcnt(48)
	v_fmac_f32_e32 v149, v17, v41
	v_fma_f32 v3, v14, v40, -v3
	v_add_f32_e32 v22, v22, v149
	ds_read_b128 v[148:151], v1 offset:816
	ds_read_b128 v[152:155], v1 offset:832
	v_add_f32_e32 v2, v2, v3
	v_mul_f32_e32 v3, v17, v33
	s_waitcnt vmcnt(47) lgkmcnt(2)
	v_mul_f32_e32 v23, v18, v42
	v_fma_f32 v3, v16, v41, -v3
	s_waitcnt vmcnt(46)
	v_fmac_f32_e32 v23, v19, v43
	v_add_f32_e32 v2, v2, v3
	v_mul_f32_e32 v3, v19, v42
	v_add_f32_e32 v22, v22, v23
	s_waitcnt vmcnt(45)
	v_mul_f32_e32 v23, v20, v44
	v_fma_f32 v3, v18, v43, -v3
	s_waitcnt vmcnt(44)
	v_fmac_f32_e32 v23, v21, v45
	v_add_f32_e32 v2, v2, v3
	v_mul_f32_e32 v3, v21, v44
	v_add_f32_e32 v22, v22, v23
	s_waitcnt vmcnt(42) lgkmcnt(1)
	v_mul_f32_e32 v23, v148, v47
	v_fma_f32 v3, v20, v45, -v3
	v_fmac_f32_e32 v23, v149, v46
	v_add_f32_e32 v2, v2, v3
	v_mul_f32_e32 v3, v149, v47
	v_add_f32_e32 v22, v22, v23
	s_waitcnt vmcnt(39)
	v_mul_f32_e32 v23, v150, v50
	v_fma_f32 v3, v148, v46, -v3
	s_waitcnt vmcnt(38)
	v_fmac_f32_e32 v23, v151, v51
	ds_read_b128 v[156:159], v1 offset:848
	ds_read_b128 v[160:163], v1 offset:864
	v_add_f32_e32 v2, v2, v3
	v_mul_f32_e32 v3, v151, v50
	v_add_f32_e32 v22, v22, v23
	s_waitcnt vmcnt(36) lgkmcnt(2)
	v_mul_f32_e32 v23, v152, v53
	v_fma_f32 v3, v150, v51, -v3
	v_fmac_f32_e32 v23, v153, v52
	v_add_f32_e32 v2, v2, v3
	v_mul_f32_e32 v3, v153, v53
	v_add_f32_e32 v22, v22, v23
	s_waitcnt vmcnt(34)
	v_mul_f32_e32 v23, v154, v55
	v_fma_f32 v3, v152, v52, -v3
	v_fmac_f32_e32 v23, v155, v54
	v_add_f32_e32 v2, v2, v3
	v_mul_f32_e32 v3, v155, v55
	v_add_f32_e32 v22, v22, v23
	s_waitcnt vmcnt(32) lgkmcnt(1)
	v_mul_f32_e32 v23, v156, v57
	v_fma_f32 v3, v154, v54, -v3
	v_fmac_f32_e32 v23, v157, v56
	v_add_f32_e32 v2, v2, v3
	v_mul_f32_e32 v3, v157, v57
	v_add_f32_e32 v22, v22, v23
	s_waitcnt vmcnt(30)
	v_mul_f32_e32 v23, v158, v59
	v_fma_f32 v3, v156, v56, -v3
	v_fmac_f32_e32 v23, v159, v58
	ds_read_b128 v[164:167], v1 offset:880
	ds_read_b128 v[168:171], v1 offset:896
	v_add_f32_e32 v2, v2, v3
	v_mul_f32_e32 v3, v159, v59
	v_add_f32_e32 v22, v22, v23
	s_waitcnt vmcnt(28) lgkmcnt(2)
	v_mul_f32_e32 v23, v160, v61
	v_fma_f32 v3, v158, v58, -v3
	v_fmac_f32_e32 v23, v161, v60
	v_add_f32_e32 v2, v2, v3
	v_mul_f32_e32 v3, v161, v61
	v_add_f32_e32 v22, v22, v23
	s_waitcnt vmcnt(26)
	v_mul_f32_e32 v23, v162, v63
	v_fma_f32 v3, v160, v60, -v3
	v_fmac_f32_e32 v23, v163, v62
	v_add_f32_e32 v2, v2, v3
	v_mul_f32_e32 v3, v163, v63
	v_add_f32_e32 v22, v22, v23
	s_waitcnt vmcnt(24) lgkmcnt(1)
	v_mul_f32_e32 v23, v164, v65
	v_fma_f32 v3, v162, v62, -v3
	v_fmac_f32_e32 v23, v165, v64
	v_add_f32_e32 v2, v2, v3
	v_mul_f32_e32 v3, v165, v65
	v_add_f32_e32 v22, v22, v23
	s_waitcnt vmcnt(22)
	v_mul_f32_e32 v23, v166, v67
	v_fma_f32 v3, v164, v64, -v3
	;; [unrolled: 30-line block ×4, first 2 shown]
	v_fmac_f32_e32 v23, v183, v199
	v_add_f32_e32 v2, v2, v3
	v_mul_f32_e32 v3, v183, v200
	v_add_f32_e32 v207, v22, v23
	ds_read_b64 v[22:23], v1 offset:976
	v_fma_f32 v3, v182, v199, -v3
	v_add_f32_e32 v2, v2, v3
	s_waitcnt vmcnt(4) lgkmcnt(1)
	v_mul_f32_e32 v3, v185, v202
	v_mul_f32_e32 v208, v184, v202
	v_fma_f32 v3, v184, v201, -v3
	v_fmac_f32_e32 v208, v185, v201
	v_add_f32_e32 v2, v2, v3
	s_waitcnt vmcnt(3)
	v_mul_f32_e32 v3, v187, v203
	v_add_f32_e32 v207, v207, v208
	v_mul_f32_e32 v208, v186, v203
	s_waitcnt vmcnt(2)
	v_fma_f32 v3, v186, v204, -v3
	v_fmac_f32_e32 v208, v187, v204
	v_add_f32_e32 v2, v2, v3
	s_waitcnt vmcnt(0) lgkmcnt(0)
	v_mul_f32_e32 v3, v23, v206
	v_add_f32_e32 v207, v207, v208
	v_mul_f32_e32 v208, v22, v206
	v_fma_f32 v3, v22, v205, -v3
	v_fmac_f32_e32 v208, v23, v205
	v_add_f32_e32 v2, v2, v3
	v_add_f32_e32 v207, v207, v208
	v_sub_f32_e32 v2, v48, v2
	v_sub_f32_e32 v3, v49, v207
	buffer_store_dword v2, off, s[0:3], 0 offset:232
	buffer_store_dword v3, off, s[0:3], 0 offset:236
	s_and_saveexec_b64 s[4:5], vcc
	s_cbranch_execz .LBB124_323
; %bb.322:
	buffer_load_dword v2, off, s[0:3], 0 offset:224
	buffer_load_dword v3, off, s[0:3], 0 offset:228
	s_waitcnt vmcnt(0)
	ds_write_b64 v147, v[2:3]
	buffer_store_dword v1, off, s[0:3], 0 offset:224
	buffer_store_dword v1, off, s[0:3], 0 offset:228
.LBB124_323:
	s_or_b64 exec, exec, s[4:5]
	s_waitcnt lgkmcnt(0)
	; wave barrier
	buffer_load_dword v22, off, s[0:3], 0 offset:292
	buffer_load_dword v23, off, s[0:3], 0 offset:236
	;; [unrolled: 1-line block ×32, first 2 shown]
	ds_read2_b64 v[2:5], v1 offset0:91 offset1:92
	ds_read2_b64 v[6:9], v1 offset0:93 offset1:94
	;; [unrolled: 1-line block ×4, first 2 shown]
	buffer_load_dword v56, off, s[0:3], 0 offset:352
	buffer_load_dword v57, off, s[0:3], 0 offset:356
	;; [unrolled: 1-line block ×32, first 2 shown]
	v_cmp_lt_u32_e32 vcc, 27, v0
	s_waitcnt vmcnt(62) lgkmcnt(0)
	v_mul_f32_e32 v151, v16, v22
	v_mul_f32_e32 v18, v2, v23
	s_waitcnt vmcnt(61)
	v_mul_f32_e32 v19, v4, v24
	s_waitcnt vmcnt(60)
	;; [unrolled: 2-line block ×3, first 2 shown]
	v_fmac_f32_e32 v20, v7, v28
	s_waitcnt vmcnt(58)
	v_fmac_f32_e32 v19, v5, v29
	s_waitcnt vmcnt(57)
	v_fmac_f32_e32 v18, v3, v30
	v_add_f32_e32 v18, 0, v18
	s_waitcnt vmcnt(56)
	v_mul_f32_e32 v21, v8, v31
	v_add_f32_e32 v18, v18, v19
	s_waitcnt vmcnt(55)
	v_mul_f32_e32 v148, v10, v32
	;; [unrolled: 3-line block ×3, first 2 shown]
	s_waitcnt vmcnt(50)
	v_fmac_f32_e32 v148, v11, v37
	s_waitcnt vmcnt(49)
	v_fmac_f32_e32 v21, v9, v38
	v_add_f32_e32 v18, v18, v21
	v_mul_f32_e32 v150, v14, v34
	v_fmac_f32_e32 v149, v13, v36
	v_add_f32_e32 v18, v18, v148
	v_fmac_f32_e32 v150, v15, v35
	v_add_f32_e32 v18, v18, v149
	s_waitcnt vmcnt(44)
	v_fmac_f32_e32 v151, v17, v43
	v_add_f32_e32 v148, v18, v150
	ds_read2_b64 v[18:21], v1 offset0:99 offset1:100
	v_add_f32_e32 v152, v148, v151
	ds_read2_b64 v[148:151], v1 offset0:101 offset1:102
	buffer_load_dword v209, off, s[0:3], 0 offset:480
	buffer_load_dword v210, off, s[0:3], 0 offset:484
	v_mul_f32_e32 v3, v3, v23
	s_waitcnt vmcnt(45) lgkmcnt(1)
	v_mul_f32_e32 v153, v18, v44
	v_fmac_f32_e32 v153, v19, v42
	v_fma_f32 v2, v2, v30, -v3
	v_mul_f32_e32 v3, v5, v24
	v_add_f32_e32 v152, v152, v153
	v_mul_f32_e32 v153, v20, v40
	v_add_f32_e32 v2, 0, v2
	v_fma_f32 v3, v4, v29, -v3
	v_fmac_f32_e32 v153, v21, v39
	v_add_f32_e32 v2, v2, v3
	v_mul_f32_e32 v3, v7, v27
	v_add_f32_e32 v152, v152, v153
	s_waitcnt vmcnt(44) lgkmcnt(0)
	v_mul_f32_e32 v153, v148, v45
	v_fma_f32 v3, v6, v28, -v3
	v_fmac_f32_e32 v153, v149, v41
	v_add_f32_e32 v2, v2, v3
	v_mul_f32_e32 v3, v9, v31
	v_add_f32_e32 v156, v152, v153
	ds_read2_b64 v[152:155], v1 offset0:103 offset1:104
	v_fma_f32 v3, v8, v38, -v3
	v_add_f32_e32 v2, v2, v3
	v_mul_f32_e32 v3, v11, v32
	s_waitcnt vmcnt(40)
	v_mul_f32_e32 v157, v150, v49
	v_fma_f32 v3, v10, v37, -v3
	v_fmac_f32_e32 v157, v151, v48
	v_add_f32_e32 v2, v2, v3
	v_mul_f32_e32 v3, v13, v33
	v_add_f32_e32 v160, v156, v157
	ds_read2_b64 v[156:159], v1 offset0:105 offset1:106
	v_fma_f32 v3, v12, v36, -v3
	s_waitcnt vmcnt(39) lgkmcnt(1)
	v_mul_f32_e32 v161, v152, v50
	v_add_f32_e32 v2, v2, v3
	v_mul_f32_e32 v3, v15, v34
	s_waitcnt vmcnt(34)
	v_fmac_f32_e32 v161, v153, v55
	v_fma_f32 v3, v14, v35, -v3
	v_add_f32_e32 v160, v160, v161
	v_mul_f32_e32 v161, v154, v52
	v_add_f32_e32 v2, v2, v3
	v_mul_f32_e32 v3, v17, v22
	v_fmac_f32_e32 v161, v155, v51
	v_fma_f32 v3, v16, v43, -v3
	v_add_f32_e32 v160, v160, v161
	s_waitcnt lgkmcnt(0)
	v_mul_f32_e32 v161, v156, v54
	v_add_f32_e32 v2, v2, v3
	v_mul_f32_e32 v3, v19, v44
	v_fmac_f32_e32 v161, v157, v53
	v_fma_f32 v3, v18, v42, -v3
	v_add_f32_e32 v164, v160, v161
	ds_read2_b64 v[160:163], v1 offset0:107 offset1:108
	v_add_f32_e32 v2, v2, v3
	v_mul_f32_e32 v3, v21, v40
	v_fma_f32 v3, v20, v39, -v3
	s_waitcnt vmcnt(32)
	v_mul_f32_e32 v165, v158, v57
	v_add_f32_e32 v2, v2, v3
	v_mul_f32_e32 v3, v149, v45
	v_fmac_f32_e32 v165, v159, v56
	v_fma_f32 v3, v148, v41, -v3
	v_add_f32_e32 v168, v164, v165
	ds_read2_b64 v[164:167], v1 offset0:109 offset1:110
	v_add_f32_e32 v2, v2, v3
	v_mul_f32_e32 v3, v151, v49
	s_waitcnt vmcnt(30) lgkmcnt(1)
	v_mul_f32_e32 v169, v160, v59
	v_fma_f32 v3, v150, v48, -v3
	v_fmac_f32_e32 v169, v161, v58
	v_add_f32_e32 v2, v2, v3
	v_mul_f32_e32 v3, v153, v50
	v_add_f32_e32 v168, v168, v169
	s_waitcnt vmcnt(28)
	v_mul_f32_e32 v169, v162, v61
	v_fma_f32 v3, v152, v55, -v3
	v_fmac_f32_e32 v169, v163, v60
	v_add_f32_e32 v2, v2, v3
	v_mul_f32_e32 v3, v155, v52
	v_add_f32_e32 v168, v168, v169
	s_waitcnt vmcnt(26) lgkmcnt(0)
	v_mul_f32_e32 v169, v164, v63
	v_fma_f32 v3, v154, v51, -v3
	v_fmac_f32_e32 v169, v165, v62
	v_add_f32_e32 v2, v2, v3
	v_mul_f32_e32 v3, v157, v54
	v_add_f32_e32 v172, v168, v169
	ds_read2_b64 v[168:171], v1 offset0:111 offset1:112
	v_fma_f32 v3, v156, v53, -v3
	v_add_f32_e32 v2, v2, v3
	v_mul_f32_e32 v3, v159, v57
	s_waitcnt vmcnt(24)
	v_mul_f32_e32 v173, v166, v65
	v_fma_f32 v3, v158, v56, -v3
	v_fmac_f32_e32 v173, v167, v64
	v_add_f32_e32 v2, v2, v3
	v_mul_f32_e32 v3, v161, v59
	v_add_f32_e32 v176, v172, v173
	ds_read2_b64 v[172:175], v1 offset0:113 offset1:114
	v_fma_f32 v3, v160, v58, -v3
	s_waitcnt vmcnt(22) lgkmcnt(1)
	v_mul_f32_e32 v177, v168, v67
	v_add_f32_e32 v2, v2, v3
	v_mul_f32_e32 v3, v163, v61
	v_fmac_f32_e32 v177, v169, v66
	v_fma_f32 v3, v162, v60, -v3
	v_add_f32_e32 v176, v176, v177
	s_waitcnt vmcnt(20)
	v_mul_f32_e32 v177, v170, v69
	v_add_f32_e32 v2, v2, v3
	v_mul_f32_e32 v3, v165, v63
	v_fmac_f32_e32 v177, v171, v68
	v_fma_f32 v3, v164, v62, -v3
	v_add_f32_e32 v176, v176, v177
	s_waitcnt vmcnt(18) lgkmcnt(0)
	v_mul_f32_e32 v177, v172, v192
	v_add_f32_e32 v2, v2, v3
	v_mul_f32_e32 v3, v167, v65
	v_fmac_f32_e32 v177, v173, v70
	v_fma_f32 v3, v166, v64, -v3
	v_add_f32_e32 v180, v176, v177
	ds_read2_b64 v[176:179], v1 offset0:115 offset1:116
	v_add_f32_e32 v2, v2, v3
	v_mul_f32_e32 v3, v169, v67
	v_fma_f32 v3, v168, v66, -v3
	s_waitcnt vmcnt(16)
	v_mul_f32_e32 v181, v174, v194
	v_add_f32_e32 v2, v2, v3
	v_mul_f32_e32 v3, v171, v69
	v_fmac_f32_e32 v181, v175, v193
	v_fma_f32 v3, v170, v68, -v3
	v_add_f32_e32 v184, v180, v181
	ds_read2_b64 v[180:183], v1 offset0:117 offset1:118
	v_add_f32_e32 v2, v2, v3
	v_mul_f32_e32 v3, v173, v192
	s_waitcnt vmcnt(14) lgkmcnt(1)
	v_mul_f32_e32 v185, v176, v196
	v_fma_f32 v3, v172, v70, -v3
	v_fmac_f32_e32 v185, v177, v195
	v_add_f32_e32 v2, v2, v3
	v_mul_f32_e32 v3, v175, v194
	v_add_f32_e32 v184, v184, v185
	s_waitcnt vmcnt(12)
	v_mul_f32_e32 v185, v178, v198
	v_fma_f32 v3, v174, v193, -v3
	v_fmac_f32_e32 v185, v179, v197
	v_add_f32_e32 v2, v2, v3
	v_mul_f32_e32 v3, v177, v196
	v_add_f32_e32 v184, v184, v185
	s_waitcnt vmcnt(10) lgkmcnt(0)
	v_mul_f32_e32 v185, v180, v200
	v_fma_f32 v3, v176, v195, -v3
	v_fmac_f32_e32 v185, v181, v199
	v_add_f32_e32 v2, v2, v3
	v_mul_f32_e32 v3, v179, v198
	v_add_f32_e32 v188, v184, v185
	ds_read2_b64 v[184:187], v1 offset0:119 offset1:120
	v_fma_f32 v3, v178, v197, -v3
	v_add_f32_e32 v2, v2, v3
	v_mul_f32_e32 v3, v181, v200
	s_waitcnt vmcnt(8)
	v_mul_f32_e32 v189, v182, v202
	v_fma_f32 v3, v180, v199, -v3
	v_fmac_f32_e32 v189, v183, v201
	v_add_f32_e32 v2, v2, v3
	v_mul_f32_e32 v3, v183, v202
	v_add_f32_e32 v211, v188, v189
	ds_read2_b64 v[188:191], v1 offset0:121 offset1:122
	v_fma_f32 v3, v182, v201, -v3
	v_add_f32_e32 v2, v2, v3
	s_waitcnt vmcnt(6) lgkmcnt(1)
	v_mul_f32_e32 v3, v185, v204
	v_mul_f32_e32 v1, v184, v204
	v_fma_f32 v3, v184, v203, -v3
	v_fmac_f32_e32 v1, v185, v203
	v_add_f32_e32 v2, v2, v3
	s_waitcnt vmcnt(5)
	v_mul_f32_e32 v3, v187, v205
	v_add_f32_e32 v1, v211, v1
	v_mul_f32_e32 v211, v186, v205
	s_waitcnt vmcnt(2)
	v_fma_f32 v3, v186, v208, -v3
	v_fmac_f32_e32 v211, v187, v208
	v_add_f32_e32 v2, v2, v3
	s_waitcnt lgkmcnt(0)
	v_mul_f32_e32 v3, v189, v207
	v_add_f32_e32 v1, v1, v211
	v_mul_f32_e32 v211, v188, v207
	v_fma_f32 v3, v188, v206, -v3
	v_fmac_f32_e32 v211, v189, v206
	v_add_f32_e32 v2, v2, v3
	s_waitcnt vmcnt(0)
	v_mul_f32_e32 v3, v191, v210
	v_add_f32_e32 v1, v1, v211
	v_mul_f32_e32 v211, v190, v210
	v_fma_f32 v3, v190, v209, -v3
	v_fmac_f32_e32 v211, v191, v209
	v_add_f32_e32 v2, v2, v3
	v_add_f32_e32 v1, v1, v211
	v_sub_f32_e32 v2, v46, v2
	v_sub_f32_e32 v1, v47, v1
	buffer_store_dword v2, off, s[0:3], 0 offset:224
	buffer_store_dword v1, off, s[0:3], 0 offset:228
	s_and_saveexec_b64 s[4:5], vcc
	s_cbranch_execz .LBB124_325
; %bb.324:
	buffer_load_dword v1, off, s[0:3], 0 offset:216
	buffer_load_dword v2, off, s[0:3], 0 offset:220
	v_mov_b32_e32 v3, 0
	buffer_store_dword v3, off, s[0:3], 0 offset:216
	buffer_store_dword v3, off, s[0:3], 0 offset:220
	s_waitcnt vmcnt(2)
	ds_write_b64 v147, v[1:2]
.LBB124_325:
	s_or_b64 exec, exec, s[4:5]
	s_waitcnt lgkmcnt(0)
	; wave barrier
	buffer_load_dword v24, off, s[0:3], 0 offset:284
	buffer_load_dword v27, off, s[0:3], 0 offset:228
	buffer_load_dword v28, off, s[0:3], 0 offset:236
	buffer_load_dword v29, off, s[0:3], 0 offset:244
	buffer_load_dword v30, off, s[0:3], 0 offset:240
	buffer_load_dword v31, off, s[0:3], 0 offset:232
	buffer_load_dword v32, off, s[0:3], 0 offset:224
	buffer_load_dword v33, off, s[0:3], 0 offset:252
	buffer_load_dword v34, off, s[0:3], 0 offset:260
	buffer_load_dword v35, off, s[0:3], 0 offset:268
	buffer_load_dword v36, off, s[0:3], 0 offset:276
	buffer_load_dword v37, off, s[0:3], 0 offset:272
	buffer_load_dword v38, off, s[0:3], 0 offset:264
	buffer_load_dword v39, off, s[0:3], 0 offset:256
	buffer_load_dword v40, off, s[0:3], 0 offset:248
	buffer_load_dword v41, off, s[0:3], 0 offset:304
	buffer_load_dword v42, off, s[0:3], 0 offset:308
	buffer_load_dword v43, off, s[0:3], 0 offset:296
	buffer_load_dword v44, off, s[0:3], 0 offset:288
	buffer_load_dword v45, off, s[0:3], 0 offset:280
	buffer_load_dword v46, off, s[0:3], 0 offset:292
	buffer_load_dword v47, off, s[0:3], 0 offset:300
	buffer_load_dword v48, off, s[0:3], 0 offset:216
	buffer_load_dword v49, off, s[0:3], 0 offset:220
	buffer_load_dword v50, off, s[0:3], 0 offset:312
	buffer_load_dword v51, off, s[0:3], 0 offset:316
	buffer_load_dword v52, off, s[0:3], 0 offset:320
	buffer_load_dword v53, off, s[0:3], 0 offset:324
	buffer_load_dword v54, off, s[0:3], 0 offset:328
	buffer_load_dword v55, off, s[0:3], 0 offset:332
	buffer_load_dword v56, off, s[0:3], 0 offset:336
	buffer_load_dword v57, off, s[0:3], 0 offset:340
	buffer_load_dword v58, off, s[0:3], 0 offset:344
	buffer_load_dword v59, off, s[0:3], 0 offset:348
	buffer_load_dword v60, off, s[0:3], 0 offset:352
	buffer_load_dword v61, off, s[0:3], 0 offset:356
	buffer_load_dword v62, off, s[0:3], 0 offset:360
	buffer_load_dword v63, off, s[0:3], 0 offset:364
	buffer_load_dword v64, off, s[0:3], 0 offset:368
	buffer_load_dword v65, off, s[0:3], 0 offset:372
	buffer_load_dword v66, off, s[0:3], 0 offset:376
	buffer_load_dword v67, off, s[0:3], 0 offset:380
	buffer_load_dword v68, off, s[0:3], 0 offset:384
	buffer_load_dword v69, off, s[0:3], 0 offset:388
	buffer_load_dword v70, off, s[0:3], 0 offset:392
	buffer_load_dword v192, off, s[0:3], 0 offset:396
	buffer_load_dword v193, off, s[0:3], 0 offset:400
	buffer_load_dword v194, off, s[0:3], 0 offset:404
	buffer_load_dword v195, off, s[0:3], 0 offset:408
	buffer_load_dword v196, off, s[0:3], 0 offset:412
	buffer_load_dword v197, off, s[0:3], 0 offset:416
	buffer_load_dword v198, off, s[0:3], 0 offset:420
	buffer_load_dword v199, off, s[0:3], 0 offset:424
	buffer_load_dword v200, off, s[0:3], 0 offset:428
	buffer_load_dword v201, off, s[0:3], 0 offset:432
	buffer_load_dword v202, off, s[0:3], 0 offset:436
	buffer_load_dword v203, off, s[0:3], 0 offset:440
	buffer_load_dword v204, off, s[0:3], 0 offset:444
	v_mov_b32_e32 v1, 0
	ds_read_b128 v[2:5], v1 offset:720
	ds_read_b128 v[6:9], v1 offset:736
	;; [unrolled: 1-line block ×5, first 2 shown]
	buffer_load_dword v205, off, s[0:3], 0 offset:448
	buffer_load_dword v206, off, s[0:3], 0 offset:452
	;; [unrolled: 1-line block ×6, first 2 shown]
	v_cmp_lt_u32_e32 vcc, 26, v0
	s_waitcnt vmcnt(62) lgkmcnt(1)
	v_mul_f32_e32 v153, v16, v24
	v_mul_f32_e32 v22, v2, v27
	s_waitcnt vmcnt(61)
	v_mul_f32_e32 v23, v4, v28
	s_waitcnt vmcnt(60)
	;; [unrolled: 2-line block ×3, first 2 shown]
	v_fmac_f32_e32 v148, v7, v30
	s_waitcnt vmcnt(58)
	v_fmac_f32_e32 v23, v5, v31
	s_waitcnt vmcnt(57)
	v_fmac_f32_e32 v22, v3, v32
	v_add_f32_e32 v22, 0, v22
	s_waitcnt vmcnt(56)
	v_mul_f32_e32 v149, v8, v33
	v_add_f32_e32 v22, v22, v23
	s_waitcnt vmcnt(55)
	v_mul_f32_e32 v150, v10, v34
	;; [unrolled: 3-line block ×3, first 2 shown]
	s_waitcnt vmcnt(50)
	v_fmac_f32_e32 v150, v11, v39
	s_waitcnt vmcnt(49)
	v_fmac_f32_e32 v149, v9, v40
	v_add_f32_e32 v22, v22, v149
	v_fmac_f32_e32 v151, v13, v38
	v_add_f32_e32 v22, v22, v150
	v_add_f32_e32 v22, v22, v151
	ds_read_b128 v[148:151], v1 offset:800
	buffer_load_dword v211, off, s[0:3], 0 offset:476
	buffer_load_dword v212, off, s[0:3], 0 offset:480
	;; [unrolled: 1-line block ×4, first 2 shown]
	v_mul_f32_e32 v3, v3, v27
	v_fma_f32 v2, v2, v32, -v3
	v_mul_f32_e32 v3, v5, v28
	v_add_f32_e32 v2, 0, v2
	v_fma_f32 v3, v4, v31, -v3
	v_add_f32_e32 v2, v2, v3
	v_mul_f32_e32 v3, v7, v29
	v_fma_f32 v3, v6, v30, -v3
	v_add_f32_e32 v2, v2, v3
	v_mul_f32_e32 v3, v9, v33
	;; [unrolled: 3-line block ×5, first 2 shown]
	v_mul_f32_e32 v152, v14, v36
	v_fma_f32 v3, v14, v37, -v3
	v_fmac_f32_e32 v152, v15, v37
	v_add_f32_e32 v2, v2, v3
	v_mul_f32_e32 v3, v17, v24
	s_waitcnt vmcnt(48)
	v_fmac_f32_e32 v153, v17, v45
	v_add_f32_e32 v22, v22, v152
	s_waitcnt vmcnt(47) lgkmcnt(1)
	v_mul_f32_e32 v23, v18, v46
	v_fma_f32 v3, v16, v45, -v3
	v_add_f32_e32 v22, v22, v153
	v_fmac_f32_e32 v23, v19, v44
	v_add_f32_e32 v2, v2, v3
	v_mul_f32_e32 v3, v19, v46
	v_add_f32_e32 v22, v22, v23
	s_waitcnt vmcnt(46)
	v_mul_f32_e32 v23, v20, v47
	v_fma_f32 v3, v18, v44, -v3
	v_fmac_f32_e32 v23, v21, v43
	ds_read_b128 v[152:155], v1 offset:816
	ds_read_b128 v[156:159], v1 offset:832
	v_add_f32_e32 v2, v2, v3
	v_mul_f32_e32 v3, v21, v47
	v_add_f32_e32 v22, v22, v23
	s_waitcnt lgkmcnt(2)
	v_mul_f32_e32 v23, v148, v42
	v_fma_f32 v3, v20, v43, -v3
	v_fmac_f32_e32 v23, v149, v41
	v_add_f32_e32 v2, v2, v3
	v_mul_f32_e32 v3, v149, v42
	v_add_f32_e32 v22, v22, v23
	s_waitcnt vmcnt(42)
	v_mul_f32_e32 v23, v150, v51
	v_fma_f32 v3, v148, v41, -v3
	v_fmac_f32_e32 v23, v151, v50
	v_add_f32_e32 v2, v2, v3
	v_mul_f32_e32 v3, v151, v51
	v_add_f32_e32 v22, v22, v23
	s_waitcnt vmcnt(40) lgkmcnt(1)
	v_mul_f32_e32 v23, v152, v53
	v_fma_f32 v3, v150, v50, -v3
	v_fmac_f32_e32 v23, v153, v52
	v_add_f32_e32 v2, v2, v3
	v_mul_f32_e32 v3, v153, v53
	v_add_f32_e32 v22, v22, v23
	s_waitcnt vmcnt(38)
	v_mul_f32_e32 v23, v154, v55
	v_fma_f32 v3, v152, v52, -v3
	v_fmac_f32_e32 v23, v155, v54
	ds_read_b128 v[160:163], v1 offset:848
	ds_read_b128 v[164:167], v1 offset:864
	v_add_f32_e32 v2, v2, v3
	v_mul_f32_e32 v3, v155, v55
	v_add_f32_e32 v22, v22, v23
	s_waitcnt vmcnt(36) lgkmcnt(2)
	v_mul_f32_e32 v23, v156, v57
	v_fma_f32 v3, v154, v54, -v3
	v_fmac_f32_e32 v23, v157, v56
	v_add_f32_e32 v2, v2, v3
	v_mul_f32_e32 v3, v157, v57
	v_add_f32_e32 v22, v22, v23
	s_waitcnt vmcnt(34)
	v_mul_f32_e32 v23, v158, v59
	v_fma_f32 v3, v156, v56, -v3
	v_fmac_f32_e32 v23, v159, v58
	v_add_f32_e32 v2, v2, v3
	v_mul_f32_e32 v3, v159, v59
	v_add_f32_e32 v22, v22, v23
	s_waitcnt vmcnt(32) lgkmcnt(1)
	v_mul_f32_e32 v23, v160, v61
	v_fma_f32 v3, v158, v58, -v3
	v_fmac_f32_e32 v23, v161, v60
	v_add_f32_e32 v2, v2, v3
	v_mul_f32_e32 v3, v161, v61
	v_add_f32_e32 v22, v22, v23
	s_waitcnt vmcnt(30)
	v_mul_f32_e32 v23, v162, v63
	v_fma_f32 v3, v160, v60, -v3
	v_fmac_f32_e32 v23, v163, v62
	ds_read_b128 v[168:171], v1 offset:880
	ds_read_b128 v[172:175], v1 offset:896
	v_add_f32_e32 v2, v2, v3
	v_mul_f32_e32 v3, v163, v63
	v_add_f32_e32 v22, v22, v23
	s_waitcnt vmcnt(28) lgkmcnt(2)
	;; [unrolled: 30-line block ×4, first 2 shown]
	v_mul_f32_e32 v23, v180, v202
	v_fma_f32 v3, v178, v199, -v3
	v_fmac_f32_e32 v23, v181, v201
	v_add_f32_e32 v2, v2, v3
	v_mul_f32_e32 v3, v181, v202
	v_add_f32_e32 v22, v22, v23
	s_waitcnt vmcnt(10)
	v_mul_f32_e32 v23, v182, v204
	v_fma_f32 v3, v180, v201, -v3
	v_fmac_f32_e32 v23, v183, v203
	v_add_f32_e32 v2, v2, v3
	v_mul_f32_e32 v3, v183, v204
	v_add_f32_e32 v22, v22, v23
	s_waitcnt vmcnt(8) lgkmcnt(1)
	v_mul_f32_e32 v23, v184, v206
	v_fma_f32 v3, v182, v203, -v3
	v_fmac_f32_e32 v23, v185, v205
	v_add_f32_e32 v2, v2, v3
	v_mul_f32_e32 v3, v185, v206
	v_add_f32_e32 v22, v22, v23
	s_waitcnt vmcnt(7)
	v_mul_f32_e32 v23, v186, v207
	v_fma_f32 v3, v184, v205, -v3
	s_waitcnt vmcnt(4)
	v_fmac_f32_e32 v23, v187, v210
	v_add_f32_e32 v2, v2, v3
	v_mul_f32_e32 v3, v187, v207
	v_add_f32_e32 v215, v22, v23
	ds_read_b64 v[22:23], v1 offset:976
	v_fma_f32 v3, v186, v210, -v3
	v_add_f32_e32 v2, v2, v3
	s_waitcnt lgkmcnt(1)
	v_mul_f32_e32 v3, v189, v209
	v_mul_f32_e32 v216, v188, v209
	v_fma_f32 v3, v188, v208, -v3
	v_fmac_f32_e32 v216, v189, v208
	v_add_f32_e32 v2, v2, v3
	s_waitcnt vmcnt(3)
	v_mul_f32_e32 v3, v191, v211
	v_add_f32_e32 v215, v215, v216
	v_mul_f32_e32 v216, v190, v211
	s_waitcnt vmcnt(0)
	v_fma_f32 v3, v190, v214, -v3
	v_fmac_f32_e32 v216, v191, v214
	v_add_f32_e32 v2, v2, v3
	s_waitcnt lgkmcnt(0)
	v_mul_f32_e32 v3, v23, v213
	v_add_f32_e32 v215, v215, v216
	v_mul_f32_e32 v216, v22, v213
	v_fma_f32 v3, v22, v212, -v3
	v_fmac_f32_e32 v216, v23, v212
	v_add_f32_e32 v2, v2, v3
	v_add_f32_e32 v215, v215, v216
	v_sub_f32_e32 v2, v48, v2
	v_sub_f32_e32 v3, v49, v215
	buffer_store_dword v2, off, s[0:3], 0 offset:216
	buffer_store_dword v3, off, s[0:3], 0 offset:220
	s_and_saveexec_b64 s[4:5], vcc
	s_cbranch_execz .LBB124_327
; %bb.326:
	buffer_load_dword v2, off, s[0:3], 0 offset:208
	buffer_load_dword v3, off, s[0:3], 0 offset:212
	s_waitcnt vmcnt(0)
	ds_write_b64 v147, v[2:3]
	buffer_store_dword v1, off, s[0:3], 0 offset:208
	buffer_store_dword v1, off, s[0:3], 0 offset:212
.LBB124_327:
	s_or_b64 exec, exec, s[4:5]
	s_waitcnt lgkmcnt(0)
	; wave barrier
	buffer_load_dword v22, off, s[0:3], 0 offset:220
	buffer_load_dword v23, off, s[0:3], 0 offset:228
	;; [unrolled: 1-line block ×32, first 2 shown]
	ds_read2_b64 v[2:5], v1 offset0:89 offset1:90
	ds_read2_b64 v[6:9], v1 offset0:91 offset1:92
	;; [unrolled: 1-line block ×6, first 2 shown]
	buffer_load_dword v56, off, s[0:3], 0 offset:336
	buffer_load_dword v57, off, s[0:3], 0 offset:340
	;; [unrolled: 1-line block ×38, first 2 shown]
	v_cmp_lt_u32_e32 vcc, 25, v0
	s_waitcnt vmcnt(62) lgkmcnt(5)
	v_mul_f32_e32 v152, v2, v22
	v_mul_f32_e32 v153, v4, v23
	s_waitcnt lgkmcnt(4)
	v_mul_f32_e32 v154, v6, v24
	v_mul_f32_e32 v155, v8, v27
	s_waitcnt lgkmcnt(3)
	;; [unrolled: 3-line block ×3, first 2 shown]
	v_mul_f32_e32 v158, v14, v30
	v_mul_f32_e32 v159, v16, v31
	s_waitcnt vmcnt(61)
	v_fmac_f32_e32 v154, v7, v32
	s_waitcnt vmcnt(60)
	v_fmac_f32_e32 v153, v5, v33
	s_waitcnt vmcnt(59)
	v_fmac_f32_e32 v152, v3, v34
	v_add_f32_e32 v152, 0, v152
	v_add_f32_e32 v152, v152, v153
	;; [unrolled: 1-line block ×3, first 2 shown]
	s_waitcnt vmcnt(55)
	v_fmac_f32_e32 v155, v9, v38
	v_fmac_f32_e32 v156, v11, v37
	v_add_f32_e32 v152, v152, v155
	v_fmac_f32_e32 v157, v13, v36
	v_add_f32_e32 v152, v152, v156
	;; [unrolled: 2-line block ×3, first 2 shown]
	s_waitcnt vmcnt(51)
	v_fmac_f32_e32 v159, v17, v42
	v_add_f32_e32 v152, v152, v158
	s_waitcnt vmcnt(50) lgkmcnt(1)
	v_mul_f32_e32 v153, v18, v43
	v_add_f32_e32 v152, v152, v159
	v_fmac_f32_e32 v153, v19, v41
	v_mul_f32_e32 v3, v3, v22
	v_add_f32_e32 v152, v152, v153
	s_waitcnt vmcnt(49)
	v_mul_f32_e32 v153, v20, v44
	v_fma_f32 v2, v2, v34, -v3
	v_mul_f32_e32 v3, v5, v23
	v_fmac_f32_e32 v153, v21, v40
	v_add_f32_e32 v2, 0, v2
	v_fma_f32 v3, v4, v33, -v3
	v_add_f32_e32 v152, v152, v153
	s_waitcnt vmcnt(48) lgkmcnt(0)
	v_mul_f32_e32 v153, v148, v45
	v_add_f32_e32 v2, v2, v3
	v_mul_f32_e32 v3, v7, v24
	v_fmac_f32_e32 v153, v149, v39
	v_fma_f32 v3, v6, v32, -v3
	v_add_f32_e32 v156, v152, v153
	ds_read2_b64 v[152:155], v1 offset0:101 offset1:102
	v_add_f32_e32 v2, v2, v3
	v_mul_f32_e32 v3, v9, v27
	v_fma_f32 v3, v8, v38, -v3
	s_waitcnt vmcnt(45)
	v_mul_f32_e32 v157, v150, v48
	v_add_f32_e32 v2, v2, v3
	v_mul_f32_e32 v3, v11, v28
	s_waitcnt vmcnt(38)
	v_fmac_f32_e32 v157, v151, v55
	v_fma_f32 v3, v10, v37, -v3
	v_add_f32_e32 v160, v156, v157
	ds_read2_b64 v[156:159], v1 offset0:103 offset1:104
	v_add_f32_e32 v2, v2, v3
	v_mul_f32_e32 v3, v13, v29
	s_waitcnt lgkmcnt(1)
	v_mul_f32_e32 v161, v152, v50
	v_fma_f32 v3, v12, v36, -v3
	v_fmac_f32_e32 v161, v153, v49
	v_add_f32_e32 v2, v2, v3
	v_mul_f32_e32 v3, v15, v30
	v_add_f32_e32 v160, v160, v161
	v_mul_f32_e32 v161, v154, v52
	v_fma_f32 v3, v14, v35, -v3
	v_fmac_f32_e32 v161, v155, v51
	v_add_f32_e32 v2, v2, v3
	v_mul_f32_e32 v3, v17, v31
	v_add_f32_e32 v160, v160, v161
	s_waitcnt lgkmcnt(0)
	v_mul_f32_e32 v161, v156, v54
	v_fma_f32 v3, v16, v42, -v3
	v_fmac_f32_e32 v161, v157, v53
	v_add_f32_e32 v2, v2, v3
	v_mul_f32_e32 v3, v19, v43
	v_add_f32_e32 v164, v160, v161
	ds_read2_b64 v[160:163], v1 offset0:105 offset1:106
	v_fma_f32 v3, v18, v41, -v3
	v_add_f32_e32 v2, v2, v3
	v_mul_f32_e32 v3, v21, v44
	s_waitcnt vmcnt(36)
	v_mul_f32_e32 v165, v158, v57
	v_fma_f32 v3, v20, v40, -v3
	v_fmac_f32_e32 v165, v159, v56
	v_add_f32_e32 v2, v2, v3
	v_mul_f32_e32 v3, v149, v45
	v_add_f32_e32 v168, v164, v165
	ds_read2_b64 v[164:167], v1 offset0:107 offset1:108
	v_fma_f32 v3, v148, v39, -v3
	s_waitcnt vmcnt(34) lgkmcnt(1)
	v_mul_f32_e32 v169, v160, v59
	v_add_f32_e32 v2, v2, v3
	v_mul_f32_e32 v3, v151, v48
	v_fmac_f32_e32 v169, v161, v58
	v_fma_f32 v3, v150, v55, -v3
	v_add_f32_e32 v168, v168, v169
	s_waitcnt vmcnt(32)
	v_mul_f32_e32 v169, v162, v61
	v_add_f32_e32 v2, v2, v3
	v_mul_f32_e32 v3, v153, v50
	v_fmac_f32_e32 v169, v163, v60
	v_fma_f32 v3, v152, v49, -v3
	v_add_f32_e32 v168, v168, v169
	s_waitcnt vmcnt(30) lgkmcnt(0)
	v_mul_f32_e32 v169, v164, v63
	v_add_f32_e32 v2, v2, v3
	v_mul_f32_e32 v3, v155, v52
	v_fmac_f32_e32 v169, v165, v62
	v_fma_f32 v3, v154, v51, -v3
	v_add_f32_e32 v172, v168, v169
	ds_read2_b64 v[168:171], v1 offset0:109 offset1:110
	v_add_f32_e32 v2, v2, v3
	v_mul_f32_e32 v3, v157, v54
	v_fma_f32 v3, v156, v53, -v3
	s_waitcnt vmcnt(28)
	v_mul_f32_e32 v173, v166, v65
	v_add_f32_e32 v2, v2, v3
	v_mul_f32_e32 v3, v159, v57
	v_fmac_f32_e32 v173, v167, v64
	v_fma_f32 v3, v158, v56, -v3
	v_add_f32_e32 v176, v172, v173
	ds_read2_b64 v[172:175], v1 offset0:111 offset1:112
	v_add_f32_e32 v2, v2, v3
	v_mul_f32_e32 v3, v161, v59
	s_waitcnt vmcnt(26) lgkmcnt(1)
	v_mul_f32_e32 v177, v168, v67
	v_fma_f32 v3, v160, v58, -v3
	v_fmac_f32_e32 v177, v169, v66
	v_add_f32_e32 v2, v2, v3
	v_mul_f32_e32 v3, v163, v61
	v_add_f32_e32 v176, v176, v177
	s_waitcnt vmcnt(24)
	v_mul_f32_e32 v177, v170, v69
	v_fma_f32 v3, v162, v60, -v3
	v_fmac_f32_e32 v177, v171, v68
	v_add_f32_e32 v2, v2, v3
	v_mul_f32_e32 v3, v165, v63
	v_add_f32_e32 v176, v176, v177
	s_waitcnt vmcnt(22) lgkmcnt(0)
	v_mul_f32_e32 v177, v172, v196
	v_fma_f32 v3, v164, v62, -v3
	v_fmac_f32_e32 v177, v173, v70
	v_add_f32_e32 v2, v2, v3
	v_mul_f32_e32 v3, v167, v65
	v_add_f32_e32 v180, v176, v177
	ds_read2_b64 v[176:179], v1 offset0:113 offset1:114
	v_fma_f32 v3, v166, v64, -v3
	v_add_f32_e32 v2, v2, v3
	v_mul_f32_e32 v3, v169, v67
	s_waitcnt vmcnt(20)
	v_mul_f32_e32 v181, v174, v198
	v_fma_f32 v3, v168, v66, -v3
	v_fmac_f32_e32 v181, v175, v197
	v_add_f32_e32 v2, v2, v3
	v_mul_f32_e32 v3, v171, v69
	v_add_f32_e32 v184, v180, v181
	ds_read2_b64 v[180:183], v1 offset0:115 offset1:116
	v_fma_f32 v3, v170, v68, -v3
	s_waitcnt vmcnt(18) lgkmcnt(1)
	v_mul_f32_e32 v185, v176, v200
	v_add_f32_e32 v2, v2, v3
	v_mul_f32_e32 v3, v173, v196
	v_fmac_f32_e32 v185, v177, v199
	v_fma_f32 v3, v172, v70, -v3
	v_add_f32_e32 v184, v184, v185
	s_waitcnt vmcnt(16)
	v_mul_f32_e32 v185, v178, v202
	v_add_f32_e32 v2, v2, v3
	v_mul_f32_e32 v3, v175, v198
	v_fmac_f32_e32 v185, v179, v201
	v_fma_f32 v3, v174, v197, -v3
	v_add_f32_e32 v184, v184, v185
	s_waitcnt vmcnt(14) lgkmcnt(0)
	v_mul_f32_e32 v185, v180, v204
	v_add_f32_e32 v2, v2, v3
	v_mul_f32_e32 v3, v177, v200
	v_fmac_f32_e32 v185, v181, v203
	v_fma_f32 v3, v176, v199, -v3
	v_add_f32_e32 v188, v184, v185
	ds_read2_b64 v[184:187], v1 offset0:117 offset1:118
	v_add_f32_e32 v2, v2, v3
	v_mul_f32_e32 v3, v179, v202
	v_fma_f32 v3, v178, v201, -v3
	v_add_f32_e32 v2, v2, v3
	v_mul_f32_e32 v3, v181, v204
	s_waitcnt vmcnt(12)
	v_mul_f32_e32 v189, v182, v206
	v_fma_f32 v3, v180, v203, -v3
	v_fmac_f32_e32 v189, v183, v205
	v_add_f32_e32 v2, v2, v3
	v_mul_f32_e32 v3, v183, v206
	v_add_f32_e32 v192, v188, v189
	ds_read2_b64 v[188:191], v1 offset0:119 offset1:120
	s_waitcnt vmcnt(10) lgkmcnt(1)
	v_mul_f32_e32 v193, v184, v208
	v_fma_f32 v3, v182, v205, -v3
	v_fmac_f32_e32 v193, v185, v207
	v_add_f32_e32 v2, v2, v3
	v_mul_f32_e32 v3, v185, v208
	v_add_f32_e32 v192, v192, v193
	s_waitcnt vmcnt(9)
	v_mul_f32_e32 v193, v186, v209
	v_fma_f32 v3, v184, v207, -v3
	s_waitcnt vmcnt(6)
	v_fmac_f32_e32 v193, v187, v212
	v_add_f32_e32 v2, v2, v3
	v_mul_f32_e32 v3, v187, v209
	v_add_f32_e32 v219, v192, v193
	ds_read2_b64 v[192:195], v1 offset0:121 offset1:122
	v_fma_f32 v3, v186, v212, -v3
	v_add_f32_e32 v2, v2, v3
	s_waitcnt lgkmcnt(1)
	v_mul_f32_e32 v3, v189, v211
	v_mul_f32_e32 v220, v188, v211
	v_fma_f32 v3, v188, v210, -v3
	v_fmac_f32_e32 v220, v189, v210
	v_add_f32_e32 v2, v2, v3
	s_waitcnt vmcnt(4)
	v_mul_f32_e32 v3, v191, v214
	v_add_f32_e32 v1, v219, v220
	v_mul_f32_e32 v219, v190, v214
	v_fma_f32 v3, v190, v213, -v3
	v_fmac_f32_e32 v219, v191, v213
	v_add_f32_e32 v2, v2, v3
	s_waitcnt vmcnt(3) lgkmcnt(0)
	v_mul_f32_e32 v3, v193, v215
	v_add_f32_e32 v1, v1, v219
	v_mul_f32_e32 v219, v192, v215
	s_waitcnt vmcnt(0)
	v_fma_f32 v3, v192, v218, -v3
	v_fmac_f32_e32 v219, v193, v218
	v_add_f32_e32 v2, v2, v3
	v_mul_f32_e32 v3, v195, v217
	v_add_f32_e32 v1, v1, v219
	v_mul_f32_e32 v219, v194, v217
	v_fma_f32 v3, v194, v216, -v3
	v_fmac_f32_e32 v219, v195, v216
	v_add_f32_e32 v2, v2, v3
	v_add_f32_e32 v1, v1, v219
	v_sub_f32_e32 v2, v46, v2
	v_sub_f32_e32 v1, v47, v1
	buffer_store_dword v2, off, s[0:3], 0 offset:208
	buffer_store_dword v1, off, s[0:3], 0 offset:212
	s_and_saveexec_b64 s[4:5], vcc
	s_cbranch_execz .LBB124_329
; %bb.328:
	buffer_load_dword v1, off, s[0:3], 0 offset:200
	buffer_load_dword v2, off, s[0:3], 0 offset:204
	v_mov_b32_e32 v3, 0
	buffer_store_dword v3, off, s[0:3], 0 offset:200
	buffer_store_dword v3, off, s[0:3], 0 offset:204
	s_waitcnt vmcnt(2)
	ds_write_b64 v147, v[1:2]
.LBB124_329:
	s_or_b64 exec, exec, s[4:5]
	s_waitcnt lgkmcnt(0)
	; wave barrier
	buffer_load_dword v24, off, s[0:3], 0 offset:212
	buffer_load_dword v27, off, s[0:3], 0 offset:220
	;; [unrolled: 1-line block ×56, first 2 shown]
	v_mov_b32_e32 v1, 0
	ds_read_b128 v[2:5], v1 offset:704
	ds_read_b128 v[6:9], v1 offset:720
	;; [unrolled: 1-line block ×6, first 2 shown]
	buffer_load_dword v207, off, s[0:3], 0 offset:424
	buffer_load_dword v208, off, s[0:3], 0 offset:428
	;; [unrolled: 1-line block ×16, first 2 shown]
	ds_read_b128 v[160:163], v1 offset:832
	ds_read_b128 v[164:167], v1 offset:848
	;; [unrolled: 1-line block ×9, first 2 shown]
	v_cmp_lt_u32_e32 vcc, 24, v0
	s_waitcnt vmcnt(62) lgkmcnt(14)
	v_mul_f32_e32 v22, v2, v24
	v_mul_f32_e32 v23, v4, v27
	s_waitcnt lgkmcnt(13)
	v_mul_f32_e32 v152, v6, v28
	v_mul_f32_e32 v153, v8, v29
	s_waitcnt lgkmcnt(12)
	;; [unrolled: 3-line block ×4, first 2 shown]
	v_mul_f32_e32 v158, v18, v34
	v_fmac_f32_e32 v152, v7, v35
	s_waitcnt vmcnt(61)
	v_fmac_f32_e32 v23, v5, v36
	s_waitcnt vmcnt(60)
	v_fmac_f32_e32 v22, v3, v37
	v_mul_f32_e32 v3, v3, v24
	v_fma_f32 v2, v2, v37, -v3
	v_mul_f32_e32 v3, v5, v27
	v_add_f32_e32 v2, 0, v2
	v_fma_f32 v3, v4, v36, -v3
	v_add_f32_e32 v2, v2, v3
	v_mul_f32_e32 v3, v7, v28
	v_fma_f32 v3, v6, v35, -v3
	v_add_f32_e32 v2, v2, v3
	v_mul_f32_e32 v3, v9, v29
	s_waitcnt vmcnt(56)
	v_fma_f32 v3, v8, v41, -v3
	v_add_f32_e32 v2, v2, v3
	v_mul_f32_e32 v3, v11, v30
	v_fma_f32 v3, v10, v40, -v3
	v_add_f32_e32 v22, 0, v22
	v_add_f32_e32 v2, v2, v3
	v_mul_f32_e32 v3, v13, v31
	v_add_f32_e32 v22, v22, v23
	v_fma_f32 v3, v12, v39, -v3
	v_fmac_f32_e32 v153, v9, v41
	v_add_f32_e32 v22, v22, v152
	v_add_f32_e32 v2, v2, v3
	v_mul_f32_e32 v3, v15, v32
	v_fmac_f32_e32 v154, v11, v40
	v_add_f32_e32 v22, v22, v153
	v_fma_f32 v3, v14, v38, -v3
	v_fmac_f32_e32 v155, v13, v39
	v_add_f32_e32 v22, v22, v154
	v_add_f32_e32 v2, v2, v3
	v_mul_f32_e32 v3, v17, v33
	v_fmac_f32_e32 v156, v15, v38
	v_add_f32_e32 v22, v22, v155
	s_waitcnt vmcnt(52)
	v_fma_f32 v3, v16, v45, -v3
	v_fmac_f32_e32 v157, v17, v45
	v_add_f32_e32 v22, v22, v156
	v_add_f32_e32 v2, v2, v3
	v_mul_f32_e32 v3, v19, v34
	v_add_f32_e32 v22, v22, v157
	v_fmac_f32_e32 v158, v19, v44
	s_waitcnt vmcnt(51)
	v_mul_f32_e32 v23, v20, v46
	v_fma_f32 v3, v18, v44, -v3
	v_add_f32_e32 v22, v22, v158
	v_fmac_f32_e32 v23, v21, v43
	ds_read_b128 v[152:155], v1 offset:800
	ds_read_b128 v[156:159], v1 offset:816
	v_add_f32_e32 v2, v2, v3
	v_mul_f32_e32 v3, v21, v46
	v_add_f32_e32 v22, v22, v23
	s_waitcnt vmcnt(50) lgkmcnt(11)
	v_mul_f32_e32 v23, v148, v47
	v_fma_f32 v3, v20, v43, -v3
	v_fmac_f32_e32 v23, v149, v42
	v_add_f32_e32 v2, v2, v3
	v_mul_f32_e32 v3, v149, v47
	v_add_f32_e32 v22, v22, v23
	s_waitcnt vmcnt(46)
	v_mul_f32_e32 v23, v150, v51
	v_fma_f32 v3, v148, v42, -v3
	v_fmac_f32_e32 v23, v151, v50
	v_add_f32_e32 v2, v2, v3
	v_mul_f32_e32 v3, v151, v51
	v_add_f32_e32 v22, v22, v23
	s_waitcnt vmcnt(44) lgkmcnt(1)
	v_mul_f32_e32 v23, v152, v53
	v_fma_f32 v3, v150, v50, -v3
	v_fmac_f32_e32 v23, v153, v52
	v_add_f32_e32 v2, v2, v3
	v_mul_f32_e32 v3, v153, v53
	v_add_f32_e32 v22, v22, v23
	s_waitcnt vmcnt(42)
	v_mul_f32_e32 v23, v154, v55
	v_fma_f32 v3, v152, v52, -v3
	v_fmac_f32_e32 v23, v155, v54
	;; [unrolled: 14-line block ×3, first 2 shown]
	v_add_f32_e32 v2, v2, v3
	v_mul_f32_e32 v3, v159, v59
	v_add_f32_e32 v22, v22, v23
	s_waitcnt vmcnt(36)
	v_mul_f32_e32 v23, v160, v61
	v_fma_f32 v3, v158, v58, -v3
	v_fmac_f32_e32 v23, v161, v60
	v_add_f32_e32 v2, v2, v3
	v_mul_f32_e32 v3, v161, v61
	v_add_f32_e32 v22, v22, v23
	s_waitcnt vmcnt(34)
	v_mul_f32_e32 v23, v162, v63
	v_fma_f32 v3, v160, v60, -v3
	v_fmac_f32_e32 v23, v163, v62
	;; [unrolled: 7-line block ×13, first 2 shown]
	v_add_f32_e32 v2, v2, v3
	v_mul_f32_e32 v3, v185, v210
	v_add_f32_e32 v22, v22, v23
	s_waitcnt vmcnt(11)
	v_mul_f32_e32 v23, v186, v211
	v_fma_f32 v3, v184, v209, -v3
	s_waitcnt vmcnt(8)
	v_fmac_f32_e32 v23, v187, v214
	v_add_f32_e32 v2, v2, v3
	v_mul_f32_e32 v3, v187, v211
	v_add_f32_e32 v22, v22, v23
	v_mul_f32_e32 v23, v188, v213
	v_fma_f32 v3, v186, v214, -v3
	v_fmac_f32_e32 v23, v189, v212
	v_add_f32_e32 v2, v2, v3
	v_mul_f32_e32 v3, v189, v213
	v_add_f32_e32 v22, v22, v23
	s_waitcnt vmcnt(6)
	v_mul_f32_e32 v23, v190, v216
	v_fma_f32 v3, v188, v212, -v3
	v_fmac_f32_e32 v23, v191, v215
	v_add_f32_e32 v2, v2, v3
	v_mul_f32_e32 v3, v191, v216
	v_add_f32_e32 v223, v22, v23
	ds_read_b64 v[22:23], v1 offset:976
	v_fma_f32 v3, v190, v215, -v3
	v_add_f32_e32 v2, v2, v3
	s_waitcnt vmcnt(4)
	v_mul_f32_e32 v3, v193, v218
	v_mul_f32_e32 v224, v192, v218
	v_fma_f32 v3, v192, v217, -v3
	v_fmac_f32_e32 v224, v193, v217
	v_add_f32_e32 v2, v2, v3
	s_waitcnt vmcnt(3)
	v_mul_f32_e32 v3, v195, v219
	v_add_f32_e32 v223, v223, v224
	v_mul_f32_e32 v224, v194, v219
	s_waitcnt vmcnt(0)
	v_fma_f32 v3, v194, v222, -v3
	v_fmac_f32_e32 v224, v195, v222
	v_add_f32_e32 v2, v2, v3
	s_waitcnt lgkmcnt(0)
	v_mul_f32_e32 v3, v23, v221
	v_add_f32_e32 v223, v223, v224
	v_mul_f32_e32 v224, v22, v221
	v_fma_f32 v3, v22, v220, -v3
	v_fmac_f32_e32 v224, v23, v220
	v_add_f32_e32 v2, v2, v3
	v_add_f32_e32 v223, v223, v224
	v_sub_f32_e32 v2, v48, v2
	v_sub_f32_e32 v3, v49, v223
	buffer_store_dword v2, off, s[0:3], 0 offset:200
	buffer_store_dword v3, off, s[0:3], 0 offset:204
	s_and_saveexec_b64 s[4:5], vcc
	s_cbranch_execz .LBB124_331
; %bb.330:
	buffer_load_dword v2, off, s[0:3], 0 offset:192
	buffer_load_dword v3, off, s[0:3], 0 offset:196
	s_waitcnt vmcnt(0)
	ds_write_b64 v147, v[2:3]
	buffer_store_dword v1, off, s[0:3], 0 offset:192
	buffer_store_dword v1, off, s[0:3], 0 offset:196
.LBB124_331:
	s_or_b64 exec, exec, s[4:5]
	s_waitcnt lgkmcnt(0)
	; wave barrier
	buffer_load_dword v22, off, s[0:3], 0 offset:204
	buffer_load_dword v23, off, s[0:3], 0 offset:212
	;; [unrolled: 1-line block ×26, first 2 shown]
	ds_read2_b64 v[2:5], v1 offset0:87 offset1:88
	ds_read2_b64 v[6:9], v1 offset0:89 offset1:90
	;; [unrolled: 1-line block ×6, first 2 shown]
	buffer_load_dword v50, off, s[0:3], 0 offset:296
	buffer_load_dword v51, off, s[0:3], 0 offset:300
	;; [unrolled: 1-line block ×46, first 2 shown]
	v_cmp_lt_u32_e32 vcc, 23, v0
	s_waitcnt vmcnt(62) lgkmcnt(5)
	v_mul_f32_e32 v152, v2, v22
	v_mul_f32_e32 v153, v4, v23
	s_waitcnt lgkmcnt(4)
	v_mul_f32_e32 v154, v6, v24
	v_mul_f32_e32 v155, v8, v27
	s_waitcnt lgkmcnt(3)
	;; [unrolled: 3-line block ×4, first 2 shown]
	v_mul_f32_e32 v160, v18, v32
	v_fmac_f32_e32 v154, v7, v33
	s_waitcnt vmcnt(61)
	v_fmac_f32_e32 v153, v5, v34
	s_waitcnt vmcnt(60)
	v_fmac_f32_e32 v152, v3, v35
	v_add_f32_e32 v152, 0, v152
	v_add_f32_e32 v152, v152, v153
	;; [unrolled: 1-line block ×3, first 2 shown]
	s_waitcnt vmcnt(56)
	v_fmac_f32_e32 v155, v9, v39
	v_fmac_f32_e32 v156, v11, v38
	v_add_f32_e32 v152, v152, v155
	v_fmac_f32_e32 v157, v13, v37
	v_add_f32_e32 v152, v152, v156
	;; [unrolled: 2-line block ×3, first 2 shown]
	s_waitcnt vmcnt(52)
	v_fmac_f32_e32 v159, v17, v43
	v_add_f32_e32 v152, v152, v158
	v_fmac_f32_e32 v160, v19, v42
	v_add_f32_e32 v152, v152, v159
	s_waitcnt vmcnt(51)
	v_mul_f32_e32 v153, v20, v44
	v_add_f32_e32 v152, v152, v160
	v_fmac_f32_e32 v153, v21, v41
	v_add_f32_e32 v152, v152, v153
	s_waitcnt vmcnt(50) lgkmcnt(0)
	v_mul_f32_e32 v153, v148, v45
	v_fmac_f32_e32 v153, v149, v40
	s_waitcnt vmcnt(46)
	v_mul_f32_e32 v157, v150, v49
	v_add_f32_e32 v156, v152, v153
	v_fmac_f32_e32 v157, v151, v48
	ds_read2_b64 v[152:155], v1 offset0:99 offset1:100
	v_add_f32_e32 v160, v156, v157
	ds_read2_b64 v[156:159], v1 offset0:101 offset1:102
	buffer_load_dword v225, off, s[0:3], 0 offset:480
	buffer_load_dword v226, off, s[0:3], 0 offset:484
	v_mul_f32_e32 v3, v3, v22
	v_fma_f32 v2, v2, v35, -v3
	v_mul_f32_e32 v3, v5, v23
	v_add_f32_e32 v2, 0, v2
	v_fma_f32 v3, v4, v34, -v3
	v_add_f32_e32 v2, v2, v3
	v_mul_f32_e32 v3, v7, v24
	v_fma_f32 v3, v6, v33, -v3
	v_add_f32_e32 v2, v2, v3
	v_mul_f32_e32 v3, v9, v27
	;; [unrolled: 3-line block ×3, first 2 shown]
	s_waitcnt vmcnt(46) lgkmcnt(1)
	v_mul_f32_e32 v161, v152, v51
	v_fma_f32 v3, v10, v38, -v3
	v_fmac_f32_e32 v161, v153, v50
	v_add_f32_e32 v2, v2, v3
	v_mul_f32_e32 v3, v13, v29
	v_add_f32_e32 v160, v160, v161
	s_waitcnt vmcnt(44)
	v_mul_f32_e32 v161, v154, v53
	v_fma_f32 v3, v12, v37, -v3
	v_fmac_f32_e32 v161, v155, v52
	v_add_f32_e32 v2, v2, v3
	v_mul_f32_e32 v3, v15, v30
	v_add_f32_e32 v160, v160, v161
	s_waitcnt vmcnt(42) lgkmcnt(0)
	v_mul_f32_e32 v161, v156, v55
	v_fma_f32 v3, v14, v36, -v3
	v_fmac_f32_e32 v161, v157, v54
	v_add_f32_e32 v2, v2, v3
	v_mul_f32_e32 v3, v17, v31
	v_add_f32_e32 v164, v160, v161
	ds_read2_b64 v[160:163], v1 offset0:103 offset1:104
	v_fma_f32 v3, v16, v43, -v3
	v_add_f32_e32 v2, v2, v3
	v_mul_f32_e32 v3, v19, v32
	s_waitcnt vmcnt(40)
	v_mul_f32_e32 v165, v158, v57
	v_fma_f32 v3, v18, v42, -v3
	v_fmac_f32_e32 v165, v159, v56
	v_add_f32_e32 v2, v2, v3
	v_mul_f32_e32 v3, v21, v44
	v_add_f32_e32 v168, v164, v165
	ds_read2_b64 v[164:167], v1 offset0:105 offset1:106
	v_fma_f32 v3, v20, v41, -v3
	s_waitcnt vmcnt(38) lgkmcnt(1)
	v_mul_f32_e32 v169, v160, v59
	v_add_f32_e32 v2, v2, v3
	v_mul_f32_e32 v3, v149, v45
	v_fmac_f32_e32 v169, v161, v58
	v_fma_f32 v3, v148, v40, -v3
	v_add_f32_e32 v168, v168, v169
	s_waitcnt vmcnt(36)
	v_mul_f32_e32 v169, v162, v61
	v_add_f32_e32 v2, v2, v3
	v_mul_f32_e32 v3, v151, v49
	v_fmac_f32_e32 v169, v163, v60
	v_fma_f32 v3, v150, v48, -v3
	v_add_f32_e32 v168, v168, v169
	s_waitcnt vmcnt(34) lgkmcnt(0)
	v_mul_f32_e32 v169, v164, v63
	v_add_f32_e32 v2, v2, v3
	v_mul_f32_e32 v3, v153, v51
	v_fmac_f32_e32 v169, v165, v62
	v_fma_f32 v3, v152, v50, -v3
	v_add_f32_e32 v172, v168, v169
	ds_read2_b64 v[168:171], v1 offset0:107 offset1:108
	v_add_f32_e32 v2, v2, v3
	v_mul_f32_e32 v3, v155, v53
	v_fma_f32 v3, v154, v52, -v3
	s_waitcnt vmcnt(32)
	v_mul_f32_e32 v173, v166, v65
	v_add_f32_e32 v2, v2, v3
	v_mul_f32_e32 v3, v157, v55
	v_fmac_f32_e32 v173, v167, v64
	v_fma_f32 v3, v156, v54, -v3
	v_add_f32_e32 v176, v172, v173
	ds_read2_b64 v[172:175], v1 offset0:109 offset1:110
	v_add_f32_e32 v2, v2, v3
	v_mul_f32_e32 v3, v159, v57
	s_waitcnt vmcnt(30) lgkmcnt(1)
	v_mul_f32_e32 v177, v168, v67
	v_fma_f32 v3, v158, v56, -v3
	v_fmac_f32_e32 v177, v169, v66
	v_add_f32_e32 v2, v2, v3
	v_mul_f32_e32 v3, v161, v59
	v_add_f32_e32 v176, v176, v177
	s_waitcnt vmcnt(28)
	v_mul_f32_e32 v177, v170, v69
	v_fma_f32 v3, v160, v58, -v3
	v_fmac_f32_e32 v177, v171, v68
	v_add_f32_e32 v2, v2, v3
	v_mul_f32_e32 v3, v163, v61
	v_add_f32_e32 v176, v176, v177
	s_waitcnt vmcnt(26) lgkmcnt(0)
	v_mul_f32_e32 v177, v172, v200
	v_fma_f32 v3, v162, v60, -v3
	v_fmac_f32_e32 v177, v173, v70
	v_add_f32_e32 v2, v2, v3
	v_mul_f32_e32 v3, v165, v63
	v_add_f32_e32 v180, v176, v177
	ds_read2_b64 v[176:179], v1 offset0:111 offset1:112
	v_fma_f32 v3, v164, v62, -v3
	v_add_f32_e32 v2, v2, v3
	v_mul_f32_e32 v3, v167, v65
	s_waitcnt vmcnt(24)
	v_mul_f32_e32 v181, v174, v202
	v_fma_f32 v3, v166, v64, -v3
	v_fmac_f32_e32 v181, v175, v201
	v_add_f32_e32 v2, v2, v3
	v_mul_f32_e32 v3, v169, v67
	v_add_f32_e32 v184, v180, v181
	ds_read2_b64 v[180:183], v1 offset0:113 offset1:114
	v_fma_f32 v3, v168, v66, -v3
	s_waitcnt vmcnt(22) lgkmcnt(1)
	v_mul_f32_e32 v185, v176, v204
	v_add_f32_e32 v2, v2, v3
	v_mul_f32_e32 v3, v171, v69
	v_fmac_f32_e32 v185, v177, v203
	v_fma_f32 v3, v170, v68, -v3
	v_add_f32_e32 v184, v184, v185
	s_waitcnt vmcnt(20)
	v_mul_f32_e32 v185, v178, v206
	v_add_f32_e32 v2, v2, v3
	v_mul_f32_e32 v3, v173, v200
	v_fmac_f32_e32 v185, v179, v205
	v_fma_f32 v3, v172, v70, -v3
	v_add_f32_e32 v184, v184, v185
	s_waitcnt vmcnt(18) lgkmcnt(0)
	v_mul_f32_e32 v185, v180, v208
	v_add_f32_e32 v2, v2, v3
	v_mul_f32_e32 v3, v175, v202
	v_fmac_f32_e32 v185, v181, v207
	v_fma_f32 v3, v174, v201, -v3
	v_add_f32_e32 v188, v184, v185
	ds_read2_b64 v[184:187], v1 offset0:115 offset1:116
	v_add_f32_e32 v2, v2, v3
	v_mul_f32_e32 v3, v177, v204
	v_fma_f32 v3, v176, v203, -v3
	s_waitcnt vmcnt(16)
	v_mul_f32_e32 v189, v182, v210
	v_add_f32_e32 v2, v2, v3
	v_mul_f32_e32 v3, v179, v206
	v_fmac_f32_e32 v189, v183, v209
	v_fma_f32 v3, v178, v205, -v3
	v_add_f32_e32 v192, v188, v189
	ds_read2_b64 v[188:191], v1 offset0:117 offset1:118
	v_add_f32_e32 v2, v2, v3
	v_mul_f32_e32 v3, v181, v208
	s_waitcnt vmcnt(14) lgkmcnt(1)
	v_mul_f32_e32 v193, v184, v212
	v_fma_f32 v3, v180, v207, -v3
	v_fmac_f32_e32 v193, v185, v211
	v_add_f32_e32 v2, v2, v3
	v_mul_f32_e32 v3, v183, v210
	v_add_f32_e32 v192, v192, v193
	s_waitcnt vmcnt(13)
	v_mul_f32_e32 v193, v186, v213
	v_fma_f32 v3, v182, v209, -v3
	s_waitcnt vmcnt(10)
	v_fmac_f32_e32 v193, v187, v216
	v_add_f32_e32 v2, v2, v3
	v_mul_f32_e32 v3, v185, v212
	v_add_f32_e32 v192, v192, v193
	s_waitcnt lgkmcnt(0)
	v_mul_f32_e32 v193, v188, v215
	v_fma_f32 v3, v184, v211, -v3
	v_fmac_f32_e32 v193, v189, v214
	v_add_f32_e32 v2, v2, v3
	v_mul_f32_e32 v3, v187, v213
	v_add_f32_e32 v196, v192, v193
	ds_read2_b64 v[192:195], v1 offset0:119 offset1:120
	v_fma_f32 v3, v186, v216, -v3
	v_add_f32_e32 v2, v2, v3
	v_mul_f32_e32 v3, v189, v215
	s_waitcnt vmcnt(8)
	v_mul_f32_e32 v197, v190, v218
	v_fma_f32 v3, v188, v214, -v3
	v_fmac_f32_e32 v197, v191, v217
	v_add_f32_e32 v2, v2, v3
	v_mul_f32_e32 v3, v191, v218
	v_add_f32_e32 v227, v196, v197
	ds_read2_b64 v[196:199], v1 offset0:121 offset1:122
	v_fma_f32 v3, v190, v217, -v3
	v_add_f32_e32 v2, v2, v3
	s_waitcnt vmcnt(6) lgkmcnt(1)
	v_mul_f32_e32 v3, v193, v220
	v_mul_f32_e32 v1, v192, v220
	v_fma_f32 v3, v192, v219, -v3
	v_fmac_f32_e32 v1, v193, v219
	v_add_f32_e32 v2, v2, v3
	s_waitcnt vmcnt(5)
	v_mul_f32_e32 v3, v195, v221
	v_add_f32_e32 v1, v227, v1
	v_mul_f32_e32 v227, v194, v221
	s_waitcnt vmcnt(2)
	v_fma_f32 v3, v194, v224, -v3
	v_fmac_f32_e32 v227, v195, v224
	v_add_f32_e32 v2, v2, v3
	s_waitcnt lgkmcnt(0)
	v_mul_f32_e32 v3, v197, v223
	v_add_f32_e32 v1, v1, v227
	v_mul_f32_e32 v227, v196, v223
	v_fma_f32 v3, v196, v222, -v3
	v_fmac_f32_e32 v227, v197, v222
	v_add_f32_e32 v2, v2, v3
	s_waitcnt vmcnt(0)
	v_mul_f32_e32 v3, v199, v226
	v_add_f32_e32 v1, v1, v227
	v_mul_f32_e32 v227, v198, v226
	v_fma_f32 v3, v198, v225, -v3
	v_fmac_f32_e32 v227, v199, v225
	v_add_f32_e32 v2, v2, v3
	v_add_f32_e32 v1, v1, v227
	v_sub_f32_e32 v2, v46, v2
	v_sub_f32_e32 v1, v47, v1
	buffer_store_dword v2, off, s[0:3], 0 offset:192
	buffer_store_dword v1, off, s[0:3], 0 offset:196
	s_and_saveexec_b64 s[4:5], vcc
	s_cbranch_execz .LBB124_333
; %bb.332:
	buffer_load_dword v1, off, s[0:3], 0 offset:184
	buffer_load_dword v2, off, s[0:3], 0 offset:188
	v_mov_b32_e32 v3, 0
	buffer_store_dword v3, off, s[0:3], 0 offset:184
	buffer_store_dword v3, off, s[0:3], 0 offset:188
	s_waitcnt vmcnt(2)
	ds_write_b64 v147, v[1:2]
.LBB124_333:
	s_or_b64 exec, exec, s[4:5]
	s_waitcnt lgkmcnt(0)
	; wave barrier
	buffer_load_dword v24, off, s[0:3], 0 offset:196
	buffer_load_dword v27, off, s[0:3], 0 offset:204
	;; [unrolled: 1-line block ×50, first 2 shown]
	v_mov_b32_e32 v1, 0
	ds_read_b128 v[2:5], v1 offset:688
	ds_read_b128 v[6:9], v1 offset:704
	;; [unrolled: 1-line block ×6, first 2 shown]
	buffer_load_dword v205, off, s[0:3], 0 offset:384
	buffer_load_dword v206, off, s[0:3], 0 offset:388
	;; [unrolled: 1-line block ×16, first 2 shown]
	v_cmp_lt_u32_e32 vcc, 22, v0
	s_waitcnt vmcnt(62) lgkmcnt(5)
	v_mul_f32_e32 v22, v2, v24
	v_mul_f32_e32 v23, v4, v27
	s_waitcnt lgkmcnt(4)
	v_mul_f32_e32 v152, v6, v28
	v_mul_f32_e32 v153, v8, v29
	s_waitcnt vmcnt(61) lgkmcnt(3)
	v_mul_f32_e32 v154, v10, v30
	s_waitcnt vmcnt(60)
	v_mul_f32_e32 v155, v12, v31
	s_waitcnt vmcnt(59) lgkmcnt(2)
	v_mul_f32_e32 v156, v14, v32
	s_waitcnt vmcnt(58)
	;; [unrolled: 4-line block ×3, first 2 shown]
	v_fmac_f32_e32 v152, v7, v35
	s_waitcnt vmcnt(55)
	v_fmac_f32_e32 v23, v5, v36
	s_waitcnt vmcnt(54)
	v_fmac_f32_e32 v22, v3, v37
	v_add_f32_e32 v22, 0, v22
	v_add_f32_e32 v22, v22, v23
	;; [unrolled: 1-line block ×3, first 2 shown]
	s_waitcnt vmcnt(50)
	v_fmac_f32_e32 v153, v9, v41
	v_fmac_f32_e32 v154, v11, v40
	v_add_f32_e32 v22, v22, v153
	v_fmac_f32_e32 v155, v13, v39
	v_add_f32_e32 v22, v22, v154
	v_add_f32_e32 v22, v22, v155
	ds_read_b128 v[152:155], v1 offset:784
	buffer_load_dword v221, off, s[0:3], 0 offset:448
	buffer_load_dword v222, off, s[0:3], 0 offset:452
	;; [unrolled: 1-line block ×6, first 2 shown]
	v_fmac_f32_e32 v156, v15, v38
	s_waitcnt vmcnt(52)
	v_fmac_f32_e32 v157, v17, v45
	v_add_f32_e32 v22, v22, v156
	v_fmac_f32_e32 v158, v19, v44
	v_add_f32_e32 v22, v22, v157
	v_add_f32_e32 v22, v22, v158
	ds_read_b128 v[156:159], v1 offset:800
	buffer_load_dword v227, off, s[0:3], 0 offset:476
	buffer_load_dword v228, off, s[0:3], 0 offset:480
	;; [unrolled: 1-line block ×4, first 2 shown]
	v_mul_f32_e32 v3, v3, v24
	v_fma_f32 v2, v2, v37, -v3
	v_mul_f32_e32 v3, v5, v27
	v_add_f32_e32 v2, 0, v2
	v_fma_f32 v3, v4, v36, -v3
	v_add_f32_e32 v2, v2, v3
	v_mul_f32_e32 v3, v7, v28
	v_fma_f32 v3, v6, v35, -v3
	v_add_f32_e32 v2, v2, v3
	v_mul_f32_e32 v3, v9, v29
	;; [unrolled: 3-line block ×7, first 2 shown]
	s_waitcnt vmcnt(55)
	v_mul_f32_e32 v23, v20, v46
	v_fma_f32 v3, v18, v44, -v3
	v_fmac_f32_e32 v23, v21, v43
	v_add_f32_e32 v2, v2, v3
	v_mul_f32_e32 v3, v21, v46
	v_add_f32_e32 v22, v22, v23
	s_waitcnt vmcnt(54) lgkmcnt(2)
	v_mul_f32_e32 v23, v148, v47
	v_fma_f32 v3, v20, v43, -v3
	v_fmac_f32_e32 v23, v149, v42
	v_add_f32_e32 v2, v2, v3
	v_mul_f32_e32 v3, v149, v47
	v_add_f32_e32 v22, v22, v23
	s_waitcnt vmcnt(53)
	v_mul_f32_e32 v23, v150, v48
	v_fma_f32 v3, v148, v42, -v3
	s_waitcnt vmcnt(46)
	v_fmac_f32_e32 v23, v151, v55
	v_add_f32_e32 v2, v2, v3
	v_mul_f32_e32 v3, v151, v48
	v_add_f32_e32 v22, v22, v23
	s_waitcnt lgkmcnt(1)
	v_mul_f32_e32 v23, v152, v50
	v_fma_f32 v3, v150, v55, -v3
	v_fmac_f32_e32 v23, v153, v49
	v_add_f32_e32 v2, v2, v3
	v_mul_f32_e32 v3, v153, v50
	v_add_f32_e32 v22, v22, v23
	v_mul_f32_e32 v23, v154, v52
	v_fma_f32 v3, v152, v49, -v3
	v_fmac_f32_e32 v23, v155, v51
	ds_read_b128 v[160:163], v1 offset:816
	ds_read_b128 v[164:167], v1 offset:832
	v_add_f32_e32 v2, v2, v3
	v_mul_f32_e32 v3, v155, v52
	v_add_f32_e32 v22, v22, v23
	s_waitcnt lgkmcnt(2)
	v_mul_f32_e32 v23, v156, v54
	v_fma_f32 v3, v154, v51, -v3
	v_fmac_f32_e32 v23, v157, v53
	v_add_f32_e32 v2, v2, v3
	v_mul_f32_e32 v3, v157, v54
	v_add_f32_e32 v22, v22, v23
	s_waitcnt vmcnt(42)
	v_mul_f32_e32 v23, v158, v59
	v_fma_f32 v3, v156, v53, -v3
	v_fmac_f32_e32 v23, v159, v58
	v_add_f32_e32 v2, v2, v3
	v_mul_f32_e32 v3, v159, v59
	v_add_f32_e32 v22, v22, v23
	s_waitcnt vmcnt(40) lgkmcnt(1)
	v_mul_f32_e32 v23, v160, v61
	v_fma_f32 v3, v158, v58, -v3
	v_fmac_f32_e32 v23, v161, v60
	v_add_f32_e32 v2, v2, v3
	v_mul_f32_e32 v3, v161, v61
	v_add_f32_e32 v22, v22, v23
	s_waitcnt vmcnt(38)
	v_mul_f32_e32 v23, v162, v63
	v_fma_f32 v3, v160, v60, -v3
	v_fmac_f32_e32 v23, v163, v62
	ds_read_b128 v[168:171], v1 offset:848
	ds_read_b128 v[172:175], v1 offset:864
	v_add_f32_e32 v2, v2, v3
	v_mul_f32_e32 v3, v163, v63
	v_add_f32_e32 v22, v22, v23
	s_waitcnt vmcnt(36) lgkmcnt(2)
	v_mul_f32_e32 v23, v164, v65
	v_fma_f32 v3, v162, v62, -v3
	v_fmac_f32_e32 v23, v165, v64
	v_add_f32_e32 v2, v2, v3
	v_mul_f32_e32 v3, v165, v65
	v_add_f32_e32 v22, v22, v23
	s_waitcnt vmcnt(34)
	v_mul_f32_e32 v23, v166, v67
	v_fma_f32 v3, v164, v64, -v3
	v_fmac_f32_e32 v23, v167, v66
	v_add_f32_e32 v2, v2, v3
	v_mul_f32_e32 v3, v167, v67
	v_add_f32_e32 v22, v22, v23
	s_waitcnt vmcnt(32) lgkmcnt(1)
	v_mul_f32_e32 v23, v168, v69
	v_fma_f32 v3, v166, v66, -v3
	v_fmac_f32_e32 v23, v169, v68
	v_add_f32_e32 v2, v2, v3
	v_mul_f32_e32 v3, v169, v69
	v_add_f32_e32 v22, v22, v23
	s_waitcnt vmcnt(30)
	v_mul_f32_e32 v23, v170, v200
	v_fma_f32 v3, v168, v68, -v3
	v_fmac_f32_e32 v23, v171, v70
	ds_read_b128 v[176:179], v1 offset:880
	ds_read_b128 v[180:183], v1 offset:896
	v_add_f32_e32 v2, v2, v3
	v_mul_f32_e32 v3, v171, v200
	v_add_f32_e32 v22, v22, v23
	s_waitcnt vmcnt(28) lgkmcnt(2)
	v_mul_f32_e32 v23, v172, v202
	v_fma_f32 v3, v170, v70, -v3
	v_fmac_f32_e32 v23, v173, v201
	v_add_f32_e32 v2, v2, v3
	v_mul_f32_e32 v3, v173, v202
	v_add_f32_e32 v22, v22, v23
	s_waitcnt vmcnt(26)
	v_mul_f32_e32 v23, v174, v204
	v_fma_f32 v3, v172, v201, -v3
	v_fmac_f32_e32 v23, v175, v203
	v_add_f32_e32 v2, v2, v3
	v_mul_f32_e32 v3, v175, v204
	v_add_f32_e32 v22, v22, v23
	s_waitcnt vmcnt(24) lgkmcnt(1)
	v_mul_f32_e32 v23, v176, v206
	v_fma_f32 v3, v174, v203, -v3
	v_fmac_f32_e32 v23, v177, v205
	v_add_f32_e32 v2, v2, v3
	v_mul_f32_e32 v3, v177, v206
	v_add_f32_e32 v22, v22, v23
	s_waitcnt vmcnt(23)
	v_mul_f32_e32 v23, v178, v207
	v_fma_f32 v3, v176, v205, -v3
	s_waitcnt vmcnt(20)
	v_fmac_f32_e32 v23, v179, v210
	ds_read_b128 v[184:187], v1 offset:912
	ds_read_b128 v[188:191], v1 offset:928
	v_add_f32_e32 v2, v2, v3
	v_mul_f32_e32 v3, v179, v207
	v_add_f32_e32 v22, v22, v23
	s_waitcnt lgkmcnt(2)
	v_mul_f32_e32 v23, v180, v209
	v_fma_f32 v3, v178, v210, -v3
	v_fmac_f32_e32 v23, v181, v208
	v_add_f32_e32 v2, v2, v3
	v_mul_f32_e32 v3, v181, v209
	v_add_f32_e32 v22, v22, v23
	s_waitcnt vmcnt(18)
	v_mul_f32_e32 v23, v182, v212
	v_fma_f32 v3, v180, v208, -v3
	v_fmac_f32_e32 v23, v183, v211
	v_add_f32_e32 v2, v2, v3
	v_mul_f32_e32 v3, v183, v212
	v_add_f32_e32 v22, v22, v23
	s_waitcnt vmcnt(16) lgkmcnt(1)
	v_mul_f32_e32 v23, v184, v214
	v_fma_f32 v3, v182, v211, -v3
	v_fmac_f32_e32 v23, v185, v213
	v_add_f32_e32 v2, v2, v3
	v_mul_f32_e32 v3, v185, v214
	v_add_f32_e32 v22, v22, v23
	s_waitcnt vmcnt(15)
	v_mul_f32_e32 v23, v186, v215
	v_fma_f32 v3, v184, v213, -v3
	s_waitcnt vmcnt(12)
	v_fmac_f32_e32 v23, v187, v218
	ds_read_b128 v[192:195], v1 offset:944
	ds_read_b128 v[196:199], v1 offset:960
	v_add_f32_e32 v2, v2, v3
	v_mul_f32_e32 v3, v187, v215
	v_add_f32_e32 v22, v22, v23
	s_waitcnt lgkmcnt(2)
	v_mul_f32_e32 v23, v188, v217
	v_fma_f32 v3, v186, v218, -v3
	v_fmac_f32_e32 v23, v189, v216
	v_add_f32_e32 v2, v2, v3
	v_mul_f32_e32 v3, v189, v217
	v_add_f32_e32 v22, v22, v23
	s_waitcnt vmcnt(10)
	v_mul_f32_e32 v23, v190, v220
	v_fma_f32 v3, v188, v216, -v3
	v_fmac_f32_e32 v23, v191, v219
	v_add_f32_e32 v2, v2, v3
	v_mul_f32_e32 v3, v191, v220
	v_add_f32_e32 v22, v22, v23
	s_waitcnt vmcnt(8) lgkmcnt(1)
	v_mul_f32_e32 v23, v192, v222
	v_fma_f32 v3, v190, v219, -v3
	v_fmac_f32_e32 v23, v193, v221
	v_add_f32_e32 v2, v2, v3
	v_mul_f32_e32 v3, v193, v222
	v_add_f32_e32 v22, v22, v23
	s_waitcnt vmcnt(7)
	v_mul_f32_e32 v23, v194, v223
	v_fma_f32 v3, v192, v221, -v3
	s_waitcnt vmcnt(4)
	v_fmac_f32_e32 v23, v195, v226
	v_add_f32_e32 v2, v2, v3
	v_mul_f32_e32 v3, v195, v223
	v_add_f32_e32 v231, v22, v23
	ds_read_b64 v[22:23], v1 offset:976
	v_fma_f32 v3, v194, v226, -v3
	v_add_f32_e32 v2, v2, v3
	s_waitcnt lgkmcnt(1)
	v_mul_f32_e32 v3, v197, v225
	v_mul_f32_e32 v232, v196, v225
	v_fma_f32 v3, v196, v224, -v3
	v_fmac_f32_e32 v232, v197, v224
	v_add_f32_e32 v2, v2, v3
	s_waitcnt vmcnt(3)
	v_mul_f32_e32 v3, v199, v227
	v_add_f32_e32 v231, v231, v232
	v_mul_f32_e32 v232, v198, v227
	s_waitcnt vmcnt(0)
	v_fma_f32 v3, v198, v230, -v3
	v_fmac_f32_e32 v232, v199, v230
	v_add_f32_e32 v2, v2, v3
	s_waitcnt lgkmcnt(0)
	v_mul_f32_e32 v3, v23, v229
	v_add_f32_e32 v231, v231, v232
	v_mul_f32_e32 v232, v22, v229
	v_fma_f32 v3, v22, v228, -v3
	v_fmac_f32_e32 v232, v23, v228
	v_add_f32_e32 v2, v2, v3
	v_add_f32_e32 v231, v231, v232
	v_sub_f32_e32 v2, v56, v2
	v_sub_f32_e32 v3, v57, v231
	buffer_store_dword v2, off, s[0:3], 0 offset:184
	buffer_store_dword v3, off, s[0:3], 0 offset:188
	s_and_saveexec_b64 s[4:5], vcc
	s_cbranch_execz .LBB124_335
; %bb.334:
	buffer_load_dword v2, off, s[0:3], 0 offset:176
	buffer_load_dword v3, off, s[0:3], 0 offset:180
	s_waitcnt vmcnt(0)
	ds_write_b64 v147, v[2:3]
	buffer_store_dword v1, off, s[0:3], 0 offset:176
	buffer_store_dword v1, off, s[0:3], 0 offset:180
.LBB124_335:
	s_or_b64 exec, exec, s[4:5]
	s_waitcnt lgkmcnt(0)
	; wave barrier
	buffer_load_dword v22, off, s[0:3], 0 offset:188
	buffer_load_dword v23, off, s[0:3], 0 offset:196
	;; [unrolled: 1-line block ×32, first 2 shown]
	ds_read2_b64 v[2:5], v1 offset0:85 offset1:86
	ds_read2_b64 v[6:9], v1 offset0:87 offset1:88
	;; [unrolled: 1-line block ×6, first 2 shown]
	buffer_load_dword v56, off, s[0:3], 0 offset:304
	buffer_load_dword v57, off, s[0:3], 0 offset:308
	;; [unrolled: 1-line block ×32, first 2 shown]
	v_cmp_lt_u32_e32 vcc, 21, v0
	s_waitcnt vmcnt(62) lgkmcnt(5)
	v_mul_f32_e32 v152, v2, v22
	v_mul_f32_e32 v153, v4, v23
	s_waitcnt vmcnt(61) lgkmcnt(4)
	v_mul_f32_e32 v154, v6, v24
	s_waitcnt vmcnt(60)
	v_mul_f32_e32 v155, v8, v27
	s_waitcnt vmcnt(59) lgkmcnt(3)
	v_mul_f32_e32 v156, v10, v28
	s_waitcnt vmcnt(58)
	;; [unrolled: 4-line block ×4, first 2 shown]
	v_mul_f32_e32 v161, v20, v33
	s_waitcnt vmcnt(53)
	v_fmac_f32_e32 v154, v7, v34
	s_waitcnt vmcnt(52)
	v_fmac_f32_e32 v153, v5, v35
	;; [unrolled: 2-line block ×3, first 2 shown]
	v_add_f32_e32 v152, 0, v152
	v_add_f32_e32 v152, v152, v153
	;; [unrolled: 1-line block ×3, first 2 shown]
	s_waitcnt vmcnt(47)
	v_fmac_f32_e32 v155, v9, v40
	v_fmac_f32_e32 v156, v11, v39
	v_add_f32_e32 v152, v152, v155
	v_fmac_f32_e32 v157, v13, v38
	v_add_f32_e32 v152, v152, v156
	;; [unrolled: 2-line block ×3, first 2 shown]
	s_waitcnt vmcnt(43)
	v_fmac_f32_e32 v159, v17, v44
	v_add_f32_e32 v152, v152, v158
	v_fmac_f32_e32 v160, v19, v43
	v_add_f32_e32 v152, v152, v159
	;; [unrolled: 2-line block ×3, first 2 shown]
	s_waitcnt vmcnt(42) lgkmcnt(0)
	v_mul_f32_e32 v153, v148, v45
	v_add_f32_e32 v152, v152, v161
	v_fmac_f32_e32 v153, v149, v41
	v_add_f32_e32 v156, v152, v153
	ds_read2_b64 v[152:155], v1 offset0:97 offset1:98
	buffer_load_dword v221, off, s[0:3], 0 offset:432
	buffer_load_dword v222, off, s[0:3], 0 offset:436
	s_waitcnt vmcnt(43)
	v_mul_f32_e32 v157, v150, v46
	s_waitcnt vmcnt(37)
	v_fmac_f32_e32 v157, v151, v52
	v_add_f32_e32 v160, v156, v157
	ds_read2_b64 v[156:159], v1 offset0:99 offset1:100
	buffer_load_dword v223, off, s[0:3], 0 offset:440
	buffer_load_dword v224, off, s[0:3], 0 offset:444
	;; [unrolled: 1-line block ×12, first 2 shown]
	v_mul_f32_e32 v3, v3, v22
	v_fma_f32 v2, v2, v36, -v3
	v_mul_f32_e32 v3, v5, v23
	v_add_f32_e32 v2, 0, v2
	v_fma_f32 v3, v4, v35, -v3
	v_add_f32_e32 v2, v2, v3
	v_mul_f32_e32 v3, v7, v24
	v_fma_f32 v3, v6, v34, -v3
	v_add_f32_e32 v2, v2, v3
	v_mul_f32_e32 v3, v9, v27
	v_fma_f32 v3, v8, v40, -v3
	s_waitcnt vmcnt(48) lgkmcnt(1)
	v_mul_f32_e32 v161, v152, v53
	v_add_f32_e32 v2, v2, v3
	v_mul_f32_e32 v3, v11, v28
	v_fmac_f32_e32 v161, v153, v51
	v_fma_f32 v3, v10, v39, -v3
	v_add_f32_e32 v160, v160, v161
	v_mul_f32_e32 v161, v154, v48
	v_add_f32_e32 v2, v2, v3
	v_mul_f32_e32 v3, v13, v29
	v_fmac_f32_e32 v161, v155, v47
	v_fma_f32 v3, v12, v38, -v3
	v_add_f32_e32 v160, v160, v161
	s_waitcnt lgkmcnt(0)
	v_mul_f32_e32 v161, v156, v50
	v_add_f32_e32 v2, v2, v3
	v_mul_f32_e32 v3, v15, v30
	v_fmac_f32_e32 v161, v157, v49
	v_fma_f32 v3, v14, v37, -v3
	v_add_f32_e32 v164, v160, v161
	ds_read2_b64 v[160:163], v1 offset0:101 offset1:102
	v_add_f32_e32 v2, v2, v3
	v_mul_f32_e32 v3, v17, v31
	v_fma_f32 v3, v16, v44, -v3
	s_waitcnt vmcnt(44)
	v_mul_f32_e32 v165, v158, v57
	v_add_f32_e32 v2, v2, v3
	v_mul_f32_e32 v3, v19, v32
	v_fmac_f32_e32 v165, v159, v56
	v_fma_f32 v3, v18, v43, -v3
	v_add_f32_e32 v168, v164, v165
	ds_read2_b64 v[164:167], v1 offset0:103 offset1:104
	v_add_f32_e32 v2, v2, v3
	v_mul_f32_e32 v3, v21, v33
	s_waitcnt vmcnt(42) lgkmcnt(1)
	v_mul_f32_e32 v169, v160, v59
	v_fma_f32 v3, v20, v42, -v3
	v_fmac_f32_e32 v169, v161, v58
	v_add_f32_e32 v2, v2, v3
	v_mul_f32_e32 v3, v149, v45
	v_add_f32_e32 v168, v168, v169
	s_waitcnt vmcnt(40)
	v_mul_f32_e32 v169, v162, v61
	v_fma_f32 v3, v148, v41, -v3
	v_fmac_f32_e32 v169, v163, v60
	v_add_f32_e32 v2, v2, v3
	v_mul_f32_e32 v3, v151, v46
	v_add_f32_e32 v168, v168, v169
	s_waitcnt vmcnt(38) lgkmcnt(0)
	v_mul_f32_e32 v169, v164, v63
	v_fma_f32 v3, v150, v52, -v3
	v_fmac_f32_e32 v169, v165, v62
	v_add_f32_e32 v2, v2, v3
	v_mul_f32_e32 v3, v153, v53
	v_add_f32_e32 v172, v168, v169
	ds_read2_b64 v[168:171], v1 offset0:105 offset1:106
	v_fma_f32 v3, v152, v51, -v3
	v_add_f32_e32 v2, v2, v3
	v_mul_f32_e32 v3, v155, v48
	s_waitcnt vmcnt(36)
	v_mul_f32_e32 v173, v166, v65
	v_fma_f32 v3, v154, v47, -v3
	v_fmac_f32_e32 v173, v167, v64
	v_add_f32_e32 v2, v2, v3
	v_mul_f32_e32 v3, v157, v50
	v_add_f32_e32 v176, v172, v173
	ds_read2_b64 v[172:175], v1 offset0:107 offset1:108
	v_fma_f32 v3, v156, v49, -v3
	s_waitcnt vmcnt(34) lgkmcnt(1)
	v_mul_f32_e32 v177, v168, v67
	v_add_f32_e32 v2, v2, v3
	v_mul_f32_e32 v3, v159, v57
	v_fmac_f32_e32 v177, v169, v66
	v_fma_f32 v3, v158, v56, -v3
	v_add_f32_e32 v176, v176, v177
	s_waitcnt vmcnt(32)
	v_mul_f32_e32 v177, v170, v69
	v_add_f32_e32 v2, v2, v3
	v_mul_f32_e32 v3, v161, v59
	v_fmac_f32_e32 v177, v171, v68
	v_fma_f32 v3, v160, v58, -v3
	v_add_f32_e32 v176, v176, v177
	s_waitcnt vmcnt(30) lgkmcnt(0)
	v_mul_f32_e32 v177, v172, v204
	v_add_f32_e32 v2, v2, v3
	v_mul_f32_e32 v3, v163, v61
	v_fmac_f32_e32 v177, v173, v70
	v_fma_f32 v3, v162, v60, -v3
	v_add_f32_e32 v180, v176, v177
	ds_read2_b64 v[176:179], v1 offset0:109 offset1:110
	v_add_f32_e32 v2, v2, v3
	v_mul_f32_e32 v3, v165, v63
	v_fma_f32 v3, v164, v62, -v3
	s_waitcnt vmcnt(28)
	v_mul_f32_e32 v181, v174, v206
	v_add_f32_e32 v2, v2, v3
	v_mul_f32_e32 v3, v167, v65
	v_fmac_f32_e32 v181, v175, v205
	v_fma_f32 v3, v166, v64, -v3
	v_add_f32_e32 v184, v180, v181
	ds_read2_b64 v[180:183], v1 offset0:111 offset1:112
	v_add_f32_e32 v2, v2, v3
	v_mul_f32_e32 v3, v169, v67
	s_waitcnt vmcnt(26) lgkmcnt(1)
	v_mul_f32_e32 v185, v176, v208
	v_fma_f32 v3, v168, v66, -v3
	v_fmac_f32_e32 v185, v177, v207
	v_add_f32_e32 v2, v2, v3
	v_mul_f32_e32 v3, v171, v69
	v_add_f32_e32 v184, v184, v185
	s_waitcnt vmcnt(25)
	v_mul_f32_e32 v185, v178, v209
	v_fma_f32 v3, v170, v68, -v3
	s_waitcnt vmcnt(22)
	v_fmac_f32_e32 v185, v179, v212
	v_add_f32_e32 v2, v2, v3
	v_mul_f32_e32 v3, v173, v204
	v_add_f32_e32 v184, v184, v185
	s_waitcnt lgkmcnt(0)
	v_mul_f32_e32 v185, v180, v211
	v_fma_f32 v3, v172, v70, -v3
	v_fmac_f32_e32 v185, v181, v210
	v_add_f32_e32 v2, v2, v3
	v_mul_f32_e32 v3, v175, v206
	v_add_f32_e32 v188, v184, v185
	ds_read2_b64 v[184:187], v1 offset0:113 offset1:114
	v_fma_f32 v3, v174, v205, -v3
	v_add_f32_e32 v2, v2, v3
	v_mul_f32_e32 v3, v177, v208
	s_waitcnt vmcnt(20)
	v_mul_f32_e32 v189, v182, v214
	v_fma_f32 v3, v176, v207, -v3
	v_fmac_f32_e32 v189, v183, v213
	v_add_f32_e32 v2, v2, v3
	v_mul_f32_e32 v3, v179, v209
	v_add_f32_e32 v192, v188, v189
	ds_read2_b64 v[188:191], v1 offset0:115 offset1:116
	v_fma_f32 v3, v178, v212, -v3
	s_waitcnt vmcnt(18) lgkmcnt(1)
	v_mul_f32_e32 v193, v184, v216
	v_add_f32_e32 v2, v2, v3
	v_mul_f32_e32 v3, v181, v211
	v_fmac_f32_e32 v193, v185, v215
	v_fma_f32 v3, v180, v210, -v3
	v_add_f32_e32 v192, v192, v193
	s_waitcnt vmcnt(17)
	v_mul_f32_e32 v193, v186, v217
	v_add_f32_e32 v2, v2, v3
	v_mul_f32_e32 v3, v183, v214
	s_waitcnt vmcnt(14)
	v_fmac_f32_e32 v193, v187, v220
	v_fma_f32 v3, v182, v213, -v3
	v_add_f32_e32 v192, v192, v193
	s_waitcnt lgkmcnt(0)
	v_mul_f32_e32 v193, v188, v219
	v_add_f32_e32 v2, v2, v3
	v_mul_f32_e32 v3, v185, v216
	v_fmac_f32_e32 v193, v189, v218
	v_fma_f32 v3, v184, v215, -v3
	v_add_f32_e32 v196, v192, v193
	ds_read2_b64 v[192:195], v1 offset0:117 offset1:118
	v_add_f32_e32 v2, v2, v3
	v_mul_f32_e32 v3, v187, v217
	v_fma_f32 v3, v186, v220, -v3
	v_add_f32_e32 v2, v2, v3
	v_mul_f32_e32 v3, v189, v219
	s_waitcnt vmcnt(12)
	v_mul_f32_e32 v197, v190, v222
	v_fma_f32 v3, v188, v218, -v3
	v_fmac_f32_e32 v197, v191, v221
	v_add_f32_e32 v2, v2, v3
	v_mul_f32_e32 v3, v191, v222
	v_add_f32_e32 v200, v196, v197
	ds_read2_b64 v[196:199], v1 offset0:119 offset1:120
	s_waitcnt vmcnt(10) lgkmcnt(1)
	v_mul_f32_e32 v201, v192, v224
	v_fma_f32 v3, v190, v221, -v3
	v_fmac_f32_e32 v201, v193, v223
	v_add_f32_e32 v2, v2, v3
	v_mul_f32_e32 v3, v193, v224
	v_add_f32_e32 v200, v200, v201
	s_waitcnt vmcnt(9)
	v_mul_f32_e32 v201, v194, v225
	v_fma_f32 v3, v192, v223, -v3
	s_waitcnt vmcnt(6)
	v_fmac_f32_e32 v201, v195, v228
	v_add_f32_e32 v2, v2, v3
	v_mul_f32_e32 v3, v195, v225
	v_add_f32_e32 v235, v200, v201
	ds_read2_b64 v[200:203], v1 offset0:121 offset1:122
	v_fma_f32 v3, v194, v228, -v3
	v_add_f32_e32 v2, v2, v3
	s_waitcnt lgkmcnt(1)
	v_mul_f32_e32 v3, v197, v227
	v_mul_f32_e32 v236, v196, v227
	v_fma_f32 v3, v196, v226, -v3
	v_fmac_f32_e32 v236, v197, v226
	v_add_f32_e32 v2, v2, v3
	s_waitcnt vmcnt(4)
	v_mul_f32_e32 v3, v199, v230
	v_add_f32_e32 v1, v235, v236
	v_mul_f32_e32 v235, v198, v230
	v_fma_f32 v3, v198, v229, -v3
	v_fmac_f32_e32 v235, v199, v229
	v_add_f32_e32 v2, v2, v3
	s_waitcnt vmcnt(3) lgkmcnt(0)
	v_mul_f32_e32 v3, v201, v231
	v_add_f32_e32 v1, v1, v235
	v_mul_f32_e32 v235, v200, v231
	s_waitcnt vmcnt(0)
	v_fma_f32 v3, v200, v234, -v3
	v_fmac_f32_e32 v235, v201, v234
	v_add_f32_e32 v2, v2, v3
	v_mul_f32_e32 v3, v203, v233
	v_add_f32_e32 v1, v1, v235
	v_mul_f32_e32 v235, v202, v233
	v_fma_f32 v3, v202, v232, -v3
	v_fmac_f32_e32 v235, v203, v232
	v_add_f32_e32 v2, v2, v3
	v_add_f32_e32 v1, v1, v235
	v_sub_f32_e32 v2, v54, v2
	v_sub_f32_e32 v1, v55, v1
	buffer_store_dword v2, off, s[0:3], 0 offset:176
	buffer_store_dword v1, off, s[0:3], 0 offset:180
	s_and_saveexec_b64 s[4:5], vcc
	s_cbranch_execz .LBB124_337
; %bb.336:
	buffer_load_dword v1, off, s[0:3], 0 offset:168
	buffer_load_dword v2, off, s[0:3], 0 offset:172
	v_mov_b32_e32 v3, 0
	buffer_store_dword v3, off, s[0:3], 0 offset:168
	buffer_store_dword v3, off, s[0:3], 0 offset:172
	s_waitcnt vmcnt(2)
	ds_write_b64 v147, v[1:2]
.LBB124_337:
	s_or_b64 exec, exec, s[4:5]
	s_waitcnt lgkmcnt(0)
	; wave barrier
	buffer_load_dword v24, off, s[0:3], 0 offset:180
	buffer_load_dword v27, off, s[0:3], 0 offset:188
	;; [unrolled: 1-line block ×50, first 2 shown]
	v_mov_b32_e32 v1, 0
	ds_read_b128 v[2:5], v1 offset:672
	ds_read_b128 v[6:9], v1 offset:688
	ds_read_b128 v[10:13], v1 offset:704
	ds_read_b128 v[14:17], v1 offset:720
	ds_read_b128 v[18:21], v1 offset:736
	ds_read_b128 v[148:151], v1 offset:752
	buffer_load_dword v209, off, s[0:3], 0 offset:368
	buffer_load_dword v210, off, s[0:3], 0 offset:372
	;; [unrolled: 1-line block ×8, first 2 shown]
	v_cmp_lt_u32_e32 vcc, 20, v0
	s_waitcnt vmcnt(57) lgkmcnt(5)
	v_mul_f32_e32 v22, v2, v24
	s_waitcnt vmcnt(56)
	v_mul_f32_e32 v23, v4, v27
	s_waitcnt vmcnt(55) lgkmcnt(4)
	v_mul_f32_e32 v152, v6, v28
	s_waitcnt vmcnt(54)
	v_mul_f32_e32 v153, v8, v29
	;; [unrolled: 4-line block ×5, first 2 shown]
	s_waitcnt vmcnt(47) lgkmcnt(0)
	v_mul_f32_e32 v160, v148, v36
	s_waitcnt vmcnt(46)
	v_fmac_f32_e32 v152, v7, v37
	s_waitcnt vmcnt(45)
	v_fmac_f32_e32 v23, v5, v38
	s_waitcnt vmcnt(44)
	v_fmac_f32_e32 v22, v3, v39
	v_add_f32_e32 v22, 0, v22
	v_add_f32_e32 v22, v22, v23
	;; [unrolled: 1-line block ×3, first 2 shown]
	s_waitcnt vmcnt(40)
	v_fmac_f32_e32 v153, v9, v43
	v_fmac_f32_e32 v154, v11, v42
	v_add_f32_e32 v22, v22, v153
	v_fmac_f32_e32 v155, v13, v41
	v_add_f32_e32 v22, v22, v154
	;; [unrolled: 2-line block ×3, first 2 shown]
	s_waitcnt vmcnt(36)
	v_fmac_f32_e32 v157, v17, v47
	v_add_f32_e32 v22, v22, v156
	ds_read_b128 v[152:155], v1 offset:768
	buffer_load_dword v217, off, s[0:3], 0 offset:400
	buffer_load_dword v218, off, s[0:3], 0 offset:404
	;; [unrolled: 1-line block ×6, first 2 shown]
	v_fmac_f32_e32 v158, v19, v46
	v_add_f32_e32 v22, v22, v157
	v_fmac_f32_e32 v159, v21, v45
	v_add_f32_e32 v22, v22, v158
	v_add_f32_e32 v22, v22, v159
	ds_read_b128 v[156:159], v1 offset:784
	buffer_load_dword v223, off, s[0:3], 0 offset:424
	buffer_load_dword v224, off, s[0:3], 0 offset:428
	;; [unrolled: 1-line block ×16, first 2 shown]
	v_mul_f32_e32 v3, v3, v24
	v_fma_f32 v2, v2, v39, -v3
	v_mul_f32_e32 v3, v5, v27
	v_add_f32_e32 v2, 0, v2
	v_fma_f32 v3, v4, v38, -v3
	v_add_f32_e32 v2, v2, v3
	v_mul_f32_e32 v3, v7, v28
	v_fma_f32 v3, v6, v37, -v3
	v_add_f32_e32 v2, v2, v3
	v_mul_f32_e32 v3, v9, v29
	;; [unrolled: 3-line block ×9, first 2 shown]
	v_fmac_f32_e32 v160, v149, v44
	s_waitcnt vmcnt(57)
	v_mul_f32_e32 v23, v150, v48
	v_fma_f32 v3, v148, v44, -v3
	v_add_f32_e32 v22, v22, v160
	s_waitcnt vmcnt(50)
	v_fmac_f32_e32 v23, v151, v55
	v_add_f32_e32 v2, v2, v3
	v_mul_f32_e32 v3, v151, v48
	v_add_f32_e32 v22, v22, v23
	s_waitcnt lgkmcnt(1)
	v_mul_f32_e32 v23, v152, v50
	v_fma_f32 v3, v150, v55, -v3
	v_fmac_f32_e32 v23, v153, v49
	v_add_f32_e32 v2, v2, v3
	v_mul_f32_e32 v3, v153, v50
	v_add_f32_e32 v22, v22, v23
	v_mul_f32_e32 v23, v154, v52
	v_fma_f32 v3, v152, v49, -v3
	v_fmac_f32_e32 v23, v155, v51
	ds_read_b128 v[160:163], v1 offset:800
	ds_read_b128 v[164:167], v1 offset:816
	v_add_f32_e32 v2, v2, v3
	v_mul_f32_e32 v3, v155, v52
	v_add_f32_e32 v22, v22, v23
	s_waitcnt lgkmcnt(2)
	v_mul_f32_e32 v23, v156, v54
	v_fma_f32 v3, v154, v51, -v3
	v_fmac_f32_e32 v23, v157, v53
	v_add_f32_e32 v2, v2, v3
	v_mul_f32_e32 v3, v157, v54
	v_add_f32_e32 v22, v22, v23
	s_waitcnt vmcnt(46)
	v_mul_f32_e32 v23, v158, v59
	v_fma_f32 v3, v156, v53, -v3
	v_fmac_f32_e32 v23, v159, v58
	v_add_f32_e32 v2, v2, v3
	v_mul_f32_e32 v3, v159, v59
	v_add_f32_e32 v22, v22, v23
	s_waitcnt vmcnt(44) lgkmcnt(1)
	v_mul_f32_e32 v23, v160, v61
	v_fma_f32 v3, v158, v58, -v3
	v_fmac_f32_e32 v23, v161, v60
	v_add_f32_e32 v2, v2, v3
	v_mul_f32_e32 v3, v161, v61
	v_add_f32_e32 v22, v22, v23
	s_waitcnt vmcnt(42)
	v_mul_f32_e32 v23, v162, v63
	v_fma_f32 v3, v160, v60, -v3
	v_fmac_f32_e32 v23, v163, v62
	ds_read_b128 v[168:171], v1 offset:832
	ds_read_b128 v[172:175], v1 offset:848
	v_add_f32_e32 v2, v2, v3
	v_mul_f32_e32 v3, v163, v63
	v_add_f32_e32 v22, v22, v23
	s_waitcnt vmcnt(40) lgkmcnt(2)
	v_mul_f32_e32 v23, v164, v65
	v_fma_f32 v3, v162, v62, -v3
	v_fmac_f32_e32 v23, v165, v64
	v_add_f32_e32 v2, v2, v3
	v_mul_f32_e32 v3, v165, v65
	v_add_f32_e32 v22, v22, v23
	s_waitcnt vmcnt(38)
	v_mul_f32_e32 v23, v166, v67
	v_fma_f32 v3, v164, v64, -v3
	v_fmac_f32_e32 v23, v167, v66
	v_add_f32_e32 v2, v2, v3
	v_mul_f32_e32 v3, v167, v67
	v_add_f32_e32 v22, v22, v23
	s_waitcnt vmcnt(36) lgkmcnt(1)
	v_mul_f32_e32 v23, v168, v69
	v_fma_f32 v3, v166, v66, -v3
	v_fmac_f32_e32 v23, v169, v68
	v_add_f32_e32 v2, v2, v3
	v_mul_f32_e32 v3, v169, v69
	v_add_f32_e32 v22, v22, v23
	s_waitcnt vmcnt(34)
	v_mul_f32_e32 v23, v170, v204
	v_fma_f32 v3, v168, v68, -v3
	v_fmac_f32_e32 v23, v171, v70
	ds_read_b128 v[176:179], v1 offset:864
	ds_read_b128 v[180:183], v1 offset:880
	v_add_f32_e32 v2, v2, v3
	v_mul_f32_e32 v3, v171, v204
	v_add_f32_e32 v22, v22, v23
	s_waitcnt vmcnt(32) lgkmcnt(2)
	v_mul_f32_e32 v23, v172, v206
	v_fma_f32 v3, v170, v70, -v3
	v_fmac_f32_e32 v23, v173, v205
	v_add_f32_e32 v2, v2, v3
	v_mul_f32_e32 v3, v173, v206
	v_add_f32_e32 v22, v22, v23
	s_waitcnt vmcnt(30)
	v_mul_f32_e32 v23, v174, v208
	v_fma_f32 v3, v172, v205, -v3
	v_fmac_f32_e32 v23, v175, v207
	v_add_f32_e32 v2, v2, v3
	v_mul_f32_e32 v3, v175, v208
	v_add_f32_e32 v22, v22, v23
	s_waitcnt vmcnt(28) lgkmcnt(1)
	v_mul_f32_e32 v23, v176, v210
	v_fma_f32 v3, v174, v207, -v3
	v_fmac_f32_e32 v23, v177, v209
	v_add_f32_e32 v2, v2, v3
	v_mul_f32_e32 v3, v177, v210
	v_add_f32_e32 v22, v22, v23
	s_waitcnt vmcnt(27)
	v_mul_f32_e32 v23, v178, v211
	v_fma_f32 v3, v176, v209, -v3
	s_waitcnt vmcnt(24)
	v_fmac_f32_e32 v23, v179, v214
	ds_read_b128 v[184:187], v1 offset:896
	ds_read_b128 v[188:191], v1 offset:912
	v_add_f32_e32 v2, v2, v3
	v_mul_f32_e32 v3, v179, v211
	v_add_f32_e32 v22, v22, v23
	s_waitcnt lgkmcnt(2)
	v_mul_f32_e32 v23, v180, v213
	v_fma_f32 v3, v178, v214, -v3
	v_fmac_f32_e32 v23, v181, v212
	v_add_f32_e32 v2, v2, v3
	v_mul_f32_e32 v3, v181, v213
	v_add_f32_e32 v22, v22, v23
	s_waitcnt vmcnt(22)
	v_mul_f32_e32 v23, v182, v216
	v_fma_f32 v3, v180, v212, -v3
	v_fmac_f32_e32 v23, v183, v215
	v_add_f32_e32 v2, v2, v3
	v_mul_f32_e32 v3, v183, v216
	v_add_f32_e32 v22, v22, v23
	s_waitcnt vmcnt(20) lgkmcnt(1)
	v_mul_f32_e32 v23, v184, v218
	v_fma_f32 v3, v182, v215, -v3
	v_fmac_f32_e32 v23, v185, v217
	v_add_f32_e32 v2, v2, v3
	v_mul_f32_e32 v3, v185, v218
	v_add_f32_e32 v22, v22, v23
	s_waitcnt vmcnt(19)
	v_mul_f32_e32 v23, v186, v219
	v_fma_f32 v3, v184, v217, -v3
	s_waitcnt vmcnt(16)
	v_fmac_f32_e32 v23, v187, v222
	ds_read_b128 v[192:195], v1 offset:928
	ds_read_b128 v[196:199], v1 offset:944
	v_add_f32_e32 v2, v2, v3
	v_mul_f32_e32 v3, v187, v219
	v_add_f32_e32 v22, v22, v23
	s_waitcnt lgkmcnt(2)
	v_mul_f32_e32 v23, v188, v221
	v_fma_f32 v3, v186, v222, -v3
	v_fmac_f32_e32 v23, v189, v220
	v_add_f32_e32 v2, v2, v3
	v_mul_f32_e32 v3, v189, v221
	v_add_f32_e32 v22, v22, v23
	s_waitcnt vmcnt(14)
	v_mul_f32_e32 v23, v190, v224
	v_fma_f32 v3, v188, v220, -v3
	v_fmac_f32_e32 v23, v191, v223
	v_add_f32_e32 v2, v2, v3
	v_mul_f32_e32 v3, v191, v224
	v_add_f32_e32 v22, v22, v23
	s_waitcnt vmcnt(12) lgkmcnt(1)
	v_mul_f32_e32 v23, v192, v226
	v_fma_f32 v3, v190, v223, -v3
	v_fmac_f32_e32 v23, v193, v225
	v_add_f32_e32 v2, v2, v3
	v_mul_f32_e32 v3, v193, v226
	v_add_f32_e32 v22, v22, v23
	s_waitcnt vmcnt(11)
	v_mul_f32_e32 v23, v194, v227
	v_fma_f32 v3, v192, v225, -v3
	s_waitcnt vmcnt(8)
	v_fmac_f32_e32 v23, v195, v230
	v_add_f32_e32 v2, v2, v3
	v_mul_f32_e32 v3, v195, v227
	v_add_f32_e32 v22, v22, v23
	s_waitcnt lgkmcnt(0)
	v_mul_f32_e32 v23, v196, v229
	ds_read_b128 v[200:203], v1 offset:960
	v_fma_f32 v3, v194, v230, -v3
	v_fmac_f32_e32 v23, v197, v228
	v_add_f32_e32 v2, v2, v3
	v_mul_f32_e32 v3, v197, v229
	v_add_f32_e32 v22, v22, v23
	s_waitcnt vmcnt(6)
	v_mul_f32_e32 v23, v198, v232
	v_fma_f32 v3, v196, v228, -v3
	v_fmac_f32_e32 v23, v199, v231
	v_add_f32_e32 v2, v2, v3
	v_mul_f32_e32 v3, v199, v232
	v_add_f32_e32 v239, v22, v23
	ds_read_b64 v[22:23], v1 offset:976
	v_fma_f32 v3, v198, v231, -v3
	v_add_f32_e32 v2, v2, v3
	s_waitcnt vmcnt(4) lgkmcnt(1)
	v_mul_f32_e32 v3, v201, v234
	v_mul_f32_e32 v240, v200, v234
	v_fma_f32 v3, v200, v233, -v3
	v_fmac_f32_e32 v240, v201, v233
	v_add_f32_e32 v2, v2, v3
	s_waitcnt vmcnt(3)
	v_mul_f32_e32 v3, v203, v235
	v_add_f32_e32 v239, v239, v240
	v_mul_f32_e32 v240, v202, v235
	s_waitcnt vmcnt(0)
	v_fma_f32 v3, v202, v238, -v3
	v_fmac_f32_e32 v240, v203, v238
	v_add_f32_e32 v2, v2, v3
	s_waitcnt lgkmcnt(0)
	v_mul_f32_e32 v3, v23, v237
	v_add_f32_e32 v239, v239, v240
	v_mul_f32_e32 v240, v22, v237
	v_fma_f32 v3, v22, v236, -v3
	v_fmac_f32_e32 v240, v23, v236
	v_add_f32_e32 v2, v2, v3
	v_add_f32_e32 v239, v239, v240
	v_sub_f32_e32 v2, v56, v2
	v_sub_f32_e32 v3, v57, v239
	buffer_store_dword v2, off, s[0:3], 0 offset:168
	buffer_store_dword v3, off, s[0:3], 0 offset:172
	s_and_saveexec_b64 s[4:5], vcc
	s_cbranch_execz .LBB124_339
; %bb.338:
	buffer_load_dword v2, off, s[0:3], 0 offset:160
	buffer_load_dword v3, off, s[0:3], 0 offset:164
	s_waitcnt vmcnt(0)
	ds_write_b64 v147, v[2:3]
	buffer_store_dword v1, off, s[0:3], 0 offset:160
	buffer_store_dword v1, off, s[0:3], 0 offset:164
.LBB124_339:
	s_or_b64 exec, exec, s[4:5]
	s_waitcnt lgkmcnt(0)
	; wave barrier
	buffer_load_dword v22, off, s[0:3], 0 offset:172
	buffer_load_dword v23, off, s[0:3], 0 offset:180
	;; [unrolled: 1-line block ×32, first 2 shown]
	ds_read2_b64 v[2:5], v1 offset0:83 offset1:84
	ds_read2_b64 v[6:9], v1 offset0:85 offset1:86
	;; [unrolled: 1-line block ×6, first 2 shown]
	buffer_load_dword v56, off, s[0:3], 0 offset:288
	buffer_load_dword v57, off, s[0:3], 0 offset:292
	;; [unrolled: 1-line block ×26, first 2 shown]
	v_cmp_lt_u32_e32 vcc, 19, v0
	s_waitcnt vmcnt(57) lgkmcnt(5)
	v_mul_f32_e32 v152, v2, v22
	s_waitcnt vmcnt(56)
	v_mul_f32_e32 v153, v4, v23
	s_waitcnt vmcnt(55) lgkmcnt(4)
	v_mul_f32_e32 v154, v6, v24
	s_waitcnt vmcnt(54)
	v_mul_f32_e32 v155, v8, v27
	;; [unrolled: 4-line block ×5, first 2 shown]
	s_waitcnt vmcnt(47) lgkmcnt(0)
	v_mul_f32_e32 v162, v148, v34
	s_waitcnt vmcnt(46)
	v_fmac_f32_e32 v154, v7, v35
	s_waitcnt vmcnt(45)
	v_fmac_f32_e32 v153, v5, v36
	;; [unrolled: 2-line block ×3, first 2 shown]
	v_add_f32_e32 v152, 0, v152
	v_add_f32_e32 v152, v152, v153
	;; [unrolled: 1-line block ×3, first 2 shown]
	s_waitcnt vmcnt(40)
	v_fmac_f32_e32 v155, v9, v41
	v_fmac_f32_e32 v156, v11, v40
	v_add_f32_e32 v152, v152, v155
	v_fmac_f32_e32 v157, v13, v39
	v_add_f32_e32 v152, v152, v156
	;; [unrolled: 2-line block ×3, first 2 shown]
	s_waitcnt vmcnt(36)
	v_fmac_f32_e32 v159, v17, v45
	v_add_f32_e32 v152, v152, v158
	v_fmac_f32_e32 v160, v19, v44
	v_add_f32_e32 v152, v152, v159
	;; [unrolled: 2-line block ×4, first 2 shown]
	v_add_f32_e32 v156, v152, v162
	ds_read2_b64 v[152:155], v1 offset0:95 offset1:96
	buffer_load_dword v219, off, s[0:3], 0 offset:392
	buffer_load_dword v220, off, s[0:3], 0 offset:396
	;; [unrolled: 1-line block ×6, first 2 shown]
	s_waitcnt vmcnt(41)
	v_mul_f32_e32 v157, v150, v46
	s_waitcnt vmcnt(35)
	v_fmac_f32_e32 v157, v151, v52
	v_add_f32_e32 v160, v156, v157
	ds_read2_b64 v[156:159], v1 offset0:97 offset1:98
	buffer_load_dword v225, off, s[0:3], 0 offset:416
	buffer_load_dword v226, off, s[0:3], 0 offset:420
	;; [unrolled: 1-line block ×10, first 2 shown]
	s_waitcnt vmcnt(44) lgkmcnt(1)
	v_mul_f32_e32 v161, v152, v53
	v_fmac_f32_e32 v161, v153, v51
	v_add_f32_e32 v160, v160, v161
	v_mul_f32_e32 v161, v154, v48
	v_fmac_f32_e32 v161, v155, v47
	v_add_f32_e32 v160, v160, v161
	s_waitcnt lgkmcnt(0)
	v_mul_f32_e32 v161, v156, v50
	buffer_load_dword v235, off, s[0:3], 0 offset:456
	buffer_load_dword v236, off, s[0:3], 0 offset:460
	;; [unrolled: 1-line block ×6, first 2 shown]
	v_fmac_f32_e32 v161, v157, v49
	s_waitcnt vmcnt(46)
	v_mul_f32_e32 v165, v158, v57
	v_add_f32_e32 v164, v160, v161
	v_fmac_f32_e32 v165, v159, v56
	ds_read2_b64 v[160:163], v1 offset0:99 offset1:100
	v_add_f32_e32 v168, v164, v165
	ds_read2_b64 v[164:167], v1 offset0:101 offset1:102
	buffer_load_dword v241, off, s[0:3], 0 offset:480
	buffer_load_dword v242, off, s[0:3], 0 offset:484
	v_mul_f32_e32 v3, v3, v22
	v_fma_f32 v2, v2, v37, -v3
	v_mul_f32_e32 v3, v5, v23
	v_add_f32_e32 v2, 0, v2
	v_fma_f32 v3, v4, v36, -v3
	v_add_f32_e32 v2, v2, v3
	v_mul_f32_e32 v3, v7, v24
	v_fma_f32 v3, v6, v35, -v3
	v_add_f32_e32 v2, v2, v3
	v_mul_f32_e32 v3, v9, v27
	;; [unrolled: 3-line block ×7, first 2 shown]
	s_waitcnt vmcnt(46) lgkmcnt(1)
	v_mul_f32_e32 v169, v160, v59
	v_fma_f32 v3, v18, v44, -v3
	v_fmac_f32_e32 v169, v161, v58
	v_add_f32_e32 v2, v2, v3
	v_mul_f32_e32 v3, v21, v33
	v_add_f32_e32 v168, v168, v169
	s_waitcnt vmcnt(44)
	v_mul_f32_e32 v169, v162, v61
	v_fma_f32 v3, v20, v43, -v3
	v_fmac_f32_e32 v169, v163, v60
	v_add_f32_e32 v2, v2, v3
	v_mul_f32_e32 v3, v149, v34
	v_add_f32_e32 v168, v168, v169
	s_waitcnt vmcnt(42) lgkmcnt(0)
	v_mul_f32_e32 v169, v164, v63
	v_fma_f32 v3, v148, v42, -v3
	v_fmac_f32_e32 v169, v165, v62
	v_add_f32_e32 v2, v2, v3
	v_mul_f32_e32 v3, v151, v46
	v_add_f32_e32 v172, v168, v169
	ds_read2_b64 v[168:171], v1 offset0:103 offset1:104
	v_fma_f32 v3, v150, v52, -v3
	v_add_f32_e32 v2, v2, v3
	v_mul_f32_e32 v3, v153, v53
	s_waitcnt vmcnt(40)
	v_mul_f32_e32 v173, v166, v65
	v_fma_f32 v3, v152, v51, -v3
	v_fmac_f32_e32 v173, v167, v64
	v_add_f32_e32 v2, v2, v3
	v_mul_f32_e32 v3, v155, v48
	v_add_f32_e32 v176, v172, v173
	ds_read2_b64 v[172:175], v1 offset0:105 offset1:106
	v_fma_f32 v3, v154, v47, -v3
	s_waitcnt vmcnt(38) lgkmcnt(1)
	v_mul_f32_e32 v177, v168, v67
	v_add_f32_e32 v2, v2, v3
	v_mul_f32_e32 v3, v157, v50
	v_fmac_f32_e32 v177, v169, v66
	v_fma_f32 v3, v156, v49, -v3
	v_add_f32_e32 v176, v176, v177
	s_waitcnt vmcnt(36)
	v_mul_f32_e32 v177, v170, v69
	v_add_f32_e32 v2, v2, v3
	v_mul_f32_e32 v3, v159, v57
	v_fmac_f32_e32 v177, v171, v68
	v_fma_f32 v3, v158, v56, -v3
	v_add_f32_e32 v176, v176, v177
	s_waitcnt vmcnt(34) lgkmcnt(0)
	v_mul_f32_e32 v177, v172, v208
	v_add_f32_e32 v2, v2, v3
	v_mul_f32_e32 v3, v161, v59
	v_fmac_f32_e32 v177, v173, v70
	v_fma_f32 v3, v160, v58, -v3
	v_add_f32_e32 v180, v176, v177
	ds_read2_b64 v[176:179], v1 offset0:107 offset1:108
	v_add_f32_e32 v2, v2, v3
	v_mul_f32_e32 v3, v163, v61
	v_fma_f32 v3, v162, v60, -v3
	s_waitcnt vmcnt(32)
	v_mul_f32_e32 v181, v174, v210
	v_add_f32_e32 v2, v2, v3
	v_mul_f32_e32 v3, v165, v63
	v_fmac_f32_e32 v181, v175, v209
	v_fma_f32 v3, v164, v62, -v3
	v_add_f32_e32 v184, v180, v181
	ds_read2_b64 v[180:183], v1 offset0:109 offset1:110
	v_add_f32_e32 v2, v2, v3
	v_mul_f32_e32 v3, v167, v65
	s_waitcnt vmcnt(30) lgkmcnt(1)
	v_mul_f32_e32 v185, v176, v212
	v_fma_f32 v3, v166, v64, -v3
	v_fmac_f32_e32 v185, v177, v211
	v_add_f32_e32 v2, v2, v3
	v_mul_f32_e32 v3, v169, v67
	v_add_f32_e32 v184, v184, v185
	s_waitcnt vmcnt(29)
	v_mul_f32_e32 v185, v178, v213
	v_fma_f32 v3, v168, v66, -v3
	s_waitcnt vmcnt(26)
	v_fmac_f32_e32 v185, v179, v216
	v_add_f32_e32 v2, v2, v3
	v_mul_f32_e32 v3, v171, v69
	v_add_f32_e32 v184, v184, v185
	s_waitcnt lgkmcnt(0)
	v_mul_f32_e32 v185, v180, v215
	v_fma_f32 v3, v170, v68, -v3
	v_fmac_f32_e32 v185, v181, v214
	v_add_f32_e32 v2, v2, v3
	v_mul_f32_e32 v3, v173, v208
	v_add_f32_e32 v188, v184, v185
	ds_read2_b64 v[184:187], v1 offset0:111 offset1:112
	v_fma_f32 v3, v172, v70, -v3
	v_add_f32_e32 v2, v2, v3
	v_mul_f32_e32 v3, v175, v210
	s_waitcnt vmcnt(24)
	v_mul_f32_e32 v189, v182, v218
	v_fma_f32 v3, v174, v209, -v3
	v_fmac_f32_e32 v189, v183, v217
	v_add_f32_e32 v2, v2, v3
	v_mul_f32_e32 v3, v177, v212
	v_add_f32_e32 v192, v188, v189
	ds_read2_b64 v[188:191], v1 offset0:113 offset1:114
	v_fma_f32 v3, v176, v211, -v3
	s_waitcnt vmcnt(22) lgkmcnt(1)
	v_mul_f32_e32 v193, v184, v220
	v_add_f32_e32 v2, v2, v3
	v_mul_f32_e32 v3, v179, v213
	v_fmac_f32_e32 v193, v185, v219
	v_fma_f32 v3, v178, v216, -v3
	v_add_f32_e32 v192, v192, v193
	s_waitcnt vmcnt(21)
	v_mul_f32_e32 v193, v186, v221
	v_add_f32_e32 v2, v2, v3
	v_mul_f32_e32 v3, v181, v215
	s_waitcnt vmcnt(18)
	v_fmac_f32_e32 v193, v187, v224
	v_fma_f32 v3, v180, v214, -v3
	v_add_f32_e32 v192, v192, v193
	s_waitcnt lgkmcnt(0)
	v_mul_f32_e32 v193, v188, v223
	v_add_f32_e32 v2, v2, v3
	v_mul_f32_e32 v3, v183, v218
	v_fmac_f32_e32 v193, v189, v222
	v_fma_f32 v3, v182, v217, -v3
	v_add_f32_e32 v196, v192, v193
	ds_read2_b64 v[192:195], v1 offset0:115 offset1:116
	v_add_f32_e32 v2, v2, v3
	v_mul_f32_e32 v3, v185, v220
	v_fma_f32 v3, v184, v219, -v3
	s_waitcnt vmcnt(16)
	v_mul_f32_e32 v197, v190, v226
	v_add_f32_e32 v2, v2, v3
	v_mul_f32_e32 v3, v187, v221
	v_fmac_f32_e32 v197, v191, v225
	v_fma_f32 v3, v186, v224, -v3
	v_add_f32_e32 v200, v196, v197
	ds_read2_b64 v[196:199], v1 offset0:117 offset1:118
	v_add_f32_e32 v2, v2, v3
	v_mul_f32_e32 v3, v189, v223
	s_waitcnt vmcnt(14) lgkmcnt(1)
	v_mul_f32_e32 v201, v192, v228
	v_fma_f32 v3, v188, v222, -v3
	v_fmac_f32_e32 v201, v193, v227
	v_add_f32_e32 v2, v2, v3
	v_mul_f32_e32 v3, v191, v226
	v_add_f32_e32 v200, v200, v201
	s_waitcnt vmcnt(13)
	v_mul_f32_e32 v201, v194, v229
	v_fma_f32 v3, v190, v225, -v3
	s_waitcnt vmcnt(10)
	v_fmac_f32_e32 v201, v195, v232
	v_add_f32_e32 v2, v2, v3
	v_mul_f32_e32 v3, v193, v228
	v_add_f32_e32 v200, v200, v201
	s_waitcnt lgkmcnt(0)
	v_mul_f32_e32 v201, v196, v231
	v_fma_f32 v3, v192, v227, -v3
	v_fmac_f32_e32 v201, v197, v230
	v_add_f32_e32 v2, v2, v3
	v_mul_f32_e32 v3, v195, v229
	v_add_f32_e32 v204, v200, v201
	ds_read2_b64 v[200:203], v1 offset0:119 offset1:120
	v_fma_f32 v3, v194, v232, -v3
	v_add_f32_e32 v2, v2, v3
	v_mul_f32_e32 v3, v197, v231
	s_waitcnt vmcnt(8)
	v_mul_f32_e32 v205, v198, v234
	v_fma_f32 v3, v196, v230, -v3
	v_fmac_f32_e32 v205, v199, v233
	v_add_f32_e32 v2, v2, v3
	v_mul_f32_e32 v3, v199, v234
	v_add_f32_e32 v243, v204, v205
	ds_read2_b64 v[204:207], v1 offset0:121 offset1:122
	v_fma_f32 v3, v198, v233, -v3
	v_add_f32_e32 v2, v2, v3
	s_waitcnt vmcnt(6) lgkmcnt(1)
	v_mul_f32_e32 v3, v201, v236
	v_mul_f32_e32 v1, v200, v236
	v_fma_f32 v3, v200, v235, -v3
	v_fmac_f32_e32 v1, v201, v235
	v_add_f32_e32 v2, v2, v3
	s_waitcnt vmcnt(5)
	v_mul_f32_e32 v3, v203, v237
	v_add_f32_e32 v1, v243, v1
	v_mul_f32_e32 v243, v202, v237
	s_waitcnt vmcnt(2)
	v_fma_f32 v3, v202, v240, -v3
	v_fmac_f32_e32 v243, v203, v240
	v_add_f32_e32 v2, v2, v3
	s_waitcnt lgkmcnt(0)
	v_mul_f32_e32 v3, v205, v239
	v_add_f32_e32 v1, v1, v243
	v_mul_f32_e32 v243, v204, v239
	v_fma_f32 v3, v204, v238, -v3
	v_fmac_f32_e32 v243, v205, v238
	v_add_f32_e32 v2, v2, v3
	s_waitcnt vmcnt(0)
	v_mul_f32_e32 v3, v207, v242
	v_add_f32_e32 v1, v1, v243
	v_mul_f32_e32 v243, v206, v242
	v_fma_f32 v3, v206, v241, -v3
	v_fmac_f32_e32 v243, v207, v241
	v_add_f32_e32 v2, v2, v3
	v_add_f32_e32 v1, v1, v243
	v_sub_f32_e32 v2, v54, v2
	v_sub_f32_e32 v1, v55, v1
	buffer_store_dword v2, off, s[0:3], 0 offset:160
	buffer_store_dword v1, off, s[0:3], 0 offset:164
	s_and_saveexec_b64 s[4:5], vcc
	s_cbranch_execz .LBB124_341
; %bb.340:
	buffer_load_dword v1, off, s[0:3], 0 offset:152
	buffer_load_dword v2, off, s[0:3], 0 offset:156
	v_mov_b32_e32 v3, 0
	buffer_store_dword v3, off, s[0:3], 0 offset:152
	buffer_store_dword v3, off, s[0:3], 0 offset:156
	s_waitcnt vmcnt(2)
	ds_write_b64 v147, v[1:2]
.LBB124_341:
	s_or_b64 exec, exec, s[4:5]
	s_waitcnt lgkmcnt(0)
	; wave barrier
	buffer_load_dword v10, off, s[0:3], 0 offset:164
	buffer_load_dword v9, off, s[0:3], 0 offset:172
	buffer_load_dword v8, off, s[0:3], 0 offset:180
	buffer_load_dword v7, off, s[0:3], 0 offset:188
	buffer_load_dword v6, off, s[0:3], 0 offset:196
	buffer_load_dword v5, off, s[0:3], 0 offset:204
	buffer_load_dword v4, off, s[0:3], 0 offset:212
	buffer_load_dword v27, off, s[0:3], 0 offset:220
	buffer_load_dword v28, off, s[0:3], 0 offset:228
	buffer_load_dword v29, off, s[0:3], 0 offset:236
	buffer_load_dword v30, off, s[0:3], 0 offset:244
	buffer_load_dword v31, off, s[0:3], 0 offset:176
	buffer_load_dword v32, off, s[0:3], 0 offset:168
	buffer_load_dword v33, off, s[0:3], 0 offset:160
	buffer_load_dword v34, off, s[0:3], 0 offset:208
	buffer_load_dword v35, off, s[0:3], 0 offset:200
	buffer_load_dword v36, off, s[0:3], 0 offset:192
	buffer_load_dword v37, off, s[0:3], 0 offset:184
	buffer_load_dword v38, off, s[0:3], 0 offset:240
	buffer_load_dword v39, off, s[0:3], 0 offset:232
	buffer_load_dword v40, off, s[0:3], 0 offset:224
	buffer_load_dword v41, off, s[0:3], 0 offset:216
	buffer_load_dword v42, off, s[0:3], 0 offset:252
	buffer_load_dword v43, off, s[0:3], 0 offset:264
	buffer_load_dword v44, off, s[0:3], 0 offset:268
	buffer_load_dword v45, off, s[0:3], 0 offset:272
	buffer_load_dword v46, off, s[0:3], 0 offset:276
	buffer_load_dword v47, off, s[0:3], 0 offset:256
	buffer_load_dword v48, off, s[0:3], 0 offset:248
	buffer_load_dword v49, off, s[0:3], 0 offset:260
	buffer_load_dword v2, off, s[0:3], 0 offset:152
	buffer_load_dword v3, off, s[0:3], 0 offset:156
	v_mov_b32_e32 v1, 0
	buffer_load_dword v50, off, s[0:3], 0 offset:280
	buffer_load_dword v51, off, s[0:3], 0 offset:284
	;; [unrolled: 1-line block ×18, first 2 shown]
	ds_read_b128 v[11:14], v1 offset:656
	ds_read_b128 v[15:18], v1 offset:672
	;; [unrolled: 1-line block ×6, first 2 shown]
	v_cmp_lt_u32_e32 vcc, 18, v0
	s_waitcnt vmcnt(49) lgkmcnt(5)
	v_mul_f32_e32 v23, v11, v10
	s_waitcnt vmcnt(48)
	v_mul_f32_e32 v24, v13, v9
	s_waitcnt vmcnt(47) lgkmcnt(4)
	v_mul_f32_e32 v68, v15, v8
	s_waitcnt vmcnt(46)
	v_mul_f32_e32 v69, v17, v7
	;; [unrolled: 4-line block ×5, first 2 shown]
	s_waitcnt vmcnt(39) lgkmcnt(0)
	v_mul_f32_e32 v165, v156, v30
	s_waitcnt vmcnt(38)
	v_fmac_f32_e32 v68, v16, v31
	s_waitcnt vmcnt(37)
	v_fmac_f32_e32 v24, v14, v32
	s_waitcnt vmcnt(36)
	v_fmac_f32_e32 v23, v12, v33
	v_add_f32_e32 v23, 0, v23
	v_add_f32_e32 v23, v23, v24
	;; [unrolled: 1-line block ×3, first 2 shown]
	s_waitcnt vmcnt(32)
	v_fmac_f32_e32 v69, v18, v37
	v_fmac_f32_e32 v70, v20, v36
	v_add_f32_e32 v23, v23, v69
	v_fmac_f32_e32 v160, v22, v35
	v_add_f32_e32 v23, v23, v70
	;; [unrolled: 2-line block ×3, first 2 shown]
	buffer_load_dword v68, off, s[0:3], 0 offset:352
	buffer_load_dword v69, off, s[0:3], 0 offset:356
	;; [unrolled: 1-line block ×6, first 2 shown]
	s_waitcnt vmcnt(34)
	v_fmac_f32_e32 v162, v151, v41
	v_add_f32_e32 v23, v23, v161
	v_fmac_f32_e32 v163, v153, v40
	v_add_f32_e32 v23, v23, v162
	v_add_f32_e32 v23, v23, v163
	ds_read_b128 v[160:163], v1 offset:752
	buffer_load_dword v219, off, s[0:3], 0 offset:376
	buffer_load_dword v220, off, s[0:3], 0 offset:380
	v_fmac_f32_e32 v164, v155, v39
	v_fmac_f32_e32 v165, v157, v38
	v_add_f32_e32 v23, v23, v164
	v_add_f32_e32 v23, v23, v165
	ds_read_b128 v[164:167], v1 offset:768
	buffer_load_dword v221, off, s[0:3], 0 offset:384
	buffer_load_dword v222, off, s[0:3], 0 offset:388
	;; [unrolled: 1-line block ×16, first 2 shown]
	ds_read_b128 v[168:171], v1 offset:784
	buffer_load_dword v237, off, s[0:3], 0 offset:448
	buffer_load_dword v238, off, s[0:3], 0 offset:452
	;; [unrolled: 1-line block ×6, first 2 shown]
	ds_read_b128 v[172:175], v1 offset:800
	buffer_load_dword v243, off, s[0:3], 0 offset:476
	buffer_load_dword v244, off, s[0:3], 0 offset:480
	;; [unrolled: 1-line block ×4, first 2 shown]
	v_mul_f32_e32 v10, v12, v10
	v_fma_f32 v10, v11, v33, -v10
	v_mul_f32_e32 v9, v14, v9
	v_add_f32_e32 v10, 0, v10
	v_fma_f32 v9, v13, v32, -v9
	v_mul_f32_e32 v8, v16, v8
	v_add_f32_e32 v9, v10, v9
	;; [unrolled: 3-line block ×6, first 2 shown]
	v_fma_f32 v4, v148, v34, -v4
	v_add_f32_e32 v4, v5, v4
	v_mul_f32_e32 v5, v151, v27
	v_fma_f32 v5, v150, v41, -v5
	v_add_f32_e32 v4, v4, v5
	v_mul_f32_e32 v5, v153, v28
	;; [unrolled: 3-line block ×4, first 2 shown]
	s_waitcnt vmcnt(61)
	v_mul_f32_e32 v24, v158, v42
	v_fma_f32 v5, v156, v38, -v5
	s_waitcnt vmcnt(55)
	v_fmac_f32_e32 v24, v159, v48
	v_add_f32_e32 v4, v4, v5
	v_mul_f32_e32 v5, v159, v42
	v_add_f32_e32 v23, v23, v24
	s_waitcnt vmcnt(54) lgkmcnt(3)
	v_mul_f32_e32 v24, v160, v49
	v_fma_f32 v5, v158, v48, -v5
	v_fmac_f32_e32 v24, v161, v47
	v_add_f32_e32 v4, v4, v5
	v_mul_f32_e32 v5, v161, v49
	v_add_f32_e32 v23, v23, v24
	v_mul_f32_e32 v24, v162, v44
	v_fma_f32 v5, v160, v47, -v5
	v_fmac_f32_e32 v24, v163, v43
	v_add_f32_e32 v4, v4, v5
	v_mul_f32_e32 v5, v163, v44
	v_add_f32_e32 v23, v23, v24
	s_waitcnt lgkmcnt(2)
	v_mul_f32_e32 v24, v164, v46
	v_fma_f32 v5, v162, v43, -v5
	v_fmac_f32_e32 v24, v165, v45
	v_add_f32_e32 v4, v4, v5
	v_mul_f32_e32 v5, v165, v46
	v_add_f32_e32 v23, v23, v24
	s_waitcnt vmcnt(50)
	v_mul_f32_e32 v24, v166, v51
	v_fma_f32 v5, v164, v45, -v5
	v_fmac_f32_e32 v24, v167, v50
	v_add_f32_e32 v4, v4, v5
	v_mul_f32_e32 v5, v167, v51
	v_add_f32_e32 v23, v23, v24
	s_waitcnt vmcnt(48) lgkmcnt(1)
	v_mul_f32_e32 v24, v168, v53
	v_fma_f32 v5, v166, v50, -v5
	v_fmac_f32_e32 v24, v169, v52
	v_add_f32_e32 v4, v4, v5
	v_mul_f32_e32 v5, v169, v53
	v_add_f32_e32 v23, v23, v24
	s_waitcnt vmcnt(46)
	v_mul_f32_e32 v24, v170, v55
	v_fma_f32 v5, v168, v52, -v5
	v_fmac_f32_e32 v24, v171, v54
	ds_read_b128 v[176:179], v1 offset:816
	ds_read_b128 v[180:183], v1 offset:832
	v_add_f32_e32 v4, v4, v5
	v_mul_f32_e32 v5, v171, v55
	v_add_f32_e32 v23, v23, v24
	s_waitcnt vmcnt(44) lgkmcnt(2)
	v_mul_f32_e32 v24, v172, v57
	v_fma_f32 v5, v170, v54, -v5
	v_fmac_f32_e32 v24, v173, v56
	v_add_f32_e32 v4, v4, v5
	v_mul_f32_e32 v5, v173, v57
	v_add_f32_e32 v23, v23, v24
	s_waitcnt vmcnt(42)
	v_mul_f32_e32 v24, v174, v59
	v_fma_f32 v5, v172, v56, -v5
	v_fmac_f32_e32 v24, v175, v58
	v_add_f32_e32 v4, v4, v5
	v_mul_f32_e32 v5, v175, v59
	v_add_f32_e32 v23, v23, v24
	s_waitcnt vmcnt(40) lgkmcnt(1)
	v_mul_f32_e32 v24, v176, v61
	v_fma_f32 v5, v174, v58, -v5
	v_fmac_f32_e32 v24, v177, v60
	v_add_f32_e32 v4, v4, v5
	v_mul_f32_e32 v5, v177, v61
	v_add_f32_e32 v23, v23, v24
	s_waitcnt vmcnt(38)
	v_mul_f32_e32 v24, v178, v63
	v_fma_f32 v5, v176, v60, -v5
	v_fmac_f32_e32 v24, v179, v62
	ds_read_b128 v[184:187], v1 offset:848
	ds_read_b128 v[188:191], v1 offset:864
	v_add_f32_e32 v4, v4, v5
	v_mul_f32_e32 v5, v179, v63
	v_add_f32_e32 v23, v23, v24
	s_waitcnt vmcnt(36) lgkmcnt(2)
	v_mul_f32_e32 v24, v180, v65
	v_fma_f32 v5, v178, v62, -v5
	v_fmac_f32_e32 v24, v181, v64
	v_add_f32_e32 v4, v4, v5
	v_mul_f32_e32 v5, v181, v65
	v_add_f32_e32 v23, v23, v24
	s_waitcnt vmcnt(34)
	v_mul_f32_e32 v24, v182, v67
	v_fma_f32 v5, v180, v64, -v5
	v_fmac_f32_e32 v24, v183, v66
	v_add_f32_e32 v4, v4, v5
	v_mul_f32_e32 v5, v183, v67
	v_add_f32_e32 v23, v23, v24
	s_waitcnt vmcnt(32) lgkmcnt(1)
	v_mul_f32_e32 v24, v184, v69
	v_fma_f32 v5, v182, v66, -v5
	v_fmac_f32_e32 v24, v185, v68
	v_add_f32_e32 v4, v4, v5
	v_mul_f32_e32 v5, v185, v69
	v_add_f32_e32 v23, v23, v24
	s_waitcnt vmcnt(31)
	v_mul_f32_e32 v24, v186, v70
	v_fma_f32 v5, v184, v68, -v5
	s_waitcnt vmcnt(28)
	v_fmac_f32_e32 v24, v187, v218
	ds_read_b128 v[192:195], v1 offset:880
	ds_read_b128 v[196:199], v1 offset:896
	v_add_f32_e32 v4, v4, v5
	v_mul_f32_e32 v5, v187, v70
	v_add_f32_e32 v23, v23, v24
	s_waitcnt lgkmcnt(2)
	v_mul_f32_e32 v24, v188, v217
	v_fma_f32 v5, v186, v218, -v5
	v_fmac_f32_e32 v24, v189, v216
	v_add_f32_e32 v4, v4, v5
	v_mul_f32_e32 v5, v189, v217
	v_add_f32_e32 v23, v23, v24
	s_waitcnt vmcnt(26)
	v_mul_f32_e32 v24, v190, v220
	v_fma_f32 v5, v188, v216, -v5
	v_fmac_f32_e32 v24, v191, v219
	v_add_f32_e32 v4, v4, v5
	v_mul_f32_e32 v5, v191, v220
	v_add_f32_e32 v23, v23, v24
	s_waitcnt vmcnt(24) lgkmcnt(1)
	v_mul_f32_e32 v24, v192, v222
	v_fma_f32 v5, v190, v219, -v5
	v_fmac_f32_e32 v24, v193, v221
	v_add_f32_e32 v4, v4, v5
	v_mul_f32_e32 v5, v193, v222
	v_add_f32_e32 v23, v23, v24
	s_waitcnt vmcnt(23)
	v_mul_f32_e32 v24, v194, v223
	v_fma_f32 v5, v192, v221, -v5
	s_waitcnt vmcnt(20)
	v_fmac_f32_e32 v24, v195, v226
	ds_read_b128 v[200:203], v1 offset:912
	ds_read_b128 v[204:207], v1 offset:928
	v_add_f32_e32 v4, v4, v5
	v_mul_f32_e32 v5, v195, v223
	v_add_f32_e32 v23, v23, v24
	s_waitcnt lgkmcnt(2)
	;; [unrolled: 31-line block ×3, first 2 shown]
	v_mul_f32_e32 v24, v204, v233
	v_fma_f32 v5, v202, v234, -v5
	v_fmac_f32_e32 v24, v205, v232
	v_add_f32_e32 v4, v4, v5
	v_mul_f32_e32 v5, v205, v233
	v_add_f32_e32 v23, v23, v24
	s_waitcnt vmcnt(10)
	v_mul_f32_e32 v24, v206, v236
	v_fma_f32 v5, v204, v232, -v5
	v_fmac_f32_e32 v24, v207, v235
	v_add_f32_e32 v4, v4, v5
	v_mul_f32_e32 v5, v207, v236
	v_add_f32_e32 v23, v23, v24
	s_waitcnt vmcnt(8) lgkmcnt(1)
	v_mul_f32_e32 v24, v208, v238
	v_fma_f32 v5, v206, v235, -v5
	v_fmac_f32_e32 v24, v209, v237
	v_add_f32_e32 v4, v4, v5
	v_mul_f32_e32 v5, v209, v238
	v_add_f32_e32 v23, v23, v24
	s_waitcnt vmcnt(7)
	v_mul_f32_e32 v24, v210, v239
	v_fma_f32 v5, v208, v237, -v5
	s_waitcnt vmcnt(4)
	v_fmac_f32_e32 v24, v211, v242
	v_add_f32_e32 v4, v4, v5
	v_mul_f32_e32 v5, v211, v239
	v_add_f32_e32 v247, v23, v24
	ds_read_b64 v[23:24], v1 offset:976
	v_fma_f32 v5, v210, v242, -v5
	v_add_f32_e32 v4, v4, v5
	s_waitcnt lgkmcnt(1)
	v_mul_f32_e32 v5, v213, v241
	v_mul_f32_e32 v248, v212, v241
	v_fma_f32 v5, v212, v240, -v5
	v_fmac_f32_e32 v248, v213, v240
	v_add_f32_e32 v4, v4, v5
	s_waitcnt vmcnt(3)
	v_mul_f32_e32 v5, v215, v243
	v_add_f32_e32 v247, v247, v248
	v_mul_f32_e32 v248, v214, v243
	s_waitcnt vmcnt(0)
	v_fma_f32 v5, v214, v246, -v5
	v_fmac_f32_e32 v248, v215, v246
	v_add_f32_e32 v4, v4, v5
	s_waitcnt lgkmcnt(0)
	v_mul_f32_e32 v5, v24, v245
	v_add_f32_e32 v247, v247, v248
	v_mul_f32_e32 v248, v23, v245
	v_fma_f32 v5, v23, v244, -v5
	v_fmac_f32_e32 v248, v24, v244
	v_add_f32_e32 v4, v4, v5
	v_add_f32_e32 v247, v247, v248
	v_sub_f32_e32 v2, v2, v4
	v_sub_f32_e32 v3, v3, v247
	buffer_store_dword v2, off, s[0:3], 0 offset:152
	buffer_store_dword v3, off, s[0:3], 0 offset:156
	s_and_saveexec_b64 s[4:5], vcc
	s_cbranch_execz .LBB124_343
; %bb.342:
	buffer_load_dword v2, off, s[0:3], 0 offset:144
	buffer_load_dword v3, off, s[0:3], 0 offset:148
	s_waitcnt vmcnt(0)
	ds_write_b64 v147, v[2:3]
	buffer_store_dword v1, off, s[0:3], 0 offset:144
	buffer_store_dword v1, off, s[0:3], 0 offset:148
.LBB124_343:
	s_or_b64 exec, exec, s[4:5]
	s_waitcnt lgkmcnt(0)
	; wave barrier
	buffer_load_dword v22, off, s[0:3], 0 offset:156
	buffer_load_dword v23, off, s[0:3], 0 offset:164
	;; [unrolled: 1-line block ×32, first 2 shown]
	ds_read2_b64 v[2:5], v1 offset0:81 offset1:82
	ds_read2_b64 v[6:9], v1 offset0:83 offset1:84
	ds_read2_b64 v[10:13], v1 offset0:85 offset1:86
	ds_read2_b64 v[14:17], v1 offset0:87 offset1:88
	ds_read2_b64 v[18:21], v1 offset0:89 offset1:90
	ds_read2_b64 v[148:151], v1 offset0:91 offset1:92
	buffer_load_dword v56, off, s[0:3], 0 offset:272
	buffer_load_dword v57, off, s[0:3], 0 offset:276
	;; [unrolled: 1-line block ×18, first 2 shown]
	v_cmp_lt_u32_e32 vcc, 17, v0
	s_waitcnt vmcnt(49) lgkmcnt(5)
	v_mul_f32_e32 v152, v2, v22
	s_waitcnt vmcnt(48)
	v_mul_f32_e32 v153, v4, v23
	s_waitcnt vmcnt(47) lgkmcnt(4)
	v_mul_f32_e32 v154, v6, v24
	s_waitcnt vmcnt(46)
	v_mul_f32_e32 v155, v8, v27
	;; [unrolled: 4-line block ×6, first 2 shown]
	s_waitcnt vmcnt(37)
	v_fmac_f32_e32 v154, v7, v36
	s_waitcnt vmcnt(36)
	v_fmac_f32_e32 v153, v5, v37
	;; [unrolled: 2-line block ×3, first 2 shown]
	v_add_f32_e32 v152, 0, v152
	v_add_f32_e32 v152, v152, v153
	;; [unrolled: 1-line block ×3, first 2 shown]
	s_waitcnt vmcnt(31)
	v_fmac_f32_e32 v155, v9, v42
	v_fmac_f32_e32 v156, v11, v41
	v_add_f32_e32 v152, v152, v155
	v_fmac_f32_e32 v157, v13, v40
	v_add_f32_e32 v152, v152, v156
	;; [unrolled: 2-line block ×3, first 2 shown]
	s_waitcnt vmcnt(27)
	v_fmac_f32_e32 v159, v17, v46
	v_add_f32_e32 v152, v152, v158
	v_fmac_f32_e32 v160, v19, v45
	v_add_f32_e32 v152, v152, v159
	;; [unrolled: 2-line block ×3, first 2 shown]
	v_add_f32_e32 v156, v152, v161
	ds_read2_b64 v[152:155], v1 offset0:93 offset1:94
	buffer_load_dword v215, off, s[0:3], 0 offset:344
	buffer_load_dword v216, off, s[0:3], 0 offset:348
	;; [unrolled: 1-line block ×6, first 2 shown]
	v_fmac_f32_e32 v162, v149, v43
	s_waitcnt vmcnt(27)
	v_fmac_f32_e32 v163, v151, v52
	v_add_f32_e32 v156, v156, v162
	v_add_f32_e32 v160, v156, v163
	ds_read2_b64 v[156:159], v1 offset0:95 offset1:96
	buffer_load_dword v221, off, s[0:3], 0 offset:368
	buffer_load_dword v222, off, s[0:3], 0 offset:372
	;; [unrolled: 1-line block ×10, first 2 shown]
	s_waitcnt vmcnt(36) lgkmcnt(1)
	v_mul_f32_e32 v161, v152, v53
	buffer_load_dword v231, off, s[0:3], 0 offset:408
	buffer_load_dword v232, off, s[0:3], 0 offset:412
	buffer_load_dword v233, off, s[0:3], 0 offset:420
	buffer_load_dword v234, off, s[0:3], 0 offset:424
	buffer_load_dword v235, off, s[0:3], 0 offset:428
	buffer_load_dword v236, off, s[0:3], 0 offset:416
	v_fmac_f32_e32 v161, v153, v51
	v_add_f32_e32 v160, v160, v161
	v_mul_f32_e32 v161, v154, v48
	v_fmac_f32_e32 v161, v155, v47
	v_add_f32_e32 v160, v160, v161
	s_waitcnt lgkmcnt(0)
	v_mul_f32_e32 v161, v156, v50
	v_fmac_f32_e32 v161, v157, v49
	v_add_f32_e32 v164, v160, v161
	ds_read2_b64 v[160:163], v1 offset0:97 offset1:98
	buffer_load_dword v237, off, s[0:3], 0 offset:432
	buffer_load_dword v238, off, s[0:3], 0 offset:436
	s_waitcnt vmcnt(40)
	v_mul_f32_e32 v165, v158, v57
	v_fmac_f32_e32 v165, v159, v56
	v_add_f32_e32 v168, v164, v165
	ds_read2_b64 v[164:167], v1 offset0:99 offset1:100
	buffer_load_dword v239, off, s[0:3], 0 offset:440
	buffer_load_dword v240, off, s[0:3], 0 offset:444
	;; [unrolled: 1-line block ×12, first 2 shown]
	v_mul_f32_e32 v3, v3, v22
	v_fma_f32 v2, v2, v38, -v3
	v_mul_f32_e32 v3, v5, v23
	v_add_f32_e32 v2, 0, v2
	v_fma_f32 v3, v4, v37, -v3
	v_add_f32_e32 v2, v2, v3
	v_mul_f32_e32 v3, v7, v24
	v_fma_f32 v3, v6, v36, -v3
	v_add_f32_e32 v2, v2, v3
	v_mul_f32_e32 v3, v9, v27
	;; [unrolled: 3-line block ×6, first 2 shown]
	v_fma_f32 v3, v16, v46, -v3
	s_waitcnt vmcnt(50) lgkmcnt(1)
	v_mul_f32_e32 v169, v160, v59
	v_add_f32_e32 v2, v2, v3
	v_mul_f32_e32 v3, v19, v32
	v_fmac_f32_e32 v169, v161, v58
	v_fma_f32 v3, v18, v45, -v3
	v_add_f32_e32 v168, v168, v169
	s_waitcnt vmcnt(48)
	v_mul_f32_e32 v169, v162, v61
	v_add_f32_e32 v2, v2, v3
	v_mul_f32_e32 v3, v21, v33
	v_fmac_f32_e32 v169, v163, v60
	v_fma_f32 v3, v20, v44, -v3
	v_add_f32_e32 v168, v168, v169
	s_waitcnt vmcnt(46) lgkmcnt(0)
	v_mul_f32_e32 v169, v164, v63
	v_add_f32_e32 v2, v2, v3
	v_mul_f32_e32 v3, v149, v34
	v_fmac_f32_e32 v169, v165, v62
	v_fma_f32 v3, v148, v43, -v3
	v_add_f32_e32 v172, v168, v169
	ds_read2_b64 v[168:171], v1 offset0:101 offset1:102
	v_add_f32_e32 v2, v2, v3
	v_mul_f32_e32 v3, v151, v35
	v_fma_f32 v3, v150, v52, -v3
	s_waitcnt vmcnt(44)
	v_mul_f32_e32 v173, v166, v65
	v_add_f32_e32 v2, v2, v3
	v_mul_f32_e32 v3, v153, v53
	v_fmac_f32_e32 v173, v167, v64
	v_fma_f32 v3, v152, v51, -v3
	v_add_f32_e32 v176, v172, v173
	ds_read2_b64 v[172:175], v1 offset0:103 offset1:104
	v_add_f32_e32 v2, v2, v3
	v_mul_f32_e32 v3, v155, v48
	s_waitcnt vmcnt(42) lgkmcnt(1)
	v_mul_f32_e32 v177, v168, v67
	v_fma_f32 v3, v154, v47, -v3
	v_fmac_f32_e32 v177, v169, v66
	v_add_f32_e32 v2, v2, v3
	v_mul_f32_e32 v3, v157, v50
	v_add_f32_e32 v176, v176, v177
	s_waitcnt vmcnt(40)
	v_mul_f32_e32 v177, v170, v69
	v_fma_f32 v3, v156, v49, -v3
	v_fmac_f32_e32 v177, v171, v68
	v_add_f32_e32 v2, v2, v3
	v_mul_f32_e32 v3, v159, v57
	v_add_f32_e32 v176, v176, v177
	s_waitcnt vmcnt(38) lgkmcnt(0)
	v_mul_f32_e32 v177, v172, v212
	v_fma_f32 v3, v158, v56, -v3
	v_fmac_f32_e32 v177, v173, v70
	v_add_f32_e32 v2, v2, v3
	v_mul_f32_e32 v3, v161, v59
	v_add_f32_e32 v180, v176, v177
	ds_read2_b64 v[176:179], v1 offset0:105 offset1:106
	v_fma_f32 v3, v160, v58, -v3
	v_add_f32_e32 v2, v2, v3
	v_mul_f32_e32 v3, v163, v61
	s_waitcnt vmcnt(36)
	v_mul_f32_e32 v181, v174, v214
	v_fma_f32 v3, v162, v60, -v3
	v_fmac_f32_e32 v181, v175, v213
	v_add_f32_e32 v2, v2, v3
	v_mul_f32_e32 v3, v165, v63
	v_add_f32_e32 v184, v180, v181
	ds_read2_b64 v[180:183], v1 offset0:107 offset1:108
	v_fma_f32 v3, v164, v62, -v3
	s_waitcnt vmcnt(34) lgkmcnt(1)
	v_mul_f32_e32 v185, v176, v216
	v_add_f32_e32 v2, v2, v3
	v_mul_f32_e32 v3, v167, v65
	v_fmac_f32_e32 v185, v177, v215
	v_fma_f32 v3, v166, v64, -v3
	v_add_f32_e32 v184, v184, v185
	s_waitcnt vmcnt(33)
	v_mul_f32_e32 v185, v178, v217
	v_add_f32_e32 v2, v2, v3
	v_mul_f32_e32 v3, v169, v67
	s_waitcnt vmcnt(30)
	v_fmac_f32_e32 v185, v179, v220
	v_fma_f32 v3, v168, v66, -v3
	v_add_f32_e32 v184, v184, v185
	s_waitcnt lgkmcnt(0)
	v_mul_f32_e32 v185, v180, v219
	v_add_f32_e32 v2, v2, v3
	v_mul_f32_e32 v3, v171, v69
	v_fmac_f32_e32 v185, v181, v218
	v_fma_f32 v3, v170, v68, -v3
	v_add_f32_e32 v188, v184, v185
	ds_read2_b64 v[184:187], v1 offset0:109 offset1:110
	v_add_f32_e32 v2, v2, v3
	v_mul_f32_e32 v3, v173, v212
	v_fma_f32 v3, v172, v70, -v3
	s_waitcnt vmcnt(28)
	v_mul_f32_e32 v189, v182, v222
	v_add_f32_e32 v2, v2, v3
	v_mul_f32_e32 v3, v175, v214
	v_fmac_f32_e32 v189, v183, v221
	v_fma_f32 v3, v174, v213, -v3
	v_add_f32_e32 v192, v188, v189
	ds_read2_b64 v[188:191], v1 offset0:111 offset1:112
	v_add_f32_e32 v2, v2, v3
	v_mul_f32_e32 v3, v177, v216
	s_waitcnt vmcnt(26) lgkmcnt(1)
	v_mul_f32_e32 v193, v184, v224
	v_fma_f32 v3, v176, v215, -v3
	v_fmac_f32_e32 v193, v185, v223
	v_add_f32_e32 v2, v2, v3
	v_mul_f32_e32 v3, v179, v217
	v_add_f32_e32 v192, v192, v193
	s_waitcnt vmcnt(25)
	v_mul_f32_e32 v193, v186, v225
	v_fma_f32 v3, v178, v220, -v3
	s_waitcnt vmcnt(22)
	v_fmac_f32_e32 v193, v187, v228
	v_add_f32_e32 v2, v2, v3
	v_mul_f32_e32 v3, v181, v219
	v_add_f32_e32 v192, v192, v193
	s_waitcnt lgkmcnt(0)
	v_mul_f32_e32 v193, v188, v227
	v_fma_f32 v3, v180, v218, -v3
	v_fmac_f32_e32 v193, v189, v226
	v_add_f32_e32 v2, v2, v3
	v_mul_f32_e32 v3, v183, v222
	v_add_f32_e32 v196, v192, v193
	ds_read2_b64 v[192:195], v1 offset0:113 offset1:114
	v_fma_f32 v3, v182, v221, -v3
	v_add_f32_e32 v2, v2, v3
	v_mul_f32_e32 v3, v185, v224
	s_waitcnt vmcnt(20)
	v_mul_f32_e32 v197, v190, v230
	v_fma_f32 v3, v184, v223, -v3
	v_fmac_f32_e32 v197, v191, v229
	v_add_f32_e32 v2, v2, v3
	v_mul_f32_e32 v3, v187, v225
	v_add_f32_e32 v200, v196, v197
	ds_read2_b64 v[196:199], v1 offset0:115 offset1:116
	v_fma_f32 v3, v186, v228, -v3
	s_waitcnt vmcnt(18) lgkmcnt(1)
	v_mul_f32_e32 v201, v192, v232
	v_add_f32_e32 v2, v2, v3
	v_mul_f32_e32 v3, v189, v227
	v_fmac_f32_e32 v201, v193, v231
	v_fma_f32 v3, v188, v226, -v3
	v_add_f32_e32 v200, v200, v201
	s_waitcnt vmcnt(17)
	v_mul_f32_e32 v201, v194, v233
	v_add_f32_e32 v2, v2, v3
	v_mul_f32_e32 v3, v191, v230
	s_waitcnt vmcnt(14)
	v_fmac_f32_e32 v201, v195, v236
	v_fma_f32 v3, v190, v229, -v3
	v_add_f32_e32 v200, v200, v201
	s_waitcnt lgkmcnt(0)
	v_mul_f32_e32 v201, v196, v235
	v_add_f32_e32 v2, v2, v3
	v_mul_f32_e32 v3, v193, v232
	v_fmac_f32_e32 v201, v197, v234
	v_fma_f32 v3, v192, v231, -v3
	v_add_f32_e32 v204, v200, v201
	ds_read2_b64 v[200:203], v1 offset0:117 offset1:118
	v_add_f32_e32 v2, v2, v3
	v_mul_f32_e32 v3, v195, v233
	v_fma_f32 v3, v194, v236, -v3
	v_add_f32_e32 v2, v2, v3
	v_mul_f32_e32 v3, v197, v235
	s_waitcnt vmcnt(12)
	v_mul_f32_e32 v205, v198, v238
	v_fma_f32 v3, v196, v234, -v3
	v_fmac_f32_e32 v205, v199, v237
	v_add_f32_e32 v2, v2, v3
	v_mul_f32_e32 v3, v199, v238
	v_add_f32_e32 v208, v204, v205
	ds_read2_b64 v[204:207], v1 offset0:119 offset1:120
	s_waitcnt vmcnt(10) lgkmcnt(1)
	v_mul_f32_e32 v209, v200, v240
	v_fma_f32 v3, v198, v237, -v3
	v_fmac_f32_e32 v209, v201, v239
	v_add_f32_e32 v2, v2, v3
	v_mul_f32_e32 v3, v201, v240
	v_add_f32_e32 v208, v208, v209
	s_waitcnt vmcnt(9)
	v_mul_f32_e32 v209, v202, v241
	v_fma_f32 v3, v200, v239, -v3
	s_waitcnt vmcnt(6)
	v_fmac_f32_e32 v209, v203, v244
	v_add_f32_e32 v2, v2, v3
	v_mul_f32_e32 v3, v203, v241
	v_add_f32_e32 v251, v208, v209
	ds_read2_b64 v[208:211], v1 offset0:121 offset1:122
	v_fma_f32 v3, v202, v244, -v3
	v_add_f32_e32 v2, v2, v3
	s_waitcnt lgkmcnt(1)
	v_mul_f32_e32 v3, v205, v243
	v_mul_f32_e32 v252, v204, v243
	v_fma_f32 v3, v204, v242, -v3
	v_fmac_f32_e32 v252, v205, v242
	v_add_f32_e32 v2, v2, v3
	s_waitcnt vmcnt(4)
	v_mul_f32_e32 v3, v207, v246
	v_add_f32_e32 v1, v251, v252
	v_mul_f32_e32 v251, v206, v246
	v_fma_f32 v3, v206, v245, -v3
	v_fmac_f32_e32 v251, v207, v245
	v_add_f32_e32 v2, v2, v3
	s_waitcnt vmcnt(3) lgkmcnt(0)
	v_mul_f32_e32 v3, v209, v247
	v_add_f32_e32 v1, v1, v251
	v_mul_f32_e32 v251, v208, v247
	s_waitcnt vmcnt(0)
	v_fma_f32 v3, v208, v250, -v3
	v_fmac_f32_e32 v251, v209, v250
	v_add_f32_e32 v2, v2, v3
	v_mul_f32_e32 v3, v211, v249
	v_add_f32_e32 v1, v1, v251
	v_mul_f32_e32 v251, v210, v249
	v_fma_f32 v3, v210, v248, -v3
	v_fmac_f32_e32 v251, v211, v248
	v_add_f32_e32 v2, v2, v3
	v_add_f32_e32 v1, v1, v251
	v_sub_f32_e32 v2, v54, v2
	v_sub_f32_e32 v1, v55, v1
	buffer_store_dword v2, off, s[0:3], 0 offset:144
	buffer_store_dword v1, off, s[0:3], 0 offset:148
	s_and_saveexec_b64 s[4:5], vcc
	s_cbranch_execz .LBB124_345
; %bb.344:
	buffer_load_dword v1, off, s[0:3], 0 offset:136
	buffer_load_dword v2, off, s[0:3], 0 offset:140
	v_mov_b32_e32 v3, 0
	buffer_store_dword v3, off, s[0:3], 0 offset:136
	buffer_store_dword v3, off, s[0:3], 0 offset:140
	s_waitcnt vmcnt(2)
	ds_write_b64 v147, v[1:2]
.LBB124_345:
	s_or_b64 exec, exec, s[4:5]
	s_waitcnt lgkmcnt(0)
	; wave barrier
	buffer_load_dword v10, off, s[0:3], 0 offset:148
	buffer_load_dword v9, off, s[0:3], 0 offset:156
	;; [unrolled: 1-line block ×32, first 2 shown]
	v_mov_b32_e32 v1, 0
	buffer_load_dword v46, off, s[0:3], 0 offset:264
	buffer_load_dword v47, off, s[0:3], 0 offset:268
	;; [unrolled: 1-line block ×16, first 2 shown]
	ds_read_b128 v[16:19], v1 offset:640
	ds_read_b128 v[20:23], v1 offset:656
	;; [unrolled: 1-line block ×6, first 2 shown]
	v_cmp_lt_u32_e32 vcc, 16, v0
	s_waitcnt vmcnt(47) lgkmcnt(5)
	v_mul_f32_e32 v27, v16, v10
	s_waitcnt vmcnt(46)
	v_mul_f32_e32 v28, v18, v9
	s_waitcnt vmcnt(45) lgkmcnt(4)
	v_mul_f32_e32 v62, v20, v8
	s_waitcnt vmcnt(44)
	v_mul_f32_e32 v63, v22, v7
	;; [unrolled: 4-line block ×6, first 2 shown]
	s_waitcnt vmcnt(35)
	v_fmac_f32_e32 v62, v21, v24
	s_waitcnt vmcnt(34)
	v_fmac_f32_e32 v28, v19, v29
	;; [unrolled: 2-line block ×3, first 2 shown]
	v_add_f32_e32 v27, 0, v27
	v_add_f32_e32 v27, v27, v28
	;; [unrolled: 1-line block ×3, first 2 shown]
	s_waitcnt vmcnt(29)
	v_fmac_f32_e32 v63, v23, v34
	v_fmac_f32_e32 v64, v149, v33
	v_add_f32_e32 v27, v27, v63
	v_fmac_f32_e32 v65, v151, v32
	v_add_f32_e32 v27, v27, v64
	buffer_load_dword v62, off, s[0:3], 0 offset:328
	buffer_load_dword v63, off, s[0:3], 0 offset:332
	v_fmac_f32_e32 v66, v153, v31
	v_add_f32_e32 v27, v27, v65
	s_waitcnt vmcnt(27)
	v_fmac_f32_e32 v67, v155, v38
	v_add_f32_e32 v27, v27, v66
	v_fmac_f32_e32 v68, v157, v37
	v_add_f32_e32 v27, v27, v67
	;; [unrolled: 2-line block ×3, first 2 shown]
	v_add_f32_e32 v27, v27, v69
	ds_read_b128 v[164:167], v1 offset:736
	buffer_load_dword v64, off, s[0:3], 0 offset:336
	buffer_load_dword v65, off, s[0:3], 0 offset:340
	;; [unrolled: 1-line block ×6, first 2 shown]
	v_fmac_f32_e32 v70, v161, v35
	s_waitcnt vmcnt(28)
	v_fmac_f32_e32 v168, v163, v43
	v_add_f32_e32 v27, v27, v70
	v_add_f32_e32 v27, v27, v168
	ds_read_b128 v[168:171], v1 offset:752
	buffer_load_dword v70, off, s[0:3], 0 offset:360
	buffer_load_dword v224, off, s[0:3], 0 offset:364
	;; [unrolled: 1-line block ×10, first 2 shown]
	ds_read_b128 v[172:175], v1 offset:768
	buffer_load_dword v233, off, s[0:3], 0 offset:400
	buffer_load_dword v234, off, s[0:3], 0 offset:404
	;; [unrolled: 1-line block ×6, first 2 shown]
	ds_read_b128 v[176:179], v1 offset:784
	buffer_load_dword v239, off, s[0:3], 0 offset:424
	buffer_load_dword v240, off, s[0:3], 0 offset:428
	;; [unrolled: 1-line block ×16, first 2 shown]
	v_mul_f32_e32 v10, v17, v10
	v_fma_f32 v10, v16, v30, -v10
	v_mul_f32_e32 v9, v19, v9
	v_add_f32_e32 v10, 0, v10
	v_fma_f32 v9, v18, v29, -v9
	v_mul_f32_e32 v8, v21, v8
	v_add_f32_e32 v9, v10, v9
	;; [unrolled: 3-line block ×6, first 2 shown]
	v_fma_f32 v4, v152, v31, -v4
	v_add_f32_e32 v4, v5, v4
	v_mul_f32_e32 v5, v155, v11
	v_fma_f32 v5, v154, v38, -v5
	v_add_f32_e32 v4, v4, v5
	v_mul_f32_e32 v5, v157, v12
	;; [unrolled: 3-line block ×5, first 2 shown]
	s_waitcnt vmcnt(59) lgkmcnt(3)
	v_mul_f32_e32 v28, v164, v44
	v_fma_f32 v5, v162, v43, -v5
	v_fmac_f32_e32 v28, v165, v42
	v_add_f32_e32 v4, v4, v5
	v_mul_f32_e32 v5, v165, v44
	v_add_f32_e32 v27, v27, v28
	s_waitcnt vmcnt(58)
	v_mul_f32_e32 v28, v166, v45
	v_fma_f32 v5, v164, v42, -v5
	v_fmac_f32_e32 v28, v167, v41
	v_add_f32_e32 v4, v4, v5
	v_mul_f32_e32 v5, v167, v45
	v_add_f32_e32 v27, v27, v28
	s_waitcnt lgkmcnt(2)
	v_mul_f32_e32 v28, v168, v40
	v_fma_f32 v5, v166, v41, -v5
	v_fmac_f32_e32 v28, v169, v39
	v_add_f32_e32 v4, v4, v5
	v_mul_f32_e32 v5, v169, v40
	v_add_f32_e32 v27, v27, v28
	s_waitcnt vmcnt(54)
	v_mul_f32_e32 v28, v170, v47
	v_fma_f32 v5, v168, v39, -v5
	v_fmac_f32_e32 v28, v171, v46
	v_add_f32_e32 v4, v4, v5
	v_mul_f32_e32 v5, v171, v47
	v_add_f32_e32 v27, v27, v28
	s_waitcnt vmcnt(52) lgkmcnt(1)
	v_mul_f32_e32 v28, v172, v49
	v_fma_f32 v5, v170, v46, -v5
	v_fmac_f32_e32 v28, v173, v48
	v_add_f32_e32 v4, v4, v5
	v_mul_f32_e32 v5, v173, v49
	v_add_f32_e32 v27, v27, v28
	s_waitcnt vmcnt(50)
	v_mul_f32_e32 v28, v174, v51
	v_fma_f32 v5, v172, v48, -v5
	v_fmac_f32_e32 v28, v175, v50
	ds_read_b128 v[180:183], v1 offset:800
	ds_read_b128 v[184:187], v1 offset:816
	v_add_f32_e32 v4, v4, v5
	v_mul_f32_e32 v5, v175, v51
	v_add_f32_e32 v27, v27, v28
	s_waitcnt vmcnt(48) lgkmcnt(2)
	v_mul_f32_e32 v28, v176, v53
	v_fma_f32 v5, v174, v50, -v5
	v_fmac_f32_e32 v28, v177, v52
	v_add_f32_e32 v4, v4, v5
	v_mul_f32_e32 v5, v177, v53
	v_add_f32_e32 v27, v27, v28
	s_waitcnt vmcnt(46)
	v_mul_f32_e32 v28, v178, v55
	v_fma_f32 v5, v176, v52, -v5
	v_fmac_f32_e32 v28, v179, v54
	v_add_f32_e32 v4, v4, v5
	v_mul_f32_e32 v5, v179, v55
	v_add_f32_e32 v27, v27, v28
	s_waitcnt vmcnt(44) lgkmcnt(1)
	v_mul_f32_e32 v28, v180, v57
	v_fma_f32 v5, v178, v54, -v5
	v_fmac_f32_e32 v28, v181, v56
	v_add_f32_e32 v4, v4, v5
	v_mul_f32_e32 v5, v181, v57
	v_add_f32_e32 v27, v27, v28
	s_waitcnt vmcnt(42)
	v_mul_f32_e32 v28, v182, v59
	v_fma_f32 v5, v180, v56, -v5
	v_fmac_f32_e32 v28, v183, v58
	ds_read_b128 v[188:191], v1 offset:832
	ds_read_b128 v[192:195], v1 offset:848
	v_add_f32_e32 v4, v4, v5
	v_mul_f32_e32 v5, v183, v59
	v_add_f32_e32 v27, v27, v28
	s_waitcnt vmcnt(40) lgkmcnt(2)
	v_mul_f32_e32 v28, v184, v61
	v_fma_f32 v5, v182, v58, -v5
	v_fmac_f32_e32 v28, v185, v60
	v_add_f32_e32 v4, v4, v5
	v_mul_f32_e32 v5, v185, v61
	v_add_f32_e32 v27, v27, v28
	s_waitcnt vmcnt(38)
	v_mul_f32_e32 v28, v186, v63
	v_fma_f32 v5, v184, v60, -v5
	v_fmac_f32_e32 v28, v187, v62
	v_add_f32_e32 v4, v4, v5
	v_mul_f32_e32 v5, v187, v63
	v_add_f32_e32 v27, v27, v28
	s_waitcnt vmcnt(36) lgkmcnt(1)
	v_mul_f32_e32 v28, v188, v65
	v_fma_f32 v5, v186, v62, -v5
	v_fmac_f32_e32 v28, v189, v64
	v_add_f32_e32 v4, v4, v5
	v_mul_f32_e32 v5, v189, v65
	v_add_f32_e32 v27, v27, v28
	s_waitcnt vmcnt(35)
	v_mul_f32_e32 v28, v190, v66
	v_fma_f32 v5, v188, v64, -v5
	s_waitcnt vmcnt(32)
	v_fmac_f32_e32 v28, v191, v69
	ds_read_b128 v[196:199], v1 offset:864
	ds_read_b128 v[200:203], v1 offset:880
	v_add_f32_e32 v4, v4, v5
	v_mul_f32_e32 v5, v191, v66
	v_add_f32_e32 v27, v27, v28
	s_waitcnt lgkmcnt(2)
	v_mul_f32_e32 v28, v192, v68
	v_fma_f32 v5, v190, v69, -v5
	v_fmac_f32_e32 v28, v193, v67
	v_add_f32_e32 v4, v4, v5
	v_mul_f32_e32 v5, v193, v68
	v_add_f32_e32 v27, v27, v28
	s_waitcnt vmcnt(30)
	v_mul_f32_e32 v28, v194, v224
	v_fma_f32 v5, v192, v67, -v5
	v_fmac_f32_e32 v28, v195, v70
	v_add_f32_e32 v4, v4, v5
	v_mul_f32_e32 v5, v195, v224
	v_add_f32_e32 v27, v27, v28
	s_waitcnt vmcnt(28) lgkmcnt(1)
	v_mul_f32_e32 v28, v196, v226
	v_fma_f32 v5, v194, v70, -v5
	v_fmac_f32_e32 v28, v197, v225
	v_add_f32_e32 v4, v4, v5
	v_mul_f32_e32 v5, v197, v226
	v_add_f32_e32 v27, v27, v28
	s_waitcnt vmcnt(27)
	v_mul_f32_e32 v28, v198, v227
	v_fma_f32 v5, v196, v225, -v5
	s_waitcnt vmcnt(24)
	v_fmac_f32_e32 v28, v199, v230
	ds_read_b128 v[204:207], v1 offset:896
	ds_read_b128 v[208:211], v1 offset:912
	v_add_f32_e32 v4, v4, v5
	v_mul_f32_e32 v5, v199, v227
	v_add_f32_e32 v27, v27, v28
	s_waitcnt lgkmcnt(2)
	;; [unrolled: 31-line block ×3, first 2 shown]
	v_mul_f32_e32 v28, v208, v237
	v_fma_f32 v5, v206, v238, -v5
	v_fmac_f32_e32 v28, v209, v236
	v_add_f32_e32 v4, v4, v5
	v_mul_f32_e32 v5, v209, v237
	v_add_f32_e32 v27, v27, v28
	s_waitcnt vmcnt(14)
	v_mul_f32_e32 v28, v210, v240
	v_fma_f32 v5, v208, v236, -v5
	v_fmac_f32_e32 v28, v211, v239
	v_add_f32_e32 v4, v4, v5
	v_mul_f32_e32 v5, v211, v240
	v_add_f32_e32 v27, v27, v28
	s_waitcnt vmcnt(12) lgkmcnt(1)
	v_mul_f32_e32 v28, v212, v242
	v_fma_f32 v5, v210, v239, -v5
	v_fmac_f32_e32 v28, v213, v241
	v_add_f32_e32 v4, v4, v5
	v_mul_f32_e32 v5, v213, v242
	v_add_f32_e32 v27, v27, v28
	s_waitcnt vmcnt(11)
	v_mul_f32_e32 v28, v214, v243
	v_fma_f32 v5, v212, v241, -v5
	s_waitcnt vmcnt(8)
	v_fmac_f32_e32 v28, v215, v246
	v_add_f32_e32 v4, v4, v5
	v_mul_f32_e32 v5, v215, v243
	v_add_f32_e32 v27, v27, v28
	s_waitcnt lgkmcnt(0)
	v_mul_f32_e32 v28, v216, v245
	ds_read_b128 v[220:223], v1 offset:960
	v_fma_f32 v5, v214, v246, -v5
	v_fmac_f32_e32 v28, v217, v244
	v_add_f32_e32 v4, v4, v5
	v_mul_f32_e32 v5, v217, v245
	v_add_f32_e32 v27, v27, v28
	s_waitcnt vmcnt(6)
	v_mul_f32_e32 v28, v218, v248
	v_fma_f32 v5, v216, v244, -v5
	v_fmac_f32_e32 v28, v219, v247
	v_add_f32_e32 v4, v4, v5
	v_mul_f32_e32 v5, v219, v248
	v_add_f32_e32 v255, v27, v28
	ds_read_b64 v[27:28], v1 offset:976
	v_fma_f32 v5, v218, v247, -v5
	v_add_f32_e32 v4, v4, v5
	s_waitcnt vmcnt(4) lgkmcnt(1)
	v_mul_f32_e32 v5, v221, v250
	v_fma_f32 v5, v220, v249, -v5
	v_mul_f32_e32 v71, v220, v250
	v_add_f32_e32 v4, v4, v5
	s_waitcnt vmcnt(3)
	v_mul_f32_e32 v5, v223, v251
	v_fmac_f32_e32 v71, v221, v249
	v_mul_f32_e32 v72, v222, v251
	s_waitcnt vmcnt(0)
	v_fma_f32 v5, v222, v254, -v5
	v_add_f32_e32 v71, v255, v71
	v_fmac_f32_e32 v72, v223, v254
	v_add_f32_e32 v4, v4, v5
	s_waitcnt lgkmcnt(0)
	v_mul_f32_e32 v5, v28, v253
	v_add_f32_e32 v71, v71, v72
	v_mul_f32_e32 v72, v27, v253
	v_fma_f32 v5, v27, v252, -v5
	v_fmac_f32_e32 v72, v28, v252
	v_add_f32_e32 v4, v4, v5
	v_add_f32_e32 v71, v71, v72
	v_sub_f32_e32 v2, v2, v4
	v_sub_f32_e32 v3, v3, v71
	buffer_store_dword v2, off, s[0:3], 0 offset:136
	buffer_store_dword v3, off, s[0:3], 0 offset:140
	s_and_saveexec_b64 s[4:5], vcc
	s_cbranch_execz .LBB124_347
; %bb.346:
	buffer_load_dword v2, off, s[0:3], 0 offset:128
	buffer_load_dword v3, off, s[0:3], 0 offset:132
	s_waitcnt vmcnt(0)
	ds_write_b64 v147, v[2:3]
	buffer_store_dword v1, off, s[0:3], 0 offset:128
	buffer_store_dword v1, off, s[0:3], 0 offset:132
.LBB124_347:
	s_or_b64 exec, exec, s[4:5]
	s_waitcnt lgkmcnt(0)
	; wave barrier
	buffer_load_dword v10, off, s[0:3], 0 offset:140
	buffer_load_dword v9, off, s[0:3], 0 offset:148
	;; [unrolled: 1-line block ×32, first 2 shown]
	ds_read2_b64 v[16:19], v1 offset0:79 offset1:80
	ds_read2_b64 v[20:23], v1 offset0:81 offset1:82
	ds_read2_b64 v[148:151], v1 offset0:83 offset1:84
	ds_read2_b64 v[152:155], v1 offset0:85 offset1:86
	buffer_load_dword v44, off, s[0:3], 0 offset:256
	buffer_load_dword v45, off, s[0:3], 0 offset:260
	ds_read2_b64 v[156:159], v1 offset0:87 offset1:88
	ds_read2_b64 v[160:163], v1 offset0:89 offset1:90
	;; [unrolled: 1-line block ×3, first 2 shown]
	buffer_load_dword v46, off, s[0:3], 0 offset:264
	buffer_load_dword v47, off, s[0:3], 0 offset:268
	;; [unrolled: 1-line block ×14, first 2 shown]
	v_cmp_lt_u32_e32 vcc, 15, v0
	s_waitcnt vmcnt(47) lgkmcnt(6)
	v_mul_f32_e32 v60, v16, v10
	s_waitcnt vmcnt(46)
	v_mul_f32_e32 v61, v18, v9
	s_waitcnt vmcnt(45) lgkmcnt(5)
	v_mul_f32_e32 v62, v20, v8
	s_waitcnt vmcnt(44)
	v_mul_f32_e32 v63, v22, v7
	;; [unrolled: 4-line block ×6, first 2 shown]
	s_waitcnt vmcnt(35)
	v_fmac_f32_e32 v62, v21, v24
	s_waitcnt vmcnt(34)
	v_fmac_f32_e32 v61, v19, v27
	;; [unrolled: 2-line block ×3, first 2 shown]
	v_add_f32_e32 v60, 0, v60
	v_add_f32_e32 v60, v60, v61
	;; [unrolled: 1-line block ×3, first 2 shown]
	s_waitcnt vmcnt(29)
	v_fmac_f32_e32 v63, v23, v32
	v_fmac_f32_e32 v64, v149, v31
	v_add_f32_e32 v60, v60, v63
	buffer_load_dword v61, off, s[0:3], 0 offset:320
	buffer_load_dword v62, off, s[0:3], 0 offset:324
	v_fmac_f32_e32 v65, v151, v30
	v_add_f32_e32 v60, v60, v64
	v_fmac_f32_e32 v66, v153, v29
	v_add_f32_e32 v60, v60, v65
	s_waitcnt vmcnt(27)
	v_fmac_f32_e32 v67, v155, v36
	v_add_f32_e32 v60, v60, v66
	v_fmac_f32_e32 v68, v157, v35
	v_add_f32_e32 v60, v60, v67
	;; [unrolled: 2-line block ×3, first 2 shown]
	v_add_f32_e32 v60, v60, v69
	ds_read2_b64 v[168:171], v1 offset0:93 offset1:94
	buffer_load_dword v64, off, s[0:3], 0 offset:328
	buffer_load_dword v65, off, s[0:3], 0 offset:332
	;; [unrolled: 1-line block ×6, first 2 shown]
	v_fmac_f32_e32 v70, v161, v33
	s_waitcnt vmcnt(29)
	v_fmac_f32_e32 v71, v163, v40
	v_add_f32_e32 v60, v60, v70
	v_add_f32_e32 v60, v60, v71
	buffer_load_dword v70, off, s[0:3], 0 offset:352
	buffer_load_dword v71, off, s[0:3], 0 offset:356
	;; [unrolled: 1-line block ×8, first 2 shown]
	s_waitcnt vmcnt(36) lgkmcnt(1)
	v_mul_f32_e32 v63, v164, v41
	v_fmac_f32_e32 v63, v165, v39
	v_add_f32_e32 v60, v60, v63
	s_waitcnt vmcnt(35)
	v_mul_f32_e32 v63, v166, v42
	buffer_load_dword v233, off, s[0:3], 0 offset:384
	buffer_load_dword v234, off, s[0:3], 0 offset:388
	v_fmac_f32_e32 v63, v167, v38
	v_add_f32_e32 v60, v60, v63
	s_waitcnt vmcnt(36) lgkmcnt(0)
	v_mul_f32_e32 v63, v168, v43
	v_fmac_f32_e32 v63, v169, v37
	v_add_f32_e32 v60, v60, v63
	s_waitcnt vmcnt(32)
	v_mul_f32_e32 v63, v170, v45
	v_fmac_f32_e32 v63, v171, v44
	ds_read2_b64 v[172:175], v1 offset0:95 offset1:96
	v_add_f32_e32 v60, v60, v63
	buffer_load_dword v63, off, s[0:3], 0 offset:392
	buffer_load_dword v235, off, s[0:3], 0 offset:396
	;; [unrolled: 1-line block ×6, first 2 shown]
	ds_read2_b64 v[176:179], v1 offset0:97 offset1:98
	buffer_load_dword v240, off, s[0:3], 0 offset:416
	buffer_load_dword v241, off, s[0:3], 0 offset:420
	;; [unrolled: 1-line block ×10, first 2 shown]
	s_waitcnt vmcnt(46) lgkmcnt(1)
	v_mul_f32_e32 v180, v172, v47
	v_fmac_f32_e32 v180, v173, v46
	v_add_f32_e32 v60, v60, v180
	s_waitcnt vmcnt(44)
	v_mul_f32_e32 v180, v174, v49
	v_fmac_f32_e32 v180, v175, v48
	v_add_f32_e32 v60, v60, v180
	s_waitcnt vmcnt(42) lgkmcnt(0)
	v_mul_f32_e32 v180, v176, v51
	buffer_load_dword v250, off, s[0:3], 0 offset:456
	buffer_load_dword v251, off, s[0:3], 0 offset:460
	;; [unrolled: 1-line block ×6, first 2 shown]
	v_fmac_f32_e32 v180, v177, v50
	s_waitcnt vmcnt(46)
	v_mul_f32_e32 v184, v178, v53
	v_add_f32_e32 v60, v60, v180
	v_fmac_f32_e32 v184, v179, v52
	ds_read2_b64 v[180:183], v1 offset0:99 offset1:100
	v_add_f32_e32 v60, v60, v184
	ds_read2_b64 v[184:187], v1 offset0:101 offset1:102
	buffer_load_dword v73, off, s[0:3], 0 offset:480
	buffer_load_dword v74, off, s[0:3], 0 offset:484
	v_mul_f32_e32 v10, v17, v10
	v_fma_f32 v10, v16, v28, -v10
	v_mul_f32_e32 v9, v19, v9
	v_add_f32_e32 v10, 0, v10
	v_fma_f32 v9, v18, v27, -v9
	v_mul_f32_e32 v8, v21, v8
	v_add_f32_e32 v9, v10, v9
	;; [unrolled: 3-line block ×6, first 2 shown]
	v_fma_f32 v4, v152, v29, -v4
	v_add_f32_e32 v4, v5, v4
	v_mul_f32_e32 v5, v155, v11
	v_fma_f32 v5, v154, v36, -v5
	v_add_f32_e32 v4, v4, v5
	v_mul_f32_e32 v5, v157, v12
	;; [unrolled: 3-line block ×6, first 2 shown]
	s_waitcnt vmcnt(46) lgkmcnt(1)
	v_mul_f32_e32 v188, v180, v55
	v_fma_f32 v5, v164, v39, -v5
	v_fmac_f32_e32 v188, v181, v54
	v_add_f32_e32 v4, v4, v5
	v_mul_f32_e32 v5, v167, v42
	v_add_f32_e32 v60, v60, v188
	s_waitcnt vmcnt(44)
	v_mul_f32_e32 v188, v182, v57
	v_fma_f32 v5, v166, v38, -v5
	v_fmac_f32_e32 v188, v183, v56
	v_add_f32_e32 v4, v4, v5
	v_mul_f32_e32 v5, v169, v43
	v_add_f32_e32 v60, v60, v188
	s_waitcnt vmcnt(42) lgkmcnt(0)
	v_mul_f32_e32 v188, v184, v59
	v_fma_f32 v5, v168, v37, -v5
	v_fmac_f32_e32 v188, v185, v58
	v_add_f32_e32 v4, v4, v5
	v_mul_f32_e32 v5, v171, v45
	v_add_f32_e32 v60, v60, v188
	ds_read2_b64 v[188:191], v1 offset0:103 offset1:104
	v_fma_f32 v5, v170, v44, -v5
	v_add_f32_e32 v4, v4, v5
	v_mul_f32_e32 v5, v173, v47
	s_waitcnt vmcnt(40)
	v_mul_f32_e32 v192, v186, v62
	v_fma_f32 v5, v172, v46, -v5
	v_fmac_f32_e32 v192, v187, v61
	v_add_f32_e32 v4, v4, v5
	v_mul_f32_e32 v5, v175, v49
	v_add_f32_e32 v60, v60, v192
	ds_read2_b64 v[192:195], v1 offset0:105 offset1:106
	v_fma_f32 v5, v174, v48, -v5
	s_waitcnt vmcnt(38) lgkmcnt(1)
	v_mul_f32_e32 v196, v188, v65
	v_add_f32_e32 v4, v4, v5
	v_mul_f32_e32 v5, v177, v51
	v_fmac_f32_e32 v196, v189, v64
	v_fma_f32 v5, v176, v50, -v5
	v_add_f32_e32 v60, v60, v196
	s_waitcnt vmcnt(37)
	v_mul_f32_e32 v196, v190, v66
	v_add_f32_e32 v4, v4, v5
	v_mul_f32_e32 v5, v179, v53
	s_waitcnt vmcnt(34)
	v_fmac_f32_e32 v196, v191, v69
	v_fma_f32 v5, v178, v52, -v5
	v_add_f32_e32 v60, v60, v196
	s_waitcnt lgkmcnt(0)
	v_mul_f32_e32 v196, v192, v68
	v_add_f32_e32 v4, v4, v5
	v_mul_f32_e32 v5, v181, v55
	v_fmac_f32_e32 v196, v193, v67
	v_fma_f32 v5, v180, v54, -v5
	v_add_f32_e32 v60, v60, v196
	ds_read2_b64 v[196:199], v1 offset0:107 offset1:108
	v_add_f32_e32 v4, v4, v5
	v_mul_f32_e32 v5, v183, v57
	v_fma_f32 v5, v182, v56, -v5
	s_waitcnt vmcnt(32)
	v_mul_f32_e32 v200, v194, v71
	v_add_f32_e32 v4, v4, v5
	v_mul_f32_e32 v5, v185, v59
	v_fmac_f32_e32 v200, v195, v70
	v_fma_f32 v5, v184, v58, -v5
	v_add_f32_e32 v60, v60, v200
	ds_read2_b64 v[200:203], v1 offset0:109 offset1:110
	v_add_f32_e32 v4, v4, v5
	v_mul_f32_e32 v5, v187, v62
	s_waitcnt vmcnt(30) lgkmcnt(1)
	v_mul_f32_e32 v204, v196, v228
	v_fma_f32 v5, v186, v61, -v5
	v_fmac_f32_e32 v204, v197, v72
	v_add_f32_e32 v4, v4, v5
	v_mul_f32_e32 v5, v189, v65
	v_add_f32_e32 v60, v60, v204
	s_waitcnt vmcnt(29)
	v_mul_f32_e32 v204, v198, v229
	v_fma_f32 v5, v188, v64, -v5
	s_waitcnt vmcnt(26)
	v_fmac_f32_e32 v204, v199, v232
	v_add_f32_e32 v4, v4, v5
	v_mul_f32_e32 v5, v191, v66
	v_add_f32_e32 v60, v60, v204
	s_waitcnt lgkmcnt(0)
	v_mul_f32_e32 v204, v200, v231
	v_fma_f32 v5, v190, v69, -v5
	v_fmac_f32_e32 v204, v201, v230
	v_add_f32_e32 v4, v4, v5
	v_mul_f32_e32 v5, v193, v68
	v_add_f32_e32 v60, v60, v204
	ds_read2_b64 v[204:207], v1 offset0:111 offset1:112
	v_fma_f32 v5, v192, v67, -v5
	v_add_f32_e32 v4, v4, v5
	v_mul_f32_e32 v5, v195, v71
	s_waitcnt vmcnt(24)
	v_mul_f32_e32 v208, v202, v234
	v_fma_f32 v5, v194, v70, -v5
	v_fmac_f32_e32 v208, v203, v233
	v_add_f32_e32 v4, v4, v5
	v_mul_f32_e32 v5, v197, v228
	v_add_f32_e32 v60, v60, v208
	ds_read2_b64 v[208:211], v1 offset0:113 offset1:114
	v_fma_f32 v5, v196, v72, -v5
	s_waitcnt vmcnt(22) lgkmcnt(1)
	v_mul_f32_e32 v212, v204, v235
	v_add_f32_e32 v4, v4, v5
	v_mul_f32_e32 v5, v199, v229
	v_fmac_f32_e32 v212, v205, v63
	v_fma_f32 v5, v198, v232, -v5
	v_add_f32_e32 v60, v60, v212
	s_waitcnt vmcnt(21)
	v_mul_f32_e32 v212, v206, v236
	v_add_f32_e32 v4, v4, v5
	v_mul_f32_e32 v5, v201, v231
	s_waitcnt vmcnt(18)
	v_fmac_f32_e32 v212, v207, v239
	v_fma_f32 v5, v200, v230, -v5
	v_add_f32_e32 v60, v60, v212
	s_waitcnt lgkmcnt(0)
	v_mul_f32_e32 v212, v208, v238
	v_add_f32_e32 v4, v4, v5
	v_mul_f32_e32 v5, v203, v234
	v_fmac_f32_e32 v212, v209, v237
	v_fma_f32 v5, v202, v233, -v5
	v_add_f32_e32 v60, v60, v212
	ds_read2_b64 v[212:215], v1 offset0:115 offset1:116
	v_add_f32_e32 v4, v4, v5
	v_mul_f32_e32 v5, v205, v235
	v_fma_f32 v5, v204, v63, -v5
	s_waitcnt vmcnt(16)
	v_mul_f32_e32 v216, v210, v241
	v_add_f32_e32 v4, v4, v5
	v_mul_f32_e32 v5, v207, v236
	v_fmac_f32_e32 v216, v211, v240
	v_fma_f32 v5, v206, v239, -v5
	v_add_f32_e32 v60, v60, v216
	ds_read2_b64 v[216:219], v1 offset0:117 offset1:118
	v_add_f32_e32 v4, v4, v5
	v_mul_f32_e32 v5, v209, v238
	s_waitcnt vmcnt(14) lgkmcnt(1)
	v_mul_f32_e32 v220, v212, v243
	v_fma_f32 v5, v208, v237, -v5
	v_fmac_f32_e32 v220, v213, v242
	v_add_f32_e32 v4, v4, v5
	v_mul_f32_e32 v5, v211, v241
	v_add_f32_e32 v60, v60, v220
	s_waitcnt vmcnt(13)
	v_mul_f32_e32 v220, v214, v244
	v_fma_f32 v5, v210, v240, -v5
	s_waitcnt vmcnt(10)
	v_fmac_f32_e32 v220, v215, v247
	v_add_f32_e32 v4, v4, v5
	v_mul_f32_e32 v5, v213, v243
	v_add_f32_e32 v60, v60, v220
	s_waitcnt lgkmcnt(0)
	v_mul_f32_e32 v220, v216, v246
	v_fma_f32 v5, v212, v242, -v5
	v_fmac_f32_e32 v220, v217, v245
	v_add_f32_e32 v4, v4, v5
	v_mul_f32_e32 v5, v215, v244
	v_add_f32_e32 v60, v60, v220
	ds_read2_b64 v[220:223], v1 offset0:119 offset1:120
	v_fma_f32 v5, v214, v247, -v5
	v_add_f32_e32 v4, v4, v5
	v_mul_f32_e32 v5, v217, v246
	s_waitcnt vmcnt(8)
	v_mul_f32_e32 v224, v218, v249
	v_fma_f32 v5, v216, v245, -v5
	v_fmac_f32_e32 v224, v219, v248
	v_add_f32_e32 v4, v4, v5
	v_mul_f32_e32 v5, v219, v249
	v_add_f32_e32 v60, v60, v224
	ds_read2_b64 v[224:227], v1 offset0:121 offset1:122
	v_fma_f32 v5, v218, v248, -v5
	v_add_f32_e32 v4, v4, v5
	s_waitcnt vmcnt(6) lgkmcnt(1)
	v_mul_f32_e32 v5, v221, v251
	v_mul_f32_e32 v1, v220, v251
	v_fma_f32 v5, v220, v250, -v5
	v_fmac_f32_e32 v1, v221, v250
	v_add_f32_e32 v4, v4, v5
	s_waitcnt vmcnt(5)
	v_mul_f32_e32 v5, v223, v252
	v_add_f32_e32 v1, v60, v1
	v_mul_f32_e32 v60, v222, v252
	s_waitcnt vmcnt(2)
	v_fma_f32 v5, v222, v255, -v5
	v_fmac_f32_e32 v60, v223, v255
	v_add_f32_e32 v4, v4, v5
	s_waitcnt lgkmcnt(0)
	v_mul_f32_e32 v5, v225, v254
	v_add_f32_e32 v1, v1, v60
	v_mul_f32_e32 v60, v224, v254
	v_fma_f32 v5, v224, v253, -v5
	v_fmac_f32_e32 v60, v225, v253
	v_add_f32_e32 v4, v4, v5
	s_waitcnt vmcnt(0)
	v_mul_f32_e32 v5, v227, v74
	v_add_f32_e32 v1, v1, v60
	v_mul_f32_e32 v60, v226, v74
	v_fma_f32 v5, v226, v73, -v5
	v_fmac_f32_e32 v60, v227, v73
	v_add_f32_e32 v4, v4, v5
	v_add_f32_e32 v1, v1, v60
	v_sub_f32_e32 v2, v2, v4
	v_sub_f32_e32 v1, v3, v1
	buffer_store_dword v2, off, s[0:3], 0 offset:128
	buffer_store_dword v1, off, s[0:3], 0 offset:132
	s_and_saveexec_b64 s[4:5], vcc
	s_cbranch_execz .LBB124_349
; %bb.348:
	buffer_load_dword v1, off, s[0:3], 0 offset:120
	buffer_load_dword v2, off, s[0:3], 0 offset:124
	v_mov_b32_e32 v3, 0
	buffer_store_dword v3, off, s[0:3], 0 offset:120
	buffer_store_dword v3, off, s[0:3], 0 offset:124
	s_waitcnt vmcnt(2)
	ds_write_b64 v147, v[1:2]
.LBB124_349:
	s_or_b64 exec, exec, s[4:5]
	s_waitcnt lgkmcnt(0)
	; wave barrier
	buffer_load_dword v24, off, s[0:3], 0 offset:132
	buffer_load_dword v29, off, s[0:3], 0 offset:140
	;; [unrolled: 1-line block ×32, first 2 shown]
	v_mov_b32_e32 v1, 0
	buffer_load_dword v58, off, s[0:3], 0 offset:248
	buffer_load_dword v59, off, s[0:3], 0 offset:252
	;; [unrolled: 1-line block ×16, first 2 shown]
	ds_read_b128 v[4:7], v1 offset:624
	ds_read_b128 v[8:11], v1 offset:640
	;; [unrolled: 1-line block ×7, first 2 shown]
	v_cmp_lt_u32_e32 vcc, 14, v0
	s_waitcnt vmcnt(47) lgkmcnt(6)
	v_mul_f32_e32 v27, v4, v24
	s_waitcnt vmcnt(46)
	v_mul_f32_e32 v28, v6, v29
	s_waitcnt vmcnt(45) lgkmcnt(5)
	v_mul_f32_e32 v74, v8, v30
	s_waitcnt vmcnt(44)
	v_mul_f32_e32 v156, v10, v31
	;; [unrolled: 4-line block ×6, first 2 shown]
	s_waitcnt vmcnt(35)
	v_fmac_f32_e32 v74, v9, v40
	s_waitcnt vmcnt(34)
	v_fmac_f32_e32 v28, v7, v41
	;; [unrolled: 2-line block ×3, first 2 shown]
	v_add_f32_e32 v27, 0, v27
	v_add_f32_e32 v27, v27, v28
	;; [unrolled: 1-line block ×3, first 2 shown]
	s_waitcnt vmcnt(29)
	v_fmac_f32_e32 v156, v11, v46
	v_fmac_f32_e32 v157, v13, v45
	v_add_f32_e32 v27, v27, v156
	v_fmac_f32_e32 v158, v15, v44
	v_add_f32_e32 v27, v27, v157
	;; [unrolled: 2-line block ×3, first 2 shown]
	v_add_f32_e32 v27, v27, v159
	ds_read_b128 v[156:159], v1 offset:736
	buffer_load_dword v74, off, s[0:3], 0 offset:312
	buffer_load_dword v216, off, s[0:3], 0 offset:316
	;; [unrolled: 1-line block ×10, first 2 shown]
	s_waitcnt vmcnt(35)
	v_fmac_f32_e32 v160, v19, v50
	v_fmac_f32_e32 v161, v21, v49
	v_add_f32_e32 v27, v27, v160
	buffer_load_dword v225, off, s[0:3], 0 offset:352
	buffer_load_dword v226, off, s[0:3], 0 offset:356
	;; [unrolled: 1-line block ×6, first 2 shown]
	v_fmac_f32_e32 v162, v23, v48
	v_add_f32_e32 v27, v27, v161
	v_fmac_f32_e32 v163, v149, v47
	v_add_f32_e32 v27, v27, v162
	v_add_f32_e32 v27, v27, v163
	ds_read_b128 v[160:163], v1 offset:752
	buffer_load_dword v231, off, s[0:3], 0 offset:376
	buffer_load_dword v232, off, s[0:3], 0 offset:380
	s_waitcnt vmcnt(39)
	v_fmac_f32_e32 v164, v151, v54
	v_add_f32_e32 v27, v27, v164
	ds_read_b128 v[164:167], v1 offset:768
	buffer_load_dword v233, off, s[0:3], 0 offset:384
	buffer_load_dword v234, off, s[0:3], 0 offset:388
	;; [unrolled: 1-line block ×16, first 2 shown]
	v_mul_f32_e32 v5, v5, v24
	ds_read_b128 v[168:171], v1 offset:784
	buffer_load_dword v249, off, s[0:3], 0 offset:448
	buffer_load_dword v250, off, s[0:3], 0 offset:452
	;; [unrolled: 1-line block ×6, first 2 shown]
	v_fma_f32 v4, v4, v42, -v5
	v_mul_f32_e32 v5, v7, v29
	v_add_f32_e32 v4, 0, v4
	v_fma_f32 v5, v6, v41, -v5
	v_add_f32_e32 v4, v4, v5
	v_mul_f32_e32 v5, v9, v30
	v_fma_f32 v5, v8, v40, -v5
	v_add_f32_e32 v4, v4, v5
	v_mul_f32_e32 v5, v11, v31
	ds_read_b128 v[172:175], v1 offset:800
	buffer_load_dword v255, off, s[0:3], 0 offset:476
	buffer_load_dword v75, off, s[0:3], 0 offset:480
	;; [unrolled: 1-line block ×4, first 2 shown]
	v_fma_f32 v5, v10, v46, -v5
	v_add_f32_e32 v4, v4, v5
	v_mul_f32_e32 v5, v13, v32
	v_fma_f32 v5, v12, v45, -v5
	v_add_f32_e32 v4, v4, v5
	v_mul_f32_e32 v5, v15, v33
	;; [unrolled: 3-line block ×8, first 2 shown]
	s_waitcnt vmcnt(62) lgkmcnt(5)
	v_mul_f32_e32 v28, v152, v55
	v_fma_f32 v5, v150, v54, -v5
	v_fmac_f32_e32 v28, v153, v53
	v_add_f32_e32 v4, v4, v5
	v_mul_f32_e32 v5, v153, v55
	v_add_f32_e32 v27, v27, v28
	v_mul_f32_e32 v28, v154, v56
	v_fma_f32 v5, v152, v53, -v5
	v_fmac_f32_e32 v28, v155, v52
	v_add_f32_e32 v4, v4, v5
	v_mul_f32_e32 v5, v155, v56
	v_add_f32_e32 v27, v27, v28
	s_waitcnt lgkmcnt(4)
	v_mul_f32_e32 v28, v156, v57
	v_fma_f32 v5, v154, v52, -v5
	v_fmac_f32_e32 v28, v157, v51
	v_add_f32_e32 v4, v4, v5
	v_mul_f32_e32 v5, v157, v57
	v_add_f32_e32 v27, v27, v28
	s_waitcnt vmcnt(58)
	v_mul_f32_e32 v28, v158, v59
	v_fma_f32 v5, v156, v51, -v5
	v_fmac_f32_e32 v28, v159, v58
	v_add_f32_e32 v4, v4, v5
	v_mul_f32_e32 v5, v159, v59
	v_add_f32_e32 v27, v27, v28
	s_waitcnt vmcnt(56) lgkmcnt(3)
	v_mul_f32_e32 v28, v160, v61
	v_fma_f32 v5, v158, v58, -v5
	v_fmac_f32_e32 v28, v161, v60
	v_add_f32_e32 v4, v4, v5
	v_mul_f32_e32 v5, v161, v61
	v_add_f32_e32 v27, v27, v28
	s_waitcnt vmcnt(54)
	v_mul_f32_e32 v28, v162, v63
	v_fma_f32 v5, v160, v60, -v5
	v_fmac_f32_e32 v28, v163, v62
	v_add_f32_e32 v4, v4, v5
	v_mul_f32_e32 v5, v163, v63
	v_add_f32_e32 v27, v27, v28
	s_waitcnt vmcnt(52) lgkmcnt(2)
	;; [unrolled: 14-line block ×3, first 2 shown]
	v_mul_f32_e32 v28, v168, v69
	v_fma_f32 v5, v166, v66, -v5
	v_fmac_f32_e32 v28, v169, v68
	v_add_f32_e32 v4, v4, v5
	v_mul_f32_e32 v5, v169, v69
	v_add_f32_e32 v27, v27, v28
	s_waitcnt vmcnt(46)
	v_mul_f32_e32 v28, v170, v71
	v_fma_f32 v5, v168, v68, -v5
	v_fmac_f32_e32 v28, v171, v70
	ds_read_b128 v[176:179], v1 offset:816
	ds_read_b128 v[180:183], v1 offset:832
	v_add_f32_e32 v4, v4, v5
	v_mul_f32_e32 v5, v171, v71
	v_add_f32_e32 v27, v27, v28
	s_waitcnt vmcnt(44) lgkmcnt(2)
	v_mul_f32_e32 v28, v172, v73
	v_fma_f32 v5, v170, v70, -v5
	v_fmac_f32_e32 v28, v173, v72
	v_add_f32_e32 v4, v4, v5
	v_mul_f32_e32 v5, v173, v73
	v_add_f32_e32 v27, v27, v28
	s_waitcnt vmcnt(42)
	v_mul_f32_e32 v28, v174, v216
	v_fma_f32 v5, v172, v72, -v5
	v_fmac_f32_e32 v28, v175, v74
	v_add_f32_e32 v4, v4, v5
	v_mul_f32_e32 v5, v175, v216
	v_add_f32_e32 v27, v27, v28
	s_waitcnt vmcnt(40) lgkmcnt(1)
	v_mul_f32_e32 v28, v176, v218
	v_fma_f32 v5, v174, v74, -v5
	v_fmac_f32_e32 v28, v177, v217
	v_add_f32_e32 v4, v4, v5
	v_mul_f32_e32 v5, v177, v218
	v_add_f32_e32 v27, v27, v28
	s_waitcnt vmcnt(39)
	v_mul_f32_e32 v28, v178, v219
	v_fma_f32 v5, v176, v217, -v5
	s_waitcnt vmcnt(36)
	v_fmac_f32_e32 v28, v179, v222
	ds_read_b128 v[184:187], v1 offset:848
	ds_read_b128 v[188:191], v1 offset:864
	v_add_f32_e32 v4, v4, v5
	v_mul_f32_e32 v5, v179, v219
	v_add_f32_e32 v27, v27, v28
	s_waitcnt lgkmcnt(2)
	v_mul_f32_e32 v28, v180, v221
	v_fma_f32 v5, v178, v222, -v5
	v_fmac_f32_e32 v28, v181, v220
	v_add_f32_e32 v4, v4, v5
	v_mul_f32_e32 v5, v181, v221
	v_add_f32_e32 v27, v27, v28
	s_waitcnt vmcnt(34)
	v_mul_f32_e32 v28, v182, v224
	v_fma_f32 v5, v180, v220, -v5
	v_fmac_f32_e32 v28, v183, v223
	v_add_f32_e32 v4, v4, v5
	v_mul_f32_e32 v5, v183, v224
	v_add_f32_e32 v27, v27, v28
	s_waitcnt vmcnt(32) lgkmcnt(1)
	v_mul_f32_e32 v28, v184, v226
	v_fma_f32 v5, v182, v223, -v5
	v_fmac_f32_e32 v28, v185, v225
	v_add_f32_e32 v4, v4, v5
	v_mul_f32_e32 v5, v185, v226
	v_add_f32_e32 v27, v27, v28
	s_waitcnt vmcnt(31)
	v_mul_f32_e32 v28, v186, v227
	v_fma_f32 v5, v184, v225, -v5
	s_waitcnt vmcnt(28)
	v_fmac_f32_e32 v28, v187, v230
	ds_read_b128 v[192:195], v1 offset:880
	ds_read_b128 v[196:199], v1 offset:896
	v_add_f32_e32 v4, v4, v5
	v_mul_f32_e32 v5, v187, v227
	v_add_f32_e32 v27, v27, v28
	s_waitcnt lgkmcnt(2)
	;; [unrolled: 31-line block ×4, first 2 shown]
	v_mul_f32_e32 v28, v204, v245
	v_fma_f32 v5, v202, v246, -v5
	v_fmac_f32_e32 v28, v205, v244
	v_add_f32_e32 v4, v4, v5
	v_mul_f32_e32 v5, v205, v245
	v_add_f32_e32 v27, v27, v28
	s_waitcnt vmcnt(10)
	v_mul_f32_e32 v28, v206, v248
	v_fma_f32 v5, v204, v244, -v5
	v_fmac_f32_e32 v28, v207, v247
	v_add_f32_e32 v4, v4, v5
	v_mul_f32_e32 v5, v207, v248
	v_add_f32_e32 v27, v27, v28
	s_waitcnt vmcnt(8) lgkmcnt(1)
	v_mul_f32_e32 v28, v208, v250
	v_fma_f32 v5, v206, v247, -v5
	v_fmac_f32_e32 v28, v209, v249
	v_add_f32_e32 v4, v4, v5
	v_mul_f32_e32 v5, v209, v250
	v_add_f32_e32 v27, v27, v28
	s_waitcnt vmcnt(7)
	v_mul_f32_e32 v28, v210, v251
	v_fma_f32 v5, v208, v249, -v5
	s_waitcnt vmcnt(4)
	v_fmac_f32_e32 v28, v211, v254
	v_add_f32_e32 v4, v4, v5
	v_mul_f32_e32 v5, v211, v251
	v_add_f32_e32 v78, v27, v28
	ds_read_b64 v[27:28], v1 offset:976
	v_fma_f32 v5, v210, v254, -v5
	v_add_f32_e32 v4, v4, v5
	s_waitcnt lgkmcnt(1)
	v_mul_f32_e32 v5, v213, v253
	v_mul_f32_e32 v79, v212, v253
	v_fma_f32 v5, v212, v252, -v5
	v_fmac_f32_e32 v79, v213, v252
	v_add_f32_e32 v4, v4, v5
	s_waitcnt vmcnt(3)
	v_mul_f32_e32 v5, v215, v255
	v_add_f32_e32 v78, v78, v79
	v_mul_f32_e32 v79, v214, v255
	s_waitcnt vmcnt(0)
	v_fma_f32 v5, v214, v77, -v5
	v_fmac_f32_e32 v79, v215, v77
	v_add_f32_e32 v4, v4, v5
	s_waitcnt lgkmcnt(0)
	v_mul_f32_e32 v5, v28, v76
	v_add_f32_e32 v78, v78, v79
	v_mul_f32_e32 v79, v27, v76
	v_fma_f32 v5, v27, v75, -v5
	v_fmac_f32_e32 v79, v28, v75
	v_add_f32_e32 v4, v4, v5
	v_add_f32_e32 v78, v78, v79
	v_sub_f32_e32 v2, v2, v4
	v_sub_f32_e32 v3, v3, v78
	buffer_store_dword v2, off, s[0:3], 0 offset:120
	buffer_store_dword v3, off, s[0:3], 0 offset:124
	s_and_saveexec_b64 s[4:5], vcc
	s_cbranch_execz .LBB124_351
; %bb.350:
	buffer_load_dword v2, off, s[0:3], 0 offset:112
	buffer_load_dword v3, off, s[0:3], 0 offset:116
	s_waitcnt vmcnt(0)
	ds_write_b64 v147, v[2:3]
	buffer_store_dword v1, off, s[0:3], 0 offset:112
	buffer_store_dword v1, off, s[0:3], 0 offset:116
.LBB124_351:
	s_or_b64 exec, exec, s[4:5]
	s_waitcnt lgkmcnt(0)
	; wave barrier
	buffer_load_dword v10, off, s[0:3], 0 offset:124
	buffer_load_dword v9, off, s[0:3], 0 offset:132
	;; [unrolled: 1-line block ×33, first 2 shown]
	ds_read2_b64 v[11:14], v1 offset0:77 offset1:78
	ds_read2_b64 v[15:18], v1 offset0:79 offset1:80
	;; [unrolled: 1-line block ×6, first 2 shown]
	buffer_load_dword v49, off, s[0:3], 0 offset:240
	buffer_load_dword v50, off, s[0:3], 0 offset:252
	;; [unrolled: 1-line block ×7, first 2 shown]
	ds_read2_b64 v[160:163], v1 offset0:89 offset1:90
	ds_read2_b64 v[164:167], v1 offset0:91 offset1:92
	buffer_load_dword v56, off, s[0:3], 0 offset:272
	buffer_load_dword v57, off, s[0:3], 0 offset:276
	;; [unrolled: 1-line block ×8, first 2 shown]
	v_cmp_lt_u32_e32 vcc, 13, v0
	s_waitcnt vmcnt(47) lgkmcnt(7)
	v_mul_f32_e32 v64, v11, v10
	s_waitcnt vmcnt(46)
	v_mul_f32_e32 v65, v13, v9
	s_waitcnt vmcnt(45) lgkmcnt(6)
	v_mul_f32_e32 v66, v15, v8
	s_waitcnt vmcnt(44)
	v_mul_f32_e32 v67, v17, v7
	;; [unrolled: 4-line block ×6, first 2 shown]
	s_waitcnt vmcnt(35)
	v_fmac_f32_e32 v66, v16, v30
	s_waitcnt vmcnt(34)
	v_fmac_f32_e32 v65, v14, v31
	;; [unrolled: 2-line block ×3, first 2 shown]
	v_add_f32_e32 v64, 0, v64
	v_add_f32_e32 v64, v64, v65
	;; [unrolled: 1-line block ×3, first 2 shown]
	s_waitcnt vmcnt(29)
	v_fmac_f32_e32 v67, v18, v36
	v_fmac_f32_e32 v68, v20, v35
	v_add_f32_e32 v64, v64, v67
	v_fmac_f32_e32 v69, v22, v34
	v_add_f32_e32 v64, v64, v68
	;; [unrolled: 2-line block ×3, first 2 shown]
	s_waitcnt vmcnt(25)
	v_fmac_f32_e32 v71, v151, v40
	v_add_f32_e32 v64, v64, v70
	v_fmac_f32_e32 v72, v153, v39
	v_add_f32_e32 v64, v64, v71
	;; [unrolled: 2-line block ×4, first 2 shown]
	s_waitcnt vmcnt(21)
	v_fmac_f32_e32 v75, v159, v44
	v_add_f32_e32 v64, v64, v74
	s_waitcnt vmcnt(20) lgkmcnt(1)
	v_mul_f32_e32 v65, v160, v45
	v_add_f32_e32 v64, v64, v75
	v_fmac_f32_e32 v65, v161, v43
	v_add_f32_e32 v64, v64, v65
	buffer_load_dword v65, off, s[0:3], 0 offset:304
	buffer_load_dword v66, off, s[0:3], 0 offset:308
	;; [unrolled: 1-line block ×8, first 2 shown]
	s_waitcnt vmcnt(27)
	v_mul_f32_e32 v67, v162, v46
	v_fmac_f32_e32 v67, v163, v42
	v_add_f32_e32 v64, v64, v67
	s_waitcnt vmcnt(26) lgkmcnt(0)
	v_mul_f32_e32 v67, v164, v47
	v_fmac_f32_e32 v67, v165, v41
	v_add_f32_e32 v64, v64, v67
	buffer_load_dword v67, off, s[0:3], 0 offset:336
	buffer_load_dword v74, off, s[0:3], 0 offset:340
	ds_read2_b64 v[168:171], v1 offset0:93 offset1:94
	buffer_load_dword v76, off, s[0:3], 0 offset:344
	buffer_load_dword v77, off, s[0:3], 0 offset:348
	;; [unrolled: 1-line block ×6, first 2 shown]
	ds_read2_b64 v[172:175], v1 offset0:95 offset1:96
	buffer_load_dword v229, off, s[0:3], 0 offset:368
	buffer_load_dword v230, off, s[0:3], 0 offset:372
	s_waitcnt vmcnt(35)
	v_mul_f32_e32 v75, v166, v48
	s_waitcnt vmcnt(32)
	v_fmac_f32_e32 v75, v167, v49
	v_add_f32_e32 v64, v64, v75
	s_waitcnt vmcnt(31) lgkmcnt(1)
	v_mul_f32_e32 v75, v168, v50
	s_waitcnt vmcnt(26)
	v_fmac_f32_e32 v75, v169, v55
	v_add_f32_e32 v64, v64, v75
	buffer_load_dword v75, off, s[0:3], 0 offset:376
	buffer_load_dword v231, off, s[0:3], 0 offset:380
	;; [unrolled: 1-line block ×14, first 2 shown]
	v_mul_f32_e32 v176, v170, v52
	v_fmac_f32_e32 v176, v171, v51
	v_add_f32_e32 v64, v64, v176
	s_waitcnt lgkmcnt(0)
	v_mul_f32_e32 v176, v172, v54
	v_fmac_f32_e32 v176, v173, v53
	v_add_f32_e32 v64, v64, v176
	ds_read2_b64 v[176:179], v1 offset0:97 offset1:98
	buffer_load_dword v244, off, s[0:3], 0 offset:432
	buffer_load_dword v245, off, s[0:3], 0 offset:436
	s_waitcnt vmcnt(40)
	v_mul_f32_e32 v180, v174, v57
	v_fmac_f32_e32 v180, v175, v56
	v_add_f32_e32 v64, v64, v180
	ds_read2_b64 v[180:183], v1 offset0:99 offset1:100
	buffer_load_dword v246, off, s[0:3], 0 offset:440
	buffer_load_dword v247, off, s[0:3], 0 offset:444
	;; [unrolled: 1-line block ×6, first 2 shown]
	v_mul_f32_e32 v10, v12, v10
	v_fma_f32 v10, v11, v32, -v10
	v_mul_f32_e32 v9, v14, v9
	v_add_f32_e32 v10, 0, v10
	v_fma_f32 v9, v13, v31, -v9
	v_mul_f32_e32 v8, v16, v8
	buffer_load_dword v252, off, s[0:3], 0 offset:464
	buffer_load_dword v253, off, s[0:3], 0 offset:468
	;; [unrolled: 1-line block ×6, first 2 shown]
	v_add_f32_e32 v9, v10, v9
	v_fma_f32 v8, v15, v30, -v8
	v_mul_f32_e32 v7, v18, v7
	v_add_f32_e32 v8, v9, v8
	v_fma_f32 v7, v17, v36, -v7
	v_mul_f32_e32 v6, v20, v6
	;; [unrolled: 3-line block ×4, first 2 shown]
	v_add_f32_e32 v5, v6, v5
	v_fma_f32 v4, v148, v33, -v4
	v_add_f32_e32 v4, v5, v4
	v_mul_f32_e32 v5, v151, v23
	v_fma_f32 v5, v150, v40, -v5
	v_add_f32_e32 v4, v4, v5
	v_mul_f32_e32 v5, v153, v24
	;; [unrolled: 3-line block ×5, first 2 shown]
	v_fma_f32 v5, v158, v44, -v5
	s_waitcnt vmcnt(50) lgkmcnt(1)
	v_mul_f32_e32 v184, v176, v59
	v_add_f32_e32 v4, v4, v5
	v_mul_f32_e32 v5, v161, v45
	v_fmac_f32_e32 v184, v177, v58
	v_fma_f32 v5, v160, v43, -v5
	v_add_f32_e32 v64, v64, v184
	s_waitcnt vmcnt(48)
	v_mul_f32_e32 v184, v178, v61
	v_add_f32_e32 v4, v4, v5
	v_mul_f32_e32 v5, v163, v46
	v_fmac_f32_e32 v184, v179, v60
	v_fma_f32 v5, v162, v42, -v5
	v_add_f32_e32 v64, v64, v184
	s_waitcnt vmcnt(46) lgkmcnt(0)
	v_mul_f32_e32 v184, v180, v63
	v_add_f32_e32 v4, v4, v5
	v_mul_f32_e32 v5, v165, v47
	v_fmac_f32_e32 v184, v181, v62
	v_fma_f32 v5, v164, v41, -v5
	v_add_f32_e32 v64, v64, v184
	ds_read2_b64 v[184:187], v1 offset0:101 offset1:102
	v_add_f32_e32 v4, v4, v5
	v_mul_f32_e32 v5, v167, v48
	v_fma_f32 v5, v166, v49, -v5
	s_waitcnt vmcnt(44)
	v_mul_f32_e32 v188, v182, v66
	v_add_f32_e32 v4, v4, v5
	v_mul_f32_e32 v5, v169, v50
	v_fmac_f32_e32 v188, v183, v65
	v_fma_f32 v5, v168, v55, -v5
	v_add_f32_e32 v64, v64, v188
	ds_read2_b64 v[188:191], v1 offset0:103 offset1:104
	v_add_f32_e32 v4, v4, v5
	v_mul_f32_e32 v5, v171, v52
	s_waitcnt vmcnt(42) lgkmcnt(1)
	v_mul_f32_e32 v192, v184, v69
	v_fma_f32 v5, v170, v51, -v5
	v_fmac_f32_e32 v192, v185, v68
	v_add_f32_e32 v4, v4, v5
	v_mul_f32_e32 v5, v173, v54
	v_add_f32_e32 v64, v64, v192
	s_waitcnt vmcnt(41)
	v_mul_f32_e32 v192, v186, v70
	v_fma_f32 v5, v172, v53, -v5
	s_waitcnt vmcnt(38)
	v_fmac_f32_e32 v192, v187, v73
	v_add_f32_e32 v4, v4, v5
	v_mul_f32_e32 v5, v175, v57
	v_add_f32_e32 v64, v64, v192
	s_waitcnt lgkmcnt(0)
	v_mul_f32_e32 v192, v188, v72
	v_fma_f32 v5, v174, v56, -v5
	v_fmac_f32_e32 v192, v189, v71
	v_add_f32_e32 v4, v4, v5
	v_mul_f32_e32 v5, v177, v59
	v_add_f32_e32 v64, v64, v192
	ds_read2_b64 v[192:195], v1 offset0:105 offset1:106
	v_fma_f32 v5, v176, v58, -v5
	v_add_f32_e32 v4, v4, v5
	v_mul_f32_e32 v5, v179, v61
	s_waitcnt vmcnt(36)
	v_mul_f32_e32 v196, v190, v74
	v_fma_f32 v5, v178, v60, -v5
	v_fmac_f32_e32 v196, v191, v67
	v_add_f32_e32 v4, v4, v5
	v_mul_f32_e32 v5, v181, v63
	v_add_f32_e32 v64, v64, v196
	ds_read2_b64 v[196:199], v1 offset0:107 offset1:108
	v_fma_f32 v5, v180, v62, -v5
	s_waitcnt vmcnt(34) lgkmcnt(1)
	v_mul_f32_e32 v200, v192, v77
	v_add_f32_e32 v4, v4, v5
	v_mul_f32_e32 v5, v183, v66
	v_fmac_f32_e32 v200, v193, v76
	v_fma_f32 v5, v182, v65, -v5
	v_add_f32_e32 v64, v64, v200
	s_waitcnt vmcnt(33)
	v_mul_f32_e32 v200, v194, v78
	v_add_f32_e32 v4, v4, v5
	v_mul_f32_e32 v5, v185, v69
	s_waitcnt vmcnt(30)
	v_fmac_f32_e32 v200, v195, v228
	v_fma_f32 v5, v184, v68, -v5
	v_add_f32_e32 v64, v64, v200
	s_waitcnt lgkmcnt(0)
	v_mul_f32_e32 v200, v196, v80
	v_add_f32_e32 v4, v4, v5
	v_mul_f32_e32 v5, v187, v70
	v_fmac_f32_e32 v200, v197, v79
	v_fma_f32 v5, v186, v73, -v5
	v_add_f32_e32 v64, v64, v200
	ds_read2_b64 v[200:203], v1 offset0:109 offset1:110
	v_add_f32_e32 v4, v4, v5
	v_mul_f32_e32 v5, v189, v72
	v_fma_f32 v5, v188, v71, -v5
	s_waitcnt vmcnt(28)
	v_mul_f32_e32 v204, v198, v230
	v_add_f32_e32 v4, v4, v5
	v_mul_f32_e32 v5, v191, v74
	v_fmac_f32_e32 v204, v199, v229
	v_fma_f32 v5, v190, v67, -v5
	v_add_f32_e32 v64, v64, v204
	ds_read2_b64 v[204:207], v1 offset0:111 offset1:112
	v_add_f32_e32 v4, v4, v5
	v_mul_f32_e32 v5, v193, v77
	s_waitcnt vmcnt(26) lgkmcnt(1)
	v_mul_f32_e32 v208, v200, v231
	v_fma_f32 v5, v192, v76, -v5
	v_fmac_f32_e32 v208, v201, v75
	v_add_f32_e32 v4, v4, v5
	v_mul_f32_e32 v5, v195, v78
	v_add_f32_e32 v64, v64, v208
	s_waitcnt vmcnt(25)
	v_mul_f32_e32 v208, v202, v232
	v_fma_f32 v5, v194, v228, -v5
	s_waitcnt vmcnt(22)
	v_fmac_f32_e32 v208, v203, v235
	v_add_f32_e32 v4, v4, v5
	v_mul_f32_e32 v5, v197, v80
	v_add_f32_e32 v64, v64, v208
	s_waitcnt lgkmcnt(0)
	v_mul_f32_e32 v208, v204, v234
	v_fma_f32 v5, v196, v79, -v5
	v_fmac_f32_e32 v208, v205, v233
	v_add_f32_e32 v4, v4, v5
	v_mul_f32_e32 v5, v199, v230
	v_add_f32_e32 v64, v64, v208
	ds_read2_b64 v[208:211], v1 offset0:113 offset1:114
	v_fma_f32 v5, v198, v229, -v5
	v_add_f32_e32 v4, v4, v5
	v_mul_f32_e32 v5, v201, v231
	s_waitcnt vmcnt(20)
	v_mul_f32_e32 v212, v206, v237
	v_fma_f32 v5, v200, v75, -v5
	v_fmac_f32_e32 v212, v207, v236
	v_add_f32_e32 v4, v4, v5
	v_mul_f32_e32 v5, v203, v232
	v_add_f32_e32 v64, v64, v212
	ds_read2_b64 v[212:215], v1 offset0:115 offset1:116
	v_fma_f32 v5, v202, v235, -v5
	s_waitcnt vmcnt(18) lgkmcnt(1)
	v_mul_f32_e32 v216, v208, v239
	v_add_f32_e32 v4, v4, v5
	v_mul_f32_e32 v5, v205, v234
	v_fmac_f32_e32 v216, v209, v238
	v_fma_f32 v5, v204, v233, -v5
	v_add_f32_e32 v64, v64, v216
	s_waitcnt vmcnt(17)
	v_mul_f32_e32 v216, v210, v240
	v_add_f32_e32 v4, v4, v5
	v_mul_f32_e32 v5, v207, v237
	s_waitcnt vmcnt(14)
	v_fmac_f32_e32 v216, v211, v243
	v_fma_f32 v5, v206, v236, -v5
	v_add_f32_e32 v64, v64, v216
	s_waitcnt lgkmcnt(0)
	v_mul_f32_e32 v216, v212, v242
	v_add_f32_e32 v4, v4, v5
	v_mul_f32_e32 v5, v209, v239
	v_fmac_f32_e32 v216, v213, v241
	v_fma_f32 v5, v208, v238, -v5
	v_add_f32_e32 v64, v64, v216
	ds_read2_b64 v[216:219], v1 offset0:117 offset1:118
	v_add_f32_e32 v4, v4, v5
	v_mul_f32_e32 v5, v211, v240
	v_fma_f32 v5, v210, v243, -v5
	v_add_f32_e32 v4, v4, v5
	v_mul_f32_e32 v5, v213, v242
	s_waitcnt vmcnt(12)
	v_mul_f32_e32 v220, v214, v245
	v_fma_f32 v5, v212, v241, -v5
	v_fmac_f32_e32 v220, v215, v244
	v_add_f32_e32 v4, v4, v5
	v_mul_f32_e32 v5, v215, v245
	v_add_f32_e32 v64, v64, v220
	ds_read2_b64 v[220:223], v1 offset0:119 offset1:120
	s_waitcnt vmcnt(10) lgkmcnt(1)
	v_mul_f32_e32 v224, v216, v247
	v_fma_f32 v5, v214, v244, -v5
	v_fmac_f32_e32 v224, v217, v246
	v_add_f32_e32 v4, v4, v5
	v_mul_f32_e32 v5, v217, v247
	v_add_f32_e32 v64, v64, v224
	s_waitcnt vmcnt(9)
	v_mul_f32_e32 v224, v218, v248
	v_fma_f32 v5, v216, v246, -v5
	s_waitcnt vmcnt(6)
	v_fmac_f32_e32 v224, v219, v251
	v_add_f32_e32 v4, v4, v5
	v_mul_f32_e32 v5, v219, v248
	v_add_f32_e32 v64, v64, v224
	ds_read2_b64 v[224:227], v1 offset0:121 offset1:122
	v_fma_f32 v5, v218, v251, -v5
	v_add_f32_e32 v4, v4, v5
	s_waitcnt lgkmcnt(1)
	v_mul_f32_e32 v5, v221, v250
	v_mul_f32_e32 v83, v220, v250
	v_fma_f32 v5, v220, v249, -v5
	v_fmac_f32_e32 v83, v221, v249
	v_add_f32_e32 v4, v4, v5
	s_waitcnt vmcnt(4)
	v_mul_f32_e32 v5, v223, v253
	v_add_f32_e32 v1, v64, v83
	v_mul_f32_e32 v64, v222, v253
	v_fma_f32 v5, v222, v252, -v5
	v_fmac_f32_e32 v64, v223, v252
	v_add_f32_e32 v4, v4, v5
	s_waitcnt vmcnt(3) lgkmcnt(0)
	v_mul_f32_e32 v5, v225, v254
	v_add_f32_e32 v1, v1, v64
	v_mul_f32_e32 v64, v224, v254
	s_waitcnt vmcnt(0)
	v_fma_f32 v5, v224, v82, -v5
	v_fmac_f32_e32 v64, v225, v82
	v_add_f32_e32 v4, v4, v5
	v_mul_f32_e32 v5, v227, v81
	v_add_f32_e32 v1, v1, v64
	v_mul_f32_e32 v64, v226, v81
	v_fma_f32 v5, v226, v255, -v5
	v_fmac_f32_e32 v64, v227, v255
	v_add_f32_e32 v4, v4, v5
	v_add_f32_e32 v1, v1, v64
	v_sub_f32_e32 v2, v2, v4
	v_sub_f32_e32 v1, v3, v1
	buffer_store_dword v2, off, s[0:3], 0 offset:112
	buffer_store_dword v1, off, s[0:3], 0 offset:116
	s_and_saveexec_b64 s[4:5], vcc
	s_cbranch_execz .LBB124_353
; %bb.352:
	buffer_load_dword v1, off, s[0:3], 0 offset:104
	buffer_load_dword v2, off, s[0:3], 0 offset:108
	v_mov_b32_e32 v3, 0
	buffer_store_dword v3, off, s[0:3], 0 offset:104
	buffer_store_dword v3, off, s[0:3], 0 offset:108
	s_waitcnt vmcnt(2)
	ds_write_b64 v147, v[1:2]
.LBB124_353:
	s_or_b64 exec, exec, s[4:5]
	s_waitcnt lgkmcnt(0)
	; wave barrier
	buffer_load_dword v8, off, s[0:3], 0 offset:116
	buffer_load_dword v7, off, s[0:3], 0 offset:124
	;; [unrolled: 1-line block ×40, first 2 shown]
	v_mov_b32_e32 v1, 0
	buffer_load_dword v58, off, s[0:3], 0 offset:264
	buffer_load_dword v59, off, s[0:3], 0 offset:268
	;; [unrolled: 1-line block ×8, first 2 shown]
	ds_read_b128 v[11:14], v1 offset:608
	ds_read_b128 v[15:18], v1 offset:624
	;; [unrolled: 1-line block ×8, first 2 shown]
	v_cmp_lt_u32_e32 vcc, 12, v0
	s_waitcnt vmcnt(47) lgkmcnt(7)
	v_mul_f32_e32 v23, v11, v8
	s_waitcnt vmcnt(46)
	v_mul_f32_e32 v24, v13, v7
	s_waitcnt vmcnt(45) lgkmcnt(6)
	v_mul_f32_e32 v66, v15, v6
	s_waitcnt vmcnt(44)
	v_mul_f32_e32 v67, v17, v5
	;; [unrolled: 4-line block ×6, first 2 shown]
	s_waitcnt vmcnt(35)
	v_fmac_f32_e32 v66, v16, v32
	s_waitcnt vmcnt(34)
	v_fmac_f32_e32 v24, v14, v33
	;; [unrolled: 2-line block ×3, first 2 shown]
	v_add_f32_e32 v23, 0, v23
	v_add_f32_e32 v23, v23, v24
	;; [unrolled: 1-line block ×3, first 2 shown]
	s_waitcnt vmcnt(29)
	v_fmac_f32_e32 v67, v18, v38
	v_fmac_f32_e32 v68, v20, v37
	v_add_f32_e32 v23, v23, v67
	v_fmac_f32_e32 v69, v22, v36
	v_add_f32_e32 v23, v23, v68
	buffer_load_dword v66, off, s[0:3], 0 offset:296
	buffer_load_dword v67, off, s[0:3], 0 offset:300
	v_fmac_f32_e32 v70, v149, v35
	v_add_f32_e32 v23, v23, v69
	s_waitcnt vmcnt(27)
	v_fmac_f32_e32 v71, v151, v42
	v_add_f32_e32 v23, v23, v70
	v_fmac_f32_e32 v72, v153, v41
	v_add_f32_e32 v23, v23, v71
	;; [unrolled: 2-line block ×3, first 2 shown]
	v_add_f32_e32 v23, v23, v73
	buffer_load_dword v68, off, s[0:3], 0 offset:304
	buffer_load_dword v69, off, s[0:3], 0 offset:308
	;; [unrolled: 1-line block ×6, first 2 shown]
	v_fmac_f32_e32 v74, v157, v39
	s_waitcnt vmcnt(29)
	v_fmac_f32_e32 v75, v159, v46
	v_add_f32_e32 v23, v23, v74
	v_add_f32_e32 v23, v23, v75
	buffer_load_dword v74, off, s[0:3], 0 offset:328
	buffer_load_dword v75, off, s[0:3], 0 offset:332
	ds_read_b128 v[168:171], v1 offset:736
	buffer_load_dword v76, off, s[0:3], 0 offset:336
	buffer_load_dword v77, off, s[0:3], 0 offset:340
	;; [unrolled: 1-line block ×6, first 2 shown]
	ds_read_b128 v[172:175], v1 offset:752
	buffer_load_dword v82, off, s[0:3], 0 offset:360
	buffer_load_dword v83, off, s[0:3], 0 offset:364
	;; [unrolled: 1-line block ×10, first 2 shown]
	ds_read_b128 v[176:179], v1 offset:768
	buffer_load_dword v235, off, s[0:3], 0 offset:400
	buffer_load_dword v236, off, s[0:3], 0 offset:404
	;; [unrolled: 1-line block ×6, first 2 shown]
	ds_read_b128 v[180:183], v1 offset:784
	buffer_load_dword v241, off, s[0:3], 0 offset:424
	buffer_load_dword v242, off, s[0:3], 0 offset:428
	;; [unrolled: 1-line block ×10, first 2 shown]
	v_mul_f32_e32 v8, v12, v8
	v_fma_f32 v8, v11, v34, -v8
	v_mul_f32_e32 v7, v14, v7
	v_add_f32_e32 v8, 0, v8
	v_fma_f32 v7, v13, v33, -v7
	v_mul_f32_e32 v6, v16, v6
	v_add_f32_e32 v7, v8, v7
	;; [unrolled: 3-line block ×3, first 2 shown]
	v_fma_f32 v5, v17, v38, -v5
	v_mul_f32_e32 v4, v20, v4
	buffer_load_dword v251, off, s[0:3], 0 offset:464
	buffer_load_dword v252, off, s[0:3], 0 offset:468
	;; [unrolled: 1-line block ×6, first 2 shown]
	v_add_f32_e32 v5, v6, v5
	v_fma_f32 v4, v19, v37, -v4
	v_mul_f32_e32 v3, v22, v3
	v_add_f32_e32 v4, v5, v4
	v_fma_f32 v3, v21, v36, -v3
	v_mul_f32_e32 v2, v149, v2
	v_add_f32_e32 v3, v4, v3
	v_fma_f32 v2, v148, v35, -v2
	v_add_f32_e32 v2, v3, v2
	v_mul_f32_e32 v3, v151, v27
	v_fma_f32 v3, v150, v42, -v3
	v_add_f32_e32 v2, v2, v3
	v_mul_f32_e32 v3, v153, v28
	;; [unrolled: 3-line block ×5, first 2 shown]
	s_waitcnt vmcnt(62) lgkmcnt(5)
	v_mul_f32_e32 v24, v160, v47
	v_fma_f32 v3, v158, v46, -v3
	v_fmac_f32_e32 v24, v161, v45
	v_add_f32_e32 v2, v2, v3
	v_mul_f32_e32 v3, v161, v47
	v_add_f32_e32 v23, v23, v24
	v_mul_f32_e32 v24, v162, v48
	v_fma_f32 v3, v160, v45, -v3
	v_fmac_f32_e32 v24, v163, v44
	v_add_f32_e32 v2, v2, v3
	v_mul_f32_e32 v3, v163, v48
	v_add_f32_e32 v23, v23, v24
	s_waitcnt lgkmcnt(4)
	v_mul_f32_e32 v24, v164, v49
	v_fma_f32 v3, v162, v44, -v3
	v_fmac_f32_e32 v24, v165, v43
	v_add_f32_e32 v2, v2, v3
	v_mul_f32_e32 v3, v165, v49
	v_add_f32_e32 v23, v23, v24
	v_mul_f32_e32 v24, v166, v50
	v_fma_f32 v3, v164, v43, -v3
	s_waitcnt vmcnt(58)
	v_fmac_f32_e32 v24, v167, v57
	v_add_f32_e32 v2, v2, v3
	v_mul_f32_e32 v3, v167, v50
	v_add_f32_e32 v23, v23, v24
	s_waitcnt lgkmcnt(3)
	v_mul_f32_e32 v24, v168, v52
	v_fma_f32 v3, v166, v57, -v3
	v_fmac_f32_e32 v24, v169, v51
	v_add_f32_e32 v2, v2, v3
	v_mul_f32_e32 v3, v169, v52
	v_add_f32_e32 v23, v23, v24
	v_mul_f32_e32 v24, v170, v54
	v_fma_f32 v3, v168, v51, -v3
	v_fmac_f32_e32 v24, v171, v53
	v_add_f32_e32 v2, v2, v3
	v_mul_f32_e32 v3, v171, v54
	v_add_f32_e32 v23, v23, v24
	s_waitcnt lgkmcnt(2)
	v_mul_f32_e32 v24, v172, v56
	v_fma_f32 v3, v170, v53, -v3
	v_fmac_f32_e32 v24, v173, v55
	v_add_f32_e32 v2, v2, v3
	v_mul_f32_e32 v3, v173, v56
	v_add_f32_e32 v23, v23, v24
	s_waitcnt vmcnt(54)
	v_mul_f32_e32 v24, v174, v59
	v_fma_f32 v3, v172, v55, -v3
	v_fmac_f32_e32 v24, v175, v58
	v_add_f32_e32 v2, v2, v3
	v_mul_f32_e32 v3, v175, v59
	v_add_f32_e32 v23, v23, v24
	s_waitcnt vmcnt(52) lgkmcnt(1)
	v_mul_f32_e32 v24, v176, v61
	v_fma_f32 v3, v174, v58, -v3
	v_fmac_f32_e32 v24, v177, v60
	v_add_f32_e32 v2, v2, v3
	v_mul_f32_e32 v3, v177, v61
	v_add_f32_e32 v23, v23, v24
	s_waitcnt vmcnt(50)
	v_mul_f32_e32 v24, v178, v63
	v_fma_f32 v3, v176, v60, -v3
	v_fmac_f32_e32 v24, v179, v62
	ds_read_b128 v[184:187], v1 offset:800
	ds_read_b128 v[188:191], v1 offset:816
	v_add_f32_e32 v2, v2, v3
	v_mul_f32_e32 v3, v179, v63
	v_add_f32_e32 v23, v23, v24
	s_waitcnt vmcnt(48) lgkmcnt(2)
	v_mul_f32_e32 v24, v180, v65
	v_fma_f32 v3, v178, v62, -v3
	v_fmac_f32_e32 v24, v181, v64
	v_add_f32_e32 v2, v2, v3
	v_mul_f32_e32 v3, v181, v65
	v_add_f32_e32 v23, v23, v24
	s_waitcnt vmcnt(46)
	v_mul_f32_e32 v24, v182, v67
	v_fma_f32 v3, v180, v64, -v3
	v_fmac_f32_e32 v24, v183, v66
	v_add_f32_e32 v2, v2, v3
	v_mul_f32_e32 v3, v183, v67
	v_add_f32_e32 v23, v23, v24
	s_waitcnt vmcnt(44) lgkmcnt(1)
	v_mul_f32_e32 v24, v184, v69
	v_fma_f32 v3, v182, v66, -v3
	v_fmac_f32_e32 v24, v185, v68
	v_add_f32_e32 v2, v2, v3
	v_mul_f32_e32 v3, v185, v69
	v_add_f32_e32 v23, v23, v24
	s_waitcnt vmcnt(43)
	v_mul_f32_e32 v24, v186, v70
	v_fma_f32 v3, v184, v68, -v3
	s_waitcnt vmcnt(40)
	v_fmac_f32_e32 v24, v187, v73
	ds_read_b128 v[192:195], v1 offset:832
	ds_read_b128 v[196:199], v1 offset:848
	v_add_f32_e32 v2, v2, v3
	v_mul_f32_e32 v3, v187, v70
	v_add_f32_e32 v23, v23, v24
	s_waitcnt lgkmcnt(2)
	v_mul_f32_e32 v24, v188, v72
	v_fma_f32 v3, v186, v73, -v3
	v_fmac_f32_e32 v24, v189, v71
	v_add_f32_e32 v2, v2, v3
	v_mul_f32_e32 v3, v189, v72
	v_add_f32_e32 v23, v23, v24
	s_waitcnt vmcnt(38)
	v_mul_f32_e32 v24, v190, v75
	v_fma_f32 v3, v188, v71, -v3
	v_fmac_f32_e32 v24, v191, v74
	v_add_f32_e32 v2, v2, v3
	v_mul_f32_e32 v3, v191, v75
	v_add_f32_e32 v23, v23, v24
	s_waitcnt vmcnt(36) lgkmcnt(1)
	v_mul_f32_e32 v24, v192, v77
	v_fma_f32 v3, v190, v74, -v3
	v_fmac_f32_e32 v24, v193, v76
	v_add_f32_e32 v2, v2, v3
	v_mul_f32_e32 v3, v193, v77
	v_add_f32_e32 v23, v23, v24
	s_waitcnt vmcnt(35)
	v_mul_f32_e32 v24, v194, v78
	v_fma_f32 v3, v192, v76, -v3
	s_waitcnt vmcnt(32)
	v_fmac_f32_e32 v24, v195, v81
	ds_read_b128 v[200:203], v1 offset:864
	ds_read_b128 v[204:207], v1 offset:880
	v_add_f32_e32 v2, v2, v3
	v_mul_f32_e32 v3, v195, v78
	v_add_f32_e32 v23, v23, v24
	s_waitcnt lgkmcnt(2)
	;; [unrolled: 31-line block ×4, first 2 shown]
	v_mul_f32_e32 v24, v212, v239
	v_fma_f32 v3, v210, v240, -v3
	v_fmac_f32_e32 v24, v213, v238
	v_add_f32_e32 v2, v2, v3
	v_mul_f32_e32 v3, v213, v239
	v_add_f32_e32 v23, v23, v24
	s_waitcnt vmcnt(14)
	v_mul_f32_e32 v24, v214, v242
	v_fma_f32 v3, v212, v238, -v3
	v_fmac_f32_e32 v24, v215, v241
	v_add_f32_e32 v2, v2, v3
	v_mul_f32_e32 v3, v215, v242
	v_add_f32_e32 v23, v23, v24
	s_waitcnt vmcnt(12) lgkmcnt(1)
	v_mul_f32_e32 v24, v216, v244
	v_fma_f32 v3, v214, v241, -v3
	v_fmac_f32_e32 v24, v217, v243
	v_add_f32_e32 v2, v2, v3
	v_mul_f32_e32 v3, v217, v244
	v_add_f32_e32 v23, v23, v24
	s_waitcnt vmcnt(11)
	v_mul_f32_e32 v24, v218, v245
	v_fma_f32 v3, v216, v243, -v3
	s_waitcnt vmcnt(8)
	v_fmac_f32_e32 v24, v219, v248
	v_add_f32_e32 v2, v2, v3
	v_mul_f32_e32 v3, v219, v245
	v_add_f32_e32 v23, v23, v24
	s_waitcnt lgkmcnt(0)
	v_mul_f32_e32 v24, v220, v247
	ds_read_b128 v[224:227], v1 offset:960
	v_fma_f32 v3, v218, v248, -v3
	v_fmac_f32_e32 v24, v221, v246
	v_add_f32_e32 v2, v2, v3
	v_mul_f32_e32 v3, v221, v247
	v_add_f32_e32 v23, v23, v24
	s_waitcnt vmcnt(6)
	v_mul_f32_e32 v24, v222, v250
	v_fma_f32 v3, v220, v246, -v3
	v_fmac_f32_e32 v24, v223, v249
	v_add_f32_e32 v2, v2, v3
	v_mul_f32_e32 v3, v223, v250
	v_add_f32_e32 v86, v23, v24
	ds_read_b64 v[23:24], v1 offset:976
	v_fma_f32 v3, v222, v249, -v3
	v_add_f32_e32 v2, v2, v3
	s_waitcnt vmcnt(4) lgkmcnt(1)
	v_mul_f32_e32 v3, v225, v252
	v_mul_f32_e32 v87, v224, v252
	v_fma_f32 v3, v224, v251, -v3
	v_fmac_f32_e32 v87, v225, v251
	v_add_f32_e32 v2, v2, v3
	s_waitcnt vmcnt(3)
	v_mul_f32_e32 v3, v227, v253
	v_add_f32_e32 v86, v86, v87
	v_mul_f32_e32 v87, v226, v253
	s_waitcnt vmcnt(0)
	v_fma_f32 v3, v226, v85, -v3
	v_fmac_f32_e32 v87, v227, v85
	v_add_f32_e32 v2, v2, v3
	s_waitcnt lgkmcnt(0)
	v_mul_f32_e32 v3, v24, v255
	v_add_f32_e32 v86, v86, v87
	v_mul_f32_e32 v87, v23, v255
	v_fma_f32 v3, v23, v254, -v3
	v_fmac_f32_e32 v87, v24, v254
	v_add_f32_e32 v2, v2, v3
	v_add_f32_e32 v86, v86, v87
	v_sub_f32_e32 v2, v9, v2
	v_sub_f32_e32 v3, v10, v86
	buffer_store_dword v2, off, s[0:3], 0 offset:104
	buffer_store_dword v3, off, s[0:3], 0 offset:108
	s_and_saveexec_b64 s[4:5], vcc
	s_cbranch_execz .LBB124_355
; %bb.354:
	buffer_load_dword v2, off, s[0:3], 0 offset:96
	buffer_load_dword v3, off, s[0:3], 0 offset:100
	s_waitcnt vmcnt(0)
	ds_write_b64 v147, v[2:3]
	buffer_store_dword v1, off, s[0:3], 0 offset:96
	buffer_store_dword v1, off, s[0:3], 0 offset:100
.LBB124_355:
	s_or_b64 exec, exec, s[4:5]
	s_waitcnt lgkmcnt(0)
	; wave barrier
	buffer_load_dword v8, off, s[0:3], 0 offset:108
	buffer_load_dword v7, off, s[0:3], 0 offset:116
	;; [unrolled: 1-line block ×40, first 2 shown]
	ds_read2_b64 v[162:165], v1 offset0:75 offset1:76
	ds_read2_b64 v[166:169], v1 offset0:77 offset1:78
	;; [unrolled: 1-line block ×7, first 2 shown]
	buffer_load_dword v34, off, s[0:3], 0 offset:256
	buffer_load_dword v35, off, s[0:3], 0 offset:260
	buffer_load_dword v36, off, s[0:3], 0 offset:264
	buffer_load_dword v37, off, s[0:3], 0 offset:268
	buffer_load_dword v38, off, s[0:3], 0 offset:272
	buffer_load_dword v39, off, s[0:3], 0 offset:276
	buffer_load_dword v40, off, s[0:3], 0 offset:280
	buffer_load_dword v41, off, s[0:3], 0 offset:284
	v_cmp_lt_u32_e32 vcc, 11, v0
	s_waitcnt vmcnt(47) lgkmcnt(6)
	v_mul_f32_e32 v27, v162, v8
	s_waitcnt vmcnt(46)
	v_mul_f32_e32 v28, v164, v7
	s_waitcnt vmcnt(45) lgkmcnt(5)
	v_mul_f32_e32 v29, v166, v6
	s_waitcnt vmcnt(44)
	v_mul_f32_e32 v30, v168, v5
	;; [unrolled: 4-line block ×6, first 2 shown]
	s_waitcnt vmcnt(35)
	v_fmac_f32_e32 v29, v167, v21
	s_waitcnt vmcnt(34)
	v_fmac_f32_e32 v28, v165, v24
	;; [unrolled: 2-line block ×3, first 2 shown]
	v_add_f32_e32 v27, 0, v27
	v_add_f32_e32 v27, v27, v28
	;; [unrolled: 1-line block ×3, first 2 shown]
	s_waitcnt vmcnt(29)
	v_fmac_f32_e32 v30, v169, v149
	v_fmac_f32_e32 v42, v171, v23
	v_add_f32_e32 v27, v27, v30
	v_fmac_f32_e32 v43, v173, v20
	v_add_f32_e32 v27, v27, v42
	;; [unrolled: 2-line block ×3, first 2 shown]
	s_waitcnt vmcnt(25)
	v_fmac_f32_e32 v45, v177, v22
	v_add_f32_e32 v27, v27, v44
	buffer_load_dword v42, off, s[0:3], 0 offset:288
	buffer_load_dword v43, off, s[0:3], 0 offset:292
	v_fmac_f32_e32 v46, v179, v19
	v_add_f32_e32 v27, v27, v45
	v_fmac_f32_e32 v47, v181, v17
	v_add_f32_e32 v27, v27, v46
	;; [unrolled: 2-line block ×3, first 2 shown]
	s_waitcnt vmcnt(23)
	v_fmac_f32_e32 v49, v185, v157
	v_add_f32_e32 v27, v27, v48
	v_add_f32_e32 v27, v27, v49
	ds_read2_b64 v[190:193], v1 offset0:89 offset1:90
	buffer_load_dword v44, off, s[0:3], 0 offset:296
	buffer_load_dword v45, off, s[0:3], 0 offset:300
	;; [unrolled: 1-line block ×6, first 2 shown]
	ds_read2_b64 v[194:197], v1 offset0:91 offset1:92
	buffer_load_dword v50, off, s[0:3], 0 offset:320
	buffer_load_dword v51, off, s[0:3], 0 offset:324
	ds_read2_b64 v[198:201], v1 offset0:93 offset1:94
	buffer_load_dword v52, off, s[0:3], 0 offset:328
	buffer_load_dword v53, off, s[0:3], 0 offset:332
	buffer_load_dword v54, off, s[0:3], 0 offset:340
	buffer_load_dword v55, off, s[0:3], 0 offset:344
	buffer_load_dword v56, off, s[0:3], 0 offset:348
	buffer_load_dword v57, off, s[0:3], 0 offset:336
	buffer_load_dword v58, off, s[0:3], 0 offset:352
	buffer_load_dword v59, off, s[0:3], 0 offset:356
	buffer_load_dword v60, off, s[0:3], 0 offset:360
	buffer_load_dword v61, off, s[0:3], 0 offset:364
	buffer_load_dword v62, off, s[0:3], 0 offset:372
	buffer_load_dword v63, off, s[0:3], 0 offset:376
	buffer_load_dword v64, off, s[0:3], 0 offset:380
	buffer_load_dword v65, off, s[0:3], 0 offset:368
	buffer_load_dword v66, off, s[0:3], 0 offset:384
	buffer_load_dword v67, off, s[0:3], 0 offset:388
	ds_read2_b64 v[202:205], v1 offset0:95 offset1:96
	buffer_load_dword v68, off, s[0:3], 0 offset:392
	buffer_load_dword v69, off, s[0:3], 0 offset:396
	;; [unrolled: 1-line block ×6, first 2 shown]
	ds_read2_b64 v[206:209], v1 offset0:97 offset1:98
	buffer_load_dword v74, off, s[0:3], 0 offset:416
	buffer_load_dword v75, off, s[0:3], 0 offset:420
	;; [unrolled: 1-line block ×10, first 2 shown]
	v_mul_f32_e32 v8, v163, v8
	v_fma_f32 v8, v162, v150, -v8
	v_mul_f32_e32 v7, v165, v7
	v_add_f32_e32 v8, 0, v8
	v_fma_f32 v7, v164, v24, -v7
	v_mul_f32_e32 v6, v167, v6
	v_add_f32_e32 v7, v8, v7
	;; [unrolled: 3-line block ×3, first 2 shown]
	v_fma_f32 v5, v168, v149, -v5
	v_mul_f32_e32 v4, v171, v4
	buffer_load_dword v84, off, s[0:3], 0 offset:456
	buffer_load_dword v85, off, s[0:3], 0 offset:460
	;; [unrolled: 1-line block ×6, first 2 shown]
	v_add_f32_e32 v5, v6, v5
	v_fma_f32 v4, v170, v23, -v4
	v_mul_f32_e32 v3, v173, v3
	v_add_f32_e32 v4, v5, v4
	v_fma_f32 v3, v172, v20, -v3
	v_mul_f32_e32 v2, v175, v2
	v_add_f32_e32 v3, v4, v3
	v_fma_f32 v2, v174, v18, -v2
	ds_read2_b64 v[210:213], v1 offset0:99 offset1:100
	ds_read2_b64 v[214:217], v1 offset0:101 offset1:102
	buffer_load_dword v255, off, s[0:3], 0 offset:480
	buffer_load_dword v89, off, s[0:3], 0 offset:484
	v_add_f32_e32 v2, v3, v2
	v_mul_f32_e32 v3, v177, v11
	v_fma_f32 v3, v176, v22, -v3
	v_add_f32_e32 v2, v2, v3
	v_mul_f32_e32 v3, v179, v12
	v_fma_f32 v3, v178, v19, -v3
	;; [unrolled: 3-line block ×4, first 2 shown]
	v_add_f32_e32 v2, v2, v3
	v_mul_f32_e32 v3, v185, v15
	s_waitcnt vmcnt(62) lgkmcnt(7)
	v_mul_f32_e32 v28, v186, v156
	v_fma_f32 v3, v184, v157, -v3
	v_fmac_f32_e32 v28, v187, v153
	v_add_f32_e32 v2, v2, v3
	v_mul_f32_e32 v3, v187, v156
	v_add_f32_e32 v27, v27, v28
	v_mul_f32_e32 v28, v188, v154
	v_fma_f32 v3, v186, v153, -v3
	v_fmac_f32_e32 v28, v189, v151
	v_add_f32_e32 v2, v2, v3
	v_mul_f32_e32 v3, v189, v154
	v_add_f32_e32 v27, v27, v28
	s_waitcnt lgkmcnt(6)
	v_mul_f32_e32 v28, v190, v152
	v_fma_f32 v3, v188, v151, -v3
	v_fmac_f32_e32 v28, v191, v148
	v_add_f32_e32 v2, v2, v3
	v_mul_f32_e32 v3, v191, v152
	v_add_f32_e32 v27, v27, v28
	v_mul_f32_e32 v28, v192, v155
	v_fma_f32 v3, v190, v148, -v3
	s_waitcnt vmcnt(60)
	v_fmac_f32_e32 v28, v193, v33
	v_add_f32_e32 v2, v2, v3
	v_mul_f32_e32 v3, v193, v155
	v_add_f32_e32 v27, v27, v28
	s_waitcnt lgkmcnt(5)
	v_mul_f32_e32 v28, v194, v159
	v_fma_f32 v3, v192, v33, -v3
	v_fmac_f32_e32 v28, v195, v158
	v_add_f32_e32 v2, v2, v3
	v_mul_f32_e32 v3, v195, v159
	v_add_f32_e32 v27, v27, v28
	v_mul_f32_e32 v28, v196, v161
	v_fma_f32 v3, v194, v158, -v3
	v_fmac_f32_e32 v28, v197, v160
	v_add_f32_e32 v2, v2, v3
	v_mul_f32_e32 v3, v197, v161
	v_add_f32_e32 v27, v27, v28
	s_waitcnt lgkmcnt(4)
	v_mul_f32_e32 v28, v198, v32
	v_fma_f32 v3, v196, v160, -v3
	v_fmac_f32_e32 v28, v199, v31
	v_add_f32_e32 v2, v2, v3
	v_mul_f32_e32 v3, v199, v32
	v_add_f32_e32 v27, v27, v28
	s_waitcnt vmcnt(56)
	v_mul_f32_e32 v28, v200, v35
	v_fma_f32 v3, v198, v31, -v3
	v_fmac_f32_e32 v28, v201, v34
	v_add_f32_e32 v2, v2, v3
	v_mul_f32_e32 v3, v201, v35
	v_add_f32_e32 v27, v27, v28
	s_waitcnt vmcnt(54) lgkmcnt(3)
	v_mul_f32_e32 v28, v202, v37
	v_fma_f32 v3, v200, v34, -v3
	v_fmac_f32_e32 v28, v203, v36
	v_add_f32_e32 v2, v2, v3
	v_mul_f32_e32 v3, v203, v37
	v_add_f32_e32 v27, v27, v28
	s_waitcnt vmcnt(52)
	v_mul_f32_e32 v28, v204, v39
	v_fma_f32 v3, v202, v36, -v3
	v_fmac_f32_e32 v28, v205, v38
	v_add_f32_e32 v2, v2, v3
	v_mul_f32_e32 v3, v205, v39
	v_add_f32_e32 v27, v27, v28
	s_waitcnt vmcnt(50) lgkmcnt(2)
	;; [unrolled: 14-line block ×3, first 2 shown]
	v_mul_f32_e32 v28, v210, v45
	v_fma_f32 v3, v208, v42, -v3
	v_fmac_f32_e32 v28, v211, v44
	v_add_f32_e32 v2, v2, v3
	v_mul_f32_e32 v3, v211, v45
	v_add_f32_e32 v27, v27, v28
	s_waitcnt vmcnt(45)
	v_mul_f32_e32 v28, v212, v46
	v_fma_f32 v3, v210, v44, -v3
	s_waitcnt vmcnt(42)
	v_fmac_f32_e32 v28, v213, v49
	ds_read2_b64 v[218:221], v1 offset0:103 offset1:104
	ds_read2_b64 v[222:225], v1 offset0:105 offset1:106
	v_add_f32_e32 v2, v2, v3
	v_mul_f32_e32 v3, v213, v46
	v_add_f32_e32 v27, v27, v28
	s_waitcnt lgkmcnt(2)
	v_mul_f32_e32 v28, v214, v48
	v_fma_f32 v3, v212, v49, -v3
	v_fmac_f32_e32 v28, v215, v47
	v_add_f32_e32 v2, v2, v3
	v_mul_f32_e32 v3, v215, v48
	v_add_f32_e32 v27, v27, v28
	s_waitcnt vmcnt(40)
	v_mul_f32_e32 v28, v216, v51
	v_fma_f32 v3, v214, v47, -v3
	v_fmac_f32_e32 v28, v217, v50
	v_add_f32_e32 v2, v2, v3
	v_mul_f32_e32 v3, v217, v51
	v_add_f32_e32 v27, v27, v28
	s_waitcnt vmcnt(38) lgkmcnt(1)
	v_mul_f32_e32 v28, v218, v53
	v_fma_f32 v3, v216, v50, -v3
	v_fmac_f32_e32 v28, v219, v52
	v_add_f32_e32 v2, v2, v3
	v_mul_f32_e32 v3, v219, v53
	v_add_f32_e32 v27, v27, v28
	s_waitcnt vmcnt(37)
	v_mul_f32_e32 v28, v220, v54
	v_fma_f32 v3, v218, v52, -v3
	s_waitcnt vmcnt(34)
	v_fmac_f32_e32 v28, v221, v57
	ds_read2_b64 v[226:229], v1 offset0:107 offset1:108
	ds_read2_b64 v[230:233], v1 offset0:109 offset1:110
	v_add_f32_e32 v2, v2, v3
	v_mul_f32_e32 v3, v221, v54
	v_add_f32_e32 v27, v27, v28
	s_waitcnt lgkmcnt(2)
	v_mul_f32_e32 v28, v222, v56
	v_fma_f32 v3, v220, v57, -v3
	v_fmac_f32_e32 v28, v223, v55
	v_add_f32_e32 v2, v2, v3
	v_mul_f32_e32 v3, v223, v56
	v_add_f32_e32 v27, v27, v28
	s_waitcnt vmcnt(32)
	v_mul_f32_e32 v28, v224, v59
	v_fma_f32 v3, v222, v55, -v3
	v_fmac_f32_e32 v28, v225, v58
	v_add_f32_e32 v2, v2, v3
	v_mul_f32_e32 v3, v225, v59
	v_add_f32_e32 v27, v27, v28
	s_waitcnt vmcnt(30) lgkmcnt(1)
	;; [unrolled: 31-line block ×4, first 2 shown]
	v_mul_f32_e32 v28, v242, v77
	v_fma_f32 v3, v240, v74, -v3
	v_fmac_f32_e32 v28, v243, v76
	v_add_f32_e32 v2, v2, v3
	v_mul_f32_e32 v3, v243, v77
	v_add_f32_e32 v27, v27, v28
	s_waitcnt vmcnt(13)
	v_mul_f32_e32 v28, v244, v78
	v_fma_f32 v3, v242, v76, -v3
	s_waitcnt vmcnt(10)
	v_fmac_f32_e32 v28, v245, v81
	v_add_f32_e32 v2, v2, v3
	v_mul_f32_e32 v3, v245, v78
	v_add_f32_e32 v27, v27, v28
	s_waitcnt lgkmcnt(0)
	v_mul_f32_e32 v28, v246, v80
	ds_read2_b64 v[250:253], v1 offset0:119 offset1:120
	v_fma_f32 v3, v244, v81, -v3
	v_fmac_f32_e32 v28, v247, v79
	v_add_f32_e32 v2, v2, v3
	v_mul_f32_e32 v3, v247, v80
	v_add_f32_e32 v27, v27, v28
	s_waitcnt vmcnt(8)
	v_mul_f32_e32 v28, v248, v83
	v_fma_f32 v3, v246, v79, -v3
	v_fmac_f32_e32 v28, v249, v82
	v_add_f32_e32 v2, v2, v3
	v_mul_f32_e32 v3, v249, v83
	v_add_f32_e32 v90, v27, v28
	ds_read2_b64 v[27:30], v1 offset0:121 offset1:122
	v_fma_f32 v3, v248, v82, -v3
	v_add_f32_e32 v2, v2, v3
	s_waitcnt vmcnt(6) lgkmcnt(1)
	v_mul_f32_e32 v3, v251, v85
	v_mul_f32_e32 v1, v250, v85
	v_fma_f32 v3, v250, v84, -v3
	v_fmac_f32_e32 v1, v251, v84
	v_add_f32_e32 v2, v2, v3
	s_waitcnt vmcnt(5)
	v_mul_f32_e32 v3, v253, v86
	v_add_f32_e32 v1, v90, v1
	v_mul_f32_e32 v90, v252, v86
	s_waitcnt vmcnt(2)
	v_fma_f32 v3, v252, v254, -v3
	v_fmac_f32_e32 v90, v253, v254
	v_add_f32_e32 v2, v2, v3
	s_waitcnt lgkmcnt(0)
	v_mul_f32_e32 v3, v28, v88
	v_add_f32_e32 v1, v1, v90
	v_mul_f32_e32 v90, v27, v88
	v_fma_f32 v3, v27, v87, -v3
	v_fmac_f32_e32 v90, v28, v87
	v_add_f32_e32 v2, v2, v3
	s_waitcnt vmcnt(0)
	v_mul_f32_e32 v3, v30, v89
	v_add_f32_e32 v1, v1, v90
	v_mul_f32_e32 v90, v29, v89
	v_fma_f32 v3, v29, v255, -v3
	v_fmac_f32_e32 v90, v30, v255
	v_add_f32_e32 v2, v2, v3
	v_add_f32_e32 v1, v1, v90
	v_sub_f32_e32 v2, v9, v2
	v_sub_f32_e32 v1, v10, v1
	buffer_store_dword v2, off, s[0:3], 0 offset:96
	buffer_store_dword v1, off, s[0:3], 0 offset:100
	s_and_saveexec_b64 s[4:5], vcc
	s_cbranch_execz .LBB124_357
; %bb.356:
	buffer_load_dword v1, off, s[0:3], 0 offset:88
	buffer_load_dword v2, off, s[0:3], 0 offset:92
	v_mov_b32_e32 v3, 0
	buffer_store_dword v3, off, s[0:3], 0 offset:88
	buffer_store_dword v3, off, s[0:3], 0 offset:92
	s_waitcnt vmcnt(2)
	ds_write_b64 v147, v[1:2]
.LBB124_357:
	s_or_b64 exec, exec, s[4:5]
	s_waitcnt lgkmcnt(0)
	; wave barrier
	buffer_load_dword v8, off, s[0:3], 0 offset:100
	buffer_load_dword v7, off, s[0:3], 0 offset:108
	;; [unrolled: 1-line block ×40, first 2 shown]
	v_mov_b32_e32 v1, 0
	buffer_load_dword v58, off, s[0:3], 0 offset:248
	buffer_load_dword v59, off, s[0:3], 0 offset:252
	;; [unrolled: 1-line block ×10, first 2 shown]
	ds_read_b128 v[15:18], v1 offset:592
	ds_read_b128 v[19:22], v1 offset:608
	;; [unrolled: 1-line block ×8, first 2 shown]
	v_cmp_lt_u32_e32 vcc, 10, v0
	s_waitcnt vmcnt(49) lgkmcnt(7)
	v_mul_f32_e32 v23, v15, v8
	s_waitcnt vmcnt(48)
	v_mul_f32_e32 v24, v17, v7
	s_waitcnt vmcnt(47) lgkmcnt(6)
	v_mul_f32_e32 v68, v19, v6
	s_waitcnt vmcnt(46)
	v_mul_f32_e32 v69, v21, v5
	;; [unrolled: 4-line block ×5, first 2 shown]
	s_waitcnt vmcnt(39) lgkmcnt(2)
	v_mul_f32_e32 v76, v156, v14
	s_waitcnt vmcnt(38)
	v_fmac_f32_e32 v68, v20, v31
	s_waitcnt vmcnt(37)
	v_fmac_f32_e32 v24, v18, v32
	;; [unrolled: 2-line block ×3, first 2 shown]
	v_add_f32_e32 v23, 0, v23
	v_add_f32_e32 v23, v23, v24
	;; [unrolled: 1-line block ×3, first 2 shown]
	s_waitcnt vmcnt(32)
	v_fmac_f32_e32 v69, v22, v37
	v_fmac_f32_e32 v70, v28, v36
	v_add_f32_e32 v23, v23, v69
	v_fmac_f32_e32 v71, v30, v35
	v_add_f32_e32 v23, v23, v70
	buffer_load_dword v68, off, s[0:3], 0 offset:288
	buffer_load_dword v69, off, s[0:3], 0 offset:292
	v_fmac_f32_e32 v72, v149, v34
	v_add_f32_e32 v23, v23, v71
	s_waitcnt vmcnt(30)
	v_fmac_f32_e32 v73, v151, v41
	v_add_f32_e32 v23, v23, v72
	v_add_f32_e32 v23, v23, v73
	ds_read_b128 v[168:171], v1 offset:720
	buffer_load_dword v70, off, s[0:3], 0 offset:300
	buffer_load_dword v71, off, s[0:3], 0 offset:304
	;; [unrolled: 1-line block ×4, first 2 shown]
	v_fmac_f32_e32 v74, v153, v40
	v_fmac_f32_e32 v75, v155, v39
	v_add_f32_e32 v23, v23, v74
	v_add_f32_e32 v23, v23, v75
	ds_read_b128 v[172:175], v1 offset:736
	buffer_load_dword v74, off, s[0:3], 0 offset:312
	buffer_load_dword v75, off, s[0:3], 0 offset:316
	v_fmac_f32_e32 v76, v157, v38
	v_add_f32_e32 v23, v23, v76
	buffer_load_dword v76, off, s[0:3], 0 offset:320
	buffer_load_dword v77, off, s[0:3], 0 offset:324
	buffer_load_dword v78, off, s[0:3], 0 offset:332
	buffer_load_dword v79, off, s[0:3], 0 offset:336
	buffer_load_dword v80, off, s[0:3], 0 offset:340
	buffer_load_dword v81, off, s[0:3], 0 offset:328
	buffer_load_dword v82, off, s[0:3], 0 offset:344
	buffer_load_dword v83, off, s[0:3], 0 offset:348
	buffer_load_dword v84, off, s[0:3], 0 offset:352
	buffer_load_dword v85, off, s[0:3], 0 offset:356
	buffer_load_dword v86, off, s[0:3], 0 offset:364
	buffer_load_dword v87, off, s[0:3], 0 offset:368
	buffer_load_dword v88, off, s[0:3], 0 offset:372
	buffer_load_dword v89, off, s[0:3], 0 offset:360
	ds_read_b128 v[176:179], v1 offset:752
	buffer_load_dword v90, off, s[0:3], 0 offset:376
	buffer_load_dword v232, off, s[0:3], 0 offset:380
	ds_read_b128 v[180:183], v1 offset:768
	buffer_load_dword v233, off, s[0:3], 0 offset:384
	buffer_load_dword v234, off, s[0:3], 0 offset:388
	;; [unrolled: 1-line block ×16, first 2 shown]
	v_mul_f32_e32 v8, v16, v8
	v_fma_f32 v8, v15, v33, -v8
	v_mul_f32_e32 v7, v18, v7
	v_add_f32_e32 v8, 0, v8
	v_fma_f32 v7, v17, v32, -v7
	v_mul_f32_e32 v6, v20, v6
	v_add_f32_e32 v7, v8, v7
	v_fma_f32 v6, v19, v31, -v6
	v_mul_f32_e32 v5, v22, v5
	ds_read_b128 v[184:187], v1 offset:784
	buffer_load_dword v249, off, s[0:3], 0 offset:448
	buffer_load_dword v250, off, s[0:3], 0 offset:452
	;; [unrolled: 1-line block ×6, first 2 shown]
	v_add_f32_e32 v6, v7, v6
	v_fma_f32 v5, v21, v37, -v5
	v_mul_f32_e32 v4, v28, v4
	v_add_f32_e32 v5, v6, v5
	v_fma_f32 v4, v27, v36, -v4
	v_mul_f32_e32 v3, v30, v3
	;; [unrolled: 3-line block ×3, first 2 shown]
	v_add_f32_e32 v3, v4, v3
	v_fma_f32 v2, v148, v34, -v2
	v_add_f32_e32 v2, v3, v2
	v_mul_f32_e32 v3, v151, v11
	ds_read_b128 v[188:191], v1 offset:800
	buffer_load_dword v255, off, s[0:3], 0 offset:476
	buffer_load_dword v91, off, s[0:3], 0 offset:480
	;; [unrolled: 1-line block ×4, first 2 shown]
	v_fma_f32 v3, v150, v41, -v3
	v_add_f32_e32 v2, v2, v3
	v_mul_f32_e32 v3, v153, v12
	v_fma_f32 v3, v152, v40, -v3
	v_add_f32_e32 v2, v2, v3
	v_mul_f32_e32 v3, v155, v13
	;; [unrolled: 3-line block ×3, first 2 shown]
	s_waitcnt vmcnt(62)
	v_mul_f32_e32 v24, v158, v42
	v_fma_f32 v3, v156, v38, -v3
	v_fmac_f32_e32 v24, v159, v46
	v_add_f32_e32 v2, v2, v3
	v_mul_f32_e32 v3, v159, v42
	v_add_f32_e32 v23, v23, v24
	s_waitcnt lgkmcnt(7)
	v_mul_f32_e32 v24, v160, v47
	v_fma_f32 v3, v158, v46, -v3
	v_fmac_f32_e32 v24, v161, v45
	v_add_f32_e32 v2, v2, v3
	v_mul_f32_e32 v3, v161, v47
	v_add_f32_e32 v23, v23, v24
	v_mul_f32_e32 v24, v162, v48
	v_fma_f32 v3, v160, v45, -v3
	v_fmac_f32_e32 v24, v163, v44
	v_add_f32_e32 v2, v2, v3
	v_mul_f32_e32 v3, v163, v48
	v_add_f32_e32 v23, v23, v24
	s_waitcnt lgkmcnt(6)
	v_mul_f32_e32 v24, v164, v49
	v_fma_f32 v3, v162, v44, -v3
	v_fmac_f32_e32 v24, v165, v43
	v_add_f32_e32 v2, v2, v3
	v_mul_f32_e32 v3, v165, v49
	v_add_f32_e32 v23, v23, v24
	;; [unrolled: 13-line block ×4, first 2 shown]
	s_waitcnt vmcnt(58)
	v_mul_f32_e32 v24, v174, v59
	v_fma_f32 v3, v172, v53, -v3
	v_fmac_f32_e32 v24, v175, v58
	v_add_f32_e32 v2, v2, v3
	v_mul_f32_e32 v3, v175, v59
	v_add_f32_e32 v23, v23, v24
	s_waitcnt vmcnt(56) lgkmcnt(3)
	v_mul_f32_e32 v24, v176, v61
	v_fma_f32 v3, v174, v58, -v3
	v_fmac_f32_e32 v24, v177, v60
	v_add_f32_e32 v2, v2, v3
	v_mul_f32_e32 v3, v177, v61
	v_add_f32_e32 v23, v23, v24
	s_waitcnt vmcnt(54)
	v_mul_f32_e32 v24, v178, v63
	v_fma_f32 v3, v176, v60, -v3
	v_fmac_f32_e32 v24, v179, v62
	v_add_f32_e32 v2, v2, v3
	v_mul_f32_e32 v3, v179, v63
	v_add_f32_e32 v23, v23, v24
	s_waitcnt vmcnt(52) lgkmcnt(2)
	v_mul_f32_e32 v24, v180, v65
	v_fma_f32 v3, v178, v62, -v3
	v_fmac_f32_e32 v24, v181, v64
	v_add_f32_e32 v2, v2, v3
	v_mul_f32_e32 v3, v181, v65
	v_add_f32_e32 v23, v23, v24
	s_waitcnt vmcnt(50)
	v_mul_f32_e32 v24, v182, v67
	v_fma_f32 v3, v180, v64, -v3
	v_fmac_f32_e32 v24, v183, v66
	v_add_f32_e32 v2, v2, v3
	v_mul_f32_e32 v3, v183, v67
	v_add_f32_e32 v23, v23, v24
	s_waitcnt vmcnt(48) lgkmcnt(1)
	v_mul_f32_e32 v24, v184, v69
	v_fma_f32 v3, v182, v66, -v3
	v_fmac_f32_e32 v24, v185, v68
	v_add_f32_e32 v2, v2, v3
	v_mul_f32_e32 v3, v185, v69
	v_add_f32_e32 v23, v23, v24
	s_waitcnt vmcnt(47)
	v_mul_f32_e32 v24, v186, v70
	v_fma_f32 v3, v184, v68, -v3
	s_waitcnt vmcnt(44)
	v_fmac_f32_e32 v24, v187, v73
	ds_read_b128 v[192:195], v1 offset:816
	ds_read_b128 v[196:199], v1 offset:832
	v_add_f32_e32 v2, v2, v3
	v_mul_f32_e32 v3, v187, v70
	v_add_f32_e32 v23, v23, v24
	s_waitcnt lgkmcnt(2)
	v_mul_f32_e32 v24, v188, v72
	v_fma_f32 v3, v186, v73, -v3
	v_fmac_f32_e32 v24, v189, v71
	v_add_f32_e32 v2, v2, v3
	v_mul_f32_e32 v3, v189, v72
	v_add_f32_e32 v23, v23, v24
	s_waitcnt vmcnt(42)
	v_mul_f32_e32 v24, v190, v75
	v_fma_f32 v3, v188, v71, -v3
	v_fmac_f32_e32 v24, v191, v74
	v_add_f32_e32 v2, v2, v3
	v_mul_f32_e32 v3, v191, v75
	v_add_f32_e32 v23, v23, v24
	s_waitcnt vmcnt(40) lgkmcnt(1)
	v_mul_f32_e32 v24, v192, v77
	v_fma_f32 v3, v190, v74, -v3
	v_fmac_f32_e32 v24, v193, v76
	v_add_f32_e32 v2, v2, v3
	v_mul_f32_e32 v3, v193, v77
	v_add_f32_e32 v23, v23, v24
	s_waitcnt vmcnt(39)
	v_mul_f32_e32 v24, v194, v78
	v_fma_f32 v3, v192, v76, -v3
	s_waitcnt vmcnt(36)
	v_fmac_f32_e32 v24, v195, v81
	ds_read_b128 v[200:203], v1 offset:848
	ds_read_b128 v[204:207], v1 offset:864
	v_add_f32_e32 v2, v2, v3
	v_mul_f32_e32 v3, v195, v78
	v_add_f32_e32 v23, v23, v24
	s_waitcnt lgkmcnt(2)
	v_mul_f32_e32 v24, v196, v80
	v_fma_f32 v3, v194, v81, -v3
	v_fmac_f32_e32 v24, v197, v79
	v_add_f32_e32 v2, v2, v3
	v_mul_f32_e32 v3, v197, v80
	v_add_f32_e32 v23, v23, v24
	s_waitcnt vmcnt(34)
	v_mul_f32_e32 v24, v198, v83
	v_fma_f32 v3, v196, v79, -v3
	v_fmac_f32_e32 v24, v199, v82
	v_add_f32_e32 v2, v2, v3
	v_mul_f32_e32 v3, v199, v83
	v_add_f32_e32 v23, v23, v24
	s_waitcnt vmcnt(32) lgkmcnt(1)
	v_mul_f32_e32 v24, v200, v85
	v_fma_f32 v3, v198, v82, -v3
	v_fmac_f32_e32 v24, v201, v84
	v_add_f32_e32 v2, v2, v3
	v_mul_f32_e32 v3, v201, v85
	v_add_f32_e32 v23, v23, v24
	;; [unrolled: 31-line block ×5, first 2 shown]
	s_waitcnt vmcnt(7)
	v_mul_f32_e32 v24, v226, v251
	v_fma_f32 v3, v224, v249, -v3
	s_waitcnt vmcnt(4)
	v_fmac_f32_e32 v24, v227, v254
	v_add_f32_e32 v2, v2, v3
	v_mul_f32_e32 v3, v227, v251
	v_add_f32_e32 v94, v23, v24
	ds_read_b64 v[23:24], v1 offset:976
	v_fma_f32 v3, v226, v254, -v3
	v_add_f32_e32 v2, v2, v3
	s_waitcnt lgkmcnt(1)
	v_mul_f32_e32 v3, v229, v253
	v_mul_f32_e32 v95, v228, v253
	v_fma_f32 v3, v228, v252, -v3
	v_fmac_f32_e32 v95, v229, v252
	v_add_f32_e32 v2, v2, v3
	s_waitcnt vmcnt(3)
	v_mul_f32_e32 v3, v231, v255
	v_add_f32_e32 v94, v94, v95
	v_mul_f32_e32 v95, v230, v255
	s_waitcnt vmcnt(0)
	v_fma_f32 v3, v230, v93, -v3
	v_fmac_f32_e32 v95, v231, v93
	v_add_f32_e32 v2, v2, v3
	s_waitcnt lgkmcnt(0)
	v_mul_f32_e32 v3, v24, v92
	v_add_f32_e32 v94, v94, v95
	v_mul_f32_e32 v95, v23, v92
	v_fma_f32 v3, v23, v91, -v3
	v_fmac_f32_e32 v95, v24, v91
	v_add_f32_e32 v2, v2, v3
	v_add_f32_e32 v94, v94, v95
	v_sub_f32_e32 v2, v9, v2
	v_sub_f32_e32 v3, v10, v94
	buffer_store_dword v2, off, s[0:3], 0 offset:88
	buffer_store_dword v3, off, s[0:3], 0 offset:92
	s_and_saveexec_b64 s[4:5], vcc
	s_cbranch_execz .LBB124_359
; %bb.358:
	buffer_load_dword v2, off, s[0:3], 0 offset:80
	buffer_load_dword v3, off, s[0:3], 0 offset:84
	s_waitcnt vmcnt(0)
	ds_write_b64 v147, v[2:3]
	buffer_store_dword v1, off, s[0:3], 0 offset:80
	buffer_store_dword v1, off, s[0:3], 0 offset:84
.LBB124_359:
	s_or_b64 exec, exec, s[4:5]
	s_waitcnt lgkmcnt(0)
	; wave barrier
	buffer_load_dword v8, off, s[0:3], 0 offset:92
	buffer_load_dword v7, off, s[0:3], 0 offset:100
	;; [unrolled: 1-line block ×40, first 2 shown]
	ds_read2_b64 v[16:19], v1 offset0:73 offset1:74
	ds_read2_b64 v[20:23], v1 offset0:75 offset1:76
	;; [unrolled: 1-line block ×7, first 2 shown]
	buffer_load_dword v56, off, s[0:3], 0 offset:240
	buffer_load_dword v57, off, s[0:3], 0 offset:244
	;; [unrolled: 1-line block ×10, first 2 shown]
	ds_read2_b64 v[164:167], v1 offset0:87 offset1:88
	v_cmp_lt_u32_e32 vcc, 9, v0
	s_waitcnt vmcnt(49) lgkmcnt(7)
	v_mul_f32_e32 v66, v16, v8
	s_waitcnt vmcnt(48)
	v_mul_f32_e32 v67, v18, v7
	s_waitcnt vmcnt(47) lgkmcnt(6)
	v_mul_f32_e32 v68, v20, v6
	s_waitcnt vmcnt(46)
	v_mul_f32_e32 v69, v22, v5
	;; [unrolled: 4-line block ×6, first 2 shown]
	s_waitcnt vmcnt(37)
	v_fmac_f32_e32 v68, v21, v24
	s_waitcnt vmcnt(36)
	v_fmac_f32_e32 v67, v19, v31
	;; [unrolled: 2-line block ×3, first 2 shown]
	v_add_f32_e32 v66, 0, v66
	v_add_f32_e32 v66, v66, v67
	;; [unrolled: 1-line block ×3, first 2 shown]
	s_waitcnt vmcnt(31)
	v_fmac_f32_e32 v69, v23, v36
	v_fmac_f32_e32 v70, v28, v35
	v_add_f32_e32 v66, v66, v69
	v_fmac_f32_e32 v71, v30, v34
	v_add_f32_e32 v66, v66, v70
	;; [unrolled: 2-line block ×3, first 2 shown]
	s_waitcnt vmcnt(27)
	v_fmac_f32_e32 v73, v151, v40
	v_add_f32_e32 v66, v66, v72
	v_fmac_f32_e32 v74, v153, v39
	v_add_f32_e32 v66, v66, v73
	;; [unrolled: 2-line block ×4, first 2 shown]
	v_add_f32_e32 v66, v66, v76
	s_waitcnt vmcnt(23)
	v_fmac_f32_e32 v77, v159, v44
	s_waitcnt vmcnt(22) lgkmcnt(1)
	v_mul_f32_e32 v67, v160, v45
	v_add_f32_e32 v66, v66, v77
	v_fmac_f32_e32 v67, v161, v43
	buffer_load_dword v68, off, s[0:3], 0 offset:284
	v_add_f32_e32 v66, v66, v67
	s_waitcnt vmcnt(22)
	v_mul_f32_e32 v67, v162, v46
	v_fmac_f32_e32 v67, v163, v42
	buffer_load_dword v69, off, s[0:3], 0 offset:280
	buffer_load_dword v70, off, s[0:3], 0 offset:288
	;; [unrolled: 1-line block ×3, first 2 shown]
	ds_read2_b64 v[168:171], v1 offset0:89 offset1:90
	v_add_f32_e32 v66, v66, v67
	s_waitcnt vmcnt(24) lgkmcnt(1)
	v_mul_f32_e32 v67, v164, v47
	v_fmac_f32_e32 v67, v165, v41
	v_add_f32_e32 v66, v66, v67
	s_waitcnt vmcnt(23)
	v_mul_f32_e32 v67, v166, v48
	buffer_load_dword v72, off, s[0:3], 0 offset:296
	buffer_load_dword v73, off, s[0:3], 0 offset:300
	s_waitcnt vmcnt(19)
	v_fmac_f32_e32 v67, v167, v54
	v_add_f32_e32 v66, v66, v67
	s_waitcnt vmcnt(18) lgkmcnt(0)
	v_mul_f32_e32 v67, v168, v55
	v_fmac_f32_e32 v67, v169, v53
	ds_read2_b64 v[172:175], v1 offset0:91 offset1:92
	v_add_f32_e32 v66, v66, v67
	buffer_load_dword v67, off, s[0:3], 0 offset:304
	buffer_load_dword v74, off, s[0:3], 0 offset:308
	;; [unrolled: 1-line block ×8, first 2 shown]
	v_mul_f32_e32 v75, v170, v50
	v_fmac_f32_e32 v75, v171, v49
	v_add_f32_e32 v66, v66, v75
	s_waitcnt lgkmcnt(0)
	v_mul_f32_e32 v75, v172, v52
	v_fmac_f32_e32 v75, v173, v51
	v_add_f32_e32 v66, v66, v75
	buffer_load_dword v75, off, s[0:3], 0 offset:336
	buffer_load_dword v82, off, s[0:3], 0 offset:340
	ds_read2_b64 v[176:179], v1 offset0:93 offset1:94
	buffer_load_dword v84, off, s[0:3], 0 offset:344
	buffer_load_dword v85, off, s[0:3], 0 offset:348
	;; [unrolled: 1-line block ×6, first 2 shown]
	ds_read2_b64 v[180:183], v1 offset0:95 offset1:96
	buffer_load_dword v90, off, s[0:3], 0 offset:368
	buffer_load_dword v91, off, s[0:3], 0 offset:372
	s_waitcnt vmcnt(32)
	v_mul_f32_e32 v83, v174, v57
	v_fmac_f32_e32 v83, v175, v56
	v_add_f32_e32 v66, v66, v83
	s_waitcnt vmcnt(30) lgkmcnt(1)
	v_mul_f32_e32 v83, v176, v59
	v_fmac_f32_e32 v83, v177, v58
	v_add_f32_e32 v66, v66, v83
	buffer_load_dword v83, off, s[0:3], 0 offset:376
	buffer_load_dword v92, off, s[0:3], 0 offset:380
	;; [unrolled: 1-line block ×14, first 2 shown]
	s_waitcnt vmcnt(42)
	v_mul_f32_e32 v184, v178, v61
	v_fmac_f32_e32 v184, v179, v60
	v_add_f32_e32 v66, v66, v184
	s_waitcnt vmcnt(40) lgkmcnt(0)
	v_mul_f32_e32 v184, v180, v63
	v_fmac_f32_e32 v184, v181, v62
	v_add_f32_e32 v66, v66, v184
	ds_read2_b64 v[184:187], v1 offset0:97 offset1:98
	buffer_load_dword v244, off, s[0:3], 0 offset:432
	buffer_load_dword v245, off, s[0:3], 0 offset:436
	v_mul_f32_e32 v8, v17, v8
	v_fma_f32 v8, v16, v32, -v8
	v_mul_f32_e32 v7, v19, v7
	s_waitcnt vmcnt(40)
	v_mul_f32_e32 v188, v182, v65
	v_add_f32_e32 v8, 0, v8
	v_fma_f32 v7, v18, v31, -v7
	v_mul_f32_e32 v6, v21, v6
	v_fmac_f32_e32 v188, v183, v64
	v_add_f32_e32 v7, v8, v7
	v_fma_f32 v6, v20, v24, -v6
	v_mul_f32_e32 v5, v23, v5
	v_add_f32_e32 v66, v66, v188
	ds_read2_b64 v[188:191], v1 offset0:99 offset1:100
	buffer_load_dword v246, off, s[0:3], 0 offset:440
	buffer_load_dword v247, off, s[0:3], 0 offset:444
	;; [unrolled: 1-line block ×6, first 2 shown]
	v_add_f32_e32 v6, v7, v6
	v_fma_f32 v5, v22, v36, -v5
	v_mul_f32_e32 v4, v28, v4
	v_add_f32_e32 v5, v6, v5
	v_fma_f32 v4, v27, v35, -v4
	v_mul_f32_e32 v3, v30, v3
	;; [unrolled: 3-line block ×3, first 2 shown]
	v_add_f32_e32 v3, v4, v3
	v_fma_f32 v2, v148, v33, -v2
	v_add_f32_e32 v2, v3, v2
	v_mul_f32_e32 v3, v151, v11
	v_fma_f32 v3, v150, v40, -v3
	v_add_f32_e32 v2, v2, v3
	v_mul_f32_e32 v3, v153, v12
	buffer_load_dword v252, off, s[0:3], 0 offset:464
	buffer_load_dword v253, off, s[0:3], 0 offset:468
	;; [unrolled: 1-line block ×6, first 2 shown]
	v_fma_f32 v3, v152, v39, -v3
	v_add_f32_e32 v2, v2, v3
	v_mul_f32_e32 v3, v155, v13
	v_fma_f32 v3, v154, v38, -v3
	v_add_f32_e32 v2, v2, v3
	v_mul_f32_e32 v3, v157, v14
	;; [unrolled: 3-line block ×7, first 2 shown]
	v_fma_f32 v3, v166, v54, -v3
	s_waitcnt vmcnt(51) lgkmcnt(1)
	v_mul_f32_e32 v192, v184, v68
	v_add_f32_e32 v2, v2, v3
	v_mul_f32_e32 v3, v169, v55
	s_waitcnt vmcnt(50)
	v_fmac_f32_e32 v192, v185, v69
	v_fma_f32 v3, v168, v53, -v3
	v_add_f32_e32 v66, v66, v192
	s_waitcnt vmcnt(48)
	v_mul_f32_e32 v192, v186, v71
	v_add_f32_e32 v2, v2, v3
	v_mul_f32_e32 v3, v171, v50
	v_fmac_f32_e32 v192, v187, v70
	v_fma_f32 v3, v170, v49, -v3
	v_add_f32_e32 v66, v66, v192
	s_waitcnt vmcnt(46) lgkmcnt(0)
	v_mul_f32_e32 v192, v188, v73
	v_add_f32_e32 v2, v2, v3
	v_mul_f32_e32 v3, v173, v52
	v_fmac_f32_e32 v192, v189, v72
	v_fma_f32 v3, v172, v51, -v3
	v_add_f32_e32 v66, v66, v192
	ds_read2_b64 v[192:195], v1 offset0:101 offset1:102
	v_add_f32_e32 v2, v2, v3
	v_mul_f32_e32 v3, v175, v57
	v_fma_f32 v3, v174, v56, -v3
	s_waitcnt vmcnt(44)
	v_mul_f32_e32 v196, v190, v74
	v_add_f32_e32 v2, v2, v3
	v_mul_f32_e32 v3, v177, v59
	v_fmac_f32_e32 v196, v191, v67
	v_fma_f32 v3, v176, v58, -v3
	v_add_f32_e32 v66, v66, v196
	ds_read2_b64 v[196:199], v1 offset0:103 offset1:104
	v_add_f32_e32 v2, v2, v3
	v_mul_f32_e32 v3, v179, v61
	s_waitcnt vmcnt(42) lgkmcnt(1)
	v_mul_f32_e32 v200, v192, v77
	v_fma_f32 v3, v178, v60, -v3
	v_fmac_f32_e32 v200, v193, v76
	v_add_f32_e32 v2, v2, v3
	v_mul_f32_e32 v3, v181, v63
	v_add_f32_e32 v66, v66, v200
	s_waitcnt vmcnt(41)
	v_mul_f32_e32 v200, v194, v78
	v_fma_f32 v3, v180, v62, -v3
	s_waitcnt vmcnt(38)
	v_fmac_f32_e32 v200, v195, v81
	v_add_f32_e32 v2, v2, v3
	v_mul_f32_e32 v3, v183, v65
	v_add_f32_e32 v66, v66, v200
	s_waitcnt lgkmcnt(0)
	v_mul_f32_e32 v200, v196, v80
	v_fma_f32 v3, v182, v64, -v3
	v_fmac_f32_e32 v200, v197, v79
	v_add_f32_e32 v2, v2, v3
	v_mul_f32_e32 v3, v185, v68
	v_add_f32_e32 v66, v66, v200
	ds_read2_b64 v[200:203], v1 offset0:105 offset1:106
	v_fma_f32 v3, v184, v69, -v3
	v_add_f32_e32 v2, v2, v3
	v_mul_f32_e32 v3, v187, v71
	s_waitcnt vmcnt(36)
	v_mul_f32_e32 v204, v198, v82
	v_fma_f32 v3, v186, v70, -v3
	v_fmac_f32_e32 v204, v199, v75
	v_add_f32_e32 v2, v2, v3
	v_mul_f32_e32 v3, v189, v73
	v_add_f32_e32 v66, v66, v204
	ds_read2_b64 v[204:207], v1 offset0:107 offset1:108
	v_fma_f32 v3, v188, v72, -v3
	s_waitcnt vmcnt(34) lgkmcnt(1)
	v_mul_f32_e32 v208, v200, v85
	v_add_f32_e32 v2, v2, v3
	v_mul_f32_e32 v3, v191, v74
	v_fmac_f32_e32 v208, v201, v84
	v_fma_f32 v3, v190, v67, -v3
	v_add_f32_e32 v66, v66, v208
	s_waitcnt vmcnt(33)
	v_mul_f32_e32 v208, v202, v86
	v_add_f32_e32 v2, v2, v3
	v_mul_f32_e32 v3, v193, v77
	s_waitcnt vmcnt(30)
	v_fmac_f32_e32 v208, v203, v89
	v_fma_f32 v3, v192, v76, -v3
	v_add_f32_e32 v66, v66, v208
	s_waitcnt lgkmcnt(0)
	v_mul_f32_e32 v208, v204, v88
	v_add_f32_e32 v2, v2, v3
	v_mul_f32_e32 v3, v195, v78
	v_fmac_f32_e32 v208, v205, v87
	v_fma_f32 v3, v194, v81, -v3
	v_add_f32_e32 v66, v66, v208
	ds_read2_b64 v[208:211], v1 offset0:109 offset1:110
	v_add_f32_e32 v2, v2, v3
	v_mul_f32_e32 v3, v197, v80
	v_fma_f32 v3, v196, v79, -v3
	s_waitcnt vmcnt(28)
	v_mul_f32_e32 v212, v206, v91
	v_add_f32_e32 v2, v2, v3
	v_mul_f32_e32 v3, v199, v82
	v_fmac_f32_e32 v212, v207, v90
	v_fma_f32 v3, v198, v75, -v3
	v_add_f32_e32 v66, v66, v212
	ds_read2_b64 v[212:215], v1 offset0:111 offset1:112
	v_add_f32_e32 v2, v2, v3
	v_mul_f32_e32 v3, v201, v85
	s_waitcnt vmcnt(26) lgkmcnt(1)
	v_mul_f32_e32 v216, v208, v92
	v_fma_f32 v3, v200, v84, -v3
	v_fmac_f32_e32 v216, v209, v83
	v_add_f32_e32 v2, v2, v3
	v_mul_f32_e32 v3, v203, v86
	v_add_f32_e32 v66, v66, v216
	s_waitcnt vmcnt(25)
	v_mul_f32_e32 v216, v210, v93
	v_fma_f32 v3, v202, v89, -v3
	s_waitcnt vmcnt(22)
	v_fmac_f32_e32 v216, v211, v96
	v_add_f32_e32 v2, v2, v3
	v_mul_f32_e32 v3, v205, v88
	v_add_f32_e32 v66, v66, v216
	s_waitcnt lgkmcnt(0)
	v_mul_f32_e32 v216, v212, v95
	v_fma_f32 v3, v204, v87, -v3
	v_fmac_f32_e32 v216, v213, v94
	v_add_f32_e32 v2, v2, v3
	v_mul_f32_e32 v3, v207, v91
	v_add_f32_e32 v66, v66, v216
	ds_read2_b64 v[216:219], v1 offset0:113 offset1:114
	v_fma_f32 v3, v206, v90, -v3
	v_add_f32_e32 v2, v2, v3
	v_mul_f32_e32 v3, v209, v92
	s_waitcnt vmcnt(20)
	v_mul_f32_e32 v220, v214, v237
	v_fma_f32 v3, v208, v83, -v3
	v_fmac_f32_e32 v220, v215, v236
	v_add_f32_e32 v2, v2, v3
	v_mul_f32_e32 v3, v211, v93
	v_add_f32_e32 v66, v66, v220
	ds_read2_b64 v[220:223], v1 offset0:115 offset1:116
	v_fma_f32 v3, v210, v96, -v3
	s_waitcnt vmcnt(18) lgkmcnt(1)
	v_mul_f32_e32 v224, v216, v239
	v_add_f32_e32 v2, v2, v3
	v_mul_f32_e32 v3, v213, v95
	v_fmac_f32_e32 v224, v217, v238
	v_fma_f32 v3, v212, v94, -v3
	v_add_f32_e32 v66, v66, v224
	s_waitcnt vmcnt(17)
	v_mul_f32_e32 v224, v218, v240
	v_add_f32_e32 v2, v2, v3
	v_mul_f32_e32 v3, v215, v237
	s_waitcnt vmcnt(14)
	v_fmac_f32_e32 v224, v219, v243
	v_fma_f32 v3, v214, v236, -v3
	v_add_f32_e32 v66, v66, v224
	s_waitcnt lgkmcnt(0)
	v_mul_f32_e32 v224, v220, v242
	v_add_f32_e32 v2, v2, v3
	v_mul_f32_e32 v3, v217, v239
	v_fmac_f32_e32 v224, v221, v241
	v_fma_f32 v3, v216, v238, -v3
	v_add_f32_e32 v66, v66, v224
	ds_read2_b64 v[224:227], v1 offset0:117 offset1:118
	v_add_f32_e32 v2, v2, v3
	v_mul_f32_e32 v3, v219, v240
	v_fma_f32 v3, v218, v243, -v3
	v_add_f32_e32 v2, v2, v3
	v_mul_f32_e32 v3, v221, v242
	s_waitcnt vmcnt(12)
	v_mul_f32_e32 v228, v222, v245
	v_fma_f32 v3, v220, v241, -v3
	v_fmac_f32_e32 v228, v223, v244
	v_add_f32_e32 v2, v2, v3
	v_mul_f32_e32 v3, v223, v245
	v_add_f32_e32 v66, v66, v228
	ds_read2_b64 v[228:231], v1 offset0:119 offset1:120
	s_waitcnt vmcnt(10) lgkmcnt(1)
	v_mul_f32_e32 v232, v224, v247
	v_fma_f32 v3, v222, v244, -v3
	v_fmac_f32_e32 v232, v225, v246
	v_add_f32_e32 v2, v2, v3
	v_mul_f32_e32 v3, v225, v247
	v_add_f32_e32 v66, v66, v232
	s_waitcnt vmcnt(9)
	v_mul_f32_e32 v232, v226, v248
	v_fma_f32 v3, v224, v246, -v3
	s_waitcnt vmcnt(6)
	v_fmac_f32_e32 v232, v227, v251
	v_add_f32_e32 v2, v2, v3
	v_mul_f32_e32 v3, v227, v248
	v_add_f32_e32 v66, v66, v232
	ds_read2_b64 v[232:235], v1 offset0:121 offset1:122
	v_fma_f32 v3, v226, v251, -v3
	v_add_f32_e32 v2, v2, v3
	s_waitcnt lgkmcnt(1)
	v_mul_f32_e32 v3, v229, v250
	v_mul_f32_e32 v99, v228, v250
	v_fma_f32 v3, v228, v249, -v3
	v_fmac_f32_e32 v99, v229, v249
	v_add_f32_e32 v2, v2, v3
	s_waitcnt vmcnt(4)
	v_mul_f32_e32 v3, v231, v253
	v_add_f32_e32 v1, v66, v99
	v_mul_f32_e32 v66, v230, v253
	v_fma_f32 v3, v230, v252, -v3
	v_fmac_f32_e32 v66, v231, v252
	v_add_f32_e32 v2, v2, v3
	s_waitcnt vmcnt(3) lgkmcnt(0)
	v_mul_f32_e32 v3, v233, v254
	v_add_f32_e32 v1, v1, v66
	v_mul_f32_e32 v66, v232, v254
	s_waitcnt vmcnt(0)
	v_fma_f32 v3, v232, v98, -v3
	v_fmac_f32_e32 v66, v233, v98
	v_add_f32_e32 v2, v2, v3
	v_mul_f32_e32 v3, v235, v97
	v_add_f32_e32 v1, v1, v66
	v_mul_f32_e32 v66, v234, v97
	v_fma_f32 v3, v234, v255, -v3
	v_fmac_f32_e32 v66, v235, v255
	v_add_f32_e32 v2, v2, v3
	v_add_f32_e32 v1, v1, v66
	v_sub_f32_e32 v2, v9, v2
	v_sub_f32_e32 v1, v10, v1
	buffer_store_dword v2, off, s[0:3], 0 offset:80
	buffer_store_dword v1, off, s[0:3], 0 offset:84
	s_and_saveexec_b64 s[4:5], vcc
	s_cbranch_execz .LBB124_361
; %bb.360:
	buffer_load_dword v1, off, s[0:3], 0 offset:72
	buffer_load_dword v2, off, s[0:3], 0 offset:76
	v_mov_b32_e32 v3, 0
	buffer_store_dword v3, off, s[0:3], 0 offset:72
	buffer_store_dword v3, off, s[0:3], 0 offset:76
	s_waitcnt vmcnt(2)
	ds_write_b64 v147, v[1:2]
.LBB124_361:
	s_or_b64 exec, exec, s[4:5]
	s_waitcnt lgkmcnt(0)
	; wave barrier
	buffer_load_dword v10, off, s[0:3], 0 offset:84
	buffer_load_dword v9, off, s[0:3], 0 offset:92
	;; [unrolled: 1-line block ×40, first 2 shown]
	v_mov_b32_e32 v1, 0
	buffer_load_dword v58, off, s[0:3], 0 offset:232
	buffer_load_dword v59, off, s[0:3], 0 offset:236
	;; [unrolled: 1-line block ×10, first 2 shown]
	ds_read_b128 v[17:20], v1 offset:576
	ds_read_b128 v[21:24], v1 offset:592
	;; [unrolled: 1-line block ×7, first 2 shown]
	v_cmp_lt_u32_e32 vcc, 8, v0
	s_waitcnt vmcnt(49) lgkmcnt(6)
	v_mul_f32_e32 v31, v17, v10
	s_waitcnt vmcnt(48)
	v_mul_f32_e32 v32, v19, v9
	s_waitcnt vmcnt(47) lgkmcnt(5)
	v_mul_f32_e32 v68, v21, v6
	s_waitcnt vmcnt(46)
	v_mul_f32_e32 v69, v23, v5
	;; [unrolled: 4-line block ×6, first 2 shown]
	s_waitcnt vmcnt(37)
	v_fmac_f32_e32 v68, v22, v33
	s_waitcnt vmcnt(36)
	v_fmac_f32_e32 v32, v20, v34
	;; [unrolled: 2-line block ×3, first 2 shown]
	v_add_f32_e32 v31, 0, v31
	v_add_f32_e32 v31, v31, v32
	;; [unrolled: 1-line block ×3, first 2 shown]
	s_waitcnt vmcnt(31)
	v_fmac_f32_e32 v69, v24, v39
	v_fmac_f32_e32 v70, v28, v38
	v_add_f32_e32 v31, v31, v69
	buffer_load_dword v68, off, s[0:3], 0 offset:272
	buffer_load_dword v69, off, s[0:3], 0 offset:276
	v_fmac_f32_e32 v71, v30, v37
	v_add_f32_e32 v31, v31, v70
	v_fmac_f32_e32 v72, v149, v36
	v_add_f32_e32 v31, v31, v71
	s_waitcnt vmcnt(29)
	v_fmac_f32_e32 v73, v151, v42
	v_add_f32_e32 v31, v31, v72
	v_fmac_f32_e32 v74, v153, v41
	v_add_f32_e32 v31, v31, v73
	ds_read_b128 v[164:167], v1 offset:688
	buffer_load_dword v70, off, s[0:3], 0 offset:284
	buffer_load_dword v71, off, s[0:3], 0 offset:280
	;; [unrolled: 1-line block ×4, first 2 shown]
	v_fmac_f32_e32 v75, v155, v40
	v_add_f32_e32 v31, v31, v74
	v_add_f32_e32 v31, v31, v75
	ds_read_b128 v[168:171], v1 offset:704
	ds_read_b128 v[172:175], v1 offset:720
	buffer_load_dword v74, off, s[0:3], 0 offset:296
	buffer_load_dword v75, off, s[0:3], 0 offset:300
	v_fmac_f32_e32 v76, v157, v16
	v_add_f32_e32 v31, v31, v76
	s_waitcnt vmcnt(31)
	v_fmac_f32_e32 v77, v159, v46
	v_add_f32_e32 v31, v31, v77
	buffer_load_dword v76, off, s[0:3], 0 offset:304
	buffer_load_dword v77, off, s[0:3], 0 offset:308
	;; [unrolled: 1-line block ×8, first 2 shown]
	ds_read_b128 v[176:179], v1 offset:736
	buffer_load_dword v84, off, s[0:3], 0 offset:336
	buffer_load_dword v85, off, s[0:3], 0 offset:340
	;; [unrolled: 1-line block ×6, first 2 shown]
	ds_read_b128 v[180:183], v1 offset:752
	buffer_load_dword v90, off, s[0:3], 0 offset:360
	buffer_load_dword v91, off, s[0:3], 0 offset:364
	;; [unrolled: 1-line block ×10, first 2 shown]
	ds_read_b128 v[184:187], v1 offset:768
	buffer_load_dword v100, off, s[0:3], 0 offset:400
	buffer_load_dword v236, off, s[0:3], 0 offset:404
	buffer_load_dword v237, off, s[0:3], 0 offset:412
	buffer_load_dword v238, off, s[0:3], 0 offset:416
	buffer_load_dword v239, off, s[0:3], 0 offset:420
	buffer_load_dword v240, off, s[0:3], 0 offset:408
	ds_read_b128 v[188:191], v1 offset:784
	buffer_load_dword v241, off, s[0:3], 0 offset:424
	buffer_load_dword v242, off, s[0:3], 0 offset:428
	v_mul_f32_e32 v10, v18, v10
	v_fma_f32 v10, v17, v35, -v10
	v_mul_f32_e32 v9, v20, v9
	v_add_f32_e32 v10, 0, v10
	v_fma_f32 v9, v19, v34, -v9
	v_mul_f32_e32 v6, v22, v6
	v_add_f32_e32 v9, v10, v9
	v_fma_f32 v6, v21, v33, -v6
	v_mul_f32_e32 v5, v24, v5
	buffer_load_dword v243, off, s[0:3], 0 offset:432
	buffer_load_dword v244, off, s[0:3], 0 offset:436
	;; [unrolled: 1-line block ×6, first 2 shown]
	v_add_f32_e32 v6, v9, v6
	v_fma_f32 v5, v23, v39, -v5
	v_mul_f32_e32 v4, v28, v4
	v_add_f32_e32 v5, v6, v5
	v_fma_f32 v4, v27, v38, -v4
	v_mul_f32_e32 v3, v30, v3
	;; [unrolled: 3-line block ×3, first 2 shown]
	buffer_load_dword v249, off, s[0:3], 0 offset:456
	buffer_load_dword v250, off, s[0:3], 0 offset:460
	v_add_f32_e32 v3, v4, v3
	v_fma_f32 v2, v148, v36, -v2
	v_add_f32_e32 v2, v3, v2
	v_mul_f32_e32 v3, v151, v11
	v_fma_f32 v3, v150, v42, -v3
	v_add_f32_e32 v2, v2, v3
	v_mul_f32_e32 v3, v153, v12
	;; [unrolled: 3-line block ×3, first 2 shown]
	buffer_load_dword v251, off, s[0:3], 0 offset:464
	buffer_load_dword v252, off, s[0:3], 0 offset:468
	;; [unrolled: 1-line block ×6, first 2 shown]
	v_fma_f32 v3, v154, v40, -v3
	v_add_f32_e32 v2, v2, v3
	v_mul_f32_e32 v3, v157, v14
	v_fma_f32 v3, v156, v16, -v3
	v_add_f32_e32 v2, v2, v3
	v_mul_f32_e32 v3, v159, v15
	s_waitcnt vmcnt(62) lgkmcnt(7)
	v_mul_f32_e32 v32, v160, v47
	v_fma_f32 v3, v158, v46, -v3
	v_fmac_f32_e32 v32, v161, v45
	v_add_f32_e32 v2, v2, v3
	v_mul_f32_e32 v3, v161, v47
	v_add_f32_e32 v31, v31, v32
	v_mul_f32_e32 v32, v162, v48
	v_fma_f32 v3, v160, v45, -v3
	v_fmac_f32_e32 v32, v163, v44
	v_add_f32_e32 v2, v2, v3
	v_mul_f32_e32 v3, v163, v48
	v_add_f32_e32 v31, v31, v32
	s_waitcnt lgkmcnt(6)
	v_mul_f32_e32 v32, v164, v49
	v_fma_f32 v3, v162, v44, -v3
	v_fmac_f32_e32 v32, v165, v43
	v_add_f32_e32 v2, v2, v3
	v_mul_f32_e32 v3, v165, v49
	v_add_f32_e32 v31, v31, v32
	v_mul_f32_e32 v32, v166, v50
	v_fma_f32 v3, v164, v43, -v3
	v_fmac_f32_e32 v32, v167, v57
	v_add_f32_e32 v2, v2, v3
	v_mul_f32_e32 v3, v167, v50
	v_add_f32_e32 v31, v31, v32
	s_waitcnt lgkmcnt(5)
	;; [unrolled: 13-line block ×3, first 2 shown]
	v_mul_f32_e32 v32, v172, v56
	v_fma_f32 v3, v170, v53, -v3
	v_fmac_f32_e32 v32, v173, v55
	v_add_f32_e32 v2, v2, v3
	v_mul_f32_e32 v3, v173, v56
	v_add_f32_e32 v31, v31, v32
	v_mul_f32_e32 v32, v174, v59
	v_fma_f32 v3, v172, v55, -v3
	v_fmac_f32_e32 v32, v175, v58
	v_add_f32_e32 v2, v2, v3
	v_mul_f32_e32 v3, v175, v59
	v_add_f32_e32 v31, v31, v32
	s_waitcnt vmcnt(60) lgkmcnt(3)
	v_mul_f32_e32 v32, v176, v61
	v_fma_f32 v3, v174, v58, -v3
	v_fmac_f32_e32 v32, v177, v60
	v_add_f32_e32 v2, v2, v3
	v_mul_f32_e32 v3, v177, v61
	v_add_f32_e32 v31, v31, v32
	s_waitcnt vmcnt(58)
	v_mul_f32_e32 v32, v178, v63
	v_fma_f32 v3, v176, v60, -v3
	v_fmac_f32_e32 v32, v179, v62
	v_add_f32_e32 v2, v2, v3
	v_mul_f32_e32 v3, v179, v63
	v_add_f32_e32 v31, v31, v32
	s_waitcnt vmcnt(56) lgkmcnt(2)
	v_mul_f32_e32 v32, v180, v65
	v_fma_f32 v3, v178, v62, -v3
	v_fmac_f32_e32 v32, v181, v64
	v_add_f32_e32 v2, v2, v3
	v_mul_f32_e32 v3, v181, v65
	v_add_f32_e32 v31, v31, v32
	s_waitcnt vmcnt(54)
	;; [unrolled: 14-line block ×3, first 2 shown]
	v_mul_f32_e32 v32, v186, v70
	v_fma_f32 v3, v184, v68, -v3
	s_waitcnt vmcnt(50)
	v_fmac_f32_e32 v32, v187, v71
	ds_read_b128 v[192:195], v1 offset:800
	ds_read_b128 v[196:199], v1 offset:816
	v_add_f32_e32 v2, v2, v3
	v_mul_f32_e32 v3, v187, v70
	v_add_f32_e32 v31, v31, v32
	s_waitcnt vmcnt(48) lgkmcnt(2)
	v_mul_f32_e32 v32, v188, v73
	v_fma_f32 v3, v186, v71, -v3
	v_fmac_f32_e32 v32, v189, v72
	v_add_f32_e32 v2, v2, v3
	v_mul_f32_e32 v3, v189, v73
	v_add_f32_e32 v31, v31, v32
	s_waitcnt vmcnt(46)
	v_mul_f32_e32 v32, v190, v75
	v_fma_f32 v3, v188, v72, -v3
	v_fmac_f32_e32 v32, v191, v74
	v_add_f32_e32 v2, v2, v3
	v_mul_f32_e32 v3, v191, v75
	v_add_f32_e32 v31, v31, v32
	s_waitcnt vmcnt(44) lgkmcnt(1)
	v_mul_f32_e32 v32, v192, v77
	v_fma_f32 v3, v190, v74, -v3
	v_fmac_f32_e32 v32, v193, v76
	v_add_f32_e32 v2, v2, v3
	v_mul_f32_e32 v3, v193, v77
	v_add_f32_e32 v31, v31, v32
	s_waitcnt vmcnt(43)
	v_mul_f32_e32 v32, v194, v78
	v_fma_f32 v3, v192, v76, -v3
	s_waitcnt vmcnt(40)
	v_fmac_f32_e32 v32, v195, v81
	ds_read_b128 v[200:203], v1 offset:832
	ds_read_b128 v[204:207], v1 offset:848
	v_add_f32_e32 v2, v2, v3
	v_mul_f32_e32 v3, v195, v78
	v_add_f32_e32 v31, v31, v32
	s_waitcnt lgkmcnt(2)
	v_mul_f32_e32 v32, v196, v80
	v_fma_f32 v3, v194, v81, -v3
	v_fmac_f32_e32 v32, v197, v79
	v_add_f32_e32 v2, v2, v3
	v_mul_f32_e32 v3, v197, v80
	v_add_f32_e32 v31, v31, v32
	s_waitcnt vmcnt(38)
	v_mul_f32_e32 v32, v198, v83
	v_fma_f32 v3, v196, v79, -v3
	v_fmac_f32_e32 v32, v199, v82
	v_add_f32_e32 v2, v2, v3
	v_mul_f32_e32 v3, v199, v83
	v_add_f32_e32 v31, v31, v32
	s_waitcnt vmcnt(36) lgkmcnt(1)
	v_mul_f32_e32 v32, v200, v85
	v_fma_f32 v3, v198, v82, -v3
	v_fmac_f32_e32 v32, v201, v84
	v_add_f32_e32 v2, v2, v3
	v_mul_f32_e32 v3, v201, v85
	v_add_f32_e32 v31, v31, v32
	s_waitcnt vmcnt(35)
	v_mul_f32_e32 v32, v202, v86
	v_fma_f32 v3, v200, v84, -v3
	s_waitcnt vmcnt(32)
	v_fmac_f32_e32 v32, v203, v89
	ds_read_b128 v[208:211], v1 offset:864
	ds_read_b128 v[212:215], v1 offset:880
	v_add_f32_e32 v2, v2, v3
	v_mul_f32_e32 v3, v203, v86
	v_add_f32_e32 v31, v31, v32
	s_waitcnt lgkmcnt(2)
	;; [unrolled: 31-line block ×4, first 2 shown]
	v_mul_f32_e32 v32, v220, v239
	v_fma_f32 v3, v218, v240, -v3
	v_fmac_f32_e32 v32, v221, v238
	v_add_f32_e32 v2, v2, v3
	v_mul_f32_e32 v3, v221, v239
	v_add_f32_e32 v31, v31, v32
	s_waitcnt vmcnt(14)
	v_mul_f32_e32 v32, v222, v242
	v_fma_f32 v3, v220, v238, -v3
	v_fmac_f32_e32 v32, v223, v241
	v_add_f32_e32 v2, v2, v3
	v_mul_f32_e32 v3, v223, v242
	v_add_f32_e32 v31, v31, v32
	s_waitcnt vmcnt(12) lgkmcnt(1)
	v_mul_f32_e32 v32, v224, v244
	v_fma_f32 v3, v222, v241, -v3
	v_fmac_f32_e32 v32, v225, v243
	v_add_f32_e32 v2, v2, v3
	v_mul_f32_e32 v3, v225, v244
	v_add_f32_e32 v31, v31, v32
	s_waitcnt vmcnt(11)
	v_mul_f32_e32 v32, v226, v245
	v_fma_f32 v3, v224, v243, -v3
	s_waitcnt vmcnt(8)
	v_fmac_f32_e32 v32, v227, v248
	v_add_f32_e32 v2, v2, v3
	v_mul_f32_e32 v3, v227, v245
	v_add_f32_e32 v31, v31, v32
	s_waitcnt lgkmcnt(0)
	v_mul_f32_e32 v32, v228, v247
	ds_read_b128 v[232:235], v1 offset:960
	v_fma_f32 v3, v226, v248, -v3
	v_fmac_f32_e32 v32, v229, v246
	v_add_f32_e32 v2, v2, v3
	v_mul_f32_e32 v3, v229, v247
	v_add_f32_e32 v31, v31, v32
	s_waitcnt vmcnt(6)
	v_mul_f32_e32 v32, v230, v250
	v_fma_f32 v3, v228, v246, -v3
	v_fmac_f32_e32 v32, v231, v249
	v_add_f32_e32 v2, v2, v3
	v_mul_f32_e32 v3, v231, v250
	v_add_f32_e32 v102, v31, v32
	ds_read_b64 v[31:32], v1 offset:976
	v_fma_f32 v3, v230, v249, -v3
	v_add_f32_e32 v2, v2, v3
	s_waitcnt vmcnt(4) lgkmcnt(1)
	v_mul_f32_e32 v3, v233, v252
	v_mul_f32_e32 v103, v232, v252
	v_fma_f32 v3, v232, v251, -v3
	v_fmac_f32_e32 v103, v233, v251
	v_add_f32_e32 v2, v2, v3
	s_waitcnt vmcnt(3)
	v_mul_f32_e32 v3, v235, v253
	v_add_f32_e32 v102, v102, v103
	v_mul_f32_e32 v103, v234, v253
	s_waitcnt vmcnt(0)
	v_fma_f32 v3, v234, v101, -v3
	v_fmac_f32_e32 v103, v235, v101
	v_add_f32_e32 v2, v2, v3
	s_waitcnt lgkmcnt(0)
	v_mul_f32_e32 v3, v32, v255
	v_add_f32_e32 v102, v102, v103
	v_mul_f32_e32 v103, v31, v255
	v_fma_f32 v3, v31, v254, -v3
	v_fmac_f32_e32 v103, v32, v254
	v_add_f32_e32 v2, v2, v3
	v_add_f32_e32 v102, v102, v103
	v_sub_f32_e32 v2, v7, v2
	v_sub_f32_e32 v3, v8, v102
	buffer_store_dword v2, off, s[0:3], 0 offset:72
	buffer_store_dword v3, off, s[0:3], 0 offset:76
	s_and_saveexec_b64 s[4:5], vcc
	s_cbranch_execz .LBB124_363
; %bb.362:
	buffer_load_dword v2, off, s[0:3], 0 offset:64
	buffer_load_dword v3, off, s[0:3], 0 offset:68
	s_waitcnt vmcnt(0)
	ds_write_b64 v147, v[2:3]
	buffer_store_dword v1, off, s[0:3], 0 offset:64
	buffer_store_dword v1, off, s[0:3], 0 offset:68
.LBB124_363:
	s_or_b64 exec, exec, s[4:5]
	s_waitcnt lgkmcnt(0)
	; wave barrier
	buffer_load_dword v10, off, s[0:3], 0 offset:76
	buffer_load_dword v7, off, s[0:3], 0 offset:84
	;; [unrolled: 1-line block ×40, first 2 shown]
	ds_read2_b64 v[27:30], v1 offset0:71 offset1:72
	ds_read2_b64 v[148:151], v1 offset0:73 offset1:74
	;; [unrolled: 1-line block ×6, first 2 shown]
	buffer_load_dword v48, off, s[0:3], 0 offset:224
	buffer_load_dword v49, off, s[0:3], 0 offset:228
	;; [unrolled: 1-line block ×12, first 2 shown]
	ds_read2_b64 v[168:171], v1 offset0:83 offset1:84
	ds_read2_b64 v[172:175], v1 offset0:85 offset1:86
	v_cmp_lt_u32_e32 vcc, 7, v0
	s_waitcnt vmcnt(51) lgkmcnt(7)
	v_mul_f32_e32 v60, v27, v10
	s_waitcnt vmcnt(50)
	v_mul_f32_e32 v61, v29, v7
	s_waitcnt vmcnt(49) lgkmcnt(6)
	v_mul_f32_e32 v62, v148, v6
	s_waitcnt vmcnt(48)
	v_mul_f32_e32 v63, v150, v5
	;; [unrolled: 4-line block ×5, first 2 shown]
	s_waitcnt vmcnt(41) lgkmcnt(2)
	v_mul_f32_e32 v70, v164, v14
	s_waitcnt vmcnt(40)
	v_fmac_f32_e32 v62, v149, v21
	s_waitcnt vmcnt(39)
	v_fmac_f32_e32 v61, v30, v24
	;; [unrolled: 2-line block ×3, first 2 shown]
	v_add_f32_e32 v60, 0, v60
	v_add_f32_e32 v60, v60, v61
	;; [unrolled: 1-line block ×3, first 2 shown]
	s_waitcnt vmcnt(34)
	v_fmac_f32_e32 v63, v151, v32
	v_fmac_f32_e32 v64, v153, v23
	v_add_f32_e32 v60, v60, v63
	buffer_load_dword v62, off, s[0:3], 0 offset:272
	buffer_load_dword v63, off, s[0:3], 0 offset:276
	v_fmac_f32_e32 v65, v155, v20
	v_add_f32_e32 v60, v60, v64
	v_add_f32_e32 v60, v60, v65
	buffer_load_dword v64, off, s[0:3], 0 offset:280
	buffer_load_dword v65, off, s[0:3], 0 offset:284
	v_fmac_f32_e32 v66, v157, v17
	s_waitcnt vmcnt(34)
	v_fmac_f32_e32 v67, v159, v22
	v_add_f32_e32 v60, v60, v66
	v_add_f32_e32 v60, v60, v67
	ds_read2_b64 v[176:179], v1 offset0:87 offset1:88
	buffer_load_dword v66, off, s[0:3], 0 offset:288
	buffer_load_dword v67, off, s[0:3], 0 offset:292
	v_fmac_f32_e32 v68, v161, v19
	v_fmac_f32_e32 v69, v163, v16
	v_add_f32_e32 v60, v60, v68
	v_fmac_f32_e32 v70, v165, v15
	v_add_f32_e32 v60, v60, v69
	s_waitcnt vmcnt(35)
	v_mul_f32_e32 v61, v166, v18
	v_add_f32_e32 v60, v60, v70
	s_waitcnt vmcnt(31)
	v_fmac_f32_e32 v61, v167, v36
	v_add_f32_e32 v60, v60, v61
	s_waitcnt vmcnt(30) lgkmcnt(2)
	v_mul_f32_e32 v61, v168, v37
	v_fmac_f32_e32 v61, v169, v35
	v_add_f32_e32 v60, v60, v61
	s_waitcnt vmcnt(29)
	v_mul_f32_e32 v61, v170, v38
	v_fmac_f32_e32 v61, v171, v34
	v_add_f32_e32 v60, v60, v61
	s_waitcnt vmcnt(28) lgkmcnt(1)
	v_mul_f32_e32 v61, v172, v39
	v_fmac_f32_e32 v61, v173, v33
	v_add_f32_e32 v60, v60, v61
	s_waitcnt vmcnt(27)
	v_mul_f32_e32 v61, v174, v40
	s_waitcnt vmcnt(21)
	v_fmac_f32_e32 v61, v175, v46
	ds_read2_b64 v[180:183], v1 offset0:89 offset1:90
	v_add_f32_e32 v60, v60, v61
	s_waitcnt vmcnt(20) lgkmcnt(1)
	v_mul_f32_e32 v61, v176, v47
	v_fmac_f32_e32 v61, v177, v45
	v_add_f32_e32 v60, v60, v61
	v_mul_f32_e32 v61, v178, v42
	v_fmac_f32_e32 v61, v179, v41
	v_add_f32_e32 v60, v60, v61
	s_waitcnt lgkmcnt(0)
	v_mul_f32_e32 v61, v180, v44
	v_fmac_f32_e32 v61, v181, v43
	v_add_f32_e32 v60, v60, v61
	buffer_load_dword v61, off, s[0:3], 0 offset:296
	buffer_load_dword v68, off, s[0:3], 0 offset:300
	;; [unrolled: 1-line block ×6, first 2 shown]
	s_waitcnt vmcnt(22)
	v_mul_f32_e32 v73, v182, v49
	v_fmac_f32_e32 v73, v183, v48
	ds_read2_b64 v[184:187], v1 offset0:91 offset1:92
	v_add_f32_e32 v60, v60, v73
	buffer_load_dword v73, off, s[0:3], 0 offset:320
	buffer_load_dword v74, off, s[0:3], 0 offset:324
	ds_read2_b64 v[188:191], v1 offset0:93 offset1:94
	buffer_load_dword v76, off, s[0:3], 0 offset:328
	buffer_load_dword v77, off, s[0:3], 0 offset:332
	;; [unrolled: 1-line block ×14, first 2 shown]
	s_waitcnt vmcnt(36) lgkmcnt(1)
	v_mul_f32_e32 v75, v184, v51
	v_fmac_f32_e32 v75, v185, v50
	v_add_f32_e32 v60, v60, v75
	s_waitcnt vmcnt(34)
	v_mul_f32_e32 v75, v186, v53
	buffer_load_dword v90, off, s[0:3], 0 offset:384
	buffer_load_dword v91, off, s[0:3], 0 offset:388
	v_fmac_f32_e32 v75, v187, v52
	v_add_f32_e32 v60, v60, v75
	s_waitcnt vmcnt(34) lgkmcnt(0)
	v_mul_f32_e32 v75, v188, v55
	v_fmac_f32_e32 v75, v189, v54
	v_add_f32_e32 v60, v60, v75
	s_waitcnt vmcnt(32)
	v_mul_f32_e32 v75, v190, v57
	ds_read2_b64 v[192:195], v1 offset0:95 offset1:96
	v_fmac_f32_e32 v75, v191, v56
	v_add_f32_e32 v60, v60, v75
	buffer_load_dword v75, off, s[0:3], 0 offset:392
	buffer_load_dword v92, off, s[0:3], 0 offset:396
	;; [unrolled: 1-line block ×6, first 2 shown]
	ds_read2_b64 v[196:199], v1 offset0:97 offset1:98
	s_waitcnt vmcnt(36) lgkmcnt(1)
	v_mul_f32_e32 v97, v192, v59
	v_fmac_f32_e32 v97, v193, v58
	v_add_f32_e32 v60, v60, v97
	buffer_load_dword v97, off, s[0:3], 0 offset:416
	buffer_load_dword v98, off, s[0:3], 0 offset:420
	v_mul_f32_e32 v10, v28, v10
	v_fma_f32 v10, v27, v31, -v10
	v_mul_f32_e32 v7, v30, v7
	buffer_load_dword v100, off, s[0:3], 0 offset:424
	buffer_load_dword v101, off, s[0:3], 0 offset:428
	;; [unrolled: 1-line block ×6, first 2 shown]
	v_add_f32_e32 v10, 0, v10
	v_fma_f32 v7, v29, v24, -v7
	v_mul_f32_e32 v6, v149, v6
	v_add_f32_e32 v7, v10, v7
	s_waitcnt vmcnt(42)
	v_mul_f32_e32 v99, v194, v63
	v_fma_f32 v6, v148, v21, -v6
	v_mul_f32_e32 v5, v151, v5
	v_fmac_f32_e32 v99, v195, v62
	v_add_f32_e32 v6, v7, v6
	v_fma_f32 v5, v150, v32, -v5
	v_mul_f32_e32 v4, v153, v4
	v_add_f32_e32 v60, v60, v99
	s_waitcnt vmcnt(40) lgkmcnt(0)
	v_mul_f32_e32 v99, v196, v65
	v_add_f32_e32 v5, v6, v5
	v_fma_f32 v4, v152, v23, -v4
	v_mul_f32_e32 v3, v155, v3
	v_fmac_f32_e32 v99, v197, v64
	v_add_f32_e32 v4, v5, v4
	v_fma_f32 v3, v154, v20, -v3
	v_mul_f32_e32 v2, v157, v2
	v_add_f32_e32 v60, v60, v99
	buffer_load_dword v99, off, s[0:3], 0 offset:448
	buffer_load_dword v249, off, s[0:3], 0 offset:452
	v_add_f32_e32 v3, v4, v3
	v_fma_f32 v2, v156, v17, -v2
	v_add_f32_e32 v2, v3, v2
	v_mul_f32_e32 v3, v159, v11
	v_fma_f32 v3, v158, v22, -v3
	v_add_f32_e32 v2, v2, v3
	v_mul_f32_e32 v3, v161, v12
	;; [unrolled: 3-line block ×3, first 2 shown]
	buffer_load_dword v250, off, s[0:3], 0 offset:456
	buffer_load_dword v251, off, s[0:3], 0 offset:460
	;; [unrolled: 1-line block ×6, first 2 shown]
	v_fma_f32 v3, v162, v16, -v3
	s_waitcnt vmcnt(46)
	v_mul_f32_e32 v204, v198, v67
	v_add_f32_e32 v2, v2, v3
	v_mul_f32_e32 v3, v165, v14
	v_fmac_f32_e32 v204, v199, v66
	v_fma_f32 v3, v164, v15, -v3
	ds_read2_b64 v[200:203], v1 offset0:99 offset1:100
	v_add_f32_e32 v60, v60, v204
	ds_read2_b64 v[204:207], v1 offset0:101 offset1:102
	buffer_load_dword v105, off, s[0:3], 0 offset:480
	buffer_load_dword v106, off, s[0:3], 0 offset:484
	v_add_f32_e32 v2, v2, v3
	v_mul_f32_e32 v3, v167, v18
	v_fma_f32 v3, v166, v36, -v3
	v_add_f32_e32 v2, v2, v3
	v_mul_f32_e32 v3, v169, v37
	v_fma_f32 v3, v168, v35, -v3
	;; [unrolled: 3-line block ×9, first 2 shown]
	v_add_f32_e32 v2, v2, v3
	v_mul_f32_e32 v3, v185, v51
	s_waitcnt vmcnt(46) lgkmcnt(1)
	v_mul_f32_e32 v208, v200, v68
	v_fma_f32 v3, v184, v50, -v3
	v_fmac_f32_e32 v208, v201, v61
	v_add_f32_e32 v2, v2, v3
	v_mul_f32_e32 v3, v187, v53
	v_add_f32_e32 v60, v60, v208
	s_waitcnt vmcnt(45)
	v_mul_f32_e32 v208, v202, v69
	v_fma_f32 v3, v186, v52, -v3
	s_waitcnt vmcnt(42)
	v_fmac_f32_e32 v208, v203, v72
	v_add_f32_e32 v2, v2, v3
	v_mul_f32_e32 v3, v189, v55
	v_add_f32_e32 v60, v60, v208
	s_waitcnt lgkmcnt(0)
	v_mul_f32_e32 v208, v204, v71
	v_fma_f32 v3, v188, v54, -v3
	v_fmac_f32_e32 v208, v205, v70
	v_add_f32_e32 v2, v2, v3
	v_mul_f32_e32 v3, v191, v57
	v_add_f32_e32 v60, v60, v208
	ds_read2_b64 v[208:211], v1 offset0:103 offset1:104
	v_fma_f32 v3, v190, v56, -v3
	v_add_f32_e32 v2, v2, v3
	v_mul_f32_e32 v3, v193, v59
	s_waitcnt vmcnt(40)
	v_mul_f32_e32 v212, v206, v74
	v_fma_f32 v3, v192, v58, -v3
	v_fmac_f32_e32 v212, v207, v73
	v_add_f32_e32 v2, v2, v3
	v_mul_f32_e32 v3, v195, v63
	v_add_f32_e32 v60, v60, v212
	ds_read2_b64 v[212:215], v1 offset0:105 offset1:106
	v_fma_f32 v3, v194, v62, -v3
	s_waitcnt vmcnt(38) lgkmcnt(1)
	v_mul_f32_e32 v216, v208, v77
	v_add_f32_e32 v2, v2, v3
	v_mul_f32_e32 v3, v197, v65
	v_fmac_f32_e32 v216, v209, v76
	v_fma_f32 v3, v196, v64, -v3
	v_add_f32_e32 v60, v60, v216
	s_waitcnt vmcnt(37)
	v_mul_f32_e32 v216, v210, v78
	v_add_f32_e32 v2, v2, v3
	v_mul_f32_e32 v3, v199, v67
	s_waitcnt vmcnt(34)
	v_fmac_f32_e32 v216, v211, v81
	v_fma_f32 v3, v198, v66, -v3
	v_add_f32_e32 v60, v60, v216
	s_waitcnt lgkmcnt(0)
	v_mul_f32_e32 v216, v212, v80
	v_add_f32_e32 v2, v2, v3
	v_mul_f32_e32 v3, v201, v68
	v_fmac_f32_e32 v216, v213, v79
	v_fma_f32 v3, v200, v61, -v3
	v_add_f32_e32 v60, v60, v216
	ds_read2_b64 v[216:219], v1 offset0:107 offset1:108
	v_add_f32_e32 v2, v2, v3
	v_mul_f32_e32 v3, v203, v69
	v_fma_f32 v3, v202, v72, -v3
	s_waitcnt vmcnt(32)
	v_mul_f32_e32 v220, v214, v83
	v_add_f32_e32 v2, v2, v3
	v_mul_f32_e32 v3, v205, v71
	v_fmac_f32_e32 v220, v215, v82
	v_fma_f32 v3, v204, v70, -v3
	v_add_f32_e32 v60, v60, v220
	ds_read2_b64 v[220:223], v1 offset0:109 offset1:110
	v_add_f32_e32 v2, v2, v3
	v_mul_f32_e32 v3, v207, v74
	s_waitcnt vmcnt(30) lgkmcnt(1)
	v_mul_f32_e32 v224, v216, v85
	v_fma_f32 v3, v206, v73, -v3
	v_fmac_f32_e32 v224, v217, v84
	v_add_f32_e32 v2, v2, v3
	v_mul_f32_e32 v3, v209, v77
	v_add_f32_e32 v60, v60, v224
	s_waitcnt vmcnt(29)
	v_mul_f32_e32 v224, v218, v86
	v_fma_f32 v3, v208, v76, -v3
	s_waitcnt vmcnt(26)
	v_fmac_f32_e32 v224, v219, v89
	v_add_f32_e32 v2, v2, v3
	v_mul_f32_e32 v3, v211, v78
	v_add_f32_e32 v60, v60, v224
	s_waitcnt lgkmcnt(0)
	v_mul_f32_e32 v224, v220, v88
	v_fma_f32 v3, v210, v81, -v3
	v_fmac_f32_e32 v224, v221, v87
	v_add_f32_e32 v2, v2, v3
	v_mul_f32_e32 v3, v213, v80
	v_add_f32_e32 v60, v60, v224
	ds_read2_b64 v[224:227], v1 offset0:111 offset1:112
	v_fma_f32 v3, v212, v79, -v3
	v_add_f32_e32 v2, v2, v3
	v_mul_f32_e32 v3, v215, v83
	s_waitcnt vmcnt(24)
	v_mul_f32_e32 v228, v222, v91
	v_fma_f32 v3, v214, v82, -v3
	v_fmac_f32_e32 v228, v223, v90
	v_add_f32_e32 v2, v2, v3
	v_mul_f32_e32 v3, v217, v85
	v_add_f32_e32 v60, v60, v228
	ds_read2_b64 v[228:231], v1 offset0:113 offset1:114
	v_fma_f32 v3, v216, v84, -v3
	s_waitcnt vmcnt(22) lgkmcnt(1)
	v_mul_f32_e32 v232, v224, v92
	v_add_f32_e32 v2, v2, v3
	v_mul_f32_e32 v3, v219, v86
	v_fmac_f32_e32 v232, v225, v75
	v_fma_f32 v3, v218, v89, -v3
	v_add_f32_e32 v60, v60, v232
	s_waitcnt vmcnt(21)
	v_mul_f32_e32 v232, v226, v93
	v_add_f32_e32 v2, v2, v3
	v_mul_f32_e32 v3, v221, v88
	s_waitcnt vmcnt(18)
	v_fmac_f32_e32 v232, v227, v96
	v_fma_f32 v3, v220, v87, -v3
	v_add_f32_e32 v60, v60, v232
	s_waitcnt lgkmcnt(0)
	v_mul_f32_e32 v232, v228, v95
	v_add_f32_e32 v2, v2, v3
	v_mul_f32_e32 v3, v223, v91
	v_fmac_f32_e32 v232, v229, v94
	v_fma_f32 v3, v222, v90, -v3
	v_add_f32_e32 v60, v60, v232
	ds_read2_b64 v[232:235], v1 offset0:115 offset1:116
	v_add_f32_e32 v2, v2, v3
	v_mul_f32_e32 v3, v225, v92
	v_fma_f32 v3, v224, v75, -v3
	s_waitcnt vmcnt(16)
	v_mul_f32_e32 v236, v230, v98
	v_add_f32_e32 v2, v2, v3
	v_mul_f32_e32 v3, v227, v93
	v_fmac_f32_e32 v236, v231, v97
	v_fma_f32 v3, v226, v96, -v3
	v_add_f32_e32 v60, v60, v236
	ds_read2_b64 v[236:239], v1 offset0:117 offset1:118
	v_add_f32_e32 v2, v2, v3
	v_mul_f32_e32 v3, v229, v95
	s_waitcnt vmcnt(14) lgkmcnt(1)
	v_mul_f32_e32 v240, v232, v101
	v_fma_f32 v3, v228, v94, -v3
	v_fmac_f32_e32 v240, v233, v100
	v_add_f32_e32 v2, v2, v3
	v_mul_f32_e32 v3, v231, v98
	v_add_f32_e32 v60, v60, v240
	s_waitcnt vmcnt(13)
	v_mul_f32_e32 v240, v234, v102
	v_fma_f32 v3, v230, v97, -v3
	s_waitcnt vmcnt(10)
	v_fmac_f32_e32 v240, v235, v248
	v_add_f32_e32 v2, v2, v3
	v_mul_f32_e32 v3, v233, v101
	v_add_f32_e32 v60, v60, v240
	s_waitcnt lgkmcnt(0)
	v_mul_f32_e32 v240, v236, v104
	v_fma_f32 v3, v232, v100, -v3
	v_fmac_f32_e32 v240, v237, v103
	v_add_f32_e32 v2, v2, v3
	v_mul_f32_e32 v3, v235, v102
	v_add_f32_e32 v60, v60, v240
	ds_read2_b64 v[240:243], v1 offset0:119 offset1:120
	v_fma_f32 v3, v234, v248, -v3
	v_add_f32_e32 v2, v2, v3
	v_mul_f32_e32 v3, v237, v104
	s_waitcnt vmcnt(8)
	v_mul_f32_e32 v244, v238, v249
	v_fma_f32 v3, v236, v103, -v3
	v_fmac_f32_e32 v244, v239, v99
	v_add_f32_e32 v2, v2, v3
	v_mul_f32_e32 v3, v239, v249
	v_add_f32_e32 v60, v60, v244
	ds_read2_b64 v[244:247], v1 offset0:121 offset1:122
	v_fma_f32 v3, v238, v99, -v3
	v_add_f32_e32 v2, v2, v3
	s_waitcnt vmcnt(6) lgkmcnt(1)
	v_mul_f32_e32 v3, v241, v251
	v_mul_f32_e32 v1, v240, v251
	v_fma_f32 v3, v240, v250, -v3
	v_fmac_f32_e32 v1, v241, v250
	v_add_f32_e32 v2, v2, v3
	s_waitcnt vmcnt(5)
	v_mul_f32_e32 v3, v243, v252
	v_add_f32_e32 v1, v60, v1
	v_mul_f32_e32 v60, v242, v252
	s_waitcnt vmcnt(2)
	v_fma_f32 v3, v242, v255, -v3
	v_fmac_f32_e32 v60, v243, v255
	v_add_f32_e32 v2, v2, v3
	s_waitcnt lgkmcnt(0)
	v_mul_f32_e32 v3, v245, v254
	v_add_f32_e32 v1, v1, v60
	v_mul_f32_e32 v60, v244, v254
	v_fma_f32 v3, v244, v253, -v3
	v_fmac_f32_e32 v60, v245, v253
	v_add_f32_e32 v2, v2, v3
	s_waitcnt vmcnt(0)
	v_mul_f32_e32 v3, v247, v106
	v_add_f32_e32 v1, v1, v60
	v_mul_f32_e32 v60, v246, v106
	v_fma_f32 v3, v246, v105, -v3
	v_fmac_f32_e32 v60, v247, v105
	v_add_f32_e32 v2, v2, v3
	v_add_f32_e32 v1, v1, v60
	v_sub_f32_e32 v2, v8, v2
	v_sub_f32_e32 v1, v9, v1
	buffer_store_dword v2, off, s[0:3], 0 offset:64
	buffer_store_dword v1, off, s[0:3], 0 offset:68
	s_and_saveexec_b64 s[4:5], vcc
	s_cbranch_execz .LBB124_365
; %bb.364:
	buffer_load_dword v1, off, s[0:3], 0 offset:56
	buffer_load_dword v2, off, s[0:3], 0 offset:60
	v_mov_b32_e32 v3, 0
	buffer_store_dword v3, off, s[0:3], 0 offset:56
	buffer_store_dword v3, off, s[0:3], 0 offset:60
	s_waitcnt vmcnt(2)
	ds_write_b64 v147, v[1:2]
.LBB124_365:
	s_or_b64 exec, exec, s[4:5]
	s_waitcnt lgkmcnt(0)
	; wave barrier
	buffer_load_dword v10, off, s[0:3], 0 offset:68
	buffer_load_dword v9, off, s[0:3], 0 offset:76
	;; [unrolled: 1-line block ×40, first 2 shown]
	v_mov_b32_e32 v1, 0
	buffer_load_dword v45, off, s[0:3], 0 offset:216
	buffer_load_dword v46, off, s[0:3], 0 offset:220
	;; [unrolled: 1-line block ×11, first 2 shown]
	ds_read_b128 v[27:30], v1 offset:560
	ds_read_b128 v[161:164], v1 offset:576
	;; [unrolled: 1-line block ×8, first 2 shown]
	v_cmp_lt_u32_e32 vcc, 6, v0
	s_waitcnt vmcnt(50) lgkmcnt(7)
	v_mul_f32_e32 v31, v27, v10
	s_waitcnt vmcnt(49)
	v_mul_f32_e32 v32, v29, v9
	s_waitcnt vmcnt(48) lgkmcnt(6)
	v_mul_f32_e32 v33, v161, v8
	s_waitcnt vmcnt(47)
	v_mul_f32_e32 v34, v163, v7
	s_waitcnt vmcnt(46) lgkmcnt(5)
	v_mul_f32_e32 v35, v165, v6
	s_waitcnt vmcnt(45)
	v_mul_f32_e32 v36, v167, v5
	s_waitcnt vmcnt(44) lgkmcnt(4)
	v_mul_f32_e32 v37, v169, v4
	s_waitcnt vmcnt(43)
	v_mul_f32_e32 v38, v171, v11
	s_waitcnt vmcnt(42) lgkmcnt(3)
	v_mul_f32_e32 v39, v173, v12
	s_waitcnt vmcnt(41)
	v_mul_f32_e32 v40, v175, v13
	s_waitcnt vmcnt(40) lgkmcnt(2)
	v_mul_f32_e32 v56, v177, v14
	s_waitcnt vmcnt(39)
	v_fmac_f32_e32 v33, v162, v21
	s_waitcnt vmcnt(38)
	v_fmac_f32_e32 v32, v30, v24
	;; [unrolled: 2-line block ×3, first 2 shown]
	v_add_f32_e32 v31, 0, v31
	v_add_f32_e32 v31, v31, v32
	;; [unrolled: 1-line block ×3, first 2 shown]
	s_waitcnt vmcnt(33)
	v_fmac_f32_e32 v34, v164, v148
	v_fmac_f32_e32 v35, v166, v23
	v_add_f32_e32 v31, v31, v34
	v_fmac_f32_e32 v36, v168, v20
	v_add_f32_e32 v31, v31, v35
	;; [unrolled: 2-line block ×3, first 2 shown]
	s_waitcnt vmcnt(29)
	v_fmac_f32_e32 v38, v172, v22
	v_add_f32_e32 v31, v31, v37
	v_fmac_f32_e32 v39, v174, v19
	v_add_f32_e32 v31, v31, v38
	;; [unrolled: 2-line block ×4, first 2 shown]
	v_add_f32_e32 v31, v31, v56
	buffer_load_dword v56, off, s[0:3], 0 offset:256
	buffer_load_dword v57, off, s[0:3], 0 offset:264
	;; [unrolled: 1-line block ×5, first 2 shown]
	ds_read_b128 v[189:192], v1 offset:688
	buffer_load_dword v61, off, s[0:3], 0 offset:280
	buffer_load_dword v62, off, s[0:3], 0 offset:284
	ds_read_b128 v[193:196], v1 offset:704
	buffer_load_dword v63, off, s[0:3], 0 offset:288
	buffer_load_dword v64, off, s[0:3], 0 offset:292
	;; [unrolled: 3-line block ×3, first 2 shown]
	buffer_load_dword v67, off, s[0:3], 0 offset:308
	buffer_load_dword v68, off, s[0:3], 0 offset:296
	ds_read_b128 v[201:204], v1 offset:736
	buffer_load_dword v69, off, s[0:3], 0 offset:312
	buffer_load_dword v70, off, s[0:3], 0 offset:316
	;; [unrolled: 1-line block ×16, first 2 shown]
	ds_read_b128 v[205:208], v1 offset:752
	buffer_load_dword v85, off, s[0:3], 0 offset:376
	buffer_load_dword v86, off, s[0:3], 0 offset:380
	ds_read_b128 v[209:212], v1 offset:768
	buffer_load_dword v87, off, s[0:3], 0 offset:384
	buffer_load_dword v88, off, s[0:3], 0 offset:388
	buffer_load_dword v89, off, s[0:3], 0 offset:396
	buffer_load_dword v90, off, s[0:3], 0 offset:400
	buffer_load_dword v91, off, s[0:3], 0 offset:404
	buffer_load_dword v92, off, s[0:3], 0 offset:392
	buffer_load_dword v93, off, s[0:3], 0 offset:408
	buffer_load_dword v94, off, s[0:3], 0 offset:412
	v_mul_f32_e32 v10, v28, v10
	buffer_load_dword v95, off, s[0:3], 0 offset:416
	buffer_load_dword v96, off, s[0:3], 0 offset:420
	;; [unrolled: 1-line block ×6, first 2 shown]
	v_fma_f32 v10, v27, v149, -v10
	v_mul_f32_e32 v9, v30, v9
	v_add_f32_e32 v10, 0, v10
	v_fma_f32 v9, v29, v24, -v9
	v_mul_f32_e32 v8, v162, v8
	v_add_f32_e32 v9, v10, v9
	;; [unrolled: 3-line block ×5, first 2 shown]
	v_fma_f32 v5, v167, v20, -v5
	v_mul_f32_e32 v4, v170, v4
	buffer_load_dword v101, off, s[0:3], 0 offset:440
	buffer_load_dword v102, off, s[0:3], 0 offset:444
	v_add_f32_e32 v5, v6, v5
	v_fma_f32 v4, v169, v17, -v4
	v_add_f32_e32 v4, v5, v4
	v_mul_f32_e32 v5, v172, v11
	v_fma_f32 v5, v171, v22, -v5
	v_add_f32_e32 v4, v4, v5
	v_mul_f32_e32 v5, v174, v12
	v_fma_f32 v5, v173, v19, -v5
	s_waitcnt vmcnt(62)
	v_mul_f32_e32 v32, v179, v18
	ds_read_b128 v[213:216], v1 offset:784
	buffer_load_dword v103, off, s[0:3], 0 offset:448
	buffer_load_dword v104, off, s[0:3], 0 offset:452
	buffer_load_dword v105, off, s[0:3], 0 offset:460
	buffer_load_dword v106, off, s[0:3], 0 offset:464
	buffer_load_dword v253, off, s[0:3], 0 offset:468
	buffer_load_dword v254, off, s[0:3], 0 offset:456
	v_add_f32_e32 v4, v4, v5
	v_mul_f32_e32 v5, v176, v13
	v_fmac_f32_e32 v32, v180, v156
	v_fma_f32 v5, v175, v16, -v5
	v_add_f32_e32 v31, v31, v32
	s_waitcnt lgkmcnt(8)
	v_mul_f32_e32 v32, v181, v155
	v_add_f32_e32 v4, v4, v5
	v_mul_f32_e32 v5, v178, v14
	v_fmac_f32_e32 v32, v182, v153
	v_fma_f32 v5, v177, v15, -v5
	v_add_f32_e32 v31, v31, v32
	v_mul_f32_e32 v32, v183, v154
	v_add_f32_e32 v4, v4, v5
	v_mul_f32_e32 v5, v180, v18
	v_fmac_f32_e32 v32, v184, v151
	ds_read_b128 v[217:220], v1 offset:800
	buffer_load_dword v255, off, s[0:3], 0 offset:476
	buffer_load_dword v107, off, s[0:3], 0 offset:480
	;; [unrolled: 1-line block ×4, first 2 shown]
	v_fma_f32 v5, v179, v156, -v5
	v_add_f32_e32 v31, v31, v32
	s_waitcnt lgkmcnt(8)
	v_mul_f32_e32 v32, v185, v152
	v_add_f32_e32 v4, v4, v5
	v_mul_f32_e32 v5, v182, v155
	v_fmac_f32_e32 v32, v186, v150
	v_fma_f32 v5, v181, v153, -v5
	v_add_f32_e32 v31, v31, v32
	v_mul_f32_e32 v32, v187, v157
	v_add_f32_e32 v4, v4, v5
	v_mul_f32_e32 v5, v184, v154
	s_waitcnt vmcnt(62)
	v_fmac_f32_e32 v32, v188, v44
	v_fma_f32 v5, v183, v151, -v5
	v_add_f32_e32 v31, v31, v32
	s_waitcnt lgkmcnt(7)
	v_mul_f32_e32 v32, v189, v159
	v_add_f32_e32 v4, v4, v5
	v_mul_f32_e32 v5, v186, v152
	v_fmac_f32_e32 v32, v190, v158
	v_fma_f32 v5, v185, v150, -v5
	v_add_f32_e32 v31, v31, v32
	v_mul_f32_e32 v32, v191, v41
	v_add_f32_e32 v4, v4, v5
	v_mul_f32_e32 v5, v188, v157
	v_fmac_f32_e32 v32, v192, v160
	v_fma_f32 v5, v187, v44, -v5
	v_add_f32_e32 v31, v31, v32
	s_waitcnt lgkmcnt(6)
	v_mul_f32_e32 v32, v193, v43
	v_add_f32_e32 v4, v4, v5
	v_mul_f32_e32 v5, v190, v159
	v_fmac_f32_e32 v32, v194, v42
	v_fma_f32 v5, v189, v158, -v5
	v_add_f32_e32 v31, v31, v32
	v_mul_f32_e32 v32, v195, v46
	v_add_f32_e32 v4, v4, v5
	v_mul_f32_e32 v5, v192, v41
	;; [unrolled: 13-line block ×3, first 2 shown]
	v_fmac_f32_e32 v32, v200, v49
	v_fma_f32 v5, v195, v45, -v5
	v_add_f32_e32 v31, v31, v32
	s_waitcnt vmcnt(60) lgkmcnt(4)
	v_mul_f32_e32 v32, v201, v52
	v_add_f32_e32 v4, v4, v5
	v_mul_f32_e32 v5, v198, v48
	v_fmac_f32_e32 v32, v202, v51
	v_fma_f32 v5, v197, v47, -v5
	v_add_f32_e32 v31, v31, v32
	s_waitcnt vmcnt(58)
	v_mul_f32_e32 v32, v203, v54
	v_add_f32_e32 v4, v4, v5
	v_mul_f32_e32 v5, v200, v50
	v_fmac_f32_e32 v32, v204, v53
	v_fma_f32 v5, v199, v49, -v5
	v_add_f32_e32 v31, v31, v32
	s_waitcnt vmcnt(57) lgkmcnt(3)
	v_mul_f32_e32 v32, v205, v55
	v_add_f32_e32 v4, v4, v5
	v_mul_f32_e32 v5, v202, v52
	s_waitcnt vmcnt(56)
	v_fmac_f32_e32 v32, v206, v56
	v_fma_f32 v5, v201, v51, -v5
	v_add_f32_e32 v31, v31, v32
	s_waitcnt vmcnt(54)
	v_mul_f32_e32 v32, v207, v58
	v_add_f32_e32 v4, v4, v5
	v_mul_f32_e32 v5, v204, v54
	v_fmac_f32_e32 v32, v208, v57
	v_fma_f32 v5, v203, v53, -v5
	v_add_f32_e32 v31, v31, v32
	s_waitcnt vmcnt(52) lgkmcnt(2)
	v_mul_f32_e32 v32, v209, v60
	v_add_f32_e32 v4, v4, v5
	v_mul_f32_e32 v5, v206, v55
	v_fmac_f32_e32 v32, v210, v59
	v_fma_f32 v5, v205, v56, -v5
	v_add_f32_e32 v31, v31, v32
	s_waitcnt vmcnt(50)
	v_mul_f32_e32 v32, v211, v62
	v_add_f32_e32 v4, v4, v5
	v_mul_f32_e32 v5, v208, v58
	v_fmac_f32_e32 v32, v212, v61
	v_fma_f32 v5, v207, v57, -v5
	v_add_f32_e32 v31, v31, v32
	s_waitcnt vmcnt(48) lgkmcnt(1)
	v_mul_f32_e32 v32, v213, v64
	v_add_f32_e32 v4, v4, v5
	v_mul_f32_e32 v5, v210, v60
	v_fmac_f32_e32 v32, v214, v63
	v_fma_f32 v5, v209, v59, -v5
	v_add_f32_e32 v31, v31, v32
	s_waitcnt vmcnt(47)
	v_mul_f32_e32 v32, v215, v65
	v_add_f32_e32 v4, v4, v5
	v_mul_f32_e32 v5, v212, v62
	s_waitcnt vmcnt(44)
	v_fmac_f32_e32 v32, v216, v68
	ds_read_b128 v[221:224], v1 offset:816
	ds_read_b128 v[225:228], v1 offset:832
	v_fma_f32 v5, v211, v61, -v5
	v_add_f32_e32 v31, v31, v32
	s_waitcnt lgkmcnt(2)
	v_mul_f32_e32 v32, v217, v67
	v_add_f32_e32 v4, v4, v5
	v_mul_f32_e32 v5, v214, v64
	v_fmac_f32_e32 v32, v218, v66
	v_fma_f32 v5, v213, v63, -v5
	v_add_f32_e32 v31, v31, v32
	s_waitcnt vmcnt(42)
	v_mul_f32_e32 v32, v219, v70
	v_add_f32_e32 v4, v4, v5
	v_mul_f32_e32 v5, v216, v65
	v_fmac_f32_e32 v32, v220, v69
	v_fma_f32 v5, v215, v68, -v5
	v_add_f32_e32 v31, v31, v32
	s_waitcnt vmcnt(40) lgkmcnt(1)
	v_mul_f32_e32 v32, v221, v72
	v_add_f32_e32 v4, v4, v5
	v_mul_f32_e32 v5, v218, v67
	v_fmac_f32_e32 v32, v222, v71
	v_fma_f32 v5, v217, v66, -v5
	v_add_f32_e32 v31, v31, v32
	s_waitcnt vmcnt(39)
	v_mul_f32_e32 v32, v223, v73
	v_add_f32_e32 v4, v4, v5
	v_mul_f32_e32 v5, v220, v70
	s_waitcnt vmcnt(36)
	v_fmac_f32_e32 v32, v224, v76
	ds_read_b128 v[229:232], v1 offset:848
	ds_read_b128 v[233:236], v1 offset:864
	v_fma_f32 v5, v219, v69, -v5
	v_add_f32_e32 v31, v31, v32
	s_waitcnt lgkmcnt(2)
	;; [unrolled: 31-line block ×4, first 2 shown]
	v_mul_f32_e32 v32, v241, v91
	v_add_f32_e32 v4, v4, v5
	v_mul_f32_e32 v5, v238, v88
	v_fmac_f32_e32 v32, v242, v90
	v_fma_f32 v5, v237, v87, -v5
	v_add_f32_e32 v31, v31, v32
	s_waitcnt vmcnt(18)
	v_mul_f32_e32 v32, v243, v94
	v_add_f32_e32 v4, v4, v5
	v_mul_f32_e32 v5, v240, v89
	v_fmac_f32_e32 v32, v244, v93
	v_fma_f32 v5, v239, v92, -v5
	v_add_f32_e32 v31, v31, v32
	s_waitcnt vmcnt(16) lgkmcnt(1)
	v_mul_f32_e32 v32, v245, v96
	v_add_f32_e32 v4, v4, v5
	v_mul_f32_e32 v5, v242, v91
	v_fmac_f32_e32 v32, v246, v95
	v_fma_f32 v5, v241, v90, -v5
	v_add_f32_e32 v31, v31, v32
	s_waitcnt vmcnt(15)
	v_mul_f32_e32 v32, v247, v97
	v_add_f32_e32 v4, v4, v5
	v_mul_f32_e32 v5, v244, v94
	s_waitcnt vmcnt(12)
	v_fmac_f32_e32 v32, v248, v100
	v_fma_f32 v5, v243, v93, -v5
	v_add_f32_e32 v31, v31, v32
	s_waitcnt lgkmcnt(0)
	v_mul_f32_e32 v32, v249, v99
	v_add_f32_e32 v4, v4, v5
	v_mul_f32_e32 v5, v246, v96
	v_fmac_f32_e32 v32, v250, v98
	v_fma_f32 v5, v245, v95, -v5
	v_add_f32_e32 v35, v31, v32
	ds_read_b128 v[31:34], v1 offset:944
	v_add_f32_e32 v4, v4, v5
	v_mul_f32_e32 v5, v248, v97
	v_fma_f32 v5, v247, v100, -v5
	v_add_f32_e32 v4, v4, v5
	v_mul_f32_e32 v5, v250, v99
	s_waitcnt vmcnt(10)
	v_mul_f32_e32 v36, v251, v102
	v_fma_f32 v5, v249, v98, -v5
	v_fmac_f32_e32 v36, v252, v101
	v_add_f32_e32 v4, v4, v5
	v_mul_f32_e32 v5, v252, v102
	v_add_f32_e32 v39, v35, v36
	ds_read_b128 v[35:38], v1 offset:960
	s_waitcnt vmcnt(8) lgkmcnt(1)
	v_mul_f32_e32 v40, v31, v104
	v_fma_f32 v5, v251, v101, -v5
	v_fmac_f32_e32 v40, v32, v103
	v_add_f32_e32 v4, v4, v5
	v_mul_f32_e32 v5, v32, v104
	v_add_f32_e32 v39, v39, v40
	s_waitcnt vmcnt(7)
	v_mul_f32_e32 v40, v33, v105
	v_fma_f32 v5, v31, v103, -v5
	s_waitcnt vmcnt(4)
	v_fmac_f32_e32 v40, v34, v254
	v_add_f32_e32 v4, v4, v5
	v_mul_f32_e32 v5, v34, v105
	v_add_f32_e32 v110, v39, v40
	ds_read_b64 v[39:40], v1 offset:976
	v_fma_f32 v5, v33, v254, -v5
	v_add_f32_e32 v4, v4, v5
	s_waitcnt lgkmcnt(1)
	v_mul_f32_e32 v5, v36, v253
	v_mul_f32_e32 v111, v35, v253
	v_fma_f32 v5, v35, v106, -v5
	v_fmac_f32_e32 v111, v36, v106
	v_add_f32_e32 v4, v4, v5
	s_waitcnt vmcnt(3)
	v_mul_f32_e32 v5, v38, v255
	v_add_f32_e32 v110, v110, v111
	v_mul_f32_e32 v111, v37, v255
	s_waitcnt vmcnt(0)
	v_fma_f32 v5, v37, v109, -v5
	v_fmac_f32_e32 v111, v38, v109
	v_add_f32_e32 v4, v4, v5
	s_waitcnt lgkmcnt(0)
	v_mul_f32_e32 v5, v40, v108
	v_add_f32_e32 v110, v110, v111
	v_mul_f32_e32 v111, v39, v108
	v_fma_f32 v5, v39, v107, -v5
	v_fmac_f32_e32 v111, v40, v107
	v_add_f32_e32 v4, v4, v5
	v_add_f32_e32 v110, v110, v111
	v_sub_f32_e32 v2, v2, v4
	v_sub_f32_e32 v3, v3, v110
	buffer_store_dword v2, off, s[0:3], 0 offset:56
	buffer_store_dword v3, off, s[0:3], 0 offset:60
	s_and_saveexec_b64 s[4:5], vcc
	s_cbranch_execz .LBB124_367
; %bb.366:
	buffer_load_dword v2, off, s[0:3], 0 offset:48
	buffer_load_dword v3, off, s[0:3], 0 offset:52
	s_waitcnt vmcnt(0)
	ds_write_b64 v147, v[2:3]
	buffer_store_dword v1, off, s[0:3], 0 offset:48
	buffer_store_dword v1, off, s[0:3], 0 offset:52
.LBB124_367:
	s_or_b64 exec, exec, s[4:5]
	s_waitcnt lgkmcnt(0)
	; wave barrier
	buffer_load_dword v10, off, s[0:3], 0 offset:60
	buffer_load_dword v9, off, s[0:3], 0 offset:68
	;; [unrolled: 1-line block ×40, first 2 shown]
	ds_read2_b64 v[27:30], v1 offset0:69 offset1:70
	ds_read2_b64 v[31:34], v1 offset0:71 offset1:72
	;; [unrolled: 1-line block ×6, first 2 shown]
	buffer_load_dword v46, off, s[0:3], 0 offset:208
	buffer_load_dword v47, off, s[0:3], 0 offset:212
	;; [unrolled: 1-line block ×12, first 2 shown]
	ds_read2_b64 v[170:173], v1 offset0:81 offset1:82
	ds_read2_b64 v[174:177], v1 offset0:83 offset1:84
	v_cmp_lt_u32_e32 vcc, 5, v0
	s_waitcnt vmcnt(51) lgkmcnt(7)
	v_mul_f32_e32 v58, v27, v10
	s_waitcnt vmcnt(50)
	v_mul_f32_e32 v59, v29, v9
	s_waitcnt vmcnt(49) lgkmcnt(6)
	v_mul_f32_e32 v60, v31, v8
	s_waitcnt vmcnt(48)
	v_mul_f32_e32 v61, v33, v7
	;; [unrolled: 4-line block ×5, first 2 shown]
	s_waitcnt vmcnt(41) lgkmcnt(2)
	v_mul_f32_e32 v68, v166, v14
	s_waitcnt vmcnt(40)
	v_fmac_f32_e32 v60, v32, v21
	s_waitcnt vmcnt(39)
	v_fmac_f32_e32 v59, v30, v24
	;; [unrolled: 2-line block ×3, first 2 shown]
	v_add_f32_e32 v58, 0, v58
	v_add_f32_e32 v58, v58, v59
	;; [unrolled: 1-line block ×3, first 2 shown]
	s_waitcnt vmcnt(34)
	v_fmac_f32_e32 v61, v34, v148
	v_fmac_f32_e32 v62, v36, v23
	v_add_f32_e32 v58, v58, v61
	v_fmac_f32_e32 v63, v38, v20
	v_add_f32_e32 v58, v58, v62
	;; [unrolled: 2-line block ×3, first 2 shown]
	s_waitcnt vmcnt(30)
	v_fmac_f32_e32 v65, v161, v22
	v_add_f32_e32 v58, v58, v64
	v_fmac_f32_e32 v66, v163, v19
	v_add_f32_e32 v58, v58, v65
	;; [unrolled: 2-line block ×4, first 2 shown]
	s_waitcnt vmcnt(29)
	v_mul_f32_e32 v59, v168, v18
	v_add_f32_e32 v58, v58, v68
	s_waitcnt vmcnt(25)
	v_fmac_f32_e32 v59, v169, v156
	v_add_f32_e32 v58, v58, v59
	s_waitcnt vmcnt(24) lgkmcnt(1)
	v_mul_f32_e32 v59, v170, v155
	buffer_load_dword v60, off, s[0:3], 0 offset:260
	buffer_load_dword v61, off, s[0:3], 0 offset:256
	;; [unrolled: 1-line block ×4, first 2 shown]
	v_fmac_f32_e32 v59, v171, v153
	v_add_f32_e32 v58, v58, v59
	s_waitcnt vmcnt(27)
	v_mul_f32_e32 v59, v172, v154
	v_fmac_f32_e32 v59, v173, v151
	v_add_f32_e32 v58, v58, v59
	buffer_load_dword v59, off, s[0:3], 0 offset:272
	buffer_load_dword v64, off, s[0:3], 0 offset:276
	ds_read2_b64 v[178:181], v1 offset0:85 offset1:86
	ds_read2_b64 v[182:185], v1 offset0:87 offset1:88
	s_waitcnt vmcnt(28) lgkmcnt(2)
	v_mul_f32_e32 v65, v174, v152
	v_fmac_f32_e32 v65, v175, v150
	v_add_f32_e32 v58, v58, v65
	s_waitcnt vmcnt(27)
	v_mul_f32_e32 v65, v176, v157
	s_waitcnt vmcnt(21)
	v_fmac_f32_e32 v65, v177, v44
	v_add_f32_e32 v58, v58, v65
	s_waitcnt vmcnt(20) lgkmcnt(1)
	v_mul_f32_e32 v65, v178, v45
	v_fmac_f32_e32 v65, v179, v43
	v_add_f32_e32 v58, v58, v65
	v_mul_f32_e32 v65, v180, v40
	buffer_load_dword v66, off, s[0:3], 0 offset:284
	v_fmac_f32_e32 v65, v181, v39
	buffer_load_dword v67, off, s[0:3], 0 offset:280
	buffer_load_dword v68, off, s[0:3], 0 offset:288
	;; [unrolled: 1-line block ×3, first 2 shown]
	ds_read2_b64 v[186:189], v1 offset0:89 offset1:90
	v_add_f32_e32 v58, v58, v65
	s_waitcnt lgkmcnt(1)
	v_mul_f32_e32 v65, v182, v42
	v_fmac_f32_e32 v65, v183, v41
	v_add_f32_e32 v58, v58, v65
	s_waitcnt vmcnt(20)
	v_mul_f32_e32 v65, v184, v47
	v_fmac_f32_e32 v65, v185, v46
	buffer_load_dword v70, off, s[0:3], 0 offset:296
	buffer_load_dword v71, off, s[0:3], 0 offset:300
	v_add_f32_e32 v58, v58, v65
	s_waitcnt vmcnt(20) lgkmcnt(0)
	v_mul_f32_e32 v65, v186, v49
	v_fmac_f32_e32 v65, v187, v48
	ds_read2_b64 v[190:193], v1 offset0:91 offset1:92
	v_add_f32_e32 v58, v58, v65
	buffer_load_dword v65, off, s[0:3], 0 offset:304
	buffer_load_dword v72, off, s[0:3], 0 offset:308
	s_waitcnt vmcnt(20)
	v_mul_f32_e32 v73, v188, v51
	v_fmac_f32_e32 v73, v189, v50
	buffer_load_dword v74, off, s[0:3], 0 offset:312
	buffer_load_dword v75, off, s[0:3], 0 offset:316
	;; [unrolled: 1-line block ×6, first 2 shown]
	v_add_f32_e32 v58, v58, v73
	s_waitcnt vmcnt(24) lgkmcnt(0)
	v_mul_f32_e32 v73, v190, v53
	v_fmac_f32_e32 v73, v191, v52
	v_add_f32_e32 v58, v58, v73
	buffer_load_dword v73, off, s[0:3], 0 offset:336
	buffer_load_dword v80, off, s[0:3], 0 offset:340
	ds_read2_b64 v[194:197], v1 offset0:93 offset1:94
	buffer_load_dword v82, off, s[0:3], 0 offset:344
	buffer_load_dword v83, off, s[0:3], 0 offset:348
	;; [unrolled: 1-line block ×6, first 2 shown]
	ds_read2_b64 v[198:201], v1 offset0:95 offset1:96
	buffer_load_dword v88, off, s[0:3], 0 offset:368
	buffer_load_dword v89, off, s[0:3], 0 offset:372
	s_waitcnt vmcnt(32)
	v_mul_f32_e32 v81, v192, v55
	v_fmac_f32_e32 v81, v193, v54
	v_add_f32_e32 v58, v58, v81
	s_waitcnt vmcnt(30) lgkmcnt(1)
	v_mul_f32_e32 v81, v194, v57
	v_fmac_f32_e32 v81, v195, v56
	v_add_f32_e32 v58, v58, v81
	buffer_load_dword v81, off, s[0:3], 0 offset:376
	buffer_load_dword v90, off, s[0:3], 0 offset:380
	;; [unrolled: 1-line block ×8, first 2 shown]
	v_mul_f32_e32 v10, v28, v10
	v_fma_f32 v10, v27, v149, -v10
	v_mul_f32_e32 v9, v30, v9
	v_add_f32_e32 v10, 0, v10
	v_fma_f32 v9, v29, v24, -v9
	v_mul_f32_e32 v8, v32, v8
	v_add_f32_e32 v9, v10, v9
	;; [unrolled: 3-line block ×6, first 2 shown]
	v_fma_f32 v2, v158, v17, -v2
	v_add_f32_e32 v2, v3, v2
	s_waitcnt vmcnt(37)
	v_mul_f32_e32 v95, v196, v60
	s_waitcnt vmcnt(36)
	v_fmac_f32_e32 v95, v197, v61
	v_add_f32_e32 v58, v58, v95
	s_waitcnt vmcnt(34) lgkmcnt(0)
	v_mul_f32_e32 v95, v198, v63
	v_fmac_f32_e32 v95, v199, v62
	v_add_f32_e32 v58, v58, v95
	buffer_load_dword v95, off, s[0:3], 0 offset:408
	buffer_load_dword v98, off, s[0:3], 0 offset:412
	;; [unrolled: 1-line block ×6, first 2 shown]
	ds_read2_b64 v[202:205], v1 offset0:97 offset1:98
	v_mul_f32_e32 v3, v161, v11
	s_waitcnt vmcnt(38)
	v_mul_f32_e32 v103, v200, v64
	v_fmac_f32_e32 v103, v201, v59
	v_add_f32_e32 v58, v58, v103
	buffer_load_dword v103, off, s[0:3], 0 offset:432
	buffer_load_dword v104, off, s[0:3], 0 offset:436
	v_fma_f32 v3, v160, v22, -v3
	v_add_f32_e32 v2, v2, v3
	v_mul_f32_e32 v3, v163, v12
	v_fma_f32 v3, v162, v19, -v3
	v_add_f32_e32 v2, v2, v3
	v_mul_f32_e32 v3, v165, v13
	ds_read2_b64 v[206:209], v1 offset0:99 offset1:100
	buffer_load_dword v106, off, s[0:3], 0 offset:440
	buffer_load_dword v107, off, s[0:3], 0 offset:444
	;; [unrolled: 1-line block ×6, first 2 shown]
	v_fma_f32 v3, v164, v16, -v3
	v_add_f32_e32 v2, v2, v3
	v_mul_f32_e32 v3, v167, v14
	v_fma_f32 v3, v166, v15, -v3
	v_add_f32_e32 v2, v2, v3
	v_mul_f32_e32 v3, v169, v18
	;; [unrolled: 3-line block ×3, first 2 shown]
	buffer_load_dword v112, off, s[0:3], 0 offset:464
	buffer_load_dword v254, off, s[0:3], 0 offset:468
	;; [unrolled: 1-line block ×6, first 2 shown]
	v_fma_f32 v3, v170, v153, -v3
	v_add_f32_e32 v2, v2, v3
	v_mul_f32_e32 v3, v173, v154
	v_fma_f32 v3, v172, v151, -v3
	v_add_f32_e32 v2, v2, v3
	v_mul_f32_e32 v3, v175, v152
	;; [unrolled: 3-line block ×15, first 2 shown]
	v_fma_f32 v3, v200, v59, -v3
	v_add_f32_e32 v2, v2, v3
	s_waitcnt vmcnt(51) lgkmcnt(1)
	v_mul_f32_e32 v3, v203, v66
	v_mul_f32_e32 v105, v202, v66
	s_waitcnt vmcnt(50)
	v_fma_f32 v3, v202, v67, -v3
	v_fmac_f32_e32 v105, v203, v67
	v_add_f32_e32 v2, v2, v3
	s_waitcnt vmcnt(48)
	v_mul_f32_e32 v3, v205, v69
	v_add_f32_e32 v58, v58, v105
	v_mul_f32_e32 v105, v204, v69
	ds_read2_b64 v[210:213], v1 offset0:101 offset1:102
	ds_read2_b64 v[214:217], v1 offset0:103 offset1:104
	v_fma_f32 v3, v204, v68, -v3
	v_fmac_f32_e32 v105, v205, v68
	v_add_f32_e32 v2, v2, v3
	s_waitcnt vmcnt(46) lgkmcnt(2)
	v_mul_f32_e32 v3, v207, v71
	v_add_f32_e32 v58, v58, v105
	v_mul_f32_e32 v105, v206, v71
	v_fma_f32 v3, v206, v70, -v3
	v_fmac_f32_e32 v105, v207, v70
	v_add_f32_e32 v2, v2, v3
	s_waitcnt vmcnt(44)
	v_mul_f32_e32 v3, v209, v72
	v_add_f32_e32 v58, v58, v105
	v_mul_f32_e32 v105, v208, v72
	v_fma_f32 v3, v208, v65, -v3
	v_fmac_f32_e32 v105, v209, v65
	v_add_f32_e32 v2, v2, v3
	s_waitcnt vmcnt(42) lgkmcnt(1)
	v_mul_f32_e32 v3, v211, v75
	v_add_f32_e32 v58, v58, v105
	v_mul_f32_e32 v105, v210, v75
	v_fma_f32 v3, v210, v74, -v3
	v_fmac_f32_e32 v105, v211, v74
	v_add_f32_e32 v2, v2, v3
	s_waitcnt vmcnt(41)
	v_mul_f32_e32 v3, v213, v76
	v_add_f32_e32 v58, v58, v105
	v_mul_f32_e32 v105, v212, v76
	ds_read2_b64 v[218:221], v1 offset0:105 offset1:106
	ds_read2_b64 v[222:225], v1 offset0:107 offset1:108
	s_waitcnt vmcnt(38)
	v_fma_f32 v3, v212, v79, -v3
	v_fmac_f32_e32 v105, v213, v79
	v_add_f32_e32 v2, v2, v3
	s_waitcnt lgkmcnt(2)
	v_mul_f32_e32 v3, v215, v78
	v_add_f32_e32 v58, v58, v105
	v_mul_f32_e32 v105, v214, v78
	v_fma_f32 v3, v214, v77, -v3
	v_fmac_f32_e32 v105, v215, v77
	v_add_f32_e32 v2, v2, v3
	s_waitcnt vmcnt(36)
	v_mul_f32_e32 v3, v217, v80
	v_add_f32_e32 v58, v58, v105
	v_mul_f32_e32 v105, v216, v80
	v_fma_f32 v3, v216, v73, -v3
	v_fmac_f32_e32 v105, v217, v73
	v_add_f32_e32 v2, v2, v3
	s_waitcnt vmcnt(34) lgkmcnt(1)
	v_mul_f32_e32 v3, v219, v83
	v_add_f32_e32 v58, v58, v105
	v_mul_f32_e32 v105, v218, v83
	v_fma_f32 v3, v218, v82, -v3
	v_fmac_f32_e32 v105, v219, v82
	v_add_f32_e32 v2, v2, v3
	s_waitcnt vmcnt(33)
	v_mul_f32_e32 v3, v221, v84
	v_add_f32_e32 v58, v58, v105
	v_mul_f32_e32 v105, v220, v84
	ds_read2_b64 v[226:229], v1 offset0:109 offset1:110
	ds_read2_b64 v[230:233], v1 offset0:111 offset1:112
	s_waitcnt vmcnt(30)
	v_fma_f32 v3, v220, v87, -v3
	v_fmac_f32_e32 v105, v221, v87
	v_add_f32_e32 v2, v2, v3
	s_waitcnt lgkmcnt(2)
	;; [unrolled: 31-line block ×4, first 2 shown]
	v_mul_f32_e32 v3, v239, v101
	v_add_f32_e32 v58, v58, v105
	v_mul_f32_e32 v105, v238, v101
	v_fma_f32 v3, v238, v100, -v3
	v_fmac_f32_e32 v105, v239, v100
	v_add_f32_e32 v2, v2, v3
	s_waitcnt vmcnt(12)
	v_mul_f32_e32 v3, v241, v104
	v_add_f32_e32 v58, v58, v105
	v_mul_f32_e32 v105, v240, v104
	v_fma_f32 v3, v240, v103, -v3
	v_fmac_f32_e32 v105, v241, v103
	v_add_f32_e32 v2, v2, v3
	s_waitcnt vmcnt(10) lgkmcnt(1)
	v_mul_f32_e32 v3, v243, v107
	v_add_f32_e32 v58, v58, v105
	v_mul_f32_e32 v105, v242, v107
	v_fma_f32 v3, v242, v106, -v3
	v_fmac_f32_e32 v105, v243, v106
	v_add_f32_e32 v2, v2, v3
	s_waitcnt vmcnt(9)
	v_mul_f32_e32 v3, v245, v108
	v_add_f32_e32 v58, v58, v105
	v_mul_f32_e32 v105, v244, v108
	ds_read2_b64 v[250:253], v1 offset0:121 offset1:122
	s_waitcnt vmcnt(6)
	v_fma_f32 v3, v244, v111, -v3
	v_fmac_f32_e32 v105, v245, v111
	v_add_f32_e32 v2, v2, v3
	s_waitcnt lgkmcnt(1)
	v_mul_f32_e32 v3, v247, v110
	v_add_f32_e32 v58, v58, v105
	v_mul_f32_e32 v105, v246, v110
	v_fma_f32 v3, v246, v109, -v3
	v_fmac_f32_e32 v105, v247, v109
	v_add_f32_e32 v2, v2, v3
	s_waitcnt vmcnt(4)
	v_mul_f32_e32 v3, v249, v254
	v_add_f32_e32 v1, v58, v105
	v_mul_f32_e32 v58, v248, v254
	v_fma_f32 v3, v248, v112, -v3
	v_fmac_f32_e32 v58, v249, v112
	v_add_f32_e32 v2, v2, v3
	s_waitcnt vmcnt(3) lgkmcnt(0)
	v_mul_f32_e32 v3, v251, v255
	v_add_f32_e32 v1, v1, v58
	v_mul_f32_e32 v58, v250, v255
	s_waitcnt vmcnt(0)
	v_fma_f32 v3, v250, v115, -v3
	v_fmac_f32_e32 v58, v251, v115
	v_add_f32_e32 v2, v2, v3
	v_mul_f32_e32 v3, v253, v114
	v_add_f32_e32 v1, v1, v58
	v_mul_f32_e32 v58, v252, v114
	v_fma_f32 v3, v252, v113, -v3
	v_fmac_f32_e32 v58, v253, v113
	v_add_f32_e32 v2, v2, v3
	v_add_f32_e32 v1, v1, v58
	v_sub_f32_e32 v2, v4, v2
	v_sub_f32_e32 v1, v5, v1
	buffer_store_dword v2, off, s[0:3], 0 offset:48
	buffer_store_dword v1, off, s[0:3], 0 offset:52
	s_and_saveexec_b64 s[4:5], vcc
	s_cbranch_execz .LBB124_369
; %bb.368:
	buffer_load_dword v1, off, s[0:3], 0 offset:40
	buffer_load_dword v2, off, s[0:3], 0 offset:44
	v_mov_b32_e32 v3, 0
	buffer_store_dword v3, off, s[0:3], 0 offset:40
	buffer_store_dword v3, off, s[0:3], 0 offset:44
	s_waitcnt vmcnt(2)
	ds_write_b64 v147, v[1:2]
.LBB124_369:
	s_or_b64 exec, exec, s[4:5]
	s_waitcnt lgkmcnt(0)
	; wave barrier
	buffer_load_dword v10, off, s[0:3], 0 offset:52
	buffer_load_dword v9, off, s[0:3], 0 offset:60
	;; [unrolled: 1-line block ×40, first 2 shown]
	v_mov_b32_e32 v1, 0
	buffer_load_dword v46, off, s[0:3], 0 offset:200
	buffer_load_dword v47, off, s[0:3], 0 offset:204
	;; [unrolled: 1-line block ×12, first 2 shown]
	ds_read_b128 v[27:30], v1 offset:544
	ds_read_b128 v[31:34], v1 offset:560
	;; [unrolled: 1-line block ×6, first 2 shown]
	v_cmp_lt_u32_e32 vcc, 4, v0
	s_waitcnt vmcnt(51) lgkmcnt(5)
	v_mul_f32_e32 v39, v27, v10
	s_waitcnt vmcnt(50)
	v_mul_f32_e32 v40, v29, v9
	s_waitcnt vmcnt(49) lgkmcnt(4)
	v_mul_f32_e32 v41, v31, v8
	s_waitcnt vmcnt(48)
	v_mul_f32_e32 v42, v33, v7
	;; [unrolled: 4-line block ×5, first 2 shown]
	s_waitcnt vmcnt(41) lgkmcnt(0)
	v_mul_f32_e32 v62, v172, v14
	s_waitcnt vmcnt(40)
	v_fmac_f32_e32 v41, v32, v21
	s_waitcnt vmcnt(39)
	v_fmac_f32_e32 v40, v30, v24
	;; [unrolled: 2-line block ×3, first 2 shown]
	v_add_f32_e32 v39, 0, v39
	v_add_f32_e32 v39, v39, v40
	;; [unrolled: 1-line block ×3, first 2 shown]
	s_waitcnt vmcnt(34)
	v_fmac_f32_e32 v42, v34, v148
	v_fmac_f32_e32 v43, v36, v23
	v_add_f32_e32 v39, v39, v42
	v_fmac_f32_e32 v44, v38, v20
	v_add_f32_e32 v39, v39, v43
	;; [unrolled: 2-line block ×3, first 2 shown]
	s_waitcnt vmcnt(30)
	v_fmac_f32_e32 v59, v167, v22
	v_add_f32_e32 v39, v39, v58
	v_fmac_f32_e32 v60, v169, v19
	v_add_f32_e32 v39, v39, v59
	buffer_load_dword v58, off, s[0:3], 0 offset:248
	buffer_load_dword v59, off, s[0:3], 0 offset:252
	v_fmac_f32_e32 v61, v171, v16
	v_add_f32_e32 v39, v39, v60
	v_add_f32_e32 v39, v39, v61
	ds_read_b128 v[176:179], v1 offset:640
	buffer_load_dword v60, off, s[0:3], 0 offset:256
	buffer_load_dword v61, off, s[0:3], 0 offset:260
	v_fmac_f32_e32 v62, v173, v15
	v_add_f32_e32 v39, v39, v62
	ds_read_b128 v[180:183], v1 offset:656
	buffer_load_dword v62, off, s[0:3], 0 offset:264
	buffer_load_dword v63, off, s[0:3], 0 offset:268
	ds_read_b128 v[184:187], v1 offset:672
	buffer_load_dword v64, off, s[0:3], 0 offset:272
	buffer_load_dword v65, off, s[0:3], 0 offset:276
	;; [unrolled: 3-line block ×3, first 2 shown]
	buffer_load_dword v68, off, s[0:3], 0 offset:288
	buffer_load_dword v69, off, s[0:3], 0 offset:292
	ds_read_b128 v[192:195], v1 offset:704
	ds_read_b128 v[196:199], v1 offset:720
	buffer_load_dword v70, off, s[0:3], 0 offset:296
	buffer_load_dword v71, off, s[0:3], 0 offset:300
	buffer_load_dword v72, off, s[0:3], 0 offset:304
	buffer_load_dword v73, off, s[0:3], 0 offset:308
	buffer_load_dword v74, off, s[0:3], 0 offset:316
	buffer_load_dword v75, off, s[0:3], 0 offset:320
	buffer_load_dword v76, off, s[0:3], 0 offset:324
	buffer_load_dword v77, off, s[0:3], 0 offset:312
	buffer_load_dword v78, off, s[0:3], 0 offset:328
	buffer_load_dword v79, off, s[0:3], 0 offset:332
	ds_read_b128 v[200:203], v1 offset:736
	buffer_load_dword v80, off, s[0:3], 0 offset:336
	buffer_load_dword v81, off, s[0:3], 0 offset:340
	;; [unrolled: 1-line block ×6, first 2 shown]
	ds_read_b128 v[204:207], v1 offset:752
	buffer_load_dword v86, off, s[0:3], 0 offset:360
	buffer_load_dword v87, off, s[0:3], 0 offset:364
	;; [unrolled: 1-line block ×10, first 2 shown]
	v_mul_f32_e32 v10, v28, v10
	v_fma_f32 v10, v27, v149, -v10
	v_mul_f32_e32 v9, v30, v9
	ds_read_b128 v[208:211], v1 offset:768
	buffer_load_dword v96, off, s[0:3], 0 offset:400
	buffer_load_dword v97, off, s[0:3], 0 offset:404
	;; [unrolled: 1-line block ×6, first 2 shown]
	v_add_f32_e32 v10, 0, v10
	v_fma_f32 v9, v29, v24, -v9
	v_mul_f32_e32 v8, v32, v8
	v_add_f32_e32 v9, v10, v9
	v_fma_f32 v8, v31, v21, -v8
	v_mul_f32_e32 v7, v34, v7
	;; [unrolled: 3-line block ×3, first 2 shown]
	ds_read_b128 v[212:215], v1 offset:784
	buffer_load_dword v102, off, s[0:3], 0 offset:424
	buffer_load_dword v103, off, s[0:3], 0 offset:428
	v_add_f32_e32 v7, v8, v7
	v_fma_f32 v6, v35, v23, -v6
	v_mul_f32_e32 v5, v38, v5
	v_add_f32_e32 v6, v7, v6
	v_fma_f32 v5, v37, v20, -v5
	v_mul_f32_e32 v4, v165, v4
	v_add_f32_e32 v5, v6, v5
	v_fma_f32 v4, v164, v17, -v4
	v_add_f32_e32 v4, v5, v4
	v_mul_f32_e32 v5, v167, v11
	v_fma_f32 v5, v166, v22, -v5
	buffer_load_dword v104, off, s[0:3], 0 offset:432
	buffer_load_dword v105, off, s[0:3], 0 offset:436
	;; [unrolled: 1-line block ×6, first 2 shown]
	v_add_f32_e32 v4, v4, v5
	v_mul_f32_e32 v5, v169, v12
	v_fma_f32 v5, v168, v19, -v5
	v_add_f32_e32 v4, v4, v5
	v_mul_f32_e32 v5, v171, v13
	s_waitcnt vmcnt(62)
	v_mul_f32_e32 v40, v174, v18
	v_fma_f32 v5, v170, v16, -v5
	v_fmac_f32_e32 v40, v175, v157
	v_add_f32_e32 v4, v4, v5
	v_mul_f32_e32 v5, v173, v14
	v_add_f32_e32 v39, v39, v40
	s_waitcnt lgkmcnt(9)
	v_mul_f32_e32 v40, v176, v155
	buffer_load_dword v110, off, s[0:3], 0 offset:456
	buffer_load_dword v111, off, s[0:3], 0 offset:460
	v_fma_f32 v5, v172, v15, -v5
	v_fmac_f32_e32 v40, v177, v153
	v_add_f32_e32 v4, v4, v5
	v_mul_f32_e32 v5, v175, v18
	v_add_f32_e32 v39, v39, v40
	v_mul_f32_e32 v40, v178, v154
	v_fma_f32 v5, v174, v157, -v5
	v_fmac_f32_e32 v40, v179, v152
	v_add_f32_e32 v4, v4, v5
	v_mul_f32_e32 v5, v177, v155
	v_add_f32_e32 v39, v39, v40
	s_waitcnt lgkmcnt(8)
	v_mul_f32_e32 v40, v180, v151
	v_fma_f32 v5, v176, v153, -v5
	v_fmac_f32_e32 v40, v181, v150
	v_add_f32_e32 v4, v4, v5
	v_mul_f32_e32 v5, v179, v154
	v_add_f32_e32 v39, v39, v40
	v_mul_f32_e32 v40, v182, v156
	buffer_load_dword v112, off, s[0:3], 0 offset:464
	buffer_load_dword v113, off, s[0:3], 0 offset:468
	;; [unrolled: 1-line block ×6, first 2 shown]
	v_fma_f32 v5, v178, v152, -v5
	v_fmac_f32_e32 v40, v183, v45
	v_add_f32_e32 v4, v4, v5
	v_mul_f32_e32 v5, v181, v151
	v_add_f32_e32 v39, v39, v40
	s_waitcnt lgkmcnt(7)
	v_mul_f32_e32 v40, v184, v159
	v_fma_f32 v5, v180, v150, -v5
	v_fmac_f32_e32 v40, v185, v158
	v_add_f32_e32 v4, v4, v5
	v_mul_f32_e32 v5, v183, v156
	v_add_f32_e32 v39, v39, v40
	v_mul_f32_e32 v40, v186, v161
	v_fma_f32 v5, v182, v45, -v5
	v_fmac_f32_e32 v40, v187, v160
	v_add_f32_e32 v4, v4, v5
	v_mul_f32_e32 v5, v185, v159
	v_add_f32_e32 v39, v39, v40
	s_waitcnt lgkmcnt(6)
	v_mul_f32_e32 v40, v188, v163
	v_fma_f32 v5, v184, v158, -v5
	v_fmac_f32_e32 v40, v189, v162
	v_add_f32_e32 v4, v4, v5
	v_mul_f32_e32 v5, v187, v161
	v_add_f32_e32 v39, v39, v40
	v_mul_f32_e32 v40, v190, v47
	v_fma_f32 v5, v186, v160, -v5
	v_fmac_f32_e32 v40, v191, v46
	v_add_f32_e32 v4, v4, v5
	v_mul_f32_e32 v5, v189, v163
	v_add_f32_e32 v39, v39, v40
	s_waitcnt vmcnt(62) lgkmcnt(5)
	v_mul_f32_e32 v40, v192, v49
	v_fma_f32 v5, v188, v162, -v5
	v_fmac_f32_e32 v40, v193, v48
	v_add_f32_e32 v4, v4, v5
	v_mul_f32_e32 v5, v191, v47
	v_add_f32_e32 v39, v39, v40
	v_mul_f32_e32 v40, v194, v51
	v_fma_f32 v5, v190, v46, -v5
	v_fmac_f32_e32 v40, v195, v50
	v_add_f32_e32 v4, v4, v5
	v_mul_f32_e32 v5, v193, v49
	v_add_f32_e32 v39, v39, v40
	s_waitcnt lgkmcnt(4)
	v_mul_f32_e32 v40, v196, v53
	v_fma_f32 v5, v192, v48, -v5
	v_fmac_f32_e32 v40, v197, v52
	v_add_f32_e32 v4, v4, v5
	v_mul_f32_e32 v5, v195, v51
	v_add_f32_e32 v39, v39, v40
	v_mul_f32_e32 v40, v198, v55
	v_fma_f32 v5, v194, v50, -v5
	v_fmac_f32_e32 v40, v199, v54
	v_add_f32_e32 v4, v4, v5
	v_mul_f32_e32 v5, v197, v53
	v_add_f32_e32 v39, v39, v40
	s_waitcnt vmcnt(60) lgkmcnt(3)
	v_mul_f32_e32 v40, v200, v57
	v_fma_f32 v5, v196, v52, -v5
	v_fmac_f32_e32 v40, v201, v56
	v_add_f32_e32 v4, v4, v5
	v_mul_f32_e32 v5, v199, v55
	v_add_f32_e32 v39, v39, v40
	s_waitcnt vmcnt(58)
	v_mul_f32_e32 v40, v202, v59
	v_fma_f32 v5, v198, v54, -v5
	v_fmac_f32_e32 v40, v203, v58
	v_add_f32_e32 v4, v4, v5
	v_mul_f32_e32 v5, v201, v57
	v_add_f32_e32 v39, v39, v40
	s_waitcnt vmcnt(56) lgkmcnt(2)
	v_mul_f32_e32 v40, v204, v61
	v_fma_f32 v5, v200, v56, -v5
	v_fmac_f32_e32 v40, v205, v60
	v_add_f32_e32 v4, v4, v5
	v_mul_f32_e32 v5, v203, v59
	v_add_f32_e32 v39, v39, v40
	s_waitcnt vmcnt(54)
	;; [unrolled: 14-line block ×3, first 2 shown]
	v_mul_f32_e32 v40, v210, v66
	v_fma_f32 v5, v206, v62, -v5
	s_waitcnt vmcnt(50)
	v_fmac_f32_e32 v40, v211, v67
	ds_read_b128 v[216:219], v1 offset:800
	ds_read_b128 v[220:223], v1 offset:816
	v_add_f32_e32 v4, v4, v5
	v_mul_f32_e32 v5, v209, v65
	v_add_f32_e32 v39, v39, v40
	s_waitcnt vmcnt(48) lgkmcnt(2)
	v_mul_f32_e32 v40, v212, v69
	v_fma_f32 v5, v208, v64, -v5
	v_fmac_f32_e32 v40, v213, v68
	v_add_f32_e32 v4, v4, v5
	v_mul_f32_e32 v5, v211, v66
	v_add_f32_e32 v39, v39, v40
	s_waitcnt vmcnt(46)
	v_mul_f32_e32 v40, v214, v71
	v_fma_f32 v5, v210, v67, -v5
	v_fmac_f32_e32 v40, v215, v70
	v_add_f32_e32 v4, v4, v5
	v_mul_f32_e32 v5, v213, v69
	v_add_f32_e32 v39, v39, v40
	s_waitcnt vmcnt(44) lgkmcnt(1)
	v_mul_f32_e32 v40, v216, v73
	v_fma_f32 v5, v212, v68, -v5
	v_fmac_f32_e32 v40, v217, v72
	v_add_f32_e32 v4, v4, v5
	v_mul_f32_e32 v5, v215, v71
	v_add_f32_e32 v39, v39, v40
	s_waitcnt vmcnt(43)
	v_mul_f32_e32 v40, v218, v74
	v_fma_f32 v5, v214, v70, -v5
	s_waitcnt vmcnt(40)
	v_fmac_f32_e32 v40, v219, v77
	ds_read_b128 v[224:227], v1 offset:832
	ds_read_b128 v[228:231], v1 offset:848
	v_add_f32_e32 v4, v4, v5
	v_mul_f32_e32 v5, v217, v73
	v_add_f32_e32 v39, v39, v40
	s_waitcnt lgkmcnt(2)
	v_mul_f32_e32 v40, v220, v76
	v_fma_f32 v5, v216, v72, -v5
	v_fmac_f32_e32 v40, v221, v75
	v_add_f32_e32 v4, v4, v5
	v_mul_f32_e32 v5, v219, v74
	v_add_f32_e32 v39, v39, v40
	s_waitcnt vmcnt(38)
	v_mul_f32_e32 v40, v222, v79
	v_fma_f32 v5, v218, v77, -v5
	v_fmac_f32_e32 v40, v223, v78
	v_add_f32_e32 v4, v4, v5
	v_mul_f32_e32 v5, v221, v76
	v_add_f32_e32 v39, v39, v40
	s_waitcnt vmcnt(36) lgkmcnt(1)
	v_mul_f32_e32 v40, v224, v81
	v_fma_f32 v5, v220, v75, -v5
	v_fmac_f32_e32 v40, v225, v80
	v_add_f32_e32 v4, v4, v5
	v_mul_f32_e32 v5, v223, v79
	v_add_f32_e32 v39, v39, v40
	s_waitcnt vmcnt(35)
	v_mul_f32_e32 v40, v226, v82
	v_fma_f32 v5, v222, v78, -v5
	s_waitcnt vmcnt(32)
	v_fmac_f32_e32 v40, v227, v85
	ds_read_b128 v[232:235], v1 offset:864
	ds_read_b128 v[236:239], v1 offset:880
	v_add_f32_e32 v4, v4, v5
	v_mul_f32_e32 v5, v225, v81
	v_add_f32_e32 v39, v39, v40
	s_waitcnt lgkmcnt(2)
	;; [unrolled: 31-line block ×4, first 2 shown]
	v_mul_f32_e32 v40, v244, v100
	v_fma_f32 v5, v240, v96, -v5
	v_fmac_f32_e32 v40, v245, v99
	v_add_f32_e32 v4, v4, v5
	v_mul_f32_e32 v5, v243, v98
	v_add_f32_e32 v39, v39, v40
	s_waitcnt vmcnt(14)
	v_mul_f32_e32 v40, v246, v103
	v_fma_f32 v5, v242, v101, -v5
	v_fmac_f32_e32 v40, v247, v102
	v_add_f32_e32 v4, v4, v5
	v_mul_f32_e32 v5, v245, v100
	v_add_f32_e32 v39, v39, v40
	s_waitcnt vmcnt(12) lgkmcnt(1)
	v_mul_f32_e32 v40, v248, v105
	v_fma_f32 v5, v244, v99, -v5
	v_fmac_f32_e32 v40, v249, v104
	v_add_f32_e32 v4, v4, v5
	v_mul_f32_e32 v5, v247, v103
	v_add_f32_e32 v39, v39, v40
	s_waitcnt vmcnt(11)
	v_mul_f32_e32 v40, v250, v106
	v_fma_f32 v5, v246, v102, -v5
	s_waitcnt vmcnt(8)
	v_fmac_f32_e32 v40, v251, v109
	v_add_f32_e32 v4, v4, v5
	v_mul_f32_e32 v5, v249, v105
	v_add_f32_e32 v39, v39, v40
	s_waitcnt lgkmcnt(0)
	v_mul_f32_e32 v40, v252, v108
	v_fma_f32 v5, v248, v104, -v5
	v_fmac_f32_e32 v40, v253, v107
	v_add_f32_e32 v4, v4, v5
	v_mul_f32_e32 v5, v251, v106
	v_add_f32_e32 v43, v39, v40
	ds_read_b128 v[39:42], v1 offset:960
	v_fma_f32 v5, v250, v109, -v5
	v_add_f32_e32 v4, v4, v5
	v_mul_f32_e32 v5, v253, v108
	s_waitcnt vmcnt(6)
	v_mul_f32_e32 v44, v254, v111
	v_fma_f32 v5, v252, v107, -v5
	v_fmac_f32_e32 v44, v255, v110
	v_add_f32_e32 v4, v4, v5
	v_mul_f32_e32 v5, v255, v111
	v_add_f32_e32 v118, v43, v44
	ds_read_b64 v[43:44], v1 offset:976
	v_fma_f32 v5, v254, v110, -v5
	v_add_f32_e32 v4, v4, v5
	s_waitcnt vmcnt(4) lgkmcnt(1)
	v_mul_f32_e32 v5, v40, v113
	v_mul_f32_e32 v119, v39, v113
	v_fma_f32 v5, v39, v112, -v5
	v_fmac_f32_e32 v119, v40, v112
	v_add_f32_e32 v4, v4, v5
	s_waitcnt vmcnt(3)
	v_mul_f32_e32 v5, v42, v114
	v_add_f32_e32 v118, v118, v119
	v_mul_f32_e32 v119, v41, v114
	s_waitcnt vmcnt(0)
	v_fma_f32 v5, v41, v117, -v5
	v_fmac_f32_e32 v119, v42, v117
	v_add_f32_e32 v4, v4, v5
	s_waitcnt lgkmcnt(0)
	v_mul_f32_e32 v5, v44, v116
	v_add_f32_e32 v118, v118, v119
	v_mul_f32_e32 v119, v43, v116
	v_fma_f32 v5, v43, v115, -v5
	v_fmac_f32_e32 v119, v44, v115
	v_add_f32_e32 v4, v4, v5
	v_add_f32_e32 v118, v118, v119
	v_sub_f32_e32 v2, v2, v4
	v_sub_f32_e32 v3, v3, v118
	buffer_store_dword v2, off, s[0:3], 0 offset:40
	buffer_store_dword v3, off, s[0:3], 0 offset:44
	s_and_saveexec_b64 s[4:5], vcc
	s_cbranch_execz .LBB124_371
; %bb.370:
	buffer_load_dword v2, off, s[0:3], 0 offset:32
	buffer_load_dword v3, off, s[0:3], 0 offset:36
	s_waitcnt vmcnt(0)
	ds_write_b64 v147, v[2:3]
	buffer_store_dword v1, off, s[0:3], 0 offset:32
	buffer_store_dword v1, off, s[0:3], 0 offset:36
.LBB124_371:
	s_or_b64 exec, exec, s[4:5]
	s_waitcnt lgkmcnt(0)
	; wave barrier
	buffer_load_dword v10, off, s[0:3], 0 offset:44
	buffer_load_dword v9, off, s[0:3], 0 offset:52
	;; [unrolled: 1-line block ×40, first 2 shown]
	ds_read2_b64 v[27:30], v1 offset0:67 offset1:68
	ds_read2_b64 v[31:34], v1 offset0:69 offset1:70
	;; [unrolled: 1-line block ×6, first 2 shown]
	buffer_load_dword v48, off, s[0:3], 0 offset:192
	buffer_load_dword v49, off, s[0:3], 0 offset:196
	buffer_load_dword v50, off, s[0:3], 0 offset:200
	buffer_load_dword v51, off, s[0:3], 0 offset:204
	buffer_load_dword v52, off, s[0:3], 0 offset:208
	buffer_load_dword v53, off, s[0:3], 0 offset:212
	buffer_load_dword v54, off, s[0:3], 0 offset:216
	buffer_load_dword v55, off, s[0:3], 0 offset:220
	buffer_load_dword v56, off, s[0:3], 0 offset:224
	buffer_load_dword v57, off, s[0:3], 0 offset:228
	buffer_load_dword v58, off, s[0:3], 0 offset:232
	buffer_load_dword v59, off, s[0:3], 0 offset:236
	buffer_load_dword v60, off, s[0:3], 0 offset:240
	buffer_load_dword v61, off, s[0:3], 0 offset:244
	v_cmp_lt_u32_e32 vcc, 3, v0
	s_waitcnt vmcnt(53) lgkmcnt(5)
	v_mul_f32_e32 v43, v27, v10
	s_waitcnt vmcnt(52)
	v_mul_f32_e32 v44, v29, v9
	s_waitcnt vmcnt(51) lgkmcnt(4)
	v_mul_f32_e32 v45, v31, v8
	s_waitcnt vmcnt(50)
	v_mul_f32_e32 v46, v33, v7
	;; [unrolled: 4-line block ×5, first 2 shown]
	s_waitcnt vmcnt(43)
	v_fmac_f32_e32 v45, v32, v17
	s_waitcnt vmcnt(42)
	v_fmac_f32_e32 v44, v30, v21
	;; [unrolled: 2-line block ×3, first 2 shown]
	v_add_f32_e32 v43, 0, v43
	v_add_f32_e32 v43, v43, v44
	v_add_f32_e32 v43, v43, v45
	s_waitcnt vmcnt(37)
	v_fmac_f32_e32 v46, v34, v24
	v_fmac_f32_e32 v62, v36, v20
	v_add_f32_e32 v43, v43, v46
	v_fmac_f32_e32 v63, v38, v16
	v_add_f32_e32 v43, v43, v62
	;; [unrolled: 2-line block ×3, first 2 shown]
	buffer_load_dword v62, off, s[0:3], 0 offset:248
	buffer_load_dword v63, off, s[0:3], 0 offset:252
	s_waitcnt vmcnt(35)
	v_fmac_f32_e32 v65, v42, v149
	v_add_f32_e32 v43, v43, v64
	v_fmac_f32_e32 v66, v165, v22
	v_add_f32_e32 v43, v43, v65
	ds_read2_b64 v[172:175], v1 offset0:79 offset1:80
	ds_read2_b64 v[176:179], v1 offset0:81 offset1:82
	buffer_load_dword v64, off, s[0:3], 0 offset:256
	buffer_load_dword v65, off, s[0:3], 0 offset:260
	v_fmac_f32_e32 v67, v167, v18
	v_add_f32_e32 v43, v43, v66
	v_add_f32_e32 v43, v43, v67
	buffer_load_dword v66, off, s[0:3], 0 offset:264
	buffer_load_dword v67, off, s[0:3], 0 offset:268
	ds_read2_b64 v[180:183], v1 offset0:83 offset1:84
	ds_read2_b64 v[184:187], v1 offset0:85 offset1:86
	buffer_load_dword v68, off, s[0:3], 0 offset:272
	buffer_load_dword v69, off, s[0:3], 0 offset:276
	;; [unrolled: 1-line block ×4, first 2 shown]
	ds_read2_b64 v[188:191], v1 offset0:87 offset1:88
	buffer_load_dword v72, off, s[0:3], 0 offset:288
	buffer_load_dword v73, off, s[0:3], 0 offset:292
	ds_read2_b64 v[192:195], v1 offset0:89 offset1:90
	buffer_load_dword v74, off, s[0:3], 0 offset:296
	buffer_load_dword v75, off, s[0:3], 0 offset:300
	;; [unrolled: 1-line block ×6, first 2 shown]
	ds_read2_b64 v[196:199], v1 offset0:91 offset1:92
	buffer_load_dword v80, off, s[0:3], 0 offset:320
	buffer_load_dword v81, off, s[0:3], 0 offset:324
	ds_read2_b64 v[200:203], v1 offset0:93 offset1:94
	buffer_load_dword v82, off, s[0:3], 0 offset:328
	buffer_load_dword v83, off, s[0:3], 0 offset:332
	;; [unrolled: 1-line block ×16, first 2 shown]
	v_mul_f32_e32 v10, v28, v10
	v_fma_f32 v10, v27, v148, -v10
	v_mul_f32_e32 v9, v30, v9
	v_add_f32_e32 v10, 0, v10
	v_fma_f32 v9, v29, v21, -v9
	v_mul_f32_e32 v8, v32, v8
	v_add_f32_e32 v9, v10, v9
	v_fma_f32 v8, v31, v17, -v8
	v_mul_f32_e32 v7, v34, v7
	ds_read2_b64 v[204:207], v1 offset0:95 offset1:96
	buffer_load_dword v98, off, s[0:3], 0 offset:392
	buffer_load_dword v99, off, s[0:3], 0 offset:396
	;; [unrolled: 1-line block ×6, first 2 shown]
	v_add_f32_e32 v8, v9, v8
	v_fma_f32 v7, v33, v24, -v7
	v_mul_f32_e32 v6, v36, v6
	v_add_f32_e32 v7, v8, v7
	v_fma_f32 v6, v35, v20, -v6
	v_mul_f32_e32 v5, v38, v5
	;; [unrolled: 3-line block ×3, first 2 shown]
	ds_read2_b64 v[208:211], v1 offset0:97 offset1:98
	buffer_load_dword v104, off, s[0:3], 0 offset:416
	buffer_load_dword v105, off, s[0:3], 0 offset:420
	v_add_f32_e32 v5, v6, v5
	v_fma_f32 v4, v39, v14, -v4
	v_add_f32_e32 v4, v5, v4
	v_mul_f32_e32 v5, v42, v11
	v_fma_f32 v5, v41, v149, -v5
	v_add_f32_e32 v4, v4, v5
	v_mul_f32_e32 v5, v165, v12
	v_fma_f32 v5, v164, v22, -v5
	buffer_load_dword v106, off, s[0:3], 0 offset:424
	buffer_load_dword v107, off, s[0:3], 0 offset:428
	;; [unrolled: 1-line block ×6, first 2 shown]
	v_add_f32_e32 v4, v4, v5
	v_mul_f32_e32 v5, v167, v13
	s_waitcnt vmcnt(62) lgkmcnt(10)
	v_mul_f32_e32 v44, v168, v19
	v_fma_f32 v5, v166, v18, -v5
	v_fmac_f32_e32 v44, v169, v15
	v_add_f32_e32 v4, v4, v5
	v_mul_f32_e32 v5, v169, v19
	v_add_f32_e32 v43, v43, v44
	v_mul_f32_e32 v44, v170, v23
	buffer_load_dword v112, off, s[0:3], 0 offset:448
	buffer_load_dword v113, off, s[0:3], 0 offset:452
	v_fma_f32 v5, v168, v15, -v5
	v_fmac_f32_e32 v44, v171, v156
	v_add_f32_e32 v4, v4, v5
	v_mul_f32_e32 v5, v171, v23
	v_add_f32_e32 v43, v43, v44
	s_waitcnt lgkmcnt(9)
	v_mul_f32_e32 v44, v172, v155
	v_fma_f32 v5, v170, v156, -v5
	v_fmac_f32_e32 v44, v173, v153
	v_add_f32_e32 v4, v4, v5
	v_mul_f32_e32 v5, v173, v155
	v_add_f32_e32 v43, v43, v44
	v_mul_f32_e32 v44, v174, v154
	v_fma_f32 v5, v172, v153, -v5
	v_fmac_f32_e32 v44, v175, v151
	v_add_f32_e32 v4, v4, v5
	v_mul_f32_e32 v5, v175, v154
	v_add_f32_e32 v43, v43, v44
	s_waitcnt lgkmcnt(8)
	v_mul_f32_e32 v44, v176, v152
	buffer_load_dword v114, off, s[0:3], 0 offset:456
	buffer_load_dword v115, off, s[0:3], 0 offset:460
	;; [unrolled: 1-line block ×6, first 2 shown]
	v_fma_f32 v5, v174, v151, -v5
	v_fmac_f32_e32 v44, v177, v150
	v_add_f32_e32 v4, v4, v5
	v_mul_f32_e32 v5, v177, v152
	v_add_f32_e32 v43, v43, v44
	v_mul_f32_e32 v44, v178, v157
	v_fma_f32 v5, v176, v150, -v5
	v_fmac_f32_e32 v44, v179, v47
	ds_read2_b64 v[212:215], v1 offset0:99 offset1:100
	ds_read2_b64 v[216:219], v1 offset0:101 offset1:102
	buffer_load_dword v120, off, s[0:3], 0 offset:480
	buffer_load_dword v121, off, s[0:3], 0 offset:484
	v_add_f32_e32 v4, v4, v5
	v_mul_f32_e32 v5, v179, v157
	v_add_f32_e32 v43, v43, v44
	s_waitcnt lgkmcnt(9)
	v_mul_f32_e32 v44, v180, v159
	v_fma_f32 v5, v178, v47, -v5
	v_fmac_f32_e32 v44, v181, v158
	v_add_f32_e32 v4, v4, v5
	v_mul_f32_e32 v5, v181, v159
	v_add_f32_e32 v43, v43, v44
	v_mul_f32_e32 v44, v182, v161
	v_fma_f32 v5, v180, v158, -v5
	v_fmac_f32_e32 v44, v183, v160
	v_add_f32_e32 v4, v4, v5
	v_mul_f32_e32 v5, v183, v161
	v_add_f32_e32 v43, v43, v44
	s_waitcnt lgkmcnt(8)
	v_mul_f32_e32 v44, v184, v163
	v_fma_f32 v5, v182, v160, -v5
	v_fmac_f32_e32 v44, v185, v162
	v_add_f32_e32 v4, v4, v5
	v_mul_f32_e32 v5, v185, v163
	v_add_f32_e32 v43, v43, v44
	v_mul_f32_e32 v44, v186, v49
	v_fma_f32 v5, v184, v162, -v5
	v_fmac_f32_e32 v44, v187, v48
	v_add_f32_e32 v4, v4, v5
	v_mul_f32_e32 v5, v187, v49
	v_add_f32_e32 v43, v43, v44
	s_waitcnt vmcnt(62) lgkmcnt(7)
	v_mul_f32_e32 v44, v188, v51
	v_fma_f32 v5, v186, v48, -v5
	v_fmac_f32_e32 v44, v189, v50
	v_add_f32_e32 v4, v4, v5
	v_mul_f32_e32 v5, v189, v51
	v_add_f32_e32 v43, v43, v44
	v_mul_f32_e32 v44, v190, v53
	v_fma_f32 v5, v188, v50, -v5
	v_fmac_f32_e32 v44, v191, v52
	v_add_f32_e32 v4, v4, v5
	v_mul_f32_e32 v5, v191, v53
	v_add_f32_e32 v43, v43, v44
	s_waitcnt lgkmcnt(6)
	v_mul_f32_e32 v44, v192, v55
	v_fma_f32 v5, v190, v52, -v5
	v_fmac_f32_e32 v44, v193, v54
	v_add_f32_e32 v4, v4, v5
	v_mul_f32_e32 v5, v193, v55
	v_add_f32_e32 v43, v43, v44
	v_mul_f32_e32 v44, v194, v57
	v_fma_f32 v5, v192, v54, -v5
	v_fmac_f32_e32 v44, v195, v56
	v_add_f32_e32 v4, v4, v5
	v_mul_f32_e32 v5, v195, v57
	v_add_f32_e32 v43, v43, v44
	s_waitcnt lgkmcnt(5)
	v_mul_f32_e32 v44, v196, v59
	v_fma_f32 v5, v194, v56, -v5
	v_fmac_f32_e32 v44, v197, v58
	v_add_f32_e32 v4, v4, v5
	v_mul_f32_e32 v5, v197, v59
	v_add_f32_e32 v43, v43, v44
	s_waitcnt vmcnt(60)
	v_mul_f32_e32 v44, v198, v61
	v_fma_f32 v5, v196, v58, -v5
	v_fmac_f32_e32 v44, v199, v60
	v_add_f32_e32 v4, v4, v5
	v_mul_f32_e32 v5, v199, v61
	v_add_f32_e32 v43, v43, v44
	s_waitcnt vmcnt(58) lgkmcnt(4)
	v_mul_f32_e32 v44, v200, v63
	v_fma_f32 v5, v198, v60, -v5
	v_fmac_f32_e32 v44, v201, v62
	v_add_f32_e32 v4, v4, v5
	v_mul_f32_e32 v5, v201, v63
	v_add_f32_e32 v43, v43, v44
	s_waitcnt vmcnt(56)
	v_mul_f32_e32 v44, v202, v65
	v_fma_f32 v5, v200, v62, -v5
	v_fmac_f32_e32 v44, v203, v64
	v_add_f32_e32 v4, v4, v5
	v_mul_f32_e32 v5, v203, v65
	v_add_f32_e32 v43, v43, v44
	s_waitcnt vmcnt(54) lgkmcnt(3)
	;; [unrolled: 14-line block ×4, first 2 shown]
	v_mul_f32_e32 v44, v212, v75
	v_fma_f32 v5, v210, v72, -v5
	v_fmac_f32_e32 v44, v213, v74
	v_add_f32_e32 v4, v4, v5
	v_mul_f32_e32 v5, v213, v75
	v_add_f32_e32 v43, v43, v44
	s_waitcnt vmcnt(45)
	v_mul_f32_e32 v44, v214, v76
	v_fma_f32 v5, v212, v74, -v5
	s_waitcnt vmcnt(42)
	v_fmac_f32_e32 v44, v215, v79
	ds_read2_b64 v[220:223], v1 offset0:103 offset1:104
	ds_read2_b64 v[224:227], v1 offset0:105 offset1:106
	v_add_f32_e32 v4, v4, v5
	v_mul_f32_e32 v5, v215, v76
	v_add_f32_e32 v43, v43, v44
	s_waitcnt lgkmcnt(2)
	v_mul_f32_e32 v44, v216, v78
	v_fma_f32 v5, v214, v79, -v5
	v_fmac_f32_e32 v44, v217, v77
	v_add_f32_e32 v4, v4, v5
	v_mul_f32_e32 v5, v217, v78
	v_add_f32_e32 v43, v43, v44
	s_waitcnt vmcnt(40)
	v_mul_f32_e32 v44, v218, v81
	v_fma_f32 v5, v216, v77, -v5
	v_fmac_f32_e32 v44, v219, v80
	v_add_f32_e32 v4, v4, v5
	v_mul_f32_e32 v5, v219, v81
	v_add_f32_e32 v43, v43, v44
	s_waitcnt vmcnt(38) lgkmcnt(1)
	v_mul_f32_e32 v44, v220, v83
	v_fma_f32 v5, v218, v80, -v5
	v_fmac_f32_e32 v44, v221, v82
	v_add_f32_e32 v4, v4, v5
	v_mul_f32_e32 v5, v221, v83
	v_add_f32_e32 v43, v43, v44
	s_waitcnt vmcnt(37)
	v_mul_f32_e32 v44, v222, v84
	v_fma_f32 v5, v220, v82, -v5
	s_waitcnt vmcnt(34)
	v_fmac_f32_e32 v44, v223, v87
	ds_read2_b64 v[228:231], v1 offset0:107 offset1:108
	ds_read2_b64 v[232:235], v1 offset0:109 offset1:110
	v_add_f32_e32 v4, v4, v5
	v_mul_f32_e32 v5, v223, v84
	v_add_f32_e32 v43, v43, v44
	s_waitcnt lgkmcnt(2)
	v_mul_f32_e32 v44, v224, v86
	v_fma_f32 v5, v222, v87, -v5
	v_fmac_f32_e32 v44, v225, v85
	v_add_f32_e32 v4, v4, v5
	v_mul_f32_e32 v5, v225, v86
	v_add_f32_e32 v43, v43, v44
	s_waitcnt vmcnt(32)
	v_mul_f32_e32 v44, v226, v89
	v_fma_f32 v5, v224, v85, -v5
	v_fmac_f32_e32 v44, v227, v88
	v_add_f32_e32 v4, v4, v5
	v_mul_f32_e32 v5, v227, v89
	v_add_f32_e32 v43, v43, v44
	s_waitcnt vmcnt(30) lgkmcnt(1)
	;; [unrolled: 31-line block ×4, first 2 shown]
	v_mul_f32_e32 v44, v244, v107
	v_fma_f32 v5, v242, v104, -v5
	v_fmac_f32_e32 v44, v245, v106
	v_add_f32_e32 v4, v4, v5
	v_mul_f32_e32 v5, v245, v107
	v_add_f32_e32 v43, v43, v44
	s_waitcnt vmcnt(13)
	v_mul_f32_e32 v44, v246, v108
	v_fma_f32 v5, v244, v106, -v5
	s_waitcnt vmcnt(10)
	v_fmac_f32_e32 v44, v247, v111
	v_add_f32_e32 v4, v4, v5
	v_mul_f32_e32 v5, v247, v108
	v_add_f32_e32 v43, v43, v44
	s_waitcnt lgkmcnt(0)
	v_mul_f32_e32 v44, v248, v110
	ds_read2_b64 v[252:255], v1 offset0:119 offset1:120
	v_fma_f32 v5, v246, v111, -v5
	v_fmac_f32_e32 v44, v249, v109
	v_add_f32_e32 v4, v4, v5
	v_mul_f32_e32 v5, v249, v110
	v_add_f32_e32 v43, v43, v44
	s_waitcnt vmcnt(8)
	v_mul_f32_e32 v44, v250, v113
	v_fma_f32 v5, v248, v109, -v5
	v_fmac_f32_e32 v44, v251, v112
	v_add_f32_e32 v4, v4, v5
	v_mul_f32_e32 v5, v251, v113
	v_add_f32_e32 v122, v43, v44
	ds_read2_b64 v[43:46], v1 offset0:121 offset1:122
	v_fma_f32 v5, v250, v112, -v5
	v_add_f32_e32 v4, v4, v5
	s_waitcnt vmcnt(6) lgkmcnt(1)
	v_mul_f32_e32 v5, v253, v115
	v_mul_f32_e32 v1, v252, v115
	v_fma_f32 v5, v252, v114, -v5
	v_fmac_f32_e32 v1, v253, v114
	v_add_f32_e32 v4, v4, v5
	s_waitcnt vmcnt(5)
	v_mul_f32_e32 v5, v255, v116
	v_add_f32_e32 v1, v122, v1
	v_mul_f32_e32 v122, v254, v116
	s_waitcnt vmcnt(2)
	v_fma_f32 v5, v254, v119, -v5
	v_fmac_f32_e32 v122, v255, v119
	v_add_f32_e32 v4, v4, v5
	s_waitcnt lgkmcnt(0)
	v_mul_f32_e32 v5, v44, v118
	v_add_f32_e32 v1, v1, v122
	v_mul_f32_e32 v122, v43, v118
	v_fma_f32 v5, v43, v117, -v5
	v_fmac_f32_e32 v122, v44, v117
	v_add_f32_e32 v4, v4, v5
	s_waitcnt vmcnt(0)
	v_mul_f32_e32 v5, v46, v121
	v_add_f32_e32 v1, v1, v122
	v_mul_f32_e32 v122, v45, v121
	v_fma_f32 v5, v45, v120, -v5
	v_fmac_f32_e32 v122, v46, v120
	v_add_f32_e32 v4, v4, v5
	v_add_f32_e32 v1, v1, v122
	v_sub_f32_e32 v2, v2, v4
	v_sub_f32_e32 v1, v3, v1
	buffer_store_dword v2, off, s[0:3], 0 offset:32
	buffer_store_dword v1, off, s[0:3], 0 offset:36
	s_and_saveexec_b64 s[4:5], vcc
	s_cbranch_execz .LBB124_373
; %bb.372:
	buffer_load_dword v1, off, s[0:3], 0 offset:24
	buffer_load_dword v2, off, s[0:3], 0 offset:28
	v_mov_b32_e32 v3, 0
	buffer_store_dword v3, off, s[0:3], 0 offset:24
	buffer_store_dword v3, off, s[0:3], 0 offset:28
	s_waitcnt vmcnt(2)
	ds_write_b64 v147, v[1:2]
.LBB124_373:
	s_or_b64 exec, exec, s[4:5]
	s_waitcnt lgkmcnt(0)
	; wave barrier
	buffer_load_dword v9, off, s[0:3], 0 offset:36
	buffer_load_dword v8, off, s[0:3], 0 offset:44
	;; [unrolled: 1-line block ×52, first 2 shown]
	v_mov_b32_e32 v148, 0
	ds_read_b128 v[27:30], v148 offset:528
	ds_read_b128 v[31:34], v148 offset:544
	;; [unrolled: 1-line block ×6, first 2 shown]
	buffer_load_dword v65, off, s[0:3], 0 offset:236
	buffer_load_dword v66, off, s[0:3], 0 offset:232
	;; [unrolled: 1-line block ×4, first 2 shown]
	ds_read_b128 v[181:184], v148 offset:624
	buffer_load_dword v69, off, s[0:3], 0 offset:248
	buffer_load_dword v70, off, s[0:3], 0 offset:252
	;; [unrolled: 1-line block ×3, first 2 shown]
	ds_read_b128 v[185:188], v148 offset:640
	ds_read_b128 v[189:192], v148 offset:656
	;; [unrolled: 1-line block ×3, first 2 shown]
	buffer_load_dword v72, off, s[0:3], 0 offset:256
	buffer_load_dword v73, off, s[0:3], 0 offset:264
	;; [unrolled: 1-line block ×5, first 2 shown]
	ds_read_b128 v[197:200], v148 offset:688
	buffer_load_dword v77, off, s[0:3], 0 offset:280
	buffer_load_dword v78, off, s[0:3], 0 offset:284
	ds_read_b128 v[201:204], v148 offset:704
	buffer_load_dword v79, off, s[0:3], 0 offset:288
	buffer_load_dword v80, off, s[0:3], 0 offset:292
	;; [unrolled: 3-line block ×3, first 2 shown]
	buffer_load_dword v83, off, s[0:3], 0 offset:308
	buffer_load_dword v84, off, s[0:3], 0 offset:296
	ds_read_b128 v[209:212], v148 offset:736
	buffer_load_dword v85, off, s[0:3], 0 offset:312
	buffer_load_dword v86, off, s[0:3], 0 offset:316
	;; [unrolled: 1-line block ×16, first 2 shown]
	ds_read_b128 v[213:216], v148 offset:752
	buffer_load_dword v101, off, s[0:3], 0 offset:376
	buffer_load_dword v102, off, s[0:3], 0 offset:380
	ds_read_b128 v[217:220], v148 offset:768
	buffer_load_dword v103, off, s[0:3], 0 offset:384
	buffer_load_dword v104, off, s[0:3], 0 offset:388
	;; [unrolled: 1-line block ×16, first 2 shown]
	ds_read_b128 v[221:224], v148 offset:784
	buffer_load_dword v119, off, s[0:3], 0 offset:448
	buffer_load_dword v120, off, s[0:3], 0 offset:452
	;; [unrolled: 1-line block ×6, first 2 shown]
	ds_read_b128 v[225:228], v148 offset:800
	buffer_load_dword v255, off, s[0:3], 0 offset:476
	buffer_load_dword v123, off, s[0:3], 0 offset:480
	;; [unrolled: 1-line block ×4, first 2 shown]
	ds_read_b128 v[229:232], v148 offset:816
	ds_read_b128 v[233:236], v148 offset:832
	ds_read_b128 v[237:240], v148 offset:848
	ds_read_b128 v[241:244], v148 offset:864
	ds_read_b128 v[245:248], v148 offset:880
	ds_read_b128 v[249:252], v148 offset:896
	v_cmp_lt_u32_e32 vcc, 2, v0
	s_waitcnt vmcnt(62) lgkmcnt(14)
	v_mul_f32_e32 v47, v27, v9
	v_mul_f32_e32 v48, v29, v8
	;; [unrolled: 1-line block ×7, first 2 shown]
	v_fmac_f32_e32 v49, v32, v14
	v_fmac_f32_e32 v48, v30, v16
	;; [unrolled: 1-line block ×3, first 2 shown]
	v_add_f32_e32 v47, 0, v47
	v_add_f32_e32 v47, v47, v48
	v_fma_f32 v9, v27, v19, -v9
	v_add_f32_e32 v47, v47, v49
	v_add_f32_e32 v9, 0, v9
	v_fma_f32 v8, v29, v16, -v8
	v_mul_f32_e32 v7, v32, v7
	v_fmac_f32_e32 v50, v34, v149
	v_mul_f32_e32 v52, v37, v4
	v_fmac_f32_e32 v51, v36, v24
	v_add_f32_e32 v47, v47, v50
	v_add_f32_e32 v8, v9, v8
	v_fma_f32 v7, v31, v14, -v7
	v_mul_f32_e32 v6, v34, v6
	v_mul_f32_e32 v53, v39, v3
	v_fmac_f32_e32 v52, v38, v22
	v_add_f32_e32 v47, v47, v51
	v_add_f32_e32 v7, v8, v7
	v_fma_f32 v6, v33, v149, -v6
	v_mul_f32_e32 v5, v36, v5
	v_mul_f32_e32 v54, v41, v12
	v_fmac_f32_e32 v53, v40, v20
	v_add_f32_e32 v47, v47, v52
	v_add_f32_e32 v6, v7, v6
	v_fma_f32 v5, v35, v24, -v5
	v_mul_f32_e32 v4, v38, v4
	v_mul_f32_e32 v55, v43, v11
	v_fmac_f32_e32 v54, v42, v23
	v_add_f32_e32 v47, v47, v53
	v_add_f32_e32 v5, v6, v5
	v_fma_f32 v4, v37, v22, -v4
	v_mul_f32_e32 v3, v40, v3
	v_mul_f32_e32 v56, v45, v10
	v_fmac_f32_e32 v55, v44, v21
	v_add_f32_e32 v47, v47, v54
	v_add_f32_e32 v4, v5, v4
	v_fma_f32 v3, v39, v20, -v3
	v_mul_f32_e32 v57, v177, v13
	v_fmac_f32_e32 v56, v46, v17
	v_add_f32_e32 v47, v47, v55
	v_add_f32_e32 v3, v4, v3
	v_mul_f32_e32 v4, v42, v12
	v_add_f32_e32 v47, v47, v56
	v_fmac_f32_e32 v57, v178, v15
	v_mul_f32_e32 v48, v179, v18
	v_fma_f32 v4, v41, v23, -v4
	v_add_f32_e32 v47, v47, v57
	v_fmac_f32_e32 v48, v180, v156
	v_add_f32_e32 v3, v3, v4
	v_mul_f32_e32 v4, v44, v11
	v_add_f32_e32 v47, v47, v48
	v_mul_f32_e32 v48, v181, v155
	v_fma_f32 v4, v43, v21, -v4
	v_fmac_f32_e32 v48, v182, v153
	v_add_f32_e32 v3, v3, v4
	v_mul_f32_e32 v4, v46, v10
	v_add_f32_e32 v47, v47, v48
	v_mul_f32_e32 v48, v183, v154
	v_fma_f32 v4, v45, v17, -v4
	;; [unrolled: 6-line block ×8, first 2 shown]
	v_fmac_f32_e32 v48, v196, v165
	v_add_f32_e32 v3, v3, v4
	v_mul_f32_e32 v4, v190, v160
	v_add_f32_e32 v47, v47, v48
	s_waitcnt lgkmcnt(13)
	v_mul_f32_e32 v48, v197, v168
	v_fma_f32 v4, v189, v159, -v4
	v_fmac_f32_e32 v48, v198, v167
	v_add_f32_e32 v3, v3, v4
	v_mul_f32_e32 v4, v192, v162
	v_add_f32_e32 v47, v47, v48
	v_mul_f32_e32 v48, v199, v170
	v_fma_f32 v4, v191, v161, -v4
	v_fmac_f32_e32 v48, v200, v169
	v_add_f32_e32 v3, v3, v4
	v_mul_f32_e32 v4, v194, v164
	v_add_f32_e32 v47, v47, v48
	s_waitcnt lgkmcnt(12)
	v_mul_f32_e32 v48, v201, v172
	v_fma_f32 v4, v193, v163, -v4
	v_fmac_f32_e32 v48, v202, v171
	v_add_f32_e32 v3, v3, v4
	v_mul_f32_e32 v4, v196, v166
	v_add_f32_e32 v47, v47, v48
	v_mul_f32_e32 v48, v203, v174
	v_fma_f32 v4, v195, v165, -v4
	;; [unrolled: 13-line block ×3, first 2 shown]
	v_fmac_f32_e32 v48, v208, v66
	v_add_f32_e32 v3, v3, v4
	v_mul_f32_e32 v4, v202, v172
	v_add_f32_e32 v47, v47, v48
	s_waitcnt vmcnt(60) lgkmcnt(10)
	v_mul_f32_e32 v48, v209, v68
	v_fma_f32 v4, v201, v171, -v4
	v_fmac_f32_e32 v48, v210, v67
	v_add_f32_e32 v3, v3, v4
	v_mul_f32_e32 v4, v204, v174
	v_add_f32_e32 v47, v47, v48
	s_waitcnt vmcnt(58)
	v_mul_f32_e32 v48, v211, v70
	v_fma_f32 v4, v203, v173, -v4
	v_fmac_f32_e32 v48, v212, v69
	v_add_f32_e32 v3, v3, v4
	v_mul_f32_e32 v4, v206, v176
	v_add_f32_e32 v47, v47, v48
	s_waitcnt vmcnt(57) lgkmcnt(9)
	v_mul_f32_e32 v48, v213, v71
	v_fma_f32 v4, v205, v175, -v4
	s_waitcnt vmcnt(56)
	v_fmac_f32_e32 v48, v214, v72
	v_add_f32_e32 v3, v3, v4
	v_mul_f32_e32 v4, v208, v65
	v_add_f32_e32 v47, v47, v48
	s_waitcnt vmcnt(54)
	v_mul_f32_e32 v48, v215, v74
	v_fma_f32 v4, v207, v66, -v4
	v_fmac_f32_e32 v48, v216, v73
	v_add_f32_e32 v3, v3, v4
	v_mul_f32_e32 v4, v210, v68
	v_add_f32_e32 v47, v47, v48
	s_waitcnt vmcnt(52) lgkmcnt(8)
	v_mul_f32_e32 v48, v217, v76
	v_fma_f32 v4, v209, v67, -v4
	v_fmac_f32_e32 v48, v218, v75
	v_add_f32_e32 v3, v3, v4
	v_mul_f32_e32 v4, v212, v70
	v_add_f32_e32 v47, v47, v48
	s_waitcnt vmcnt(50)
	v_mul_f32_e32 v48, v219, v78
	v_fma_f32 v4, v211, v69, -v4
	v_fmac_f32_e32 v48, v220, v77
	v_add_f32_e32 v3, v3, v4
	v_mul_f32_e32 v4, v214, v71
	v_add_f32_e32 v47, v47, v48
	s_waitcnt vmcnt(48) lgkmcnt(7)
	v_mul_f32_e32 v48, v221, v80
	v_fma_f32 v4, v213, v72, -v4
	v_fmac_f32_e32 v48, v222, v79
	v_add_f32_e32 v3, v3, v4
	v_mul_f32_e32 v4, v216, v74
	v_add_f32_e32 v47, v47, v48
	s_waitcnt vmcnt(47)
	v_mul_f32_e32 v48, v223, v81
	v_fma_f32 v4, v215, v73, -v4
	s_waitcnt vmcnt(44)
	v_fmac_f32_e32 v48, v224, v84
	v_add_f32_e32 v3, v3, v4
	v_mul_f32_e32 v4, v218, v76
	v_add_f32_e32 v47, v47, v48
	s_waitcnt lgkmcnt(6)
	v_mul_f32_e32 v48, v225, v83
	v_fma_f32 v4, v217, v75, -v4
	v_fmac_f32_e32 v48, v226, v82
	v_add_f32_e32 v3, v3, v4
	v_mul_f32_e32 v4, v220, v78
	v_add_f32_e32 v47, v47, v48
	s_waitcnt vmcnt(42)
	v_mul_f32_e32 v48, v227, v86
	v_fma_f32 v4, v219, v77, -v4
	v_fmac_f32_e32 v48, v228, v85
	v_add_f32_e32 v3, v3, v4
	v_mul_f32_e32 v4, v222, v80
	v_add_f32_e32 v47, v47, v48
	s_waitcnt vmcnt(40) lgkmcnt(5)
	v_mul_f32_e32 v48, v229, v88
	v_fma_f32 v4, v221, v79, -v4
	v_fmac_f32_e32 v48, v230, v87
	v_add_f32_e32 v3, v3, v4
	v_mul_f32_e32 v4, v224, v81
	v_add_f32_e32 v47, v47, v48
	s_waitcnt vmcnt(39)
	v_mul_f32_e32 v48, v231, v89
	v_fma_f32 v4, v223, v84, -v4
	s_waitcnt vmcnt(36)
	v_fmac_f32_e32 v48, v232, v92
	v_add_f32_e32 v3, v3, v4
	v_mul_f32_e32 v4, v226, v83
	v_add_f32_e32 v47, v47, v48
	s_waitcnt lgkmcnt(4)
	;; [unrolled: 29-line block ×4, first 2 shown]
	v_mul_f32_e32 v48, v249, v107
	v_fma_f32 v4, v241, v98, -v4
	v_fmac_f32_e32 v48, v250, v106
	v_add_f32_e32 v3, v3, v4
	v_mul_f32_e32 v4, v244, v102
	v_add_f32_e32 v51, v47, v48
	ds_read_b128 v[47:50], v148 offset:912
	v_fma_f32 v4, v243, v101, -v4
	v_add_f32_e32 v3, v3, v4
	v_mul_f32_e32 v4, v246, v104
	s_waitcnt vmcnt(18)
	v_mul_f32_e32 v52, v251, v110
	v_fma_f32 v4, v245, v103, -v4
	v_fmac_f32_e32 v52, v252, v109
	v_add_f32_e32 v3, v3, v4
	v_mul_f32_e32 v4, v248, v105
	v_add_f32_e32 v55, v51, v52
	ds_read_b128 v[51:54], v148 offset:928
	v_fma_f32 v4, v247, v108, -v4
	s_waitcnt vmcnt(16) lgkmcnt(1)
	v_mul_f32_e32 v56, v47, v112
	v_add_f32_e32 v3, v3, v4
	v_mul_f32_e32 v4, v250, v107
	v_fmac_f32_e32 v56, v48, v111
	v_fma_f32 v4, v249, v106, -v4
	v_add_f32_e32 v55, v55, v56
	s_waitcnt vmcnt(15)
	v_mul_f32_e32 v56, v49, v113
	v_add_f32_e32 v3, v3, v4
	v_mul_f32_e32 v4, v252, v110
	s_waitcnt vmcnt(12)
	v_fmac_f32_e32 v56, v50, v116
	v_fma_f32 v4, v251, v109, -v4
	v_add_f32_e32 v55, v55, v56
	s_waitcnt lgkmcnt(0)
	v_mul_f32_e32 v56, v51, v115
	v_add_f32_e32 v3, v3, v4
	v_mul_f32_e32 v4, v48, v112
	v_fmac_f32_e32 v56, v52, v114
	v_fma_f32 v4, v47, v111, -v4
	v_add_f32_e32 v59, v55, v56
	ds_read_b128 v[55:58], v148 offset:944
	v_add_f32_e32 v3, v3, v4
	v_mul_f32_e32 v4, v50, v113
	v_fma_f32 v4, v49, v116, -v4
	v_add_f32_e32 v3, v3, v4
	v_mul_f32_e32 v4, v52, v115
	s_waitcnt vmcnt(10)
	v_mul_f32_e32 v60, v53, v118
	v_fma_f32 v4, v51, v114, -v4
	v_fmac_f32_e32 v60, v54, v117
	v_add_f32_e32 v3, v3, v4
	v_mul_f32_e32 v4, v54, v118
	v_add_f32_e32 v63, v59, v60
	ds_read_b128 v[59:62], v148 offset:960
	s_waitcnt vmcnt(8) lgkmcnt(1)
	v_mul_f32_e32 v64, v55, v120
	v_fma_f32 v4, v53, v117, -v4
	v_fmac_f32_e32 v64, v56, v119
	v_add_f32_e32 v3, v3, v4
	v_mul_f32_e32 v4, v56, v120
	v_add_f32_e32 v63, v63, v64
	s_waitcnt vmcnt(7)
	v_mul_f32_e32 v64, v57, v121
	v_fma_f32 v4, v55, v119, -v4
	s_waitcnt vmcnt(4)
	v_fmac_f32_e32 v64, v58, v254
	v_add_f32_e32 v3, v3, v4
	v_mul_f32_e32 v4, v58, v121
	v_add_f32_e32 v126, v63, v64
	ds_read_b64 v[63:64], v148 offset:976
	v_fma_f32 v4, v57, v254, -v4
	v_add_f32_e32 v3, v3, v4
	s_waitcnt lgkmcnt(1)
	v_mul_f32_e32 v4, v60, v253
	v_mul_f32_e32 v127, v59, v253
	v_fma_f32 v4, v59, v122, -v4
	v_fmac_f32_e32 v127, v60, v122
	v_add_f32_e32 v3, v3, v4
	s_waitcnt vmcnt(3)
	v_mul_f32_e32 v4, v62, v255
	v_add_f32_e32 v126, v126, v127
	v_mul_f32_e32 v127, v61, v255
	s_waitcnt vmcnt(0)
	v_fma_f32 v4, v61, v125, -v4
	v_fmac_f32_e32 v127, v62, v125
	v_add_f32_e32 v3, v3, v4
	s_waitcnt lgkmcnt(0)
	v_mul_f32_e32 v4, v64, v124
	v_add_f32_e32 v126, v126, v127
	v_mul_f32_e32 v127, v63, v124
	v_fma_f32 v4, v63, v123, -v4
	v_fmac_f32_e32 v127, v64, v123
	v_add_f32_e32 v3, v3, v4
	v_add_f32_e32 v126, v126, v127
	v_sub_f32_e32 v1, v1, v3
	v_sub_f32_e32 v2, v2, v126
	buffer_store_dword v1, off, s[0:3], 0 offset:24
	buffer_store_dword v2, off, s[0:3], 0 offset:28
	s_and_saveexec_b64 s[4:5], vcc
	s_cbranch_execz .LBB124_375
; %bb.374:
	buffer_load_dword v1, off, s[0:3], 0 offset:16
	buffer_load_dword v2, off, s[0:3], 0 offset:20
	s_waitcnt vmcnt(0)
	ds_write_b64 v147, v[1:2]
	buffer_store_dword v148, off, s[0:3], 0 offset:16
	buffer_store_dword v148, off, s[0:3], 0 offset:20
.LBB124_375:
	s_or_b64 exec, exec, s[4:5]
	s_waitcnt lgkmcnt(0)
	; wave barrier
	buffer_load_dword v157, off, s[0:3], 0 offset:28
	buffer_load_dword v156, off, s[0:3], 0 offset:36
	;; [unrolled: 1-line block ×34, first 2 shown]
	ds_read2_b64 v[17:20], v148 offset0:65 offset1:66
	ds_read2_b64 v[9:12], v148 offset0:67 offset1:68
	;; [unrolled: 1-line block ×4, first 2 shown]
	buffer_load_dword v183, off, s[0:3], 0 offset:156
	buffer_load_dword v184, off, s[0:3], 0 offset:160
	buffer_load_dword v185, off, s[0:3], 0 offset:164
	buffer_load_dword v186, off, s[0:3], 0 offset:168
	buffer_load_dword v187, off, s[0:3], 0 offset:172
	buffer_load_dword v189, off, s[0:3], 0 offset:152
	ds_read2_b64 v[21:24], v148 offset0:73 offset1:74
	ds_read2_b64 v[13:16], v148 offset0:75 offset1:76
	buffer_load_dword v188, off, s[0:3], 0 offset:176
	buffer_load_dword v190, off, s[0:3], 0 offset:180
	;; [unrolled: 1-line block ×16, first 2 shown]
	v_cmp_lt_u32_e32 vcc, 1, v0
	s_waitcnt vmcnt(55) lgkmcnt(5)
	v_mul_f32_e32 v27, v17, v157
	s_waitcnt vmcnt(54)
	v_mul_f32_e32 v28, v19, v156
	s_waitcnt vmcnt(53) lgkmcnt(4)
	v_mul_f32_e32 v29, v9, v155
	s_waitcnt vmcnt(52)
	v_mul_f32_e32 v30, v11, v154
	;; [unrolled: 4-line block ×4, first 2 shown]
	s_waitcnt vmcnt(47) lgkmcnt(1)
	v_mul_f32_e32 v35, v21, v159
	s_waitcnt vmcnt(46)
	v_fmac_f32_e32 v29, v10, v162
	s_waitcnt vmcnt(45)
	v_fmac_f32_e32 v28, v20, v165
	;; [unrolled: 2-line block ×3, first 2 shown]
	v_add_f32_e32 v27, 0, v27
	v_add_f32_e32 v27, v27, v28
	;; [unrolled: 1-line block ×3, first 2 shown]
	s_waitcnt vmcnt(40)
	v_fmac_f32_e32 v30, v12, v166
	v_fmac_f32_e32 v31, v6, v163
	v_add_f32_e32 v27, v27, v30
	v_fmac_f32_e32 v32, v8, v161
	v_add_f32_e32 v27, v27, v31
	;; [unrolled: 2-line block ×3, first 2 shown]
	s_waitcnt vmcnt(36)
	v_fmac_f32_e32 v34, v4, v173
	v_add_f32_e32 v27, v27, v33
	v_fmac_f32_e32 v35, v22, v170
	v_add_f32_e32 v27, v27, v34
	s_waitcnt vmcnt(35)
	v_mul_f32_e32 v28, v23, v171
	v_add_f32_e32 v27, v27, v35
	v_fmac_f32_e32 v28, v24, v167
	v_add_f32_e32 v27, v27, v28
	s_waitcnt vmcnt(34) lgkmcnt(0)
	v_mul_f32_e32 v28, v13, v169
	v_fmac_f32_e32 v28, v14, v164
	v_add_f32_e32 v31, v27, v28
	ds_read2_b64 v[27:30], v148 offset0:77 offset1:78
	s_waitcnt vmcnt(33)
	v_mul_f32_e32 v32, v15, v172
	s_waitcnt vmcnt(29)
	v_fmac_f32_e32 v32, v16, v180
	buffer_load_dword v70, off, s[0:3], 0 offset:240
	buffer_load_dword v71, off, s[0:3], 0 offset:244
	v_add_f32_e32 v35, v31, v32
	ds_read2_b64 v[31:34], v148 offset0:79 offset1:80
	s_waitcnt vmcnt(30) lgkmcnt(1)
	v_mul_f32_e32 v36, v27, v179
	v_fmac_f32_e32 v36, v28, v177
	v_add_f32_e32 v35, v35, v36
	s_waitcnt vmcnt(29)
	v_mul_f32_e32 v36, v29, v178
	v_fmac_f32_e32 v36, v30, v175
	v_add_f32_e32 v35, v35, v36
	s_waitcnt vmcnt(28) lgkmcnt(0)
	v_mul_f32_e32 v36, v31, v176
	v_fmac_f32_e32 v36, v32, v174
	buffer_load_dword v72, off, s[0:3], 0 offset:248
	buffer_load_dword v73, off, s[0:3], 0 offset:252
	v_add_f32_e32 v39, v35, v36
	ds_read2_b64 v[35:38], v148 offset0:81 offset1:82
	s_waitcnt vmcnt(26)
	v_mul_f32_e32 v40, v33, v182
	v_fmac_f32_e32 v40, v34, v181
	v_add_f32_e32 v43, v39, v40
	ds_read2_b64 v[39:42], v148 offset0:83 offset1:84
	s_waitcnt vmcnt(25) lgkmcnt(1)
	v_mul_f32_e32 v44, v35, v183
	s_waitcnt vmcnt(20)
	v_fmac_f32_e32 v44, v36, v189
	v_add_f32_e32 v43, v43, v44
	v_mul_f32_e32 v44, v37, v185
	v_fmac_f32_e32 v44, v38, v184
	v_add_f32_e32 v43, v43, v44
	s_waitcnt lgkmcnt(0)
	v_mul_f32_e32 v44, v39, v187
	v_fmac_f32_e32 v44, v40, v186
	buffer_load_dword v74, off, s[0:3], 0 offset:260
	buffer_load_dword v75, off, s[0:3], 0 offset:256
	;; [unrolled: 1-line block ×6, first 2 shown]
	v_add_f32_e32 v47, v43, v44
	ds_read2_b64 v[43:46], v148 offset0:85 offset1:86
	s_waitcnt vmcnt(24)
	v_mul_f32_e32 v48, v41, v190
	v_fmac_f32_e32 v48, v42, v188
	v_add_f32_e32 v51, v47, v48
	ds_read2_b64 v[47:50], v148 offset0:87 offset1:88
	s_waitcnt vmcnt(22) lgkmcnt(1)
	v_mul_f32_e32 v52, v43, v192
	v_fmac_f32_e32 v52, v44, v191
	buffer_load_dword v80, off, s[0:3], 0 offset:284
	v_add_f32_e32 v51, v51, v52
	s_waitcnt vmcnt(21)
	v_mul_f32_e32 v52, v45, v194
	v_fmac_f32_e32 v52, v46, v193
	v_add_f32_e32 v51, v51, v52
	s_waitcnt vmcnt(19) lgkmcnt(0)
	v_mul_f32_e32 v52, v47, v196
	buffer_load_dword v81, off, s[0:3], 0 offset:280
	buffer_load_dword v82, off, s[0:3], 0 offset:288
	;; [unrolled: 1-line block ×3, first 2 shown]
	v_fmac_f32_e32 v52, v48, v195
	v_add_f32_e32 v55, v51, v52
	s_waitcnt vmcnt(20)
	v_mul_f32_e32 v56, v49, v198
	ds_read2_b64 v[51:54], v148 offset0:89 offset1:90
	buffer_load_dword v84, off, s[0:3], 0 offset:296
	buffer_load_dword v85, off, s[0:3], 0 offset:300
	v_fmac_f32_e32 v56, v50, v197
	v_add_f32_e32 v59, v55, v56
	ds_read2_b64 v[55:58], v148 offset0:91 offset1:92
	buffer_load_dword v86, off, s[0:3], 0 offset:304
	buffer_load_dword v87, off, s[0:3], 0 offset:308
	;; [unrolled: 1-line block ×8, first 2 shown]
	s_waitcnt vmcnt(28) lgkmcnt(1)
	v_mul_f32_e32 v60, v51, v200
	v_fmac_f32_e32 v60, v52, v199
	buffer_load_dword v94, off, s[0:3], 0 offset:336
	buffer_load_dword v95, off, s[0:3], 0 offset:340
	v_add_f32_e32 v59, v59, v60
	s_waitcnt vmcnt(28)
	v_mul_f32_e32 v60, v53, v67
	v_fmac_f32_e32 v60, v54, v201
	v_add_f32_e32 v59, v59, v60
	s_waitcnt vmcnt(26) lgkmcnt(0)
	v_mul_f32_e32 v60, v55, v69
	v_fmac_f32_e32 v60, v56, v68
	v_add_f32_e32 v63, v59, v60
	ds_read2_b64 v[59:62], v148 offset0:93 offset1:94
	buffer_load_dword v96, off, s[0:3], 0 offset:344
	buffer_load_dword v97, off, s[0:3], 0 offset:348
	;; [unrolled: 1-line block ×6, first 2 shown]
	ds_read2_b64 v[202:205], v148 offset0:95 offset1:96
	buffer_load_dword v102, off, s[0:3], 0 offset:368
	buffer_load_dword v103, off, s[0:3], 0 offset:372
	v_mul_f32_e32 v18, v18, v157
	v_fma_f32 v17, v17, v168, -v18
	v_mul_f32_e32 v18, v20, v156
	v_add_f32_e32 v17, 0, v17
	v_fma_f32 v18, v19, v165, -v18
	v_mul_f32_e32 v10, v10, v155
	buffer_load_dword v104, off, s[0:3], 0 offset:376
	buffer_load_dword v105, off, s[0:3], 0 offset:380
	;; [unrolled: 1-line block ×6, first 2 shown]
	v_add_f32_e32 v17, v17, v18
	v_fma_f32 v9, v9, v162, -v10
	v_mul_f32_e32 v10, v12, v154
	v_add_f32_e32 v9, v17, v9
	v_fma_f32 v10, v11, v166, -v10
	v_mul_f32_e32 v6, v6, v153
	v_add_f32_e32 v9, v9, v10
	v_fma_f32 v5, v5, v163, -v6
	v_mul_f32_e32 v6, v8, v152
	buffer_load_dword v110, off, s[0:3], 0 offset:400
	buffer_load_dword v111, off, s[0:3], 0 offset:404
	v_add_f32_e32 v5, v9, v5
	v_fma_f32 v6, v7, v161, -v6
	v_mul_f32_e32 v2, v2, v151
	v_add_f32_e32 v5, v5, v6
	v_fma_f32 v1, v1, v160, -v2
	v_mul_f32_e32 v2, v4, v158
	v_add_f32_e32 v1, v5, v1
	v_fma_f32 v2, v3, v173, -v2
	v_add_f32_e32 v1, v1, v2
	v_mul_f32_e32 v2, v22, v159
	v_fma_f32 v2, v21, v170, -v2
	buffer_load_dword v112, off, s[0:3], 0 offset:408
	buffer_load_dword v113, off, s[0:3], 0 offset:412
	;; [unrolled: 1-line block ×6, first 2 shown]
	v_add_f32_e32 v1, v1, v2
	v_mul_f32_e32 v2, v24, v171
	v_fma_f32 v2, v23, v167, -v2
	v_add_f32_e32 v1, v1, v2
	v_mul_f32_e32 v2, v14, v169
	ds_read2_b64 v[206:209], v148 offset0:97 offset1:98
	buffer_load_dword v118, off, s[0:3], 0 offset:432
	buffer_load_dword v119, off, s[0:3], 0 offset:436
	v_fma_f32 v2, v13, v164, -v2
	v_add_f32_e32 v1, v1, v2
	v_mul_f32_e32 v2, v16, v172
	v_fma_f32 v2, v15, v180, -v2
	v_add_f32_e32 v1, v1, v2
	v_mul_f32_e32 v2, v28, v179
	v_fma_f32 v2, v27, v177, -v2
	ds_read2_b64 v[210:213], v148 offset0:99 offset1:100
	buffer_load_dword v120, off, s[0:3], 0 offset:440
	buffer_load_dword v121, off, s[0:3], 0 offset:444
	;; [unrolled: 1-line block ×6, first 2 shown]
	v_add_f32_e32 v1, v1, v2
	v_mul_f32_e32 v2, v30, v178
	v_fma_f32 v2, v29, v175, -v2
	v_add_f32_e32 v1, v1, v2
	v_mul_f32_e32 v2, v32, v176
	v_fma_f32 v2, v31, v174, -v2
	;; [unrolled: 3-line block ×3, first 2 shown]
	v_add_f32_e32 v1, v1, v2
	v_mul_f32_e32 v2, v36, v183
	buffer_load_dword v126, off, s[0:3], 0 offset:464
	buffer_load_dword v127, off, s[0:3], 0 offset:468
	buffer_load_dword v128, off, s[0:3], 0 offset:476
	buffer_load_dword v254, off, s[0:3], 0 offset:480
	buffer_load_dword v255, off, s[0:3], 0 offset:484
	buffer_load_dword v129, off, s[0:3], 0 offset:472
	v_fma_f32 v2, v35, v189, -v2
	v_add_f32_e32 v1, v1, v2
	v_mul_f32_e32 v2, v38, v185
	v_fma_f32 v2, v37, v184, -v2
	v_add_f32_e32 v1, v1, v2
	v_mul_f32_e32 v2, v40, v187
	;; [unrolled: 3-line block ×10, first 2 shown]
	s_waitcnt vmcnt(60)
	v_mul_f32_e32 v64, v57, v71
	v_fma_f32 v2, v55, v68, -v2
	v_fmac_f32_e32 v64, v58, v70
	v_add_f32_e32 v1, v1, v2
	v_mul_f32_e32 v2, v58, v71
	v_add_f32_e32 v63, v63, v64
	s_waitcnt vmcnt(58) lgkmcnt(3)
	v_mul_f32_e32 v64, v59, v73
	v_fma_f32 v2, v57, v70, -v2
	v_fmac_f32_e32 v64, v60, v72
	v_add_f32_e32 v1, v1, v2
	v_mul_f32_e32 v2, v60, v73
	v_add_f32_e32 v63, v63, v64
	s_waitcnt vmcnt(57)
	v_mul_f32_e32 v64, v61, v74
	v_fma_f32 v2, v59, v72, -v2
	s_waitcnt vmcnt(56)
	v_fmac_f32_e32 v64, v62, v75
	v_add_f32_e32 v1, v1, v2
	v_mul_f32_e32 v2, v62, v74
	v_add_f32_e32 v63, v63, v64
	s_waitcnt vmcnt(54) lgkmcnt(2)
	v_mul_f32_e32 v64, v202, v77
	v_fma_f32 v2, v61, v75, -v2
	v_fmac_f32_e32 v64, v203, v76
	v_add_f32_e32 v1, v1, v2
	v_mul_f32_e32 v2, v203, v77
	v_add_f32_e32 v63, v63, v64
	s_waitcnt vmcnt(52)
	v_mul_f32_e32 v64, v204, v79
	v_fma_f32 v2, v202, v76, -v2
	v_fmac_f32_e32 v64, v205, v78
	v_add_f32_e32 v1, v1, v2
	v_mul_f32_e32 v2, v205, v79
	v_add_f32_e32 v63, v63, v64
	s_waitcnt vmcnt(51) lgkmcnt(1)
	v_mul_f32_e32 v64, v206, v80
	v_fma_f32 v2, v204, v78, -v2
	s_waitcnt vmcnt(50)
	v_fmac_f32_e32 v64, v207, v81
	v_add_f32_e32 v1, v1, v2
	v_mul_f32_e32 v2, v207, v80
	v_add_f32_e32 v63, v63, v64
	s_waitcnt vmcnt(48)
	v_mul_f32_e32 v64, v208, v83
	v_fma_f32 v2, v206, v81, -v2
	v_fmac_f32_e32 v64, v209, v82
	ds_read2_b64 v[214:217], v148 offset0:101 offset1:102
	ds_read2_b64 v[218:221], v148 offset0:103 offset1:104
	v_add_f32_e32 v1, v1, v2
	v_mul_f32_e32 v2, v209, v83
	v_add_f32_e32 v63, v63, v64
	s_waitcnt vmcnt(46) lgkmcnt(2)
	v_mul_f32_e32 v64, v210, v85
	v_fma_f32 v2, v208, v82, -v2
	v_fmac_f32_e32 v64, v211, v84
	v_add_f32_e32 v1, v1, v2
	v_mul_f32_e32 v2, v211, v85
	v_add_f32_e32 v63, v63, v64
	s_waitcnt vmcnt(44)
	v_mul_f32_e32 v64, v212, v87
	v_fma_f32 v2, v210, v84, -v2
	v_fmac_f32_e32 v64, v213, v86
	v_add_f32_e32 v1, v1, v2
	v_mul_f32_e32 v2, v213, v87
	v_add_f32_e32 v63, v63, v64
	s_waitcnt vmcnt(42) lgkmcnt(1)
	v_mul_f32_e32 v64, v214, v89
	v_fma_f32 v2, v212, v86, -v2
	v_fmac_f32_e32 v64, v215, v88
	v_add_f32_e32 v1, v1, v2
	v_mul_f32_e32 v2, v215, v89
	v_add_f32_e32 v63, v63, v64
	s_waitcnt vmcnt(41)
	v_mul_f32_e32 v64, v216, v90
	v_fma_f32 v2, v214, v88, -v2
	s_waitcnt vmcnt(38)
	v_fmac_f32_e32 v64, v217, v93
	ds_read2_b64 v[222:225], v148 offset0:105 offset1:106
	ds_read2_b64 v[226:229], v148 offset0:107 offset1:108
	v_add_f32_e32 v1, v1, v2
	v_mul_f32_e32 v2, v217, v90
	v_add_f32_e32 v63, v63, v64
	s_waitcnt lgkmcnt(2)
	v_mul_f32_e32 v64, v218, v92
	v_fma_f32 v2, v216, v93, -v2
	v_fmac_f32_e32 v64, v219, v91
	v_add_f32_e32 v1, v1, v2
	v_mul_f32_e32 v2, v219, v92
	v_add_f32_e32 v63, v63, v64
	s_waitcnt vmcnt(36)
	v_mul_f32_e32 v64, v220, v95
	v_fma_f32 v2, v218, v91, -v2
	v_fmac_f32_e32 v64, v221, v94
	v_add_f32_e32 v1, v1, v2
	v_mul_f32_e32 v2, v221, v95
	v_add_f32_e32 v63, v63, v64
	s_waitcnt vmcnt(34) lgkmcnt(1)
	v_mul_f32_e32 v64, v222, v97
	v_fma_f32 v2, v220, v94, -v2
	v_fmac_f32_e32 v64, v223, v96
	v_add_f32_e32 v1, v1, v2
	v_mul_f32_e32 v2, v223, v97
	v_add_f32_e32 v63, v63, v64
	s_waitcnt vmcnt(33)
	v_mul_f32_e32 v64, v224, v98
	v_fma_f32 v2, v222, v96, -v2
	s_waitcnt vmcnt(30)
	v_fmac_f32_e32 v64, v225, v101
	ds_read2_b64 v[230:233], v148 offset0:109 offset1:110
	ds_read2_b64 v[234:237], v148 offset0:111 offset1:112
	v_add_f32_e32 v1, v1, v2
	v_mul_f32_e32 v2, v225, v98
	v_add_f32_e32 v63, v63, v64
	s_waitcnt lgkmcnt(2)
	;; [unrolled: 31-line block ×4, first 2 shown]
	v_mul_f32_e32 v64, v242, v116
	v_fma_f32 v2, v240, v117, -v2
	v_fmac_f32_e32 v64, v243, v115
	v_add_f32_e32 v1, v1, v2
	v_mul_f32_e32 v2, v243, v116
	v_add_f32_e32 v63, v63, v64
	s_waitcnt vmcnt(12)
	v_mul_f32_e32 v64, v244, v119
	v_fma_f32 v2, v242, v115, -v2
	v_fmac_f32_e32 v64, v245, v118
	v_add_f32_e32 v1, v1, v2
	v_mul_f32_e32 v2, v245, v119
	v_add_f32_e32 v63, v63, v64
	s_waitcnt vmcnt(10) lgkmcnt(1)
	v_mul_f32_e32 v64, v246, v121
	v_fma_f32 v2, v244, v118, -v2
	v_fmac_f32_e32 v64, v247, v120
	v_add_f32_e32 v1, v1, v2
	v_mul_f32_e32 v2, v247, v121
	v_add_f32_e32 v63, v63, v64
	s_waitcnt vmcnt(9)
	v_mul_f32_e32 v64, v248, v122
	v_fma_f32 v2, v246, v120, -v2
	s_waitcnt vmcnt(6)
	v_fmac_f32_e32 v64, v249, v125
	v_add_f32_e32 v1, v1, v2
	v_mul_f32_e32 v2, v249, v122
	v_add_f32_e32 v130, v63, v64
	ds_read2_b64 v[63:66], v148 offset0:121 offset1:122
	v_fma_f32 v2, v248, v125, -v2
	v_add_f32_e32 v1, v1, v2
	s_waitcnt lgkmcnt(1)
	v_mul_f32_e32 v2, v251, v124
	v_mul_f32_e32 v131, v250, v124
	v_fma_f32 v2, v250, v123, -v2
	v_fmac_f32_e32 v131, v251, v123
	v_add_f32_e32 v1, v1, v2
	s_waitcnt vmcnt(4)
	v_mul_f32_e32 v2, v253, v127
	v_add_f32_e32 v130, v130, v131
	v_mul_f32_e32 v131, v252, v127
	v_fma_f32 v2, v252, v126, -v2
	v_fmac_f32_e32 v131, v253, v126
	v_add_f32_e32 v1, v1, v2
	s_waitcnt vmcnt(3) lgkmcnt(0)
	v_mul_f32_e32 v2, v64, v128
	v_add_f32_e32 v130, v130, v131
	v_mul_f32_e32 v131, v63, v128
	s_waitcnt vmcnt(0)
	v_fma_f32 v2, v63, v129, -v2
	v_fmac_f32_e32 v131, v64, v129
	v_add_f32_e32 v1, v1, v2
	v_mul_f32_e32 v2, v66, v255
	v_add_f32_e32 v130, v130, v131
	v_mul_f32_e32 v131, v65, v255
	v_fma_f32 v2, v65, v254, -v2
	v_fmac_f32_e32 v131, v66, v254
	v_add_f32_e32 v1, v1, v2
	v_add_f32_e32 v130, v130, v131
	v_sub_f32_e32 v1, v149, v1
	v_sub_f32_e32 v2, v150, v130
	buffer_store_dword v1, off, s[0:3], 0 offset:16
	buffer_store_dword v2, off, s[0:3], 0 offset:20
	s_and_saveexec_b64 s[4:5], vcc
	s_cbranch_execz .LBB124_377
; %bb.376:
	buffer_load_dword v1, off, s[0:3], 0 offset:8
	buffer_load_dword v2, off, s[0:3], 0 offset:12
	v_mov_b32_e32 v3, 0
	buffer_store_dword v3, off, s[0:3], 0 offset:8
	buffer_store_dword v3, off, s[0:3], 0 offset:12
	s_waitcnt vmcnt(2)
	ds_write_b64 v147, v[1:2]
.LBB124_377:
	s_or_b64 exec, exec, s[4:5]
	s_waitcnt lgkmcnt(0)
	; wave barrier
	buffer_load_dword v9, off, s[0:3], 0 offset:20
	buffer_load_dword v8, off, s[0:3], 0 offset:28
	;; [unrolled: 1-line block ×56, first 2 shown]
	v_mov_b32_e32 v24, 0
	ds_read_b128 v[27:30], v24 offset:512
	ds_read_b128 v[31:34], v24 offset:528
	;; [unrolled: 1-line block ×6, first 2 shown]
	buffer_load_dword v71, off, s[0:3], 0 offset:232
	buffer_load_dword v72, off, s[0:3], 0 offset:236
	v_cmp_ne_u32_e32 vcc, 0, v0
	s_waitcnt vmcnt(57) lgkmcnt(5)
	v_mul_f32_e32 v51, v27, v9
	s_waitcnt vmcnt(56)
	v_mul_f32_e32 v52, v29, v8
	s_waitcnt vmcnt(55) lgkmcnt(4)
	v_mul_f32_e32 v53, v31, v7
	s_waitcnt vmcnt(54)
	v_mul_f32_e32 v54, v33, v6
	;; [unrolled: 4-line block ×4, first 2 shown]
	s_waitcnt vmcnt(49) lgkmcnt(1)
	v_mul_f32_e32 v59, v43, v11
	s_waitcnt vmcnt(48)
	v_fmac_f32_e32 v53, v32, v14
	s_waitcnt vmcnt(47)
	v_fmac_f32_e32 v52, v30, v17
	;; [unrolled: 2-line block ×3, first 2 shown]
	v_add_f32_e32 v51, 0, v51
	v_add_f32_e32 v51, v51, v52
	;; [unrolled: 1-line block ×3, first 2 shown]
	s_waitcnt vmcnt(42)
	v_fmac_f32_e32 v54, v34, v18
	v_fmac_f32_e32 v55, v36, v15
	v_add_f32_e32 v51, v51, v54
	v_fmac_f32_e32 v56, v38, v13
	v_add_f32_e32 v51, v51, v55
	;; [unrolled: 2-line block ×3, first 2 shown]
	s_waitcnt vmcnt(38)
	v_fmac_f32_e32 v58, v42, v149
	v_add_f32_e32 v51, v51, v57
	v_add_f32_e32 v51, v51, v58
	v_fmac_f32_e32 v59, v44, v22
	s_waitcnt vmcnt(37)
	v_mul_f32_e32 v52, v45, v23
	v_add_f32_e32 v51, v51, v59
	v_fmac_f32_e32 v52, v46, v19
	v_add_f32_e32 v51, v51, v52
	s_waitcnt vmcnt(36) lgkmcnt(0)
	v_mul_f32_e32 v52, v47, v21
	v_fmac_f32_e32 v52, v48, v16
	v_add_f32_e32 v55, v51, v52
	ds_read_b128 v[51:54], v24 offset:608
	s_waitcnt vmcnt(35)
	v_mul_f32_e32 v56, v49, v148
	s_waitcnt vmcnt(30)
	v_fmac_f32_e32 v56, v50, v157
	v_add_f32_e32 v59, v55, v56
	ds_read_b128 v[55:58], v24 offset:624
	s_waitcnt vmcnt(29) lgkmcnt(1)
	v_mul_f32_e32 v60, v51, v156
	v_fmac_f32_e32 v60, v52, v153
	buffer_load_dword v73, off, s[0:3], 0 offset:240
	buffer_load_dword v74, off, s[0:3], 0 offset:244
	v_add_f32_e32 v59, v59, v60
	s_waitcnt vmcnt(30)
	v_mul_f32_e32 v60, v53, v154
	v_fmac_f32_e32 v60, v54, v152
	v_add_f32_e32 v59, v59, v60
	s_waitcnt lgkmcnt(0)
	v_mul_f32_e32 v60, v55, v151
	buffer_load_dword v75, off, s[0:3], 0 offset:248
	buffer_load_dword v76, off, s[0:3], 0 offset:252
	v_fmac_f32_e32 v60, v56, v150
	v_add_f32_e32 v63, v59, v60
	s_waitcnt vmcnt(28)
	v_mul_f32_e32 v64, v57, v158
	ds_read_b128 v[59:62], v24 offset:640
	buffer_load_dword v77, off, s[0:3], 0 offset:256
	buffer_load_dword v78, off, s[0:3], 0 offset:260
	v_fmac_f32_e32 v64, v58, v155
	v_add_f32_e32 v67, v63, v64
	ds_read_b128 v[63:66], v24 offset:656
	buffer_load_dword v79, off, s[0:3], 0 offset:264
	buffer_load_dword v80, off, s[0:3], 0 offset:268
	ds_read_b128 v[181:184], v24 offset:672
	buffer_load_dword v81, off, s[0:3], 0 offset:272
	buffer_load_dword v82, off, s[0:3], 0 offset:276
	;; [unrolled: 3-line block ×3, first 2 shown]
	buffer_load_dword v85, off, s[0:3], 0 offset:288
	buffer_load_dword v86, off, s[0:3], 0 offset:292
	ds_read_b128 v[189:192], v24 offset:704
	ds_read_b128 v[193:196], v24 offset:720
	buffer_load_dword v87, off, s[0:3], 0 offset:296
	buffer_load_dword v88, off, s[0:3], 0 offset:300
	;; [unrolled: 1-line block ×10, first 2 shown]
	ds_read_b128 v[197:200], v24 offset:736
	buffer_load_dword v97, off, s[0:3], 0 offset:336
	buffer_load_dword v98, off, s[0:3], 0 offset:340
	;; [unrolled: 1-line block ×6, first 2 shown]
	ds_read_b128 v[201:204], v24 offset:752
	buffer_load_dword v103, off, s[0:3], 0 offset:360
	buffer_load_dword v104, off, s[0:3], 0 offset:364
	v_mul_f32_e32 v9, v28, v9
	v_fma_f32 v9, v27, v20, -v9
	v_mul_f32_e32 v8, v30, v8
	buffer_load_dword v105, off, s[0:3], 0 offset:368
	buffer_load_dword v106, off, s[0:3], 0 offset:372
	;; [unrolled: 1-line block ×6, first 2 shown]
	v_add_f32_e32 v9, 0, v9
	v_fma_f32 v8, v29, v17, -v8
	v_mul_f32_e32 v7, v32, v7
	v_add_f32_e32 v8, v9, v8
	v_fma_f32 v7, v31, v14, -v7
	v_mul_f32_e32 v6, v34, v6
	v_add_f32_e32 v7, v8, v7
	v_fma_f32 v6, v33, v18, -v6
	v_mul_f32_e32 v5, v36, v5
	buffer_load_dword v111, off, s[0:3], 0 offset:392
	buffer_load_dword v112, off, s[0:3], 0 offset:396
	v_add_f32_e32 v6, v7, v6
	v_fma_f32 v5, v35, v15, -v5
	v_mul_f32_e32 v4, v38, v4
	v_add_f32_e32 v5, v6, v5
	v_fma_f32 v4, v37, v13, -v4
	v_mul_f32_e32 v3, v40, v3
	v_add_f32_e32 v4, v5, v4
	v_fma_f32 v3, v39, v12, -v3
	v_add_f32_e32 v3, v4, v3
	v_mul_f32_e32 v4, v42, v10
	v_fma_f32 v4, v41, v149, -v4
	ds_read_b128 v[205:208], v24 offset:768
	buffer_load_dword v113, off, s[0:3], 0 offset:400
	buffer_load_dword v114, off, s[0:3], 0 offset:404
	;; [unrolled: 1-line block ×6, first 2 shown]
	v_add_f32_e32 v3, v3, v4
	v_mul_f32_e32 v4, v44, v11
	v_fma_f32 v4, v43, v22, -v4
	v_add_f32_e32 v3, v3, v4
	v_mul_f32_e32 v4, v46, v23
	ds_read_b128 v[209:212], v24 offset:784
	buffer_load_dword v119, off, s[0:3], 0 offset:424
	buffer_load_dword v120, off, s[0:3], 0 offset:428
	v_fma_f32 v4, v45, v19, -v4
	v_add_f32_e32 v3, v3, v4
	v_mul_f32_e32 v4, v48, v21
	v_fma_f32 v4, v47, v16, -v4
	v_add_f32_e32 v3, v3, v4
	v_mul_f32_e32 v4, v50, v148
	v_fma_f32 v4, v49, v157, -v4
	buffer_load_dword v121, off, s[0:3], 0 offset:432
	buffer_load_dword v122, off, s[0:3], 0 offset:436
	;; [unrolled: 1-line block ×6, first 2 shown]
	v_add_f32_e32 v3, v3, v4
	v_mul_f32_e32 v4, v52, v156
	v_fma_f32 v4, v51, v153, -v4
	v_add_f32_e32 v3, v3, v4
	v_mul_f32_e32 v4, v54, v154
	v_fma_f32 v4, v53, v152, -v4
	v_add_f32_e32 v3, v3, v4
	v_mul_f32_e32 v4, v56, v151
	s_waitcnt vmcnt(62) lgkmcnt(9)
	v_mul_f32_e32 v68, v59, v160
	buffer_load_dword v127, off, s[0:3], 0 offset:456
	buffer_load_dword v128, off, s[0:3], 0 offset:460
	v_fma_f32 v4, v55, v150, -v4
	v_fmac_f32_e32 v68, v60, v159
	v_add_f32_e32 v3, v3, v4
	v_mul_f32_e32 v4, v58, v158
	v_add_f32_e32 v67, v67, v68
	v_mul_f32_e32 v68, v61, v162
	v_fma_f32 v4, v57, v155, -v4
	v_fmac_f32_e32 v68, v62, v161
	v_add_f32_e32 v3, v3, v4
	v_mul_f32_e32 v4, v60, v160
	v_add_f32_e32 v67, v67, v68
	s_waitcnt lgkmcnt(8)
	v_mul_f32_e32 v68, v63, v164
	v_fma_f32 v4, v59, v159, -v4
	v_fmac_f32_e32 v68, v64, v163
	v_add_f32_e32 v3, v3, v4
	v_mul_f32_e32 v4, v62, v162
	v_add_f32_e32 v67, v67, v68
	v_mul_f32_e32 v68, v65, v166
	buffer_load_dword v129, off, s[0:3], 0 offset:464
	buffer_load_dword v130, off, s[0:3], 0 offset:468
	buffer_load_dword v131, off, s[0:3], 0 offset:476
	buffer_load_dword v132, off, s[0:3], 0 offset:480
	buffer_load_dword v255, off, s[0:3], 0 offset:484
	buffer_load_dword v133, off, s[0:3], 0 offset:472
	v_fma_f32 v4, v61, v161, -v4
	v_fmac_f32_e32 v68, v66, v165
	v_add_f32_e32 v3, v3, v4
	v_mul_f32_e32 v4, v64, v164
	v_add_f32_e32 v67, v67, v68
	s_waitcnt lgkmcnt(7)
	v_mul_f32_e32 v68, v181, v168
	v_fma_f32 v4, v63, v163, -v4
	v_fmac_f32_e32 v68, v182, v167
	v_add_f32_e32 v3, v3, v4
	v_mul_f32_e32 v4, v66, v166
	v_add_f32_e32 v67, v67, v68
	v_mul_f32_e32 v68, v183, v170
	v_fma_f32 v4, v65, v165, -v4
	v_fmac_f32_e32 v68, v184, v169
	v_add_f32_e32 v3, v3, v4
	v_mul_f32_e32 v4, v182, v168
	v_add_f32_e32 v67, v67, v68
	s_waitcnt lgkmcnt(6)
	v_mul_f32_e32 v68, v185, v172
	v_fma_f32 v4, v181, v167, -v4
	v_fmac_f32_e32 v68, v186, v171
	v_add_f32_e32 v3, v3, v4
	v_mul_f32_e32 v4, v184, v170
	v_add_f32_e32 v67, v67, v68
	v_mul_f32_e32 v68, v187, v174
	v_fma_f32 v4, v183, v169, -v4
	v_fmac_f32_e32 v68, v188, v173
	v_add_f32_e32 v3, v3, v4
	v_mul_f32_e32 v4, v186, v172
	v_add_f32_e32 v67, v67, v68
	s_waitcnt vmcnt(62) lgkmcnt(5)
	v_mul_f32_e32 v68, v189, v176
	v_fma_f32 v4, v185, v171, -v4
	v_fmac_f32_e32 v68, v190, v175
	v_add_f32_e32 v3, v3, v4
	v_mul_f32_e32 v4, v188, v174
	v_add_f32_e32 v67, v67, v68
	v_mul_f32_e32 v68, v191, v178
	v_fma_f32 v4, v187, v173, -v4
	v_fmac_f32_e32 v68, v192, v177
	v_add_f32_e32 v3, v3, v4
	v_mul_f32_e32 v4, v190, v176
	v_add_f32_e32 v67, v67, v68
	s_waitcnt lgkmcnt(4)
	v_mul_f32_e32 v68, v193, v180
	v_fma_f32 v4, v189, v175, -v4
	v_fmac_f32_e32 v68, v194, v179
	v_add_f32_e32 v3, v3, v4
	v_mul_f32_e32 v4, v192, v178
	v_add_f32_e32 v67, v67, v68
	v_mul_f32_e32 v68, v195, v72
	v_fma_f32 v4, v191, v177, -v4
	v_fmac_f32_e32 v68, v196, v71
	v_add_f32_e32 v3, v3, v4
	v_mul_f32_e32 v4, v194, v180
	v_add_f32_e32 v67, v67, v68
	s_waitcnt vmcnt(60) lgkmcnt(3)
	v_mul_f32_e32 v68, v197, v74
	v_fma_f32 v4, v193, v179, -v4
	v_fmac_f32_e32 v68, v198, v73
	v_add_f32_e32 v3, v3, v4
	v_mul_f32_e32 v4, v196, v72
	v_add_f32_e32 v67, v67, v68
	s_waitcnt vmcnt(58)
	v_mul_f32_e32 v68, v199, v76
	v_fma_f32 v4, v195, v71, -v4
	v_fmac_f32_e32 v68, v200, v75
	v_add_f32_e32 v3, v3, v4
	v_mul_f32_e32 v4, v198, v74
	v_add_f32_e32 v67, v67, v68
	s_waitcnt vmcnt(56) lgkmcnt(2)
	v_mul_f32_e32 v68, v201, v78
	v_fma_f32 v4, v197, v73, -v4
	v_fmac_f32_e32 v68, v202, v77
	v_add_f32_e32 v3, v3, v4
	v_mul_f32_e32 v4, v200, v76
	v_add_f32_e32 v67, v67, v68
	s_waitcnt vmcnt(54)
	;; [unrolled: 14-line block ×3, first 2 shown]
	v_mul_f32_e32 v68, v207, v83
	v_fma_f32 v4, v203, v79, -v4
	s_waitcnt vmcnt(50)
	v_fmac_f32_e32 v68, v208, v84
	ds_read_b128 v[213:216], v24 offset:800
	ds_read_b128 v[217:220], v24 offset:816
	v_add_f32_e32 v3, v3, v4
	v_mul_f32_e32 v4, v206, v82
	v_add_f32_e32 v67, v67, v68
	s_waitcnt vmcnt(48) lgkmcnt(2)
	v_mul_f32_e32 v68, v209, v86
	v_fma_f32 v4, v205, v81, -v4
	v_fmac_f32_e32 v68, v210, v85
	v_add_f32_e32 v3, v3, v4
	v_mul_f32_e32 v4, v208, v83
	v_add_f32_e32 v67, v67, v68
	s_waitcnt vmcnt(46)
	v_mul_f32_e32 v68, v211, v88
	v_fma_f32 v4, v207, v84, -v4
	v_fmac_f32_e32 v68, v212, v87
	v_add_f32_e32 v3, v3, v4
	v_mul_f32_e32 v4, v210, v86
	v_add_f32_e32 v67, v67, v68
	s_waitcnt vmcnt(44) lgkmcnt(1)
	v_mul_f32_e32 v68, v213, v90
	v_fma_f32 v4, v209, v85, -v4
	v_fmac_f32_e32 v68, v214, v89
	v_add_f32_e32 v3, v3, v4
	v_mul_f32_e32 v4, v212, v88
	v_add_f32_e32 v67, v67, v68
	s_waitcnt vmcnt(43)
	v_mul_f32_e32 v68, v215, v91
	v_fma_f32 v4, v211, v87, -v4
	s_waitcnt vmcnt(40)
	v_fmac_f32_e32 v68, v216, v94
	ds_read_b128 v[221:224], v24 offset:832
	ds_read_b128 v[225:228], v24 offset:848
	v_add_f32_e32 v3, v3, v4
	v_mul_f32_e32 v4, v214, v90
	v_add_f32_e32 v67, v67, v68
	s_waitcnt lgkmcnt(2)
	v_mul_f32_e32 v68, v217, v93
	v_fma_f32 v4, v213, v89, -v4
	v_fmac_f32_e32 v68, v218, v92
	v_add_f32_e32 v3, v3, v4
	v_mul_f32_e32 v4, v216, v91
	v_add_f32_e32 v67, v67, v68
	s_waitcnt vmcnt(38)
	v_mul_f32_e32 v68, v219, v96
	v_fma_f32 v4, v215, v94, -v4
	v_fmac_f32_e32 v68, v220, v95
	v_add_f32_e32 v3, v3, v4
	v_mul_f32_e32 v4, v218, v93
	v_add_f32_e32 v67, v67, v68
	s_waitcnt vmcnt(36) lgkmcnt(1)
	v_mul_f32_e32 v68, v221, v98
	v_fma_f32 v4, v217, v92, -v4
	v_fmac_f32_e32 v68, v222, v97
	v_add_f32_e32 v3, v3, v4
	v_mul_f32_e32 v4, v220, v96
	v_add_f32_e32 v67, v67, v68
	s_waitcnt vmcnt(35)
	v_mul_f32_e32 v68, v223, v99
	v_fma_f32 v4, v219, v95, -v4
	s_waitcnt vmcnt(32)
	v_fmac_f32_e32 v68, v224, v102
	ds_read_b128 v[229:232], v24 offset:864
	ds_read_b128 v[233:236], v24 offset:880
	v_add_f32_e32 v3, v3, v4
	v_mul_f32_e32 v4, v222, v98
	v_add_f32_e32 v67, v67, v68
	s_waitcnt lgkmcnt(2)
	;; [unrolled: 31-line block ×4, first 2 shown]
	v_mul_f32_e32 v68, v241, v117
	v_fma_f32 v4, v237, v113, -v4
	v_fmac_f32_e32 v68, v242, v116
	v_add_f32_e32 v3, v3, v4
	v_mul_f32_e32 v4, v240, v115
	v_add_f32_e32 v67, v67, v68
	s_waitcnt vmcnt(14)
	v_mul_f32_e32 v68, v243, v120
	v_fma_f32 v4, v239, v118, -v4
	v_fmac_f32_e32 v68, v244, v119
	v_add_f32_e32 v3, v3, v4
	v_mul_f32_e32 v4, v242, v117
	v_add_f32_e32 v67, v67, v68
	s_waitcnt vmcnt(12) lgkmcnt(1)
	v_mul_f32_e32 v68, v245, v122
	v_fma_f32 v4, v241, v116, -v4
	v_fmac_f32_e32 v68, v246, v121
	v_add_f32_e32 v3, v3, v4
	v_mul_f32_e32 v4, v244, v120
	v_add_f32_e32 v67, v67, v68
	s_waitcnt vmcnt(11)
	v_mul_f32_e32 v68, v247, v123
	v_fma_f32 v4, v243, v119, -v4
	s_waitcnt vmcnt(8)
	v_fmac_f32_e32 v68, v248, v126
	v_add_f32_e32 v3, v3, v4
	v_mul_f32_e32 v4, v246, v122
	v_add_f32_e32 v67, v67, v68
	s_waitcnt lgkmcnt(0)
	v_mul_f32_e32 v68, v249, v125
	v_fma_f32 v4, v245, v121, -v4
	v_fmac_f32_e32 v68, v250, v124
	v_add_f32_e32 v3, v3, v4
	v_mul_f32_e32 v4, v248, v123
	v_add_f32_e32 v134, v67, v68
	ds_read_b128 v[67:70], v24 offset:960
	v_fma_f32 v4, v247, v126, -v4
	v_add_f32_e32 v3, v3, v4
	v_mul_f32_e32 v4, v250, v125
	s_waitcnt vmcnt(6)
	v_mul_f32_e32 v253, v251, v128
	v_fma_f32 v4, v249, v124, -v4
	v_fmac_f32_e32 v253, v252, v127
	v_add_f32_e32 v3, v3, v4
	v_mul_f32_e32 v4, v252, v128
	v_add_f32_e32 v134, v134, v253
	ds_read_b64 v[253:254], v24 offset:976
	v_fma_f32 v4, v251, v127, -v4
	v_add_f32_e32 v3, v3, v4
	s_waitcnt vmcnt(4) lgkmcnt(1)
	v_mul_f32_e32 v4, v68, v130
	v_mul_f32_e32 v135, v67, v130
	v_fma_f32 v4, v67, v129, -v4
	v_fmac_f32_e32 v135, v68, v129
	v_add_f32_e32 v3, v3, v4
	s_waitcnt vmcnt(3)
	v_mul_f32_e32 v4, v70, v131
	v_add_f32_e32 v134, v134, v135
	v_mul_f32_e32 v135, v69, v131
	s_waitcnt vmcnt(0)
	v_fma_f32 v4, v69, v133, -v4
	v_fmac_f32_e32 v135, v70, v133
	v_add_f32_e32 v3, v3, v4
	s_waitcnt lgkmcnt(0)
	v_mul_f32_e32 v4, v254, v255
	v_add_f32_e32 v134, v134, v135
	v_mul_f32_e32 v135, v253, v255
	v_fma_f32 v4, v253, v132, -v4
	v_fmac_f32_e32 v135, v254, v132
	v_add_f32_e32 v3, v3, v4
	v_add_f32_e32 v134, v134, v135
	v_sub_f32_e32 v1, v1, v3
	v_sub_f32_e32 v2, v2, v134
	buffer_store_dword v1, off, s[0:3], 0 offset:8
	buffer_store_dword v2, off, s[0:3], 0 offset:12
	s_and_saveexec_b64 s[4:5], vcc
	s_cbranch_execz .LBB124_379
; %bb.378:
	buffer_load_dword v0, off, s[0:3], 0
	buffer_load_dword v1, off, s[0:3], 0 offset:4
	s_waitcnt vmcnt(0)
	ds_write_b64 v147, v[0:1]
	buffer_store_dword v24, off, s[0:3], 0
	buffer_store_dword v24, off, s[0:3], 0 offset:4
.LBB124_379:
	s_or_b64 exec, exec, s[4:5]
	s_waitcnt lgkmcnt(0)
	; wave barrier
	buffer_load_dword v155, off, s[0:3], 0 offset:12
	buffer_load_dword v154, off, s[0:3], 0 offset:20
	;; [unrolled: 1-line block ×30, first 2 shown]
	buffer_load_dword v147, off, s[0:3], 0
	buffer_load_dword v148, off, s[0:3], 0 offset:4
	buffer_load_dword v179, off, s[0:3], 0 offset:132
	;; [unrolled: 1-line block ×9, first 2 shown]
	ds_read2_b64 v[20:23], v24 offset0:63 offset1:64
	ds_read2_b64 v[16:19], v24 offset0:65 offset1:66
	;; [unrolled: 1-line block ×6, first 2 shown]
	buffer_load_dword v186, off, s[0:3], 0 offset:160
	buffer_load_dword v188, off, s[0:3], 0 offset:164
	;; [unrolled: 1-line block ×19, first 2 shown]
	s_and_b64 vcc, exec, s[14:15]
	s_waitcnt vmcnt(58) lgkmcnt(5)
	v_mul_f32_e32 v27, v20, v155
	s_waitcnt vmcnt(57)
	v_mul_f32_e32 v28, v22, v154
	s_waitcnt vmcnt(56) lgkmcnt(4)
	v_mul_f32_e32 v29, v16, v153
	s_waitcnt vmcnt(55)
	v_mul_f32_e32 v30, v18, v152
	;; [unrolled: 4-line block ×4, first 2 shown]
	s_waitcnt vmcnt(50) lgkmcnt(1)
	v_mul_f32_e32 v35, v4, v157
	s_waitcnt vmcnt(49)
	v_fmac_f32_e32 v29, v17, v160
	s_waitcnt vmcnt(48)
	v_fmac_f32_e32 v28, v23, v163
	;; [unrolled: 2-line block ×3, first 2 shown]
	v_add_f32_e32 v27, 0, v27
	v_add_f32_e32 v27, v27, v28
	;; [unrolled: 1-line block ×3, first 2 shown]
	s_waitcnt vmcnt(43)
	v_fmac_f32_e32 v30, v19, v164
	v_fmac_f32_e32 v31, v13, v161
	v_add_f32_e32 v27, v27, v30
	v_fmac_f32_e32 v32, v15, v159
	v_add_f32_e32 v27, v27, v31
	;; [unrolled: 2-line block ×3, first 2 shown]
	s_waitcnt vmcnt(39)
	v_fmac_f32_e32 v34, v11, v171
	v_add_f32_e32 v27, v27, v33
	v_fmac_f32_e32 v35, v5, v168
	v_add_f32_e32 v27, v27, v34
	s_waitcnt vmcnt(38)
	v_mul_f32_e32 v28, v6, v169
	v_add_f32_e32 v27, v27, v35
	v_fmac_f32_e32 v28, v7, v165
	v_add_f32_e32 v27, v27, v28
	s_waitcnt vmcnt(37) lgkmcnt(0)
	v_mul_f32_e32 v28, v0, v167
	v_fmac_f32_e32 v28, v1, v162
	v_add_f32_e32 v31, v27, v28
	ds_read2_b64 v[27:30], v24 offset0:75 offset1:76
	s_waitcnt vmcnt(36)
	v_mul_f32_e32 v32, v2, v170
	s_waitcnt vmcnt(30)
	v_fmac_f32_e32 v32, v3, v178
	v_add_f32_e32 v35, v31, v32
	ds_read2_b64 v[31:34], v24 offset0:77 offset1:78
	s_waitcnt vmcnt(29) lgkmcnt(1)
	v_mul_f32_e32 v36, v27, v177
	v_fmac_f32_e32 v36, v28, v176
	v_add_f32_e32 v35, v35, v36
	v_mul_f32_e32 v36, v29, v173
	v_fmac_f32_e32 v36, v30, v172
	buffer_load_dword v74, off, s[0:3], 0 offset:232
	buffer_load_dword v75, off, s[0:3], 0 offset:240
	;; [unrolled: 1-line block ×3, first 2 shown]
	v_add_f32_e32 v35, v35, v36
	s_waitcnt lgkmcnt(0)
	v_mul_f32_e32 v36, v31, v175
	v_fmac_f32_e32 v36, v32, v174
	buffer_load_dword v77, off, s[0:3], 0 offset:248
	buffer_load_dword v78, off, s[0:3], 0 offset:252
	s_waitcnt vmcnt(31)
	v_mul_f32_e32 v40, v33, v179
	v_add_f32_e32 v39, v35, v36
	s_waitcnt vmcnt(24)
	v_fmac_f32_e32 v40, v34, v187
	ds_read2_b64 v[35:38], v24 offset0:79 offset1:80
	v_add_f32_e32 v43, v39, v40
	ds_read2_b64 v[39:42], v24 offset0:81 offset1:82
	buffer_load_dword v79, off, s[0:3], 0 offset:256
	buffer_load_dword v80, off, s[0:3], 0 offset:260
	;; [unrolled: 1-line block ×4, first 2 shown]
	s_waitcnt lgkmcnt(1)
	v_mul_f32_e32 v44, v35, v181
	v_fmac_f32_e32 v44, v36, v180
	v_add_f32_e32 v43, v43, v44
	v_mul_f32_e32 v44, v37, v183
	v_fmac_f32_e32 v44, v38, v182
	v_add_f32_e32 v43, v43, v44
	s_waitcnt lgkmcnt(0)
	v_mul_f32_e32 v44, v39, v185
	v_fmac_f32_e32 v44, v40, v184
	s_waitcnt vmcnt(26)
	v_mul_f32_e32 v48, v41, v188
	v_add_f32_e32 v47, v43, v44
	v_fmac_f32_e32 v48, v42, v186
	ds_read2_b64 v[43:46], v24 offset0:83 offset1:84
	v_add_f32_e32 v51, v47, v48
	ds_read2_b64 v[47:50], v24 offset0:85 offset1:86
	buffer_load_dword v83, off, s[0:3], 0 offset:272
	buffer_load_dword v84, off, s[0:3], 0 offset:276
	buffer_load_dword v85, off, s[0:3], 0 offset:280
	buffer_load_dword v86, off, s[0:3], 0 offset:284
	s_waitcnt vmcnt(28) lgkmcnt(1)
	v_mul_f32_e32 v52, v43, v190
	v_fmac_f32_e32 v52, v44, v189
	v_add_f32_e32 v51, v51, v52
	s_waitcnt vmcnt(26)
	v_mul_f32_e32 v52, v45, v192
	v_fmac_f32_e32 v52, v46, v191
	v_add_f32_e32 v51, v51, v52
	s_waitcnt vmcnt(24) lgkmcnt(0)
	v_mul_f32_e32 v52, v47, v194
	v_fmac_f32_e32 v52, v48, v193
	v_add_f32_e32 v55, v51, v52
	ds_read2_b64 v[51:54], v24 offset0:87 offset1:88
	buffer_load_dword v87, off, s[0:3], 0 offset:288
	buffer_load_dword v88, off, s[0:3], 0 offset:292
	s_waitcnt vmcnt(24)
	v_mul_f32_e32 v56, v49, v196
	v_fmac_f32_e32 v56, v50, v195
	v_add_f32_e32 v59, v55, v56
	ds_read2_b64 v[55:58], v24 offset0:89 offset1:90
	s_waitcnt vmcnt(22) lgkmcnt(1)
	v_mul_f32_e32 v60, v51, v198
	v_fmac_f32_e32 v60, v52, v197
	buffer_load_dword v89, off, s[0:3], 0 offset:296
	buffer_load_dword v90, off, s[0:3], 0 offset:300
	;; [unrolled: 1-line block ×6, first 2 shown]
	v_add_f32_e32 v59, v59, v60
	s_waitcnt vmcnt(26)
	v_mul_f32_e32 v60, v53, v200
	v_fmac_f32_e32 v60, v54, v199
	v_add_f32_e32 v59, v59, v60
	s_waitcnt vmcnt(24) lgkmcnt(0)
	v_mul_f32_e32 v60, v55, v202
	v_fmac_f32_e32 v60, v56, v201
	v_add_f32_e32 v63, v59, v60
	ds_read2_b64 v[59:62], v24 offset0:91 offset1:92
	buffer_load_dword v95, off, s[0:3], 0 offset:320
	buffer_load_dword v96, off, s[0:3], 0 offset:324
	s_waitcnt vmcnt(24)
	v_mul_f32_e32 v64, v57, v72
	v_fmac_f32_e32 v64, v58, v71
	v_add_f32_e32 v67, v63, v64
	ds_read2_b64 v[63:66], v24 offset0:93 offset1:94
	buffer_load_dword v97, off, s[0:3], 0 offset:328
	buffer_load_dword v98, off, s[0:3], 0 offset:332
	;; [unrolled: 1-line block ×14, first 2 shown]
	s_waitcnt vmcnt(37) lgkmcnt(1)
	v_mul_f32_e32 v68, v59, v73
	buffer_load_dword v113, off, s[0:3], 0 offset:384
	buffer_load_dword v114, off, s[0:3], 0 offset:388
	v_mul_f32_e32 v21, v21, v155
	v_fma_f32 v20, v20, v166, -v21
	v_mul_f32_e32 v21, v23, v154
	v_add_f32_e32 v20, 0, v20
	v_fma_f32 v21, v22, v163, -v21
	v_mul_f32_e32 v17, v17, v153
	v_add_f32_e32 v20, v20, v21
	;; [unrolled: 3-line block ×4, first 2 shown]
	s_waitcnt vmcnt(38)
	v_fmac_f32_e32 v68, v60, v74
	v_add_f32_e32 v67, v67, v68
	s_waitcnt vmcnt(36)
	v_mul_f32_e32 v68, v61, v76
	v_fmac_f32_e32 v68, v62, v75
	v_add_f32_e32 v67, v67, v68
	v_fma_f32 v12, v12, v161, -v13
	s_waitcnt vmcnt(34) lgkmcnt(0)
	v_mul_f32_e32 v68, v63, v78
	v_fmac_f32_e32 v68, v64, v77
	v_add_f32_e32 v111, v67, v68
	ds_read2_b64 v[67:70], v24 offset0:95 offset1:96
	v_mul_f32_e32 v13, v15, v150
	v_add_f32_e32 v12, v16, v12
	v_fma_f32 v13, v14, v159, -v13
	s_waitcnt vmcnt(32)
	v_mul_f32_e32 v112, v65, v80
	v_fmac_f32_e32 v112, v66, v79
	v_add_f32_e32 v111, v111, v112
	buffer_load_dword v112, off, s[0:3], 0 offset:392
	buffer_load_dword v115, off, s[0:3], 0 offset:396
	;; [unrolled: 1-line block ×6, first 2 shown]
	s_waitcnt vmcnt(36) lgkmcnt(0)
	v_mul_f32_e32 v120, v67, v82
	v_fmac_f32_e32 v120, v68, v81
	v_mul_f32_e32 v9, v9, v149
	ds_read2_b64 v[203:206], v24 offset0:97 offset1:98
	v_add_f32_e32 v111, v111, v120
	buffer_load_dword v120, off, s[0:3], 0 offset:416
	buffer_load_dword v121, off, s[0:3], 0 offset:420
	v_add_f32_e32 v12, v12, v13
	v_fma_f32 v8, v8, v158, -v9
	v_mul_f32_e32 v9, v11, v156
	v_add_f32_e32 v8, v12, v8
	v_fma_f32 v9, v10, v171, -v9
	v_mul_f32_e32 v5, v5, v157
	;; [unrolled: 3-line block ×5, first 2 shown]
	v_add_f32_e32 v0, v4, v0
	v_fma_f32 v1, v2, v178, -v1
	buffer_load_dword v123, off, s[0:3], 0 offset:424
	buffer_load_dword v124, off, s[0:3], 0 offset:428
	;; [unrolled: 1-line block ×6, first 2 shown]
	v_add_f32_e32 v0, v0, v1
	v_mul_f32_e32 v1, v28, v177
	s_waitcnt vmcnt(42)
	v_mul_f32_e32 v122, v69, v84
	v_fma_f32 v1, v27, v176, -v1
	v_fmac_f32_e32 v122, v70, v83
	v_add_f32_e32 v0, v0, v1
	v_mul_f32_e32 v1, v30, v173
	v_add_f32_e32 v111, v111, v122
	s_waitcnt vmcnt(40) lgkmcnt(0)
	v_mul_f32_e32 v122, v203, v86
	v_fma_f32 v1, v29, v172, -v1
	v_fmac_f32_e32 v122, v204, v85
	v_add_f32_e32 v0, v0, v1
	v_mul_f32_e32 v1, v32, v175
	v_add_f32_e32 v111, v111, v122
	buffer_load_dword v122, off, s[0:3], 0 offset:448
	buffer_load_dword v129, off, s[0:3], 0 offset:452
	v_fma_f32 v1, v31, v174, -v1
	v_add_f32_e32 v0, v0, v1
	v_mul_f32_e32 v1, v34, v179
	v_fma_f32 v1, v33, v187, -v1
	v_add_f32_e32 v0, v0, v1
	v_mul_f32_e32 v1, v36, v181
	;; [unrolled: 3-line block ×3, first 2 shown]
	buffer_load_dword v131, off, s[0:3], 0 offset:456
	buffer_load_dword v132, off, s[0:3], 0 offset:460
	;; [unrolled: 1-line block ×6, first 2 shown]
	v_fma_f32 v1, v37, v182, -v1
	s_waitcnt vmcnt(46)
	v_mul_f32_e32 v130, v205, v88
	v_add_f32_e32 v0, v0, v1
	v_mul_f32_e32 v1, v40, v185
	v_fmac_f32_e32 v130, v206, v87
	v_fma_f32 v1, v39, v184, -v1
	ds_read2_b64 v[207:210], v24 offset0:99 offset1:100
	ds_read2_b64 v[211:214], v24 offset0:101 offset1:102
	v_add_f32_e32 v111, v111, v130
	buffer_load_dword v130, off, s[0:3], 0 offset:480
	buffer_load_dword v255, off, s[0:3], 0 offset:484
	v_add_f32_e32 v0, v0, v1
	v_mul_f32_e32 v1, v42, v188
	v_fma_f32 v1, v41, v186, -v1
	v_add_f32_e32 v0, v0, v1
	v_mul_f32_e32 v1, v44, v190
	v_fma_f32 v1, v43, v189, -v1
	;; [unrolled: 3-line block ×9, first 2 shown]
	v_add_f32_e32 v0, v0, v1
	v_mul_f32_e32 v1, v60, v73
	s_waitcnt vmcnt(46) lgkmcnt(1)
	v_mul_f32_e32 v215, v207, v90
	v_fma_f32 v1, v59, v74, -v1
	v_fmac_f32_e32 v215, v208, v89
	v_add_f32_e32 v0, v0, v1
	v_mul_f32_e32 v1, v62, v76
	v_add_f32_e32 v111, v111, v215
	s_waitcnt vmcnt(45)
	v_mul_f32_e32 v215, v209, v91
	v_fma_f32 v1, v61, v75, -v1
	s_waitcnt vmcnt(42)
	v_fmac_f32_e32 v215, v210, v94
	v_add_f32_e32 v0, v0, v1
	v_mul_f32_e32 v1, v64, v78
	v_add_f32_e32 v111, v111, v215
	s_waitcnt lgkmcnt(0)
	v_mul_f32_e32 v215, v211, v93
	v_fma_f32 v1, v63, v77, -v1
	v_fmac_f32_e32 v215, v212, v92
	v_add_f32_e32 v0, v0, v1
	v_mul_f32_e32 v1, v66, v80
	v_add_f32_e32 v111, v111, v215
	ds_read2_b64 v[215:218], v24 offset0:103 offset1:104
	v_fma_f32 v1, v65, v79, -v1
	v_add_f32_e32 v0, v0, v1
	v_mul_f32_e32 v1, v68, v82
	s_waitcnt vmcnt(40)
	v_mul_f32_e32 v219, v213, v96
	v_fma_f32 v1, v67, v81, -v1
	v_fmac_f32_e32 v219, v214, v95
	v_add_f32_e32 v0, v0, v1
	v_mul_f32_e32 v1, v70, v84
	v_add_f32_e32 v111, v111, v219
	ds_read2_b64 v[219:222], v24 offset0:105 offset1:106
	v_fma_f32 v1, v69, v83, -v1
	s_waitcnt vmcnt(38) lgkmcnt(1)
	v_mul_f32_e32 v223, v215, v98
	v_add_f32_e32 v0, v0, v1
	v_mul_f32_e32 v1, v204, v86
	v_fmac_f32_e32 v223, v216, v97
	v_fma_f32 v1, v203, v85, -v1
	v_add_f32_e32 v111, v111, v223
	s_waitcnt vmcnt(37)
	v_mul_f32_e32 v223, v217, v99
	v_add_f32_e32 v0, v0, v1
	v_mul_f32_e32 v1, v206, v88
	s_waitcnt vmcnt(34)
	v_fmac_f32_e32 v223, v218, v102
	v_fma_f32 v1, v205, v87, -v1
	v_add_f32_e32 v111, v111, v223
	s_waitcnt lgkmcnt(0)
	v_mul_f32_e32 v223, v219, v101
	v_add_f32_e32 v0, v0, v1
	v_mul_f32_e32 v1, v208, v90
	v_fmac_f32_e32 v223, v220, v100
	v_fma_f32 v1, v207, v89, -v1
	v_add_f32_e32 v111, v111, v223
	ds_read2_b64 v[223:226], v24 offset0:107 offset1:108
	v_add_f32_e32 v0, v0, v1
	v_mul_f32_e32 v1, v210, v91
	v_fma_f32 v1, v209, v94, -v1
	s_waitcnt vmcnt(32)
	v_mul_f32_e32 v227, v221, v104
	v_add_f32_e32 v0, v0, v1
	v_mul_f32_e32 v1, v212, v93
	v_fmac_f32_e32 v227, v222, v103
	v_fma_f32 v1, v211, v92, -v1
	v_add_f32_e32 v111, v111, v227
	ds_read2_b64 v[227:230], v24 offset0:109 offset1:110
	v_add_f32_e32 v0, v0, v1
	v_mul_f32_e32 v1, v214, v96
	s_waitcnt vmcnt(30) lgkmcnt(1)
	v_mul_f32_e32 v231, v223, v106
	v_fma_f32 v1, v213, v95, -v1
	v_fmac_f32_e32 v231, v224, v105
	v_add_f32_e32 v0, v0, v1
	v_mul_f32_e32 v1, v216, v98
	v_add_f32_e32 v111, v111, v231
	s_waitcnt vmcnt(29)
	v_mul_f32_e32 v231, v225, v107
	v_fma_f32 v1, v215, v97, -v1
	s_waitcnt vmcnt(26)
	v_fmac_f32_e32 v231, v226, v110
	v_add_f32_e32 v0, v0, v1
	v_mul_f32_e32 v1, v218, v99
	v_add_f32_e32 v111, v111, v231
	s_waitcnt lgkmcnt(0)
	v_mul_f32_e32 v231, v227, v109
	v_fma_f32 v1, v217, v102, -v1
	v_fmac_f32_e32 v231, v228, v108
	v_add_f32_e32 v0, v0, v1
	v_mul_f32_e32 v1, v220, v101
	v_add_f32_e32 v111, v111, v231
	ds_read2_b64 v[231:234], v24 offset0:111 offset1:112
	v_fma_f32 v1, v219, v100, -v1
	v_add_f32_e32 v0, v0, v1
	v_mul_f32_e32 v1, v222, v104
	s_waitcnt vmcnt(24)
	v_mul_f32_e32 v235, v229, v114
	v_fma_f32 v1, v221, v103, -v1
	v_fmac_f32_e32 v235, v230, v113
	v_add_f32_e32 v0, v0, v1
	v_mul_f32_e32 v1, v224, v106
	v_add_f32_e32 v111, v111, v235
	ds_read2_b64 v[235:238], v24 offset0:113 offset1:114
	v_fma_f32 v1, v223, v105, -v1
	s_waitcnt vmcnt(22) lgkmcnt(1)
	v_mul_f32_e32 v239, v231, v115
	v_add_f32_e32 v0, v0, v1
	v_mul_f32_e32 v1, v226, v107
	v_fmac_f32_e32 v239, v232, v112
	v_fma_f32 v1, v225, v110, -v1
	v_add_f32_e32 v111, v111, v239
	s_waitcnt vmcnt(21)
	v_mul_f32_e32 v239, v233, v116
	v_add_f32_e32 v0, v0, v1
	v_mul_f32_e32 v1, v228, v109
	s_waitcnt vmcnt(18)
	v_fmac_f32_e32 v239, v234, v119
	v_fma_f32 v1, v227, v108, -v1
	v_add_f32_e32 v111, v111, v239
	s_waitcnt lgkmcnt(0)
	v_mul_f32_e32 v239, v235, v118
	v_add_f32_e32 v0, v0, v1
	v_mul_f32_e32 v1, v230, v114
	v_fmac_f32_e32 v239, v236, v117
	v_fma_f32 v1, v229, v113, -v1
	v_add_f32_e32 v111, v111, v239
	ds_read2_b64 v[239:242], v24 offset0:115 offset1:116
	v_add_f32_e32 v0, v0, v1
	v_mul_f32_e32 v1, v232, v115
	v_fma_f32 v1, v231, v112, -v1
	s_waitcnt vmcnt(16)
	v_mul_f32_e32 v243, v237, v121
	v_add_f32_e32 v0, v0, v1
	v_mul_f32_e32 v1, v234, v116
	v_fmac_f32_e32 v243, v238, v120
	v_fma_f32 v1, v233, v119, -v1
	v_add_f32_e32 v111, v111, v243
	ds_read2_b64 v[243:246], v24 offset0:117 offset1:118
	v_add_f32_e32 v0, v0, v1
	v_mul_f32_e32 v1, v236, v118
	s_waitcnt vmcnt(14) lgkmcnt(1)
	v_mul_f32_e32 v247, v239, v124
	v_fma_f32 v1, v235, v117, -v1
	v_fmac_f32_e32 v247, v240, v123
	v_add_f32_e32 v0, v0, v1
	v_mul_f32_e32 v1, v238, v121
	v_add_f32_e32 v111, v111, v247
	s_waitcnt vmcnt(13)
	v_mul_f32_e32 v247, v241, v125
	v_fma_f32 v1, v237, v120, -v1
	s_waitcnt vmcnt(10)
	v_fmac_f32_e32 v247, v242, v128
	v_add_f32_e32 v0, v0, v1
	v_mul_f32_e32 v1, v240, v124
	v_add_f32_e32 v111, v111, v247
	s_waitcnt lgkmcnt(0)
	v_mul_f32_e32 v247, v243, v127
	v_fma_f32 v1, v239, v123, -v1
	v_fmac_f32_e32 v247, v244, v126
	v_add_f32_e32 v0, v0, v1
	v_mul_f32_e32 v1, v242, v125
	v_add_f32_e32 v111, v111, v247
	ds_read2_b64 v[247:250], v24 offset0:119 offset1:120
	v_fma_f32 v1, v241, v128, -v1
	v_add_f32_e32 v0, v0, v1
	v_mul_f32_e32 v1, v244, v127
	s_waitcnt vmcnt(8)
	v_mul_f32_e32 v251, v245, v129
	v_fma_f32 v1, v243, v126, -v1
	v_fmac_f32_e32 v251, v246, v122
	v_add_f32_e32 v0, v0, v1
	v_mul_f32_e32 v1, v246, v129
	v_add_f32_e32 v111, v111, v251
	ds_read2_b64 v[251:254], v24 offset0:121 offset1:122
	v_fma_f32 v1, v245, v122, -v1
	v_add_f32_e32 v0, v0, v1
	s_waitcnt vmcnt(6) lgkmcnt(1)
	v_mul_f32_e32 v1, v248, v132
	v_mul_f32_e32 v24, v247, v132
	v_fma_f32 v1, v247, v131, -v1
	v_fmac_f32_e32 v24, v248, v131
	v_add_f32_e32 v0, v0, v1
	s_waitcnt vmcnt(5)
	v_mul_f32_e32 v1, v250, v133
	v_add_f32_e32 v24, v111, v24
	v_mul_f32_e32 v111, v249, v133
	s_waitcnt vmcnt(2)
	v_fma_f32 v1, v249, v136, -v1
	v_fmac_f32_e32 v111, v250, v136
	v_add_f32_e32 v0, v0, v1
	s_waitcnt lgkmcnt(0)
	v_mul_f32_e32 v1, v252, v135
	v_add_f32_e32 v24, v24, v111
	v_mul_f32_e32 v111, v251, v135
	v_fma_f32 v1, v251, v134, -v1
	v_fmac_f32_e32 v111, v252, v134
	v_add_f32_e32 v0, v0, v1
	s_waitcnt vmcnt(0)
	v_mul_f32_e32 v1, v254, v255
	v_add_f32_e32 v24, v24, v111
	v_mul_f32_e32 v111, v253, v255
	v_fma_f32 v1, v253, v130, -v1
	v_fmac_f32_e32 v111, v254, v130
	v_add_f32_e32 v0, v0, v1
	v_add_f32_e32 v24, v24, v111
	v_sub_f32_e32 v0, v147, v0
	v_sub_f32_e32 v1, v148, v24
	buffer_store_dword v0, off, s[0:3], 0
	buffer_store_dword v1, off, s[0:3], 0 offset:4
	s_cbranch_vccz .LBB124_500
; %bb.380:
	v_mov_b32_e32 v0, 0
	global_load_dword v1, v0, s[12:13] offset:236
	s_waitcnt vmcnt(0)
	v_add_u32_e32 v1, -1, v1
	v_cmp_ne_u32_e32 vcc, 59, v1
	s_cbranch_vccz .LBB124_382
; %bb.381:
	v_lshlrev_b32_e32 v1, 3, v1
	buffer_load_dword v2, v1, s[0:3], 0 offen
	buffer_load_dword v3, v1, s[0:3], 0 offen offset:4
	buffer_load_dword v4, off, s[0:3], 0 offset:472
	buffer_load_dword v5, off, s[0:3], 0 offset:476
	s_waitcnt vmcnt(3)
	buffer_store_dword v2, off, s[0:3], 0 offset:472
	s_waitcnt vmcnt(3)
	buffer_store_dword v3, off, s[0:3], 0 offset:476
	s_waitcnt vmcnt(3)
	buffer_store_dword v4, v1, s[0:3], 0 offen
	s_waitcnt vmcnt(3)
	buffer_store_dword v5, v1, s[0:3], 0 offen offset:4
.LBB124_382:
	global_load_dword v0, v0, s[12:13] offset:232
	s_waitcnt vmcnt(0)
	v_add_u32_e32 v0, -1, v0
	v_cmp_eq_u32_e32 vcc, 58, v0
	s_cbranch_vccnz .LBB124_384
; %bb.383:
	v_lshlrev_b32_e32 v0, 3, v0
	buffer_load_dword v1, v0, s[0:3], 0 offen
	buffer_load_dword v2, v0, s[0:3], 0 offen offset:4
	buffer_load_dword v3, off, s[0:3], 0 offset:468
	buffer_load_dword v4, off, s[0:3], 0 offset:464
	s_waitcnt vmcnt(3)
	buffer_store_dword v1, off, s[0:3], 0 offset:464
	s_waitcnt vmcnt(3)
	buffer_store_dword v2, off, s[0:3], 0 offset:468
	s_waitcnt vmcnt(3)
	buffer_store_dword v3, v0, s[0:3], 0 offen offset:4
	s_waitcnt vmcnt(3)
	buffer_store_dword v4, v0, s[0:3], 0 offen
.LBB124_384:
	v_mov_b32_e32 v0, 0
	global_load_dword v1, v0, s[12:13] offset:228
	s_waitcnt vmcnt(0)
	v_add_u32_e32 v1, -1, v1
	v_cmp_eq_u32_e32 vcc, 57, v1
	s_cbranch_vccnz .LBB124_386
; %bb.385:
	v_lshlrev_b32_e32 v1, 3, v1
	buffer_load_dword v2, v1, s[0:3], 0 offen
	buffer_load_dword v3, v1, s[0:3], 0 offen offset:4
	buffer_load_dword v4, off, s[0:3], 0 offset:456
	buffer_load_dword v5, off, s[0:3], 0 offset:460
	s_waitcnt vmcnt(3)
	buffer_store_dword v2, off, s[0:3], 0 offset:456
	s_waitcnt vmcnt(3)
	buffer_store_dword v3, off, s[0:3], 0 offset:460
	s_waitcnt vmcnt(3)
	buffer_store_dword v4, v1, s[0:3], 0 offen
	s_waitcnt vmcnt(3)
	buffer_store_dword v5, v1, s[0:3], 0 offen offset:4
.LBB124_386:
	global_load_dword v0, v0, s[12:13] offset:224
	s_waitcnt vmcnt(0)
	v_add_u32_e32 v0, -1, v0
	v_cmp_eq_u32_e32 vcc, 56, v0
	s_cbranch_vccnz .LBB124_388
; %bb.387:
	v_lshlrev_b32_e32 v0, 3, v0
	buffer_load_dword v1, v0, s[0:3], 0 offen
	buffer_load_dword v2, v0, s[0:3], 0 offen offset:4
	buffer_load_dword v3, off, s[0:3], 0 offset:452
	buffer_load_dword v4, off, s[0:3], 0 offset:448
	s_waitcnt vmcnt(3)
	buffer_store_dword v1, off, s[0:3], 0 offset:448
	s_waitcnt vmcnt(3)
	buffer_store_dword v2, off, s[0:3], 0 offset:452
	s_waitcnt vmcnt(3)
	buffer_store_dword v3, v0, s[0:3], 0 offen offset:4
	s_waitcnt vmcnt(3)
	buffer_store_dword v4, v0, s[0:3], 0 offen
.LBB124_388:
	v_mov_b32_e32 v0, 0
	global_load_dword v1, v0, s[12:13] offset:220
	s_waitcnt vmcnt(0)
	v_add_u32_e32 v1, -1, v1
	v_cmp_eq_u32_e32 vcc, 55, v1
	s_cbranch_vccnz .LBB124_390
; %bb.389:
	v_lshlrev_b32_e32 v1, 3, v1
	buffer_load_dword v2, v1, s[0:3], 0 offen
	buffer_load_dword v3, v1, s[0:3], 0 offen offset:4
	buffer_load_dword v4, off, s[0:3], 0 offset:440
	buffer_load_dword v5, off, s[0:3], 0 offset:444
	s_waitcnt vmcnt(3)
	buffer_store_dword v2, off, s[0:3], 0 offset:440
	s_waitcnt vmcnt(3)
	buffer_store_dword v3, off, s[0:3], 0 offset:444
	s_waitcnt vmcnt(3)
	buffer_store_dword v4, v1, s[0:3], 0 offen
	s_waitcnt vmcnt(3)
	buffer_store_dword v5, v1, s[0:3], 0 offen offset:4
.LBB124_390:
	;; [unrolled: 41-line block ×29, first 2 shown]
	global_load_dword v0, v0, s[12:13]
	s_waitcnt vmcnt(0)
	v_add_u32_e32 v0, -1, v0
	v_cmp_eq_u32_e32 vcc, 0, v0
	s_cbranch_vccnz .LBB124_500
; %bb.499:
	v_lshlrev_b32_e32 v0, 3, v0
	buffer_load_dword v1, v0, s[0:3], 0 offen
	buffer_load_dword v2, v0, s[0:3], 0 offen offset:4
	buffer_load_dword v3, off, s[0:3], 0 offset:4
	buffer_load_dword v4, off, s[0:3], 0
	s_waitcnt vmcnt(3)
	buffer_store_dword v1, off, s[0:3], 0
	s_waitcnt vmcnt(3)
	buffer_store_dword v2, off, s[0:3], 0 offset:4
	s_waitcnt vmcnt(3)
	buffer_store_dword v3, v0, s[0:3], 0 offen offset:4
	s_waitcnt vmcnt(3)
	buffer_store_dword v4, v0, s[0:3], 0 offen
.LBB124_500:
	buffer_load_dword v0, off, s[0:3], 0
	s_nop 0
	buffer_load_dword v1, off, s[0:3], 0 offset:4
	s_waitcnt vmcnt(0)
	flat_store_dwordx2 v[25:26], v[0:1]
	buffer_load_dword v0, off, s[0:3], 0 offset:8
	s_nop 0
	buffer_load_dword v1, off, s[0:3], 0 offset:12
	buffer_load_dword v2, off, s[0:3], 0 offset:488 ; 4-byte Folded Reload
	buffer_load_dword v3, off, s[0:3], 0 offset:492 ; 4-byte Folded Reload
	s_waitcnt vmcnt(0)
	flat_store_dwordx2 v[2:3], v[0:1]
	buffer_load_dword v0, off, s[0:3], 0 offset:16
	s_nop 0
	buffer_load_dword v1, off, s[0:3], 0 offset:20
	buffer_load_dword v2, off, s[0:3], 0 offset:496 ; 4-byte Folded Reload
	buffer_load_dword v3, off, s[0:3], 0 offset:500 ; 4-byte Folded Reload
	;; [unrolled: 7-line block ×55, first 2 shown]
	s_waitcnt vmcnt(0)
	flat_store_dwordx2 v[2:3], v[0:1]
	buffer_load_dword v0, off, s[0:3], 0 offset:448
	s_nop 0
	buffer_load_dword v1, off, s[0:3], 0 offset:452
	s_waitcnt vmcnt(0)
	flat_store_dwordx2 v[137:138], v[0:1]
	buffer_load_dword v0, off, s[0:3], 0 offset:456
	s_nop 0
	buffer_load_dword v1, off, s[0:3], 0 offset:460
	;; [unrolled: 5-line block ×5, first 2 shown]
	s_waitcnt vmcnt(0)
	flat_store_dwordx2 v[145:146], v[0:1]
	s_endpgm
	.section	.rodata,"a",@progbits
	.p2align	6, 0x0
	.amdhsa_kernel _ZN9rocsolver6v33100L18getri_kernel_smallILi61E19rocblas_complex_numIfEPKPS3_EEvT1_iilPiilS8_bb
		.amdhsa_group_segment_fixed_size 984
		.amdhsa_private_segment_fixed_size 944
		.amdhsa_kernarg_size 60
		.amdhsa_user_sgpr_count 6
		.amdhsa_user_sgpr_private_segment_buffer 1
		.amdhsa_user_sgpr_dispatch_ptr 0
		.amdhsa_user_sgpr_queue_ptr 0
		.amdhsa_user_sgpr_kernarg_segment_ptr 1
		.amdhsa_user_sgpr_dispatch_id 0
		.amdhsa_user_sgpr_flat_scratch_init 0
		.amdhsa_user_sgpr_private_segment_size 0
		.amdhsa_uses_dynamic_stack 0
		.amdhsa_system_sgpr_private_segment_wavefront_offset 1
		.amdhsa_system_sgpr_workgroup_id_x 1
		.amdhsa_system_sgpr_workgroup_id_y 0
		.amdhsa_system_sgpr_workgroup_id_z 0
		.amdhsa_system_sgpr_workgroup_info 0
		.amdhsa_system_vgpr_workitem_id 0
		.amdhsa_next_free_vgpr 256
		.amdhsa_next_free_sgpr 21
		.amdhsa_reserve_vcc 1
		.amdhsa_reserve_flat_scratch 0
		.amdhsa_float_round_mode_32 0
		.amdhsa_float_round_mode_16_64 0
		.amdhsa_float_denorm_mode_32 3
		.amdhsa_float_denorm_mode_16_64 3
		.amdhsa_dx10_clamp 1
		.amdhsa_ieee_mode 1
		.amdhsa_fp16_overflow 0
		.amdhsa_exception_fp_ieee_invalid_op 0
		.amdhsa_exception_fp_denorm_src 0
		.amdhsa_exception_fp_ieee_div_zero 0
		.amdhsa_exception_fp_ieee_overflow 0
		.amdhsa_exception_fp_ieee_underflow 0
		.amdhsa_exception_fp_ieee_inexact 0
		.amdhsa_exception_int_div_zero 0
	.end_amdhsa_kernel
	.section	.text._ZN9rocsolver6v33100L18getri_kernel_smallILi61E19rocblas_complex_numIfEPKPS3_EEvT1_iilPiilS8_bb,"axG",@progbits,_ZN9rocsolver6v33100L18getri_kernel_smallILi61E19rocblas_complex_numIfEPKPS3_EEvT1_iilPiilS8_bb,comdat
.Lfunc_end124:
	.size	_ZN9rocsolver6v33100L18getri_kernel_smallILi61E19rocblas_complex_numIfEPKPS3_EEvT1_iilPiilS8_bb, .Lfunc_end124-_ZN9rocsolver6v33100L18getri_kernel_smallILi61E19rocblas_complex_numIfEPKPS3_EEvT1_iilPiilS8_bb
                                        ; -- End function
	.set _ZN9rocsolver6v33100L18getri_kernel_smallILi61E19rocblas_complex_numIfEPKPS3_EEvT1_iilPiilS8_bb.num_vgpr, 256
	.set _ZN9rocsolver6v33100L18getri_kernel_smallILi61E19rocblas_complex_numIfEPKPS3_EEvT1_iilPiilS8_bb.num_agpr, 0
	.set _ZN9rocsolver6v33100L18getri_kernel_smallILi61E19rocblas_complex_numIfEPKPS3_EEvT1_iilPiilS8_bb.numbered_sgpr, 21
	.set _ZN9rocsolver6v33100L18getri_kernel_smallILi61E19rocblas_complex_numIfEPKPS3_EEvT1_iilPiilS8_bb.num_named_barrier, 0
	.set _ZN9rocsolver6v33100L18getri_kernel_smallILi61E19rocblas_complex_numIfEPKPS3_EEvT1_iilPiilS8_bb.private_seg_size, 944
	.set _ZN9rocsolver6v33100L18getri_kernel_smallILi61E19rocblas_complex_numIfEPKPS3_EEvT1_iilPiilS8_bb.uses_vcc, 1
	.set _ZN9rocsolver6v33100L18getri_kernel_smallILi61E19rocblas_complex_numIfEPKPS3_EEvT1_iilPiilS8_bb.uses_flat_scratch, 0
	.set _ZN9rocsolver6v33100L18getri_kernel_smallILi61E19rocblas_complex_numIfEPKPS3_EEvT1_iilPiilS8_bb.has_dyn_sized_stack, 0
	.set _ZN9rocsolver6v33100L18getri_kernel_smallILi61E19rocblas_complex_numIfEPKPS3_EEvT1_iilPiilS8_bb.has_recursion, 0
	.set _ZN9rocsolver6v33100L18getri_kernel_smallILi61E19rocblas_complex_numIfEPKPS3_EEvT1_iilPiilS8_bb.has_indirect_call, 0
	.section	.AMDGPU.csdata,"",@progbits
; Kernel info:
; codeLenInByte = 132168
; TotalNumSgprs: 25
; NumVgprs: 256
; ScratchSize: 944
; MemoryBound: 0
; FloatMode: 240
; IeeeMode: 1
; LDSByteSize: 984 bytes/workgroup (compile time only)
; SGPRBlocks: 3
; VGPRBlocks: 63
; NumSGPRsForWavesPerEU: 25
; NumVGPRsForWavesPerEU: 256
; Occupancy: 1
; WaveLimiterHint : 1
; COMPUTE_PGM_RSRC2:SCRATCH_EN: 1
; COMPUTE_PGM_RSRC2:USER_SGPR: 6
; COMPUTE_PGM_RSRC2:TRAP_HANDLER: 0
; COMPUTE_PGM_RSRC2:TGID_X_EN: 1
; COMPUTE_PGM_RSRC2:TGID_Y_EN: 0
; COMPUTE_PGM_RSRC2:TGID_Z_EN: 0
; COMPUTE_PGM_RSRC2:TIDIG_COMP_CNT: 0
	.section	.text._ZN9rocsolver6v33100L18getri_kernel_smallILi62E19rocblas_complex_numIfEPKPS3_EEvT1_iilPiilS8_bb,"axG",@progbits,_ZN9rocsolver6v33100L18getri_kernel_smallILi62E19rocblas_complex_numIfEPKPS3_EEvT1_iilPiilS8_bb,comdat
	.globl	_ZN9rocsolver6v33100L18getri_kernel_smallILi62E19rocblas_complex_numIfEPKPS3_EEvT1_iilPiilS8_bb ; -- Begin function _ZN9rocsolver6v33100L18getri_kernel_smallILi62E19rocblas_complex_numIfEPKPS3_EEvT1_iilPiilS8_bb
	.p2align	8
	.type	_ZN9rocsolver6v33100L18getri_kernel_smallILi62E19rocblas_complex_numIfEPKPS3_EEvT1_iilPiilS8_bb,@function
_ZN9rocsolver6v33100L18getri_kernel_smallILi62E19rocblas_complex_numIfEPKPS3_EEvT1_iilPiilS8_bb: ; @_ZN9rocsolver6v33100L18getri_kernel_smallILi62E19rocblas_complex_numIfEPKPS3_EEvT1_iilPiilS8_bb
; %bb.0:
	s_add_u32 s0, s0, s7
	s_addc_u32 s1, s1, 0
	v_cmp_gt_u32_e32 vcc, 62, v0
	s_and_saveexec_b64 s[8:9], vcc
	s_cbranch_execz .LBB125_262
; %bb.1:
	s_load_dword s18, s[4:5], 0x38
	s_load_dwordx2 s[12:13], s[4:5], 0x0
	s_load_dwordx4 s[8:11], s[4:5], 0x28
	s_waitcnt lgkmcnt(0)
	s_bitcmp1_b32 s18, 8
	s_cselect_b64 s[14:15], -1, 0
	s_ashr_i32 s7, s6, 31
	s_lshl_b64 s[16:17], s[6:7], 3
	s_add_u32 s12, s12, s16
	s_addc_u32 s13, s13, s17
	s_load_dwordx2 s[16:17], s[12:13], 0x0
	s_bfe_u32 s12, s18, 0x10008
	s_cmp_eq_u32 s12, 0
                                        ; implicit-def: $sgpr12_sgpr13
	s_cbranch_scc1 .LBB125_3
; %bb.2:
	s_load_dword s12, s[4:5], 0x20
	s_load_dwordx2 s[18:19], s[4:5], 0x18
	s_mul_i32 s13, s8, s7
	s_mul_hi_u32 s20, s8, s6
	s_add_i32 s20, s20, s13
	s_mul_i32 s9, s9, s6
	s_add_i32 s9, s20, s9
	s_mul_i32 s8, s8, s6
	s_waitcnt lgkmcnt(0)
	s_ashr_i32 s13, s12, 31
	s_lshl_b64 s[8:9], s[8:9], 2
	s_add_u32 s18, s18, s8
	s_addc_u32 s19, s19, s9
	s_lshl_b64 s[8:9], s[12:13], 2
	s_add_u32 s12, s18, s8
	s_addc_u32 s13, s19, s9
.LBB125_3:
	s_load_dwordx2 s[8:9], s[4:5], 0x8
	s_load_dword s18, s[4:5], 0x38
	v_lshlrev_b32_e32 v3, 3, v0
	s_waitcnt lgkmcnt(0)
	s_ashr_i32 s5, s8, 31
	s_mov_b32 s4, s8
	s_lshl_b64 s[4:5], s[4:5], 3
	s_add_u32 s4, s16, s4
	s_addc_u32 s5, s17, s5
	v_mov_b32_e32 v1, s5
	v_add_co_u32_e32 v120, vcc, s4, v3
	v_addc_co_u32_e32 v121, vcc, 0, v1, vcc
	flat_load_dwordx2 v[1:2], v[120:121]
	s_mov_b32 s16, s9
	s_ashr_i32 s17, s9, 31
	s_lshl_b64 s[16:17], s[16:17], 3
	v_mov_b32_e32 v4, s17
	v_add_co_u32_e32 v5, vcc, s16, v120
	v_addc_co_u32_e32 v6, vcc, v121, v4, vcc
	s_add_i32 s8, s9, s9
	v_add_u32_e32 v4, s8, v0
	v_mov_b32_e32 v7, s5
	s_bitcmp0_b32 s18, 0
	s_waitcnt vmcnt(0) lgkmcnt(0)
	buffer_store_dword v2, off, s[0:3], 0 offset:4
	buffer_store_dword v1, off, s[0:3], 0
	buffer_store_dword v5, off, s[0:3], 0 offset:496 ; 4-byte Folded Spill
	s_nop 0
	buffer_store_dword v6, off, s[0:3], 0 offset:500 ; 4-byte Folded Spill
	flat_load_dwordx2 v[1:2], v[5:6]
	v_ashrrev_i32_e32 v5, 31, v4
	v_lshlrev_b64 v[5:6], 3, v[4:5]
	v_add_u32_e32 v4, s9, v4
	v_add_co_u32_e32 v5, vcc, s4, v5
	v_addc_co_u32_e32 v6, vcc, v7, v6, vcc
	s_waitcnt vmcnt(0) lgkmcnt(0)
	buffer_store_dword v2, off, s[0:3], 0 offset:12
	buffer_store_dword v1, off, s[0:3], 0 offset:8
	buffer_store_dword v5, off, s[0:3], 0 offset:504 ; 4-byte Folded Spill
	s_nop 0
	buffer_store_dword v6, off, s[0:3], 0 offset:508 ; 4-byte Folded Spill
	flat_load_dwordx2 v[1:2], v[5:6]
	v_ashrrev_i32_e32 v5, 31, v4
	v_lshlrev_b64 v[5:6], 3, v[4:5]
	v_add_u32_e32 v4, s9, v4
	v_add_co_u32_e32 v5, vcc, s4, v5
	v_addc_co_u32_e32 v6, vcc, v7, v6, vcc
	s_waitcnt vmcnt(0) lgkmcnt(0)
	buffer_store_dword v2, off, s[0:3], 0 offset:20
	buffer_store_dword v1, off, s[0:3], 0 offset:16
	;; [unrolled: 12-line block ×56, first 2 shown]
	buffer_store_dword v5, off, s[0:3], 0 offset:944 ; 4-byte Folded Spill
	s_nop 0
	buffer_store_dword v6, off, s[0:3], 0 offset:948 ; 4-byte Folded Spill
	flat_load_dwordx2 v[1:2], v[5:6]
	v_ashrrev_i32_e32 v5, 31, v4
	v_lshlrev_b64 v[5:6], 3, v[4:5]
	v_add_u32_e32 v4, s9, v4
	v_add_co_u32_e32 v236, vcc, s4, v5
	v_addc_co_u32_e32 v237, vcc, v7, v6, vcc
	v_ashrrev_i32_e32 v5, 31, v4
	v_lshlrev_b64 v[5:6], 3, v[4:5]
	v_add_u32_e32 v4, s9, v4
	v_add_co_u32_e32 v238, vcc, s4, v5
	v_addc_co_u32_e32 v239, vcc, v7, v6, vcc
	;; [unrolled: 5-line block ×3, first 2 shown]
	v_ashrrev_i32_e32 v5, 31, v4
	v_lshlrev_b64 v[4:5], 3, v[4:5]
	v_mov_b32_e32 v6, s5
	v_add_co_u32_e32 v242, vcc, s4, v4
	v_addc_co_u32_e32 v243, vcc, v6, v5, vcc
	s_mov_b64 s[8:9], -1
	s_waitcnt vmcnt(0) lgkmcnt(0)
	buffer_store_dword v2, off, s[0:3], 0 offset:460
	buffer_store_dword v1, off, s[0:3], 0 offset:456
	flat_load_dwordx2 v[1:2], v[236:237]
	s_waitcnt vmcnt(0) lgkmcnt(0)
	buffer_store_dword v2, off, s[0:3], 0 offset:468
	buffer_store_dword v1, off, s[0:3], 0 offset:464
	flat_load_dwordx2 v[1:2], v[238:239]
	;; [unrolled: 4-line block ×4, first 2 shown]
	s_waitcnt vmcnt(0) lgkmcnt(0)
	buffer_store_dword v2, off, s[0:3], 0 offset:492
	buffer_store_dword v1, off, s[0:3], 0 offset:488
	s_cbranch_scc1 .LBB125_260
; %bb.4:
	v_cmp_eq_u32_e64 s[4:5], 0, v0
	s_and_saveexec_b64 s[8:9], s[4:5]
; %bb.5:
	v_mov_b32_e32 v1, 0
	ds_write_b32 v1, v1 offset:992
; %bb.6:
	s_or_b64 exec, exec, s[8:9]
	v_mov_b32_e32 v1, 0
	v_lshl_add_u32 v5, v0, 3, v1
	s_waitcnt lgkmcnt(0)
	; wave barrier
	buffer_load_dword v1, v5, s[0:3], 0 offen
	buffer_load_dword v2, v5, s[0:3], 0 offen offset:4
	s_waitcnt vmcnt(1)
	v_cmp_eq_f32_e32 vcc, 0, v1
	s_waitcnt vmcnt(0)
	v_cmp_eq_f32_e64 s[8:9], 0, v2
	s_and_b64 s[8:9], vcc, s[8:9]
	s_and_saveexec_b64 s[16:17], s[8:9]
	s_cbranch_execz .LBB125_10
; %bb.7:
	v_mov_b32_e32 v1, 0
	ds_read_b32 v4, v1 offset:992
	v_add_u32_e32 v2, 1, v0
	s_waitcnt lgkmcnt(0)
	v_readfirstlane_b32 s8, v4
	s_cmp_eq_u32 s8, 0
	s_cselect_b64 s[18:19], -1, 0
	v_cmp_gt_i32_e32 vcc, s8, v2
	s_or_b64 s[18:19], s[18:19], vcc
	s_and_b64 exec, exec, s[18:19]
	s_cbranch_execz .LBB125_10
; %bb.8:
	s_mov_b64 s[18:19], 0
	v_mov_b32_e32 v4, s8
.LBB125_9:                              ; =>This Inner Loop Header: Depth=1
	ds_cmpst_rtn_b32 v4, v1, v4, v2 offset:992
	s_waitcnt lgkmcnt(0)
	v_cmp_ne_u32_e32 vcc, 0, v4
	v_cmp_le_i32_e64 s[8:9], v4, v2
	s_and_b64 s[8:9], vcc, s[8:9]
	s_and_b64 s[8:9], exec, s[8:9]
	s_or_b64 s[18:19], s[8:9], s[18:19]
	s_andn2_b64 exec, exec, s[18:19]
	s_cbranch_execnz .LBB125_9
.LBB125_10:
	s_or_b64 exec, exec, s[16:17]
	v_mov_b32_e32 v2, 0
	; wave barrier
	ds_read_b32 v1, v2 offset:992
	s_and_saveexec_b64 s[8:9], s[4:5]
	s_cbranch_execz .LBB125_12
; %bb.11:
	s_lshl_b64 s[16:17], s[6:7], 2
	s_add_u32 s16, s10, s16
	s_addc_u32 s17, s11, s17
	s_waitcnt lgkmcnt(0)
	global_store_dword v2, v1, s[16:17]
.LBB125_12:
	s_or_b64 exec, exec, s[8:9]
	s_waitcnt lgkmcnt(0)
	v_cmp_ne_u32_e32 vcc, 0, v1
	s_mov_b64 s[8:9], 0
	s_cbranch_vccnz .LBB125_260
; %bb.13:
	buffer_load_dword v2, v5, s[0:3], 0 offen
	buffer_load_dword v4, v5, s[0:3], 0 offen offset:4
                                        ; implicit-def: $vgpr7
                                        ; implicit-def: $vgpr6
                                        ; implicit-def: $vgpr1
	s_waitcnt vmcnt(0)
	v_cmp_ngt_f32_e64 s[8:9], |v2|, |v4|
	s_and_saveexec_b64 s[16:17], s[8:9]
	s_xor_b64 s[8:9], exec, s[16:17]
	s_cbranch_execz .LBB125_15
; %bb.14:
	v_div_scale_f32 v1, s[16:17], v4, v4, v2
	v_div_scale_f32 v6, vcc, v2, v4, v2
	v_rcp_f32_e32 v7, v1
	v_fma_f32 v8, -v1, v7, 1.0
	v_fmac_f32_e32 v7, v8, v7
	v_mul_f32_e32 v8, v6, v7
	v_fma_f32 v9, -v1, v8, v6
	v_fmac_f32_e32 v8, v9, v7
	v_fma_f32 v1, -v1, v8, v6
	v_div_fmas_f32 v1, v1, v7, v8
	v_div_fixup_f32 v1, v1, v4, v2
	v_fmac_f32_e32 v4, v2, v1
	v_div_scale_f32 v2, s[16:17], v4, v4, 1.0
	v_div_scale_f32 v6, vcc, 1.0, v4, 1.0
	v_rcp_f32_e32 v7, v2
	v_fma_f32 v8, -v2, v7, 1.0
	v_fmac_f32_e32 v7, v8, v7
	v_mul_f32_e32 v8, v6, v7
	v_fma_f32 v9, -v2, v8, v6
	v_fmac_f32_e32 v8, v9, v7
	v_fma_f32 v2, -v2, v8, v6
	v_div_fmas_f32 v2, v2, v7, v8
	v_div_fixup_f32 v2, v2, v4, 1.0
	v_mul_f32_e32 v7, v1, v2
	v_xor_b32_e32 v6, 0x80000000, v2
	v_xor_b32_e32 v1, 0x80000000, v7
                                        ; implicit-def: $vgpr2
                                        ; implicit-def: $vgpr4
.LBB125_15:
	s_andn2_saveexec_b64 s[8:9], s[8:9]
	s_cbranch_execz .LBB125_17
; %bb.16:
	v_div_scale_f32 v1, s[16:17], v2, v2, v4
	v_div_scale_f32 v6, vcc, v4, v2, v4
	v_rcp_f32_e32 v7, v1
	v_fma_f32 v8, -v1, v7, 1.0
	v_fmac_f32_e32 v7, v8, v7
	v_mul_f32_e32 v8, v6, v7
	v_fma_f32 v9, -v1, v8, v6
	v_fmac_f32_e32 v8, v9, v7
	v_fma_f32 v1, -v1, v8, v6
	v_div_fmas_f32 v1, v1, v7, v8
	v_div_fixup_f32 v6, v1, v2, v4
	v_fmac_f32_e32 v2, v4, v6
	v_div_scale_f32 v1, s[16:17], v2, v2, 1.0
	v_div_scale_f32 v4, vcc, 1.0, v2, 1.0
	v_rcp_f32_e32 v7, v1
	v_fma_f32 v8, -v1, v7, 1.0
	v_fmac_f32_e32 v7, v8, v7
	v_mul_f32_e32 v8, v4, v7
	v_fma_f32 v9, -v1, v8, v4
	v_fmac_f32_e32 v8, v9, v7
	v_fma_f32 v1, -v1, v8, v4
	v_div_fmas_f32 v1, v1, v7, v8
	v_div_fixup_f32 v7, v1, v2, 1.0
	v_xor_b32_e32 v1, 0x80000000, v7
	v_mul_f32_e64 v6, v6, -v7
.LBB125_17:
	s_or_b64 exec, exec, s[8:9]
	buffer_store_dword v7, v5, s[0:3], 0 offen
	buffer_store_dword v6, v5, s[0:3], 0 offen offset:4
	buffer_load_dword v8, off, s[0:3], 0 offset:12
	s_nop 0
	buffer_load_dword v7, off, s[0:3], 0 offset:8
	v_xor_b32_e32 v2, 0x80000000, v6
	v_add_u32_e32 v4, 0x1f0, v3
	s_waitcnt vmcnt(0)
	ds_write2_b64 v3, v[1:2], v[7:8] offset1:62
	s_waitcnt lgkmcnt(0)
	; wave barrier
	s_and_saveexec_b64 s[8:9], s[4:5]
	s_cbranch_execz .LBB125_19
; %bb.18:
	buffer_load_dword v8, v5, s[0:3], 0 offen offset:4
	buffer_load_dword v9, v5, s[0:3], 0 offen
	ds_read_b64 v[1:2], v4
	v_mov_b32_e32 v6, 0
	ds_read_b64 v[6:7], v6 offset:8
	s_waitcnt vmcnt(1) lgkmcnt(1)
	v_mul_f32_e32 v10, v2, v8
	v_mul_f32_e32 v8, v1, v8
	s_waitcnt vmcnt(0)
	v_fmac_f32_e32 v8, v2, v9
	v_fma_f32 v1, v1, v9, -v10
	v_add_f32_e32 v2, 0, v8
	v_add_f32_e32 v1, 0, v1
	s_waitcnt lgkmcnt(0)
	v_mul_f32_e32 v8, v2, v7
	v_mul_f32_e32 v7, v1, v7
	v_fma_f32 v1, v1, v6, -v8
	v_fmac_f32_e32 v7, v2, v6
	buffer_store_dword v1, off, s[0:3], 0 offset:8
	buffer_store_dword v7, off, s[0:3], 0 offset:12
.LBB125_19:
	s_or_b64 exec, exec, s[8:9]
	; wave barrier
	buffer_load_dword v1, off, s[0:3], 0 offset:16
	buffer_load_dword v2, off, s[0:3], 0 offset:20
	v_cmp_gt_u32_e32 vcc, 2, v0
	s_waitcnt vmcnt(0)
	ds_write_b64 v4, v[1:2]
	s_waitcnt lgkmcnt(0)
	; wave barrier
	s_and_saveexec_b64 s[8:9], vcc
	s_cbranch_execz .LBB125_23
; %bb.20:
	buffer_load_dword v6, v5, s[0:3], 0 offen offset:4
	s_nop 0
	buffer_load_dword v5, v5, s[0:3], 0 offen
	ds_read_b64 v[1:2], v4
	s_waitcnt vmcnt(1) lgkmcnt(0)
	v_mul_f32_e32 v7, v2, v6
	v_mul_f32_e32 v6, v1, v6
	s_waitcnt vmcnt(0)
	v_fma_f32 v1, v1, v5, -v7
	v_fmac_f32_e32 v6, v2, v5
	v_add_f32_e32 v2, 0, v1
	v_add_f32_e32 v1, 0, v6
	s_and_saveexec_b64 s[16:17], s[4:5]
	s_cbranch_execz .LBB125_22
; %bb.21:
	buffer_load_dword v7, off, s[0:3], 0 offset:12
	buffer_load_dword v8, off, s[0:3], 0 offset:8
	v_mov_b32_e32 v5, 0
	ds_read_b64 v[5:6], v5 offset:504
	s_waitcnt vmcnt(1) lgkmcnt(0)
	v_mul_f32_e32 v9, v5, v7
	v_mul_f32_e32 v7, v6, v7
	s_waitcnt vmcnt(0)
	v_fmac_f32_e32 v9, v6, v8
	v_fma_f32 v5, v5, v8, -v7
	v_add_f32_e32 v1, v1, v9
	v_add_f32_e32 v2, v2, v5
.LBB125_22:
	s_or_b64 exec, exec, s[16:17]
	v_mov_b32_e32 v5, 0
	ds_read_b64 v[5:6], v5 offset:16
	s_waitcnt lgkmcnt(0)
	v_mul_f32_e32 v7, v1, v6
	v_mul_f32_e32 v6, v2, v6
	v_fma_f32 v2, v2, v5, -v7
	v_fmac_f32_e32 v6, v1, v5
	buffer_store_dword v2, off, s[0:3], 0 offset:16
	buffer_store_dword v6, off, s[0:3], 0 offset:20
.LBB125_23:
	s_or_b64 exec, exec, s[8:9]
	; wave barrier
	buffer_load_dword v1, off, s[0:3], 0 offset:24
	buffer_load_dword v2, off, s[0:3], 0 offset:28
	v_cmp_gt_u32_e32 vcc, 3, v0
	s_waitcnt vmcnt(0)
	ds_write_b64 v4, v[1:2]
	v_add_u32_e32 v1, -1, v0
	s_waitcnt lgkmcnt(0)
	; wave barrier
	s_and_saveexec_b64 s[4:5], vcc
	s_cbranch_execz .LBB125_27
; %bb.24:
	v_add_u32_e32 v5, -1, v0
	v_add_u32_e32 v6, 0x1f0, v3
	v_mov_b32_e32 v7, v3
	v_mov_b32_e32 v2, 0
	s_mov_b64 s[8:9], 0
	v_mov_b32_e32 v8, 0
.LBB125_25:                             ; =>This Inner Loop Header: Depth=1
	buffer_load_dword v11, v7, s[0:3], 0 offen offset:4
	buffer_load_dword v12, v7, s[0:3], 0 offen
	ds_read_b64 v[9:10], v6
	v_add_u32_e32 v5, 1, v5
	v_cmp_lt_u32_e32 vcc, 1, v5
	v_add_u32_e32 v6, 8, v6
	v_add_u32_e32 v7, 8, v7
	s_or_b64 s[8:9], vcc, s[8:9]
	s_waitcnt vmcnt(1) lgkmcnt(0)
	v_mul_f32_e32 v13, v10, v11
	v_mul_f32_e32 v11, v9, v11
	s_waitcnt vmcnt(0)
	v_fma_f32 v9, v9, v12, -v13
	v_fmac_f32_e32 v11, v10, v12
	v_add_f32_e32 v8, v8, v9
	v_add_f32_e32 v2, v2, v11
	s_andn2_b64 exec, exec, s[8:9]
	s_cbranch_execnz .LBB125_25
; %bb.26:
	s_or_b64 exec, exec, s[8:9]
	v_mov_b32_e32 v5, 0
	ds_read_b64 v[5:6], v5 offset:24
	s_waitcnt lgkmcnt(0)
	v_mul_f32_e32 v7, v2, v6
	v_mul_f32_e32 v6, v8, v6
	v_fma_f32 v7, v8, v5, -v7
	v_fmac_f32_e32 v6, v2, v5
	buffer_store_dword v7, off, s[0:3], 0 offset:24
	buffer_store_dword v6, off, s[0:3], 0 offset:28
.LBB125_27:
	s_or_b64 exec, exec, s[4:5]
	; wave barrier
	buffer_load_dword v5, off, s[0:3], 0 offset:32
	buffer_load_dword v6, off, s[0:3], 0 offset:36
	v_cmp_gt_u32_e32 vcc, 4, v0
	s_waitcnt vmcnt(0)
	ds_write_b64 v4, v[5:6]
	s_waitcnt lgkmcnt(0)
	; wave barrier
	s_and_saveexec_b64 s[4:5], vcc
	s_cbranch_execz .LBB125_31
; %bb.28:
	v_add_u32_e32 v5, -1, v0
	v_add_u32_e32 v6, 0x1f0, v3
	v_mov_b32_e32 v7, v3
	v_mov_b32_e32 v2, 0
	s_mov_b64 s[8:9], 0
	v_mov_b32_e32 v8, 0
.LBB125_29:                             ; =>This Inner Loop Header: Depth=1
	buffer_load_dword v11, v7, s[0:3], 0 offen offset:4
	buffer_load_dword v12, v7, s[0:3], 0 offen
	ds_read_b64 v[9:10], v6
	v_add_u32_e32 v5, 1, v5
	v_cmp_lt_u32_e32 vcc, 2, v5
	v_add_u32_e32 v6, 8, v6
	v_add_u32_e32 v7, 8, v7
	s_or_b64 s[8:9], vcc, s[8:9]
	s_waitcnt vmcnt(1) lgkmcnt(0)
	v_mul_f32_e32 v13, v10, v11
	v_mul_f32_e32 v11, v9, v11
	s_waitcnt vmcnt(0)
	v_fma_f32 v9, v9, v12, -v13
	v_fmac_f32_e32 v11, v10, v12
	v_add_f32_e32 v8, v8, v9
	v_add_f32_e32 v2, v2, v11
	s_andn2_b64 exec, exec, s[8:9]
	s_cbranch_execnz .LBB125_29
; %bb.30:
	s_or_b64 exec, exec, s[8:9]
	v_mov_b32_e32 v5, 0
	ds_read_b64 v[5:6], v5 offset:32
	s_waitcnt lgkmcnt(0)
	v_mul_f32_e32 v7, v2, v6
	v_mul_f32_e32 v6, v8, v6
	v_fma_f32 v7, v8, v5, -v7
	v_fmac_f32_e32 v6, v2, v5
	buffer_store_dword v7, off, s[0:3], 0 offset:32
	buffer_store_dword v6, off, s[0:3], 0 offset:36
.LBB125_31:
	s_or_b64 exec, exec, s[4:5]
	; wave barrier
	buffer_load_dword v5, off, s[0:3], 0 offset:40
	buffer_load_dword v6, off, s[0:3], 0 offset:44
	v_cmp_gt_u32_e32 vcc, 5, v0
	s_waitcnt vmcnt(0)
	ds_write_b64 v4, v[5:6]
	s_waitcnt lgkmcnt(0)
	; wave barrier
	s_and_saveexec_b64 s[4:5], vcc
	s_cbranch_execz .LBB125_35
; %bb.32:
	v_add_u32_e32 v5, -1, v0
	v_add_u32_e32 v6, 0x1f0, v3
	v_mov_b32_e32 v7, v3
	v_mov_b32_e32 v2, 0
	s_mov_b64 s[8:9], 0
	v_mov_b32_e32 v8, 0
.LBB125_33:                             ; =>This Inner Loop Header: Depth=1
	buffer_load_dword v11, v7, s[0:3], 0 offen offset:4
	buffer_load_dword v12, v7, s[0:3], 0 offen
	ds_read_b64 v[9:10], v6
	v_add_u32_e32 v5, 1, v5
	v_cmp_lt_u32_e32 vcc, 3, v5
	v_add_u32_e32 v6, 8, v6
	v_add_u32_e32 v7, 8, v7
	s_or_b64 s[8:9], vcc, s[8:9]
	s_waitcnt vmcnt(1) lgkmcnt(0)
	v_mul_f32_e32 v13, v10, v11
	v_mul_f32_e32 v11, v9, v11
	s_waitcnt vmcnt(0)
	v_fma_f32 v9, v9, v12, -v13
	v_fmac_f32_e32 v11, v10, v12
	v_add_f32_e32 v8, v8, v9
	v_add_f32_e32 v2, v2, v11
	s_andn2_b64 exec, exec, s[8:9]
	s_cbranch_execnz .LBB125_33
; %bb.34:
	s_or_b64 exec, exec, s[8:9]
	v_mov_b32_e32 v5, 0
	ds_read_b64 v[5:6], v5 offset:40
	s_waitcnt lgkmcnt(0)
	v_mul_f32_e32 v7, v2, v6
	v_mul_f32_e32 v6, v8, v6
	v_fma_f32 v7, v8, v5, -v7
	v_fmac_f32_e32 v6, v2, v5
	buffer_store_dword v7, off, s[0:3], 0 offset:40
	buffer_store_dword v6, off, s[0:3], 0 offset:44
.LBB125_35:
	s_or_b64 exec, exec, s[4:5]
	; wave barrier
	buffer_load_dword v5, off, s[0:3], 0 offset:48
	buffer_load_dword v6, off, s[0:3], 0 offset:52
	v_cmp_gt_u32_e32 vcc, 6, v0
	s_waitcnt vmcnt(0)
	ds_write_b64 v4, v[5:6]
	s_waitcnt lgkmcnt(0)
	; wave barrier
	s_and_saveexec_b64 s[4:5], vcc
	s_cbranch_execz .LBB125_39
; %bb.36:
	v_add_u32_e32 v5, -1, v0
	v_add_u32_e32 v6, 0x1f0, v3
	v_mov_b32_e32 v7, v3
	v_mov_b32_e32 v2, 0
	s_mov_b64 s[8:9], 0
	v_mov_b32_e32 v8, 0
.LBB125_37:                             ; =>This Inner Loop Header: Depth=1
	buffer_load_dword v11, v7, s[0:3], 0 offen offset:4
	buffer_load_dword v12, v7, s[0:3], 0 offen
	ds_read_b64 v[9:10], v6
	v_add_u32_e32 v5, 1, v5
	v_cmp_lt_u32_e32 vcc, 4, v5
	v_add_u32_e32 v6, 8, v6
	v_add_u32_e32 v7, 8, v7
	s_or_b64 s[8:9], vcc, s[8:9]
	s_waitcnt vmcnt(1) lgkmcnt(0)
	v_mul_f32_e32 v13, v10, v11
	v_mul_f32_e32 v11, v9, v11
	s_waitcnt vmcnt(0)
	v_fma_f32 v9, v9, v12, -v13
	v_fmac_f32_e32 v11, v10, v12
	v_add_f32_e32 v8, v8, v9
	v_add_f32_e32 v2, v2, v11
	s_andn2_b64 exec, exec, s[8:9]
	s_cbranch_execnz .LBB125_37
; %bb.38:
	s_or_b64 exec, exec, s[8:9]
	v_mov_b32_e32 v5, 0
	ds_read_b64 v[5:6], v5 offset:48
	s_waitcnt lgkmcnt(0)
	v_mul_f32_e32 v7, v2, v6
	v_mul_f32_e32 v6, v8, v6
	v_fma_f32 v7, v8, v5, -v7
	v_fmac_f32_e32 v6, v2, v5
	buffer_store_dword v7, off, s[0:3], 0 offset:48
	buffer_store_dword v6, off, s[0:3], 0 offset:52
.LBB125_39:
	s_or_b64 exec, exec, s[4:5]
	; wave barrier
	buffer_load_dword v5, off, s[0:3], 0 offset:56
	buffer_load_dword v6, off, s[0:3], 0 offset:60
	v_cmp_gt_u32_e32 vcc, 7, v0
	s_waitcnt vmcnt(0)
	ds_write_b64 v4, v[5:6]
	s_waitcnt lgkmcnt(0)
	; wave barrier
	s_and_saveexec_b64 s[4:5], vcc
	s_cbranch_execz .LBB125_43
; %bb.40:
	v_add_u32_e32 v5, -1, v0
	v_add_u32_e32 v6, 0x1f0, v3
	v_mov_b32_e32 v7, v3
	v_mov_b32_e32 v2, 0
	s_mov_b64 s[8:9], 0
	v_mov_b32_e32 v8, 0
.LBB125_41:                             ; =>This Inner Loop Header: Depth=1
	buffer_load_dword v11, v7, s[0:3], 0 offen offset:4
	buffer_load_dword v12, v7, s[0:3], 0 offen
	ds_read_b64 v[9:10], v6
	v_add_u32_e32 v5, 1, v5
	v_cmp_lt_u32_e32 vcc, 5, v5
	v_add_u32_e32 v6, 8, v6
	v_add_u32_e32 v7, 8, v7
	s_or_b64 s[8:9], vcc, s[8:9]
	s_waitcnt vmcnt(1) lgkmcnt(0)
	v_mul_f32_e32 v13, v10, v11
	v_mul_f32_e32 v11, v9, v11
	s_waitcnt vmcnt(0)
	v_fma_f32 v9, v9, v12, -v13
	v_fmac_f32_e32 v11, v10, v12
	v_add_f32_e32 v8, v8, v9
	v_add_f32_e32 v2, v2, v11
	s_andn2_b64 exec, exec, s[8:9]
	s_cbranch_execnz .LBB125_41
; %bb.42:
	s_or_b64 exec, exec, s[8:9]
	v_mov_b32_e32 v5, 0
	ds_read_b64 v[5:6], v5 offset:56
	s_waitcnt lgkmcnt(0)
	v_mul_f32_e32 v7, v2, v6
	v_mul_f32_e32 v6, v8, v6
	v_fma_f32 v7, v8, v5, -v7
	v_fmac_f32_e32 v6, v2, v5
	buffer_store_dword v7, off, s[0:3], 0 offset:56
	buffer_store_dword v6, off, s[0:3], 0 offset:60
.LBB125_43:
	s_or_b64 exec, exec, s[4:5]
	; wave barrier
	buffer_load_dword v5, off, s[0:3], 0 offset:64
	buffer_load_dword v6, off, s[0:3], 0 offset:68
	v_cmp_gt_u32_e32 vcc, 8, v0
	s_waitcnt vmcnt(0)
	ds_write_b64 v4, v[5:6]
	s_waitcnt lgkmcnt(0)
	; wave barrier
	s_and_saveexec_b64 s[4:5], vcc
	s_cbranch_execz .LBB125_47
; %bb.44:
	v_add_u32_e32 v5, -1, v0
	v_add_u32_e32 v6, 0x1f0, v3
	v_mov_b32_e32 v7, v3
	v_mov_b32_e32 v2, 0
	s_mov_b64 s[8:9], 0
	v_mov_b32_e32 v8, 0
.LBB125_45:                             ; =>This Inner Loop Header: Depth=1
	buffer_load_dword v11, v7, s[0:3], 0 offen offset:4
	buffer_load_dword v12, v7, s[0:3], 0 offen
	ds_read_b64 v[9:10], v6
	v_add_u32_e32 v5, 1, v5
	v_cmp_lt_u32_e32 vcc, 6, v5
	v_add_u32_e32 v6, 8, v6
	v_add_u32_e32 v7, 8, v7
	s_or_b64 s[8:9], vcc, s[8:9]
	s_waitcnt vmcnt(1) lgkmcnt(0)
	v_mul_f32_e32 v13, v10, v11
	v_mul_f32_e32 v11, v9, v11
	s_waitcnt vmcnt(0)
	v_fma_f32 v9, v9, v12, -v13
	v_fmac_f32_e32 v11, v10, v12
	v_add_f32_e32 v8, v8, v9
	v_add_f32_e32 v2, v2, v11
	s_andn2_b64 exec, exec, s[8:9]
	s_cbranch_execnz .LBB125_45
; %bb.46:
	s_or_b64 exec, exec, s[8:9]
	v_mov_b32_e32 v5, 0
	ds_read_b64 v[5:6], v5 offset:64
	s_waitcnt lgkmcnt(0)
	v_mul_f32_e32 v7, v2, v6
	v_mul_f32_e32 v6, v8, v6
	v_fma_f32 v7, v8, v5, -v7
	v_fmac_f32_e32 v6, v2, v5
	buffer_store_dword v7, off, s[0:3], 0 offset:64
	buffer_store_dword v6, off, s[0:3], 0 offset:68
.LBB125_47:
	s_or_b64 exec, exec, s[4:5]
	; wave barrier
	buffer_load_dword v5, off, s[0:3], 0 offset:72
	buffer_load_dword v6, off, s[0:3], 0 offset:76
	v_cmp_gt_u32_e32 vcc, 9, v0
	s_waitcnt vmcnt(0)
	ds_write_b64 v4, v[5:6]
	s_waitcnt lgkmcnt(0)
	; wave barrier
	s_and_saveexec_b64 s[4:5], vcc
	s_cbranch_execz .LBB125_51
; %bb.48:
	v_add_u32_e32 v5, -1, v0
	v_add_u32_e32 v6, 0x1f0, v3
	v_mov_b32_e32 v7, v3
	v_mov_b32_e32 v2, 0
	s_mov_b64 s[8:9], 0
	v_mov_b32_e32 v8, 0
.LBB125_49:                             ; =>This Inner Loop Header: Depth=1
	buffer_load_dword v11, v7, s[0:3], 0 offen offset:4
	buffer_load_dword v12, v7, s[0:3], 0 offen
	ds_read_b64 v[9:10], v6
	v_add_u32_e32 v5, 1, v5
	v_cmp_lt_u32_e32 vcc, 7, v5
	v_add_u32_e32 v6, 8, v6
	v_add_u32_e32 v7, 8, v7
	s_or_b64 s[8:9], vcc, s[8:9]
	s_waitcnt vmcnt(1) lgkmcnt(0)
	v_mul_f32_e32 v13, v10, v11
	v_mul_f32_e32 v11, v9, v11
	s_waitcnt vmcnt(0)
	v_fma_f32 v9, v9, v12, -v13
	v_fmac_f32_e32 v11, v10, v12
	v_add_f32_e32 v8, v8, v9
	v_add_f32_e32 v2, v2, v11
	s_andn2_b64 exec, exec, s[8:9]
	s_cbranch_execnz .LBB125_49
; %bb.50:
	s_or_b64 exec, exec, s[8:9]
	v_mov_b32_e32 v5, 0
	ds_read_b64 v[5:6], v5 offset:72
	s_waitcnt lgkmcnt(0)
	v_mul_f32_e32 v7, v2, v6
	v_mul_f32_e32 v6, v8, v6
	v_fma_f32 v7, v8, v5, -v7
	v_fmac_f32_e32 v6, v2, v5
	buffer_store_dword v7, off, s[0:3], 0 offset:72
	buffer_store_dword v6, off, s[0:3], 0 offset:76
.LBB125_51:
	s_or_b64 exec, exec, s[4:5]
	; wave barrier
	buffer_load_dword v5, off, s[0:3], 0 offset:80
	buffer_load_dword v6, off, s[0:3], 0 offset:84
	v_cmp_gt_u32_e32 vcc, 10, v0
	s_waitcnt vmcnt(0)
	ds_write_b64 v4, v[5:6]
	s_waitcnt lgkmcnt(0)
	; wave barrier
	s_and_saveexec_b64 s[4:5], vcc
	s_cbranch_execz .LBB125_55
; %bb.52:
	v_add_u32_e32 v5, -1, v0
	v_add_u32_e32 v6, 0x1f0, v3
	v_mov_b32_e32 v7, v3
	v_mov_b32_e32 v2, 0
	s_mov_b64 s[8:9], 0
	v_mov_b32_e32 v8, 0
.LBB125_53:                             ; =>This Inner Loop Header: Depth=1
	buffer_load_dword v11, v7, s[0:3], 0 offen offset:4
	buffer_load_dword v12, v7, s[0:3], 0 offen
	ds_read_b64 v[9:10], v6
	v_add_u32_e32 v5, 1, v5
	v_cmp_lt_u32_e32 vcc, 8, v5
	v_add_u32_e32 v6, 8, v6
	v_add_u32_e32 v7, 8, v7
	s_or_b64 s[8:9], vcc, s[8:9]
	s_waitcnt vmcnt(1) lgkmcnt(0)
	v_mul_f32_e32 v13, v10, v11
	v_mul_f32_e32 v11, v9, v11
	s_waitcnt vmcnt(0)
	v_fma_f32 v9, v9, v12, -v13
	v_fmac_f32_e32 v11, v10, v12
	v_add_f32_e32 v8, v8, v9
	v_add_f32_e32 v2, v2, v11
	s_andn2_b64 exec, exec, s[8:9]
	s_cbranch_execnz .LBB125_53
; %bb.54:
	s_or_b64 exec, exec, s[8:9]
	v_mov_b32_e32 v5, 0
	ds_read_b64 v[5:6], v5 offset:80
	s_waitcnt lgkmcnt(0)
	v_mul_f32_e32 v7, v2, v6
	v_mul_f32_e32 v6, v8, v6
	v_fma_f32 v7, v8, v5, -v7
	v_fmac_f32_e32 v6, v2, v5
	buffer_store_dword v7, off, s[0:3], 0 offset:80
	buffer_store_dword v6, off, s[0:3], 0 offset:84
.LBB125_55:
	s_or_b64 exec, exec, s[4:5]
	; wave barrier
	buffer_load_dword v5, off, s[0:3], 0 offset:88
	buffer_load_dword v6, off, s[0:3], 0 offset:92
	v_cmp_gt_u32_e32 vcc, 11, v0
	s_waitcnt vmcnt(0)
	ds_write_b64 v4, v[5:6]
	s_waitcnt lgkmcnt(0)
	; wave barrier
	s_and_saveexec_b64 s[4:5], vcc
	s_cbranch_execz .LBB125_59
; %bb.56:
	v_add_u32_e32 v5, -1, v0
	v_add_u32_e32 v6, 0x1f0, v3
	v_mov_b32_e32 v7, v3
	v_mov_b32_e32 v2, 0
	s_mov_b64 s[8:9], 0
	v_mov_b32_e32 v8, 0
.LBB125_57:                             ; =>This Inner Loop Header: Depth=1
	buffer_load_dword v11, v7, s[0:3], 0 offen offset:4
	buffer_load_dword v12, v7, s[0:3], 0 offen
	ds_read_b64 v[9:10], v6
	v_add_u32_e32 v5, 1, v5
	v_cmp_lt_u32_e32 vcc, 9, v5
	v_add_u32_e32 v6, 8, v6
	v_add_u32_e32 v7, 8, v7
	s_or_b64 s[8:9], vcc, s[8:9]
	s_waitcnt vmcnt(1) lgkmcnt(0)
	v_mul_f32_e32 v13, v10, v11
	v_mul_f32_e32 v11, v9, v11
	s_waitcnt vmcnt(0)
	v_fma_f32 v9, v9, v12, -v13
	v_fmac_f32_e32 v11, v10, v12
	v_add_f32_e32 v8, v8, v9
	v_add_f32_e32 v2, v2, v11
	s_andn2_b64 exec, exec, s[8:9]
	s_cbranch_execnz .LBB125_57
; %bb.58:
	s_or_b64 exec, exec, s[8:9]
	v_mov_b32_e32 v5, 0
	ds_read_b64 v[5:6], v5 offset:88
	s_waitcnt lgkmcnt(0)
	v_mul_f32_e32 v7, v2, v6
	v_mul_f32_e32 v6, v8, v6
	v_fma_f32 v7, v8, v5, -v7
	v_fmac_f32_e32 v6, v2, v5
	buffer_store_dword v7, off, s[0:3], 0 offset:88
	buffer_store_dword v6, off, s[0:3], 0 offset:92
.LBB125_59:
	s_or_b64 exec, exec, s[4:5]
	; wave barrier
	buffer_load_dword v5, off, s[0:3], 0 offset:96
	buffer_load_dword v6, off, s[0:3], 0 offset:100
	v_cmp_gt_u32_e32 vcc, 12, v0
	s_waitcnt vmcnt(0)
	ds_write_b64 v4, v[5:6]
	s_waitcnt lgkmcnt(0)
	; wave barrier
	s_and_saveexec_b64 s[4:5], vcc
	s_cbranch_execz .LBB125_63
; %bb.60:
	v_add_u32_e32 v5, -1, v0
	v_add_u32_e32 v6, 0x1f0, v3
	v_mov_b32_e32 v7, v3
	v_mov_b32_e32 v2, 0
	s_mov_b64 s[8:9], 0
	v_mov_b32_e32 v8, 0
.LBB125_61:                             ; =>This Inner Loop Header: Depth=1
	buffer_load_dword v11, v7, s[0:3], 0 offen offset:4
	buffer_load_dword v12, v7, s[0:3], 0 offen
	ds_read_b64 v[9:10], v6
	v_add_u32_e32 v5, 1, v5
	v_cmp_lt_u32_e32 vcc, 10, v5
	v_add_u32_e32 v6, 8, v6
	v_add_u32_e32 v7, 8, v7
	s_or_b64 s[8:9], vcc, s[8:9]
	s_waitcnt vmcnt(1) lgkmcnt(0)
	v_mul_f32_e32 v13, v10, v11
	v_mul_f32_e32 v11, v9, v11
	s_waitcnt vmcnt(0)
	v_fma_f32 v9, v9, v12, -v13
	v_fmac_f32_e32 v11, v10, v12
	v_add_f32_e32 v8, v8, v9
	v_add_f32_e32 v2, v2, v11
	s_andn2_b64 exec, exec, s[8:9]
	s_cbranch_execnz .LBB125_61
; %bb.62:
	s_or_b64 exec, exec, s[8:9]
	v_mov_b32_e32 v5, 0
	ds_read_b64 v[5:6], v5 offset:96
	s_waitcnt lgkmcnt(0)
	v_mul_f32_e32 v7, v2, v6
	v_mul_f32_e32 v6, v8, v6
	v_fma_f32 v7, v8, v5, -v7
	v_fmac_f32_e32 v6, v2, v5
	buffer_store_dword v7, off, s[0:3], 0 offset:96
	buffer_store_dword v6, off, s[0:3], 0 offset:100
.LBB125_63:
	s_or_b64 exec, exec, s[4:5]
	; wave barrier
	buffer_load_dword v5, off, s[0:3], 0 offset:104
	buffer_load_dword v6, off, s[0:3], 0 offset:108
	v_cmp_gt_u32_e32 vcc, 13, v0
	s_waitcnt vmcnt(0)
	ds_write_b64 v4, v[5:6]
	s_waitcnt lgkmcnt(0)
	; wave barrier
	s_and_saveexec_b64 s[4:5], vcc
	s_cbranch_execz .LBB125_67
; %bb.64:
	v_add_u32_e32 v5, -1, v0
	v_add_u32_e32 v6, 0x1f0, v3
	v_mov_b32_e32 v7, v3
	v_mov_b32_e32 v2, 0
	s_mov_b64 s[8:9], 0
	v_mov_b32_e32 v8, 0
.LBB125_65:                             ; =>This Inner Loop Header: Depth=1
	buffer_load_dword v11, v7, s[0:3], 0 offen offset:4
	buffer_load_dword v12, v7, s[0:3], 0 offen
	ds_read_b64 v[9:10], v6
	v_add_u32_e32 v5, 1, v5
	v_cmp_lt_u32_e32 vcc, 11, v5
	v_add_u32_e32 v6, 8, v6
	v_add_u32_e32 v7, 8, v7
	s_or_b64 s[8:9], vcc, s[8:9]
	s_waitcnt vmcnt(1) lgkmcnt(0)
	v_mul_f32_e32 v13, v10, v11
	v_mul_f32_e32 v11, v9, v11
	s_waitcnt vmcnt(0)
	v_fma_f32 v9, v9, v12, -v13
	v_fmac_f32_e32 v11, v10, v12
	v_add_f32_e32 v8, v8, v9
	v_add_f32_e32 v2, v2, v11
	s_andn2_b64 exec, exec, s[8:9]
	s_cbranch_execnz .LBB125_65
; %bb.66:
	s_or_b64 exec, exec, s[8:9]
	v_mov_b32_e32 v5, 0
	ds_read_b64 v[5:6], v5 offset:104
	s_waitcnt lgkmcnt(0)
	v_mul_f32_e32 v7, v2, v6
	v_mul_f32_e32 v6, v8, v6
	v_fma_f32 v7, v8, v5, -v7
	v_fmac_f32_e32 v6, v2, v5
	buffer_store_dword v7, off, s[0:3], 0 offset:104
	buffer_store_dword v6, off, s[0:3], 0 offset:108
.LBB125_67:
	s_or_b64 exec, exec, s[4:5]
	; wave barrier
	buffer_load_dword v5, off, s[0:3], 0 offset:112
	buffer_load_dword v6, off, s[0:3], 0 offset:116
	v_cmp_gt_u32_e32 vcc, 14, v0
	s_waitcnt vmcnt(0)
	ds_write_b64 v4, v[5:6]
	s_waitcnt lgkmcnt(0)
	; wave barrier
	s_and_saveexec_b64 s[4:5], vcc
	s_cbranch_execz .LBB125_71
; %bb.68:
	v_add_u32_e32 v5, -1, v0
	v_add_u32_e32 v6, 0x1f0, v3
	v_mov_b32_e32 v7, v3
	v_mov_b32_e32 v2, 0
	s_mov_b64 s[8:9], 0
	v_mov_b32_e32 v8, 0
.LBB125_69:                             ; =>This Inner Loop Header: Depth=1
	buffer_load_dword v11, v7, s[0:3], 0 offen offset:4
	buffer_load_dword v12, v7, s[0:3], 0 offen
	ds_read_b64 v[9:10], v6
	v_add_u32_e32 v5, 1, v5
	v_cmp_lt_u32_e32 vcc, 12, v5
	v_add_u32_e32 v6, 8, v6
	v_add_u32_e32 v7, 8, v7
	s_or_b64 s[8:9], vcc, s[8:9]
	s_waitcnt vmcnt(1) lgkmcnt(0)
	v_mul_f32_e32 v13, v10, v11
	v_mul_f32_e32 v11, v9, v11
	s_waitcnt vmcnt(0)
	v_fma_f32 v9, v9, v12, -v13
	v_fmac_f32_e32 v11, v10, v12
	v_add_f32_e32 v8, v8, v9
	v_add_f32_e32 v2, v2, v11
	s_andn2_b64 exec, exec, s[8:9]
	s_cbranch_execnz .LBB125_69
; %bb.70:
	s_or_b64 exec, exec, s[8:9]
	v_mov_b32_e32 v5, 0
	ds_read_b64 v[5:6], v5 offset:112
	s_waitcnt lgkmcnt(0)
	v_mul_f32_e32 v7, v2, v6
	v_mul_f32_e32 v6, v8, v6
	v_fma_f32 v7, v8, v5, -v7
	v_fmac_f32_e32 v6, v2, v5
	buffer_store_dword v7, off, s[0:3], 0 offset:112
	buffer_store_dword v6, off, s[0:3], 0 offset:116
.LBB125_71:
	s_or_b64 exec, exec, s[4:5]
	; wave barrier
	buffer_load_dword v5, off, s[0:3], 0 offset:120
	buffer_load_dword v6, off, s[0:3], 0 offset:124
	v_cmp_gt_u32_e32 vcc, 15, v0
	s_waitcnt vmcnt(0)
	ds_write_b64 v4, v[5:6]
	s_waitcnt lgkmcnt(0)
	; wave barrier
	s_and_saveexec_b64 s[4:5], vcc
	s_cbranch_execz .LBB125_75
; %bb.72:
	v_add_u32_e32 v5, -1, v0
	v_add_u32_e32 v6, 0x1f0, v3
	v_mov_b32_e32 v7, v3
	v_mov_b32_e32 v2, 0
	s_mov_b64 s[8:9], 0
	v_mov_b32_e32 v8, 0
.LBB125_73:                             ; =>This Inner Loop Header: Depth=1
	buffer_load_dword v11, v7, s[0:3], 0 offen offset:4
	buffer_load_dword v12, v7, s[0:3], 0 offen
	ds_read_b64 v[9:10], v6
	v_add_u32_e32 v5, 1, v5
	v_cmp_lt_u32_e32 vcc, 13, v5
	v_add_u32_e32 v6, 8, v6
	v_add_u32_e32 v7, 8, v7
	s_or_b64 s[8:9], vcc, s[8:9]
	s_waitcnt vmcnt(1) lgkmcnt(0)
	v_mul_f32_e32 v13, v10, v11
	v_mul_f32_e32 v11, v9, v11
	s_waitcnt vmcnt(0)
	v_fma_f32 v9, v9, v12, -v13
	v_fmac_f32_e32 v11, v10, v12
	v_add_f32_e32 v8, v8, v9
	v_add_f32_e32 v2, v2, v11
	s_andn2_b64 exec, exec, s[8:9]
	s_cbranch_execnz .LBB125_73
; %bb.74:
	s_or_b64 exec, exec, s[8:9]
	v_mov_b32_e32 v5, 0
	ds_read_b64 v[5:6], v5 offset:120
	s_waitcnt lgkmcnt(0)
	v_mul_f32_e32 v7, v2, v6
	v_mul_f32_e32 v6, v8, v6
	v_fma_f32 v7, v8, v5, -v7
	v_fmac_f32_e32 v6, v2, v5
	buffer_store_dword v7, off, s[0:3], 0 offset:120
	buffer_store_dword v6, off, s[0:3], 0 offset:124
.LBB125_75:
	s_or_b64 exec, exec, s[4:5]
	; wave barrier
	buffer_load_dword v5, off, s[0:3], 0 offset:128
	buffer_load_dword v6, off, s[0:3], 0 offset:132
	v_cmp_gt_u32_e32 vcc, 16, v0
	s_waitcnt vmcnt(0)
	ds_write_b64 v4, v[5:6]
	s_waitcnt lgkmcnt(0)
	; wave barrier
	s_and_saveexec_b64 s[4:5], vcc
	s_cbranch_execz .LBB125_79
; %bb.76:
	v_add_u32_e32 v5, -1, v0
	v_add_u32_e32 v6, 0x1f0, v3
	v_mov_b32_e32 v7, v3
	v_mov_b32_e32 v2, 0
	s_mov_b64 s[8:9], 0
	v_mov_b32_e32 v8, 0
.LBB125_77:                             ; =>This Inner Loop Header: Depth=1
	buffer_load_dword v11, v7, s[0:3], 0 offen offset:4
	buffer_load_dword v12, v7, s[0:3], 0 offen
	ds_read_b64 v[9:10], v6
	v_add_u32_e32 v5, 1, v5
	v_cmp_lt_u32_e32 vcc, 14, v5
	v_add_u32_e32 v6, 8, v6
	v_add_u32_e32 v7, 8, v7
	s_or_b64 s[8:9], vcc, s[8:9]
	s_waitcnt vmcnt(1) lgkmcnt(0)
	v_mul_f32_e32 v13, v10, v11
	v_mul_f32_e32 v11, v9, v11
	s_waitcnt vmcnt(0)
	v_fma_f32 v9, v9, v12, -v13
	v_fmac_f32_e32 v11, v10, v12
	v_add_f32_e32 v8, v8, v9
	v_add_f32_e32 v2, v2, v11
	s_andn2_b64 exec, exec, s[8:9]
	s_cbranch_execnz .LBB125_77
; %bb.78:
	s_or_b64 exec, exec, s[8:9]
	v_mov_b32_e32 v5, 0
	ds_read_b64 v[5:6], v5 offset:128
	s_waitcnt lgkmcnt(0)
	v_mul_f32_e32 v7, v2, v6
	v_mul_f32_e32 v6, v8, v6
	v_fma_f32 v7, v8, v5, -v7
	v_fmac_f32_e32 v6, v2, v5
	buffer_store_dword v7, off, s[0:3], 0 offset:128
	buffer_store_dword v6, off, s[0:3], 0 offset:132
.LBB125_79:
	s_or_b64 exec, exec, s[4:5]
	; wave barrier
	buffer_load_dword v5, off, s[0:3], 0 offset:136
	buffer_load_dword v6, off, s[0:3], 0 offset:140
	v_cmp_gt_u32_e32 vcc, 17, v0
	s_waitcnt vmcnt(0)
	ds_write_b64 v4, v[5:6]
	s_waitcnt lgkmcnt(0)
	; wave barrier
	s_and_saveexec_b64 s[4:5], vcc
	s_cbranch_execz .LBB125_83
; %bb.80:
	v_add_u32_e32 v5, -1, v0
	v_add_u32_e32 v6, 0x1f0, v3
	v_mov_b32_e32 v7, v3
	v_mov_b32_e32 v2, 0
	s_mov_b64 s[8:9], 0
	v_mov_b32_e32 v8, 0
.LBB125_81:                             ; =>This Inner Loop Header: Depth=1
	buffer_load_dword v11, v7, s[0:3], 0 offen offset:4
	buffer_load_dword v12, v7, s[0:3], 0 offen
	ds_read_b64 v[9:10], v6
	v_add_u32_e32 v5, 1, v5
	v_cmp_lt_u32_e32 vcc, 15, v5
	v_add_u32_e32 v6, 8, v6
	v_add_u32_e32 v7, 8, v7
	s_or_b64 s[8:9], vcc, s[8:9]
	s_waitcnt vmcnt(1) lgkmcnt(0)
	v_mul_f32_e32 v13, v10, v11
	v_mul_f32_e32 v11, v9, v11
	s_waitcnt vmcnt(0)
	v_fma_f32 v9, v9, v12, -v13
	v_fmac_f32_e32 v11, v10, v12
	v_add_f32_e32 v8, v8, v9
	v_add_f32_e32 v2, v2, v11
	s_andn2_b64 exec, exec, s[8:9]
	s_cbranch_execnz .LBB125_81
; %bb.82:
	s_or_b64 exec, exec, s[8:9]
	v_mov_b32_e32 v5, 0
	ds_read_b64 v[5:6], v5 offset:136
	s_waitcnt lgkmcnt(0)
	v_mul_f32_e32 v7, v2, v6
	v_mul_f32_e32 v6, v8, v6
	v_fma_f32 v7, v8, v5, -v7
	v_fmac_f32_e32 v6, v2, v5
	buffer_store_dword v7, off, s[0:3], 0 offset:136
	buffer_store_dword v6, off, s[0:3], 0 offset:140
.LBB125_83:
	s_or_b64 exec, exec, s[4:5]
	; wave barrier
	buffer_load_dword v5, off, s[0:3], 0 offset:144
	buffer_load_dword v6, off, s[0:3], 0 offset:148
	v_cmp_gt_u32_e32 vcc, 18, v0
	s_waitcnt vmcnt(0)
	ds_write_b64 v4, v[5:6]
	s_waitcnt lgkmcnt(0)
	; wave barrier
	s_and_saveexec_b64 s[4:5], vcc
	s_cbranch_execz .LBB125_87
; %bb.84:
	v_add_u32_e32 v5, -1, v0
	v_add_u32_e32 v6, 0x1f0, v3
	v_mov_b32_e32 v7, v3
	v_mov_b32_e32 v2, 0
	s_mov_b64 s[8:9], 0
	v_mov_b32_e32 v8, 0
.LBB125_85:                             ; =>This Inner Loop Header: Depth=1
	buffer_load_dword v11, v7, s[0:3], 0 offen offset:4
	buffer_load_dword v12, v7, s[0:3], 0 offen
	ds_read_b64 v[9:10], v6
	v_add_u32_e32 v5, 1, v5
	v_cmp_lt_u32_e32 vcc, 16, v5
	v_add_u32_e32 v6, 8, v6
	v_add_u32_e32 v7, 8, v7
	s_or_b64 s[8:9], vcc, s[8:9]
	s_waitcnt vmcnt(1) lgkmcnt(0)
	v_mul_f32_e32 v13, v10, v11
	v_mul_f32_e32 v11, v9, v11
	s_waitcnt vmcnt(0)
	v_fma_f32 v9, v9, v12, -v13
	v_fmac_f32_e32 v11, v10, v12
	v_add_f32_e32 v8, v8, v9
	v_add_f32_e32 v2, v2, v11
	s_andn2_b64 exec, exec, s[8:9]
	s_cbranch_execnz .LBB125_85
; %bb.86:
	s_or_b64 exec, exec, s[8:9]
	v_mov_b32_e32 v5, 0
	ds_read_b64 v[5:6], v5 offset:144
	s_waitcnt lgkmcnt(0)
	v_mul_f32_e32 v7, v2, v6
	v_mul_f32_e32 v6, v8, v6
	v_fma_f32 v7, v8, v5, -v7
	v_fmac_f32_e32 v6, v2, v5
	buffer_store_dword v7, off, s[0:3], 0 offset:144
	buffer_store_dword v6, off, s[0:3], 0 offset:148
.LBB125_87:
	s_or_b64 exec, exec, s[4:5]
	; wave barrier
	buffer_load_dword v5, off, s[0:3], 0 offset:152
	buffer_load_dword v6, off, s[0:3], 0 offset:156
	v_cmp_gt_u32_e32 vcc, 19, v0
	s_waitcnt vmcnt(0)
	ds_write_b64 v4, v[5:6]
	s_waitcnt lgkmcnt(0)
	; wave barrier
	s_and_saveexec_b64 s[4:5], vcc
	s_cbranch_execz .LBB125_91
; %bb.88:
	v_add_u32_e32 v5, -1, v0
	v_add_u32_e32 v6, 0x1f0, v3
	v_mov_b32_e32 v7, v3
	v_mov_b32_e32 v2, 0
	s_mov_b64 s[8:9], 0
	v_mov_b32_e32 v8, 0
.LBB125_89:                             ; =>This Inner Loop Header: Depth=1
	buffer_load_dword v11, v7, s[0:3], 0 offen offset:4
	buffer_load_dword v12, v7, s[0:3], 0 offen
	ds_read_b64 v[9:10], v6
	v_add_u32_e32 v5, 1, v5
	v_cmp_lt_u32_e32 vcc, 17, v5
	v_add_u32_e32 v6, 8, v6
	v_add_u32_e32 v7, 8, v7
	s_or_b64 s[8:9], vcc, s[8:9]
	s_waitcnt vmcnt(1) lgkmcnt(0)
	v_mul_f32_e32 v13, v10, v11
	v_mul_f32_e32 v11, v9, v11
	s_waitcnt vmcnt(0)
	v_fma_f32 v9, v9, v12, -v13
	v_fmac_f32_e32 v11, v10, v12
	v_add_f32_e32 v8, v8, v9
	v_add_f32_e32 v2, v2, v11
	s_andn2_b64 exec, exec, s[8:9]
	s_cbranch_execnz .LBB125_89
; %bb.90:
	s_or_b64 exec, exec, s[8:9]
	v_mov_b32_e32 v5, 0
	ds_read_b64 v[5:6], v5 offset:152
	s_waitcnt lgkmcnt(0)
	v_mul_f32_e32 v7, v2, v6
	v_mul_f32_e32 v6, v8, v6
	v_fma_f32 v7, v8, v5, -v7
	v_fmac_f32_e32 v6, v2, v5
	buffer_store_dword v7, off, s[0:3], 0 offset:152
	buffer_store_dword v6, off, s[0:3], 0 offset:156
.LBB125_91:
	s_or_b64 exec, exec, s[4:5]
	; wave barrier
	buffer_load_dword v5, off, s[0:3], 0 offset:160
	buffer_load_dword v6, off, s[0:3], 0 offset:164
	v_cmp_gt_u32_e32 vcc, 20, v0
	s_waitcnt vmcnt(0)
	ds_write_b64 v4, v[5:6]
	s_waitcnt lgkmcnt(0)
	; wave barrier
	s_and_saveexec_b64 s[4:5], vcc
	s_cbranch_execz .LBB125_95
; %bb.92:
	v_add_u32_e32 v5, -1, v0
	v_add_u32_e32 v6, 0x1f0, v3
	v_mov_b32_e32 v7, v3
	v_mov_b32_e32 v2, 0
	s_mov_b64 s[8:9], 0
	v_mov_b32_e32 v8, 0
.LBB125_93:                             ; =>This Inner Loop Header: Depth=1
	buffer_load_dword v11, v7, s[0:3], 0 offen offset:4
	buffer_load_dword v12, v7, s[0:3], 0 offen
	ds_read_b64 v[9:10], v6
	v_add_u32_e32 v5, 1, v5
	v_cmp_lt_u32_e32 vcc, 18, v5
	v_add_u32_e32 v6, 8, v6
	v_add_u32_e32 v7, 8, v7
	s_or_b64 s[8:9], vcc, s[8:9]
	s_waitcnt vmcnt(1) lgkmcnt(0)
	v_mul_f32_e32 v13, v10, v11
	v_mul_f32_e32 v11, v9, v11
	s_waitcnt vmcnt(0)
	v_fma_f32 v9, v9, v12, -v13
	v_fmac_f32_e32 v11, v10, v12
	v_add_f32_e32 v8, v8, v9
	v_add_f32_e32 v2, v2, v11
	s_andn2_b64 exec, exec, s[8:9]
	s_cbranch_execnz .LBB125_93
; %bb.94:
	s_or_b64 exec, exec, s[8:9]
	v_mov_b32_e32 v5, 0
	ds_read_b64 v[5:6], v5 offset:160
	s_waitcnt lgkmcnt(0)
	v_mul_f32_e32 v7, v2, v6
	v_mul_f32_e32 v6, v8, v6
	v_fma_f32 v7, v8, v5, -v7
	v_fmac_f32_e32 v6, v2, v5
	buffer_store_dword v7, off, s[0:3], 0 offset:160
	buffer_store_dword v6, off, s[0:3], 0 offset:164
.LBB125_95:
	s_or_b64 exec, exec, s[4:5]
	; wave barrier
	buffer_load_dword v5, off, s[0:3], 0 offset:168
	buffer_load_dword v6, off, s[0:3], 0 offset:172
	v_cmp_gt_u32_e32 vcc, 21, v0
	s_waitcnt vmcnt(0)
	ds_write_b64 v4, v[5:6]
	s_waitcnt lgkmcnt(0)
	; wave barrier
	s_and_saveexec_b64 s[4:5], vcc
	s_cbranch_execz .LBB125_99
; %bb.96:
	v_add_u32_e32 v5, -1, v0
	v_add_u32_e32 v6, 0x1f0, v3
	v_mov_b32_e32 v7, v3
	v_mov_b32_e32 v2, 0
	s_mov_b64 s[8:9], 0
	v_mov_b32_e32 v8, 0
.LBB125_97:                             ; =>This Inner Loop Header: Depth=1
	buffer_load_dword v11, v7, s[0:3], 0 offen offset:4
	buffer_load_dword v12, v7, s[0:3], 0 offen
	ds_read_b64 v[9:10], v6
	v_add_u32_e32 v5, 1, v5
	v_cmp_lt_u32_e32 vcc, 19, v5
	v_add_u32_e32 v6, 8, v6
	v_add_u32_e32 v7, 8, v7
	s_or_b64 s[8:9], vcc, s[8:9]
	s_waitcnt vmcnt(1) lgkmcnt(0)
	v_mul_f32_e32 v13, v10, v11
	v_mul_f32_e32 v11, v9, v11
	s_waitcnt vmcnt(0)
	v_fma_f32 v9, v9, v12, -v13
	v_fmac_f32_e32 v11, v10, v12
	v_add_f32_e32 v8, v8, v9
	v_add_f32_e32 v2, v2, v11
	s_andn2_b64 exec, exec, s[8:9]
	s_cbranch_execnz .LBB125_97
; %bb.98:
	s_or_b64 exec, exec, s[8:9]
	v_mov_b32_e32 v5, 0
	ds_read_b64 v[5:6], v5 offset:168
	s_waitcnt lgkmcnt(0)
	v_mul_f32_e32 v7, v2, v6
	v_mul_f32_e32 v6, v8, v6
	v_fma_f32 v7, v8, v5, -v7
	v_fmac_f32_e32 v6, v2, v5
	buffer_store_dword v7, off, s[0:3], 0 offset:168
	buffer_store_dword v6, off, s[0:3], 0 offset:172
.LBB125_99:
	s_or_b64 exec, exec, s[4:5]
	; wave barrier
	buffer_load_dword v5, off, s[0:3], 0 offset:176
	buffer_load_dword v6, off, s[0:3], 0 offset:180
	v_cmp_gt_u32_e32 vcc, 22, v0
	s_waitcnt vmcnt(0)
	ds_write_b64 v4, v[5:6]
	s_waitcnt lgkmcnt(0)
	; wave barrier
	s_and_saveexec_b64 s[4:5], vcc
	s_cbranch_execz .LBB125_103
; %bb.100:
	v_add_u32_e32 v5, -1, v0
	v_add_u32_e32 v6, 0x1f0, v3
	v_mov_b32_e32 v7, v3
	v_mov_b32_e32 v2, 0
	s_mov_b64 s[8:9], 0
	v_mov_b32_e32 v8, 0
.LBB125_101:                            ; =>This Inner Loop Header: Depth=1
	buffer_load_dword v11, v7, s[0:3], 0 offen offset:4
	buffer_load_dword v12, v7, s[0:3], 0 offen
	ds_read_b64 v[9:10], v6
	v_add_u32_e32 v5, 1, v5
	v_cmp_lt_u32_e32 vcc, 20, v5
	v_add_u32_e32 v6, 8, v6
	v_add_u32_e32 v7, 8, v7
	s_or_b64 s[8:9], vcc, s[8:9]
	s_waitcnt vmcnt(1) lgkmcnt(0)
	v_mul_f32_e32 v13, v10, v11
	v_mul_f32_e32 v11, v9, v11
	s_waitcnt vmcnt(0)
	v_fma_f32 v9, v9, v12, -v13
	v_fmac_f32_e32 v11, v10, v12
	v_add_f32_e32 v8, v8, v9
	v_add_f32_e32 v2, v2, v11
	s_andn2_b64 exec, exec, s[8:9]
	s_cbranch_execnz .LBB125_101
; %bb.102:
	s_or_b64 exec, exec, s[8:9]
	v_mov_b32_e32 v5, 0
	ds_read_b64 v[5:6], v5 offset:176
	s_waitcnt lgkmcnt(0)
	v_mul_f32_e32 v7, v2, v6
	v_mul_f32_e32 v6, v8, v6
	v_fma_f32 v7, v8, v5, -v7
	v_fmac_f32_e32 v6, v2, v5
	buffer_store_dword v7, off, s[0:3], 0 offset:176
	buffer_store_dword v6, off, s[0:3], 0 offset:180
.LBB125_103:
	s_or_b64 exec, exec, s[4:5]
	; wave barrier
	buffer_load_dword v5, off, s[0:3], 0 offset:184
	buffer_load_dword v6, off, s[0:3], 0 offset:188
	v_cmp_gt_u32_e32 vcc, 23, v0
	s_waitcnt vmcnt(0)
	ds_write_b64 v4, v[5:6]
	s_waitcnt lgkmcnt(0)
	; wave barrier
	s_and_saveexec_b64 s[4:5], vcc
	s_cbranch_execz .LBB125_107
; %bb.104:
	v_add_u32_e32 v5, -1, v0
	v_add_u32_e32 v6, 0x1f0, v3
	v_mov_b32_e32 v7, v3
	v_mov_b32_e32 v2, 0
	s_mov_b64 s[8:9], 0
	v_mov_b32_e32 v8, 0
.LBB125_105:                            ; =>This Inner Loop Header: Depth=1
	buffer_load_dword v11, v7, s[0:3], 0 offen offset:4
	buffer_load_dword v12, v7, s[0:3], 0 offen
	ds_read_b64 v[9:10], v6
	v_add_u32_e32 v5, 1, v5
	v_cmp_lt_u32_e32 vcc, 21, v5
	v_add_u32_e32 v6, 8, v6
	v_add_u32_e32 v7, 8, v7
	s_or_b64 s[8:9], vcc, s[8:9]
	s_waitcnt vmcnt(1) lgkmcnt(0)
	v_mul_f32_e32 v13, v10, v11
	v_mul_f32_e32 v11, v9, v11
	s_waitcnt vmcnt(0)
	v_fma_f32 v9, v9, v12, -v13
	v_fmac_f32_e32 v11, v10, v12
	v_add_f32_e32 v8, v8, v9
	v_add_f32_e32 v2, v2, v11
	s_andn2_b64 exec, exec, s[8:9]
	s_cbranch_execnz .LBB125_105
; %bb.106:
	s_or_b64 exec, exec, s[8:9]
	v_mov_b32_e32 v5, 0
	ds_read_b64 v[5:6], v5 offset:184
	s_waitcnt lgkmcnt(0)
	v_mul_f32_e32 v7, v2, v6
	v_mul_f32_e32 v6, v8, v6
	v_fma_f32 v7, v8, v5, -v7
	v_fmac_f32_e32 v6, v2, v5
	buffer_store_dword v7, off, s[0:3], 0 offset:184
	buffer_store_dword v6, off, s[0:3], 0 offset:188
.LBB125_107:
	s_or_b64 exec, exec, s[4:5]
	; wave barrier
	buffer_load_dword v5, off, s[0:3], 0 offset:192
	buffer_load_dword v6, off, s[0:3], 0 offset:196
	v_cmp_gt_u32_e32 vcc, 24, v0
	s_waitcnt vmcnt(0)
	ds_write_b64 v4, v[5:6]
	;; [unrolled: 49-line block ×38, first 2 shown]
	s_waitcnt lgkmcnt(0)
	; wave barrier
	s_and_saveexec_b64 s[4:5], vcc
	s_cbranch_execz .LBB125_255
; %bb.252:
	v_add_u32_e32 v5, -1, v0
	v_add_u32_e32 v6, 0x1f0, v3
	v_mov_b32_e32 v7, v3
	v_mov_b32_e32 v2, 0
	s_mov_b64 s[8:9], 0
	v_mov_b32_e32 v8, 0
.LBB125_253:                            ; =>This Inner Loop Header: Depth=1
	buffer_load_dword v11, v7, s[0:3], 0 offen offset:4
	buffer_load_dword v12, v7, s[0:3], 0 offen
	ds_read_b64 v[9:10], v6
	v_add_u32_e32 v5, 1, v5
	v_cmp_lt_u32_e32 vcc, 58, v5
	v_add_u32_e32 v6, 8, v6
	v_add_u32_e32 v7, 8, v7
	s_or_b64 s[8:9], vcc, s[8:9]
	s_waitcnt vmcnt(1) lgkmcnt(0)
	v_mul_f32_e32 v13, v10, v11
	v_mul_f32_e32 v11, v9, v11
	s_waitcnt vmcnt(0)
	v_fma_f32 v9, v9, v12, -v13
	v_fmac_f32_e32 v11, v10, v12
	v_add_f32_e32 v8, v8, v9
	v_add_f32_e32 v2, v2, v11
	s_andn2_b64 exec, exec, s[8:9]
	s_cbranch_execnz .LBB125_253
; %bb.254:
	s_or_b64 exec, exec, s[8:9]
	v_mov_b32_e32 v5, 0
	ds_read_b64 v[5:6], v5 offset:480
	s_waitcnt lgkmcnt(0)
	v_mul_f32_e32 v7, v2, v6
	v_mul_f32_e32 v6, v8, v6
	v_fma_f32 v7, v8, v5, -v7
	v_fmac_f32_e32 v6, v2, v5
	buffer_store_dword v7, off, s[0:3], 0 offset:480
	buffer_store_dword v6, off, s[0:3], 0 offset:484
.LBB125_255:
	s_or_b64 exec, exec, s[4:5]
	; wave barrier
	buffer_load_dword v5, off, s[0:3], 0 offset:488
	buffer_load_dword v6, off, s[0:3], 0 offset:492
	v_cmp_ne_u32_e32 vcc, 61, v0
	s_waitcnt vmcnt(0)
	ds_write_b64 v4, v[5:6]
	s_waitcnt lgkmcnt(0)
	; wave barrier
	s_and_saveexec_b64 s[4:5], vcc
	s_cbranch_execz .LBB125_259
; %bb.256:
	v_add_u32_e32 v4, 0x1f0, v3
	v_mov_b32_e32 v2, 0
	s_mov_b64 s[8:9], 0
	v_mov_b32_e32 v5, 0
.LBB125_257:                            ; =>This Inner Loop Header: Depth=1
	buffer_load_dword v8, v3, s[0:3], 0 offen offset:4
	buffer_load_dword v9, v3, s[0:3], 0 offen
	ds_read_b64 v[6:7], v4
	v_add_u32_e32 v1, 1, v1
	v_cmp_lt_u32_e32 vcc, 59, v1
	v_add_u32_e32 v4, 8, v4
	v_add_u32_e32 v3, 8, v3
	s_or_b64 s[8:9], vcc, s[8:9]
	s_waitcnt vmcnt(1) lgkmcnt(0)
	v_mul_f32_e32 v10, v7, v8
	v_mul_f32_e32 v8, v6, v8
	s_waitcnt vmcnt(0)
	v_fma_f32 v6, v6, v9, -v10
	v_fmac_f32_e32 v8, v7, v9
	v_add_f32_e32 v5, v5, v6
	v_add_f32_e32 v2, v2, v8
	s_andn2_b64 exec, exec, s[8:9]
	s_cbranch_execnz .LBB125_257
; %bb.258:
	s_or_b64 exec, exec, s[8:9]
	v_mov_b32_e32 v1, 0
	ds_read_b64 v[3:4], v1 offset:488
	s_waitcnt lgkmcnt(0)
	v_mul_f32_e32 v1, v2, v4
	v_mul_f32_e32 v4, v5, v4
	v_fma_f32 v1, v5, v3, -v1
	v_fmac_f32_e32 v4, v2, v3
	buffer_store_dword v1, off, s[0:3], 0 offset:488
	buffer_store_dword v4, off, s[0:3], 0 offset:492
.LBB125_259:
	s_or_b64 exec, exec, s[4:5]
	s_mov_b64 s[8:9], -1
	; wave barrier
.LBB125_260:
	s_and_b64 vcc, exec, s[8:9]
	s_cbranch_vccz .LBB125_262
; %bb.261:
	s_lshl_b64 s[4:5], s[6:7], 2
	s_add_u32 s4, s10, s4
	s_addc_u32 s5, s11, s5
	v_mov_b32_e32 v1, 0
	global_load_dword v1, v1, s[4:5]
	s_waitcnt vmcnt(0)
	v_cmp_ne_u32_e32 vcc, 0, v1
	s_cbranch_vccz .LBB125_263
.LBB125_262:
	s_endpgm
.LBB125_263:
	v_mov_b32_e32 v1, 0x1f0
	v_lshl_add_u32 v25, v0, 3, v1
	v_cmp_eq_u32_e32 vcc, 61, v0
	s_and_saveexec_b64 s[4:5], vcc
	s_cbranch_execz .LBB125_265
; %bb.264:
	buffer_load_dword v1, off, s[0:3], 0 offset:480
	buffer_load_dword v2, off, s[0:3], 0 offset:484
	v_mov_b32_e32 v3, 0
	buffer_store_dword v3, off, s[0:3], 0 offset:480
	buffer_store_dword v3, off, s[0:3], 0 offset:484
	s_waitcnt vmcnt(2)
	ds_write_b64 v25, v[1:2]
.LBB125_265:
	s_or_b64 exec, exec, s[4:5]
	s_waitcnt lgkmcnt(0)
	; wave barrier
	buffer_load_dword v4, off, s[0:3], 0 offset:492
	buffer_load_dword v5, off, s[0:3], 0 offset:488
	;; [unrolled: 1-line block ×4, first 2 shown]
	v_mov_b32_e32 v1, 0
	ds_read_b64 v[2:3], v1 offset:984
	v_cmp_lt_u32_e32 vcc, 59, v0
	s_waitcnt vmcnt(3) lgkmcnt(0)
	v_mul_f32_e32 v8, v2, v4
	v_mul_f32_e32 v4, v3, v4
	s_waitcnt vmcnt(2)
	v_fma_f32 v2, v2, v5, -v4
	v_fmac_f32_e32 v8, v3, v5
	v_add_f32_e32 v2, 0, v2
	v_add_f32_e32 v3, 0, v8
	s_waitcnt vmcnt(1)
	v_sub_f32_e32 v2, v6, v2
	s_waitcnt vmcnt(0)
	v_sub_f32_e32 v3, v7, v3
	buffer_store_dword v2, off, s[0:3], 0 offset:480
	buffer_store_dword v3, off, s[0:3], 0 offset:484
	s_and_saveexec_b64 s[4:5], vcc
	s_cbranch_execz .LBB125_267
; %bb.266:
	buffer_load_dword v2, off, s[0:3], 0 offset:472
	buffer_load_dword v3, off, s[0:3], 0 offset:476
	s_waitcnt vmcnt(0)
	ds_write_b64 v25, v[2:3]
	buffer_store_dword v1, off, s[0:3], 0 offset:472
	buffer_store_dword v1, off, s[0:3], 0 offset:476
.LBB125_267:
	s_or_b64 exec, exec, s[4:5]
	s_waitcnt lgkmcnt(0)
	; wave barrier
	buffer_load_dword v5, off, s[0:3], 0 offset:484
	buffer_load_dword v6, off, s[0:3], 0 offset:492
	;; [unrolled: 1-line block ×6, first 2 shown]
	ds_read_b128 v[1:4], v1 offset:976
	v_cmp_lt_u32_e32 vcc, 58, v0
	s_waitcnt vmcnt(5) lgkmcnt(0)
	v_mul_f32_e32 v11, v1, v5
	v_mul_f32_e32 v5, v2, v5
	s_waitcnt vmcnt(4)
	v_mul_f32_e32 v12, v3, v6
	v_mul_f32_e32 v6, v4, v6
	s_waitcnt vmcnt(3)
	v_fma_f32 v1, v1, v7, -v5
	v_fmac_f32_e32 v11, v2, v7
	s_waitcnt vmcnt(2)
	v_fma_f32 v2, v3, v8, -v6
	v_add_f32_e32 v1, 0, v1
	v_fmac_f32_e32 v12, v4, v8
	v_add_f32_e32 v3, 0, v11
	v_add_f32_e32 v1, v1, v2
	;; [unrolled: 1-line block ×3, first 2 shown]
	s_waitcnt vmcnt(1)
	v_sub_f32_e32 v1, v9, v1
	s_waitcnt vmcnt(0)
	v_sub_f32_e32 v2, v10, v3
	buffer_store_dword v1, off, s[0:3], 0 offset:472
	buffer_store_dword v2, off, s[0:3], 0 offset:476
	s_and_saveexec_b64 s[4:5], vcc
	s_cbranch_execz .LBB125_269
; %bb.268:
	buffer_load_dword v1, off, s[0:3], 0 offset:464
	buffer_load_dword v2, off, s[0:3], 0 offset:468
	v_mov_b32_e32 v3, 0
	buffer_store_dword v3, off, s[0:3], 0 offset:464
	buffer_store_dword v3, off, s[0:3], 0 offset:468
	s_waitcnt vmcnt(2)
	ds_write_b64 v25, v[1:2]
.LBB125_269:
	s_or_b64 exec, exec, s[4:5]
	s_waitcnt lgkmcnt(0)
	; wave barrier
	buffer_load_dword v8, off, s[0:3], 0 offset:476
	buffer_load_dword v9, off, s[0:3], 0 offset:484
	;; [unrolled: 1-line block ×8, first 2 shown]
	v_mov_b32_e32 v1, 0
	ds_read2_b64 v[2:5], v1 offset0:121 offset1:122
	ds_read_b64 v[6:7], v1 offset:984
	v_cmp_lt_u32_e32 vcc, 57, v0
	s_waitcnt vmcnt(7) lgkmcnt(1)
	v_mul_f32_e32 v16, v2, v8
	v_mul_f32_e32 v8, v3, v8
	s_waitcnt vmcnt(6)
	v_mul_f32_e32 v17, v4, v9
	v_mul_f32_e32 v9, v5, v9
	s_waitcnt vmcnt(4)
	v_fma_f32 v2, v2, v11, -v8
	s_waitcnt lgkmcnt(0)
	v_mul_f32_e32 v18, v6, v10
	v_mul_f32_e32 v10, v7, v10
	v_fmac_f32_e32 v16, v3, v11
	s_waitcnt vmcnt(3)
	v_fma_f32 v3, v4, v12, -v9
	v_add_f32_e32 v2, 0, v2
	v_fmac_f32_e32 v17, v5, v12
	s_waitcnt vmcnt(2)
	v_fma_f32 v4, v6, v13, -v10
	v_add_f32_e32 v5, 0, v16
	v_add_f32_e32 v2, v2, v3
	v_fmac_f32_e32 v18, v7, v13
	v_add_f32_e32 v5, v5, v17
	v_add_f32_e32 v2, v2, v4
	;; [unrolled: 1-line block ×3, first 2 shown]
	s_waitcnt vmcnt(1)
	v_sub_f32_e32 v2, v14, v2
	s_waitcnt vmcnt(0)
	v_sub_f32_e32 v3, v15, v3
	buffer_store_dword v2, off, s[0:3], 0 offset:464
	buffer_store_dword v3, off, s[0:3], 0 offset:468
	s_and_saveexec_b64 s[4:5], vcc
	s_cbranch_execz .LBB125_271
; %bb.270:
	buffer_load_dword v2, off, s[0:3], 0 offset:456
	buffer_load_dword v3, off, s[0:3], 0 offset:460
	s_waitcnt vmcnt(0)
	ds_write_b64 v25, v[2:3]
	buffer_store_dword v1, off, s[0:3], 0 offset:456
	buffer_store_dword v1, off, s[0:3], 0 offset:460
.LBB125_271:
	s_or_b64 exec, exec, s[4:5]
	s_waitcnt lgkmcnt(0)
	; wave barrier
	buffer_load_dword v10, off, s[0:3], 0 offset:468
	buffer_load_dword v11, off, s[0:3], 0 offset:476
	;; [unrolled: 1-line block ×10, first 2 shown]
	ds_read_b128 v[2:5], v1 offset:960
	ds_read_b128 v[6:9], v1 offset:976
	v_cmp_lt_u32_e32 vcc, 56, v0
	s_waitcnt vmcnt(9) lgkmcnt(1)
	v_mul_f32_e32 v1, v2, v10
	v_mul_f32_e32 v10, v3, v10
	s_waitcnt vmcnt(8)
	v_mul_f32_e32 v20, v4, v11
	v_mul_f32_e32 v11, v5, v11
	s_waitcnt vmcnt(5)
	v_fma_f32 v2, v2, v14, -v10
	s_waitcnt lgkmcnt(0)
	v_mul_f32_e32 v21, v6, v12
	v_mul_f32_e32 v12, v7, v12
	v_fmac_f32_e32 v1, v3, v14
	s_waitcnt vmcnt(4)
	v_fma_f32 v3, v4, v15, -v11
	v_add_f32_e32 v2, 0, v2
	v_mul_f32_e32 v22, v8, v13
	v_mul_f32_e32 v13, v9, v13
	v_fmac_f32_e32 v20, v5, v15
	s_waitcnt vmcnt(3)
	v_fma_f32 v4, v6, v16, -v12
	v_add_f32_e32 v1, 0, v1
	v_add_f32_e32 v2, v2, v3
	v_fmac_f32_e32 v21, v7, v16
	s_waitcnt vmcnt(2)
	v_fma_f32 v5, v8, v17, -v13
	v_add_f32_e32 v1, v1, v20
	v_add_f32_e32 v2, v2, v4
	v_fmac_f32_e32 v22, v9, v17
	v_add_f32_e32 v1, v1, v21
	v_add_f32_e32 v2, v2, v5
	;; [unrolled: 1-line block ×3, first 2 shown]
	s_waitcnt vmcnt(1)
	v_sub_f32_e32 v2, v18, v2
	s_waitcnt vmcnt(0)
	v_sub_f32_e32 v1, v19, v1
	buffer_store_dword v2, off, s[0:3], 0 offset:456
	buffer_store_dword v1, off, s[0:3], 0 offset:460
	s_and_saveexec_b64 s[4:5], vcc
	s_cbranch_execz .LBB125_273
; %bb.272:
	buffer_load_dword v1, off, s[0:3], 0 offset:448
	buffer_load_dword v2, off, s[0:3], 0 offset:452
	v_mov_b32_e32 v3, 0
	buffer_store_dword v3, off, s[0:3], 0 offset:448
	buffer_store_dword v3, off, s[0:3], 0 offset:452
	s_waitcnt vmcnt(2)
	ds_write_b64 v25, v[1:2]
.LBB125_273:
	s_or_b64 exec, exec, s[4:5]
	s_waitcnt lgkmcnt(0)
	; wave barrier
	buffer_load_dword v12, off, s[0:3], 0 offset:460
	buffer_load_dword v13, off, s[0:3], 0 offset:468
	;; [unrolled: 1-line block ×12, first 2 shown]
	v_mov_b32_e32 v1, 0
	ds_read2_b64 v[2:5], v1 offset0:119 offset1:120
	ds_read2_b64 v[6:9], v1 offset0:121 offset1:122
	ds_read_b64 v[10:11], v1 offset:984
	v_cmp_lt_u32_e32 vcc, 55, v0
	s_waitcnt vmcnt(11) lgkmcnt(2)
	v_mul_f32_e32 v24, v2, v12
	v_mul_f32_e32 v12, v3, v12
	s_waitcnt vmcnt(10)
	v_mul_f32_e32 v26, v4, v13
	v_mul_f32_e32 v13, v5, v13
	s_waitcnt vmcnt(9) lgkmcnt(1)
	v_mul_f32_e32 v27, v6, v14
	s_waitcnt vmcnt(6)
	v_fma_f32 v2, v2, v17, -v12
	v_mul_f32_e32 v14, v7, v14
	v_fmac_f32_e32 v24, v3, v17
	s_waitcnt vmcnt(5)
	v_fma_f32 v3, v4, v18, -v13
	v_add_f32_e32 v2, 0, v2
	v_mul_f32_e32 v28, v8, v15
	v_mul_f32_e32 v15, v9, v15
	v_fmac_f32_e32 v26, v5, v18
	s_waitcnt vmcnt(4)
	v_fmac_f32_e32 v27, v7, v19
	v_fma_f32 v4, v6, v19, -v14
	v_add_f32_e32 v7, 0, v24
	v_add_f32_e32 v2, v2, v3
	s_waitcnt lgkmcnt(0)
	v_mul_f32_e32 v29, v10, v16
	v_mul_f32_e32 v16, v11, v16
	s_waitcnt vmcnt(3)
	v_fma_f32 v5, v8, v20, -v15
	v_add_f32_e32 v7, v7, v26
	v_add_f32_e32 v2, v2, v4
	v_fmac_f32_e32 v28, v9, v20
	s_waitcnt vmcnt(2)
	v_fma_f32 v6, v10, v21, -v16
	v_add_f32_e32 v3, v7, v27
	v_add_f32_e32 v2, v2, v5
	v_fmac_f32_e32 v29, v11, v21
	v_add_f32_e32 v3, v3, v28
	v_add_f32_e32 v2, v2, v6
	;; [unrolled: 1-line block ×3, first 2 shown]
	s_waitcnt vmcnt(1)
	v_sub_f32_e32 v2, v22, v2
	s_waitcnt vmcnt(0)
	v_sub_f32_e32 v3, v23, v3
	buffer_store_dword v2, off, s[0:3], 0 offset:448
	buffer_store_dword v3, off, s[0:3], 0 offset:452
	s_and_saveexec_b64 s[4:5], vcc
	s_cbranch_execz .LBB125_275
; %bb.274:
	buffer_load_dword v2, off, s[0:3], 0 offset:440
	buffer_load_dword v3, off, s[0:3], 0 offset:444
	s_waitcnt vmcnt(0)
	ds_write_b64 v25, v[2:3]
	buffer_store_dword v1, off, s[0:3], 0 offset:440
	buffer_store_dword v1, off, s[0:3], 0 offset:444
.LBB125_275:
	s_or_b64 exec, exec, s[4:5]
	s_waitcnt lgkmcnt(0)
	; wave barrier
	buffer_load_dword v14, off, s[0:3], 0 offset:452
	buffer_load_dword v15, off, s[0:3], 0 offset:460
	;; [unrolled: 1-line block ×14, first 2 shown]
	ds_read_b128 v[2:5], v1 offset:944
	ds_read_b128 v[6:9], v1 offset:960
	;; [unrolled: 1-line block ×3, first 2 shown]
	v_cmp_lt_u32_e32 vcc, 54, v0
	s_waitcnt vmcnt(13) lgkmcnt(2)
	v_mul_f32_e32 v1, v2, v14
	v_mul_f32_e32 v14, v3, v14
	s_waitcnt vmcnt(12)
	v_mul_f32_e32 v29, v4, v15
	v_mul_f32_e32 v15, v5, v15
	s_waitcnt vmcnt(11) lgkmcnt(1)
	v_mul_f32_e32 v30, v6, v16
	v_mul_f32_e32 v16, v7, v16
	s_waitcnt vmcnt(7)
	v_fma_f32 v2, v2, v20, -v14
	v_fmac_f32_e32 v1, v3, v20
	s_waitcnt vmcnt(6)
	v_fma_f32 v3, v4, v21, -v15
	v_add_f32_e32 v2, 0, v2
	v_mul_f32_e32 v31, v8, v17
	v_mul_f32_e32 v17, v9, v17
	v_fmac_f32_e32 v29, v5, v21
	s_waitcnt vmcnt(5)
	v_fma_f32 v4, v6, v22, -v16
	v_add_f32_e32 v1, 0, v1
	v_add_f32_e32 v2, v2, v3
	s_waitcnt lgkmcnt(0)
	v_mul_f32_e32 v32, v10, v18
	v_mul_f32_e32 v18, v11, v18
	v_fmac_f32_e32 v30, v7, v22
	s_waitcnt vmcnt(4)
	v_fma_f32 v5, v8, v23, -v17
	v_add_f32_e32 v1, v1, v29
	v_add_f32_e32 v2, v2, v4
	v_mul_f32_e32 v33, v12, v19
	v_mul_f32_e32 v19, v13, v19
	v_fmac_f32_e32 v31, v9, v23
	s_waitcnt vmcnt(3)
	v_fma_f32 v6, v10, v24, -v18
	v_add_f32_e32 v1, v1, v30
	v_add_f32_e32 v2, v2, v5
	v_fmac_f32_e32 v32, v11, v24
	s_waitcnt vmcnt(2)
	v_fma_f32 v7, v12, v26, -v19
	v_add_f32_e32 v1, v1, v31
	v_add_f32_e32 v2, v2, v6
	v_fmac_f32_e32 v33, v13, v26
	v_add_f32_e32 v1, v1, v32
	v_add_f32_e32 v2, v2, v7
	;; [unrolled: 1-line block ×3, first 2 shown]
	s_waitcnt vmcnt(1)
	v_sub_f32_e32 v2, v27, v2
	s_waitcnt vmcnt(0)
	v_sub_f32_e32 v1, v28, v1
	buffer_store_dword v2, off, s[0:3], 0 offset:440
	buffer_store_dword v1, off, s[0:3], 0 offset:444
	s_and_saveexec_b64 s[4:5], vcc
	s_cbranch_execz .LBB125_277
; %bb.276:
	buffer_load_dword v1, off, s[0:3], 0 offset:432
	buffer_load_dword v2, off, s[0:3], 0 offset:436
	v_mov_b32_e32 v3, 0
	buffer_store_dword v3, off, s[0:3], 0 offset:432
	buffer_store_dword v3, off, s[0:3], 0 offset:436
	s_waitcnt vmcnt(2)
	ds_write_b64 v25, v[1:2]
.LBB125_277:
	s_or_b64 exec, exec, s[4:5]
	s_waitcnt lgkmcnt(0)
	; wave barrier
	buffer_load_dword v16, off, s[0:3], 0 offset:444
	buffer_load_dword v17, off, s[0:3], 0 offset:452
	;; [unrolled: 1-line block ×16, first 2 shown]
	v_mov_b32_e32 v1, 0
	ds_read2_b64 v[2:5], v1 offset0:117 offset1:118
	ds_read2_b64 v[6:9], v1 offset0:119 offset1:120
	;; [unrolled: 1-line block ×3, first 2 shown]
	ds_read_b64 v[14:15], v1 offset:984
	v_cmp_lt_u32_e32 vcc, 53, v0
	s_waitcnt vmcnt(15) lgkmcnt(3)
	v_mul_f32_e32 v33, v2, v16
	v_mul_f32_e32 v16, v3, v16
	s_waitcnt vmcnt(14)
	v_mul_f32_e32 v34, v4, v17
	v_mul_f32_e32 v17, v5, v17
	s_waitcnt vmcnt(13) lgkmcnt(2)
	v_mul_f32_e32 v35, v6, v18
	s_waitcnt vmcnt(12)
	v_mul_f32_e32 v36, v8, v19
	v_mul_f32_e32 v18, v7, v18
	s_waitcnt vmcnt(8)
	v_fma_f32 v2, v2, v23, -v16
	v_fmac_f32_e32 v33, v3, v23
	s_waitcnt vmcnt(7)
	v_fma_f32 v3, v4, v24, -v17
	v_add_f32_e32 v2, 0, v2
	v_mul_f32_e32 v19, v9, v19
	v_fmac_f32_e32 v34, v5, v24
	s_waitcnt vmcnt(5)
	v_fmac_f32_e32 v36, v9, v27
	v_fma_f32 v4, v6, v26, -v18
	v_add_f32_e32 v9, 0, v33
	v_add_f32_e32 v2, v2, v3
	s_waitcnt lgkmcnt(1)
	v_mul_f32_e32 v37, v10, v20
	v_mul_f32_e32 v20, v11, v20
	v_fmac_f32_e32 v35, v7, v26
	v_fma_f32 v5, v8, v27, -v19
	v_add_f32_e32 v9, v9, v34
	v_add_f32_e32 v2, v2, v4
	v_mul_f32_e32 v38, v12, v21
	v_mul_f32_e32 v21, v13, v21
	s_waitcnt vmcnt(4)
	v_fma_f32 v6, v10, v28, -v20
	v_add_f32_e32 v3, v9, v35
	v_add_f32_e32 v2, v2, v5
	s_waitcnt lgkmcnt(0)
	v_mul_f32_e32 v39, v14, v22
	v_mul_f32_e32 v22, v15, v22
	v_fmac_f32_e32 v37, v11, v28
	s_waitcnt vmcnt(3)
	v_fma_f32 v7, v12, v29, -v21
	v_add_f32_e32 v3, v3, v36
	v_add_f32_e32 v2, v2, v6
	v_fmac_f32_e32 v38, v13, v29
	s_waitcnt vmcnt(2)
	v_fma_f32 v8, v14, v30, -v22
	v_add_f32_e32 v3, v3, v37
	v_add_f32_e32 v2, v2, v7
	v_fmac_f32_e32 v39, v15, v30
	v_add_f32_e32 v3, v3, v38
	v_add_f32_e32 v2, v2, v8
	;; [unrolled: 1-line block ×3, first 2 shown]
	s_waitcnt vmcnt(1)
	v_sub_f32_e32 v2, v31, v2
	s_waitcnt vmcnt(0)
	v_sub_f32_e32 v3, v32, v3
	buffer_store_dword v2, off, s[0:3], 0 offset:432
	buffer_store_dword v3, off, s[0:3], 0 offset:436
	s_and_saveexec_b64 s[4:5], vcc
	s_cbranch_execz .LBB125_279
; %bb.278:
	buffer_load_dword v2, off, s[0:3], 0 offset:424
	buffer_load_dword v3, off, s[0:3], 0 offset:428
	s_waitcnt vmcnt(0)
	ds_write_b64 v25, v[2:3]
	buffer_store_dword v1, off, s[0:3], 0 offset:424
	buffer_store_dword v1, off, s[0:3], 0 offset:428
.LBB125_279:
	s_or_b64 exec, exec, s[4:5]
	s_waitcnt lgkmcnt(0)
	; wave barrier
	buffer_load_dword v18, off, s[0:3], 0 offset:436
	buffer_load_dword v19, off, s[0:3], 0 offset:444
	;; [unrolled: 1-line block ×18, first 2 shown]
	ds_read_b128 v[2:5], v1 offset:928
	ds_read_b128 v[6:9], v1 offset:944
	ds_read_b128 v[10:13], v1 offset:960
	ds_read_b128 v[14:17], v1 offset:976
	v_cmp_lt_u32_e32 vcc, 52, v0
	s_waitcnt vmcnt(17) lgkmcnt(3)
	v_mul_f32_e32 v1, v2, v18
	v_mul_f32_e32 v18, v3, v18
	s_waitcnt vmcnt(16)
	v_mul_f32_e32 v37, v4, v19
	v_mul_f32_e32 v19, v5, v19
	s_waitcnt vmcnt(15) lgkmcnt(2)
	v_mul_f32_e32 v38, v6, v20
	v_mul_f32_e32 v20, v7, v20
	s_waitcnt vmcnt(14)
	v_mul_f32_e32 v39, v8, v21
	v_mul_f32_e32 v21, v9, v21
	s_waitcnt vmcnt(9)
	v_fma_f32 v2, v2, v27, -v18
	v_fmac_f32_e32 v1, v3, v27
	s_waitcnt vmcnt(8)
	v_fma_f32 v3, v4, v28, -v19
	v_add_f32_e32 v2, 0, v2
	v_fmac_f32_e32 v37, v5, v28
	s_waitcnt vmcnt(7)
	v_fma_f32 v4, v6, v29, -v20
	v_add_f32_e32 v1, 0, v1
	v_add_f32_e32 v2, v2, v3
	s_waitcnt lgkmcnt(1)
	v_mul_f32_e32 v40, v10, v22
	v_mul_f32_e32 v22, v11, v22
	v_fmac_f32_e32 v38, v7, v29
	s_waitcnt vmcnt(6)
	v_fma_f32 v5, v8, v30, -v21
	v_add_f32_e32 v1, v1, v37
	v_add_f32_e32 v2, v2, v4
	v_mul_f32_e32 v41, v12, v23
	v_mul_f32_e32 v23, v13, v23
	v_fmac_f32_e32 v39, v9, v30
	s_waitcnt vmcnt(5)
	v_fma_f32 v6, v10, v31, -v22
	v_add_f32_e32 v1, v1, v38
	v_add_f32_e32 v2, v2, v5
	s_waitcnt lgkmcnt(0)
	v_mul_f32_e32 v42, v14, v24
	v_mul_f32_e32 v24, v15, v24
	v_fmac_f32_e32 v40, v11, v31
	s_waitcnt vmcnt(4)
	v_fma_f32 v7, v12, v32, -v23
	v_add_f32_e32 v1, v1, v39
	v_add_f32_e32 v2, v2, v6
	v_mul_f32_e32 v43, v16, v26
	v_mul_f32_e32 v26, v17, v26
	v_fmac_f32_e32 v41, v13, v32
	s_waitcnt vmcnt(3)
	v_fma_f32 v8, v14, v33, -v24
	v_add_f32_e32 v1, v1, v40
	v_add_f32_e32 v2, v2, v7
	v_fmac_f32_e32 v42, v15, v33
	s_waitcnt vmcnt(2)
	v_fma_f32 v9, v16, v34, -v26
	v_add_f32_e32 v1, v1, v41
	v_add_f32_e32 v2, v2, v8
	v_fmac_f32_e32 v43, v17, v34
	v_add_f32_e32 v1, v1, v42
	v_add_f32_e32 v2, v2, v9
	;; [unrolled: 1-line block ×3, first 2 shown]
	s_waitcnt vmcnt(1)
	v_sub_f32_e32 v2, v35, v2
	s_waitcnt vmcnt(0)
	v_sub_f32_e32 v1, v36, v1
	buffer_store_dword v2, off, s[0:3], 0 offset:424
	buffer_store_dword v1, off, s[0:3], 0 offset:428
	s_and_saveexec_b64 s[4:5], vcc
	s_cbranch_execz .LBB125_281
; %bb.280:
	buffer_load_dword v1, off, s[0:3], 0 offset:416
	buffer_load_dword v2, off, s[0:3], 0 offset:420
	v_mov_b32_e32 v3, 0
	buffer_store_dword v3, off, s[0:3], 0 offset:416
	buffer_store_dword v3, off, s[0:3], 0 offset:420
	s_waitcnt vmcnt(2)
	ds_write_b64 v25, v[1:2]
.LBB125_281:
	s_or_b64 exec, exec, s[4:5]
	s_waitcnt lgkmcnt(0)
	; wave barrier
	buffer_load_dword v20, off, s[0:3], 0 offset:428
	buffer_load_dword v21, off, s[0:3], 0 offset:436
	;; [unrolled: 1-line block ×20, first 2 shown]
	v_mov_b32_e32 v1, 0
	ds_read2_b64 v[2:5], v1 offset0:115 offset1:116
	ds_read2_b64 v[6:9], v1 offset0:117 offset1:118
	;; [unrolled: 1-line block ×4, first 2 shown]
	ds_read_b64 v[18:19], v1 offset:984
	v_cmp_lt_u32_e32 vcc, 51, v0
	s_waitcnt vmcnt(19) lgkmcnt(4)
	v_mul_f32_e32 v41, v2, v20
	v_mul_f32_e32 v20, v3, v20
	s_waitcnt vmcnt(18)
	v_mul_f32_e32 v42, v4, v21
	v_mul_f32_e32 v21, v5, v21
	s_waitcnt vmcnt(17) lgkmcnt(3)
	v_mul_f32_e32 v43, v6, v22
	s_waitcnt vmcnt(15) lgkmcnt(2)
	v_mul_f32_e32 v45, v10, v24
	v_mul_f32_e32 v22, v7, v22
	;; [unrolled: 1-line block ×4, first 2 shown]
	s_waitcnt vmcnt(10)
	v_fma_f32 v2, v2, v30, -v20
	v_fmac_f32_e32 v41, v3, v30
	s_waitcnt vmcnt(9)
	v_fma_f32 v3, v4, v31, -v21
	v_add_f32_e32 v2, 0, v2
	v_mul_f32_e32 v24, v11, v24
	v_fmac_f32_e32 v42, v5, v31
	s_waitcnt vmcnt(6)
	v_fmac_f32_e32 v45, v11, v34
	v_fma_f32 v4, v6, v32, -v22
	v_add_f32_e32 v11, 0, v41
	v_add_f32_e32 v2, v2, v3
	v_fmac_f32_e32 v43, v7, v32
	v_fma_f32 v5, v8, v33, -v23
	v_add_f32_e32 v11, v11, v42
	v_add_f32_e32 v2, v2, v4
	v_mul_f32_e32 v46, v12, v26
	v_mul_f32_e32 v26, v13, v26
	v_fmac_f32_e32 v44, v9, v33
	v_fma_f32 v6, v10, v34, -v24
	v_add_f32_e32 v3, v11, v43
	v_add_f32_e32 v2, v2, v5
	s_waitcnt lgkmcnt(1)
	v_mul_f32_e32 v47, v14, v27
	v_mul_f32_e32 v27, v15, v27
	s_waitcnt vmcnt(5)
	v_fma_f32 v7, v12, v35, -v26
	v_add_f32_e32 v3, v3, v44
	v_add_f32_e32 v2, v2, v6
	v_mul_f32_e32 v48, v16, v28
	v_mul_f32_e32 v28, v17, v28
	v_fmac_f32_e32 v46, v13, v35
	s_waitcnt vmcnt(4)
	v_fma_f32 v8, v14, v36, -v27
	v_add_f32_e32 v3, v3, v45
	v_add_f32_e32 v2, v2, v7
	s_waitcnt lgkmcnt(0)
	v_mul_f32_e32 v49, v18, v29
	v_mul_f32_e32 v29, v19, v29
	v_fmac_f32_e32 v47, v15, v36
	s_waitcnt vmcnt(3)
	v_fma_f32 v9, v16, v37, -v28
	v_add_f32_e32 v3, v3, v46
	v_add_f32_e32 v2, v2, v8
	v_fmac_f32_e32 v48, v17, v37
	s_waitcnt vmcnt(2)
	v_fma_f32 v10, v18, v38, -v29
	v_add_f32_e32 v3, v3, v47
	v_add_f32_e32 v2, v2, v9
	v_fmac_f32_e32 v49, v19, v38
	v_add_f32_e32 v3, v3, v48
	v_add_f32_e32 v2, v2, v10
	;; [unrolled: 1-line block ×3, first 2 shown]
	s_waitcnt vmcnt(1)
	v_sub_f32_e32 v2, v39, v2
	s_waitcnt vmcnt(0)
	v_sub_f32_e32 v3, v40, v3
	buffer_store_dword v2, off, s[0:3], 0 offset:416
	buffer_store_dword v3, off, s[0:3], 0 offset:420
	s_and_saveexec_b64 s[4:5], vcc
	s_cbranch_execz .LBB125_283
; %bb.282:
	buffer_load_dword v2, off, s[0:3], 0 offset:408
	buffer_load_dword v3, off, s[0:3], 0 offset:412
	s_waitcnt vmcnt(0)
	ds_write_b64 v25, v[2:3]
	buffer_store_dword v1, off, s[0:3], 0 offset:408
	buffer_store_dword v1, off, s[0:3], 0 offset:412
.LBB125_283:
	s_or_b64 exec, exec, s[4:5]
	s_waitcnt lgkmcnt(0)
	; wave barrier
	buffer_load_dword v22, off, s[0:3], 0 offset:420
	buffer_load_dword v23, off, s[0:3], 0 offset:428
	;; [unrolled: 1-line block ×22, first 2 shown]
	ds_read_b128 v[2:5], v1 offset:912
	ds_read_b128 v[6:9], v1 offset:928
	;; [unrolled: 1-line block ×5, first 2 shown]
	v_cmp_lt_u32_e32 vcc, 50, v0
	s_waitcnt vmcnt(21) lgkmcnt(4)
	v_mul_f32_e32 v1, v2, v22
	v_mul_f32_e32 v22, v3, v22
	s_waitcnt vmcnt(20)
	v_mul_f32_e32 v45, v4, v23
	v_mul_f32_e32 v23, v5, v23
	s_waitcnt vmcnt(19) lgkmcnt(3)
	v_mul_f32_e32 v46, v6, v24
	v_mul_f32_e32 v24, v7, v24
	s_waitcnt vmcnt(18)
	v_mul_f32_e32 v47, v8, v26
	v_mul_f32_e32 v26, v9, v26
	s_waitcnt vmcnt(17) lgkmcnt(2)
	v_mul_f32_e32 v48, v10, v27
	v_mul_f32_e32 v27, v11, v27
	s_waitcnt vmcnt(11)
	v_fma_f32 v2, v2, v33, -v22
	v_fmac_f32_e32 v1, v3, v33
	s_waitcnt vmcnt(10)
	v_fma_f32 v3, v4, v34, -v23
	v_add_f32_e32 v2, 0, v2
	v_fmac_f32_e32 v45, v5, v34
	s_waitcnt vmcnt(9)
	v_fma_f32 v4, v6, v35, -v24
	v_add_f32_e32 v1, 0, v1
	v_add_f32_e32 v2, v2, v3
	v_fmac_f32_e32 v46, v7, v35
	s_waitcnt vmcnt(8)
	v_fma_f32 v5, v8, v36, -v26
	v_add_f32_e32 v1, v1, v45
	v_add_f32_e32 v2, v2, v4
	v_mul_f32_e32 v49, v12, v28
	v_mul_f32_e32 v28, v13, v28
	v_fmac_f32_e32 v47, v9, v36
	s_waitcnt vmcnt(7)
	v_fma_f32 v6, v10, v37, -v27
	v_add_f32_e32 v1, v1, v46
	v_add_f32_e32 v2, v2, v5
	s_waitcnt lgkmcnt(1)
	v_mul_f32_e32 v50, v14, v29
	v_mul_f32_e32 v29, v15, v29
	v_fmac_f32_e32 v48, v11, v37
	s_waitcnt vmcnt(6)
	v_fma_f32 v7, v12, v38, -v28
	v_add_f32_e32 v1, v1, v47
	v_add_f32_e32 v2, v2, v6
	v_mul_f32_e32 v51, v16, v30
	v_mul_f32_e32 v30, v17, v30
	v_fmac_f32_e32 v49, v13, v38
	s_waitcnt vmcnt(5)
	v_fma_f32 v8, v14, v39, -v29
	v_add_f32_e32 v1, v1, v48
	v_add_f32_e32 v2, v2, v7
	s_waitcnt lgkmcnt(0)
	v_mul_f32_e32 v52, v18, v31
	v_mul_f32_e32 v31, v19, v31
	v_fmac_f32_e32 v50, v15, v39
	s_waitcnt vmcnt(4)
	v_fma_f32 v9, v16, v40, -v30
	v_add_f32_e32 v1, v1, v49
	v_add_f32_e32 v2, v2, v8
	v_mul_f32_e32 v53, v20, v32
	v_mul_f32_e32 v32, v21, v32
	v_fmac_f32_e32 v51, v17, v40
	s_waitcnt vmcnt(3)
	v_fma_f32 v10, v18, v41, -v31
	v_add_f32_e32 v1, v1, v50
	v_add_f32_e32 v2, v2, v9
	v_fmac_f32_e32 v52, v19, v41
	s_waitcnt vmcnt(2)
	v_fma_f32 v11, v20, v42, -v32
	v_add_f32_e32 v1, v1, v51
	v_add_f32_e32 v2, v2, v10
	v_fmac_f32_e32 v53, v21, v42
	v_add_f32_e32 v1, v1, v52
	v_add_f32_e32 v2, v2, v11
	;; [unrolled: 1-line block ×3, first 2 shown]
	s_waitcnt vmcnt(1)
	v_sub_f32_e32 v2, v43, v2
	s_waitcnt vmcnt(0)
	v_sub_f32_e32 v1, v44, v1
	buffer_store_dword v2, off, s[0:3], 0 offset:408
	buffer_store_dword v1, off, s[0:3], 0 offset:412
	s_and_saveexec_b64 s[4:5], vcc
	s_cbranch_execz .LBB125_285
; %bb.284:
	buffer_load_dword v1, off, s[0:3], 0 offset:400
	buffer_load_dword v2, off, s[0:3], 0 offset:404
	v_mov_b32_e32 v3, 0
	buffer_store_dword v3, off, s[0:3], 0 offset:400
	buffer_store_dword v3, off, s[0:3], 0 offset:404
	s_waitcnt vmcnt(2)
	ds_write_b64 v25, v[1:2]
.LBB125_285:
	s_or_b64 exec, exec, s[4:5]
	s_waitcnt lgkmcnt(0)
	; wave barrier
	buffer_load_dword v24, off, s[0:3], 0 offset:412
	buffer_load_dword v26, off, s[0:3], 0 offset:420
	buffer_load_dword v27, off, s[0:3], 0 offset:428
	buffer_load_dword v28, off, s[0:3], 0 offset:436
	buffer_load_dword v29, off, s[0:3], 0 offset:444
	buffer_load_dword v30, off, s[0:3], 0 offset:452
	buffer_load_dword v31, off, s[0:3], 0 offset:460
	buffer_load_dword v32, off, s[0:3], 0 offset:468
	buffer_load_dword v33, off, s[0:3], 0 offset:476
	buffer_load_dword v34, off, s[0:3], 0 offset:484
	buffer_load_dword v35, off, s[0:3], 0 offset:492
	buffer_load_dword v36, off, s[0:3], 0 offset:408
	buffer_load_dword v37, off, s[0:3], 0 offset:416
	buffer_load_dword v38, off, s[0:3], 0 offset:424
	buffer_load_dword v39, off, s[0:3], 0 offset:432
	buffer_load_dword v40, off, s[0:3], 0 offset:440
	buffer_load_dword v41, off, s[0:3], 0 offset:448
	buffer_load_dword v42, off, s[0:3], 0 offset:456
	buffer_load_dword v43, off, s[0:3], 0 offset:464
	buffer_load_dword v44, off, s[0:3], 0 offset:472
	buffer_load_dword v45, off, s[0:3], 0 offset:480
	buffer_load_dword v46, off, s[0:3], 0 offset:488
	buffer_load_dword v47, off, s[0:3], 0 offset:400
	buffer_load_dword v48, off, s[0:3], 0 offset:404
	v_mov_b32_e32 v1, 0
	ds_read2_b64 v[2:5], v1 offset0:113 offset1:114
	ds_read2_b64 v[6:9], v1 offset0:115 offset1:116
	;; [unrolled: 1-line block ×5, first 2 shown]
	ds_read_b64 v[22:23], v1 offset:984
	v_cmp_lt_u32_e32 vcc, 49, v0
	s_waitcnt vmcnt(23) lgkmcnt(5)
	v_mul_f32_e32 v49, v2, v24
	v_mul_f32_e32 v24, v3, v24
	s_waitcnt vmcnt(22)
	v_mul_f32_e32 v50, v4, v26
	v_mul_f32_e32 v26, v5, v26
	s_waitcnt vmcnt(21) lgkmcnt(4)
	v_mul_f32_e32 v51, v6, v27
	v_mul_f32_e32 v27, v7, v27
	s_waitcnt vmcnt(20)
	v_mul_f32_e32 v52, v8, v28
	s_waitcnt vmcnt(19) lgkmcnt(3)
	v_mul_f32_e32 v53, v10, v29
	v_mul_f32_e32 v28, v9, v28
	;; [unrolled: 1-line block ×3, first 2 shown]
	s_waitcnt vmcnt(18)
	v_mul_f32_e32 v54, v12, v30
	s_waitcnt vmcnt(12)
	v_fma_f32 v2, v2, v36, -v24
	v_fmac_f32_e32 v49, v3, v36
	s_waitcnt vmcnt(11)
	v_fma_f32 v3, v4, v37, -v26
	v_add_f32_e32 v2, 0, v2
	s_waitcnt vmcnt(10)
	v_fma_f32 v4, v6, v38, -v27
	v_add_f32_e32 v2, v2, v3
	v_fmac_f32_e32 v50, v5, v37
	s_waitcnt vmcnt(8)
	v_fmac_f32_e32 v53, v11, v40
	v_fma_f32 v5, v8, v39, -v28
	v_add_f32_e32 v11, 0, v49
	v_add_f32_e32 v2, v2, v4
	v_mul_f32_e32 v30, v13, v30
	v_fmac_f32_e32 v51, v7, v38
	v_fma_f32 v6, v10, v40, -v29
	v_add_f32_e32 v11, v11, v50
	v_add_f32_e32 v2, v2, v5
	s_waitcnt lgkmcnt(2)
	v_mul_f32_e32 v55, v14, v31
	v_mul_f32_e32 v31, v15, v31
	v_fmac_f32_e32 v52, v9, v39
	s_waitcnt vmcnt(7)
	v_fma_f32 v7, v12, v41, -v30
	v_add_f32_e32 v3, v11, v51
	v_add_f32_e32 v2, v2, v6
	v_mul_f32_e32 v56, v16, v32
	v_mul_f32_e32 v32, v17, v32
	s_waitcnt vmcnt(6)
	v_fma_f32 v8, v14, v42, -v31
	v_add_f32_e32 v3, v3, v52
	v_add_f32_e32 v2, v2, v7
	s_waitcnt lgkmcnt(1)
	v_mul_f32_e32 v57, v18, v33
	v_mul_f32_e32 v33, v19, v33
	v_fmac_f32_e32 v54, v13, v41
	s_waitcnt vmcnt(5)
	v_fma_f32 v9, v16, v43, -v32
	v_add_f32_e32 v3, v3, v53
	v_add_f32_e32 v2, v2, v8
	v_fmac_f32_e32 v55, v15, v42
	s_waitcnt vmcnt(4)
	v_fma_f32 v10, v18, v44, -v33
	v_add_f32_e32 v3, v3, v54
	v_add_f32_e32 v2, v2, v9
	v_mul_f32_e32 v4, v21, v34
	v_fmac_f32_e32 v56, v17, v43
	v_add_f32_e32 v3, v3, v55
	v_add_f32_e32 v2, v2, v10
	s_waitcnt vmcnt(3)
	v_fma_f32 v4, v20, v45, -v4
	v_mul_f32_e32 v58, v20, v34
	v_fmac_f32_e32 v57, v19, v44
	v_add_f32_e32 v3, v3, v56
	v_add_f32_e32 v2, v2, v4
	s_waitcnt lgkmcnt(0)
	v_mul_f32_e32 v4, v23, v35
	v_mul_f32_e32 v59, v22, v35
	v_fmac_f32_e32 v58, v21, v45
	v_add_f32_e32 v3, v3, v57
	s_waitcnt vmcnt(2)
	v_fma_f32 v4, v22, v46, -v4
	v_fmac_f32_e32 v59, v23, v46
	v_add_f32_e32 v3, v3, v58
	v_add_f32_e32 v2, v2, v4
	;; [unrolled: 1-line block ×3, first 2 shown]
	s_waitcnt vmcnt(1)
	v_sub_f32_e32 v2, v47, v2
	s_waitcnt vmcnt(0)
	v_sub_f32_e32 v3, v48, v3
	buffer_store_dword v2, off, s[0:3], 0 offset:400
	buffer_store_dword v3, off, s[0:3], 0 offset:404
	s_and_saveexec_b64 s[4:5], vcc
	s_cbranch_execz .LBB125_287
; %bb.286:
	buffer_load_dword v2, off, s[0:3], 0 offset:392
	buffer_load_dword v3, off, s[0:3], 0 offset:396
	s_waitcnt vmcnt(0)
	ds_write_b64 v25, v[2:3]
	buffer_store_dword v1, off, s[0:3], 0 offset:392
	buffer_store_dword v1, off, s[0:3], 0 offset:396
.LBB125_287:
	s_or_b64 exec, exec, s[4:5]
	s_waitcnt lgkmcnt(0)
	; wave barrier
	buffer_load_dword v22, off, s[0:3], 0 offset:404
	buffer_load_dword v23, off, s[0:3], 0 offset:412
	;; [unrolled: 1-line block ×26, first 2 shown]
	ds_read_b128 v[2:5], v1 offset:896
	ds_read_b128 v[6:9], v1 offset:912
	;; [unrolled: 1-line block ×6, first 2 shown]
	v_cmp_lt_u32_e32 vcc, 48, v0
	s_waitcnt vmcnt(25) lgkmcnt(5)
	v_mul_f32_e32 v1, v2, v22
	v_mul_f32_e32 v22, v3, v22
	s_waitcnt vmcnt(24)
	v_mul_f32_e32 v53, v4, v23
	v_mul_f32_e32 v23, v5, v23
	s_waitcnt vmcnt(23) lgkmcnt(4)
	v_mul_f32_e32 v54, v6, v24
	v_mul_f32_e32 v24, v7, v24
	s_waitcnt vmcnt(22)
	v_mul_f32_e32 v55, v8, v30
	v_mul_f32_e32 v30, v9, v30
	;; [unrolled: 6-line block ×3, first 2 shown]
	s_waitcnt vmcnt(13)
	v_fma_f32 v2, v2, v39, -v22
	v_fmac_f32_e32 v1, v3, v39
	s_waitcnt vmcnt(12)
	v_fma_f32 v3, v4, v40, -v23
	v_add_f32_e32 v2, 0, v2
	s_waitcnt vmcnt(11)
	v_fma_f32 v4, v6, v41, -v24
	v_add_f32_e32 v2, v2, v3
	v_fmac_f32_e32 v53, v5, v40
	s_waitcnt vmcnt(10)
	v_fma_f32 v5, v8, v42, -v30
	v_add_f32_e32 v2, v2, v4
	s_waitcnt vmcnt(9)
	v_fma_f32 v6, v10, v43, -v31
	v_add_f32_e32 v2, v2, v5
	s_waitcnt lgkmcnt(2)
	v_mul_f32_e32 v58, v14, v33
	v_mul_f32_e32 v33, v15, v33
	v_fmac_f32_e32 v54, v7, v41
	s_waitcnt vmcnt(8)
	v_fma_f32 v7, v12, v44, -v32
	v_add_f32_e32 v1, 0, v1
	v_add_f32_e32 v2, v2, v6
	v_mul_f32_e32 v59, v16, v34
	v_mul_f32_e32 v34, v17, v34
	s_waitcnt vmcnt(7)
	v_fma_f32 v8, v14, v45, -v33
	v_add_f32_e32 v1, v1, v53
	v_add_f32_e32 v2, v2, v7
	v_fmac_f32_e32 v55, v9, v42
	s_waitcnt vmcnt(6)
	v_fma_f32 v9, v16, v46, -v34
	v_add_f32_e32 v1, v1, v54
	v_add_f32_e32 v2, v2, v8
	s_waitcnt lgkmcnt(1)
	v_mul_f32_e32 v3, v19, v35
	v_fmac_f32_e32 v56, v11, v43
	v_add_f32_e32 v1, v1, v55
	v_add_f32_e32 v2, v2, v9
	s_waitcnt vmcnt(5)
	v_fma_f32 v3, v18, v47, -v3
	v_fmac_f32_e32 v57, v13, v44
	v_add_f32_e32 v1, v1, v56
	v_add_f32_e32 v2, v2, v3
	v_mul_f32_e32 v3, v21, v36
	v_fmac_f32_e32 v58, v15, v45
	v_add_f32_e32 v1, v1, v57
	s_waitcnt vmcnt(4)
	v_fma_f32 v3, v20, v48, -v3
	v_mul_f32_e32 v60, v18, v35
	v_fmac_f32_e32 v59, v17, v46
	v_add_f32_e32 v1, v1, v58
	v_add_f32_e32 v2, v2, v3
	s_waitcnt lgkmcnt(0)
	v_mul_f32_e32 v3, v27, v37
	v_mul_f32_e32 v61, v20, v36
	v_fmac_f32_e32 v60, v19, v47
	v_add_f32_e32 v1, v1, v59
	s_waitcnt vmcnt(3)
	v_fma_f32 v3, v26, v49, -v3
	v_mul_f32_e32 v62, v26, v37
	v_fmac_f32_e32 v61, v21, v48
	v_add_f32_e32 v1, v1, v60
	v_add_f32_e32 v2, v2, v3
	v_mul_f32_e32 v3, v29, v38
	v_mul_f32_e32 v63, v28, v38
	v_fmac_f32_e32 v62, v27, v49
	v_add_f32_e32 v1, v1, v61
	s_waitcnt vmcnt(2)
	v_fma_f32 v3, v28, v50, -v3
	v_fmac_f32_e32 v63, v29, v50
	v_add_f32_e32 v1, v1, v62
	v_add_f32_e32 v2, v2, v3
	;; [unrolled: 1-line block ×3, first 2 shown]
	s_waitcnt vmcnt(1)
	v_sub_f32_e32 v2, v51, v2
	s_waitcnt vmcnt(0)
	v_sub_f32_e32 v1, v52, v1
	buffer_store_dword v2, off, s[0:3], 0 offset:392
	buffer_store_dword v1, off, s[0:3], 0 offset:396
	s_and_saveexec_b64 s[4:5], vcc
	s_cbranch_execz .LBB125_289
; %bb.288:
	buffer_load_dword v1, off, s[0:3], 0 offset:384
	buffer_load_dword v2, off, s[0:3], 0 offset:388
	v_mov_b32_e32 v3, 0
	buffer_store_dword v3, off, s[0:3], 0 offset:384
	buffer_store_dword v3, off, s[0:3], 0 offset:388
	s_waitcnt vmcnt(2)
	ds_write_b64 v25, v[1:2]
.LBB125_289:
	s_or_b64 exec, exec, s[4:5]
	s_waitcnt lgkmcnt(0)
	; wave barrier
	buffer_load_dword v24, off, s[0:3], 0 offset:396
	buffer_load_dword v30, off, s[0:3], 0 offset:404
	buffer_load_dword v31, off, s[0:3], 0 offset:412
	buffer_load_dword v32, off, s[0:3], 0 offset:420
	buffer_load_dword v33, off, s[0:3], 0 offset:428
	buffer_load_dword v34, off, s[0:3], 0 offset:436
	buffer_load_dword v35, off, s[0:3], 0 offset:444
	buffer_load_dword v36, off, s[0:3], 0 offset:452
	buffer_load_dword v37, off, s[0:3], 0 offset:460
	buffer_load_dword v38, off, s[0:3], 0 offset:468
	buffer_load_dword v39, off, s[0:3], 0 offset:476
	buffer_load_dword v40, off, s[0:3], 0 offset:484
	buffer_load_dword v41, off, s[0:3], 0 offset:492
	buffer_load_dword v42, off, s[0:3], 0 offset:392
	buffer_load_dword v43, off, s[0:3], 0 offset:400
	buffer_load_dword v44, off, s[0:3], 0 offset:408
	buffer_load_dword v45, off, s[0:3], 0 offset:416
	buffer_load_dword v46, off, s[0:3], 0 offset:424
	buffer_load_dword v47, off, s[0:3], 0 offset:432
	buffer_load_dword v48, off, s[0:3], 0 offset:440
	buffer_load_dword v49, off, s[0:3], 0 offset:448
	buffer_load_dword v50, off, s[0:3], 0 offset:456
	buffer_load_dword v51, off, s[0:3], 0 offset:464
	buffer_load_dword v52, off, s[0:3], 0 offset:472
	buffer_load_dword v53, off, s[0:3], 0 offset:480
	buffer_load_dword v54, off, s[0:3], 0 offset:488
	buffer_load_dword v55, off, s[0:3], 0 offset:384
	buffer_load_dword v56, off, s[0:3], 0 offset:388
	v_mov_b32_e32 v1, 0
	ds_read2_b64 v[2:5], v1 offset0:111 offset1:112
	ds_read2_b64 v[6:9], v1 offset0:113 offset1:114
	;; [unrolled: 1-line block ×6, first 2 shown]
	ds_read_b64 v[22:23], v1 offset:984
	v_cmp_lt_u32_e32 vcc, 47, v0
	s_waitcnt vmcnt(27) lgkmcnt(6)
	v_mul_f32_e32 v57, v2, v24
	v_mul_f32_e32 v24, v3, v24
	s_waitcnt vmcnt(26)
	v_mul_f32_e32 v58, v4, v30
	v_mul_f32_e32 v30, v5, v30
	s_waitcnt vmcnt(25) lgkmcnt(5)
	v_mul_f32_e32 v59, v6, v31
	v_mul_f32_e32 v31, v7, v31
	s_waitcnt vmcnt(24)
	v_mul_f32_e32 v60, v8, v32
	v_mul_f32_e32 v32, v9, v32
	;; [unrolled: 6-line block ×3, first 2 shown]
	s_waitcnt vmcnt(21) lgkmcnt(3)
	v_mul_f32_e32 v63, v14, v35
	s_waitcnt vmcnt(14)
	v_fma_f32 v2, v2, v42, -v24
	v_fmac_f32_e32 v57, v3, v42
	s_waitcnt vmcnt(13)
	v_fma_f32 v3, v4, v43, -v30
	v_add_f32_e32 v2, 0, v2
	s_waitcnt vmcnt(12)
	v_fma_f32 v4, v6, v44, -v31
	v_add_f32_e32 v2, v2, v3
	v_fmac_f32_e32 v58, v5, v43
	s_waitcnt vmcnt(11)
	v_fma_f32 v5, v8, v45, -v32
	v_add_f32_e32 v2, v2, v4
	s_waitcnt vmcnt(10)
	v_fma_f32 v6, v10, v46, -v33
	v_add_f32_e32 v2, v2, v5
	v_fmac_f32_e32 v59, v7, v44
	s_waitcnt vmcnt(9)
	v_fma_f32 v7, v12, v47, -v34
	v_add_f32_e32 v2, v2, v6
	v_mul_f32_e32 v4, v15, v35
	v_add_f32_e32 v2, v2, v7
	s_waitcnt vmcnt(8)
	v_fma_f32 v4, v14, v48, -v4
	v_add_f32_e32 v2, v2, v4
	v_mul_f32_e32 v4, v17, v36
	v_add_f32_e32 v8, 0, v57
	s_waitcnt vmcnt(7)
	v_fma_f32 v4, v16, v49, -v4
	v_add_f32_e32 v8, v8, v58
	v_add_f32_e32 v2, v2, v4
	s_waitcnt lgkmcnt(2)
	v_mul_f32_e32 v4, v19, v37
	v_fmac_f32_e32 v60, v9, v45
	v_add_f32_e32 v3, v8, v59
	s_waitcnt vmcnt(6)
	v_fma_f32 v4, v18, v50, -v4
	v_fmac_f32_e32 v61, v11, v46
	v_add_f32_e32 v3, v3, v60
	v_add_f32_e32 v2, v2, v4
	v_mul_f32_e32 v4, v21, v38
	v_fmac_f32_e32 v62, v13, v47
	v_add_f32_e32 v3, v3, v61
	s_waitcnt vmcnt(5)
	v_fma_f32 v4, v20, v51, -v4
	v_mul_f32_e32 v64, v16, v36
	v_fmac_f32_e32 v63, v15, v48
	v_add_f32_e32 v3, v3, v62
	v_add_f32_e32 v2, v2, v4
	s_waitcnt lgkmcnt(1)
	v_mul_f32_e32 v4, v27, v39
	v_mul_f32_e32 v65, v18, v37
	v_fmac_f32_e32 v64, v17, v49
	v_add_f32_e32 v3, v3, v63
	s_waitcnt vmcnt(4)
	v_fma_f32 v4, v26, v52, -v4
	v_mul_f32_e32 v66, v20, v38
	v_fmac_f32_e32 v65, v19, v50
	v_add_f32_e32 v3, v3, v64
	v_add_f32_e32 v2, v2, v4
	v_mul_f32_e32 v4, v29, v40
	v_mul_f32_e32 v67, v26, v39
	v_fmac_f32_e32 v66, v21, v51
	v_add_f32_e32 v3, v3, v65
	s_waitcnt vmcnt(3)
	v_fma_f32 v4, v28, v53, -v4
	v_mul_f32_e32 v68, v28, v40
	v_fmac_f32_e32 v67, v27, v52
	v_add_f32_e32 v3, v3, v66
	v_add_f32_e32 v2, v2, v4
	s_waitcnt lgkmcnt(0)
	v_mul_f32_e32 v4, v23, v41
	v_mul_f32_e32 v69, v22, v41
	v_fmac_f32_e32 v68, v29, v53
	v_add_f32_e32 v3, v3, v67
	s_waitcnt vmcnt(2)
	v_fma_f32 v4, v22, v54, -v4
	v_fmac_f32_e32 v69, v23, v54
	v_add_f32_e32 v3, v3, v68
	v_add_f32_e32 v2, v2, v4
	;; [unrolled: 1-line block ×3, first 2 shown]
	s_waitcnt vmcnt(1)
	v_sub_f32_e32 v2, v55, v2
	s_waitcnt vmcnt(0)
	v_sub_f32_e32 v3, v56, v3
	buffer_store_dword v2, off, s[0:3], 0 offset:384
	buffer_store_dword v3, off, s[0:3], 0 offset:388
	s_and_saveexec_b64 s[4:5], vcc
	s_cbranch_execz .LBB125_291
; %bb.290:
	buffer_load_dword v2, off, s[0:3], 0 offset:376
	buffer_load_dword v3, off, s[0:3], 0 offset:380
	s_waitcnt vmcnt(0)
	ds_write_b64 v25, v[2:3]
	buffer_store_dword v1, off, s[0:3], 0 offset:376
	buffer_store_dword v1, off, s[0:3], 0 offset:380
.LBB125_291:
	s_or_b64 exec, exec, s[4:5]
	s_waitcnt lgkmcnt(0)
	; wave barrier
	buffer_load_dword v22, off, s[0:3], 0 offset:388
	buffer_load_dword v23, off, s[0:3], 0 offset:396
	;; [unrolled: 1-line block ×30, first 2 shown]
	ds_read_b128 v[2:5], v1 offset:880
	ds_read_b128 v[6:9], v1 offset:896
	;; [unrolled: 1-line block ×7, first 2 shown]
	v_cmp_lt_u32_e32 vcc, 46, v0
	s_waitcnt vmcnt(29) lgkmcnt(6)
	v_mul_f32_e32 v1, v2, v22
	v_mul_f32_e32 v22, v3, v22
	s_waitcnt vmcnt(28)
	v_mul_f32_e32 v61, v4, v23
	v_mul_f32_e32 v23, v5, v23
	s_waitcnt vmcnt(27) lgkmcnt(5)
	v_mul_f32_e32 v62, v6, v24
	v_mul_f32_e32 v24, v7, v24
	s_waitcnt vmcnt(26)
	v_mul_f32_e32 v63, v8, v34
	v_mul_f32_e32 v34, v9, v34
	s_waitcnt vmcnt(25) lgkmcnt(4)
	v_mul_f32_e32 v64, v10, v35
	v_mul_f32_e32 v35, v11, v35
	s_waitcnt vmcnt(24)
	v_mul_f32_e32 v65, v12, v36
	s_waitcnt vmcnt(23) lgkmcnt(3)
	v_mul_f32_e32 v66, v14, v37
	s_waitcnt vmcnt(22)
	v_mul_f32_e32 v67, v16, v38
	s_waitcnt vmcnt(21) lgkmcnt(2)
	v_mul_f32_e32 v68, v18, v39
	s_waitcnt vmcnt(15)
	v_fma_f32 v2, v2, v45, -v22
	v_fmac_f32_e32 v1, v3, v45
	s_waitcnt vmcnt(14)
	v_fma_f32 v3, v4, v46, -v23
	v_add_f32_e32 v2, 0, v2
	s_waitcnt vmcnt(13)
	v_fma_f32 v4, v6, v47, -v24
	v_add_f32_e32 v2, v2, v3
	v_fmac_f32_e32 v61, v5, v46
	s_waitcnt vmcnt(12)
	v_fma_f32 v5, v8, v48, -v34
	v_add_f32_e32 v2, v2, v4
	s_waitcnt vmcnt(11)
	v_fma_f32 v6, v10, v49, -v35
	v_add_f32_e32 v2, v2, v5
	v_mul_f32_e32 v3, v13, v36
	v_add_f32_e32 v2, v2, v6
	s_waitcnt vmcnt(10)
	v_fma_f32 v3, v12, v50, -v3
	v_add_f32_e32 v2, v2, v3
	v_mul_f32_e32 v3, v15, v37
	s_waitcnt vmcnt(9)
	v_fma_f32 v3, v14, v51, -v3
	v_add_f32_e32 v2, v2, v3
	v_mul_f32_e32 v3, v17, v38
	s_waitcnt vmcnt(8)
	v_fma_f32 v3, v16, v52, -v3
	v_add_f32_e32 v1, 0, v1
	v_add_f32_e32 v2, v2, v3
	v_mul_f32_e32 v3, v19, v39
	v_fmac_f32_e32 v62, v7, v47
	v_add_f32_e32 v1, v1, v61
	s_waitcnt vmcnt(7)
	v_fma_f32 v3, v18, v53, -v3
	v_fmac_f32_e32 v63, v9, v48
	v_add_f32_e32 v1, v1, v62
	v_add_f32_e32 v2, v2, v3
	v_mul_f32_e32 v3, v21, v40
	v_fmac_f32_e32 v64, v11, v49
	v_add_f32_e32 v1, v1, v63
	s_waitcnt vmcnt(6)
	v_fma_f32 v3, v20, v54, -v3
	v_fmac_f32_e32 v65, v13, v50
	v_add_f32_e32 v1, v1, v64
	v_add_f32_e32 v2, v2, v3
	s_waitcnt lgkmcnt(1)
	v_mul_f32_e32 v3, v27, v41
	v_fmac_f32_e32 v66, v15, v51
	v_add_f32_e32 v1, v1, v65
	s_waitcnt vmcnt(5)
	v_fma_f32 v3, v26, v55, -v3
	v_fmac_f32_e32 v67, v17, v52
	v_add_f32_e32 v1, v1, v66
	v_add_f32_e32 v2, v2, v3
	v_mul_f32_e32 v3, v29, v42
	v_mul_f32_e32 v69, v20, v40
	v_fmac_f32_e32 v68, v19, v53
	v_add_f32_e32 v1, v1, v67
	s_waitcnt vmcnt(4)
	v_fma_f32 v3, v28, v56, -v3
	v_mul_f32_e32 v70, v26, v41
	v_fmac_f32_e32 v69, v21, v54
	v_add_f32_e32 v1, v1, v68
	v_add_f32_e32 v2, v2, v3
	s_waitcnt lgkmcnt(0)
	v_mul_f32_e32 v3, v31, v43
	v_mul_f32_e32 v71, v28, v42
	v_fmac_f32_e32 v70, v27, v55
	v_add_f32_e32 v1, v1, v69
	s_waitcnt vmcnt(3)
	v_fma_f32 v3, v30, v57, -v3
	v_mul_f32_e32 v72, v30, v43
	v_fmac_f32_e32 v71, v29, v56
	v_add_f32_e32 v1, v1, v70
	v_add_f32_e32 v2, v2, v3
	v_mul_f32_e32 v3, v33, v44
	v_mul_f32_e32 v73, v32, v44
	v_fmac_f32_e32 v72, v31, v57
	v_add_f32_e32 v1, v1, v71
	s_waitcnt vmcnt(2)
	v_fma_f32 v3, v32, v58, -v3
	v_fmac_f32_e32 v73, v33, v58
	v_add_f32_e32 v1, v1, v72
	v_add_f32_e32 v2, v2, v3
	;; [unrolled: 1-line block ×3, first 2 shown]
	s_waitcnt vmcnt(1)
	v_sub_f32_e32 v2, v59, v2
	s_waitcnt vmcnt(0)
	v_sub_f32_e32 v1, v60, v1
	buffer_store_dword v2, off, s[0:3], 0 offset:376
	buffer_store_dword v1, off, s[0:3], 0 offset:380
	s_and_saveexec_b64 s[4:5], vcc
	s_cbranch_execz .LBB125_293
; %bb.292:
	buffer_load_dword v1, off, s[0:3], 0 offset:368
	buffer_load_dword v2, off, s[0:3], 0 offset:372
	v_mov_b32_e32 v3, 0
	buffer_store_dword v3, off, s[0:3], 0 offset:368
	buffer_store_dword v3, off, s[0:3], 0 offset:372
	s_waitcnt vmcnt(2)
	ds_write_b64 v25, v[1:2]
.LBB125_293:
	s_or_b64 exec, exec, s[4:5]
	s_waitcnt lgkmcnt(0)
	; wave barrier
	buffer_load_dword v24, off, s[0:3], 0 offset:380
	buffer_load_dword v34, off, s[0:3], 0 offset:388
	;; [unrolled: 1-line block ×32, first 2 shown]
	v_mov_b32_e32 v1, 0
	ds_read2_b64 v[2:5], v1 offset0:109 offset1:110
	ds_read2_b64 v[6:9], v1 offset0:111 offset1:112
	;; [unrolled: 1-line block ×7, first 2 shown]
	ds_read_b64 v[22:23], v1 offset:984
	v_cmp_lt_u32_e32 vcc, 45, v0
	s_waitcnt vmcnt(31) lgkmcnt(7)
	v_mul_f32_e32 v65, v2, v24
	v_mul_f32_e32 v24, v3, v24
	s_waitcnt vmcnt(30)
	v_mul_f32_e32 v66, v4, v34
	v_mul_f32_e32 v34, v5, v34
	s_waitcnt vmcnt(29) lgkmcnt(6)
	v_mul_f32_e32 v67, v6, v35
	v_mul_f32_e32 v35, v7, v35
	s_waitcnt vmcnt(28)
	v_mul_f32_e32 v68, v8, v36
	s_waitcnt vmcnt(27) lgkmcnt(5)
	v_mul_f32_e32 v69, v10, v37
	s_waitcnt vmcnt(26)
	v_mul_f32_e32 v70, v12, v38
	s_waitcnt vmcnt(25) lgkmcnt(4)
	v_mul_f32_e32 v71, v14, v39
	s_waitcnt vmcnt(24)
	v_mul_f32_e32 v72, v16, v40
	s_waitcnt vmcnt(23) lgkmcnt(3)
	v_mul_f32_e32 v73, v18, v41
	s_waitcnt vmcnt(22)
	v_mul_f32_e32 v74, v20, v42
	s_waitcnt vmcnt(21) lgkmcnt(2)
	v_mul_f32_e32 v75, v26, v43
	s_waitcnt vmcnt(20)
	v_mul_f32_e32 v76, v28, v44
	s_waitcnt vmcnt(16)
	v_fma_f32 v2, v2, v48, -v24
	v_fmac_f32_e32 v65, v3, v48
	s_waitcnt vmcnt(15)
	v_fma_f32 v3, v4, v49, -v34
	v_add_f32_e32 v2, 0, v2
	s_waitcnt vmcnt(14)
	v_fma_f32 v4, v6, v50, -v35
	v_add_f32_e32 v2, v2, v3
	v_add_f32_e32 v2, v2, v4
	v_mul_f32_e32 v4, v9, v36
	s_waitcnt vmcnt(13)
	v_fma_f32 v4, v8, v51, -v4
	v_add_f32_e32 v2, v2, v4
	v_mul_f32_e32 v4, v11, v37
	s_waitcnt vmcnt(12)
	v_fma_f32 v4, v10, v52, -v4
	;; [unrolled: 4-line block ×5, first 2 shown]
	v_add_f32_e32 v2, v2, v4
	v_mul_f32_e32 v4, v19, v41
	v_fmac_f32_e32 v66, v5, v49
	v_add_f32_e32 v5, 0, v65
	s_waitcnt vmcnt(8)
	v_fma_f32 v4, v18, v56, -v4
	v_fmac_f32_e32 v67, v7, v50
	v_add_f32_e32 v5, v5, v66
	v_add_f32_e32 v2, v2, v4
	v_mul_f32_e32 v4, v21, v42
	v_fmac_f32_e32 v68, v9, v51
	v_add_f32_e32 v3, v5, v67
	s_waitcnt vmcnt(7)
	v_fma_f32 v4, v20, v57, -v4
	v_fmac_f32_e32 v69, v11, v52
	v_add_f32_e32 v3, v3, v68
	;; [unrolled: 8-line block ×4, first 2 shown]
	v_add_f32_e32 v2, v2, v4
	s_waitcnt lgkmcnt(1)
	v_mul_f32_e32 v4, v31, v45
	v_fmac_f32_e32 v74, v21, v57
	v_add_f32_e32 v3, v3, v73
	s_waitcnt vmcnt(4)
	v_fma_f32 v4, v30, v60, -v4
	v_fmac_f32_e32 v75, v27, v58
	v_add_f32_e32 v3, v3, v74
	v_add_f32_e32 v2, v2, v4
	v_mul_f32_e32 v4, v33, v46
	v_mul_f32_e32 v77, v30, v45
	v_fmac_f32_e32 v76, v29, v59
	v_add_f32_e32 v3, v3, v75
	s_waitcnt vmcnt(3)
	v_fma_f32 v4, v32, v61, -v4
	v_mul_f32_e32 v78, v32, v46
	v_fmac_f32_e32 v77, v31, v60
	v_add_f32_e32 v3, v3, v76
	v_add_f32_e32 v2, v2, v4
	s_waitcnt lgkmcnt(0)
	v_mul_f32_e32 v4, v23, v47
	v_mul_f32_e32 v79, v22, v47
	v_fmac_f32_e32 v78, v33, v61
	v_add_f32_e32 v3, v3, v77
	s_waitcnt vmcnt(2)
	v_fma_f32 v4, v22, v62, -v4
	v_fmac_f32_e32 v79, v23, v62
	v_add_f32_e32 v3, v3, v78
	v_add_f32_e32 v2, v2, v4
	;; [unrolled: 1-line block ×3, first 2 shown]
	s_waitcnt vmcnt(1)
	v_sub_f32_e32 v2, v63, v2
	s_waitcnt vmcnt(0)
	v_sub_f32_e32 v3, v64, v3
	buffer_store_dword v2, off, s[0:3], 0 offset:368
	buffer_store_dword v3, off, s[0:3], 0 offset:372
	s_and_saveexec_b64 s[4:5], vcc
	s_cbranch_execz .LBB125_295
; %bb.294:
	buffer_load_dword v2, off, s[0:3], 0 offset:360
	buffer_load_dword v3, off, s[0:3], 0 offset:364
	s_waitcnt vmcnt(0)
	ds_write_b64 v25, v[2:3]
	buffer_store_dword v1, off, s[0:3], 0 offset:360
	buffer_store_dword v1, off, s[0:3], 0 offset:364
.LBB125_295:
	s_or_b64 exec, exec, s[4:5]
	s_waitcnt lgkmcnt(0)
	; wave barrier
	buffer_load_dword v22, off, s[0:3], 0 offset:372
	buffer_load_dword v23, off, s[0:3], 0 offset:380
	;; [unrolled: 1-line block ×34, first 2 shown]
	ds_read_b128 v[2:5], v1 offset:864
	ds_read_b128 v[6:9], v1 offset:880
	;; [unrolled: 1-line block ×8, first 2 shown]
	v_cmp_lt_u32_e32 vcc, 44, v0
	s_waitcnt vmcnt(33) lgkmcnt(7)
	v_mul_f32_e32 v1, v2, v22
	v_mul_f32_e32 v22, v3, v22
	s_waitcnt vmcnt(32)
	v_mul_f32_e32 v69, v4, v23
	v_mul_f32_e32 v23, v5, v23
	s_waitcnt vmcnt(31) lgkmcnt(6)
	v_mul_f32_e32 v70, v6, v24
	s_waitcnt vmcnt(30)
	v_mul_f32_e32 v71, v8, v38
	s_waitcnt vmcnt(29) lgkmcnt(5)
	v_mul_f32_e32 v72, v10, v39
	s_waitcnt vmcnt(28)
	;; [unrolled: 4-line block ×6, first 2 shown]
	v_mul_f32_e32 v81, v32, v48
	s_waitcnt vmcnt(17)
	v_fma_f32 v2, v2, v51, -v22
	v_fmac_f32_e32 v1, v3, v51
	s_waitcnt vmcnt(16)
	v_fma_f32 v3, v4, v52, -v23
	v_add_f32_e32 v2, 0, v2
	v_add_f32_e32 v2, v2, v3
	v_mul_f32_e32 v3, v7, v24
	s_waitcnt vmcnt(15)
	v_fma_f32 v3, v6, v53, -v3
	v_add_f32_e32 v2, v2, v3
	v_mul_f32_e32 v3, v9, v38
	s_waitcnt vmcnt(14)
	v_fma_f32 v3, v8, v54, -v3
	;; [unrolled: 4-line block ×7, first 2 shown]
	v_fmac_f32_e32 v69, v5, v52
	v_add_f32_e32 v1, 0, v1
	v_add_f32_e32 v2, v2, v3
	v_mul_f32_e32 v3, v21, v44
	v_fmac_f32_e32 v70, v7, v53
	v_add_f32_e32 v1, v1, v69
	s_waitcnt vmcnt(8)
	v_fma_f32 v3, v20, v60, -v3
	v_fmac_f32_e32 v71, v9, v54
	v_add_f32_e32 v1, v1, v70
	v_add_f32_e32 v2, v2, v3
	v_mul_f32_e32 v3, v27, v45
	v_fmac_f32_e32 v72, v11, v55
	v_add_f32_e32 v1, v1, v71
	s_waitcnt vmcnt(7)
	v_fma_f32 v3, v26, v61, -v3
	;; [unrolled: 8-line block ×5, first 2 shown]
	v_fmac_f32_e32 v79, v29, v62
	v_add_f32_e32 v1, v1, v78
	v_add_f32_e32 v2, v2, v3
	s_waitcnt lgkmcnt(0)
	v_mul_f32_e32 v3, v35, v49
	v_fmac_f32_e32 v80, v31, v63
	v_add_f32_e32 v1, v1, v79
	s_waitcnt vmcnt(3)
	v_fma_f32 v3, v34, v65, -v3
	v_mul_f32_e32 v82, v34, v49
	v_fmac_f32_e32 v81, v33, v64
	v_add_f32_e32 v1, v1, v80
	v_add_f32_e32 v2, v2, v3
	v_mul_f32_e32 v3, v37, v50
	v_mul_f32_e32 v83, v36, v50
	v_fmac_f32_e32 v82, v35, v65
	v_add_f32_e32 v1, v1, v81
	s_waitcnt vmcnt(2)
	v_fma_f32 v3, v36, v66, -v3
	v_fmac_f32_e32 v83, v37, v66
	v_add_f32_e32 v1, v1, v82
	v_add_f32_e32 v2, v2, v3
	;; [unrolled: 1-line block ×3, first 2 shown]
	s_waitcnt vmcnt(1)
	v_sub_f32_e32 v2, v67, v2
	s_waitcnt vmcnt(0)
	v_sub_f32_e32 v1, v68, v1
	buffer_store_dword v2, off, s[0:3], 0 offset:360
	buffer_store_dword v1, off, s[0:3], 0 offset:364
	s_and_saveexec_b64 s[4:5], vcc
	s_cbranch_execz .LBB125_297
; %bb.296:
	buffer_load_dword v1, off, s[0:3], 0 offset:352
	buffer_load_dword v2, off, s[0:3], 0 offset:356
	v_mov_b32_e32 v3, 0
	buffer_store_dword v3, off, s[0:3], 0 offset:352
	buffer_store_dword v3, off, s[0:3], 0 offset:356
	s_waitcnt vmcnt(2)
	ds_write_b64 v25, v[1:2]
.LBB125_297:
	s_or_b64 exec, exec, s[4:5]
	s_waitcnt lgkmcnt(0)
	; wave barrier
	buffer_load_dword v24, off, s[0:3], 0 offset:364
	buffer_load_dword v38, off, s[0:3], 0 offset:372
	;; [unrolled: 1-line block ×36, first 2 shown]
	v_mov_b32_e32 v1, 0
	ds_read2_b64 v[2:5], v1 offset0:107 offset1:108
	ds_read2_b64 v[6:9], v1 offset0:109 offset1:110
	;; [unrolled: 1-line block ×8, first 2 shown]
	ds_read_b64 v[22:23], v1 offset:984
	v_cmp_lt_u32_e32 vcc, 43, v0
	s_waitcnt vmcnt(35) lgkmcnt(8)
	v_mul_f32_e32 v73, v2, v24
	s_waitcnt vmcnt(34)
	v_mul_f32_e32 v74, v4, v38
	s_waitcnt vmcnt(33) lgkmcnt(7)
	v_mul_f32_e32 v75, v6, v39
	s_waitcnt vmcnt(32)
	v_mul_f32_e32 v76, v8, v40
	;; [unrolled: 4-line block ×8, first 2 shown]
	s_waitcnt vmcnt(19) lgkmcnt(0)
	v_mul_f32_e32 v89, v22, v53
	s_waitcnt vmcnt(18)
	v_fmac_f32_e32 v73, v3, v54
	v_mul_f32_e32 v3, v3, v24
	v_fma_f32 v2, v2, v54, -v3
	v_mul_f32_e32 v3, v5, v38
	v_add_f32_e32 v2, 0, v2
	s_waitcnt vmcnt(17)
	v_fma_f32 v3, v4, v55, -v3
	v_add_f32_e32 v2, v2, v3
	v_mul_f32_e32 v3, v7, v39
	s_waitcnt vmcnt(16)
	v_fma_f32 v3, v6, v56, -v3
	v_add_f32_e32 v2, v2, v3
	v_mul_f32_e32 v3, v9, v40
	;; [unrolled: 4-line block ×8, first 2 shown]
	v_fmac_f32_e32 v74, v5, v55
	v_add_f32_e32 v73, 0, v73
	s_waitcnt vmcnt(9)
	v_fma_f32 v3, v20, v63, -v3
	v_fmac_f32_e32 v75, v7, v56
	v_add_f32_e32 v73, v73, v74
	v_add_f32_e32 v2, v2, v3
	v_mul_f32_e32 v3, v27, v47
	v_fmac_f32_e32 v76, v9, v57
	v_add_f32_e32 v73, v73, v75
	s_waitcnt vmcnt(8)
	v_fma_f32 v3, v26, v64, -v3
	v_fmac_f32_e32 v77, v11, v58
	v_add_f32_e32 v73, v73, v76
	v_add_f32_e32 v2, v2, v3
	v_mul_f32_e32 v3, v29, v48
	;; [unrolled: 8-line block ×7, first 2 shown]
	v_fmac_f32_e32 v88, v37, v69
	v_add_f32_e32 v73, v73, v87
	s_waitcnt vmcnt(2)
	v_fma_f32 v3, v22, v70, -v3
	v_fmac_f32_e32 v89, v23, v70
	v_add_f32_e32 v73, v73, v88
	v_add_f32_e32 v2, v2, v3
	;; [unrolled: 1-line block ×3, first 2 shown]
	s_waitcnt vmcnt(1)
	v_sub_f32_e32 v2, v71, v2
	s_waitcnt vmcnt(0)
	v_sub_f32_e32 v3, v72, v73
	buffer_store_dword v2, off, s[0:3], 0 offset:352
	buffer_store_dword v3, off, s[0:3], 0 offset:356
	s_and_saveexec_b64 s[4:5], vcc
	s_cbranch_execz .LBB125_299
; %bb.298:
	buffer_load_dword v2, off, s[0:3], 0 offset:344
	buffer_load_dword v3, off, s[0:3], 0 offset:348
	s_waitcnt vmcnt(0)
	ds_write_b64 v25, v[2:3]
	buffer_store_dword v1, off, s[0:3], 0 offset:344
	buffer_store_dword v1, off, s[0:3], 0 offset:348
.LBB125_299:
	s_or_b64 exec, exec, s[4:5]
	s_waitcnt lgkmcnt(0)
	; wave barrier
	buffer_load_dword v22, off, s[0:3], 0 offset:356
	buffer_load_dword v23, off, s[0:3], 0 offset:364
	;; [unrolled: 1-line block ×38, first 2 shown]
	ds_read_b128 v[2:5], v1 offset:848
	ds_read_b128 v[6:9], v1 offset:864
	;; [unrolled: 1-line block ×9, first 2 shown]
	v_cmp_lt_u32_e32 vcc, 42, v0
	s_waitcnt vmcnt(37) lgkmcnt(8)
	v_mul_f32_e32 v1, v2, v22
	s_waitcnt vmcnt(36)
	v_mul_f32_e32 v77, v4, v23
	s_waitcnt vmcnt(35) lgkmcnt(7)
	v_mul_f32_e32 v78, v6, v24
	s_waitcnt vmcnt(34)
	v_mul_f32_e32 v79, v8, v42
	;; [unrolled: 4-line block ×8, first 2 shown]
	s_waitcnt vmcnt(21) lgkmcnt(0)
	v_mul_f32_e32 v92, v38, v55
	s_waitcnt vmcnt(20)
	v_fmac_f32_e32 v1, v3, v56
	v_mul_f32_e32 v3, v3, v22
	v_fma_f32 v2, v2, v56, -v3
	v_mul_f32_e32 v3, v5, v23
	v_add_f32_e32 v2, 0, v2
	s_waitcnt vmcnt(19)
	v_fma_f32 v3, v4, v57, -v3
	v_add_f32_e32 v2, v2, v3
	v_mul_f32_e32 v3, v7, v24
	s_waitcnt vmcnt(18)
	v_fma_f32 v3, v6, v58, -v3
	v_add_f32_e32 v2, v2, v3
	v_mul_f32_e32 v3, v9, v42
	;; [unrolled: 4-line block ×8, first 2 shown]
	s_waitcnt vmcnt(11)
	v_fma_f32 v3, v20, v65, -v3
	v_fmac_f32_e32 v77, v5, v57
	v_add_f32_e32 v1, 0, v1
	v_add_f32_e32 v2, v2, v3
	v_mul_f32_e32 v3, v27, v49
	v_fmac_f32_e32 v78, v7, v58
	v_add_f32_e32 v1, v1, v77
	s_waitcnt vmcnt(10)
	v_fma_f32 v3, v26, v66, -v3
	v_fmac_f32_e32 v79, v9, v59
	v_add_f32_e32 v1, v1, v78
	v_add_f32_e32 v2, v2, v3
	v_mul_f32_e32 v3, v29, v50
	v_fmac_f32_e32 v80, v11, v60
	v_add_f32_e32 v1, v1, v79
	;; [unrolled: 8-line block ×7, first 2 shown]
	s_waitcnt vmcnt(4)
	v_fma_f32 v3, v38, v72, -v3
	v_fmac_f32_e32 v91, v37, v71
	v_add_f32_e32 v1, v1, v90
	v_add_f32_e32 v2, v2, v3
	s_waitcnt vmcnt(3)
	v_mul_f32_e32 v3, v41, v73
	v_add_f32_e32 v1, v1, v91
	v_fmac_f32_e32 v92, v39, v72
	v_mul_f32_e32 v77, v40, v73
	s_waitcnt vmcnt(2)
	v_fma_f32 v3, v40, v74, -v3
	v_add_f32_e32 v1, v1, v92
	v_fmac_f32_e32 v77, v41, v74
	v_add_f32_e32 v2, v2, v3
	v_add_f32_e32 v1, v1, v77
	s_waitcnt vmcnt(1)
	v_sub_f32_e32 v2, v75, v2
	s_waitcnt vmcnt(0)
	v_sub_f32_e32 v1, v76, v1
	buffer_store_dword v2, off, s[0:3], 0 offset:344
	buffer_store_dword v1, off, s[0:3], 0 offset:348
	s_and_saveexec_b64 s[4:5], vcc
	s_cbranch_execz .LBB125_301
; %bb.300:
	buffer_load_dword v1, off, s[0:3], 0 offset:336
	buffer_load_dword v2, off, s[0:3], 0 offset:340
	v_mov_b32_e32 v3, 0
	buffer_store_dword v3, off, s[0:3], 0 offset:336
	buffer_store_dword v3, off, s[0:3], 0 offset:340
	s_waitcnt vmcnt(2)
	ds_write_b64 v25, v[1:2]
.LBB125_301:
	s_or_b64 exec, exec, s[4:5]
	s_waitcnt lgkmcnt(0)
	; wave barrier
	buffer_load_dword v24, off, s[0:3], 0 offset:348
	buffer_load_dword v42, off, s[0:3], 0 offset:356
	;; [unrolled: 1-line block ×40, first 2 shown]
	v_mov_b32_e32 v1, 0
	ds_read2_b64 v[2:5], v1 offset0:105 offset1:106
	ds_read2_b64 v[6:9], v1 offset0:107 offset1:108
	;; [unrolled: 1-line block ×9, first 2 shown]
	v_cmp_lt_u32_e32 vcc, 41, v0
	s_waitcnt vmcnt(39) lgkmcnt(8)
	v_mul_f32_e32 v22, v2, v24
	s_waitcnt vmcnt(38)
	v_mul_f32_e32 v23, v4, v42
	s_waitcnt vmcnt(37) lgkmcnt(7)
	v_mul_f32_e32 v81, v6, v43
	s_waitcnt vmcnt(36)
	v_mul_f32_e32 v82, v8, v44
	;; [unrolled: 4-line block ×7, first 2 shown]
	s_waitcnt vmcnt(25) lgkmcnt(1)
	v_mul_f32_e32 v93, v34, v55
	s_waitcnt vmcnt(24)
	v_fmac_f32_e32 v22, v3, v56
	v_mul_f32_e32 v3, v3, v24
	v_fma_f32 v2, v2, v56, -v3
	v_mul_f32_e32 v3, v5, v42
	v_add_f32_e32 v2, 0, v2
	s_waitcnt vmcnt(23)
	v_fma_f32 v3, v4, v57, -v3
	v_add_f32_e32 v2, v2, v3
	v_mul_f32_e32 v3, v7, v43
	s_waitcnt vmcnt(22)
	v_fma_f32 v3, v6, v58, -v3
	v_add_f32_e32 v2, v2, v3
	v_mul_f32_e32 v3, v9, v44
	;; [unrolled: 4-line block ×6, first 2 shown]
	s_waitcnt vmcnt(17)
	v_fma_f32 v3, v16, v63, -v3
	v_fmac_f32_e32 v23, v5, v57
	v_add_f32_e32 v22, 0, v22
	v_add_f32_e32 v2, v2, v3
	v_mul_f32_e32 v3, v19, v49
	v_fmac_f32_e32 v81, v7, v58
	v_add_f32_e32 v22, v22, v23
	s_waitcnt vmcnt(16)
	v_fma_f32 v3, v18, v64, -v3
	v_fmac_f32_e32 v82, v9, v59
	v_add_f32_e32 v22, v22, v81
	v_add_f32_e32 v2, v2, v3
	v_mul_f32_e32 v3, v21, v50
	v_fmac_f32_e32 v83, v11, v60
	v_add_f32_e32 v22, v22, v82
	;; [unrolled: 8-line block ×6, first 2 shown]
	s_waitcnt vmcnt(11)
	v_fma_f32 v3, v32, v69, -v3
	v_fmac_f32_e32 v92, v33, v69
	v_add_f32_e32 v22, v22, v91
	v_add_f32_e32 v2, v2, v3
	v_mul_f32_e32 v3, v35, v55
	s_waitcnt vmcnt(10)
	v_fmac_f32_e32 v93, v35, v70
	v_add_f32_e32 v22, v22, v92
	s_waitcnt vmcnt(9)
	v_mul_f32_e32 v23, v36, v71
	v_fma_f32 v3, v34, v70, -v3
	v_add_f32_e32 v22, v22, v93
	s_waitcnt vmcnt(8)
	v_fmac_f32_e32 v23, v37, v72
	v_add_f32_e32 v2, v2, v3
	v_mul_f32_e32 v3, v37, v71
	v_add_f32_e32 v81, v22, v23
	ds_read_b64 v[22:23], v1 offset:984
	v_fma_f32 v3, v36, v72, -v3
	v_add_f32_e32 v2, v2, v3
	s_waitcnt vmcnt(7) lgkmcnt(1)
	v_mul_f32_e32 v3, v39, v73
	v_mul_f32_e32 v82, v38, v73
	s_waitcnt vmcnt(6)
	v_fma_f32 v3, v38, v74, -v3
	v_fmac_f32_e32 v82, v39, v74
	v_add_f32_e32 v2, v2, v3
	s_waitcnt vmcnt(5)
	v_mul_f32_e32 v3, v41, v75
	v_add_f32_e32 v81, v81, v82
	v_mul_f32_e32 v82, v40, v75
	s_waitcnt vmcnt(4)
	v_fma_f32 v3, v40, v76, -v3
	v_fmac_f32_e32 v82, v41, v76
	v_add_f32_e32 v2, v2, v3
	s_waitcnt vmcnt(3) lgkmcnt(0)
	v_mul_f32_e32 v3, v23, v77
	v_add_f32_e32 v81, v81, v82
	v_mul_f32_e32 v82, v22, v77
	s_waitcnt vmcnt(2)
	v_fma_f32 v3, v22, v78, -v3
	v_fmac_f32_e32 v82, v23, v78
	v_add_f32_e32 v2, v2, v3
	v_add_f32_e32 v81, v81, v82
	s_waitcnt vmcnt(1)
	v_sub_f32_e32 v2, v79, v2
	s_waitcnt vmcnt(0)
	v_sub_f32_e32 v3, v80, v81
	buffer_store_dword v2, off, s[0:3], 0 offset:336
	buffer_store_dword v3, off, s[0:3], 0 offset:340
	s_and_saveexec_b64 s[4:5], vcc
	s_cbranch_execz .LBB125_303
; %bb.302:
	buffer_load_dword v2, off, s[0:3], 0 offset:328
	buffer_load_dword v3, off, s[0:3], 0 offset:332
	s_waitcnt vmcnt(0)
	ds_write_b64 v25, v[2:3]
	buffer_store_dword v1, off, s[0:3], 0 offset:328
	buffer_store_dword v1, off, s[0:3], 0 offset:332
.LBB125_303:
	s_or_b64 exec, exec, s[4:5]
	s_waitcnt lgkmcnt(0)
	; wave barrier
	buffer_load_dword v22, off, s[0:3], 0 offset:340
	buffer_load_dword v23, off, s[0:3], 0 offset:348
	;; [unrolled: 1-line block ×42, first 2 shown]
	ds_read_b128 v[2:5], v1 offset:832
	ds_read_b128 v[6:9], v1 offset:848
	ds_read_b128 v[10:13], v1 offset:864
	ds_read_b128 v[14:17], v1 offset:880
	ds_read_b128 v[18:21], v1 offset:896
	ds_read_b128 v[26:29], v1 offset:912
	ds_read_b128 v[30:33], v1 offset:928
	ds_read_b128 v[34:37], v1 offset:944
	v_cmp_lt_u32_e32 vcc, 40, v0
	s_waitcnt vmcnt(41) lgkmcnt(7)
	v_mul_f32_e32 v38, v2, v22
	s_waitcnt vmcnt(40)
	v_mul_f32_e32 v39, v4, v23
	s_waitcnt vmcnt(39) lgkmcnt(6)
	v_mul_f32_e32 v40, v6, v24
	s_waitcnt vmcnt(38)
	v_mul_f32_e32 v41, v8, v46
	;; [unrolled: 4-line block ×7, first 2 shown]
	s_waitcnt vmcnt(27) lgkmcnt(0)
	v_mul_f32_e32 v91, v34, v57
	s_waitcnt vmcnt(26)
	v_fmac_f32_e32 v38, v3, v58
	v_mul_f32_e32 v3, v3, v22
	v_fma_f32 v2, v2, v58, -v3
	v_mul_f32_e32 v3, v5, v23
	v_add_f32_e32 v2, 0, v2
	s_waitcnt vmcnt(25)
	v_fma_f32 v3, v4, v59, -v3
	v_add_f32_e32 v2, v2, v3
	v_mul_f32_e32 v3, v7, v24
	s_waitcnt vmcnt(24)
	v_fma_f32 v3, v6, v60, -v3
	v_add_f32_e32 v2, v2, v3
	v_mul_f32_e32 v3, v9, v46
	;; [unrolled: 4-line block ×5, first 2 shown]
	v_fmac_f32_e32 v39, v5, v59
	v_add_f32_e32 v38, 0, v38
	s_waitcnt vmcnt(20)
	v_fma_f32 v3, v14, v64, -v3
	v_fmac_f32_e32 v40, v7, v60
	v_add_f32_e32 v38, v38, v39
	v_add_f32_e32 v2, v2, v3
	v_mul_f32_e32 v3, v17, v50
	v_fmac_f32_e32 v41, v9, v61
	v_add_f32_e32 v38, v38, v40
	s_waitcnt vmcnt(19)
	v_fma_f32 v3, v16, v65, -v3
	v_fmac_f32_e32 v42, v11, v62
	v_add_f32_e32 v38, v38, v41
	v_add_f32_e32 v2, v2, v3
	v_mul_f32_e32 v3, v19, v51
	;; [unrolled: 8-line block ×5, first 2 shown]
	s_waitcnt vmcnt(15)
	v_fmac_f32_e32 v88, v29, v69
	v_add_f32_e32 v38, v38, v87
	v_fma_f32 v3, v28, v69, -v3
	s_waitcnt vmcnt(14)
	v_fmac_f32_e32 v89, v31, v70
	v_add_f32_e32 v38, v38, v88
	v_add_f32_e32 v2, v2, v3
	v_mul_f32_e32 v3, v31, v55
	s_waitcnt vmcnt(13)
	v_fmac_f32_e32 v90, v33, v71
	v_add_f32_e32 v38, v38, v89
	v_fma_f32 v3, v30, v70, -v3
	s_waitcnt vmcnt(12)
	v_fmac_f32_e32 v91, v35, v72
	v_add_f32_e32 v38, v38, v90
	v_add_f32_e32 v2, v2, v3
	v_mul_f32_e32 v3, v33, v56
	v_add_f32_e32 v42, v38, v91
	ds_read_b128 v[38:41], v1 offset:960
	v_fma_f32 v3, v32, v71, -v3
	v_add_f32_e32 v2, v2, v3
	v_mul_f32_e32 v3, v35, v57
	s_waitcnt vmcnt(11)
	v_mul_f32_e32 v43, v36, v73
	v_fma_f32 v3, v34, v72, -v3
	s_waitcnt vmcnt(10)
	v_fmac_f32_e32 v43, v37, v74
	v_add_f32_e32 v2, v2, v3
	v_mul_f32_e32 v3, v37, v73
	v_add_f32_e32 v85, v42, v43
	ds_read_b128 v[42:45], v1 offset:976
	v_fma_f32 v3, v36, v74, -v3
	v_add_f32_e32 v2, v2, v3
	s_waitcnt vmcnt(9) lgkmcnt(1)
	v_mul_f32_e32 v3, v39, v75
	v_mul_f32_e32 v1, v38, v75
	s_waitcnt vmcnt(8)
	v_fma_f32 v3, v38, v76, -v3
	v_fmac_f32_e32 v1, v39, v76
	v_add_f32_e32 v2, v2, v3
	s_waitcnt vmcnt(7)
	v_mul_f32_e32 v3, v41, v77
	v_add_f32_e32 v1, v85, v1
	v_mul_f32_e32 v85, v40, v77
	s_waitcnt vmcnt(6)
	v_fma_f32 v3, v40, v78, -v3
	v_fmac_f32_e32 v85, v41, v78
	v_add_f32_e32 v2, v2, v3
	s_waitcnt vmcnt(5) lgkmcnt(0)
	v_mul_f32_e32 v3, v43, v79
	v_add_f32_e32 v1, v1, v85
	v_mul_f32_e32 v85, v42, v79
	s_waitcnt vmcnt(4)
	v_fma_f32 v3, v42, v80, -v3
	v_fmac_f32_e32 v85, v43, v80
	v_add_f32_e32 v2, v2, v3
	s_waitcnt vmcnt(3)
	v_mul_f32_e32 v3, v45, v81
	v_add_f32_e32 v1, v1, v85
	v_mul_f32_e32 v85, v44, v81
	s_waitcnt vmcnt(2)
	v_fma_f32 v3, v44, v82, -v3
	v_fmac_f32_e32 v85, v45, v82
	v_add_f32_e32 v2, v2, v3
	v_add_f32_e32 v1, v1, v85
	s_waitcnt vmcnt(1)
	v_sub_f32_e32 v2, v83, v2
	s_waitcnt vmcnt(0)
	v_sub_f32_e32 v1, v84, v1
	buffer_store_dword v2, off, s[0:3], 0 offset:328
	buffer_store_dword v1, off, s[0:3], 0 offset:332
	s_and_saveexec_b64 s[4:5], vcc
	s_cbranch_execz .LBB125_305
; %bb.304:
	buffer_load_dword v1, off, s[0:3], 0 offset:320
	buffer_load_dword v2, off, s[0:3], 0 offset:324
	v_mov_b32_e32 v3, 0
	buffer_store_dword v3, off, s[0:3], 0 offset:320
	buffer_store_dword v3, off, s[0:3], 0 offset:324
	s_waitcnt vmcnt(2)
	ds_write_b64 v25, v[1:2]
.LBB125_305:
	s_or_b64 exec, exec, s[4:5]
	s_waitcnt lgkmcnt(0)
	; wave barrier
	buffer_load_dword v24, off, s[0:3], 0 offset:332
	buffer_load_dword v46, off, s[0:3], 0 offset:340
	;; [unrolled: 1-line block ×44, first 2 shown]
	v_mov_b32_e32 v1, 0
	ds_read2_b64 v[2:5], v1 offset0:103 offset1:104
	ds_read2_b64 v[6:9], v1 offset0:105 offset1:106
	;; [unrolled: 1-line block ×8, first 2 shown]
	v_cmp_lt_u32_e32 vcc, 39, v0
	s_waitcnt vmcnt(43) lgkmcnt(7)
	v_mul_f32_e32 v22, v2, v24
	s_waitcnt vmcnt(42)
	v_mul_f32_e32 v23, v4, v46
	s_waitcnt vmcnt(41) lgkmcnt(6)
	v_mul_f32_e32 v38, v6, v47
	s_waitcnt vmcnt(40)
	v_mul_f32_e32 v39, v8, v48
	;; [unrolled: 4-line block ×7, first 2 shown]
	s_waitcnt vmcnt(29)
	v_fmac_f32_e32 v22, v3, v59
	v_mul_f32_e32 v3, v3, v24
	v_fma_f32 v2, v2, v59, -v3
	v_mul_f32_e32 v3, v5, v46
	v_add_f32_e32 v2, 0, v2
	s_waitcnt vmcnt(28)
	v_fma_f32 v3, v4, v60, -v3
	v_add_f32_e32 v2, v2, v3
	v_mul_f32_e32 v3, v7, v47
	s_waitcnt vmcnt(27)
	v_fma_f32 v3, v6, v61, -v3
	v_add_f32_e32 v2, v2, v3
	v_mul_f32_e32 v3, v9, v48
	;; [unrolled: 4-line block ×6, first 2 shown]
	v_fmac_f32_e32 v23, v5, v60
	v_add_f32_e32 v22, 0, v22
	s_waitcnt vmcnt(22)
	v_fma_f32 v3, v16, v66, -v3
	v_fmac_f32_e32 v38, v7, v61
	v_add_f32_e32 v22, v22, v23
	v_add_f32_e32 v2, v2, v3
	v_mul_f32_e32 v3, v19, v53
	v_fmac_f32_e32 v39, v9, v62
	v_add_f32_e32 v22, v22, v38
	s_waitcnt vmcnt(21)
	v_fma_f32 v3, v18, v67, -v3
	v_fmac_f32_e32 v40, v11, v63
	v_add_f32_e32 v22, v22, v39
	v_add_f32_e32 v2, v2, v3
	v_mul_f32_e32 v3, v21, v54
	;; [unrolled: 8-line block ×5, first 2 shown]
	v_fmac_f32_e32 v90, v29, v70
	v_add_f32_e32 v22, v22, v89
	s_waitcnt vmcnt(17)
	v_fma_f32 v3, v30, v71, -v3
	v_fmac_f32_e32 v91, v31, v71
	v_add_f32_e32 v22, v22, v90
	ds_read2_b64 v[38:41], v1 offset0:119 offset1:120
	ds_read2_b64 v[42:45], v1 offset0:121 offset1:122
	v_add_f32_e32 v2, v2, v3
	v_mul_f32_e32 v3, v33, v58
	v_add_f32_e32 v22, v22, v91
	s_waitcnt vmcnt(16)
	v_fmac_f32_e32 v92, v33, v72
	s_waitcnt vmcnt(15) lgkmcnt(2)
	v_mul_f32_e32 v23, v34, v73
	v_fma_f32 v3, v32, v72, -v3
	v_add_f32_e32 v22, v22, v92
	s_waitcnt vmcnt(14)
	v_fmac_f32_e32 v23, v35, v74
	v_add_f32_e32 v2, v2, v3
	v_mul_f32_e32 v3, v35, v73
	v_add_f32_e32 v22, v22, v23
	s_waitcnt vmcnt(13)
	v_mul_f32_e32 v23, v36, v75
	v_fma_f32 v3, v34, v74, -v3
	s_waitcnt vmcnt(12)
	v_fmac_f32_e32 v23, v37, v76
	v_add_f32_e32 v2, v2, v3
	v_mul_f32_e32 v3, v37, v75
	v_add_f32_e32 v22, v22, v23
	s_waitcnt vmcnt(11) lgkmcnt(1)
	v_mul_f32_e32 v23, v38, v77
	v_fma_f32 v3, v36, v76, -v3
	s_waitcnt vmcnt(10)
	v_fmac_f32_e32 v23, v39, v78
	v_add_f32_e32 v2, v2, v3
	v_mul_f32_e32 v3, v39, v77
	v_add_f32_e32 v22, v22, v23
	s_waitcnt vmcnt(9)
	v_mul_f32_e32 v23, v40, v79
	v_fma_f32 v3, v38, v78, -v3
	s_waitcnt vmcnt(8)
	v_fmac_f32_e32 v23, v41, v80
	v_add_f32_e32 v2, v2, v3
	v_mul_f32_e32 v3, v41, v79
	v_add_f32_e32 v89, v22, v23
	ds_read_b64 v[22:23], v1 offset:984
	v_fma_f32 v3, v40, v80, -v3
	v_add_f32_e32 v2, v2, v3
	s_waitcnt vmcnt(7) lgkmcnt(1)
	v_mul_f32_e32 v3, v43, v81
	v_mul_f32_e32 v90, v42, v81
	s_waitcnt vmcnt(6)
	v_fma_f32 v3, v42, v82, -v3
	v_fmac_f32_e32 v90, v43, v82
	v_add_f32_e32 v2, v2, v3
	s_waitcnt vmcnt(5)
	v_mul_f32_e32 v3, v45, v83
	v_add_f32_e32 v89, v89, v90
	v_mul_f32_e32 v90, v44, v83
	s_waitcnt vmcnt(4)
	v_fma_f32 v3, v44, v84, -v3
	v_fmac_f32_e32 v90, v45, v84
	v_add_f32_e32 v2, v2, v3
	s_waitcnt vmcnt(3) lgkmcnt(0)
	v_mul_f32_e32 v3, v23, v85
	v_add_f32_e32 v89, v89, v90
	v_mul_f32_e32 v90, v22, v85
	s_waitcnt vmcnt(2)
	v_fma_f32 v3, v22, v86, -v3
	v_fmac_f32_e32 v90, v23, v86
	v_add_f32_e32 v2, v2, v3
	v_add_f32_e32 v89, v89, v90
	s_waitcnt vmcnt(1)
	v_sub_f32_e32 v2, v87, v2
	s_waitcnt vmcnt(0)
	v_sub_f32_e32 v3, v88, v89
	buffer_store_dword v2, off, s[0:3], 0 offset:320
	buffer_store_dword v3, off, s[0:3], 0 offset:324
	s_and_saveexec_b64 s[4:5], vcc
	s_cbranch_execz .LBB125_307
; %bb.306:
	buffer_load_dword v2, off, s[0:3], 0 offset:312
	buffer_load_dword v3, off, s[0:3], 0 offset:316
	s_waitcnt vmcnt(0)
	ds_write_b64 v25, v[2:3]
	buffer_store_dword v1, off, s[0:3], 0 offset:312
	buffer_store_dword v1, off, s[0:3], 0 offset:316
.LBB125_307:
	s_or_b64 exec, exec, s[4:5]
	s_waitcnt lgkmcnt(0)
	; wave barrier
	buffer_load_dword v22, off, s[0:3], 0 offset:324
	buffer_load_dword v23, off, s[0:3], 0 offset:332
	;; [unrolled: 1-line block ×46, first 2 shown]
	ds_read_b128 v[2:5], v1 offset:816
	ds_read_b128 v[6:9], v1 offset:832
	;; [unrolled: 1-line block ×8, first 2 shown]
	v_cmp_lt_u32_e32 vcc, 38, v0
	s_waitcnt vmcnt(45) lgkmcnt(7)
	v_mul_f32_e32 v38, v2, v22
	s_waitcnt vmcnt(44)
	v_mul_f32_e32 v39, v4, v23
	s_waitcnt vmcnt(43) lgkmcnt(6)
	v_mul_f32_e32 v40, v6, v24
	s_waitcnt vmcnt(42)
	v_mul_f32_e32 v41, v8, v50
	;; [unrolled: 4-line block ×6, first 2 shown]
	s_waitcnt vmcnt(33) lgkmcnt(1)
	v_mul_f32_e32 v93, v30, v59
	s_waitcnt vmcnt(32)
	v_fmac_f32_e32 v38, v3, v60
	v_mul_f32_e32 v3, v3, v22
	v_fma_f32 v2, v2, v60, -v3
	v_mul_f32_e32 v3, v5, v23
	v_add_f32_e32 v2, 0, v2
	s_waitcnt vmcnt(31)
	v_fma_f32 v3, v4, v61, -v3
	v_add_f32_e32 v2, v2, v3
	v_mul_f32_e32 v3, v7, v24
	s_waitcnt vmcnt(30)
	v_fma_f32 v3, v6, v62, -v3
	v_add_f32_e32 v2, v2, v3
	v_mul_f32_e32 v3, v9, v50
	;; [unrolled: 4-line block ×4, first 2 shown]
	v_fmac_f32_e32 v39, v5, v61
	v_add_f32_e32 v38, 0, v38
	s_waitcnt vmcnt(27)
	v_fma_f32 v3, v12, v65, -v3
	v_fmac_f32_e32 v40, v7, v62
	v_add_f32_e32 v38, v38, v39
	v_add_f32_e32 v2, v2, v3
	v_mul_f32_e32 v3, v15, v53
	v_fmac_f32_e32 v41, v9, v63
	v_add_f32_e32 v38, v38, v40
	s_waitcnt vmcnt(26)
	v_fma_f32 v3, v14, v66, -v3
	v_fmac_f32_e32 v42, v11, v64
	v_add_f32_e32 v38, v38, v41
	v_add_f32_e32 v2, v2, v3
	v_mul_f32_e32 v3, v17, v54
	;; [unrolled: 8-line block ×4, first 2 shown]
	s_waitcnt vmcnt(23)
	v_fmac_f32_e32 v47, v21, v69
	v_add_f32_e32 v38, v38, v46
	v_fma_f32 v3, v20, v69, -v3
	s_waitcnt vmcnt(22)
	v_fmac_f32_e32 v48, v27, v70
	v_add_f32_e32 v38, v38, v47
	v_add_f32_e32 v2, v2, v3
	v_mul_f32_e32 v3, v27, v57
	s_waitcnt vmcnt(21)
	v_fmac_f32_e32 v49, v29, v71
	v_add_f32_e32 v38, v38, v48
	v_fma_f32 v3, v26, v70, -v3
	s_waitcnt vmcnt(20)
	v_fmac_f32_e32 v93, v31, v72
	v_add_f32_e32 v38, v38, v49
	s_waitcnt vmcnt(19)
	v_mul_f32_e32 v39, v32, v73
	v_add_f32_e32 v2, v2, v3
	v_mul_f32_e32 v3, v29, v58
	v_add_f32_e32 v38, v38, v93
	s_waitcnt vmcnt(18)
	v_fmac_f32_e32 v39, v33, v74
	v_fma_f32 v3, v28, v71, -v3
	v_add_f32_e32 v38, v38, v39
	s_waitcnt vmcnt(17) lgkmcnt(0)
	v_mul_f32_e32 v39, v34, v75
	v_add_f32_e32 v2, v2, v3
	v_mul_f32_e32 v3, v31, v59
	s_waitcnt vmcnt(16)
	v_fmac_f32_e32 v39, v35, v76
	v_fma_f32 v3, v30, v72, -v3
	v_add_f32_e32 v42, v38, v39
	ds_read_b128 v[38:41], v1 offset:944
	v_add_f32_e32 v2, v2, v3
	v_mul_f32_e32 v3, v33, v73
	v_fma_f32 v3, v32, v74, -v3
	v_add_f32_e32 v2, v2, v3
	v_mul_f32_e32 v3, v35, v75
	s_waitcnt vmcnt(15)
	v_mul_f32_e32 v43, v36, v77
	v_fma_f32 v3, v34, v76, -v3
	s_waitcnt vmcnt(14)
	v_fmac_f32_e32 v43, v37, v78
	v_add_f32_e32 v2, v2, v3
	v_mul_f32_e32 v3, v37, v77
	v_add_f32_e32 v46, v42, v43
	ds_read_b128 v[42:45], v1 offset:960
	s_waitcnt vmcnt(13) lgkmcnt(1)
	v_mul_f32_e32 v47, v38, v79
	v_fma_f32 v3, v36, v78, -v3
	s_waitcnt vmcnt(12)
	v_fmac_f32_e32 v47, v39, v80
	v_add_f32_e32 v2, v2, v3
	v_mul_f32_e32 v3, v39, v79
	v_add_f32_e32 v46, v46, v47
	s_waitcnt vmcnt(11)
	v_mul_f32_e32 v47, v40, v81
	v_fma_f32 v3, v38, v80, -v3
	s_waitcnt vmcnt(10)
	v_fmac_f32_e32 v47, v41, v82
	v_add_f32_e32 v2, v2, v3
	v_mul_f32_e32 v3, v41, v81
	v_add_f32_e32 v93, v46, v47
	ds_read_b128 v[46:49], v1 offset:976
	v_fma_f32 v3, v40, v82, -v3
	v_add_f32_e32 v2, v2, v3
	s_waitcnt vmcnt(9) lgkmcnt(1)
	v_mul_f32_e32 v3, v43, v83
	v_mul_f32_e32 v94, v42, v83
	s_waitcnt vmcnt(8)
	v_fma_f32 v3, v42, v84, -v3
	v_fmac_f32_e32 v94, v43, v84
	v_add_f32_e32 v2, v2, v3
	s_waitcnt vmcnt(7)
	v_mul_f32_e32 v3, v45, v85
	v_add_f32_e32 v1, v93, v94
	v_mul_f32_e32 v93, v44, v85
	s_waitcnt vmcnt(6)
	v_fma_f32 v3, v44, v86, -v3
	v_fmac_f32_e32 v93, v45, v86
	v_add_f32_e32 v2, v2, v3
	s_waitcnt vmcnt(5) lgkmcnt(0)
	v_mul_f32_e32 v3, v47, v87
	v_add_f32_e32 v1, v1, v93
	v_mul_f32_e32 v93, v46, v87
	s_waitcnt vmcnt(4)
	v_fma_f32 v3, v46, v88, -v3
	v_fmac_f32_e32 v93, v47, v88
	v_add_f32_e32 v2, v2, v3
	s_waitcnt vmcnt(3)
	v_mul_f32_e32 v3, v49, v89
	v_add_f32_e32 v1, v1, v93
	v_mul_f32_e32 v93, v48, v89
	s_waitcnt vmcnt(2)
	v_fma_f32 v3, v48, v90, -v3
	v_fmac_f32_e32 v93, v49, v90
	v_add_f32_e32 v2, v2, v3
	v_add_f32_e32 v1, v1, v93
	s_waitcnt vmcnt(1)
	v_sub_f32_e32 v2, v91, v2
	s_waitcnt vmcnt(0)
	v_sub_f32_e32 v1, v92, v1
	buffer_store_dword v2, off, s[0:3], 0 offset:312
	buffer_store_dword v1, off, s[0:3], 0 offset:316
	s_and_saveexec_b64 s[4:5], vcc
	s_cbranch_execz .LBB125_309
; %bb.308:
	buffer_load_dword v1, off, s[0:3], 0 offset:304
	buffer_load_dword v2, off, s[0:3], 0 offset:308
	v_mov_b32_e32 v3, 0
	buffer_store_dword v3, off, s[0:3], 0 offset:304
	buffer_store_dword v3, off, s[0:3], 0 offset:308
	s_waitcnt vmcnt(2)
	ds_write_b64 v25, v[1:2]
.LBB125_309:
	s_or_b64 exec, exec, s[4:5]
	s_waitcnt lgkmcnt(0)
	; wave barrier
	buffer_load_dword v24, off, s[0:3], 0 offset:316
	buffer_load_dword v50, off, s[0:3], 0 offset:324
	;; [unrolled: 1-line block ×48, first 2 shown]
	v_mov_b32_e32 v1, 0
	ds_read2_b64 v[2:5], v1 offset0:101 offset1:102
	ds_read2_b64 v[6:9], v1 offset0:103 offset1:104
	;; [unrolled: 1-line block ×7, first 2 shown]
	v_cmp_lt_u32_e32 vcc, 37, v0
	ds_read2_b64 v[46:49], v1 offset0:121 offset1:122
	s_waitcnt vmcnt(47) lgkmcnt(7)
	v_mul_f32_e32 v22, v2, v24
	s_waitcnt vmcnt(46)
	v_mul_f32_e32 v23, v4, v50
	s_waitcnt vmcnt(45) lgkmcnt(6)
	v_mul_f32_e32 v34, v6, v51
	s_waitcnt vmcnt(44)
	v_mul_f32_e32 v35, v8, v52
	;; [unrolled: 4-line block ×6, first 2 shown]
	s_waitcnt vmcnt(35)
	v_fmac_f32_e32 v22, v3, v61
	v_mul_f32_e32 v3, v3, v24
	v_fma_f32 v2, v2, v61, -v3
	v_mul_f32_e32 v3, v5, v50
	v_add_f32_e32 v2, 0, v2
	s_waitcnt vmcnt(34)
	v_fma_f32 v3, v4, v62, -v3
	v_add_f32_e32 v2, v2, v3
	v_mul_f32_e32 v3, v7, v51
	s_waitcnt vmcnt(33)
	v_fma_f32 v3, v6, v63, -v3
	v_add_f32_e32 v2, v2, v3
	v_mul_f32_e32 v3, v9, v52
	;; [unrolled: 4-line block ×5, first 2 shown]
	v_fmac_f32_e32 v23, v5, v62
	v_add_f32_e32 v22, 0, v22
	s_waitcnt vmcnt(29)
	v_fma_f32 v3, v14, v67, -v3
	v_fmac_f32_e32 v34, v7, v63
	v_add_f32_e32 v22, v22, v23
	v_add_f32_e32 v2, v2, v3
	v_mul_f32_e32 v3, v17, v56
	v_fmac_f32_e32 v35, v9, v64
	v_add_f32_e32 v22, v22, v34
	s_waitcnt vmcnt(28)
	v_fma_f32 v3, v16, v68, -v3
	v_fmac_f32_e32 v36, v11, v65
	v_add_f32_e32 v22, v22, v35
	v_add_f32_e32 v2, v2, v3
	v_mul_f32_e32 v3, v19, v57
	;; [unrolled: 8-line block ×4, first 2 shown]
	v_fmac_f32_e32 v41, v21, v70
	v_add_f32_e32 v22, v22, v40
	s_waitcnt vmcnt(25)
	v_fma_f32 v3, v26, v71, -v3
	v_fmac_f32_e32 v42, v27, v71
	v_add_f32_e32 v22, v22, v41
	ds_read2_b64 v[34:37], v1 offset0:115 offset1:116
	ds_read2_b64 v[38:41], v1 offset0:117 offset1:118
	v_add_f32_e32 v2, v2, v3
	v_mul_f32_e32 v3, v29, v60
	s_waitcnt vmcnt(24)
	v_fmac_f32_e32 v43, v29, v72
	v_add_f32_e32 v22, v22, v42
	s_waitcnt vmcnt(23) lgkmcnt(3)
	v_mul_f32_e32 v23, v30, v73
	v_fma_f32 v3, v28, v72, -v3
	v_add_f32_e32 v22, v22, v43
	s_waitcnt vmcnt(22)
	v_fmac_f32_e32 v23, v31, v74
	v_add_f32_e32 v2, v2, v3
	v_mul_f32_e32 v3, v31, v73
	v_add_f32_e32 v22, v22, v23
	s_waitcnt vmcnt(21)
	v_mul_f32_e32 v23, v32, v75
	v_fma_f32 v3, v30, v74, -v3
	s_waitcnt vmcnt(20)
	v_fmac_f32_e32 v23, v33, v76
	v_add_f32_e32 v2, v2, v3
	v_mul_f32_e32 v3, v33, v75
	v_add_f32_e32 v22, v22, v23
	s_waitcnt vmcnt(19) lgkmcnt(1)
	v_mul_f32_e32 v23, v34, v77
	v_fma_f32 v3, v32, v76, -v3
	s_waitcnt vmcnt(18)
	v_fmac_f32_e32 v23, v35, v78
	v_add_f32_e32 v2, v2, v3
	v_mul_f32_e32 v3, v35, v77
	v_add_f32_e32 v22, v22, v23
	s_waitcnt vmcnt(17)
	v_mul_f32_e32 v23, v36, v79
	v_fma_f32 v3, v34, v78, -v3
	s_waitcnt vmcnt(16)
	v_fmac_f32_e32 v23, v37, v80
	ds_read2_b64 v[42:45], v1 offset0:119 offset1:120
	v_add_f32_e32 v2, v2, v3
	v_mul_f32_e32 v3, v37, v79
	v_add_f32_e32 v22, v22, v23
	s_waitcnt vmcnt(15) lgkmcnt(1)
	v_mul_f32_e32 v23, v38, v81
	v_fma_f32 v3, v36, v80, -v3
	s_waitcnt vmcnt(14)
	v_fmac_f32_e32 v23, v39, v82
	v_add_f32_e32 v2, v2, v3
	v_mul_f32_e32 v3, v39, v81
	v_add_f32_e32 v22, v22, v23
	s_waitcnt vmcnt(13)
	v_mul_f32_e32 v23, v40, v83
	v_fma_f32 v3, v38, v82, -v3
	s_waitcnt vmcnt(12)
	v_fmac_f32_e32 v23, v41, v84
	v_add_f32_e32 v2, v2, v3
	v_mul_f32_e32 v3, v41, v83
	v_add_f32_e32 v22, v22, v23
	s_waitcnt vmcnt(11) lgkmcnt(0)
	v_mul_f32_e32 v23, v42, v85
	v_fma_f32 v3, v40, v84, -v3
	s_waitcnt vmcnt(10)
	v_fmac_f32_e32 v23, v43, v86
	v_add_f32_e32 v2, v2, v3
	v_mul_f32_e32 v3, v43, v85
	v_add_f32_e32 v22, v22, v23
	s_waitcnt vmcnt(9)
	v_mul_f32_e32 v23, v44, v87
	v_fma_f32 v3, v42, v86, -v3
	s_waitcnt vmcnt(8)
	v_fmac_f32_e32 v23, v45, v88
	v_add_f32_e32 v2, v2, v3
	v_mul_f32_e32 v3, v45, v87
	v_add_f32_e32 v97, v22, v23
	ds_read_b64 v[22:23], v1 offset:984
	v_fma_f32 v3, v44, v88, -v3
	v_add_f32_e32 v2, v2, v3
	s_waitcnt vmcnt(6)
	v_mul_f32_e32 v3, v47, v90
	v_mul_f32_e32 v98, v46, v90
	v_fma_f32 v3, v46, v89, -v3
	v_fmac_f32_e32 v98, v47, v89
	v_add_f32_e32 v2, v2, v3
	s_waitcnt vmcnt(3)
	v_mul_f32_e32 v3, v49, v93
	v_add_f32_e32 v97, v97, v98
	v_mul_f32_e32 v98, v48, v93
	s_waitcnt vmcnt(2)
	v_fma_f32 v3, v48, v94, -v3
	v_fmac_f32_e32 v98, v49, v94
	v_add_f32_e32 v2, v2, v3
	s_waitcnt vmcnt(0) lgkmcnt(0)
	v_mul_f32_e32 v3, v23, v96
	v_add_f32_e32 v97, v97, v98
	v_mul_f32_e32 v98, v22, v96
	v_fma_f32 v3, v22, v95, -v3
	v_fmac_f32_e32 v98, v23, v95
	v_add_f32_e32 v2, v2, v3
	v_add_f32_e32 v97, v97, v98
	v_sub_f32_e32 v2, v91, v2
	v_sub_f32_e32 v3, v92, v97
	buffer_store_dword v2, off, s[0:3], 0 offset:304
	buffer_store_dword v3, off, s[0:3], 0 offset:308
	s_and_saveexec_b64 s[4:5], vcc
	s_cbranch_execz .LBB125_311
; %bb.310:
	buffer_load_dword v2, off, s[0:3], 0 offset:296
	buffer_load_dword v3, off, s[0:3], 0 offset:300
	s_waitcnt vmcnt(0)
	ds_write_b64 v25, v[2:3]
	buffer_store_dword v1, off, s[0:3], 0 offset:296
	buffer_store_dword v1, off, s[0:3], 0 offset:300
.LBB125_311:
	s_or_b64 exec, exec, s[4:5]
	s_waitcnt lgkmcnt(0)
	; wave barrier
	buffer_load_dword v22, off, s[0:3], 0 offset:308
	buffer_load_dword v23, off, s[0:3], 0 offset:316
	;; [unrolled: 1-line block ×48, first 2 shown]
	ds_read_b128 v[2:5], v1 offset:800
	ds_read_b128 v[6:9], v1 offset:816
	buffer_load_dword v99, off, s[0:3], 0 offset:488
	buffer_load_dword v100, off, s[0:3], 0 offset:492
	ds_read_b128 v[10:13], v1 offset:832
	ds_read_b128 v[14:17], v1 offset:848
	;; [unrolled: 1-line block ×5, first 2 shown]
	v_cmp_lt_u32_e32 vcc, 36, v0
	s_waitcnt vmcnt(49) lgkmcnt(6)
	v_mul_f32_e32 v34, v2, v22
	s_waitcnt vmcnt(48)
	v_mul_f32_e32 v35, v4, v23
	s_waitcnt vmcnt(47) lgkmcnt(5)
	v_mul_f32_e32 v36, v6, v24
	s_waitcnt vmcnt(46)
	v_mul_f32_e32 v37, v8, v54
	;; [unrolled: 4-line block ×6, first 2 shown]
	s_waitcnt vmcnt(37)
	v_fmac_f32_e32 v34, v3, v63
	v_mul_f32_e32 v3, v3, v22
	v_fma_f32 v2, v2, v63, -v3
	v_mul_f32_e32 v3, v5, v23
	v_add_f32_e32 v2, 0, v2
	s_waitcnt vmcnt(36)
	v_fma_f32 v3, v4, v64, -v3
	v_add_f32_e32 v2, v2, v3
	v_mul_f32_e32 v3, v7, v24
	s_waitcnt vmcnt(35)
	v_fma_f32 v3, v6, v65, -v3
	v_fmac_f32_e32 v35, v5, v64
	v_add_f32_e32 v34, 0, v34
	v_add_f32_e32 v2, v2, v3
	v_mul_f32_e32 v3, v9, v54
	v_fmac_f32_e32 v36, v7, v65
	v_add_f32_e32 v34, v34, v35
	s_waitcnt vmcnt(34)
	v_fma_f32 v3, v8, v66, -v3
	v_fmac_f32_e32 v37, v9, v66
	v_add_f32_e32 v34, v34, v36
	v_add_f32_e32 v2, v2, v3
	v_mul_f32_e32 v3, v11, v55
	s_waitcnt vmcnt(33)
	v_fmac_f32_e32 v38, v11, v67
	v_add_f32_e32 v34, v34, v37
	v_fma_f32 v3, v10, v67, -v3
	s_waitcnt vmcnt(32)
	v_fmac_f32_e32 v39, v13, v68
	v_add_f32_e32 v34, v34, v38
	v_add_f32_e32 v2, v2, v3
	v_mul_f32_e32 v3, v13, v56
	s_waitcnt vmcnt(31)
	v_fmac_f32_e32 v40, v15, v69
	v_add_f32_e32 v34, v34, v39
	v_fma_f32 v3, v12, v68, -v3
	s_waitcnt vmcnt(30)
	;; [unrolled: 9-line block ×3, first 2 shown]
	v_fmac_f32_e32 v43, v21, v72
	v_add_f32_e32 v34, v34, v42
	v_add_f32_e32 v2, v2, v3
	v_mul_f32_e32 v3, v17, v58
	s_waitcnt vmcnt(27)
	v_fmac_f32_e32 v44, v27, v73
	v_add_f32_e32 v34, v34, v43
	v_fma_f32 v3, v16, v70, -v3
	v_add_f32_e32 v34, v34, v44
	s_waitcnt vmcnt(26)
	v_fmac_f32_e32 v45, v29, v74
	v_add_f32_e32 v2, v2, v3
	v_mul_f32_e32 v3, v19, v59
	v_add_f32_e32 v38, v34, v45
	ds_read_b128 v[34:37], v1 offset:912
	v_fma_f32 v3, v18, v71, -v3
	s_waitcnt vmcnt(25) lgkmcnt(1)
	v_mul_f32_e32 v39, v30, v75
	v_add_f32_e32 v2, v2, v3
	v_mul_f32_e32 v3, v21, v60
	s_waitcnt vmcnt(24)
	v_fmac_f32_e32 v39, v31, v76
	v_fma_f32 v3, v20, v72, -v3
	v_add_f32_e32 v38, v38, v39
	s_waitcnt vmcnt(23)
	v_mul_f32_e32 v39, v32, v77
	v_add_f32_e32 v2, v2, v3
	v_mul_f32_e32 v3, v27, v61
	s_waitcnt vmcnt(22)
	v_fmac_f32_e32 v39, v33, v78
	v_fma_f32 v3, v26, v73, -v3
	v_add_f32_e32 v38, v38, v39
	s_waitcnt vmcnt(21) lgkmcnt(0)
	v_mul_f32_e32 v39, v34, v79
	v_add_f32_e32 v2, v2, v3
	v_mul_f32_e32 v3, v29, v62
	s_waitcnt vmcnt(20)
	v_fmac_f32_e32 v39, v35, v80
	v_fma_f32 v3, v28, v74, -v3
	v_add_f32_e32 v42, v38, v39
	ds_read_b128 v[38:41], v1 offset:928
	v_add_f32_e32 v2, v2, v3
	v_mul_f32_e32 v3, v31, v75
	v_fma_f32 v3, v30, v76, -v3
	s_waitcnt vmcnt(19)
	v_mul_f32_e32 v43, v36, v81
	v_add_f32_e32 v2, v2, v3
	v_mul_f32_e32 v3, v33, v77
	s_waitcnt vmcnt(18)
	v_fmac_f32_e32 v43, v37, v82
	v_fma_f32 v3, v32, v78, -v3
	v_add_f32_e32 v46, v42, v43
	ds_read_b128 v[42:45], v1 offset:944
	v_add_f32_e32 v2, v2, v3
	v_mul_f32_e32 v3, v35, v79
	s_waitcnt vmcnt(17) lgkmcnt(1)
	v_mul_f32_e32 v47, v38, v83
	v_fma_f32 v3, v34, v80, -v3
	s_waitcnt vmcnt(16)
	v_fmac_f32_e32 v47, v39, v84
	v_add_f32_e32 v2, v2, v3
	v_mul_f32_e32 v3, v37, v81
	v_add_f32_e32 v46, v46, v47
	s_waitcnt vmcnt(15)
	v_mul_f32_e32 v47, v40, v85
	v_fma_f32 v3, v36, v82, -v3
	s_waitcnt vmcnt(14)
	v_fmac_f32_e32 v47, v41, v86
	v_add_f32_e32 v2, v2, v3
	v_mul_f32_e32 v3, v39, v83
	v_add_f32_e32 v46, v46, v47
	s_waitcnt vmcnt(13) lgkmcnt(0)
	v_mul_f32_e32 v47, v42, v87
	v_fma_f32 v3, v38, v84, -v3
	s_waitcnt vmcnt(12)
	v_fmac_f32_e32 v47, v43, v88
	v_add_f32_e32 v2, v2, v3
	v_mul_f32_e32 v3, v41, v85
	v_add_f32_e32 v50, v46, v47
	ds_read_b128 v[46:49], v1 offset:960
	v_fma_f32 v3, v40, v86, -v3
	v_add_f32_e32 v2, v2, v3
	v_mul_f32_e32 v3, v43, v87
	s_waitcnt vmcnt(11)
	v_mul_f32_e32 v51, v44, v89
	v_fma_f32 v3, v42, v88, -v3
	s_waitcnt vmcnt(10)
	v_fmac_f32_e32 v51, v45, v90
	v_add_f32_e32 v2, v2, v3
	v_mul_f32_e32 v3, v45, v89
	v_add_f32_e32 v101, v50, v51
	ds_read_b128 v[50:53], v1 offset:976
	v_fma_f32 v3, v44, v90, -v3
	v_add_f32_e32 v2, v2, v3
	s_waitcnt vmcnt(7) lgkmcnt(1)
	v_mul_f32_e32 v3, v47, v93
	v_mul_f32_e32 v1, v46, v93
	s_waitcnt vmcnt(6)
	v_fma_f32 v3, v46, v94, -v3
	v_fmac_f32_e32 v1, v47, v94
	v_add_f32_e32 v2, v2, v3
	s_waitcnt vmcnt(4)
	v_mul_f32_e32 v3, v49, v96
	v_add_f32_e32 v1, v101, v1
	v_mul_f32_e32 v101, v48, v96
	v_fma_f32 v3, v48, v95, -v3
	v_fmac_f32_e32 v101, v49, v95
	v_add_f32_e32 v2, v2, v3
	s_waitcnt vmcnt(2) lgkmcnt(0)
	v_mul_f32_e32 v3, v51, v98
	v_add_f32_e32 v1, v1, v101
	v_mul_f32_e32 v101, v50, v98
	v_fma_f32 v3, v50, v97, -v3
	v_fmac_f32_e32 v101, v51, v97
	v_add_f32_e32 v2, v2, v3
	s_waitcnt vmcnt(0)
	v_mul_f32_e32 v3, v53, v100
	v_add_f32_e32 v1, v1, v101
	v_mul_f32_e32 v101, v52, v100
	v_fma_f32 v3, v52, v99, -v3
	v_fmac_f32_e32 v101, v53, v99
	v_add_f32_e32 v2, v2, v3
	v_add_f32_e32 v1, v1, v101
	v_sub_f32_e32 v2, v91, v2
	v_sub_f32_e32 v1, v92, v1
	buffer_store_dword v2, off, s[0:3], 0 offset:296
	buffer_store_dword v1, off, s[0:3], 0 offset:300
	s_and_saveexec_b64 s[4:5], vcc
	s_cbranch_execz .LBB125_313
; %bb.312:
	buffer_load_dword v1, off, s[0:3], 0 offset:288
	buffer_load_dword v2, off, s[0:3], 0 offset:292
	v_mov_b32_e32 v3, 0
	buffer_store_dword v3, off, s[0:3], 0 offset:288
	buffer_store_dword v3, off, s[0:3], 0 offset:292
	s_waitcnt vmcnt(2)
	ds_write_b64 v25, v[1:2]
.LBB125_313:
	s_or_b64 exec, exec, s[4:5]
	s_waitcnt lgkmcnt(0)
	; wave barrier
	buffer_load_dword v24, off, s[0:3], 0 offset:300
	buffer_load_dword v54, off, s[0:3], 0 offset:308
	;; [unrolled: 1-line block ×52, first 2 shown]
	v_mov_b32_e32 v1, 0
	ds_read2_b64 v[2:5], v1 offset0:99 offset1:100
	ds_read2_b64 v[6:9], v1 offset0:101 offset1:102
	;; [unrolled: 1-line block ×8, first 2 shown]
	v_cmp_lt_u32_e32 vcc, 35, v0
	ds_read2_b64 v[42:45], v1 offset0:117 offset1:118
	s_waitcnt vmcnt(51) lgkmcnt(8)
	v_mul_f32_e32 v22, v2, v24
	s_waitcnt vmcnt(50)
	v_mul_f32_e32 v23, v4, v54
	s_waitcnt vmcnt(49) lgkmcnt(7)
	v_mul_f32_e32 v30, v6, v55
	s_waitcnt vmcnt(48)
	v_mul_f32_e32 v31, v8, v56
	;; [unrolled: 4-line block ×5, first 2 shown]
	s_waitcnt vmcnt(41) lgkmcnt(3)
	v_mul_f32_e32 v38, v26, v63
	s_waitcnt vmcnt(40)
	v_fmac_f32_e32 v22, v3, v64
	v_mul_f32_e32 v3, v3, v24
	v_fma_f32 v2, v2, v64, -v3
	v_mul_f32_e32 v3, v5, v54
	v_add_f32_e32 v2, 0, v2
	s_waitcnt vmcnt(39)
	v_fma_f32 v3, v4, v65, -v3
	v_add_f32_e32 v2, v2, v3
	v_mul_f32_e32 v3, v7, v55
	s_waitcnt vmcnt(38)
	v_fma_f32 v3, v6, v66, -v3
	v_add_f32_e32 v2, v2, v3
	v_mul_f32_e32 v3, v9, v56
	;; [unrolled: 4-line block ×4, first 2 shown]
	s_waitcnt vmcnt(35)
	v_fma_f32 v3, v12, v69, -v3
	v_fmac_f32_e32 v23, v5, v65
	v_add_f32_e32 v22, 0, v22
	v_add_f32_e32 v2, v2, v3
	v_mul_f32_e32 v3, v15, v59
	v_fmac_f32_e32 v30, v7, v66
	v_add_f32_e32 v22, v22, v23
	s_waitcnt vmcnt(34)
	v_fma_f32 v3, v14, v70, -v3
	v_fmac_f32_e32 v31, v9, v67
	v_add_f32_e32 v22, v22, v30
	v_add_f32_e32 v2, v2, v3
	v_mul_f32_e32 v3, v17, v60
	v_fmac_f32_e32 v32, v11, v68
	v_add_f32_e32 v22, v22, v31
	;; [unrolled: 8-line block ×3, first 2 shown]
	s_waitcnt vmcnt(32)
	v_fma_f32 v3, v18, v72, -v3
	v_fmac_f32_e32 v35, v17, v71
	v_add_f32_e32 v22, v22, v34
	ds_read2_b64 v[30:33], v1 offset0:111 offset1:112
	v_add_f32_e32 v2, v2, v3
	v_mul_f32_e32 v3, v21, v62
	v_fmac_f32_e32 v36, v19, v72
	v_add_f32_e32 v22, v22, v35
	s_waitcnt vmcnt(31)
	v_fma_f32 v3, v20, v73, -v3
	v_fmac_f32_e32 v37, v21, v73
	v_add_f32_e32 v22, v22, v36
	v_add_f32_e32 v2, v2, v3
	v_mul_f32_e32 v3, v27, v63
	v_add_f32_e32 v22, v22, v37
	s_waitcnt vmcnt(30)
	v_fmac_f32_e32 v38, v27, v74
	s_waitcnt vmcnt(29)
	v_mul_f32_e32 v23, v28, v75
	v_fma_f32 v3, v26, v74, -v3
	v_add_f32_e32 v22, v22, v38
	s_waitcnt vmcnt(28)
	v_fmac_f32_e32 v23, v29, v76
	ds_read2_b64 v[34:37], v1 offset0:113 offset1:114
	v_add_f32_e32 v2, v2, v3
	v_mul_f32_e32 v3, v29, v75
	v_add_f32_e32 v22, v22, v23
	s_waitcnt vmcnt(27) lgkmcnt(1)
	v_mul_f32_e32 v23, v30, v77
	v_fma_f32 v3, v28, v76, -v3
	s_waitcnt vmcnt(26)
	v_fmac_f32_e32 v23, v31, v78
	v_add_f32_e32 v2, v2, v3
	v_mul_f32_e32 v3, v31, v77
	v_add_f32_e32 v22, v22, v23
	s_waitcnt vmcnt(25)
	v_mul_f32_e32 v23, v32, v79
	v_fma_f32 v3, v30, v78, -v3
	s_waitcnt vmcnt(24)
	v_fmac_f32_e32 v23, v33, v80
	ds_read2_b64 v[38:41], v1 offset0:115 offset1:116
	v_add_f32_e32 v2, v2, v3
	v_mul_f32_e32 v3, v33, v79
	v_add_f32_e32 v22, v22, v23
	s_waitcnt vmcnt(23) lgkmcnt(1)
	v_mul_f32_e32 v23, v34, v81
	v_fma_f32 v3, v32, v80, -v3
	s_waitcnt vmcnt(22)
	v_fmac_f32_e32 v23, v35, v82
	v_add_f32_e32 v2, v2, v3
	v_mul_f32_e32 v3, v35, v81
	v_add_f32_e32 v22, v22, v23
	s_waitcnt vmcnt(21)
	v_mul_f32_e32 v23, v36, v83
	v_fma_f32 v3, v34, v82, -v3
	s_waitcnt vmcnt(20)
	v_fmac_f32_e32 v23, v37, v84
	v_add_f32_e32 v2, v2, v3
	v_mul_f32_e32 v3, v37, v83
	v_add_f32_e32 v22, v22, v23
	s_waitcnt vmcnt(19) lgkmcnt(0)
	v_mul_f32_e32 v23, v38, v85
	v_fma_f32 v3, v36, v84, -v3
	s_waitcnt vmcnt(18)
	v_fmac_f32_e32 v23, v39, v86
	v_add_f32_e32 v2, v2, v3
	v_mul_f32_e32 v3, v39, v85
	v_add_f32_e32 v22, v22, v23
	s_waitcnt vmcnt(17)
	v_mul_f32_e32 v23, v40, v87
	v_fma_f32 v3, v38, v86, -v3
	s_waitcnt vmcnt(16)
	v_fmac_f32_e32 v23, v41, v88
	v_add_f32_e32 v2, v2, v3
	v_mul_f32_e32 v3, v41, v87
	v_add_f32_e32 v22, v22, v23
	s_waitcnt vmcnt(14)
	v_mul_f32_e32 v23, v42, v90
	v_fma_f32 v3, v40, v88, -v3
	v_fmac_f32_e32 v23, v43, v89
	v_add_f32_e32 v2, v2, v3
	v_mul_f32_e32 v3, v43, v90
	v_add_f32_e32 v22, v22, v23
	s_waitcnt vmcnt(11)
	v_mul_f32_e32 v23, v44, v93
	v_fma_f32 v3, v42, v89, -v3
	s_waitcnt vmcnt(10)
	v_fmac_f32_e32 v23, v45, v94
	v_add_f32_e32 v2, v2, v3
	v_mul_f32_e32 v3, v45, v93
	v_add_f32_e32 v22, v22, v23
	s_waitcnt vmcnt(8)
	v_mul_f32_e32 v23, v46, v96
	v_fma_f32 v3, v44, v94, -v3
	v_fmac_f32_e32 v23, v47, v95
	v_add_f32_e32 v2, v2, v3
	v_mul_f32_e32 v3, v47, v96
	v_add_f32_e32 v22, v22, v23
	s_waitcnt vmcnt(6)
	v_mul_f32_e32 v23, v48, v98
	v_fma_f32 v3, v46, v95, -v3
	v_fmac_f32_e32 v23, v49, v97
	v_add_f32_e32 v2, v2, v3
	v_mul_f32_e32 v3, v49, v98
	v_add_f32_e32 v105, v22, v23
	ds_read_b64 v[22:23], v1 offset:984
	v_fma_f32 v3, v48, v97, -v3
	v_add_f32_e32 v2, v2, v3
	s_waitcnt vmcnt(4)
	v_mul_f32_e32 v3, v51, v100
	v_mul_f32_e32 v106, v50, v100
	v_fma_f32 v3, v50, v99, -v3
	v_fmac_f32_e32 v106, v51, v99
	v_add_f32_e32 v2, v2, v3
	s_waitcnt vmcnt(2)
	v_mul_f32_e32 v3, v53, v102
	v_add_f32_e32 v105, v105, v106
	v_mul_f32_e32 v106, v52, v102
	v_fma_f32 v3, v52, v101, -v3
	v_fmac_f32_e32 v106, v53, v101
	v_add_f32_e32 v2, v2, v3
	s_waitcnt vmcnt(0) lgkmcnt(0)
	v_mul_f32_e32 v3, v23, v104
	v_add_f32_e32 v105, v105, v106
	v_mul_f32_e32 v106, v22, v104
	v_fma_f32 v3, v22, v103, -v3
	v_fmac_f32_e32 v106, v23, v103
	v_add_f32_e32 v2, v2, v3
	v_add_f32_e32 v105, v105, v106
	v_sub_f32_e32 v2, v91, v2
	v_sub_f32_e32 v3, v92, v105
	buffer_store_dword v2, off, s[0:3], 0 offset:288
	buffer_store_dword v3, off, s[0:3], 0 offset:292
	s_and_saveexec_b64 s[4:5], vcc
	s_cbranch_execz .LBB125_315
; %bb.314:
	buffer_load_dword v2, off, s[0:3], 0 offset:280
	buffer_load_dword v3, off, s[0:3], 0 offset:284
	s_waitcnt vmcnt(0)
	ds_write_b64 v25, v[2:3]
	buffer_store_dword v1, off, s[0:3], 0 offset:280
	buffer_store_dword v1, off, s[0:3], 0 offset:284
.LBB125_315:
	s_or_b64 exec, exec, s[4:5]
	s_waitcnt lgkmcnt(0)
	; wave barrier
	buffer_load_dword v22, off, s[0:3], 0 offset:292
	buffer_load_dword v23, off, s[0:3], 0 offset:300
	buffer_load_dword v24, off, s[0:3], 0 offset:308
	buffer_load_dword v58, off, s[0:3], 0 offset:316
	buffer_load_dword v59, off, s[0:3], 0 offset:324
	buffer_load_dword v60, off, s[0:3], 0 offset:332
	buffer_load_dword v61, off, s[0:3], 0 offset:340
	buffer_load_dword v62, off, s[0:3], 0 offset:348
	buffer_load_dword v63, off, s[0:3], 0 offset:356
	buffer_load_dword v64, off, s[0:3], 0 offset:364
	buffer_load_dword v65, off, s[0:3], 0 offset:288
	buffer_load_dword v66, off, s[0:3], 0 offset:296
	buffer_load_dword v67, off, s[0:3], 0 offset:304
	buffer_load_dword v68, off, s[0:3], 0 offset:312
	buffer_load_dword v69, off, s[0:3], 0 offset:320
	buffer_load_dword v70, off, s[0:3], 0 offset:328
	buffer_load_dword v71, off, s[0:3], 0 offset:336
	buffer_load_dword v72, off, s[0:3], 0 offset:344
	buffer_load_dword v73, off, s[0:3], 0 offset:352
	buffer_load_dword v74, off, s[0:3], 0 offset:360
	buffer_load_dword v75, off, s[0:3], 0 offset:372
	buffer_load_dword v76, off, s[0:3], 0 offset:368
	buffer_load_dword v77, off, s[0:3], 0 offset:380
	buffer_load_dword v78, off, s[0:3], 0 offset:376
	buffer_load_dword v79, off, s[0:3], 0 offset:388
	buffer_load_dword v80, off, s[0:3], 0 offset:384
	buffer_load_dword v81, off, s[0:3], 0 offset:396
	buffer_load_dword v82, off, s[0:3], 0 offset:392
	buffer_load_dword v83, off, s[0:3], 0 offset:404
	buffer_load_dword v84, off, s[0:3], 0 offset:400
	buffer_load_dword v85, off, s[0:3], 0 offset:412
	buffer_load_dword v86, off, s[0:3], 0 offset:408
	buffer_load_dword v87, off, s[0:3], 0 offset:420
	buffer_load_dword v88, off, s[0:3], 0 offset:416
	buffer_load_dword v89, off, s[0:3], 0 offset:424
	buffer_load_dword v90, off, s[0:3], 0 offset:428
	buffer_load_dword v91, off, s[0:3], 0 offset:280
	buffer_load_dword v92, off, s[0:3], 0 offset:284
	buffer_load_dword v93, off, s[0:3], 0 offset:436
	buffer_load_dword v94, off, s[0:3], 0 offset:432
	buffer_load_dword v95, off, s[0:3], 0 offset:440
	buffer_load_dword v96, off, s[0:3], 0 offset:444
	ds_read_b128 v[2:5], v1 offset:784
	ds_read_b128 v[6:9], v1 offset:800
	;; [unrolled: 1-line block ×4, first 2 shown]
	buffer_load_dword v97, off, s[0:3], 0 offset:452
	buffer_load_dword v98, off, s[0:3], 0 offset:448
	;; [unrolled: 1-line block ×6, first 2 shown]
	ds_read_b128 v[18:21], v1 offset:848
	ds_read_b128 v[26:29], v1 offset:864
	buffer_load_dword v103, off, s[0:3], 0 offset:472
	buffer_load_dword v104, off, s[0:3], 0 offset:476
	;; [unrolled: 1-line block ×6, first 2 shown]
	v_cmp_lt_u32_e32 vcc, 34, v0
	s_waitcnt vmcnt(53) lgkmcnt(5)
	v_mul_f32_e32 v30, v2, v22
	s_waitcnt vmcnt(52)
	v_mul_f32_e32 v31, v4, v23
	s_waitcnt vmcnt(51) lgkmcnt(4)
	v_mul_f32_e32 v32, v6, v24
	s_waitcnt vmcnt(50)
	v_mul_f32_e32 v33, v8, v58
	;; [unrolled: 4-line block ×5, first 2 shown]
	s_waitcnt vmcnt(43)
	v_fmac_f32_e32 v30, v3, v65
	v_mul_f32_e32 v3, v3, v22
	s_waitcnt vmcnt(42)
	v_fmac_f32_e32 v31, v5, v66
	v_add_f32_e32 v30, 0, v30
	v_fma_f32 v2, v2, v65, -v3
	v_mul_f32_e32 v3, v5, v23
	s_waitcnt vmcnt(41)
	v_fmac_f32_e32 v32, v7, v67
	v_add_f32_e32 v30, v30, v31
	v_add_f32_e32 v2, 0, v2
	v_fma_f32 v3, v4, v66, -v3
	s_waitcnt vmcnt(40)
	v_fmac_f32_e32 v33, v9, v68
	v_add_f32_e32 v30, v30, v32
	v_add_f32_e32 v2, v2, v3
	v_mul_f32_e32 v3, v7, v24
	s_waitcnt vmcnt(39)
	v_fmac_f32_e32 v34, v11, v69
	v_add_f32_e32 v30, v30, v33
	v_fma_f32 v3, v6, v67, -v3
	s_waitcnt vmcnt(38)
	v_fmac_f32_e32 v35, v13, v70
	v_add_f32_e32 v30, v30, v34
	v_add_f32_e32 v2, v2, v3
	v_mul_f32_e32 v3, v9, v58
	s_waitcnt vmcnt(37)
	v_fmac_f32_e32 v36, v15, v71
	;; [unrolled: 9-line block ×3, first 2 shown]
	v_add_f32_e32 v30, v30, v37
	v_fma_f32 v3, v10, v69, -v3
	s_waitcnt vmcnt(34)
	v_fmac_f32_e32 v39, v21, v74
	v_add_f32_e32 v30, v30, v38
	s_waitcnt vmcnt(33) lgkmcnt(0)
	v_mul_f32_e32 v31, v26, v75
	v_add_f32_e32 v2, v2, v3
	v_mul_f32_e32 v3, v13, v60
	v_add_f32_e32 v30, v30, v39
	s_waitcnt vmcnt(32)
	v_fmac_f32_e32 v31, v27, v76
	v_fma_f32 v3, v12, v70, -v3
	v_add_f32_e32 v34, v30, v31
	ds_read_b128 v[30:33], v1 offset:880
	v_add_f32_e32 v2, v2, v3
	v_mul_f32_e32 v3, v15, v61
	v_fma_f32 v3, v14, v71, -v3
	s_waitcnt vmcnt(31)
	v_mul_f32_e32 v35, v28, v77
	v_add_f32_e32 v2, v2, v3
	v_mul_f32_e32 v3, v17, v62
	s_waitcnt vmcnt(30)
	v_fmac_f32_e32 v35, v29, v78
	v_fma_f32 v3, v16, v72, -v3
	v_add_f32_e32 v38, v34, v35
	ds_read_b128 v[34:37], v1 offset:896
	v_add_f32_e32 v2, v2, v3
	v_mul_f32_e32 v3, v19, v63
	s_waitcnt vmcnt(29) lgkmcnt(1)
	v_mul_f32_e32 v39, v30, v79
	v_fma_f32 v3, v18, v73, -v3
	s_waitcnt vmcnt(28)
	v_fmac_f32_e32 v39, v31, v80
	v_add_f32_e32 v2, v2, v3
	v_mul_f32_e32 v3, v21, v64
	v_add_f32_e32 v38, v38, v39
	s_waitcnt vmcnt(27)
	v_mul_f32_e32 v39, v32, v81
	v_fma_f32 v3, v20, v74, -v3
	s_waitcnt vmcnt(26)
	v_fmac_f32_e32 v39, v33, v82
	v_add_f32_e32 v2, v2, v3
	v_mul_f32_e32 v3, v27, v75
	v_add_f32_e32 v38, v38, v39
	s_waitcnt vmcnt(25) lgkmcnt(0)
	v_mul_f32_e32 v39, v34, v83
	v_fma_f32 v3, v26, v76, -v3
	s_waitcnt vmcnt(24)
	v_fmac_f32_e32 v39, v35, v84
	v_add_f32_e32 v2, v2, v3
	v_mul_f32_e32 v3, v29, v77
	v_add_f32_e32 v42, v38, v39
	ds_read_b128 v[38:41], v1 offset:912
	v_fma_f32 v3, v28, v78, -v3
	v_add_f32_e32 v2, v2, v3
	v_mul_f32_e32 v3, v31, v79
	s_waitcnt vmcnt(23)
	v_mul_f32_e32 v43, v36, v85
	v_fma_f32 v3, v30, v80, -v3
	s_waitcnt vmcnt(22)
	v_fmac_f32_e32 v43, v37, v86
	v_add_f32_e32 v2, v2, v3
	v_mul_f32_e32 v3, v33, v81
	v_add_f32_e32 v46, v42, v43
	ds_read_b128 v[42:45], v1 offset:928
	v_fma_f32 v3, v32, v82, -v3
	s_waitcnt vmcnt(21) lgkmcnt(1)
	v_mul_f32_e32 v47, v38, v87
	v_add_f32_e32 v2, v2, v3
	v_mul_f32_e32 v3, v35, v83
	s_waitcnt vmcnt(20)
	v_fmac_f32_e32 v47, v39, v88
	v_fma_f32 v3, v34, v84, -v3
	v_add_f32_e32 v46, v46, v47
	s_waitcnt vmcnt(18)
	v_mul_f32_e32 v47, v40, v90
	v_add_f32_e32 v2, v2, v3
	v_mul_f32_e32 v3, v37, v85
	v_fmac_f32_e32 v47, v41, v89
	v_fma_f32 v3, v36, v86, -v3
	v_add_f32_e32 v46, v46, v47
	s_waitcnt vmcnt(15) lgkmcnt(0)
	v_mul_f32_e32 v47, v42, v93
	v_add_f32_e32 v2, v2, v3
	v_mul_f32_e32 v3, v39, v87
	s_waitcnt vmcnt(14)
	v_fmac_f32_e32 v47, v43, v94
	v_fma_f32 v3, v38, v88, -v3
	v_add_f32_e32 v50, v46, v47
	ds_read_b128 v[46:49], v1 offset:944
	v_add_f32_e32 v2, v2, v3
	v_mul_f32_e32 v3, v41, v90
	v_fma_f32 v3, v40, v89, -v3
	v_add_f32_e32 v2, v2, v3
	v_mul_f32_e32 v3, v43, v93
	s_waitcnt vmcnt(12)
	v_mul_f32_e32 v51, v44, v96
	v_fma_f32 v3, v42, v94, -v3
	v_fmac_f32_e32 v51, v45, v95
	v_add_f32_e32 v2, v2, v3
	v_mul_f32_e32 v3, v45, v96
	v_add_f32_e32 v54, v50, v51
	ds_read_b128 v[50:53], v1 offset:960
	s_waitcnt vmcnt(11) lgkmcnt(1)
	v_mul_f32_e32 v55, v46, v97
	v_fma_f32 v3, v44, v95, -v3
	s_waitcnt vmcnt(10)
	v_fmac_f32_e32 v55, v47, v98
	v_add_f32_e32 v2, v2, v3
	v_mul_f32_e32 v3, v47, v97
	v_add_f32_e32 v54, v54, v55
	s_waitcnt vmcnt(8)
	v_mul_f32_e32 v55, v48, v100
	v_fma_f32 v3, v46, v98, -v3
	v_fmac_f32_e32 v55, v49, v99
	v_add_f32_e32 v2, v2, v3
	v_mul_f32_e32 v3, v49, v100
	v_add_f32_e32 v109, v54, v55
	ds_read_b128 v[54:57], v1 offset:976
	v_fma_f32 v3, v48, v99, -v3
	v_add_f32_e32 v2, v2, v3
	s_waitcnt vmcnt(6) lgkmcnt(1)
	v_mul_f32_e32 v3, v51, v102
	v_mul_f32_e32 v110, v50, v102
	v_fma_f32 v3, v50, v101, -v3
	v_fmac_f32_e32 v110, v51, v101
	v_add_f32_e32 v2, v2, v3
	s_waitcnt vmcnt(4)
	v_mul_f32_e32 v3, v53, v104
	v_add_f32_e32 v1, v109, v110
	v_mul_f32_e32 v109, v52, v104
	v_fma_f32 v3, v52, v103, -v3
	v_fmac_f32_e32 v109, v53, v103
	v_add_f32_e32 v2, v2, v3
	s_waitcnt vmcnt(2) lgkmcnt(0)
	v_mul_f32_e32 v3, v55, v106
	v_add_f32_e32 v1, v1, v109
	v_mul_f32_e32 v109, v54, v106
	v_fma_f32 v3, v54, v105, -v3
	v_fmac_f32_e32 v109, v55, v105
	v_add_f32_e32 v2, v2, v3
	s_waitcnt vmcnt(0)
	v_mul_f32_e32 v3, v57, v108
	v_add_f32_e32 v1, v1, v109
	v_mul_f32_e32 v109, v56, v108
	v_fma_f32 v3, v56, v107, -v3
	v_fmac_f32_e32 v109, v57, v107
	v_add_f32_e32 v2, v2, v3
	v_add_f32_e32 v1, v1, v109
	v_sub_f32_e32 v2, v91, v2
	v_sub_f32_e32 v1, v92, v1
	buffer_store_dword v2, off, s[0:3], 0 offset:280
	buffer_store_dword v1, off, s[0:3], 0 offset:284
	s_and_saveexec_b64 s[4:5], vcc
	s_cbranch_execz .LBB125_317
; %bb.316:
	buffer_load_dword v1, off, s[0:3], 0 offset:272
	buffer_load_dword v2, off, s[0:3], 0 offset:276
	v_mov_b32_e32 v3, 0
	buffer_store_dword v3, off, s[0:3], 0 offset:272
	buffer_store_dword v3, off, s[0:3], 0 offset:276
	s_waitcnt vmcnt(2)
	ds_write_b64 v25, v[1:2]
.LBB125_317:
	s_or_b64 exec, exec, s[4:5]
	s_waitcnt lgkmcnt(0)
	; wave barrier
	buffer_load_dword v24, off, s[0:3], 0 offset:284
	buffer_load_dword v58, off, s[0:3], 0 offset:292
	;; [unrolled: 1-line block ×56, first 2 shown]
	v_mov_b32_e32 v1, 0
	ds_read2_b64 v[2:5], v1 offset0:97 offset1:98
	ds_read2_b64 v[6:9], v1 offset0:99 offset1:100
	;; [unrolled: 1-line block ×11, first 2 shown]
	v_cmp_lt_u32_e32 vcc, 33, v0
	s_waitcnt vmcnt(55) lgkmcnt(10)
	v_mul_f32_e32 v22, v2, v24
	s_waitcnt vmcnt(54)
	v_mul_f32_e32 v23, v4, v58
	s_waitcnt vmcnt(53) lgkmcnt(9)
	v_mul_f32_e32 v30, v6, v59
	s_waitcnt vmcnt(52)
	v_mul_f32_e32 v31, v8, v60
	;; [unrolled: 4-line block ×4, first 2 shown]
	s_waitcnt vmcnt(47) lgkmcnt(6)
	v_mul_f32_e32 v36, v18, v65
	s_waitcnt vmcnt(46)
	v_fmac_f32_e32 v22, v3, v66
	v_mul_f32_e32 v3, v3, v24
	v_fma_f32 v2, v2, v66, -v3
	v_mul_f32_e32 v3, v5, v58
	v_add_f32_e32 v2, 0, v2
	s_waitcnt vmcnt(45)
	v_fma_f32 v3, v4, v67, -v3
	v_add_f32_e32 v2, v2, v3
	v_mul_f32_e32 v3, v7, v59
	s_waitcnt vmcnt(44)
	v_fma_f32 v3, v6, v68, -v3
	v_add_f32_e32 v2, v2, v3
	v_mul_f32_e32 v3, v9, v60
	;; [unrolled: 4-line block ×3, first 2 shown]
	s_waitcnt vmcnt(42)
	v_fma_f32 v3, v10, v70, -v3
	v_fmac_f32_e32 v23, v5, v67
	v_add_f32_e32 v22, 0, v22
	v_add_f32_e32 v2, v2, v3
	v_mul_f32_e32 v3, v13, v62
	v_fmac_f32_e32 v30, v7, v68
	v_add_f32_e32 v22, v22, v23
	s_waitcnt vmcnt(41)
	v_fma_f32 v3, v12, v71, -v3
	v_fmac_f32_e32 v31, v9, v69
	v_add_f32_e32 v22, v22, v30
	v_add_f32_e32 v2, v2, v3
	v_mul_f32_e32 v3, v15, v63
	v_fmac_f32_e32 v32, v11, v70
	v_add_f32_e32 v22, v22, v31
	;; [unrolled: 8-line block ×3, first 2 shown]
	s_waitcnt vmcnt(39)
	v_fma_f32 v3, v16, v73, -v3
	v_fmac_f32_e32 v35, v17, v73
	v_add_f32_e32 v22, v22, v34
	v_add_f32_e32 v2, v2, v3
	v_mul_f32_e32 v3, v19, v65
	v_add_f32_e32 v22, v22, v35
	s_waitcnt vmcnt(38)
	v_fmac_f32_e32 v36, v19, v74
	s_waitcnt vmcnt(37)
	v_mul_f32_e32 v23, v20, v75
	v_fma_f32 v3, v18, v74, -v3
	v_add_f32_e32 v22, v22, v36
	s_waitcnt vmcnt(36)
	v_fmac_f32_e32 v23, v21, v76
	ds_read2_b64 v[30:33], v1 offset0:109 offset1:110
	ds_read2_b64 v[34:37], v1 offset0:111 offset1:112
	v_add_f32_e32 v2, v2, v3
	v_mul_f32_e32 v3, v21, v75
	v_add_f32_e32 v22, v22, v23
	s_waitcnt vmcnt(35) lgkmcnt(7)
	v_mul_f32_e32 v23, v26, v77
	v_fma_f32 v3, v20, v76, -v3
	s_waitcnt vmcnt(34)
	v_fmac_f32_e32 v23, v27, v78
	v_add_f32_e32 v2, v2, v3
	v_mul_f32_e32 v3, v27, v77
	v_add_f32_e32 v22, v22, v23
	s_waitcnt vmcnt(33)
	v_mul_f32_e32 v23, v28, v79
	v_fma_f32 v3, v26, v78, -v3
	s_waitcnt vmcnt(32)
	v_fmac_f32_e32 v23, v29, v80
	v_add_f32_e32 v2, v2, v3
	v_mul_f32_e32 v3, v29, v79
	v_add_f32_e32 v22, v22, v23
	s_waitcnt vmcnt(31) lgkmcnt(1)
	v_mul_f32_e32 v23, v30, v81
	v_fma_f32 v3, v28, v80, -v3
	s_waitcnt vmcnt(30)
	v_fmac_f32_e32 v23, v31, v82
	v_add_f32_e32 v2, v2, v3
	v_mul_f32_e32 v3, v31, v81
	v_add_f32_e32 v22, v22, v23
	s_waitcnt vmcnt(29)
	v_mul_f32_e32 v23, v32, v83
	v_fma_f32 v3, v30, v82, -v3
	s_waitcnt vmcnt(28)
	v_fmac_f32_e32 v23, v33, v84
	v_add_f32_e32 v2, v2, v3
	v_mul_f32_e32 v3, v33, v83
	v_add_f32_e32 v22, v22, v23
	s_waitcnt vmcnt(27) lgkmcnt(0)
	v_mul_f32_e32 v23, v34, v85
	v_fma_f32 v3, v32, v84, -v3
	s_waitcnt vmcnt(26)
	v_fmac_f32_e32 v23, v35, v86
	v_add_f32_e32 v2, v2, v3
	v_mul_f32_e32 v3, v35, v85
	v_add_f32_e32 v22, v22, v23
	s_waitcnt vmcnt(24)
	v_mul_f32_e32 v23, v36, v88
	v_fma_f32 v3, v34, v86, -v3
	v_fmac_f32_e32 v23, v37, v87
	v_add_f32_e32 v2, v2, v3
	v_mul_f32_e32 v3, v37, v88
	v_add_f32_e32 v22, v22, v23
	s_waitcnt vmcnt(21)
	v_mul_f32_e32 v23, v38, v91
	v_fma_f32 v3, v36, v87, -v3
	s_waitcnt vmcnt(20)
	v_fmac_f32_e32 v23, v39, v92
	v_add_f32_e32 v2, v2, v3
	v_mul_f32_e32 v3, v39, v91
	v_add_f32_e32 v22, v22, v23
	s_waitcnt vmcnt(18)
	v_mul_f32_e32 v23, v40, v94
	v_fma_f32 v3, v38, v92, -v3
	v_fmac_f32_e32 v23, v41, v93
	v_add_f32_e32 v2, v2, v3
	v_mul_f32_e32 v3, v41, v94
	v_add_f32_e32 v22, v22, v23
	s_waitcnt vmcnt(16)
	v_mul_f32_e32 v23, v42, v96
	v_fma_f32 v3, v40, v93, -v3
	;; [unrolled: 7-line block ×7, first 2 shown]
	v_fmac_f32_e32 v23, v53, v105
	v_add_f32_e32 v2, v2, v3
	v_mul_f32_e32 v3, v53, v106
	v_add_f32_e32 v113, v22, v23
	ds_read_b64 v[22:23], v1 offset:984
	v_fma_f32 v3, v52, v105, -v3
	v_add_f32_e32 v2, v2, v3
	s_waitcnt vmcnt(4)
	v_mul_f32_e32 v3, v55, v108
	v_mul_f32_e32 v114, v54, v108
	v_fma_f32 v3, v54, v107, -v3
	v_fmac_f32_e32 v114, v55, v107
	v_add_f32_e32 v2, v2, v3
	s_waitcnt vmcnt(2)
	v_mul_f32_e32 v3, v57, v110
	v_add_f32_e32 v113, v113, v114
	v_mul_f32_e32 v114, v56, v110
	v_fma_f32 v3, v56, v109, -v3
	v_fmac_f32_e32 v114, v57, v109
	v_add_f32_e32 v2, v2, v3
	s_waitcnt vmcnt(0) lgkmcnt(0)
	v_mul_f32_e32 v3, v23, v112
	v_add_f32_e32 v113, v113, v114
	v_mul_f32_e32 v114, v22, v112
	v_fma_f32 v3, v22, v111, -v3
	v_fmac_f32_e32 v114, v23, v111
	v_add_f32_e32 v2, v2, v3
	v_add_f32_e32 v113, v113, v114
	v_sub_f32_e32 v2, v89, v2
	v_sub_f32_e32 v3, v90, v113
	buffer_store_dword v2, off, s[0:3], 0 offset:272
	buffer_store_dword v3, off, s[0:3], 0 offset:276
	s_and_saveexec_b64 s[4:5], vcc
	s_cbranch_execz .LBB125_319
; %bb.318:
	buffer_load_dword v2, off, s[0:3], 0 offset:264
	buffer_load_dword v3, off, s[0:3], 0 offset:268
	s_waitcnt vmcnt(0)
	ds_write_b64 v25, v[2:3]
	buffer_store_dword v1, off, s[0:3], 0 offset:264
	buffer_store_dword v1, off, s[0:3], 0 offset:268
.LBB125_319:
	s_or_b64 exec, exec, s[4:5]
	s_waitcnt lgkmcnt(0)
	; wave barrier
	buffer_load_dword v22, off, s[0:3], 0 offset:276
	buffer_load_dword v23, off, s[0:3], 0 offset:284
	;; [unrolled: 1-line block ×34, first 2 shown]
	ds_read_b128 v[2:5], v1 offset:768
	ds_read_b128 v[6:9], v1 offset:784
	buffer_load_dword v93, off, s[0:3], 0 offset:404
	buffer_load_dword v94, off, s[0:3], 0 offset:400
	;; [unrolled: 1-line block ×6, first 2 shown]
	ds_read_b128 v[10:13], v1 offset:800
	ds_read_b128 v[14:17], v1 offset:816
	;; [unrolled: 1-line block ×4, first 2 shown]
	buffer_load_dword v99, off, s[0:3], 0 offset:428
	buffer_load_dword v100, off, s[0:3], 0 offset:424
	;; [unrolled: 1-line block ×18, first 2 shown]
	v_cmp_lt_u32_e32 vcc, 32, v0
	s_waitcnt vmcnt(57) lgkmcnt(5)
	v_mul_f32_e32 v30, v2, v22
	s_waitcnt vmcnt(56)
	v_mul_f32_e32 v31, v4, v23
	s_waitcnt vmcnt(55) lgkmcnt(4)
	v_mul_f32_e32 v32, v6, v24
	s_waitcnt vmcnt(54)
	v_mul_f32_e32 v33, v8, v62
	;; [unrolled: 4-line block ×4, first 2 shown]
	s_waitcnt vmcnt(49)
	v_fmac_f32_e32 v30, v3, v67
	s_waitcnt vmcnt(48)
	v_fmac_f32_e32 v31, v5, v68
	v_add_f32_e32 v30, 0, v30
	s_waitcnt vmcnt(47)
	v_fmac_f32_e32 v32, v7, v69
	v_add_f32_e32 v30, v30, v31
	s_waitcnt vmcnt(46)
	v_fmac_f32_e32 v33, v9, v70
	v_add_f32_e32 v30, v30, v32
	s_waitcnt vmcnt(45)
	v_fmac_f32_e32 v34, v11, v71
	v_add_f32_e32 v30, v30, v33
	v_mul_f32_e32 v3, v3, v22
	s_waitcnt vmcnt(44)
	v_fmac_f32_e32 v35, v13, v72
	v_add_f32_e32 v30, v30, v34
	v_fma_f32 v2, v2, v67, -v3
	v_mul_f32_e32 v3, v5, v23
	s_waitcnt vmcnt(43)
	v_fmac_f32_e32 v36, v15, v73
	v_add_f32_e32 v30, v30, v35
	v_add_f32_e32 v2, 0, v2
	v_fma_f32 v3, v4, v68, -v3
	s_waitcnt vmcnt(42)
	v_fmac_f32_e32 v37, v17, v74
	v_add_f32_e32 v30, v30, v36
	s_waitcnt vmcnt(41) lgkmcnt(1)
	v_mul_f32_e32 v31, v18, v75
	v_add_f32_e32 v2, v2, v3
	v_mul_f32_e32 v3, v7, v24
	v_add_f32_e32 v30, v30, v37
	s_waitcnt vmcnt(40)
	v_fmac_f32_e32 v31, v19, v76
	v_fma_f32 v3, v6, v69, -v3
	v_add_f32_e32 v30, v30, v31
	s_waitcnt vmcnt(39)
	v_mul_f32_e32 v31, v20, v77
	v_add_f32_e32 v2, v2, v3
	v_mul_f32_e32 v3, v9, v62
	s_waitcnt vmcnt(38)
	v_fmac_f32_e32 v31, v21, v78
	v_fma_f32 v3, v8, v70, -v3
	v_add_f32_e32 v30, v30, v31
	s_waitcnt vmcnt(37) lgkmcnt(0)
	v_mul_f32_e32 v31, v26, v79
	v_add_f32_e32 v2, v2, v3
	v_mul_f32_e32 v3, v11, v63
	s_waitcnt vmcnt(36)
	v_fmac_f32_e32 v31, v27, v80
	v_fma_f32 v3, v10, v71, -v3
	v_add_f32_e32 v34, v30, v31
	ds_read_b128 v[30:33], v1 offset:864
	v_add_f32_e32 v2, v2, v3
	v_mul_f32_e32 v3, v13, v64
	v_fma_f32 v3, v12, v72, -v3
	s_waitcnt vmcnt(35)
	v_mul_f32_e32 v35, v28, v81
	v_add_f32_e32 v2, v2, v3
	v_mul_f32_e32 v3, v15, v65
	s_waitcnt vmcnt(34)
	v_fmac_f32_e32 v35, v29, v82
	v_fma_f32 v3, v14, v73, -v3
	v_add_f32_e32 v38, v34, v35
	ds_read_b128 v[34:37], v1 offset:880
	v_add_f32_e32 v2, v2, v3
	v_mul_f32_e32 v3, v17, v66
	s_waitcnt vmcnt(33) lgkmcnt(1)
	v_mul_f32_e32 v39, v30, v83
	v_fma_f32 v3, v16, v74, -v3
	s_waitcnt vmcnt(32)
	v_fmac_f32_e32 v39, v31, v84
	v_add_f32_e32 v2, v2, v3
	v_mul_f32_e32 v3, v19, v75
	v_add_f32_e32 v38, v38, v39
	s_waitcnt vmcnt(31)
	v_mul_f32_e32 v39, v32, v85
	v_fma_f32 v3, v18, v76, -v3
	s_waitcnt vmcnt(30)
	v_fmac_f32_e32 v39, v33, v86
	v_add_f32_e32 v2, v2, v3
	v_mul_f32_e32 v3, v21, v77
	v_add_f32_e32 v38, v38, v39
	s_waitcnt vmcnt(29) lgkmcnt(0)
	v_mul_f32_e32 v39, v34, v87
	v_fma_f32 v3, v20, v78, -v3
	s_waitcnt vmcnt(28)
	v_fmac_f32_e32 v39, v35, v88
	v_add_f32_e32 v2, v2, v3
	v_mul_f32_e32 v3, v27, v79
	v_add_f32_e32 v42, v38, v39
	ds_read_b128 v[38:41], v1 offset:896
	v_fma_f32 v3, v26, v80, -v3
	v_add_f32_e32 v2, v2, v3
	v_mul_f32_e32 v3, v29, v81
	s_waitcnt vmcnt(25)
	v_mul_f32_e32 v43, v36, v91
	v_fma_f32 v3, v28, v82, -v3
	s_waitcnt vmcnt(24)
	v_fmac_f32_e32 v43, v37, v92
	v_add_f32_e32 v2, v2, v3
	v_mul_f32_e32 v3, v31, v83
	v_add_f32_e32 v46, v42, v43
	ds_read_b128 v[42:45], v1 offset:912
	v_fma_f32 v3, v30, v84, -v3
	s_waitcnt vmcnt(23) lgkmcnt(1)
	v_mul_f32_e32 v47, v38, v93
	v_add_f32_e32 v2, v2, v3
	v_mul_f32_e32 v3, v33, v85
	s_waitcnt vmcnt(22)
	v_fmac_f32_e32 v47, v39, v94
	v_fma_f32 v3, v32, v86, -v3
	v_add_f32_e32 v46, v46, v47
	s_waitcnt vmcnt(20)
	v_mul_f32_e32 v47, v40, v96
	v_add_f32_e32 v2, v2, v3
	v_mul_f32_e32 v3, v35, v87
	v_fmac_f32_e32 v47, v41, v95
	v_fma_f32 v3, v34, v88, -v3
	v_add_f32_e32 v46, v46, v47
	s_waitcnt vmcnt(18) lgkmcnt(0)
	v_mul_f32_e32 v47, v42, v98
	v_add_f32_e32 v2, v2, v3
	v_mul_f32_e32 v3, v37, v91
	v_fmac_f32_e32 v47, v43, v97
	v_fma_f32 v3, v36, v92, -v3
	v_add_f32_e32 v50, v46, v47
	ds_read_b128 v[46:49], v1 offset:928
	v_add_f32_e32 v2, v2, v3
	v_mul_f32_e32 v3, v39, v93
	v_fma_f32 v3, v38, v94, -v3
	s_waitcnt vmcnt(17)
	v_mul_f32_e32 v51, v44, v99
	v_add_f32_e32 v2, v2, v3
	v_mul_f32_e32 v3, v41, v96
	s_waitcnt vmcnt(16)
	v_fmac_f32_e32 v51, v45, v100
	v_fma_f32 v3, v40, v95, -v3
	v_add_f32_e32 v54, v50, v51
	ds_read_b128 v[50:53], v1 offset:944
	v_add_f32_e32 v2, v2, v3
	v_mul_f32_e32 v3, v43, v98
	s_waitcnt vmcnt(14) lgkmcnt(1)
	v_mul_f32_e32 v55, v46, v102
	v_fma_f32 v3, v42, v97, -v3
	v_fmac_f32_e32 v55, v47, v101
	v_add_f32_e32 v2, v2, v3
	v_mul_f32_e32 v3, v45, v99
	v_add_f32_e32 v54, v54, v55
	s_waitcnt vmcnt(12)
	v_mul_f32_e32 v55, v48, v104
	v_fma_f32 v3, v44, v100, -v3
	v_fmac_f32_e32 v55, v49, v103
	v_add_f32_e32 v2, v2, v3
	v_mul_f32_e32 v3, v47, v102
	v_add_f32_e32 v54, v54, v55
	s_waitcnt vmcnt(10) lgkmcnt(0)
	v_mul_f32_e32 v55, v50, v106
	v_fma_f32 v3, v46, v101, -v3
	v_fmac_f32_e32 v55, v51, v105
	v_add_f32_e32 v2, v2, v3
	v_mul_f32_e32 v3, v49, v104
	v_add_f32_e32 v58, v54, v55
	ds_read_b128 v[54:57], v1 offset:960
	v_fma_f32 v3, v48, v103, -v3
	v_add_f32_e32 v2, v2, v3
	v_mul_f32_e32 v3, v51, v106
	s_waitcnt vmcnt(8)
	v_mul_f32_e32 v59, v52, v108
	v_fma_f32 v3, v50, v105, -v3
	v_fmac_f32_e32 v59, v53, v107
	v_add_f32_e32 v2, v2, v3
	v_mul_f32_e32 v3, v53, v108
	v_add_f32_e32 v117, v58, v59
	ds_read_b128 v[58:61], v1 offset:976
	v_fma_f32 v3, v52, v107, -v3
	v_add_f32_e32 v2, v2, v3
	s_waitcnt vmcnt(6) lgkmcnt(1)
	v_mul_f32_e32 v3, v55, v110
	v_mul_f32_e32 v1, v54, v110
	v_fma_f32 v3, v54, v109, -v3
	v_fmac_f32_e32 v1, v55, v109
	v_add_f32_e32 v2, v2, v3
	s_waitcnt vmcnt(4)
	v_mul_f32_e32 v3, v57, v112
	v_add_f32_e32 v1, v117, v1
	v_mul_f32_e32 v117, v56, v112
	v_fma_f32 v3, v56, v111, -v3
	v_fmac_f32_e32 v117, v57, v111
	v_add_f32_e32 v2, v2, v3
	s_waitcnt vmcnt(2) lgkmcnt(0)
	v_mul_f32_e32 v3, v59, v114
	v_add_f32_e32 v1, v1, v117
	v_mul_f32_e32 v117, v58, v114
	v_fma_f32 v3, v58, v113, -v3
	v_fmac_f32_e32 v117, v59, v113
	v_add_f32_e32 v2, v2, v3
	s_waitcnt vmcnt(0)
	v_mul_f32_e32 v3, v61, v116
	v_add_f32_e32 v1, v1, v117
	v_mul_f32_e32 v117, v60, v116
	v_fma_f32 v3, v60, v115, -v3
	v_fmac_f32_e32 v117, v61, v115
	v_add_f32_e32 v2, v2, v3
	v_add_f32_e32 v1, v1, v117
	v_sub_f32_e32 v2, v89, v2
	v_sub_f32_e32 v1, v90, v1
	buffer_store_dword v2, off, s[0:3], 0 offset:264
	buffer_store_dword v1, off, s[0:3], 0 offset:268
	s_and_saveexec_b64 s[4:5], vcc
	s_cbranch_execz .LBB125_321
; %bb.320:
	buffer_load_dword v1, off, s[0:3], 0 offset:256
	buffer_load_dword v2, off, s[0:3], 0 offset:260
	v_mov_b32_e32 v3, 0
	buffer_store_dword v3, off, s[0:3], 0 offset:256
	buffer_store_dword v3, off, s[0:3], 0 offset:260
	s_waitcnt vmcnt(2)
	ds_write_b64 v25, v[1:2]
.LBB125_321:
	s_or_b64 exec, exec, s[4:5]
	s_waitcnt lgkmcnt(0)
	; wave barrier
	buffer_load_dword v24, off, s[0:3], 0 offset:268
	buffer_load_dword v62, off, s[0:3], 0 offset:276
	;; [unrolled: 1-line block ×60, first 2 shown]
	v_mov_b32_e32 v1, 0
	ds_read2_b64 v[2:5], v1 offset0:95 offset1:96
	ds_read2_b64 v[6:9], v1 offset0:97 offset1:98
	;; [unrolled: 1-line block ×12, first 2 shown]
	v_cmp_lt_u32_e32 vcc, 31, v0
	s_waitcnt vmcnt(59) lgkmcnt(11)
	v_mul_f32_e32 v22, v2, v24
	s_waitcnt vmcnt(58)
	v_mul_f32_e32 v23, v4, v62
	s_waitcnt vmcnt(57) lgkmcnt(10)
	v_mul_f32_e32 v26, v6, v63
	s_waitcnt vmcnt(56)
	v_mul_f32_e32 v27, v8, v64
	;; [unrolled: 4-line block ×3, first 2 shown]
	s_waitcnt vmcnt(53) lgkmcnt(8)
	v_mul_f32_e32 v30, v14, v67
	s_waitcnt vmcnt(52)
	v_fmac_f32_e32 v22, v3, v68
	v_mul_f32_e32 v3, v3, v24
	v_fma_f32 v2, v2, v68, -v3
	v_mul_f32_e32 v3, v5, v62
	v_add_f32_e32 v2, 0, v2
	s_waitcnt vmcnt(51)
	v_fma_f32 v3, v4, v69, -v3
	v_add_f32_e32 v2, v2, v3
	v_mul_f32_e32 v3, v7, v63
	s_waitcnt vmcnt(50)
	v_fma_f32 v3, v6, v70, -v3
	v_add_f32_e32 v2, v2, v3
	v_mul_f32_e32 v3, v9, v64
	s_waitcnt vmcnt(49)
	v_fma_f32 v3, v8, v71, -v3
	v_fmac_f32_e32 v23, v5, v69
	v_add_f32_e32 v22, 0, v22
	v_add_f32_e32 v2, v2, v3
	v_mul_f32_e32 v3, v11, v65
	v_fmac_f32_e32 v26, v7, v70
	v_add_f32_e32 v22, v22, v23
	s_waitcnt vmcnt(48)
	v_fma_f32 v3, v10, v72, -v3
	v_fmac_f32_e32 v27, v9, v71
	v_add_f32_e32 v22, v22, v26
	v_add_f32_e32 v2, v2, v3
	v_mul_f32_e32 v3, v13, v66
	v_fmac_f32_e32 v28, v11, v72
	v_add_f32_e32 v22, v22, v27
	s_waitcnt vmcnt(47)
	v_fma_f32 v3, v12, v73, -v3
	v_fmac_f32_e32 v29, v13, v73
	v_add_f32_e32 v22, v22, v28
	v_add_f32_e32 v2, v2, v3
	v_mul_f32_e32 v3, v15, v67
	s_waitcnt vmcnt(46)
	v_fmac_f32_e32 v30, v15, v74
	v_add_f32_e32 v22, v22, v29
	s_waitcnt vmcnt(45)
	v_mul_f32_e32 v23, v16, v75
	v_fma_f32 v3, v14, v74, -v3
	v_add_f32_e32 v22, v22, v30
	s_waitcnt vmcnt(44)
	v_fmac_f32_e32 v23, v17, v76
	ds_read2_b64 v[26:29], v1 offset0:105 offset1:106
	ds_read2_b64 v[30:33], v1 offset0:107 offset1:108
	v_add_f32_e32 v2, v2, v3
	v_mul_f32_e32 v3, v17, v75
	v_add_f32_e32 v22, v22, v23
	s_waitcnt vmcnt(43) lgkmcnt(9)
	v_mul_f32_e32 v23, v18, v77
	v_fma_f32 v3, v16, v76, -v3
	s_waitcnt vmcnt(42)
	v_fmac_f32_e32 v23, v19, v78
	v_add_f32_e32 v2, v2, v3
	v_mul_f32_e32 v3, v19, v77
	v_add_f32_e32 v22, v22, v23
	s_waitcnt vmcnt(41)
	v_mul_f32_e32 v23, v20, v79
	v_fma_f32 v3, v18, v78, -v3
	s_waitcnt vmcnt(40)
	v_fmac_f32_e32 v23, v21, v80
	v_add_f32_e32 v2, v2, v3
	v_mul_f32_e32 v3, v21, v79
	v_add_f32_e32 v22, v22, v23
	s_waitcnt vmcnt(39) lgkmcnt(1)
	v_mul_f32_e32 v23, v26, v81
	v_fma_f32 v3, v20, v80, -v3
	s_waitcnt vmcnt(38)
	v_fmac_f32_e32 v23, v27, v82
	v_add_f32_e32 v2, v2, v3
	v_mul_f32_e32 v3, v27, v81
	v_add_f32_e32 v22, v22, v23
	s_waitcnt vmcnt(37)
	v_mul_f32_e32 v23, v28, v83
	v_fma_f32 v3, v26, v82, -v3
	s_waitcnt vmcnt(36)
	v_fmac_f32_e32 v23, v29, v84
	v_add_f32_e32 v2, v2, v3
	v_mul_f32_e32 v3, v29, v83
	v_add_f32_e32 v22, v22, v23
	s_waitcnt vmcnt(34) lgkmcnt(0)
	v_mul_f32_e32 v23, v30, v86
	v_fma_f32 v3, v28, v84, -v3
	v_fmac_f32_e32 v23, v31, v85
	v_add_f32_e32 v2, v2, v3
	v_mul_f32_e32 v3, v31, v86
	v_add_f32_e32 v22, v22, v23
	s_waitcnt vmcnt(31)
	v_mul_f32_e32 v23, v32, v89
	v_fma_f32 v3, v30, v85, -v3
	s_waitcnt vmcnt(30)
	v_fmac_f32_e32 v23, v33, v90
	v_add_f32_e32 v2, v2, v3
	v_mul_f32_e32 v3, v33, v89
	v_add_f32_e32 v22, v22, v23
	s_waitcnt vmcnt(28)
	v_mul_f32_e32 v23, v34, v92
	v_fma_f32 v3, v32, v90, -v3
	v_fmac_f32_e32 v23, v35, v91
	v_add_f32_e32 v2, v2, v3
	v_mul_f32_e32 v3, v35, v92
	v_add_f32_e32 v22, v22, v23
	s_waitcnt vmcnt(26)
	v_mul_f32_e32 v23, v36, v94
	v_fma_f32 v3, v34, v91, -v3
	;; [unrolled: 7-line block ×12, first 2 shown]
	v_fmac_f32_e32 v23, v57, v113
	v_add_f32_e32 v2, v2, v3
	v_mul_f32_e32 v3, v57, v114
	v_add_f32_e32 v123, v22, v23
	ds_read_b64 v[22:23], v1 offset:984
	v_fma_f32 v3, v56, v113, -v3
	v_add_f32_e32 v2, v2, v3
	s_waitcnt vmcnt(4)
	v_mul_f32_e32 v3, v59, v116
	v_mul_f32_e32 v124, v58, v116
	v_fma_f32 v3, v58, v115, -v3
	v_fmac_f32_e32 v124, v59, v115
	v_add_f32_e32 v2, v2, v3
	s_waitcnt vmcnt(2)
	v_mul_f32_e32 v3, v61, v118
	v_add_f32_e32 v123, v123, v124
	v_mul_f32_e32 v124, v60, v118
	v_fma_f32 v3, v60, v117, -v3
	v_fmac_f32_e32 v124, v61, v117
	v_add_f32_e32 v2, v2, v3
	s_waitcnt vmcnt(0) lgkmcnt(0)
	v_mul_f32_e32 v3, v23, v122
	v_add_f32_e32 v123, v123, v124
	v_mul_f32_e32 v124, v22, v122
	v_fma_f32 v3, v22, v119, -v3
	v_fmac_f32_e32 v124, v23, v119
	v_add_f32_e32 v2, v2, v3
	v_add_f32_e32 v123, v123, v124
	v_sub_f32_e32 v2, v87, v2
	v_sub_f32_e32 v3, v88, v123
	buffer_store_dword v2, off, s[0:3], 0 offset:256
	buffer_store_dword v3, off, s[0:3], 0 offset:260
	s_and_saveexec_b64 s[4:5], vcc
	s_cbranch_execz .LBB125_323
; %bb.322:
	buffer_load_dword v2, off, s[0:3], 0 offset:248
	buffer_load_dword v3, off, s[0:3], 0 offset:252
	s_waitcnt vmcnt(0)
	ds_write_b64 v25, v[2:3]
	buffer_store_dword v1, off, s[0:3], 0 offset:248
	buffer_store_dword v1, off, s[0:3], 0 offset:252
.LBB125_323:
	s_or_b64 exec, exec, s[4:5]
	s_waitcnt lgkmcnt(0)
	; wave barrier
	buffer_load_dword v22, off, s[0:3], 0 offset:260
	buffer_load_dword v23, off, s[0:3], 0 offset:268
	;; [unrolled: 1-line block ×32, first 2 shown]
	ds_read_b128 v[2:5], v1 offset:752
	ds_read_b128 v[6:9], v1 offset:768
	;; [unrolled: 1-line block ×4, first 2 shown]
	buffer_load_dword v95, off, s[0:3], 0 offset:380
	buffer_load_dword v96, off, s[0:3], 0 offset:376
	;; [unrolled: 1-line block ×30, first 2 shown]
	v_cmp_lt_u32_e32 vcc, 30, v0
	s_waitcnt vmcnt(61) lgkmcnt(3)
	v_mul_f32_e32 v18, v2, v22
	s_waitcnt vmcnt(60)
	v_mul_f32_e32 v19, v4, v23
	s_waitcnt vmcnt(59) lgkmcnt(2)
	v_mul_f32_e32 v20, v6, v24
	s_waitcnt vmcnt(58)
	v_mul_f32_e32 v21, v8, v66
	;; [unrolled: 4-line block ×3, first 2 shown]
	s_waitcnt vmcnt(55) lgkmcnt(0)
	v_mul_f32_e32 v28, v14, v69
	s_waitcnt vmcnt(54)
	v_fmac_f32_e32 v18, v3, v70
	s_waitcnt vmcnt(53)
	v_fmac_f32_e32 v19, v5, v71
	v_add_f32_e32 v18, 0, v18
	s_waitcnt vmcnt(52)
	v_fmac_f32_e32 v20, v7, v72
	v_add_f32_e32 v18, v18, v19
	;; [unrolled: 3-line block ×6, first 2 shown]
	v_add_f32_e32 v26, v18, v28
	ds_read_b128 v[18:21], v1 offset:816
	s_waitcnt vmcnt(47)
	v_mul_f32_e32 v27, v16, v77
	s_waitcnt vmcnt(46)
	v_fmac_f32_e32 v27, v17, v78
	v_mul_f32_e32 v3, v3, v22
	v_add_f32_e32 v30, v26, v27
	ds_read_b128 v[26:29], v1 offset:832
	v_fma_f32 v2, v2, v70, -v3
	v_mul_f32_e32 v3, v5, v23
	s_waitcnt vmcnt(45) lgkmcnt(1)
	v_mul_f32_e32 v31, v18, v79
	v_add_f32_e32 v2, 0, v2
	v_fma_f32 v3, v4, v71, -v3
	s_waitcnt vmcnt(44)
	v_fmac_f32_e32 v31, v19, v80
	v_add_f32_e32 v2, v2, v3
	v_mul_f32_e32 v3, v7, v24
	v_add_f32_e32 v30, v30, v31
	s_waitcnt vmcnt(43)
	v_mul_f32_e32 v31, v20, v81
	v_fma_f32 v3, v6, v72, -v3
	s_waitcnt vmcnt(42)
	v_fmac_f32_e32 v31, v21, v82
	v_add_f32_e32 v2, v2, v3
	v_mul_f32_e32 v3, v9, v66
	v_add_f32_e32 v30, v30, v31
	s_waitcnt vmcnt(41) lgkmcnt(0)
	v_mul_f32_e32 v31, v26, v83
	v_fma_f32 v3, v8, v73, -v3
	s_waitcnt vmcnt(40)
	v_fmac_f32_e32 v31, v27, v84
	v_add_f32_e32 v2, v2, v3
	v_mul_f32_e32 v3, v11, v67
	v_add_f32_e32 v34, v30, v31
	ds_read_b128 v[30:33], v1 offset:848
	v_fma_f32 v3, v10, v74, -v3
	v_add_f32_e32 v2, v2, v3
	v_mul_f32_e32 v3, v13, v68
	s_waitcnt vmcnt(39)
	v_mul_f32_e32 v35, v28, v85
	v_fma_f32 v3, v12, v75, -v3
	s_waitcnt vmcnt(38)
	v_fmac_f32_e32 v35, v29, v86
	v_add_f32_e32 v2, v2, v3
	v_mul_f32_e32 v3, v15, v69
	v_add_f32_e32 v38, v34, v35
	ds_read_b128 v[34:37], v1 offset:864
	v_fma_f32 v3, v14, v76, -v3
	s_waitcnt vmcnt(35) lgkmcnt(1)
	v_mul_f32_e32 v39, v30, v89
	v_add_f32_e32 v2, v2, v3
	v_mul_f32_e32 v3, v17, v77
	s_waitcnt vmcnt(34)
	v_fmac_f32_e32 v39, v31, v90
	v_fma_f32 v3, v16, v78, -v3
	v_add_f32_e32 v38, v38, v39
	s_waitcnt vmcnt(32)
	v_mul_f32_e32 v39, v32, v92
	v_add_f32_e32 v2, v2, v3
	v_mul_f32_e32 v3, v19, v79
	v_fmac_f32_e32 v39, v33, v91
	v_fma_f32 v3, v18, v80, -v3
	v_add_f32_e32 v38, v38, v39
	s_waitcnt vmcnt(30) lgkmcnt(0)
	v_mul_f32_e32 v39, v34, v94
	v_add_f32_e32 v2, v2, v3
	v_mul_f32_e32 v3, v21, v81
	v_fmac_f32_e32 v39, v35, v93
	v_fma_f32 v3, v20, v82, -v3
	v_add_f32_e32 v42, v38, v39
	ds_read_b128 v[38:41], v1 offset:880
	v_add_f32_e32 v2, v2, v3
	v_mul_f32_e32 v3, v27, v83
	v_fma_f32 v3, v26, v84, -v3
	s_waitcnt vmcnt(29)
	v_mul_f32_e32 v43, v36, v95
	v_add_f32_e32 v2, v2, v3
	v_mul_f32_e32 v3, v29, v85
	s_waitcnt vmcnt(28)
	v_fmac_f32_e32 v43, v37, v96
	v_fma_f32 v3, v28, v86, -v3
	v_add_f32_e32 v46, v42, v43
	ds_read_b128 v[42:45], v1 offset:896
	v_add_f32_e32 v2, v2, v3
	v_mul_f32_e32 v3, v31, v89
	s_waitcnt vmcnt(26) lgkmcnt(1)
	v_mul_f32_e32 v47, v38, v98
	v_fma_f32 v3, v30, v90, -v3
	v_fmac_f32_e32 v47, v39, v97
	v_add_f32_e32 v2, v2, v3
	v_mul_f32_e32 v3, v33, v92
	v_add_f32_e32 v46, v46, v47
	s_waitcnt vmcnt(24)
	v_mul_f32_e32 v47, v40, v100
	v_fma_f32 v3, v32, v91, -v3
	v_fmac_f32_e32 v47, v41, v99
	v_add_f32_e32 v2, v2, v3
	v_mul_f32_e32 v3, v35, v94
	v_add_f32_e32 v46, v46, v47
	s_waitcnt vmcnt(22) lgkmcnt(0)
	v_mul_f32_e32 v47, v42, v102
	v_fma_f32 v3, v34, v93, -v3
	v_fmac_f32_e32 v47, v43, v101
	v_add_f32_e32 v2, v2, v3
	v_mul_f32_e32 v3, v37, v95
	v_add_f32_e32 v50, v46, v47
	ds_read_b128 v[46:49], v1 offset:912
	v_fma_f32 v3, v36, v96, -v3
	v_add_f32_e32 v2, v2, v3
	v_mul_f32_e32 v3, v39, v98
	s_waitcnt vmcnt(20)
	v_mul_f32_e32 v51, v44, v104
	v_fma_f32 v3, v38, v97, -v3
	v_fmac_f32_e32 v51, v45, v103
	v_add_f32_e32 v2, v2, v3
	v_mul_f32_e32 v3, v41, v100
	v_add_f32_e32 v54, v50, v51
	ds_read_b128 v[50:53], v1 offset:928
	v_fma_f32 v3, v40, v99, -v3
	s_waitcnt vmcnt(18) lgkmcnt(1)
	v_mul_f32_e32 v55, v46, v106
	v_add_f32_e32 v2, v2, v3
	v_mul_f32_e32 v3, v43, v102
	v_fmac_f32_e32 v55, v47, v105
	v_fma_f32 v3, v42, v101, -v3
	v_add_f32_e32 v54, v54, v55
	s_waitcnt vmcnt(16)
	v_mul_f32_e32 v55, v48, v108
	v_add_f32_e32 v2, v2, v3
	v_mul_f32_e32 v3, v45, v104
	v_fmac_f32_e32 v55, v49, v107
	v_fma_f32 v3, v44, v103, -v3
	v_add_f32_e32 v54, v54, v55
	s_waitcnt vmcnt(14) lgkmcnt(0)
	v_mul_f32_e32 v55, v50, v110
	v_add_f32_e32 v2, v2, v3
	v_mul_f32_e32 v3, v47, v106
	v_fmac_f32_e32 v55, v51, v109
	v_fma_f32 v3, v46, v105, -v3
	v_add_f32_e32 v58, v54, v55
	ds_read_b128 v[54:57], v1 offset:944
	v_add_f32_e32 v2, v2, v3
	v_mul_f32_e32 v3, v49, v108
	v_fma_f32 v3, v48, v107, -v3
	v_add_f32_e32 v2, v2, v3
	v_mul_f32_e32 v3, v51, v110
	s_waitcnt vmcnt(12)
	v_mul_f32_e32 v59, v52, v112
	v_fma_f32 v3, v50, v109, -v3
	v_fmac_f32_e32 v59, v53, v111
	v_add_f32_e32 v2, v2, v3
	v_mul_f32_e32 v3, v53, v112
	v_add_f32_e32 v62, v58, v59
	ds_read_b128 v[58:61], v1 offset:960
	s_waitcnt vmcnt(10) lgkmcnt(1)
	v_mul_f32_e32 v63, v54, v114
	v_fma_f32 v3, v52, v111, -v3
	v_fmac_f32_e32 v63, v55, v113
	v_add_f32_e32 v2, v2, v3
	v_mul_f32_e32 v3, v55, v114
	v_add_f32_e32 v62, v62, v63
	s_waitcnt vmcnt(8)
	v_mul_f32_e32 v63, v56, v116
	v_fma_f32 v3, v54, v113, -v3
	v_fmac_f32_e32 v63, v57, v115
	v_add_f32_e32 v2, v2, v3
	v_mul_f32_e32 v3, v57, v116
	v_add_f32_e32 v127, v62, v63
	ds_read_b128 v[62:65], v1 offset:976
	v_fma_f32 v3, v56, v115, -v3
	v_add_f32_e32 v2, v2, v3
	s_waitcnt vmcnt(6) lgkmcnt(1)
	v_mul_f32_e32 v3, v59, v118
	v_mul_f32_e32 v128, v58, v118
	v_fma_f32 v3, v58, v117, -v3
	v_fmac_f32_e32 v128, v59, v117
	v_add_f32_e32 v2, v2, v3
	s_waitcnt vmcnt(4)
	v_mul_f32_e32 v3, v61, v122
	v_add_f32_e32 v1, v127, v128
	v_mul_f32_e32 v127, v60, v122
	v_fma_f32 v3, v60, v119, -v3
	v_fmac_f32_e32 v127, v61, v119
	v_add_f32_e32 v2, v2, v3
	s_waitcnt vmcnt(2) lgkmcnt(0)
	v_mul_f32_e32 v3, v63, v124
	v_add_f32_e32 v1, v1, v127
	v_mul_f32_e32 v127, v62, v124
	v_fma_f32 v3, v62, v123, -v3
	v_fmac_f32_e32 v127, v63, v123
	v_add_f32_e32 v2, v2, v3
	s_waitcnt vmcnt(0)
	v_mul_f32_e32 v3, v65, v126
	v_add_f32_e32 v1, v1, v127
	v_mul_f32_e32 v127, v64, v126
	v_fma_f32 v3, v64, v125, -v3
	v_fmac_f32_e32 v127, v65, v125
	v_add_f32_e32 v2, v2, v3
	v_add_f32_e32 v1, v1, v127
	v_sub_f32_e32 v2, v87, v2
	v_sub_f32_e32 v1, v88, v1
	buffer_store_dword v2, off, s[0:3], 0 offset:248
	buffer_store_dword v1, off, s[0:3], 0 offset:252
	s_and_saveexec_b64 s[4:5], vcc
	s_cbranch_execz .LBB125_325
; %bb.324:
	buffer_load_dword v1, off, s[0:3], 0 offset:240
	buffer_load_dword v2, off, s[0:3], 0 offset:244
	v_mov_b32_e32 v3, 0
	buffer_store_dword v3, off, s[0:3], 0 offset:240
	buffer_store_dword v3, off, s[0:3], 0 offset:244
	s_waitcnt vmcnt(2)
	ds_write_b64 v25, v[1:2]
.LBB125_325:
	s_or_b64 exec, exec, s[4:5]
	s_waitcnt lgkmcnt(0)
	; wave barrier
	buffer_load_dword v24, off, s[0:3], 0 offset:252
	buffer_load_dword v66, off, s[0:3], 0 offset:260
	;; [unrolled: 1-line block ×24, first 2 shown]
	v_mov_b32_e32 v1, 0
	buffer_load_dword v89, off, s[0:3], 0 offset:340
	buffer_load_dword v90, off, s[0:3], 0 offset:336
	;; [unrolled: 1-line block ×32, first 2 shown]
	ds_read2_b64 v[2:5], v1 offset0:93 offset1:94
	buffer_load_dword v123, off, s[0:3], 0 offset:464
	buffer_load_dword v124, off, s[0:3], 0 offset:468
	;; [unrolled: 1-line block ×4, first 2 shown]
	ds_read2_b64 v[6:9], v1 offset0:95 offset1:96
	ds_read2_b64 v[10:13], v1 offset0:97 offset1:98
	;; [unrolled: 1-line block ×3, first 2 shown]
	v_cmp_lt_u32_e32 vcc, 29, v0
	s_waitcnt vmcnt(59) lgkmcnt(3)
	v_mul_f32_e32 v18, v2, v24
	s_waitcnt vmcnt(58)
	v_mul_f32_e32 v19, v4, v66
	s_waitcnt vmcnt(57) lgkmcnt(2)
	v_mul_f32_e32 v20, v6, v67
	s_waitcnt vmcnt(56)
	v_mul_f32_e32 v21, v8, v68
	;; [unrolled: 4-line block ×4, first 2 shown]
	s_waitcnt vmcnt(51)
	v_fmac_f32_e32 v18, v3, v73
	s_waitcnt vmcnt(50)
	v_fmac_f32_e32 v19, v5, v74
	v_add_f32_e32 v18, 0, v18
	s_waitcnt vmcnt(49)
	v_fmac_f32_e32 v20, v7, v75
	v_add_f32_e32 v18, v18, v19
	;; [unrolled: 3-line block ×6, first 2 shown]
	v_add_f32_e32 v22, v18, v26
	ds_read2_b64 v[18:21], v1 offset0:101 offset1:102
	buffer_load_dword v127, off, s[0:3], 0 offset:484
	buffer_load_dword v128, off, s[0:3], 0 offset:480
	;; [unrolled: 1-line block ×4, first 2 shown]
	v_mul_f32_e32 v3, v3, v24
	v_fma_f32 v2, v2, v73, -v3
	v_mul_f32_e32 v3, v5, v66
	v_add_f32_e32 v2, 0, v2
	v_fma_f32 v3, v4, v74, -v3
	v_add_f32_e32 v2, v2, v3
	v_mul_f32_e32 v3, v7, v67
	v_fma_f32 v3, v6, v75, -v3
	v_add_f32_e32 v2, v2, v3
	v_mul_f32_e32 v3, v9, v68
	;; [unrolled: 3-line block ×5, first 2 shown]
	s_waitcnt vmcnt(48)
	v_fmac_f32_e32 v27, v17, v80
	v_fma_f32 v3, v14, v79, -v3
	v_add_f32_e32 v22, v22, v27
	ds_read2_b64 v[26:29], v1 offset0:103 offset1:104
	ds_read2_b64 v[30:33], v1 offset0:105 offset1:106
	v_add_f32_e32 v2, v2, v3
	v_mul_f32_e32 v3, v17, v72
	s_waitcnt vmcnt(47) lgkmcnt(2)
	v_mul_f32_e32 v23, v18, v81
	v_fma_f32 v3, v16, v80, -v3
	s_waitcnt vmcnt(46)
	v_fmac_f32_e32 v23, v19, v82
	v_add_f32_e32 v2, v2, v3
	v_mul_f32_e32 v3, v19, v81
	v_add_f32_e32 v22, v22, v23
	s_waitcnt vmcnt(45)
	v_mul_f32_e32 v23, v20, v83
	v_fma_f32 v3, v18, v82, -v3
	s_waitcnt vmcnt(44)
	v_fmac_f32_e32 v23, v21, v84
	v_add_f32_e32 v2, v2, v3
	v_mul_f32_e32 v3, v21, v83
	v_add_f32_e32 v22, v22, v23
	s_waitcnt vmcnt(42) lgkmcnt(1)
	v_mul_f32_e32 v23, v26, v86
	v_fma_f32 v3, v20, v84, -v3
	v_fmac_f32_e32 v23, v27, v85
	v_add_f32_e32 v2, v2, v3
	v_mul_f32_e32 v3, v27, v86
	v_add_f32_e32 v22, v22, v23
	s_waitcnt vmcnt(39)
	v_mul_f32_e32 v23, v28, v89
	v_fma_f32 v3, v26, v85, -v3
	s_waitcnt vmcnt(38)
	v_fmac_f32_e32 v23, v29, v90
	ds_read2_b64 v[34:37], v1 offset0:107 offset1:108
	ds_read2_b64 v[38:41], v1 offset0:109 offset1:110
	v_add_f32_e32 v2, v2, v3
	v_mul_f32_e32 v3, v29, v89
	v_add_f32_e32 v22, v22, v23
	s_waitcnt vmcnt(36) lgkmcnt(2)
	v_mul_f32_e32 v23, v30, v92
	v_fma_f32 v3, v28, v90, -v3
	v_fmac_f32_e32 v23, v31, v91
	v_add_f32_e32 v2, v2, v3
	v_mul_f32_e32 v3, v31, v92
	v_add_f32_e32 v22, v22, v23
	s_waitcnt vmcnt(34)
	v_mul_f32_e32 v23, v32, v94
	v_fma_f32 v3, v30, v91, -v3
	v_fmac_f32_e32 v23, v33, v93
	v_add_f32_e32 v2, v2, v3
	v_mul_f32_e32 v3, v33, v94
	v_add_f32_e32 v22, v22, v23
	s_waitcnt vmcnt(32) lgkmcnt(1)
	v_mul_f32_e32 v23, v34, v96
	v_fma_f32 v3, v32, v93, -v3
	v_fmac_f32_e32 v23, v35, v95
	v_add_f32_e32 v2, v2, v3
	v_mul_f32_e32 v3, v35, v96
	v_add_f32_e32 v22, v22, v23
	s_waitcnt vmcnt(30)
	v_mul_f32_e32 v23, v36, v98
	v_fma_f32 v3, v34, v95, -v3
	v_fmac_f32_e32 v23, v37, v97
	ds_read2_b64 v[42:45], v1 offset0:111 offset1:112
	ds_read2_b64 v[46:49], v1 offset0:113 offset1:114
	v_add_f32_e32 v2, v2, v3
	v_mul_f32_e32 v3, v37, v98
	v_add_f32_e32 v22, v22, v23
	s_waitcnt vmcnt(28) lgkmcnt(2)
	v_mul_f32_e32 v23, v38, v100
	v_fma_f32 v3, v36, v97, -v3
	v_fmac_f32_e32 v23, v39, v99
	v_add_f32_e32 v2, v2, v3
	v_mul_f32_e32 v3, v39, v100
	v_add_f32_e32 v22, v22, v23
	s_waitcnt vmcnt(26)
	v_mul_f32_e32 v23, v40, v102
	v_fma_f32 v3, v38, v99, -v3
	v_fmac_f32_e32 v23, v41, v101
	v_add_f32_e32 v2, v2, v3
	v_mul_f32_e32 v3, v41, v102
	v_add_f32_e32 v22, v22, v23
	s_waitcnt vmcnt(24) lgkmcnt(1)
	v_mul_f32_e32 v23, v42, v104
	v_fma_f32 v3, v40, v101, -v3
	v_fmac_f32_e32 v23, v43, v103
	v_add_f32_e32 v2, v2, v3
	v_mul_f32_e32 v3, v43, v104
	v_add_f32_e32 v22, v22, v23
	s_waitcnt vmcnt(22)
	v_mul_f32_e32 v23, v44, v106
	v_fma_f32 v3, v42, v103, -v3
	;; [unrolled: 30-line block ×4, first 2 shown]
	v_fmac_f32_e32 v23, v61, v123
	v_add_f32_e32 v2, v2, v3
	v_mul_f32_e32 v3, v61, v124
	v_add_f32_e32 v131, v22, v23
	ds_read_b64 v[22:23], v1 offset:984
	v_fma_f32 v3, v60, v123, -v3
	v_add_f32_e32 v2, v2, v3
	s_waitcnt vmcnt(4) lgkmcnt(1)
	v_mul_f32_e32 v3, v63, v126
	v_mul_f32_e32 v132, v62, v126
	v_fma_f32 v3, v62, v125, -v3
	v_fmac_f32_e32 v132, v63, v125
	v_add_f32_e32 v2, v2, v3
	s_waitcnt vmcnt(3)
	v_mul_f32_e32 v3, v65, v127
	v_add_f32_e32 v131, v131, v132
	v_mul_f32_e32 v132, v64, v127
	s_waitcnt vmcnt(2)
	v_fma_f32 v3, v64, v128, -v3
	v_fmac_f32_e32 v132, v65, v128
	v_add_f32_e32 v2, v2, v3
	s_waitcnt vmcnt(0) lgkmcnt(0)
	v_mul_f32_e32 v3, v23, v130
	v_add_f32_e32 v131, v131, v132
	v_mul_f32_e32 v132, v22, v130
	v_fma_f32 v3, v22, v129, -v3
	v_fmac_f32_e32 v132, v23, v129
	v_add_f32_e32 v2, v2, v3
	v_add_f32_e32 v131, v131, v132
	v_sub_f32_e32 v2, v87, v2
	v_sub_f32_e32 v3, v88, v131
	buffer_store_dword v2, off, s[0:3], 0 offset:240
	buffer_store_dword v3, off, s[0:3], 0 offset:244
	s_and_saveexec_b64 s[4:5], vcc
	s_cbranch_execz .LBB125_327
; %bb.326:
	buffer_load_dword v2, off, s[0:3], 0 offset:232
	buffer_load_dword v3, off, s[0:3], 0 offset:236
	s_waitcnt vmcnt(0)
	ds_write_b64 v25, v[2:3]
	buffer_store_dword v1, off, s[0:3], 0 offset:232
	buffer_store_dword v1, off, s[0:3], 0 offset:236
.LBB125_327:
	s_or_b64 exec, exec, s[4:5]
	s_waitcnt lgkmcnt(0)
	; wave barrier
	buffer_load_dword v22, off, s[0:3], 0 offset:300
	buffer_load_dword v23, off, s[0:3], 0 offset:244
	;; [unrolled: 1-line block ×32, first 2 shown]
	ds_read_b128 v[2:5], v1 offset:736
	ds_read_b128 v[6:9], v1 offset:752
	;; [unrolled: 1-line block ×4, first 2 shown]
	buffer_load_dword v99, off, s[0:3], 0 offset:360
	buffer_load_dword v100, off, s[0:3], 0 offset:364
	;; [unrolled: 1-line block ×32, first 2 shown]
	v_cmp_lt_u32_e32 vcc, 28, v0
	s_waitcnt vmcnt(62) lgkmcnt(0)
	v_mul_f32_e32 v29, v16, v22
	v_mul_f32_e32 v18, v2, v23
	s_waitcnt vmcnt(61)
	v_mul_f32_e32 v19, v4, v24
	s_waitcnt vmcnt(60)
	;; [unrolled: 2-line block ×3, first 2 shown]
	v_fmac_f32_e32 v20, v7, v71
	s_waitcnt vmcnt(58)
	v_fmac_f32_e32 v19, v5, v72
	s_waitcnt vmcnt(57)
	v_fmac_f32_e32 v18, v3, v73
	v_add_f32_e32 v18, 0, v18
	s_waitcnt vmcnt(56)
	v_mul_f32_e32 v21, v8, v74
	v_add_f32_e32 v18, v18, v19
	s_waitcnt vmcnt(55)
	v_mul_f32_e32 v26, v10, v75
	;; [unrolled: 3-line block ×3, first 2 shown]
	s_waitcnt vmcnt(50)
	v_fmac_f32_e32 v26, v11, v80
	s_waitcnt vmcnt(49)
	v_fmac_f32_e32 v21, v9, v81
	v_add_f32_e32 v18, v18, v21
	v_mul_f32_e32 v28, v14, v77
	v_fmac_f32_e32 v27, v13, v79
	v_add_f32_e32 v18, v18, v26
	v_fmac_f32_e32 v28, v15, v78
	v_add_f32_e32 v18, v18, v27
	s_waitcnt vmcnt(44)
	v_fmac_f32_e32 v29, v17, v86
	v_add_f32_e32 v26, v18, v28
	ds_read_b128 v[18:21], v1 offset:800
	v_add_f32_e32 v30, v26, v29
	ds_read_b128 v[26:29], v1 offset:816
	buffer_load_dword v133, off, s[0:3], 0 offset:488
	buffer_load_dword v134, off, s[0:3], 0 offset:492
	v_mul_f32_e32 v3, v3, v23
	s_waitcnt vmcnt(45) lgkmcnt(1)
	v_mul_f32_e32 v31, v18, v87
	v_fmac_f32_e32 v31, v19, v85
	v_fma_f32 v2, v2, v73, -v3
	v_mul_f32_e32 v3, v5, v24
	v_add_f32_e32 v30, v30, v31
	v_mul_f32_e32 v31, v20, v83
	v_add_f32_e32 v2, 0, v2
	v_fma_f32 v3, v4, v72, -v3
	v_fmac_f32_e32 v31, v21, v82
	v_add_f32_e32 v2, v2, v3
	v_mul_f32_e32 v3, v7, v70
	v_add_f32_e32 v30, v30, v31
	s_waitcnt vmcnt(44) lgkmcnt(0)
	v_mul_f32_e32 v31, v26, v88
	v_fma_f32 v3, v6, v71, -v3
	v_fmac_f32_e32 v31, v27, v84
	v_add_f32_e32 v2, v2, v3
	v_mul_f32_e32 v3, v9, v74
	v_add_f32_e32 v34, v30, v31
	ds_read_b128 v[30:33], v1 offset:832
	v_fma_f32 v3, v8, v81, -v3
	v_add_f32_e32 v2, v2, v3
	v_mul_f32_e32 v3, v11, v75
	s_waitcnt vmcnt(40)
	v_mul_f32_e32 v35, v28, v92
	v_fma_f32 v3, v10, v80, -v3
	v_fmac_f32_e32 v35, v29, v91
	v_add_f32_e32 v2, v2, v3
	v_mul_f32_e32 v3, v13, v76
	v_add_f32_e32 v38, v34, v35
	ds_read_b128 v[34:37], v1 offset:848
	v_fma_f32 v3, v12, v79, -v3
	s_waitcnt vmcnt(39) lgkmcnt(1)
	v_mul_f32_e32 v39, v30, v93
	v_add_f32_e32 v2, v2, v3
	v_mul_f32_e32 v3, v15, v77
	s_waitcnt vmcnt(34)
	v_fmac_f32_e32 v39, v31, v98
	v_fma_f32 v3, v14, v78, -v3
	v_add_f32_e32 v38, v38, v39
	v_mul_f32_e32 v39, v32, v95
	v_add_f32_e32 v2, v2, v3
	v_mul_f32_e32 v3, v17, v22
	v_fmac_f32_e32 v39, v33, v94
	v_fma_f32 v3, v16, v86, -v3
	v_add_f32_e32 v38, v38, v39
	s_waitcnt lgkmcnt(0)
	v_mul_f32_e32 v39, v34, v97
	v_add_f32_e32 v2, v2, v3
	v_mul_f32_e32 v3, v19, v87
	v_fmac_f32_e32 v39, v35, v96
	v_fma_f32 v3, v18, v85, -v3
	v_add_f32_e32 v42, v38, v39
	ds_read_b128 v[38:41], v1 offset:864
	v_add_f32_e32 v2, v2, v3
	v_mul_f32_e32 v3, v21, v83
	v_fma_f32 v3, v20, v82, -v3
	s_waitcnt vmcnt(32)
	v_mul_f32_e32 v43, v36, v100
	v_add_f32_e32 v2, v2, v3
	v_mul_f32_e32 v3, v27, v88
	v_fmac_f32_e32 v43, v37, v99
	v_fma_f32 v3, v26, v84, -v3
	v_add_f32_e32 v46, v42, v43
	ds_read_b128 v[42:45], v1 offset:880
	v_add_f32_e32 v2, v2, v3
	v_mul_f32_e32 v3, v29, v92
	s_waitcnt vmcnt(30) lgkmcnt(1)
	v_mul_f32_e32 v47, v38, v102
	v_fma_f32 v3, v28, v91, -v3
	v_fmac_f32_e32 v47, v39, v101
	v_add_f32_e32 v2, v2, v3
	v_mul_f32_e32 v3, v31, v93
	v_add_f32_e32 v46, v46, v47
	s_waitcnt vmcnt(28)
	v_mul_f32_e32 v47, v40, v104
	v_fma_f32 v3, v30, v98, -v3
	v_fmac_f32_e32 v47, v41, v103
	v_add_f32_e32 v2, v2, v3
	v_mul_f32_e32 v3, v33, v95
	v_add_f32_e32 v46, v46, v47
	s_waitcnt vmcnt(26) lgkmcnt(0)
	v_mul_f32_e32 v47, v42, v106
	v_fma_f32 v3, v32, v94, -v3
	v_fmac_f32_e32 v47, v43, v105
	v_add_f32_e32 v2, v2, v3
	v_mul_f32_e32 v3, v35, v97
	v_add_f32_e32 v50, v46, v47
	ds_read_b128 v[46:49], v1 offset:896
	v_fma_f32 v3, v34, v96, -v3
	v_add_f32_e32 v2, v2, v3
	v_mul_f32_e32 v3, v37, v100
	s_waitcnt vmcnt(24)
	v_mul_f32_e32 v51, v44, v108
	v_fma_f32 v3, v36, v99, -v3
	v_fmac_f32_e32 v51, v45, v107
	v_add_f32_e32 v2, v2, v3
	v_mul_f32_e32 v3, v39, v102
	v_add_f32_e32 v54, v50, v51
	ds_read_b128 v[50:53], v1 offset:912
	v_fma_f32 v3, v38, v101, -v3
	s_waitcnt vmcnt(22) lgkmcnt(1)
	v_mul_f32_e32 v55, v46, v110
	v_add_f32_e32 v2, v2, v3
	v_mul_f32_e32 v3, v41, v104
	v_fmac_f32_e32 v55, v47, v109
	v_fma_f32 v3, v40, v103, -v3
	v_add_f32_e32 v54, v54, v55
	s_waitcnt vmcnt(20)
	v_mul_f32_e32 v55, v48, v112
	v_add_f32_e32 v2, v2, v3
	v_mul_f32_e32 v3, v43, v106
	v_fmac_f32_e32 v55, v49, v111
	v_fma_f32 v3, v42, v105, -v3
	v_add_f32_e32 v54, v54, v55
	s_waitcnt vmcnt(18) lgkmcnt(0)
	v_mul_f32_e32 v55, v50, v114
	v_add_f32_e32 v2, v2, v3
	v_mul_f32_e32 v3, v45, v108
	v_fmac_f32_e32 v55, v51, v113
	v_fma_f32 v3, v44, v107, -v3
	v_add_f32_e32 v58, v54, v55
	ds_read_b128 v[54:57], v1 offset:928
	v_add_f32_e32 v2, v2, v3
	v_mul_f32_e32 v3, v47, v110
	v_fma_f32 v3, v46, v109, -v3
	s_waitcnt vmcnt(16)
	v_mul_f32_e32 v59, v52, v116
	v_add_f32_e32 v2, v2, v3
	v_mul_f32_e32 v3, v49, v112
	v_fmac_f32_e32 v59, v53, v115
	v_fma_f32 v3, v48, v111, -v3
	v_add_f32_e32 v62, v58, v59
	ds_read_b128 v[58:61], v1 offset:944
	v_add_f32_e32 v2, v2, v3
	v_mul_f32_e32 v3, v51, v114
	s_waitcnt vmcnt(14) lgkmcnt(1)
	v_mul_f32_e32 v63, v54, v118
	v_fma_f32 v3, v50, v113, -v3
	v_fmac_f32_e32 v63, v55, v117
	v_add_f32_e32 v2, v2, v3
	v_mul_f32_e32 v3, v53, v116
	v_add_f32_e32 v62, v62, v63
	s_waitcnt vmcnt(12)
	v_mul_f32_e32 v63, v56, v122
	v_fma_f32 v3, v52, v115, -v3
	v_fmac_f32_e32 v63, v57, v119
	v_add_f32_e32 v2, v2, v3
	v_mul_f32_e32 v3, v55, v118
	v_add_f32_e32 v62, v62, v63
	s_waitcnt vmcnt(10) lgkmcnt(0)
	v_mul_f32_e32 v63, v58, v124
	v_fma_f32 v3, v54, v117, -v3
	v_fmac_f32_e32 v63, v59, v123
	v_add_f32_e32 v2, v2, v3
	v_mul_f32_e32 v3, v57, v122
	v_add_f32_e32 v66, v62, v63
	ds_read_b128 v[62:65], v1 offset:960
	v_fma_f32 v3, v56, v119, -v3
	v_add_f32_e32 v2, v2, v3
	v_mul_f32_e32 v3, v59, v124
	s_waitcnt vmcnt(8)
	v_mul_f32_e32 v67, v60, v126
	v_fma_f32 v3, v58, v123, -v3
	v_fmac_f32_e32 v67, v61, v125
	v_add_f32_e32 v2, v2, v3
	v_mul_f32_e32 v3, v61, v126
	v_add_f32_e32 v135, v66, v67
	ds_read_b128 v[66:69], v1 offset:976
	v_fma_f32 v3, v60, v125, -v3
	v_add_f32_e32 v2, v2, v3
	s_waitcnt vmcnt(6) lgkmcnt(1)
	v_mul_f32_e32 v3, v63, v128
	v_mul_f32_e32 v1, v62, v128
	v_fma_f32 v3, v62, v127, -v3
	v_fmac_f32_e32 v1, v63, v127
	v_add_f32_e32 v2, v2, v3
	s_waitcnt vmcnt(5)
	v_mul_f32_e32 v3, v65, v129
	v_add_f32_e32 v1, v135, v1
	v_mul_f32_e32 v135, v64, v129
	s_waitcnt vmcnt(2)
	v_fma_f32 v3, v64, v132, -v3
	v_fmac_f32_e32 v135, v65, v132
	v_add_f32_e32 v2, v2, v3
	s_waitcnt lgkmcnt(0)
	v_mul_f32_e32 v3, v67, v131
	v_add_f32_e32 v1, v1, v135
	v_mul_f32_e32 v135, v66, v131
	v_fma_f32 v3, v66, v130, -v3
	v_fmac_f32_e32 v135, v67, v130
	v_add_f32_e32 v2, v2, v3
	s_waitcnt vmcnt(0)
	v_mul_f32_e32 v3, v69, v134
	v_add_f32_e32 v1, v1, v135
	v_mul_f32_e32 v135, v68, v134
	v_fma_f32 v3, v68, v133, -v3
	v_fmac_f32_e32 v135, v69, v133
	v_add_f32_e32 v2, v2, v3
	v_add_f32_e32 v1, v1, v135
	v_sub_f32_e32 v2, v89, v2
	v_sub_f32_e32 v1, v90, v1
	buffer_store_dword v2, off, s[0:3], 0 offset:232
	buffer_store_dword v1, off, s[0:3], 0 offset:236
	s_and_saveexec_b64 s[4:5], vcc
	s_cbranch_execz .LBB125_329
; %bb.328:
	buffer_load_dword v1, off, s[0:3], 0 offset:224
	buffer_load_dword v2, off, s[0:3], 0 offset:228
	v_mov_b32_e32 v3, 0
	buffer_store_dword v3, off, s[0:3], 0 offset:224
	buffer_store_dword v3, off, s[0:3], 0 offset:228
	s_waitcnt vmcnt(2)
	ds_write_b64 v25, v[1:2]
.LBB125_329:
	s_or_b64 exec, exec, s[4:5]
	s_waitcnt lgkmcnt(0)
	; wave barrier
	buffer_load_dword v24, off, s[0:3], 0 offset:292
	buffer_load_dword v70, off, s[0:3], 0 offset:236
	;; [unrolled: 1-line block ×58, first 2 shown]
	v_mov_b32_e32 v1, 0
	ds_read2_b64 v[2:5], v1 offset0:91 offset1:92
	ds_read2_b64 v[6:9], v1 offset0:93 offset1:94
	;; [unrolled: 1-line block ×5, first 2 shown]
	buffer_load_dword v129, off, s[0:3], 0 offset:456
	buffer_load_dword v130, off, s[0:3], 0 offset:460
	;; [unrolled: 1-line block ×6, first 2 shown]
	v_cmp_lt_u32_e32 vcc, 27, v0
	s_waitcnt vmcnt(62) lgkmcnt(1)
	v_mul_f32_e32 v31, v16, v24
	v_mul_f32_e32 v22, v2, v70
	s_waitcnt vmcnt(61)
	v_mul_f32_e32 v23, v4, v71
	s_waitcnt vmcnt(60)
	;; [unrolled: 2-line block ×3, first 2 shown]
	v_fmac_f32_e32 v26, v7, v73
	s_waitcnt vmcnt(58)
	v_fmac_f32_e32 v23, v5, v74
	s_waitcnt vmcnt(57)
	v_fmac_f32_e32 v22, v3, v75
	v_add_f32_e32 v22, 0, v22
	s_waitcnt vmcnt(56)
	v_mul_f32_e32 v27, v8, v76
	v_add_f32_e32 v22, v22, v23
	s_waitcnt vmcnt(55)
	v_mul_f32_e32 v28, v10, v77
	;; [unrolled: 3-line block ×3, first 2 shown]
	s_waitcnt vmcnt(50)
	v_fmac_f32_e32 v28, v11, v82
	s_waitcnt vmcnt(49)
	v_fmac_f32_e32 v27, v9, v83
	v_add_f32_e32 v22, v22, v27
	v_fmac_f32_e32 v29, v13, v81
	v_add_f32_e32 v22, v22, v28
	v_add_f32_e32 v22, v22, v29
	ds_read2_b64 v[26:29], v1 offset0:101 offset1:102
	buffer_load_dword v135, off, s[0:3], 0 offset:484
	buffer_load_dword v136, off, s[0:3], 0 offset:488
	;; [unrolled: 1-line block ×4, first 2 shown]
	v_mul_f32_e32 v3, v3, v70
	v_fma_f32 v2, v2, v75, -v3
	v_mul_f32_e32 v3, v5, v71
	v_add_f32_e32 v2, 0, v2
	v_fma_f32 v3, v4, v74, -v3
	v_add_f32_e32 v2, v2, v3
	v_mul_f32_e32 v3, v7, v72
	v_fma_f32 v3, v6, v73, -v3
	v_add_f32_e32 v2, v2, v3
	v_mul_f32_e32 v3, v9, v76
	v_fma_f32 v3, v8, v83, -v3
	v_add_f32_e32 v2, v2, v3
	v_mul_f32_e32 v3, v11, v77
	v_fma_f32 v3, v10, v82, -v3
	v_add_f32_e32 v2, v2, v3
	v_mul_f32_e32 v3, v13, v78
	v_fma_f32 v3, v12, v81, -v3
	v_add_f32_e32 v2, v2, v3
	v_mul_f32_e32 v3, v15, v79
	v_mul_f32_e32 v30, v14, v79
	v_fma_f32 v3, v14, v80, -v3
	v_fmac_f32_e32 v30, v15, v80
	v_add_f32_e32 v2, v2, v3
	v_mul_f32_e32 v3, v17, v24
	s_waitcnt vmcnt(48)
	v_fmac_f32_e32 v31, v17, v88
	v_add_f32_e32 v22, v22, v30
	s_waitcnt vmcnt(47) lgkmcnt(1)
	v_mul_f32_e32 v23, v18, v89
	v_fma_f32 v3, v16, v88, -v3
	v_add_f32_e32 v22, v22, v31
	v_fmac_f32_e32 v23, v19, v87
	v_add_f32_e32 v2, v2, v3
	v_mul_f32_e32 v3, v19, v89
	v_add_f32_e32 v22, v22, v23
	s_waitcnt vmcnt(46)
	v_mul_f32_e32 v23, v20, v90
	v_fma_f32 v3, v18, v87, -v3
	v_fmac_f32_e32 v23, v21, v86
	ds_read2_b64 v[30:33], v1 offset0:103 offset1:104
	ds_read2_b64 v[34:37], v1 offset0:105 offset1:106
	v_add_f32_e32 v2, v2, v3
	v_mul_f32_e32 v3, v21, v90
	v_add_f32_e32 v22, v22, v23
	s_waitcnt lgkmcnt(2)
	v_mul_f32_e32 v23, v26, v85
	v_fma_f32 v3, v20, v86, -v3
	v_fmac_f32_e32 v23, v27, v84
	v_add_f32_e32 v2, v2, v3
	v_mul_f32_e32 v3, v27, v85
	v_add_f32_e32 v22, v22, v23
	s_waitcnt vmcnt(42)
	v_mul_f32_e32 v23, v28, v94
	v_fma_f32 v3, v26, v84, -v3
	v_fmac_f32_e32 v23, v29, v93
	v_add_f32_e32 v2, v2, v3
	v_mul_f32_e32 v3, v29, v94
	v_add_f32_e32 v22, v22, v23
	s_waitcnt vmcnt(40) lgkmcnt(1)
	v_mul_f32_e32 v23, v30, v96
	v_fma_f32 v3, v28, v93, -v3
	v_fmac_f32_e32 v23, v31, v95
	v_add_f32_e32 v2, v2, v3
	v_mul_f32_e32 v3, v31, v96
	v_add_f32_e32 v22, v22, v23
	s_waitcnt vmcnt(38)
	v_mul_f32_e32 v23, v32, v98
	v_fma_f32 v3, v30, v95, -v3
	v_fmac_f32_e32 v23, v33, v97
	ds_read2_b64 v[38:41], v1 offset0:107 offset1:108
	ds_read2_b64 v[42:45], v1 offset0:109 offset1:110
	v_add_f32_e32 v2, v2, v3
	v_mul_f32_e32 v3, v33, v98
	v_add_f32_e32 v22, v22, v23
	s_waitcnt vmcnt(36) lgkmcnt(2)
	v_mul_f32_e32 v23, v34, v100
	v_fma_f32 v3, v32, v97, -v3
	v_fmac_f32_e32 v23, v35, v99
	v_add_f32_e32 v2, v2, v3
	v_mul_f32_e32 v3, v35, v100
	v_add_f32_e32 v22, v22, v23
	s_waitcnt vmcnt(34)
	v_mul_f32_e32 v23, v36, v102
	v_fma_f32 v3, v34, v99, -v3
	v_fmac_f32_e32 v23, v37, v101
	v_add_f32_e32 v2, v2, v3
	v_mul_f32_e32 v3, v37, v102
	v_add_f32_e32 v22, v22, v23
	s_waitcnt vmcnt(32) lgkmcnt(1)
	v_mul_f32_e32 v23, v38, v104
	v_fma_f32 v3, v36, v101, -v3
	v_fmac_f32_e32 v23, v39, v103
	v_add_f32_e32 v2, v2, v3
	v_mul_f32_e32 v3, v39, v104
	v_add_f32_e32 v22, v22, v23
	s_waitcnt vmcnt(30)
	v_mul_f32_e32 v23, v40, v106
	v_fma_f32 v3, v38, v103, -v3
	v_fmac_f32_e32 v23, v41, v105
	ds_read2_b64 v[46:49], v1 offset0:111 offset1:112
	ds_read2_b64 v[50:53], v1 offset0:113 offset1:114
	v_add_f32_e32 v2, v2, v3
	v_mul_f32_e32 v3, v41, v106
	v_add_f32_e32 v22, v22, v23
	s_waitcnt vmcnt(28) lgkmcnt(2)
	v_mul_f32_e32 v23, v42, v108
	v_fma_f32 v3, v40, v105, -v3
	v_fmac_f32_e32 v23, v43, v107
	v_add_f32_e32 v2, v2, v3
	v_mul_f32_e32 v3, v43, v108
	v_add_f32_e32 v22, v22, v23
	s_waitcnt vmcnt(26)
	v_mul_f32_e32 v23, v44, v110
	v_fma_f32 v3, v42, v107, -v3
	v_fmac_f32_e32 v23, v45, v109
	v_add_f32_e32 v2, v2, v3
	v_mul_f32_e32 v3, v45, v110
	v_add_f32_e32 v22, v22, v23
	s_waitcnt vmcnt(24) lgkmcnt(1)
	v_mul_f32_e32 v23, v46, v112
	v_fma_f32 v3, v44, v109, -v3
	v_fmac_f32_e32 v23, v47, v111
	v_add_f32_e32 v2, v2, v3
	v_mul_f32_e32 v3, v47, v112
	v_add_f32_e32 v22, v22, v23
	s_waitcnt vmcnt(22)
	v_mul_f32_e32 v23, v48, v114
	v_fma_f32 v3, v46, v111, -v3
	v_fmac_f32_e32 v23, v49, v113
	ds_read2_b64 v[54:57], v1 offset0:115 offset1:116
	ds_read2_b64 v[58:61], v1 offset0:117 offset1:118
	v_add_f32_e32 v2, v2, v3
	v_mul_f32_e32 v3, v49, v114
	v_add_f32_e32 v22, v22, v23
	s_waitcnt vmcnt(20) lgkmcnt(2)
	v_mul_f32_e32 v23, v50, v116
	v_fma_f32 v3, v48, v113, -v3
	v_fmac_f32_e32 v23, v51, v115
	v_add_f32_e32 v2, v2, v3
	v_mul_f32_e32 v3, v51, v116
	v_add_f32_e32 v22, v22, v23
	s_waitcnt vmcnt(18)
	v_mul_f32_e32 v23, v52, v118
	v_fma_f32 v3, v50, v115, -v3
	v_fmac_f32_e32 v23, v53, v117
	v_add_f32_e32 v2, v2, v3
	v_mul_f32_e32 v3, v53, v118
	v_add_f32_e32 v22, v22, v23
	s_waitcnt vmcnt(16) lgkmcnt(1)
	v_mul_f32_e32 v23, v54, v122
	v_fma_f32 v3, v52, v117, -v3
	v_fmac_f32_e32 v23, v55, v119
	v_add_f32_e32 v2, v2, v3
	v_mul_f32_e32 v3, v55, v122
	v_add_f32_e32 v22, v22, v23
	s_waitcnt vmcnt(14)
	v_mul_f32_e32 v23, v56, v124
	v_fma_f32 v3, v54, v119, -v3
	v_fmac_f32_e32 v23, v57, v123
	ds_read2_b64 v[62:65], v1 offset0:119 offset1:120
	ds_read2_b64 v[66:69], v1 offset0:121 offset1:122
	v_add_f32_e32 v2, v2, v3
	v_mul_f32_e32 v3, v57, v124
	v_add_f32_e32 v22, v22, v23
	s_waitcnt vmcnt(12) lgkmcnt(2)
	v_mul_f32_e32 v23, v58, v126
	v_fma_f32 v3, v56, v123, -v3
	v_fmac_f32_e32 v23, v59, v125
	v_add_f32_e32 v2, v2, v3
	v_mul_f32_e32 v3, v59, v126
	v_add_f32_e32 v22, v22, v23
	s_waitcnt vmcnt(10)
	v_mul_f32_e32 v23, v60, v128
	v_fma_f32 v3, v58, v125, -v3
	v_fmac_f32_e32 v23, v61, v127
	v_add_f32_e32 v2, v2, v3
	v_mul_f32_e32 v3, v61, v128
	v_add_f32_e32 v22, v22, v23
	s_waitcnt vmcnt(8) lgkmcnt(1)
	v_mul_f32_e32 v23, v62, v130
	v_fma_f32 v3, v60, v127, -v3
	v_fmac_f32_e32 v23, v63, v129
	v_add_f32_e32 v2, v2, v3
	v_mul_f32_e32 v3, v63, v130
	v_add_f32_e32 v22, v22, v23
	s_waitcnt vmcnt(7)
	v_mul_f32_e32 v23, v64, v131
	v_fma_f32 v3, v62, v129, -v3
	s_waitcnt vmcnt(4)
	v_fmac_f32_e32 v23, v65, v134
	v_add_f32_e32 v2, v2, v3
	v_mul_f32_e32 v3, v65, v131
	v_add_f32_e32 v139, v22, v23
	ds_read_b64 v[22:23], v1 offset:984
	v_fma_f32 v3, v64, v134, -v3
	v_add_f32_e32 v2, v2, v3
	s_waitcnt lgkmcnt(1)
	v_mul_f32_e32 v3, v67, v133
	v_mul_f32_e32 v140, v66, v133
	v_fma_f32 v3, v66, v132, -v3
	v_fmac_f32_e32 v140, v67, v132
	v_add_f32_e32 v2, v2, v3
	s_waitcnt vmcnt(3)
	v_mul_f32_e32 v3, v69, v135
	v_add_f32_e32 v139, v139, v140
	v_mul_f32_e32 v140, v68, v135
	s_waitcnt vmcnt(0)
	v_fma_f32 v3, v68, v138, -v3
	v_fmac_f32_e32 v140, v69, v138
	v_add_f32_e32 v2, v2, v3
	s_waitcnt lgkmcnt(0)
	v_mul_f32_e32 v3, v23, v137
	v_add_f32_e32 v139, v139, v140
	v_mul_f32_e32 v140, v22, v137
	v_fma_f32 v3, v22, v136, -v3
	v_fmac_f32_e32 v140, v23, v136
	v_add_f32_e32 v2, v2, v3
	v_add_f32_e32 v139, v139, v140
	v_sub_f32_e32 v2, v91, v2
	v_sub_f32_e32 v3, v92, v139
	buffer_store_dword v2, off, s[0:3], 0 offset:224
	buffer_store_dword v3, off, s[0:3], 0 offset:228
	s_and_saveexec_b64 s[4:5], vcc
	s_cbranch_execz .LBB125_331
; %bb.330:
	buffer_load_dword v2, off, s[0:3], 0 offset:216
	buffer_load_dword v3, off, s[0:3], 0 offset:220
	s_waitcnt vmcnt(0)
	ds_write_b64 v25, v[2:3]
	buffer_store_dword v1, off, s[0:3], 0 offset:216
	buffer_store_dword v1, off, s[0:3], 0 offset:220
.LBB125_331:
	s_or_b64 exec, exec, s[4:5]
	s_waitcnt lgkmcnt(0)
	; wave barrier
	buffer_load_dword v22, off, s[0:3], 0 offset:228
	buffer_load_dword v23, off, s[0:3], 0 offset:236
	;; [unrolled: 1-line block ×32, first 2 shown]
	ds_read_b128 v[2:5], v1 offset:720
	ds_read_b128 v[6:9], v1 offset:736
	;; [unrolled: 1-line block ×6, first 2 shown]
	buffer_load_dword v103, off, s[0:3], 0 offset:344
	buffer_load_dword v104, off, s[0:3], 0 offset:348
	;; [unrolled: 1-line block ×38, first 2 shown]
	v_cmp_lt_u32_e32 vcc, 26, v0
	s_waitcnt vmcnt(62) lgkmcnt(5)
	v_mul_f32_e32 v30, v2, v22
	v_mul_f32_e32 v31, v4, v23
	s_waitcnt lgkmcnt(4)
	v_mul_f32_e32 v32, v6, v24
	v_mul_f32_e32 v33, v8, v74
	s_waitcnt lgkmcnt(3)
	;; [unrolled: 3-line block ×3, first 2 shown]
	v_mul_f32_e32 v36, v14, v77
	v_mul_f32_e32 v37, v16, v78
	s_waitcnt vmcnt(61)
	v_fmac_f32_e32 v32, v7, v79
	s_waitcnt vmcnt(60)
	v_fmac_f32_e32 v31, v5, v80
	;; [unrolled: 2-line block ×3, first 2 shown]
	v_add_f32_e32 v30, 0, v30
	v_add_f32_e32 v30, v30, v31
	;; [unrolled: 1-line block ×3, first 2 shown]
	s_waitcnt vmcnt(55)
	v_fmac_f32_e32 v33, v9, v85
	v_fmac_f32_e32 v34, v11, v84
	v_add_f32_e32 v30, v30, v33
	v_fmac_f32_e32 v35, v13, v83
	v_add_f32_e32 v30, v30, v34
	;; [unrolled: 2-line block ×3, first 2 shown]
	s_waitcnt vmcnt(51)
	v_fmac_f32_e32 v37, v17, v89
	v_add_f32_e32 v30, v30, v36
	s_waitcnt vmcnt(50) lgkmcnt(1)
	v_mul_f32_e32 v31, v18, v90
	v_add_f32_e32 v30, v30, v37
	v_fmac_f32_e32 v31, v19, v88
	v_mul_f32_e32 v3, v3, v22
	v_add_f32_e32 v30, v30, v31
	s_waitcnt vmcnt(49)
	v_mul_f32_e32 v31, v20, v91
	v_fma_f32 v2, v2, v81, -v3
	v_mul_f32_e32 v3, v5, v23
	v_fmac_f32_e32 v31, v21, v87
	v_add_f32_e32 v2, 0, v2
	v_fma_f32 v3, v4, v80, -v3
	v_add_f32_e32 v30, v30, v31
	s_waitcnt vmcnt(48) lgkmcnt(0)
	v_mul_f32_e32 v31, v26, v92
	v_add_f32_e32 v2, v2, v3
	v_mul_f32_e32 v3, v7, v24
	v_fmac_f32_e32 v31, v27, v86
	v_fma_f32 v3, v6, v79, -v3
	v_add_f32_e32 v34, v30, v31
	ds_read_b128 v[30:33], v1 offset:816
	v_add_f32_e32 v2, v2, v3
	v_mul_f32_e32 v3, v9, v74
	v_fma_f32 v3, v8, v85, -v3
	s_waitcnt vmcnt(45)
	v_mul_f32_e32 v35, v28, v95
	v_add_f32_e32 v2, v2, v3
	v_mul_f32_e32 v3, v11, v75
	s_waitcnt vmcnt(38)
	v_fmac_f32_e32 v35, v29, v102
	v_fma_f32 v3, v10, v84, -v3
	v_add_f32_e32 v38, v34, v35
	ds_read_b128 v[34:37], v1 offset:832
	v_add_f32_e32 v2, v2, v3
	v_mul_f32_e32 v3, v13, v76
	s_waitcnt lgkmcnt(1)
	v_mul_f32_e32 v39, v30, v97
	v_fma_f32 v3, v12, v83, -v3
	v_fmac_f32_e32 v39, v31, v96
	v_add_f32_e32 v2, v2, v3
	v_mul_f32_e32 v3, v15, v77
	v_add_f32_e32 v38, v38, v39
	v_mul_f32_e32 v39, v32, v99
	v_fma_f32 v3, v14, v82, -v3
	v_fmac_f32_e32 v39, v33, v98
	v_add_f32_e32 v2, v2, v3
	v_mul_f32_e32 v3, v17, v78
	v_add_f32_e32 v38, v38, v39
	s_waitcnt lgkmcnt(0)
	v_mul_f32_e32 v39, v34, v101
	v_fma_f32 v3, v16, v89, -v3
	v_fmac_f32_e32 v39, v35, v100
	v_add_f32_e32 v2, v2, v3
	v_mul_f32_e32 v3, v19, v90
	v_add_f32_e32 v42, v38, v39
	ds_read_b128 v[38:41], v1 offset:848
	v_fma_f32 v3, v18, v88, -v3
	v_add_f32_e32 v2, v2, v3
	v_mul_f32_e32 v3, v21, v91
	s_waitcnt vmcnt(36)
	v_mul_f32_e32 v43, v36, v104
	v_fma_f32 v3, v20, v87, -v3
	v_fmac_f32_e32 v43, v37, v103
	v_add_f32_e32 v2, v2, v3
	v_mul_f32_e32 v3, v27, v92
	v_add_f32_e32 v46, v42, v43
	ds_read_b128 v[42:45], v1 offset:864
	v_fma_f32 v3, v26, v86, -v3
	s_waitcnt vmcnt(34) lgkmcnt(1)
	v_mul_f32_e32 v47, v38, v106
	v_add_f32_e32 v2, v2, v3
	v_mul_f32_e32 v3, v29, v95
	v_fmac_f32_e32 v47, v39, v105
	v_fma_f32 v3, v28, v102, -v3
	v_add_f32_e32 v46, v46, v47
	s_waitcnt vmcnt(32)
	v_mul_f32_e32 v47, v40, v108
	v_add_f32_e32 v2, v2, v3
	v_mul_f32_e32 v3, v31, v97
	v_fmac_f32_e32 v47, v41, v107
	v_fma_f32 v3, v30, v96, -v3
	v_add_f32_e32 v46, v46, v47
	s_waitcnt vmcnt(30) lgkmcnt(0)
	v_mul_f32_e32 v47, v42, v110
	v_add_f32_e32 v2, v2, v3
	v_mul_f32_e32 v3, v33, v99
	v_fmac_f32_e32 v47, v43, v109
	v_fma_f32 v3, v32, v98, -v3
	v_add_f32_e32 v50, v46, v47
	ds_read_b128 v[46:49], v1 offset:880
	v_add_f32_e32 v2, v2, v3
	v_mul_f32_e32 v3, v35, v101
	v_fma_f32 v3, v34, v100, -v3
	s_waitcnt vmcnt(28)
	v_mul_f32_e32 v51, v44, v112
	v_add_f32_e32 v2, v2, v3
	v_mul_f32_e32 v3, v37, v104
	v_fmac_f32_e32 v51, v45, v111
	v_fma_f32 v3, v36, v103, -v3
	v_add_f32_e32 v54, v50, v51
	ds_read_b128 v[50:53], v1 offset:896
	v_add_f32_e32 v2, v2, v3
	v_mul_f32_e32 v3, v39, v106
	s_waitcnt vmcnt(26) lgkmcnt(1)
	v_mul_f32_e32 v55, v46, v114
	v_fma_f32 v3, v38, v105, -v3
	v_fmac_f32_e32 v55, v47, v113
	v_add_f32_e32 v2, v2, v3
	v_mul_f32_e32 v3, v41, v108
	v_add_f32_e32 v54, v54, v55
	s_waitcnt vmcnt(24)
	v_mul_f32_e32 v55, v48, v116
	v_fma_f32 v3, v40, v107, -v3
	v_fmac_f32_e32 v55, v49, v115
	v_add_f32_e32 v2, v2, v3
	v_mul_f32_e32 v3, v43, v110
	v_add_f32_e32 v54, v54, v55
	s_waitcnt vmcnt(22) lgkmcnt(0)
	v_mul_f32_e32 v55, v50, v118
	v_fma_f32 v3, v42, v109, -v3
	v_fmac_f32_e32 v55, v51, v117
	v_add_f32_e32 v2, v2, v3
	v_mul_f32_e32 v3, v45, v112
	v_add_f32_e32 v58, v54, v55
	ds_read_b128 v[54:57], v1 offset:912
	v_fma_f32 v3, v44, v111, -v3
	v_add_f32_e32 v2, v2, v3
	v_mul_f32_e32 v3, v47, v114
	s_waitcnt vmcnt(20)
	v_mul_f32_e32 v59, v52, v122
	v_fma_f32 v3, v46, v113, -v3
	v_fmac_f32_e32 v59, v53, v119
	v_add_f32_e32 v2, v2, v3
	v_mul_f32_e32 v3, v49, v116
	v_add_f32_e32 v62, v58, v59
	ds_read_b128 v[58:61], v1 offset:928
	v_fma_f32 v3, v48, v115, -v3
	s_waitcnt vmcnt(18) lgkmcnt(1)
	v_mul_f32_e32 v63, v54, v124
	v_add_f32_e32 v2, v2, v3
	v_mul_f32_e32 v3, v51, v118
	v_fmac_f32_e32 v63, v55, v123
	v_fma_f32 v3, v50, v117, -v3
	v_add_f32_e32 v62, v62, v63
	s_waitcnt vmcnt(16)
	v_mul_f32_e32 v63, v56, v126
	v_add_f32_e32 v2, v2, v3
	v_mul_f32_e32 v3, v53, v122
	v_fmac_f32_e32 v63, v57, v125
	v_fma_f32 v3, v52, v119, -v3
	v_add_f32_e32 v62, v62, v63
	s_waitcnt vmcnt(14) lgkmcnt(0)
	v_mul_f32_e32 v63, v58, v128
	v_add_f32_e32 v2, v2, v3
	v_mul_f32_e32 v3, v55, v124
	v_fmac_f32_e32 v63, v59, v127
	v_fma_f32 v3, v54, v123, -v3
	v_add_f32_e32 v66, v62, v63
	ds_read_b128 v[62:65], v1 offset:944
	v_add_f32_e32 v2, v2, v3
	v_mul_f32_e32 v3, v57, v126
	v_fma_f32 v3, v56, v125, -v3
	v_add_f32_e32 v2, v2, v3
	v_mul_f32_e32 v3, v59, v128
	s_waitcnt vmcnt(12)
	v_mul_f32_e32 v67, v60, v130
	v_fma_f32 v3, v58, v127, -v3
	v_fmac_f32_e32 v67, v61, v129
	v_add_f32_e32 v2, v2, v3
	v_mul_f32_e32 v3, v61, v130
	v_add_f32_e32 v70, v66, v67
	ds_read_b128 v[66:69], v1 offset:960
	s_waitcnt vmcnt(10) lgkmcnt(1)
	v_mul_f32_e32 v71, v62, v132
	v_fma_f32 v3, v60, v129, -v3
	v_fmac_f32_e32 v71, v63, v131
	v_add_f32_e32 v2, v2, v3
	v_mul_f32_e32 v3, v63, v132
	v_add_f32_e32 v70, v70, v71
	s_waitcnt vmcnt(9)
	v_mul_f32_e32 v71, v64, v133
	v_fma_f32 v3, v62, v131, -v3
	s_waitcnt vmcnt(6)
	v_fmac_f32_e32 v71, v65, v136
	v_add_f32_e32 v2, v2, v3
	v_mul_f32_e32 v3, v65, v133
	v_add_f32_e32 v143, v70, v71
	ds_read_b128 v[70:73], v1 offset:976
	v_fma_f32 v3, v64, v136, -v3
	v_add_f32_e32 v2, v2, v3
	s_waitcnt lgkmcnt(1)
	v_mul_f32_e32 v3, v67, v135
	v_mul_f32_e32 v144, v66, v135
	v_fma_f32 v3, v66, v134, -v3
	v_fmac_f32_e32 v144, v67, v134
	v_add_f32_e32 v2, v2, v3
	s_waitcnt vmcnt(4)
	v_mul_f32_e32 v3, v69, v138
	v_add_f32_e32 v1, v143, v144
	v_mul_f32_e32 v143, v68, v138
	v_fma_f32 v3, v68, v137, -v3
	v_fmac_f32_e32 v143, v69, v137
	v_add_f32_e32 v2, v2, v3
	s_waitcnt vmcnt(3) lgkmcnt(0)
	v_mul_f32_e32 v3, v71, v139
	v_add_f32_e32 v1, v1, v143
	v_mul_f32_e32 v143, v70, v139
	s_waitcnt vmcnt(0)
	v_fma_f32 v3, v70, v142, -v3
	v_fmac_f32_e32 v143, v71, v142
	v_add_f32_e32 v2, v2, v3
	v_mul_f32_e32 v3, v73, v141
	v_add_f32_e32 v1, v1, v143
	v_mul_f32_e32 v143, v72, v141
	v_fma_f32 v3, v72, v140, -v3
	v_fmac_f32_e32 v143, v73, v140
	v_add_f32_e32 v2, v2, v3
	v_add_f32_e32 v1, v1, v143
	v_sub_f32_e32 v2, v93, v2
	v_sub_f32_e32 v1, v94, v1
	buffer_store_dword v2, off, s[0:3], 0 offset:216
	buffer_store_dword v1, off, s[0:3], 0 offset:220
	s_and_saveexec_b64 s[4:5], vcc
	s_cbranch_execz .LBB125_333
; %bb.332:
	buffer_load_dword v1, off, s[0:3], 0 offset:208
	buffer_load_dword v2, off, s[0:3], 0 offset:212
	v_mov_b32_e32 v3, 0
	buffer_store_dword v3, off, s[0:3], 0 offset:208
	buffer_store_dword v3, off, s[0:3], 0 offset:212
	s_waitcnt vmcnt(2)
	ds_write_b64 v25, v[1:2]
.LBB125_333:
	s_or_b64 exec, exec, s[4:5]
	s_waitcnt lgkmcnt(0)
	; wave barrier
	buffer_load_dword v24, off, s[0:3], 0 offset:220
	buffer_load_dword v74, off, s[0:3], 0 offset:228
	;; [unrolled: 1-line block ×56, first 2 shown]
	v_mov_b32_e32 v1, 0
	ds_read2_b64 v[2:5], v1 offset0:89 offset1:90
	ds_read2_b64 v[6:9], v1 offset0:91 offset1:92
	;; [unrolled: 1-line block ×6, first 2 shown]
	buffer_load_dword v131, off, s[0:3], 0 offset:432
	buffer_load_dword v132, off, s[0:3], 0 offset:436
	buffer_load_dword v133, off, s[0:3], 0 offset:440
	buffer_load_dword v134, off, s[0:3], 0 offset:444
	buffer_load_dword v135, off, s[0:3], 0 offset:452
	buffer_load_dword v136, off, s[0:3], 0 offset:456
	buffer_load_dword v137, off, s[0:3], 0 offset:460
	buffer_load_dword v138, off, s[0:3], 0 offset:448
	buffer_load_dword v139, off, s[0:3], 0 offset:464
	buffer_load_dword v140, off, s[0:3], 0 offset:468
	buffer_load_dword v141, off, s[0:3], 0 offset:472
	buffer_load_dword v142, off, s[0:3], 0 offset:476
	buffer_load_dword v143, off, s[0:3], 0 offset:484
	buffer_load_dword v144, off, s[0:3], 0 offset:488
	buffer_load_dword v145, off, s[0:3], 0 offset:492
	buffer_load_dword v146, off, s[0:3], 0 offset:480
	ds_read2_b64 v[38:41], v1 offset0:105 offset1:106
	ds_read2_b64 v[42:45], v1 offset0:107 offset1:108
	;; [unrolled: 1-line block ×9, first 2 shown]
	v_cmp_lt_u32_e32 vcc, 25, v0
	s_waitcnt vmcnt(62) lgkmcnt(14)
	v_mul_f32_e32 v22, v2, v24
	v_mul_f32_e32 v23, v4, v74
	s_waitcnt lgkmcnt(13)
	v_mul_f32_e32 v30, v6, v75
	v_mul_f32_e32 v31, v8, v76
	s_waitcnt lgkmcnt(12)
	;; [unrolled: 3-line block ×4, first 2 shown]
	v_mul_f32_e32 v36, v18, v81
	v_fmac_f32_e32 v30, v7, v82
	s_waitcnt vmcnt(61)
	v_fmac_f32_e32 v23, v5, v83
	s_waitcnt vmcnt(60)
	v_fmac_f32_e32 v22, v3, v84
	v_mul_f32_e32 v3, v3, v24
	v_fma_f32 v2, v2, v84, -v3
	v_mul_f32_e32 v3, v5, v74
	v_add_f32_e32 v2, 0, v2
	v_fma_f32 v3, v4, v83, -v3
	v_add_f32_e32 v2, v2, v3
	v_mul_f32_e32 v3, v7, v75
	v_fma_f32 v3, v6, v82, -v3
	v_add_f32_e32 v2, v2, v3
	v_mul_f32_e32 v3, v9, v76
	s_waitcnt vmcnt(56)
	v_fma_f32 v3, v8, v88, -v3
	v_add_f32_e32 v2, v2, v3
	v_mul_f32_e32 v3, v11, v77
	v_fma_f32 v3, v10, v87, -v3
	v_add_f32_e32 v22, 0, v22
	v_add_f32_e32 v2, v2, v3
	v_mul_f32_e32 v3, v13, v78
	v_add_f32_e32 v22, v22, v23
	v_fma_f32 v3, v12, v86, -v3
	v_fmac_f32_e32 v31, v9, v88
	v_add_f32_e32 v22, v22, v30
	v_add_f32_e32 v2, v2, v3
	v_mul_f32_e32 v3, v15, v79
	v_fmac_f32_e32 v32, v11, v87
	v_add_f32_e32 v22, v22, v31
	v_fma_f32 v3, v14, v85, -v3
	v_fmac_f32_e32 v33, v13, v86
	v_add_f32_e32 v22, v22, v32
	v_add_f32_e32 v2, v2, v3
	v_mul_f32_e32 v3, v17, v80
	v_fmac_f32_e32 v34, v15, v85
	v_add_f32_e32 v22, v22, v33
	s_waitcnt vmcnt(52)
	v_fma_f32 v3, v16, v92, -v3
	v_fmac_f32_e32 v35, v17, v92
	v_add_f32_e32 v22, v22, v34
	v_add_f32_e32 v2, v2, v3
	v_mul_f32_e32 v3, v19, v81
	v_add_f32_e32 v22, v22, v35
	v_fmac_f32_e32 v36, v19, v91
	s_waitcnt vmcnt(51)
	v_mul_f32_e32 v23, v20, v93
	v_fma_f32 v3, v18, v91, -v3
	v_add_f32_e32 v22, v22, v36
	v_fmac_f32_e32 v23, v21, v90
	ds_read2_b64 v[30:33], v1 offset0:101 offset1:102
	ds_read2_b64 v[34:37], v1 offset0:103 offset1:104
	v_add_f32_e32 v2, v2, v3
	v_mul_f32_e32 v3, v21, v93
	v_add_f32_e32 v22, v22, v23
	s_waitcnt vmcnt(50) lgkmcnt(11)
	v_mul_f32_e32 v23, v26, v94
	v_fma_f32 v3, v20, v90, -v3
	v_fmac_f32_e32 v23, v27, v89
	v_add_f32_e32 v2, v2, v3
	v_mul_f32_e32 v3, v27, v94
	v_add_f32_e32 v22, v22, v23
	s_waitcnt vmcnt(46)
	v_mul_f32_e32 v23, v28, v98
	v_fma_f32 v3, v26, v89, -v3
	v_fmac_f32_e32 v23, v29, v97
	v_add_f32_e32 v2, v2, v3
	v_mul_f32_e32 v3, v29, v98
	v_add_f32_e32 v22, v22, v23
	s_waitcnt vmcnt(44) lgkmcnt(1)
	v_mul_f32_e32 v23, v30, v100
	v_fma_f32 v3, v28, v97, -v3
	v_fmac_f32_e32 v23, v31, v99
	v_add_f32_e32 v2, v2, v3
	v_mul_f32_e32 v3, v31, v100
	v_add_f32_e32 v22, v22, v23
	s_waitcnt vmcnt(42)
	v_mul_f32_e32 v23, v32, v102
	v_fma_f32 v3, v30, v99, -v3
	v_fmac_f32_e32 v23, v33, v101
	v_add_f32_e32 v2, v2, v3
	v_mul_f32_e32 v3, v33, v102
	v_add_f32_e32 v22, v22, v23
	s_waitcnt vmcnt(40) lgkmcnt(0)
	v_mul_f32_e32 v23, v34, v104
	v_fma_f32 v3, v32, v101, -v3
	v_fmac_f32_e32 v23, v35, v103
	v_add_f32_e32 v2, v2, v3
	v_mul_f32_e32 v3, v35, v104
	v_add_f32_e32 v22, v22, v23
	s_waitcnt vmcnt(38)
	v_mul_f32_e32 v23, v36, v106
	v_fma_f32 v3, v34, v103, -v3
	v_fmac_f32_e32 v23, v37, v105
	v_add_f32_e32 v2, v2, v3
	v_mul_f32_e32 v3, v37, v106
	v_add_f32_e32 v22, v22, v23
	s_waitcnt vmcnt(36)
	v_mul_f32_e32 v23, v38, v108
	v_fma_f32 v3, v36, v105, -v3
	v_fmac_f32_e32 v23, v39, v107
	v_add_f32_e32 v2, v2, v3
	v_mul_f32_e32 v3, v39, v108
	v_add_f32_e32 v22, v22, v23
	s_waitcnt vmcnt(34)
	v_mul_f32_e32 v23, v40, v110
	v_fma_f32 v3, v38, v107, -v3
	v_fmac_f32_e32 v23, v41, v109
	v_add_f32_e32 v2, v2, v3
	v_mul_f32_e32 v3, v41, v110
	v_add_f32_e32 v22, v22, v23
	s_waitcnt vmcnt(32)
	v_mul_f32_e32 v23, v42, v112
	v_fma_f32 v3, v40, v109, -v3
	v_fmac_f32_e32 v23, v43, v111
	v_add_f32_e32 v2, v2, v3
	v_mul_f32_e32 v3, v43, v112
	v_add_f32_e32 v22, v22, v23
	s_waitcnt vmcnt(30)
	v_mul_f32_e32 v23, v44, v114
	v_fma_f32 v3, v42, v111, -v3
	v_fmac_f32_e32 v23, v45, v113
	v_add_f32_e32 v2, v2, v3
	v_mul_f32_e32 v3, v45, v114
	v_add_f32_e32 v22, v22, v23
	s_waitcnt vmcnt(28)
	v_mul_f32_e32 v23, v46, v116
	v_fma_f32 v3, v44, v113, -v3
	v_fmac_f32_e32 v23, v47, v115
	v_add_f32_e32 v2, v2, v3
	v_mul_f32_e32 v3, v47, v116
	v_add_f32_e32 v22, v22, v23
	s_waitcnt vmcnt(26)
	v_mul_f32_e32 v23, v48, v118
	v_fma_f32 v3, v46, v115, -v3
	v_fmac_f32_e32 v23, v49, v117
	v_add_f32_e32 v2, v2, v3
	v_mul_f32_e32 v3, v49, v118
	v_add_f32_e32 v22, v22, v23
	s_waitcnt vmcnt(24)
	v_mul_f32_e32 v23, v50, v122
	v_fma_f32 v3, v48, v117, -v3
	v_fmac_f32_e32 v23, v51, v119
	v_add_f32_e32 v2, v2, v3
	v_mul_f32_e32 v3, v51, v122
	v_add_f32_e32 v22, v22, v23
	s_waitcnt vmcnt(22)
	v_mul_f32_e32 v23, v52, v124
	v_fma_f32 v3, v50, v119, -v3
	v_fmac_f32_e32 v23, v53, v123
	v_add_f32_e32 v2, v2, v3
	v_mul_f32_e32 v3, v53, v124
	v_add_f32_e32 v22, v22, v23
	s_waitcnt vmcnt(20)
	v_mul_f32_e32 v23, v54, v126
	v_fma_f32 v3, v52, v123, -v3
	v_fmac_f32_e32 v23, v55, v125
	v_add_f32_e32 v2, v2, v3
	v_mul_f32_e32 v3, v55, v126
	v_add_f32_e32 v22, v22, v23
	s_waitcnt vmcnt(18)
	v_mul_f32_e32 v23, v56, v128
	v_fma_f32 v3, v54, v125, -v3
	v_fmac_f32_e32 v23, v57, v127
	v_add_f32_e32 v2, v2, v3
	v_mul_f32_e32 v3, v57, v128
	v_add_f32_e32 v22, v22, v23
	s_waitcnt vmcnt(16)
	v_mul_f32_e32 v23, v58, v130
	v_fma_f32 v3, v56, v127, -v3
	v_fmac_f32_e32 v23, v59, v129
	v_add_f32_e32 v2, v2, v3
	v_mul_f32_e32 v3, v59, v130
	v_add_f32_e32 v22, v22, v23
	s_waitcnt vmcnt(14)
	v_mul_f32_e32 v23, v60, v132
	v_fma_f32 v3, v58, v129, -v3
	v_fmac_f32_e32 v23, v61, v131
	v_add_f32_e32 v2, v2, v3
	v_mul_f32_e32 v3, v61, v132
	v_add_f32_e32 v22, v22, v23
	s_waitcnt vmcnt(12)
	v_mul_f32_e32 v23, v62, v134
	v_fma_f32 v3, v60, v131, -v3
	v_fmac_f32_e32 v23, v63, v133
	v_add_f32_e32 v2, v2, v3
	v_mul_f32_e32 v3, v63, v134
	v_add_f32_e32 v22, v22, v23
	s_waitcnt vmcnt(11)
	v_mul_f32_e32 v23, v64, v135
	v_fma_f32 v3, v62, v133, -v3
	s_waitcnt vmcnt(8)
	v_fmac_f32_e32 v23, v65, v138
	v_add_f32_e32 v2, v2, v3
	v_mul_f32_e32 v3, v65, v135
	v_add_f32_e32 v22, v22, v23
	v_mul_f32_e32 v23, v66, v137
	v_fma_f32 v3, v64, v138, -v3
	v_fmac_f32_e32 v23, v67, v136
	v_add_f32_e32 v2, v2, v3
	v_mul_f32_e32 v3, v67, v137
	v_add_f32_e32 v22, v22, v23
	s_waitcnt vmcnt(6)
	v_mul_f32_e32 v23, v68, v140
	v_fma_f32 v3, v66, v136, -v3
	v_fmac_f32_e32 v23, v69, v139
	v_add_f32_e32 v2, v2, v3
	v_mul_f32_e32 v3, v69, v140
	v_add_f32_e32 v147, v22, v23
	ds_read_b64 v[22:23], v1 offset:984
	v_fma_f32 v3, v68, v139, -v3
	v_add_f32_e32 v2, v2, v3
	s_waitcnt vmcnt(4)
	v_mul_f32_e32 v3, v71, v142
	v_mul_f32_e32 v148, v70, v142
	v_fma_f32 v3, v70, v141, -v3
	v_fmac_f32_e32 v148, v71, v141
	v_add_f32_e32 v2, v2, v3
	s_waitcnt vmcnt(3)
	v_mul_f32_e32 v3, v73, v143
	v_add_f32_e32 v147, v147, v148
	v_mul_f32_e32 v148, v72, v143
	s_waitcnt vmcnt(0)
	v_fma_f32 v3, v72, v146, -v3
	v_fmac_f32_e32 v148, v73, v146
	v_add_f32_e32 v2, v2, v3
	s_waitcnt lgkmcnt(0)
	v_mul_f32_e32 v3, v23, v145
	v_add_f32_e32 v147, v147, v148
	v_mul_f32_e32 v148, v22, v145
	v_fma_f32 v3, v22, v144, -v3
	v_fmac_f32_e32 v148, v23, v144
	v_add_f32_e32 v2, v2, v3
	v_add_f32_e32 v147, v147, v148
	v_sub_f32_e32 v2, v95, v2
	v_sub_f32_e32 v3, v96, v147
	buffer_store_dword v2, off, s[0:3], 0 offset:208
	buffer_store_dword v3, off, s[0:3], 0 offset:212
	s_and_saveexec_b64 s[4:5], vcc
	s_cbranch_execz .LBB125_335
; %bb.334:
	buffer_load_dword v2, off, s[0:3], 0 offset:200
	buffer_load_dword v3, off, s[0:3], 0 offset:204
	s_waitcnt vmcnt(0)
	ds_write_b64 v25, v[2:3]
	buffer_store_dword v1, off, s[0:3], 0 offset:200
	buffer_store_dword v1, off, s[0:3], 0 offset:204
.LBB125_335:
	s_or_b64 exec, exec, s[4:5]
	s_waitcnt lgkmcnt(0)
	; wave barrier
	buffer_load_dword v22, off, s[0:3], 0 offset:212
	buffer_load_dword v23, off, s[0:3], 0 offset:220
	;; [unrolled: 1-line block ×26, first 2 shown]
	ds_read_b128 v[2:5], v1 offset:704
	ds_read_b128 v[6:9], v1 offset:720
	;; [unrolled: 1-line block ×6, first 2 shown]
	buffer_load_dword v101, off, s[0:3], 0 offset:304
	buffer_load_dword v102, off, s[0:3], 0 offset:308
	;; [unrolled: 1-line block ×46, first 2 shown]
	v_cmp_lt_u32_e32 vcc, 24, v0
	s_waitcnt vmcnt(62) lgkmcnt(5)
	v_mul_f32_e32 v30, v2, v22
	v_mul_f32_e32 v31, v4, v23
	s_waitcnt lgkmcnt(4)
	v_mul_f32_e32 v32, v6, v24
	v_mul_f32_e32 v33, v8, v78
	s_waitcnt lgkmcnt(3)
	;; [unrolled: 3-line block ×4, first 2 shown]
	v_mul_f32_e32 v38, v18, v83
	v_fmac_f32_e32 v32, v7, v84
	s_waitcnt vmcnt(61)
	v_fmac_f32_e32 v31, v5, v85
	s_waitcnt vmcnt(60)
	v_fmac_f32_e32 v30, v3, v86
	v_add_f32_e32 v30, 0, v30
	v_add_f32_e32 v30, v30, v31
	;; [unrolled: 1-line block ×3, first 2 shown]
	s_waitcnt vmcnt(56)
	v_fmac_f32_e32 v33, v9, v90
	v_fmac_f32_e32 v34, v11, v89
	v_add_f32_e32 v30, v30, v33
	v_fmac_f32_e32 v35, v13, v88
	v_add_f32_e32 v30, v30, v34
	;; [unrolled: 2-line block ×3, first 2 shown]
	s_waitcnt vmcnt(52)
	v_fmac_f32_e32 v37, v17, v94
	v_add_f32_e32 v30, v30, v36
	v_fmac_f32_e32 v38, v19, v93
	v_add_f32_e32 v30, v30, v37
	s_waitcnt vmcnt(51)
	v_mul_f32_e32 v31, v20, v95
	v_add_f32_e32 v30, v30, v38
	v_fmac_f32_e32 v31, v21, v92
	v_add_f32_e32 v30, v30, v31
	s_waitcnt vmcnt(50) lgkmcnt(0)
	v_mul_f32_e32 v31, v26, v96
	v_fmac_f32_e32 v31, v27, v91
	s_waitcnt vmcnt(46)
	v_mul_f32_e32 v35, v28, v100
	v_add_f32_e32 v34, v30, v31
	v_fmac_f32_e32 v35, v29, v99
	ds_read_b128 v[30:33], v1 offset:800
	v_add_f32_e32 v38, v34, v35
	ds_read_b128 v[34:37], v1 offset:816
	buffer_load_dword v149, off, s[0:3], 0 offset:488
	buffer_load_dword v150, off, s[0:3], 0 offset:492
	v_mul_f32_e32 v3, v3, v22
	v_fma_f32 v2, v2, v86, -v3
	v_mul_f32_e32 v3, v5, v23
	v_add_f32_e32 v2, 0, v2
	v_fma_f32 v3, v4, v85, -v3
	v_add_f32_e32 v2, v2, v3
	v_mul_f32_e32 v3, v7, v24
	v_fma_f32 v3, v6, v84, -v3
	v_add_f32_e32 v2, v2, v3
	v_mul_f32_e32 v3, v9, v78
	;; [unrolled: 3-line block ×3, first 2 shown]
	s_waitcnt vmcnt(46) lgkmcnt(1)
	v_mul_f32_e32 v39, v30, v102
	v_fma_f32 v3, v10, v89, -v3
	v_fmac_f32_e32 v39, v31, v101
	v_add_f32_e32 v2, v2, v3
	v_mul_f32_e32 v3, v13, v80
	v_add_f32_e32 v38, v38, v39
	s_waitcnt vmcnt(44)
	v_mul_f32_e32 v39, v32, v104
	v_fma_f32 v3, v12, v88, -v3
	v_fmac_f32_e32 v39, v33, v103
	v_add_f32_e32 v2, v2, v3
	v_mul_f32_e32 v3, v15, v81
	v_add_f32_e32 v38, v38, v39
	s_waitcnt vmcnt(42) lgkmcnt(0)
	v_mul_f32_e32 v39, v34, v106
	v_fma_f32 v3, v14, v87, -v3
	v_fmac_f32_e32 v39, v35, v105
	v_add_f32_e32 v2, v2, v3
	v_mul_f32_e32 v3, v17, v82
	v_add_f32_e32 v42, v38, v39
	ds_read_b128 v[38:41], v1 offset:832
	v_fma_f32 v3, v16, v94, -v3
	v_add_f32_e32 v2, v2, v3
	v_mul_f32_e32 v3, v19, v83
	s_waitcnt vmcnt(40)
	v_mul_f32_e32 v43, v36, v108
	v_fma_f32 v3, v18, v93, -v3
	v_fmac_f32_e32 v43, v37, v107
	v_add_f32_e32 v2, v2, v3
	v_mul_f32_e32 v3, v21, v95
	v_add_f32_e32 v46, v42, v43
	ds_read_b128 v[42:45], v1 offset:848
	v_fma_f32 v3, v20, v92, -v3
	s_waitcnt vmcnt(38) lgkmcnt(1)
	v_mul_f32_e32 v47, v38, v110
	v_add_f32_e32 v2, v2, v3
	v_mul_f32_e32 v3, v27, v96
	v_fmac_f32_e32 v47, v39, v109
	v_fma_f32 v3, v26, v91, -v3
	v_add_f32_e32 v46, v46, v47
	s_waitcnt vmcnt(36)
	v_mul_f32_e32 v47, v40, v112
	v_add_f32_e32 v2, v2, v3
	v_mul_f32_e32 v3, v29, v100
	v_fmac_f32_e32 v47, v41, v111
	v_fma_f32 v3, v28, v99, -v3
	v_add_f32_e32 v46, v46, v47
	s_waitcnt vmcnt(34) lgkmcnt(0)
	v_mul_f32_e32 v47, v42, v114
	v_add_f32_e32 v2, v2, v3
	v_mul_f32_e32 v3, v31, v102
	v_fmac_f32_e32 v47, v43, v113
	v_fma_f32 v3, v30, v101, -v3
	v_add_f32_e32 v50, v46, v47
	ds_read_b128 v[46:49], v1 offset:864
	v_add_f32_e32 v2, v2, v3
	v_mul_f32_e32 v3, v33, v104
	v_fma_f32 v3, v32, v103, -v3
	s_waitcnt vmcnt(32)
	v_mul_f32_e32 v51, v44, v116
	v_add_f32_e32 v2, v2, v3
	v_mul_f32_e32 v3, v35, v106
	v_fmac_f32_e32 v51, v45, v115
	v_fma_f32 v3, v34, v105, -v3
	v_add_f32_e32 v54, v50, v51
	ds_read_b128 v[50:53], v1 offset:880
	v_add_f32_e32 v2, v2, v3
	v_mul_f32_e32 v3, v37, v108
	s_waitcnt vmcnt(30) lgkmcnt(1)
	v_mul_f32_e32 v55, v46, v118
	v_fma_f32 v3, v36, v107, -v3
	v_fmac_f32_e32 v55, v47, v117
	v_add_f32_e32 v2, v2, v3
	v_mul_f32_e32 v3, v39, v110
	v_add_f32_e32 v54, v54, v55
	s_waitcnt vmcnt(28)
	v_mul_f32_e32 v55, v48, v122
	v_fma_f32 v3, v38, v109, -v3
	v_fmac_f32_e32 v55, v49, v119
	v_add_f32_e32 v2, v2, v3
	v_mul_f32_e32 v3, v41, v112
	v_add_f32_e32 v54, v54, v55
	s_waitcnt vmcnt(26) lgkmcnt(0)
	v_mul_f32_e32 v55, v50, v124
	v_fma_f32 v3, v40, v111, -v3
	v_fmac_f32_e32 v55, v51, v123
	v_add_f32_e32 v2, v2, v3
	v_mul_f32_e32 v3, v43, v114
	v_add_f32_e32 v58, v54, v55
	ds_read_b128 v[54:57], v1 offset:896
	v_fma_f32 v3, v42, v113, -v3
	v_add_f32_e32 v2, v2, v3
	v_mul_f32_e32 v3, v45, v116
	s_waitcnt vmcnt(24)
	v_mul_f32_e32 v59, v52, v126
	v_fma_f32 v3, v44, v115, -v3
	v_fmac_f32_e32 v59, v53, v125
	v_add_f32_e32 v2, v2, v3
	v_mul_f32_e32 v3, v47, v118
	v_add_f32_e32 v62, v58, v59
	ds_read_b128 v[58:61], v1 offset:912
	v_fma_f32 v3, v46, v117, -v3
	s_waitcnt vmcnt(22) lgkmcnt(1)
	v_mul_f32_e32 v63, v54, v128
	v_add_f32_e32 v2, v2, v3
	v_mul_f32_e32 v3, v49, v122
	v_fmac_f32_e32 v63, v55, v127
	v_fma_f32 v3, v48, v119, -v3
	v_add_f32_e32 v62, v62, v63
	s_waitcnt vmcnt(20)
	v_mul_f32_e32 v63, v56, v130
	v_add_f32_e32 v2, v2, v3
	v_mul_f32_e32 v3, v51, v124
	v_fmac_f32_e32 v63, v57, v129
	v_fma_f32 v3, v50, v123, -v3
	v_add_f32_e32 v62, v62, v63
	s_waitcnt vmcnt(18) lgkmcnt(0)
	v_mul_f32_e32 v63, v58, v132
	v_add_f32_e32 v2, v2, v3
	v_mul_f32_e32 v3, v53, v126
	v_fmac_f32_e32 v63, v59, v131
	v_fma_f32 v3, v52, v125, -v3
	v_add_f32_e32 v66, v62, v63
	ds_read_b128 v[62:65], v1 offset:928
	v_add_f32_e32 v2, v2, v3
	v_mul_f32_e32 v3, v55, v128
	v_fma_f32 v3, v54, v127, -v3
	s_waitcnt vmcnt(16)
	v_mul_f32_e32 v67, v60, v134
	v_add_f32_e32 v2, v2, v3
	v_mul_f32_e32 v3, v57, v130
	v_fmac_f32_e32 v67, v61, v133
	v_fma_f32 v3, v56, v129, -v3
	v_add_f32_e32 v70, v66, v67
	ds_read_b128 v[66:69], v1 offset:944
	v_add_f32_e32 v2, v2, v3
	v_mul_f32_e32 v3, v59, v132
	s_waitcnt vmcnt(14) lgkmcnt(1)
	v_mul_f32_e32 v71, v62, v136
	v_fma_f32 v3, v58, v131, -v3
	v_fmac_f32_e32 v71, v63, v135
	v_add_f32_e32 v2, v2, v3
	v_mul_f32_e32 v3, v61, v134
	v_add_f32_e32 v70, v70, v71
	s_waitcnt vmcnt(13)
	v_mul_f32_e32 v71, v64, v137
	v_fma_f32 v3, v60, v133, -v3
	s_waitcnt vmcnt(10)
	v_fmac_f32_e32 v71, v65, v140
	v_add_f32_e32 v2, v2, v3
	v_mul_f32_e32 v3, v63, v136
	v_add_f32_e32 v70, v70, v71
	s_waitcnt lgkmcnt(0)
	v_mul_f32_e32 v71, v66, v139
	v_fma_f32 v3, v62, v135, -v3
	v_fmac_f32_e32 v71, v67, v138
	v_add_f32_e32 v2, v2, v3
	v_mul_f32_e32 v3, v65, v137
	v_add_f32_e32 v74, v70, v71
	ds_read_b128 v[70:73], v1 offset:960
	v_fma_f32 v3, v64, v140, -v3
	v_add_f32_e32 v2, v2, v3
	v_mul_f32_e32 v3, v67, v139
	s_waitcnt vmcnt(8)
	v_mul_f32_e32 v75, v68, v142
	v_fma_f32 v3, v66, v138, -v3
	v_fmac_f32_e32 v75, v69, v141
	v_add_f32_e32 v2, v2, v3
	v_mul_f32_e32 v3, v69, v142
	v_add_f32_e32 v151, v74, v75
	ds_read_b128 v[74:77], v1 offset:976
	v_fma_f32 v3, v68, v141, -v3
	v_add_f32_e32 v2, v2, v3
	s_waitcnt vmcnt(6) lgkmcnt(1)
	v_mul_f32_e32 v3, v71, v144
	v_mul_f32_e32 v1, v70, v144
	v_fma_f32 v3, v70, v143, -v3
	v_fmac_f32_e32 v1, v71, v143
	v_add_f32_e32 v2, v2, v3
	s_waitcnt vmcnt(5)
	v_mul_f32_e32 v3, v73, v145
	v_add_f32_e32 v1, v151, v1
	v_mul_f32_e32 v151, v72, v145
	s_waitcnt vmcnt(2)
	v_fma_f32 v3, v72, v148, -v3
	v_fmac_f32_e32 v151, v73, v148
	v_add_f32_e32 v2, v2, v3
	s_waitcnt lgkmcnt(0)
	v_mul_f32_e32 v3, v75, v147
	v_add_f32_e32 v1, v1, v151
	v_mul_f32_e32 v151, v74, v147
	v_fma_f32 v3, v74, v146, -v3
	v_fmac_f32_e32 v151, v75, v146
	v_add_f32_e32 v2, v2, v3
	s_waitcnt vmcnt(0)
	v_mul_f32_e32 v3, v77, v150
	v_add_f32_e32 v1, v1, v151
	v_mul_f32_e32 v151, v76, v150
	v_fma_f32 v3, v76, v149, -v3
	v_fmac_f32_e32 v151, v77, v149
	v_add_f32_e32 v2, v2, v3
	v_add_f32_e32 v1, v1, v151
	v_sub_f32_e32 v2, v97, v2
	v_sub_f32_e32 v1, v98, v1
	buffer_store_dword v2, off, s[0:3], 0 offset:200
	buffer_store_dword v1, off, s[0:3], 0 offset:204
	s_and_saveexec_b64 s[4:5], vcc
	s_cbranch_execz .LBB125_337
; %bb.336:
	buffer_load_dword v1, off, s[0:3], 0 offset:192
	buffer_load_dword v2, off, s[0:3], 0 offset:196
	v_mov_b32_e32 v3, 0
	buffer_store_dword v3, off, s[0:3], 0 offset:192
	buffer_store_dword v3, off, s[0:3], 0 offset:196
	s_waitcnt vmcnt(2)
	ds_write_b64 v25, v[1:2]
.LBB125_337:
	s_or_b64 exec, exec, s[4:5]
	s_waitcnt lgkmcnt(0)
	; wave barrier
	buffer_load_dword v24, off, s[0:3], 0 offset:204
	buffer_load_dword v78, off, s[0:3], 0 offset:212
	;; [unrolled: 1-line block ×50, first 2 shown]
	v_mov_b32_e32 v1, 0
	ds_read2_b64 v[2:5], v1 offset0:87 offset1:88
	ds_read2_b64 v[6:9], v1 offset0:89 offset1:90
	;; [unrolled: 1-line block ×6, first 2 shown]
	buffer_load_dword v129, off, s[0:3], 0 offset:392
	buffer_load_dword v130, off, s[0:3], 0 offset:396
	;; [unrolled: 1-line block ×16, first 2 shown]
	v_cmp_lt_u32_e32 vcc, 23, v0
	s_waitcnt vmcnt(62) lgkmcnt(5)
	v_mul_f32_e32 v22, v2, v24
	v_mul_f32_e32 v23, v4, v78
	s_waitcnt lgkmcnt(4)
	v_mul_f32_e32 v30, v6, v79
	v_mul_f32_e32 v31, v8, v80
	s_waitcnt vmcnt(61) lgkmcnt(3)
	v_mul_f32_e32 v32, v10, v81
	s_waitcnt vmcnt(60)
	v_mul_f32_e32 v33, v12, v82
	s_waitcnt vmcnt(59) lgkmcnt(2)
	v_mul_f32_e32 v34, v14, v83
	s_waitcnt vmcnt(58)
	;; [unrolled: 4-line block ×3, first 2 shown]
	v_fmac_f32_e32 v30, v7, v86
	s_waitcnt vmcnt(55)
	v_fmac_f32_e32 v23, v5, v87
	s_waitcnt vmcnt(54)
	v_fmac_f32_e32 v22, v3, v88
	v_add_f32_e32 v22, 0, v22
	v_add_f32_e32 v22, v22, v23
	;; [unrolled: 1-line block ×3, first 2 shown]
	s_waitcnt vmcnt(50)
	v_fmac_f32_e32 v31, v9, v92
	v_fmac_f32_e32 v32, v11, v91
	v_add_f32_e32 v22, v22, v31
	v_fmac_f32_e32 v33, v13, v90
	v_add_f32_e32 v22, v22, v32
	v_add_f32_e32 v22, v22, v33
	ds_read2_b64 v[30:33], v1 offset0:99 offset1:100
	buffer_load_dword v145, off, s[0:3], 0 offset:456
	buffer_load_dword v146, off, s[0:3], 0 offset:460
	;; [unrolled: 1-line block ×6, first 2 shown]
	v_fmac_f32_e32 v34, v15, v89
	s_waitcnt vmcnt(52)
	v_fmac_f32_e32 v35, v17, v96
	v_add_f32_e32 v22, v22, v34
	v_fmac_f32_e32 v36, v19, v95
	v_add_f32_e32 v22, v22, v35
	v_add_f32_e32 v22, v22, v36
	ds_read2_b64 v[34:37], v1 offset0:101 offset1:102
	buffer_load_dword v151, off, s[0:3], 0 offset:484
	buffer_load_dword v152, off, s[0:3], 0 offset:488
	;; [unrolled: 1-line block ×4, first 2 shown]
	v_mul_f32_e32 v3, v3, v24
	v_fma_f32 v2, v2, v88, -v3
	v_mul_f32_e32 v3, v5, v78
	v_add_f32_e32 v2, 0, v2
	v_fma_f32 v3, v4, v87, -v3
	v_add_f32_e32 v2, v2, v3
	v_mul_f32_e32 v3, v7, v79
	v_fma_f32 v3, v6, v86, -v3
	v_add_f32_e32 v2, v2, v3
	v_mul_f32_e32 v3, v9, v80
	;; [unrolled: 3-line block ×7, first 2 shown]
	s_waitcnt vmcnt(55)
	v_mul_f32_e32 v23, v20, v97
	v_fma_f32 v3, v18, v95, -v3
	v_fmac_f32_e32 v23, v21, v94
	v_add_f32_e32 v2, v2, v3
	v_mul_f32_e32 v3, v21, v97
	v_add_f32_e32 v22, v22, v23
	s_waitcnt vmcnt(54) lgkmcnt(2)
	v_mul_f32_e32 v23, v26, v98
	v_fma_f32 v3, v20, v94, -v3
	v_fmac_f32_e32 v23, v27, v93
	v_add_f32_e32 v2, v2, v3
	v_mul_f32_e32 v3, v27, v98
	v_add_f32_e32 v22, v22, v23
	s_waitcnt vmcnt(53)
	v_mul_f32_e32 v23, v28, v99
	v_fma_f32 v3, v26, v93, -v3
	s_waitcnt vmcnt(46)
	v_fmac_f32_e32 v23, v29, v106
	v_add_f32_e32 v2, v2, v3
	v_mul_f32_e32 v3, v29, v99
	v_add_f32_e32 v22, v22, v23
	s_waitcnt lgkmcnt(1)
	v_mul_f32_e32 v23, v30, v101
	v_fma_f32 v3, v28, v106, -v3
	v_fmac_f32_e32 v23, v31, v100
	v_add_f32_e32 v2, v2, v3
	v_mul_f32_e32 v3, v31, v101
	v_add_f32_e32 v22, v22, v23
	v_mul_f32_e32 v23, v32, v103
	v_fma_f32 v3, v30, v100, -v3
	v_fmac_f32_e32 v23, v33, v102
	ds_read2_b64 v[38:41], v1 offset0:103 offset1:104
	ds_read2_b64 v[42:45], v1 offset0:105 offset1:106
	v_add_f32_e32 v2, v2, v3
	v_mul_f32_e32 v3, v33, v103
	v_add_f32_e32 v22, v22, v23
	s_waitcnt lgkmcnt(2)
	v_mul_f32_e32 v23, v34, v105
	v_fma_f32 v3, v32, v102, -v3
	v_fmac_f32_e32 v23, v35, v104
	v_add_f32_e32 v2, v2, v3
	v_mul_f32_e32 v3, v35, v105
	v_add_f32_e32 v22, v22, v23
	s_waitcnt vmcnt(42)
	v_mul_f32_e32 v23, v36, v110
	v_fma_f32 v3, v34, v104, -v3
	v_fmac_f32_e32 v23, v37, v109
	v_add_f32_e32 v2, v2, v3
	v_mul_f32_e32 v3, v37, v110
	v_add_f32_e32 v22, v22, v23
	s_waitcnt vmcnt(40) lgkmcnt(1)
	v_mul_f32_e32 v23, v38, v112
	v_fma_f32 v3, v36, v109, -v3
	v_fmac_f32_e32 v23, v39, v111
	v_add_f32_e32 v2, v2, v3
	v_mul_f32_e32 v3, v39, v112
	v_add_f32_e32 v22, v22, v23
	s_waitcnt vmcnt(38)
	v_mul_f32_e32 v23, v40, v114
	v_fma_f32 v3, v38, v111, -v3
	v_fmac_f32_e32 v23, v41, v113
	ds_read2_b64 v[46:49], v1 offset0:107 offset1:108
	ds_read2_b64 v[50:53], v1 offset0:109 offset1:110
	v_add_f32_e32 v2, v2, v3
	v_mul_f32_e32 v3, v41, v114
	v_add_f32_e32 v22, v22, v23
	s_waitcnt vmcnt(36) lgkmcnt(2)
	v_mul_f32_e32 v23, v42, v116
	v_fma_f32 v3, v40, v113, -v3
	v_fmac_f32_e32 v23, v43, v115
	v_add_f32_e32 v2, v2, v3
	v_mul_f32_e32 v3, v43, v116
	v_add_f32_e32 v22, v22, v23
	s_waitcnt vmcnt(34)
	v_mul_f32_e32 v23, v44, v118
	v_fma_f32 v3, v42, v115, -v3
	v_fmac_f32_e32 v23, v45, v117
	v_add_f32_e32 v2, v2, v3
	v_mul_f32_e32 v3, v45, v118
	v_add_f32_e32 v22, v22, v23
	s_waitcnt vmcnt(32) lgkmcnt(1)
	v_mul_f32_e32 v23, v46, v122
	v_fma_f32 v3, v44, v117, -v3
	v_fmac_f32_e32 v23, v47, v119
	v_add_f32_e32 v2, v2, v3
	v_mul_f32_e32 v3, v47, v122
	v_add_f32_e32 v22, v22, v23
	s_waitcnt vmcnt(30)
	v_mul_f32_e32 v23, v48, v124
	v_fma_f32 v3, v46, v119, -v3
	v_fmac_f32_e32 v23, v49, v123
	ds_read2_b64 v[54:57], v1 offset0:111 offset1:112
	ds_read2_b64 v[58:61], v1 offset0:113 offset1:114
	v_add_f32_e32 v2, v2, v3
	v_mul_f32_e32 v3, v49, v124
	v_add_f32_e32 v22, v22, v23
	s_waitcnt vmcnt(28) lgkmcnt(2)
	v_mul_f32_e32 v23, v50, v126
	v_fma_f32 v3, v48, v123, -v3
	v_fmac_f32_e32 v23, v51, v125
	v_add_f32_e32 v2, v2, v3
	v_mul_f32_e32 v3, v51, v126
	v_add_f32_e32 v22, v22, v23
	s_waitcnt vmcnt(26)
	v_mul_f32_e32 v23, v52, v128
	v_fma_f32 v3, v50, v125, -v3
	v_fmac_f32_e32 v23, v53, v127
	v_add_f32_e32 v2, v2, v3
	v_mul_f32_e32 v3, v53, v128
	v_add_f32_e32 v22, v22, v23
	s_waitcnt vmcnt(24) lgkmcnt(1)
	v_mul_f32_e32 v23, v54, v130
	v_fma_f32 v3, v52, v127, -v3
	v_fmac_f32_e32 v23, v55, v129
	v_add_f32_e32 v2, v2, v3
	v_mul_f32_e32 v3, v55, v130
	v_add_f32_e32 v22, v22, v23
	s_waitcnt vmcnt(23)
	v_mul_f32_e32 v23, v56, v131
	v_fma_f32 v3, v54, v129, -v3
	s_waitcnt vmcnt(20)
	v_fmac_f32_e32 v23, v57, v134
	ds_read2_b64 v[62:65], v1 offset0:115 offset1:116
	ds_read2_b64 v[66:69], v1 offset0:117 offset1:118
	v_add_f32_e32 v2, v2, v3
	v_mul_f32_e32 v3, v57, v131
	v_add_f32_e32 v22, v22, v23
	s_waitcnt lgkmcnt(2)
	v_mul_f32_e32 v23, v58, v133
	v_fma_f32 v3, v56, v134, -v3
	v_fmac_f32_e32 v23, v59, v132
	v_add_f32_e32 v2, v2, v3
	v_mul_f32_e32 v3, v59, v133
	v_add_f32_e32 v22, v22, v23
	s_waitcnt vmcnt(18)
	v_mul_f32_e32 v23, v60, v136
	v_fma_f32 v3, v58, v132, -v3
	v_fmac_f32_e32 v23, v61, v135
	v_add_f32_e32 v2, v2, v3
	v_mul_f32_e32 v3, v61, v136
	v_add_f32_e32 v22, v22, v23
	s_waitcnt vmcnt(16) lgkmcnt(1)
	v_mul_f32_e32 v23, v62, v138
	v_fma_f32 v3, v60, v135, -v3
	v_fmac_f32_e32 v23, v63, v137
	v_add_f32_e32 v2, v2, v3
	v_mul_f32_e32 v3, v63, v138
	v_add_f32_e32 v22, v22, v23
	s_waitcnt vmcnt(15)
	v_mul_f32_e32 v23, v64, v139
	v_fma_f32 v3, v62, v137, -v3
	s_waitcnt vmcnt(12)
	v_fmac_f32_e32 v23, v65, v142
	ds_read2_b64 v[70:73], v1 offset0:119 offset1:120
	ds_read2_b64 v[74:77], v1 offset0:121 offset1:122
	v_add_f32_e32 v2, v2, v3
	v_mul_f32_e32 v3, v65, v139
	v_add_f32_e32 v22, v22, v23
	s_waitcnt lgkmcnt(2)
	v_mul_f32_e32 v23, v66, v141
	v_fma_f32 v3, v64, v142, -v3
	v_fmac_f32_e32 v23, v67, v140
	v_add_f32_e32 v2, v2, v3
	v_mul_f32_e32 v3, v67, v141
	v_add_f32_e32 v22, v22, v23
	s_waitcnt vmcnt(10)
	v_mul_f32_e32 v23, v68, v144
	v_fma_f32 v3, v66, v140, -v3
	v_fmac_f32_e32 v23, v69, v143
	v_add_f32_e32 v2, v2, v3
	v_mul_f32_e32 v3, v69, v144
	v_add_f32_e32 v22, v22, v23
	s_waitcnt vmcnt(8) lgkmcnt(1)
	v_mul_f32_e32 v23, v70, v146
	v_fma_f32 v3, v68, v143, -v3
	v_fmac_f32_e32 v23, v71, v145
	v_add_f32_e32 v2, v2, v3
	v_mul_f32_e32 v3, v71, v146
	v_add_f32_e32 v22, v22, v23
	s_waitcnt vmcnt(7)
	v_mul_f32_e32 v23, v72, v147
	v_fma_f32 v3, v70, v145, -v3
	s_waitcnt vmcnt(4)
	v_fmac_f32_e32 v23, v73, v150
	v_add_f32_e32 v2, v2, v3
	v_mul_f32_e32 v3, v73, v147
	v_add_f32_e32 v155, v22, v23
	ds_read_b64 v[22:23], v1 offset:984
	v_fma_f32 v3, v72, v150, -v3
	v_add_f32_e32 v2, v2, v3
	s_waitcnt lgkmcnt(1)
	v_mul_f32_e32 v3, v75, v149
	v_mul_f32_e32 v156, v74, v149
	v_fma_f32 v3, v74, v148, -v3
	v_fmac_f32_e32 v156, v75, v148
	v_add_f32_e32 v2, v2, v3
	s_waitcnt vmcnt(3)
	v_mul_f32_e32 v3, v77, v151
	v_add_f32_e32 v155, v155, v156
	v_mul_f32_e32 v156, v76, v151
	s_waitcnt vmcnt(0)
	v_fma_f32 v3, v76, v154, -v3
	v_fmac_f32_e32 v156, v77, v154
	v_add_f32_e32 v2, v2, v3
	s_waitcnt lgkmcnt(0)
	v_mul_f32_e32 v3, v23, v153
	v_add_f32_e32 v155, v155, v156
	v_mul_f32_e32 v156, v22, v153
	v_fma_f32 v3, v22, v152, -v3
	v_fmac_f32_e32 v156, v23, v152
	v_add_f32_e32 v2, v2, v3
	v_add_f32_e32 v155, v155, v156
	v_sub_f32_e32 v2, v107, v2
	v_sub_f32_e32 v3, v108, v155
	buffer_store_dword v2, off, s[0:3], 0 offset:192
	buffer_store_dword v3, off, s[0:3], 0 offset:196
	s_and_saveexec_b64 s[4:5], vcc
	s_cbranch_execz .LBB125_339
; %bb.338:
	buffer_load_dword v2, off, s[0:3], 0 offset:184
	buffer_load_dword v3, off, s[0:3], 0 offset:188
	s_waitcnt vmcnt(0)
	ds_write_b64 v25, v[2:3]
	buffer_store_dword v1, off, s[0:3], 0 offset:184
	buffer_store_dword v1, off, s[0:3], 0 offset:188
.LBB125_339:
	s_or_b64 exec, exec, s[4:5]
	s_waitcnt lgkmcnt(0)
	; wave barrier
	buffer_load_dword v22, off, s[0:3], 0 offset:196
	buffer_load_dword v23, off, s[0:3], 0 offset:204
	;; [unrolled: 1-line block ×32, first 2 shown]
	ds_read_b128 v[2:5], v1 offset:688
	ds_read_b128 v[6:9], v1 offset:704
	;; [unrolled: 1-line block ×6, first 2 shown]
	buffer_load_dword v111, off, s[0:3], 0 offset:312
	buffer_load_dword v112, off, s[0:3], 0 offset:316
	;; [unrolled: 1-line block ×32, first 2 shown]
	v_cmp_lt_u32_e32 vcc, 22, v0
	s_waitcnt vmcnt(62) lgkmcnt(5)
	v_mul_f32_e32 v30, v2, v22
	v_mul_f32_e32 v31, v4, v23
	s_waitcnt vmcnt(61) lgkmcnt(4)
	v_mul_f32_e32 v32, v6, v24
	s_waitcnt vmcnt(60)
	v_mul_f32_e32 v33, v8, v82
	s_waitcnt vmcnt(59) lgkmcnt(3)
	v_mul_f32_e32 v34, v10, v83
	s_waitcnt vmcnt(58)
	;; [unrolled: 4-line block ×4, first 2 shown]
	v_mul_f32_e32 v39, v20, v88
	s_waitcnt vmcnt(53)
	v_fmac_f32_e32 v32, v7, v89
	s_waitcnt vmcnt(52)
	v_fmac_f32_e32 v31, v5, v90
	;; [unrolled: 2-line block ×3, first 2 shown]
	v_add_f32_e32 v30, 0, v30
	v_add_f32_e32 v30, v30, v31
	;; [unrolled: 1-line block ×3, first 2 shown]
	s_waitcnt vmcnt(47)
	v_fmac_f32_e32 v33, v9, v95
	v_fmac_f32_e32 v34, v11, v94
	v_add_f32_e32 v30, v30, v33
	v_fmac_f32_e32 v35, v13, v93
	v_add_f32_e32 v30, v30, v34
	;; [unrolled: 2-line block ×3, first 2 shown]
	s_waitcnt vmcnt(43)
	v_fmac_f32_e32 v37, v17, v99
	v_add_f32_e32 v30, v30, v36
	v_fmac_f32_e32 v38, v19, v98
	v_add_f32_e32 v30, v30, v37
	;; [unrolled: 2-line block ×3, first 2 shown]
	s_waitcnt vmcnt(42) lgkmcnt(0)
	v_mul_f32_e32 v31, v26, v100
	v_add_f32_e32 v30, v30, v39
	v_fmac_f32_e32 v31, v27, v96
	v_add_f32_e32 v34, v30, v31
	ds_read_b128 v[30:33], v1 offset:784
	buffer_load_dword v145, off, s[0:3], 0 offset:440
	buffer_load_dword v146, off, s[0:3], 0 offset:444
	s_waitcnt vmcnt(43)
	v_mul_f32_e32 v35, v28, v101
	s_waitcnt vmcnt(37)
	v_fmac_f32_e32 v35, v29, v107
	v_add_f32_e32 v38, v34, v35
	ds_read_b128 v[34:37], v1 offset:800
	buffer_load_dword v147, off, s[0:3], 0 offset:448
	buffer_load_dword v148, off, s[0:3], 0 offset:452
	;; [unrolled: 1-line block ×12, first 2 shown]
	v_mul_f32_e32 v3, v3, v22
	v_fma_f32 v2, v2, v91, -v3
	v_mul_f32_e32 v3, v5, v23
	v_add_f32_e32 v2, 0, v2
	v_fma_f32 v3, v4, v90, -v3
	v_add_f32_e32 v2, v2, v3
	v_mul_f32_e32 v3, v7, v24
	v_fma_f32 v3, v6, v89, -v3
	v_add_f32_e32 v2, v2, v3
	v_mul_f32_e32 v3, v9, v82
	v_fma_f32 v3, v8, v95, -v3
	s_waitcnt vmcnt(48) lgkmcnt(1)
	v_mul_f32_e32 v39, v30, v108
	v_add_f32_e32 v2, v2, v3
	v_mul_f32_e32 v3, v11, v83
	v_fmac_f32_e32 v39, v31, v106
	v_fma_f32 v3, v10, v94, -v3
	v_add_f32_e32 v38, v38, v39
	v_mul_f32_e32 v39, v32, v103
	v_add_f32_e32 v2, v2, v3
	v_mul_f32_e32 v3, v13, v84
	v_fmac_f32_e32 v39, v33, v102
	v_fma_f32 v3, v12, v93, -v3
	v_add_f32_e32 v38, v38, v39
	s_waitcnt lgkmcnt(0)
	v_mul_f32_e32 v39, v34, v105
	v_add_f32_e32 v2, v2, v3
	v_mul_f32_e32 v3, v15, v85
	v_fmac_f32_e32 v39, v35, v104
	v_fma_f32 v3, v14, v92, -v3
	v_add_f32_e32 v42, v38, v39
	ds_read_b128 v[38:41], v1 offset:816
	v_add_f32_e32 v2, v2, v3
	v_mul_f32_e32 v3, v17, v86
	v_fma_f32 v3, v16, v99, -v3
	s_waitcnt vmcnt(44)
	v_mul_f32_e32 v43, v36, v112
	v_add_f32_e32 v2, v2, v3
	v_mul_f32_e32 v3, v19, v87
	v_fmac_f32_e32 v43, v37, v111
	v_fma_f32 v3, v18, v98, -v3
	v_add_f32_e32 v46, v42, v43
	ds_read_b128 v[42:45], v1 offset:832
	v_add_f32_e32 v2, v2, v3
	v_mul_f32_e32 v3, v21, v88
	s_waitcnt vmcnt(42) lgkmcnt(1)
	v_mul_f32_e32 v47, v38, v114
	v_fma_f32 v3, v20, v97, -v3
	v_fmac_f32_e32 v47, v39, v113
	v_add_f32_e32 v2, v2, v3
	v_mul_f32_e32 v3, v27, v100
	v_add_f32_e32 v46, v46, v47
	s_waitcnt vmcnt(40)
	v_mul_f32_e32 v47, v40, v116
	v_fma_f32 v3, v26, v96, -v3
	v_fmac_f32_e32 v47, v41, v115
	v_add_f32_e32 v2, v2, v3
	v_mul_f32_e32 v3, v29, v101
	v_add_f32_e32 v46, v46, v47
	s_waitcnt vmcnt(38) lgkmcnt(0)
	v_mul_f32_e32 v47, v42, v118
	v_fma_f32 v3, v28, v107, -v3
	v_fmac_f32_e32 v47, v43, v117
	v_add_f32_e32 v2, v2, v3
	v_mul_f32_e32 v3, v31, v108
	v_add_f32_e32 v50, v46, v47
	ds_read_b128 v[46:49], v1 offset:848
	v_fma_f32 v3, v30, v106, -v3
	v_add_f32_e32 v2, v2, v3
	v_mul_f32_e32 v3, v33, v103
	s_waitcnt vmcnt(36)
	v_mul_f32_e32 v51, v44, v122
	v_fma_f32 v3, v32, v102, -v3
	v_fmac_f32_e32 v51, v45, v119
	v_add_f32_e32 v2, v2, v3
	v_mul_f32_e32 v3, v35, v105
	v_add_f32_e32 v54, v50, v51
	ds_read_b128 v[50:53], v1 offset:864
	v_fma_f32 v3, v34, v104, -v3
	s_waitcnt vmcnt(34) lgkmcnt(1)
	v_mul_f32_e32 v55, v46, v124
	v_add_f32_e32 v2, v2, v3
	v_mul_f32_e32 v3, v37, v112
	v_fmac_f32_e32 v55, v47, v123
	v_fma_f32 v3, v36, v111, -v3
	v_add_f32_e32 v54, v54, v55
	s_waitcnt vmcnt(32)
	v_mul_f32_e32 v55, v48, v126
	v_add_f32_e32 v2, v2, v3
	v_mul_f32_e32 v3, v39, v114
	v_fmac_f32_e32 v55, v49, v125
	v_fma_f32 v3, v38, v113, -v3
	v_add_f32_e32 v54, v54, v55
	s_waitcnt vmcnt(30) lgkmcnt(0)
	v_mul_f32_e32 v55, v50, v128
	v_add_f32_e32 v2, v2, v3
	v_mul_f32_e32 v3, v41, v116
	v_fmac_f32_e32 v55, v51, v127
	v_fma_f32 v3, v40, v115, -v3
	v_add_f32_e32 v58, v54, v55
	ds_read_b128 v[54:57], v1 offset:880
	v_add_f32_e32 v2, v2, v3
	v_mul_f32_e32 v3, v43, v118
	v_fma_f32 v3, v42, v117, -v3
	s_waitcnt vmcnt(28)
	v_mul_f32_e32 v59, v52, v130
	v_add_f32_e32 v2, v2, v3
	v_mul_f32_e32 v3, v45, v122
	v_fmac_f32_e32 v59, v53, v129
	v_fma_f32 v3, v44, v119, -v3
	v_add_f32_e32 v62, v58, v59
	ds_read_b128 v[58:61], v1 offset:896
	v_add_f32_e32 v2, v2, v3
	v_mul_f32_e32 v3, v47, v124
	s_waitcnt vmcnt(26) lgkmcnt(1)
	v_mul_f32_e32 v63, v54, v132
	v_fma_f32 v3, v46, v123, -v3
	v_fmac_f32_e32 v63, v55, v131
	v_add_f32_e32 v2, v2, v3
	v_mul_f32_e32 v3, v49, v126
	v_add_f32_e32 v62, v62, v63
	s_waitcnt vmcnt(25)
	v_mul_f32_e32 v63, v56, v133
	v_fma_f32 v3, v48, v125, -v3
	s_waitcnt vmcnt(22)
	v_fmac_f32_e32 v63, v57, v136
	v_add_f32_e32 v2, v2, v3
	v_mul_f32_e32 v3, v51, v128
	v_add_f32_e32 v62, v62, v63
	s_waitcnt lgkmcnt(0)
	v_mul_f32_e32 v63, v58, v135
	v_fma_f32 v3, v50, v127, -v3
	v_fmac_f32_e32 v63, v59, v134
	v_add_f32_e32 v2, v2, v3
	v_mul_f32_e32 v3, v53, v130
	v_add_f32_e32 v66, v62, v63
	ds_read_b128 v[62:65], v1 offset:912
	v_fma_f32 v3, v52, v129, -v3
	v_add_f32_e32 v2, v2, v3
	v_mul_f32_e32 v3, v55, v132
	s_waitcnt vmcnt(20)
	v_mul_f32_e32 v67, v60, v138
	v_fma_f32 v3, v54, v131, -v3
	v_fmac_f32_e32 v67, v61, v137
	v_add_f32_e32 v2, v2, v3
	v_mul_f32_e32 v3, v57, v133
	v_add_f32_e32 v70, v66, v67
	ds_read_b128 v[66:69], v1 offset:928
	v_fma_f32 v3, v56, v136, -v3
	s_waitcnt vmcnt(18) lgkmcnt(1)
	v_mul_f32_e32 v71, v62, v140
	v_add_f32_e32 v2, v2, v3
	v_mul_f32_e32 v3, v59, v135
	v_fmac_f32_e32 v71, v63, v139
	v_fma_f32 v3, v58, v134, -v3
	v_add_f32_e32 v70, v70, v71
	s_waitcnt vmcnt(17)
	v_mul_f32_e32 v71, v64, v141
	v_add_f32_e32 v2, v2, v3
	v_mul_f32_e32 v3, v61, v138
	s_waitcnt vmcnt(14)
	v_fmac_f32_e32 v71, v65, v144
	v_fma_f32 v3, v60, v137, -v3
	v_add_f32_e32 v70, v70, v71
	s_waitcnt lgkmcnt(0)
	v_mul_f32_e32 v71, v66, v143
	v_add_f32_e32 v2, v2, v3
	v_mul_f32_e32 v3, v63, v140
	v_fmac_f32_e32 v71, v67, v142
	v_fma_f32 v3, v62, v139, -v3
	v_add_f32_e32 v74, v70, v71
	ds_read_b128 v[70:73], v1 offset:944
	v_add_f32_e32 v2, v2, v3
	v_mul_f32_e32 v3, v65, v141
	v_fma_f32 v3, v64, v144, -v3
	v_add_f32_e32 v2, v2, v3
	v_mul_f32_e32 v3, v67, v143
	s_waitcnt vmcnt(12)
	v_mul_f32_e32 v75, v68, v146
	v_fma_f32 v3, v66, v142, -v3
	v_fmac_f32_e32 v75, v69, v145
	v_add_f32_e32 v2, v2, v3
	v_mul_f32_e32 v3, v69, v146
	v_add_f32_e32 v78, v74, v75
	ds_read_b128 v[74:77], v1 offset:960
	s_waitcnt vmcnt(10) lgkmcnt(1)
	v_mul_f32_e32 v79, v70, v148
	v_fma_f32 v3, v68, v145, -v3
	v_fmac_f32_e32 v79, v71, v147
	v_add_f32_e32 v2, v2, v3
	v_mul_f32_e32 v3, v71, v148
	v_add_f32_e32 v78, v78, v79
	s_waitcnt vmcnt(9)
	v_mul_f32_e32 v79, v72, v149
	v_fma_f32 v3, v70, v147, -v3
	s_waitcnt vmcnt(6)
	v_fmac_f32_e32 v79, v73, v152
	v_add_f32_e32 v2, v2, v3
	v_mul_f32_e32 v3, v73, v149
	v_add_f32_e32 v159, v78, v79
	ds_read_b128 v[78:81], v1 offset:976
	v_fma_f32 v3, v72, v152, -v3
	v_add_f32_e32 v2, v2, v3
	s_waitcnt lgkmcnt(1)
	v_mul_f32_e32 v3, v75, v151
	v_mul_f32_e32 v160, v74, v151
	v_fma_f32 v3, v74, v150, -v3
	v_fmac_f32_e32 v160, v75, v150
	v_add_f32_e32 v2, v2, v3
	s_waitcnt vmcnt(4)
	v_mul_f32_e32 v3, v77, v154
	v_add_f32_e32 v1, v159, v160
	v_mul_f32_e32 v159, v76, v154
	v_fma_f32 v3, v76, v153, -v3
	v_fmac_f32_e32 v159, v77, v153
	v_add_f32_e32 v2, v2, v3
	s_waitcnt vmcnt(3) lgkmcnt(0)
	v_mul_f32_e32 v3, v79, v155
	v_add_f32_e32 v1, v1, v159
	v_mul_f32_e32 v159, v78, v155
	s_waitcnt vmcnt(0)
	v_fma_f32 v3, v78, v158, -v3
	v_fmac_f32_e32 v159, v79, v158
	v_add_f32_e32 v2, v2, v3
	v_mul_f32_e32 v3, v81, v157
	v_add_f32_e32 v1, v1, v159
	v_mul_f32_e32 v159, v80, v157
	v_fma_f32 v3, v80, v156, -v3
	v_fmac_f32_e32 v159, v81, v156
	v_add_f32_e32 v2, v2, v3
	v_add_f32_e32 v1, v1, v159
	v_sub_f32_e32 v2, v109, v2
	v_sub_f32_e32 v1, v110, v1
	buffer_store_dword v2, off, s[0:3], 0 offset:184
	buffer_store_dword v1, off, s[0:3], 0 offset:188
	s_and_saveexec_b64 s[4:5], vcc
	s_cbranch_execz .LBB125_341
; %bb.340:
	buffer_load_dword v1, off, s[0:3], 0 offset:176
	buffer_load_dword v2, off, s[0:3], 0 offset:180
	v_mov_b32_e32 v3, 0
	buffer_store_dword v3, off, s[0:3], 0 offset:176
	buffer_store_dword v3, off, s[0:3], 0 offset:180
	s_waitcnt vmcnt(2)
	ds_write_b64 v25, v[1:2]
.LBB125_341:
	s_or_b64 exec, exec, s[4:5]
	s_waitcnt lgkmcnt(0)
	; wave barrier
	buffer_load_dword v24, off, s[0:3], 0 offset:188
	buffer_load_dword v82, off, s[0:3], 0 offset:196
	;; [unrolled: 1-line block ×50, first 2 shown]
	v_mov_b32_e32 v1, 0
	ds_read2_b64 v[2:5], v1 offset0:85 offset1:86
	ds_read2_b64 v[6:9], v1 offset0:87 offset1:88
	;; [unrolled: 1-line block ×6, first 2 shown]
	buffer_load_dword v133, off, s[0:3], 0 offset:376
	buffer_load_dword v134, off, s[0:3], 0 offset:380
	;; [unrolled: 1-line block ×8, first 2 shown]
	v_cmp_lt_u32_e32 vcc, 21, v0
	s_waitcnt vmcnt(57) lgkmcnt(5)
	v_mul_f32_e32 v22, v2, v24
	s_waitcnt vmcnt(56)
	v_mul_f32_e32 v23, v4, v82
	s_waitcnt vmcnt(55) lgkmcnt(4)
	v_mul_f32_e32 v30, v6, v83
	s_waitcnt vmcnt(54)
	v_mul_f32_e32 v31, v8, v84
	;; [unrolled: 4-line block ×5, first 2 shown]
	s_waitcnt vmcnt(47) lgkmcnt(0)
	v_mul_f32_e32 v38, v26, v91
	s_waitcnt vmcnt(46)
	v_fmac_f32_e32 v30, v7, v92
	s_waitcnt vmcnt(45)
	v_fmac_f32_e32 v23, v5, v93
	;; [unrolled: 2-line block ×3, first 2 shown]
	v_add_f32_e32 v22, 0, v22
	v_add_f32_e32 v22, v22, v23
	;; [unrolled: 1-line block ×3, first 2 shown]
	s_waitcnt vmcnt(40)
	v_fmac_f32_e32 v31, v9, v98
	v_fmac_f32_e32 v32, v11, v97
	v_add_f32_e32 v22, v22, v31
	v_fmac_f32_e32 v33, v13, v96
	v_add_f32_e32 v22, v22, v32
	;; [unrolled: 2-line block ×3, first 2 shown]
	s_waitcnt vmcnt(36)
	v_fmac_f32_e32 v35, v17, v102
	v_add_f32_e32 v22, v22, v34
	ds_read2_b64 v[30:33], v1 offset0:97 offset1:98
	buffer_load_dword v141, off, s[0:3], 0 offset:408
	buffer_load_dword v142, off, s[0:3], 0 offset:412
	;; [unrolled: 1-line block ×6, first 2 shown]
	v_fmac_f32_e32 v36, v19, v101
	v_add_f32_e32 v22, v22, v35
	v_fmac_f32_e32 v37, v21, v100
	v_add_f32_e32 v22, v22, v36
	v_add_f32_e32 v22, v22, v37
	ds_read2_b64 v[34:37], v1 offset0:99 offset1:100
	buffer_load_dword v147, off, s[0:3], 0 offset:432
	buffer_load_dword v148, off, s[0:3], 0 offset:436
	;; [unrolled: 1-line block ×16, first 2 shown]
	v_mul_f32_e32 v3, v3, v24
	v_fma_f32 v2, v2, v94, -v3
	v_mul_f32_e32 v3, v5, v82
	v_add_f32_e32 v2, 0, v2
	v_fma_f32 v3, v4, v93, -v3
	v_add_f32_e32 v2, v2, v3
	v_mul_f32_e32 v3, v7, v83
	v_fma_f32 v3, v6, v92, -v3
	v_add_f32_e32 v2, v2, v3
	v_mul_f32_e32 v3, v9, v84
	;; [unrolled: 3-line block ×9, first 2 shown]
	v_fmac_f32_e32 v38, v27, v99
	s_waitcnt vmcnt(57)
	v_mul_f32_e32 v23, v28, v103
	v_fma_f32 v3, v26, v99, -v3
	v_add_f32_e32 v22, v22, v38
	s_waitcnt vmcnt(50)
	v_fmac_f32_e32 v23, v29, v110
	v_add_f32_e32 v2, v2, v3
	v_mul_f32_e32 v3, v29, v103
	v_add_f32_e32 v22, v22, v23
	s_waitcnt lgkmcnt(1)
	v_mul_f32_e32 v23, v30, v105
	v_fma_f32 v3, v28, v110, -v3
	v_fmac_f32_e32 v23, v31, v104
	v_add_f32_e32 v2, v2, v3
	v_mul_f32_e32 v3, v31, v105
	v_add_f32_e32 v22, v22, v23
	v_mul_f32_e32 v23, v32, v107
	v_fma_f32 v3, v30, v104, -v3
	v_fmac_f32_e32 v23, v33, v106
	ds_read2_b64 v[38:41], v1 offset0:101 offset1:102
	ds_read2_b64 v[42:45], v1 offset0:103 offset1:104
	v_add_f32_e32 v2, v2, v3
	v_mul_f32_e32 v3, v33, v107
	v_add_f32_e32 v22, v22, v23
	s_waitcnt lgkmcnt(2)
	v_mul_f32_e32 v23, v34, v109
	v_fma_f32 v3, v32, v106, -v3
	v_fmac_f32_e32 v23, v35, v108
	v_add_f32_e32 v2, v2, v3
	v_mul_f32_e32 v3, v35, v109
	v_add_f32_e32 v22, v22, v23
	s_waitcnt vmcnt(46)
	v_mul_f32_e32 v23, v36, v114
	v_fma_f32 v3, v34, v108, -v3
	v_fmac_f32_e32 v23, v37, v113
	v_add_f32_e32 v2, v2, v3
	v_mul_f32_e32 v3, v37, v114
	v_add_f32_e32 v22, v22, v23
	s_waitcnt vmcnt(44) lgkmcnt(1)
	v_mul_f32_e32 v23, v38, v116
	v_fma_f32 v3, v36, v113, -v3
	v_fmac_f32_e32 v23, v39, v115
	v_add_f32_e32 v2, v2, v3
	v_mul_f32_e32 v3, v39, v116
	v_add_f32_e32 v22, v22, v23
	s_waitcnt vmcnt(42)
	v_mul_f32_e32 v23, v40, v118
	v_fma_f32 v3, v38, v115, -v3
	v_fmac_f32_e32 v23, v41, v117
	ds_read2_b64 v[46:49], v1 offset0:105 offset1:106
	ds_read2_b64 v[50:53], v1 offset0:107 offset1:108
	v_add_f32_e32 v2, v2, v3
	v_mul_f32_e32 v3, v41, v118
	v_add_f32_e32 v22, v22, v23
	s_waitcnt vmcnt(40) lgkmcnt(2)
	v_mul_f32_e32 v23, v42, v122
	v_fma_f32 v3, v40, v117, -v3
	v_fmac_f32_e32 v23, v43, v119
	v_add_f32_e32 v2, v2, v3
	v_mul_f32_e32 v3, v43, v122
	v_add_f32_e32 v22, v22, v23
	s_waitcnt vmcnt(38)
	v_mul_f32_e32 v23, v44, v124
	v_fma_f32 v3, v42, v119, -v3
	v_fmac_f32_e32 v23, v45, v123
	v_add_f32_e32 v2, v2, v3
	v_mul_f32_e32 v3, v45, v124
	v_add_f32_e32 v22, v22, v23
	s_waitcnt vmcnt(36) lgkmcnt(1)
	v_mul_f32_e32 v23, v46, v126
	v_fma_f32 v3, v44, v123, -v3
	v_fmac_f32_e32 v23, v47, v125
	v_add_f32_e32 v2, v2, v3
	v_mul_f32_e32 v3, v47, v126
	v_add_f32_e32 v22, v22, v23
	s_waitcnt vmcnt(34)
	v_mul_f32_e32 v23, v48, v128
	v_fma_f32 v3, v46, v125, -v3
	v_fmac_f32_e32 v23, v49, v127
	ds_read2_b64 v[54:57], v1 offset0:109 offset1:110
	ds_read2_b64 v[58:61], v1 offset0:111 offset1:112
	v_add_f32_e32 v2, v2, v3
	v_mul_f32_e32 v3, v49, v128
	v_add_f32_e32 v22, v22, v23
	s_waitcnt vmcnt(32) lgkmcnt(2)
	v_mul_f32_e32 v23, v50, v130
	v_fma_f32 v3, v48, v127, -v3
	v_fmac_f32_e32 v23, v51, v129
	v_add_f32_e32 v2, v2, v3
	v_mul_f32_e32 v3, v51, v130
	v_add_f32_e32 v22, v22, v23
	s_waitcnt vmcnt(30)
	v_mul_f32_e32 v23, v52, v132
	v_fma_f32 v3, v50, v129, -v3
	v_fmac_f32_e32 v23, v53, v131
	v_add_f32_e32 v2, v2, v3
	v_mul_f32_e32 v3, v53, v132
	v_add_f32_e32 v22, v22, v23
	s_waitcnt vmcnt(28) lgkmcnt(1)
	v_mul_f32_e32 v23, v54, v134
	v_fma_f32 v3, v52, v131, -v3
	v_fmac_f32_e32 v23, v55, v133
	v_add_f32_e32 v2, v2, v3
	v_mul_f32_e32 v3, v55, v134
	v_add_f32_e32 v22, v22, v23
	s_waitcnt vmcnt(27)
	v_mul_f32_e32 v23, v56, v135
	v_fma_f32 v3, v54, v133, -v3
	s_waitcnt vmcnt(24)
	v_fmac_f32_e32 v23, v57, v138
	ds_read2_b64 v[62:65], v1 offset0:113 offset1:114
	ds_read2_b64 v[66:69], v1 offset0:115 offset1:116
	v_add_f32_e32 v2, v2, v3
	v_mul_f32_e32 v3, v57, v135
	v_add_f32_e32 v22, v22, v23
	s_waitcnt lgkmcnt(2)
	v_mul_f32_e32 v23, v58, v137
	v_fma_f32 v3, v56, v138, -v3
	v_fmac_f32_e32 v23, v59, v136
	v_add_f32_e32 v2, v2, v3
	v_mul_f32_e32 v3, v59, v137
	v_add_f32_e32 v22, v22, v23
	s_waitcnt vmcnt(22)
	v_mul_f32_e32 v23, v60, v140
	v_fma_f32 v3, v58, v136, -v3
	v_fmac_f32_e32 v23, v61, v139
	v_add_f32_e32 v2, v2, v3
	v_mul_f32_e32 v3, v61, v140
	v_add_f32_e32 v22, v22, v23
	s_waitcnt vmcnt(20) lgkmcnt(1)
	v_mul_f32_e32 v23, v62, v142
	v_fma_f32 v3, v60, v139, -v3
	v_fmac_f32_e32 v23, v63, v141
	v_add_f32_e32 v2, v2, v3
	v_mul_f32_e32 v3, v63, v142
	v_add_f32_e32 v22, v22, v23
	s_waitcnt vmcnt(19)
	v_mul_f32_e32 v23, v64, v143
	v_fma_f32 v3, v62, v141, -v3
	s_waitcnt vmcnt(16)
	v_fmac_f32_e32 v23, v65, v146
	ds_read2_b64 v[70:73], v1 offset0:117 offset1:118
	ds_read2_b64 v[74:77], v1 offset0:119 offset1:120
	v_add_f32_e32 v2, v2, v3
	v_mul_f32_e32 v3, v65, v143
	v_add_f32_e32 v22, v22, v23
	s_waitcnt lgkmcnt(2)
	v_mul_f32_e32 v23, v66, v145
	v_fma_f32 v3, v64, v146, -v3
	v_fmac_f32_e32 v23, v67, v144
	v_add_f32_e32 v2, v2, v3
	v_mul_f32_e32 v3, v67, v145
	v_add_f32_e32 v22, v22, v23
	s_waitcnt vmcnt(14)
	v_mul_f32_e32 v23, v68, v148
	v_fma_f32 v3, v66, v144, -v3
	v_fmac_f32_e32 v23, v69, v147
	v_add_f32_e32 v2, v2, v3
	v_mul_f32_e32 v3, v69, v148
	v_add_f32_e32 v22, v22, v23
	s_waitcnt vmcnt(12) lgkmcnt(1)
	v_mul_f32_e32 v23, v70, v150
	v_fma_f32 v3, v68, v147, -v3
	v_fmac_f32_e32 v23, v71, v149
	v_add_f32_e32 v2, v2, v3
	v_mul_f32_e32 v3, v71, v150
	v_add_f32_e32 v22, v22, v23
	s_waitcnt vmcnt(11)
	v_mul_f32_e32 v23, v72, v151
	v_fma_f32 v3, v70, v149, -v3
	s_waitcnt vmcnt(8)
	v_fmac_f32_e32 v23, v73, v154
	v_add_f32_e32 v2, v2, v3
	v_mul_f32_e32 v3, v73, v151
	v_add_f32_e32 v22, v22, v23
	s_waitcnt lgkmcnt(0)
	v_mul_f32_e32 v23, v74, v153
	ds_read2_b64 v[78:81], v1 offset0:121 offset1:122
	v_fma_f32 v3, v72, v154, -v3
	v_fmac_f32_e32 v23, v75, v152
	v_add_f32_e32 v2, v2, v3
	v_mul_f32_e32 v3, v75, v153
	v_add_f32_e32 v22, v22, v23
	s_waitcnt vmcnt(6)
	v_mul_f32_e32 v23, v76, v156
	v_fma_f32 v3, v74, v152, -v3
	v_fmac_f32_e32 v23, v77, v155
	v_add_f32_e32 v2, v2, v3
	v_mul_f32_e32 v3, v77, v156
	v_add_f32_e32 v163, v22, v23
	ds_read_b64 v[22:23], v1 offset:984
	v_fma_f32 v3, v76, v155, -v3
	v_add_f32_e32 v2, v2, v3
	s_waitcnt vmcnt(4) lgkmcnt(1)
	v_mul_f32_e32 v3, v79, v158
	v_mul_f32_e32 v164, v78, v158
	v_fma_f32 v3, v78, v157, -v3
	v_fmac_f32_e32 v164, v79, v157
	v_add_f32_e32 v2, v2, v3
	s_waitcnt vmcnt(3)
	v_mul_f32_e32 v3, v81, v159
	v_add_f32_e32 v163, v163, v164
	v_mul_f32_e32 v164, v80, v159
	s_waitcnt vmcnt(0)
	v_fma_f32 v3, v80, v162, -v3
	v_fmac_f32_e32 v164, v81, v162
	v_add_f32_e32 v2, v2, v3
	s_waitcnt lgkmcnt(0)
	v_mul_f32_e32 v3, v23, v161
	v_add_f32_e32 v163, v163, v164
	v_mul_f32_e32 v164, v22, v161
	v_fma_f32 v3, v22, v160, -v3
	v_fmac_f32_e32 v164, v23, v160
	v_add_f32_e32 v2, v2, v3
	v_add_f32_e32 v163, v163, v164
	v_sub_f32_e32 v2, v111, v2
	v_sub_f32_e32 v3, v112, v163
	buffer_store_dword v2, off, s[0:3], 0 offset:176
	buffer_store_dword v3, off, s[0:3], 0 offset:180
	s_and_saveexec_b64 s[4:5], vcc
	s_cbranch_execz .LBB125_343
; %bb.342:
	buffer_load_dword v2, off, s[0:3], 0 offset:168
	buffer_load_dword v3, off, s[0:3], 0 offset:172
	s_waitcnt vmcnt(0)
	ds_write_b64 v25, v[2:3]
	buffer_store_dword v1, off, s[0:3], 0 offset:168
	buffer_store_dword v1, off, s[0:3], 0 offset:172
.LBB125_343:
	s_or_b64 exec, exec, s[4:5]
	s_waitcnt lgkmcnt(0)
	; wave barrier
	buffer_load_dword v22, off, s[0:3], 0 offset:180
	buffer_load_dword v23, off, s[0:3], 0 offset:188
	;; [unrolled: 1-line block ×32, first 2 shown]
	ds_read_b128 v[2:5], v1 offset:672
	ds_read_b128 v[6:9], v1 offset:688
	ds_read_b128 v[10:13], v1 offset:704
	ds_read_b128 v[14:17], v1 offset:720
	ds_read_b128 v[18:21], v1 offset:736
	ds_read_b128 v[26:29], v1 offset:752
	buffer_load_dword v115, off, s[0:3], 0 offset:296
	buffer_load_dword v116, off, s[0:3], 0 offset:300
	;; [unrolled: 1-line block ×26, first 2 shown]
	v_cmp_lt_u32_e32 vcc, 20, v0
	s_waitcnt vmcnt(57) lgkmcnt(5)
	v_mul_f32_e32 v30, v2, v22
	s_waitcnt vmcnt(56)
	v_mul_f32_e32 v31, v4, v23
	s_waitcnt vmcnt(55) lgkmcnt(4)
	v_mul_f32_e32 v32, v6, v24
	s_waitcnt vmcnt(54)
	v_mul_f32_e32 v33, v8, v86
	;; [unrolled: 4-line block ×5, first 2 shown]
	s_waitcnt vmcnt(47) lgkmcnt(0)
	v_mul_f32_e32 v40, v26, v93
	s_waitcnt vmcnt(46)
	v_fmac_f32_e32 v32, v7, v94
	s_waitcnt vmcnt(45)
	v_fmac_f32_e32 v31, v5, v95
	;; [unrolled: 2-line block ×3, first 2 shown]
	v_add_f32_e32 v30, 0, v30
	v_add_f32_e32 v30, v30, v31
	v_add_f32_e32 v30, v30, v32
	s_waitcnt vmcnt(40)
	v_fmac_f32_e32 v33, v9, v100
	v_fmac_f32_e32 v34, v11, v99
	v_add_f32_e32 v30, v30, v33
	v_fmac_f32_e32 v35, v13, v98
	v_add_f32_e32 v30, v30, v34
	v_fmac_f32_e32 v36, v15, v97
	v_add_f32_e32 v30, v30, v35
	s_waitcnt vmcnt(36)
	v_fmac_f32_e32 v37, v17, v104
	v_add_f32_e32 v30, v30, v36
	v_fmac_f32_e32 v38, v19, v103
	v_add_f32_e32 v30, v30, v37
	;; [unrolled: 2-line block ×4, first 2 shown]
	v_add_f32_e32 v34, v30, v40
	ds_read_b128 v[30:33], v1 offset:768
	buffer_load_dword v143, off, s[0:3], 0 offset:400
	buffer_load_dword v144, off, s[0:3], 0 offset:404
	;; [unrolled: 1-line block ×6, first 2 shown]
	s_waitcnt vmcnt(41)
	v_mul_f32_e32 v35, v28, v105
	s_waitcnt vmcnt(35)
	v_fmac_f32_e32 v35, v29, v111
	v_add_f32_e32 v38, v34, v35
	ds_read_b128 v[34:37], v1 offset:784
	buffer_load_dword v149, off, s[0:3], 0 offset:424
	buffer_load_dword v150, off, s[0:3], 0 offset:428
	;; [unrolled: 1-line block ×10, first 2 shown]
	s_waitcnt vmcnt(44) lgkmcnt(1)
	v_mul_f32_e32 v39, v30, v112
	v_fmac_f32_e32 v39, v31, v110
	v_add_f32_e32 v38, v38, v39
	v_mul_f32_e32 v39, v32, v107
	v_fmac_f32_e32 v39, v33, v106
	v_add_f32_e32 v38, v38, v39
	s_waitcnt lgkmcnt(0)
	v_mul_f32_e32 v39, v34, v109
	buffer_load_dword v159, off, s[0:3], 0 offset:464
	buffer_load_dword v160, off, s[0:3], 0 offset:468
	;; [unrolled: 1-line block ×6, first 2 shown]
	v_fmac_f32_e32 v39, v35, v108
	s_waitcnt vmcnt(46)
	v_mul_f32_e32 v43, v36, v116
	v_add_f32_e32 v42, v38, v39
	v_fmac_f32_e32 v43, v37, v115
	ds_read_b128 v[38:41], v1 offset:800
	v_add_f32_e32 v46, v42, v43
	ds_read_b128 v[42:45], v1 offset:816
	buffer_load_dword v165, off, s[0:3], 0 offset:488
	buffer_load_dword v166, off, s[0:3], 0 offset:492
	v_mul_f32_e32 v3, v3, v22
	v_fma_f32 v2, v2, v96, -v3
	v_mul_f32_e32 v3, v5, v23
	v_add_f32_e32 v2, 0, v2
	v_fma_f32 v3, v4, v95, -v3
	v_add_f32_e32 v2, v2, v3
	v_mul_f32_e32 v3, v7, v24
	v_fma_f32 v3, v6, v94, -v3
	v_add_f32_e32 v2, v2, v3
	v_mul_f32_e32 v3, v9, v86
	;; [unrolled: 3-line block ×7, first 2 shown]
	s_waitcnt vmcnt(46) lgkmcnt(1)
	v_mul_f32_e32 v47, v38, v118
	v_fma_f32 v3, v18, v103, -v3
	v_fmac_f32_e32 v47, v39, v117
	v_add_f32_e32 v2, v2, v3
	v_mul_f32_e32 v3, v21, v92
	v_add_f32_e32 v46, v46, v47
	s_waitcnt vmcnt(44)
	v_mul_f32_e32 v47, v40, v122
	v_fma_f32 v3, v20, v102, -v3
	v_fmac_f32_e32 v47, v41, v119
	v_add_f32_e32 v2, v2, v3
	v_mul_f32_e32 v3, v27, v93
	v_add_f32_e32 v46, v46, v47
	s_waitcnt vmcnt(42) lgkmcnt(0)
	v_mul_f32_e32 v47, v42, v124
	v_fma_f32 v3, v26, v101, -v3
	v_fmac_f32_e32 v47, v43, v123
	v_add_f32_e32 v2, v2, v3
	v_mul_f32_e32 v3, v29, v105
	v_add_f32_e32 v50, v46, v47
	ds_read_b128 v[46:49], v1 offset:832
	v_fma_f32 v3, v28, v111, -v3
	v_add_f32_e32 v2, v2, v3
	v_mul_f32_e32 v3, v31, v112
	s_waitcnt vmcnt(40)
	v_mul_f32_e32 v51, v44, v126
	v_fma_f32 v3, v30, v110, -v3
	v_fmac_f32_e32 v51, v45, v125
	v_add_f32_e32 v2, v2, v3
	v_mul_f32_e32 v3, v33, v107
	v_add_f32_e32 v54, v50, v51
	ds_read_b128 v[50:53], v1 offset:848
	v_fma_f32 v3, v32, v106, -v3
	s_waitcnt vmcnt(38) lgkmcnt(1)
	v_mul_f32_e32 v55, v46, v128
	v_add_f32_e32 v2, v2, v3
	v_mul_f32_e32 v3, v35, v109
	v_fmac_f32_e32 v55, v47, v127
	v_fma_f32 v3, v34, v108, -v3
	v_add_f32_e32 v54, v54, v55
	s_waitcnt vmcnt(36)
	v_mul_f32_e32 v55, v48, v130
	v_add_f32_e32 v2, v2, v3
	v_mul_f32_e32 v3, v37, v116
	v_fmac_f32_e32 v55, v49, v129
	v_fma_f32 v3, v36, v115, -v3
	v_add_f32_e32 v54, v54, v55
	s_waitcnt vmcnt(34) lgkmcnt(0)
	v_mul_f32_e32 v55, v50, v132
	v_add_f32_e32 v2, v2, v3
	v_mul_f32_e32 v3, v39, v118
	v_fmac_f32_e32 v55, v51, v131
	v_fma_f32 v3, v38, v117, -v3
	v_add_f32_e32 v58, v54, v55
	ds_read_b128 v[54:57], v1 offset:864
	v_add_f32_e32 v2, v2, v3
	v_mul_f32_e32 v3, v41, v122
	v_fma_f32 v3, v40, v119, -v3
	s_waitcnt vmcnt(32)
	v_mul_f32_e32 v59, v52, v134
	v_add_f32_e32 v2, v2, v3
	v_mul_f32_e32 v3, v43, v124
	v_fmac_f32_e32 v59, v53, v133
	v_fma_f32 v3, v42, v123, -v3
	v_add_f32_e32 v62, v58, v59
	ds_read_b128 v[58:61], v1 offset:880
	v_add_f32_e32 v2, v2, v3
	v_mul_f32_e32 v3, v45, v126
	s_waitcnt vmcnt(30) lgkmcnt(1)
	v_mul_f32_e32 v63, v54, v136
	v_fma_f32 v3, v44, v125, -v3
	v_fmac_f32_e32 v63, v55, v135
	v_add_f32_e32 v2, v2, v3
	v_mul_f32_e32 v3, v47, v128
	v_add_f32_e32 v62, v62, v63
	s_waitcnt vmcnt(29)
	v_mul_f32_e32 v63, v56, v137
	v_fma_f32 v3, v46, v127, -v3
	s_waitcnt vmcnt(26)
	v_fmac_f32_e32 v63, v57, v140
	v_add_f32_e32 v2, v2, v3
	v_mul_f32_e32 v3, v49, v130
	v_add_f32_e32 v62, v62, v63
	s_waitcnt lgkmcnt(0)
	v_mul_f32_e32 v63, v58, v139
	v_fma_f32 v3, v48, v129, -v3
	v_fmac_f32_e32 v63, v59, v138
	v_add_f32_e32 v2, v2, v3
	v_mul_f32_e32 v3, v51, v132
	v_add_f32_e32 v66, v62, v63
	ds_read_b128 v[62:65], v1 offset:896
	v_fma_f32 v3, v50, v131, -v3
	v_add_f32_e32 v2, v2, v3
	v_mul_f32_e32 v3, v53, v134
	s_waitcnt vmcnt(24)
	v_mul_f32_e32 v67, v60, v142
	v_fma_f32 v3, v52, v133, -v3
	v_fmac_f32_e32 v67, v61, v141
	v_add_f32_e32 v2, v2, v3
	v_mul_f32_e32 v3, v55, v136
	v_add_f32_e32 v70, v66, v67
	ds_read_b128 v[66:69], v1 offset:912
	v_fma_f32 v3, v54, v135, -v3
	s_waitcnt vmcnt(22) lgkmcnt(1)
	v_mul_f32_e32 v71, v62, v144
	v_add_f32_e32 v2, v2, v3
	v_mul_f32_e32 v3, v57, v137
	v_fmac_f32_e32 v71, v63, v143
	v_fma_f32 v3, v56, v140, -v3
	v_add_f32_e32 v70, v70, v71
	s_waitcnt vmcnt(21)
	v_mul_f32_e32 v71, v64, v145
	v_add_f32_e32 v2, v2, v3
	v_mul_f32_e32 v3, v59, v139
	s_waitcnt vmcnt(18)
	v_fmac_f32_e32 v71, v65, v148
	v_fma_f32 v3, v58, v138, -v3
	v_add_f32_e32 v70, v70, v71
	s_waitcnt lgkmcnt(0)
	v_mul_f32_e32 v71, v66, v147
	v_add_f32_e32 v2, v2, v3
	v_mul_f32_e32 v3, v61, v142
	v_fmac_f32_e32 v71, v67, v146
	v_fma_f32 v3, v60, v141, -v3
	v_add_f32_e32 v74, v70, v71
	ds_read_b128 v[70:73], v1 offset:928
	v_add_f32_e32 v2, v2, v3
	v_mul_f32_e32 v3, v63, v144
	v_fma_f32 v3, v62, v143, -v3
	s_waitcnt vmcnt(16)
	v_mul_f32_e32 v75, v68, v150
	v_add_f32_e32 v2, v2, v3
	v_mul_f32_e32 v3, v65, v145
	v_fmac_f32_e32 v75, v69, v149
	v_fma_f32 v3, v64, v148, -v3
	v_add_f32_e32 v78, v74, v75
	ds_read_b128 v[74:77], v1 offset:944
	v_add_f32_e32 v2, v2, v3
	v_mul_f32_e32 v3, v67, v147
	s_waitcnt vmcnt(14) lgkmcnt(1)
	v_mul_f32_e32 v79, v70, v152
	v_fma_f32 v3, v66, v146, -v3
	v_fmac_f32_e32 v79, v71, v151
	v_add_f32_e32 v2, v2, v3
	v_mul_f32_e32 v3, v69, v150
	v_add_f32_e32 v78, v78, v79
	s_waitcnt vmcnt(13)
	v_mul_f32_e32 v79, v72, v153
	v_fma_f32 v3, v68, v149, -v3
	s_waitcnt vmcnt(10)
	v_fmac_f32_e32 v79, v73, v156
	v_add_f32_e32 v2, v2, v3
	v_mul_f32_e32 v3, v71, v152
	v_add_f32_e32 v78, v78, v79
	s_waitcnt lgkmcnt(0)
	v_mul_f32_e32 v79, v74, v155
	v_fma_f32 v3, v70, v151, -v3
	v_fmac_f32_e32 v79, v75, v154
	v_add_f32_e32 v2, v2, v3
	v_mul_f32_e32 v3, v73, v153
	v_add_f32_e32 v82, v78, v79
	ds_read_b128 v[78:81], v1 offset:960
	v_fma_f32 v3, v72, v156, -v3
	v_add_f32_e32 v2, v2, v3
	v_mul_f32_e32 v3, v75, v155
	s_waitcnt vmcnt(8)
	v_mul_f32_e32 v83, v76, v158
	v_fma_f32 v3, v74, v154, -v3
	v_fmac_f32_e32 v83, v77, v157
	v_add_f32_e32 v2, v2, v3
	v_mul_f32_e32 v3, v77, v158
	v_add_f32_e32 v167, v82, v83
	ds_read_b128 v[82:85], v1 offset:976
	v_fma_f32 v3, v76, v157, -v3
	v_add_f32_e32 v2, v2, v3
	s_waitcnt vmcnt(6) lgkmcnt(1)
	v_mul_f32_e32 v3, v79, v160
	v_mul_f32_e32 v1, v78, v160
	v_fma_f32 v3, v78, v159, -v3
	v_fmac_f32_e32 v1, v79, v159
	v_add_f32_e32 v2, v2, v3
	s_waitcnt vmcnt(5)
	v_mul_f32_e32 v3, v81, v161
	v_add_f32_e32 v1, v167, v1
	v_mul_f32_e32 v167, v80, v161
	s_waitcnt vmcnt(2)
	v_fma_f32 v3, v80, v164, -v3
	v_fmac_f32_e32 v167, v81, v164
	v_add_f32_e32 v2, v2, v3
	s_waitcnt lgkmcnt(0)
	v_mul_f32_e32 v3, v83, v163
	v_add_f32_e32 v1, v1, v167
	v_mul_f32_e32 v167, v82, v163
	v_fma_f32 v3, v82, v162, -v3
	v_fmac_f32_e32 v167, v83, v162
	v_add_f32_e32 v2, v2, v3
	s_waitcnt vmcnt(0)
	v_mul_f32_e32 v3, v85, v166
	v_add_f32_e32 v1, v1, v167
	v_mul_f32_e32 v167, v84, v166
	v_fma_f32 v3, v84, v165, -v3
	v_fmac_f32_e32 v167, v85, v165
	v_add_f32_e32 v2, v2, v3
	v_add_f32_e32 v1, v1, v167
	v_sub_f32_e32 v2, v113, v2
	v_sub_f32_e32 v1, v114, v1
	buffer_store_dword v2, off, s[0:3], 0 offset:168
	buffer_store_dword v1, off, s[0:3], 0 offset:172
	s_and_saveexec_b64 s[4:5], vcc
	s_cbranch_execz .LBB125_345
; %bb.344:
	buffer_load_dword v1, off, s[0:3], 0 offset:160
	buffer_load_dword v2, off, s[0:3], 0 offset:164
	v_mov_b32_e32 v3, 0
	buffer_store_dword v3, off, s[0:3], 0 offset:160
	buffer_store_dword v3, off, s[0:3], 0 offset:164
	s_waitcnt vmcnt(2)
	ds_write_b64 v25, v[1:2]
.LBB125_345:
	s_or_b64 exec, exec, s[4:5]
	s_waitcnt lgkmcnt(0)
	; wave barrier
	buffer_load_dword v10, off, s[0:3], 0 offset:172
	buffer_load_dword v9, off, s[0:3], 0 offset:180
	;; [unrolled: 1-line block ×32, first 2 shown]
	v_mov_b32_e32 v1, 0
	buffer_load_dword v117, off, s[0:3], 0 offset:288
	buffer_load_dword v118, off, s[0:3], 0 offset:292
	;; [unrolled: 1-line block ×18, first 2 shown]
	ds_read2_b64 v[11:14], v1 offset0:83 offset1:84
	ds_read2_b64 v[15:18], v1 offset0:85 offset1:86
	ds_read2_b64 v[19:22], v1 offset0:87 offset1:88
	ds_read2_b64 v[26:29], v1 offset0:89 offset1:90
	ds_read2_b64 v[30:33], v1 offset0:91 offset1:92
	ds_read2_b64 v[34:37], v1 offset0:93 offset1:94
	buffer_load_dword v137, off, s[0:3], 0 offset:360
	buffer_load_dword v138, off, s[0:3], 0 offset:364
	;; [unrolled: 1-line block ×6, first 2 shown]
	v_cmp_lt_u32_e32 vcc, 19, v0
	s_waitcnt vmcnt(55) lgkmcnt(5)
	v_mul_f32_e32 v23, v11, v10
	s_waitcnt vmcnt(54)
	v_mul_f32_e32 v24, v13, v9
	s_waitcnt vmcnt(53) lgkmcnt(4)
	v_mul_f32_e32 v38, v15, v8
	s_waitcnt vmcnt(52)
	v_mul_f32_e32 v39, v17, v7
	;; [unrolled: 4-line block ×5, first 2 shown]
	s_waitcnt vmcnt(45) lgkmcnt(0)
	v_mul_f32_e32 v46, v34, v97
	s_waitcnt vmcnt(44)
	v_fmac_f32_e32 v38, v16, v98
	s_waitcnt vmcnt(43)
	v_fmac_f32_e32 v24, v14, v99
	;; [unrolled: 2-line block ×3, first 2 shown]
	v_add_f32_e32 v23, 0, v23
	v_add_f32_e32 v23, v23, v24
	;; [unrolled: 1-line block ×3, first 2 shown]
	s_waitcnt vmcnt(38)
	v_fmac_f32_e32 v39, v18, v104
	v_fmac_f32_e32 v40, v20, v103
	v_add_f32_e32 v23, v23, v39
	v_fmac_f32_e32 v41, v22, v102
	v_add_f32_e32 v23, v23, v40
	v_add_f32_e32 v23, v23, v41
	ds_read2_b64 v[38:41], v1 offset0:95 offset1:96
	buffer_load_dword v143, off, s[0:3], 0 offset:384
	buffer_load_dword v144, off, s[0:3], 0 offset:388
	v_fmac_f32_e32 v42, v27, v101
	s_waitcnt vmcnt(36)
	v_fmac_f32_e32 v43, v29, v108
	v_add_f32_e32 v23, v23, v42
	v_fmac_f32_e32 v44, v31, v107
	v_add_f32_e32 v23, v23, v43
	;; [unrolled: 2-line block ×3, first 2 shown]
	v_add_f32_e32 v23, v23, v45
	ds_read2_b64 v[42:45], v1 offset0:97 offset1:98
	buffer_load_dword v145, off, s[0:3], 0 offset:392
	buffer_load_dword v146, off, s[0:3], 0 offset:396
	;; [unrolled: 1-line block ×16, first 2 shown]
	v_fmac_f32_e32 v46, v35, v105
	v_add_f32_e32 v23, v23, v46
	ds_read2_b64 v[46:49], v1 offset0:99 offset1:100
	buffer_load_dword v161, off, s[0:3], 0 offset:456
	buffer_load_dword v162, off, s[0:3], 0 offset:460
	;; [unrolled: 1-line block ×6, first 2 shown]
	ds_read2_b64 v[50:53], v1 offset0:101 offset1:102
	buffer_load_dword v167, off, s[0:3], 0 offset:484
	buffer_load_dword v168, off, s[0:3], 0 offset:488
	;; [unrolled: 1-line block ×4, first 2 shown]
	v_mul_f32_e32 v10, v12, v10
	v_fma_f32 v10, v11, v100, -v10
	v_mul_f32_e32 v9, v14, v9
	v_add_f32_e32 v10, 0, v10
	v_fma_f32 v9, v13, v99, -v9
	v_mul_f32_e32 v8, v16, v8
	v_add_f32_e32 v9, v10, v9
	;; [unrolled: 3-line block ×6, first 2 shown]
	v_fma_f32 v2, v26, v101, -v2
	v_add_f32_e32 v2, v3, v2
	v_mul_f32_e32 v3, v29, v94
	v_fma_f32 v3, v28, v108, -v3
	v_add_f32_e32 v2, v2, v3
	v_mul_f32_e32 v3, v31, v95
	;; [unrolled: 3-line block ×4, first 2 shown]
	s_waitcnt vmcnt(61)
	v_mul_f32_e32 v24, v36, v109
	v_fma_f32 v3, v34, v105, -v3
	s_waitcnt vmcnt(55)
	v_fmac_f32_e32 v24, v37, v115
	v_add_f32_e32 v2, v2, v3
	v_mul_f32_e32 v3, v37, v109
	v_add_f32_e32 v23, v23, v24
	s_waitcnt vmcnt(54) lgkmcnt(3)
	v_mul_f32_e32 v24, v38, v116
	v_fma_f32 v3, v36, v115, -v3
	v_fmac_f32_e32 v24, v39, v114
	v_add_f32_e32 v2, v2, v3
	v_mul_f32_e32 v3, v39, v116
	v_add_f32_e32 v23, v23, v24
	v_mul_f32_e32 v24, v40, v111
	v_fma_f32 v3, v38, v114, -v3
	v_fmac_f32_e32 v24, v41, v110
	v_add_f32_e32 v2, v2, v3
	v_mul_f32_e32 v3, v41, v111
	v_add_f32_e32 v23, v23, v24
	s_waitcnt lgkmcnt(2)
	v_mul_f32_e32 v24, v42, v113
	v_fma_f32 v3, v40, v110, -v3
	v_fmac_f32_e32 v24, v43, v112
	v_add_f32_e32 v2, v2, v3
	v_mul_f32_e32 v3, v43, v113
	v_add_f32_e32 v23, v23, v24
	s_waitcnt vmcnt(50)
	v_mul_f32_e32 v24, v44, v118
	v_fma_f32 v3, v42, v112, -v3
	v_fmac_f32_e32 v24, v45, v117
	v_add_f32_e32 v2, v2, v3
	v_mul_f32_e32 v3, v45, v118
	v_add_f32_e32 v23, v23, v24
	s_waitcnt vmcnt(48) lgkmcnt(1)
	v_mul_f32_e32 v24, v46, v122
	v_fma_f32 v3, v44, v117, -v3
	v_fmac_f32_e32 v24, v47, v119
	v_add_f32_e32 v2, v2, v3
	v_mul_f32_e32 v3, v47, v122
	v_add_f32_e32 v23, v23, v24
	s_waitcnt vmcnt(46)
	v_mul_f32_e32 v24, v48, v124
	v_fma_f32 v3, v46, v119, -v3
	v_fmac_f32_e32 v24, v49, v123
	ds_read2_b64 v[54:57], v1 offset0:103 offset1:104
	ds_read2_b64 v[58:61], v1 offset0:105 offset1:106
	v_add_f32_e32 v2, v2, v3
	v_mul_f32_e32 v3, v49, v124
	v_add_f32_e32 v23, v23, v24
	s_waitcnt vmcnt(44) lgkmcnt(2)
	v_mul_f32_e32 v24, v50, v126
	v_fma_f32 v3, v48, v123, -v3
	v_fmac_f32_e32 v24, v51, v125
	v_add_f32_e32 v2, v2, v3
	v_mul_f32_e32 v3, v51, v126
	v_add_f32_e32 v23, v23, v24
	s_waitcnt vmcnt(42)
	v_mul_f32_e32 v24, v52, v128
	v_fma_f32 v3, v50, v125, -v3
	v_fmac_f32_e32 v24, v53, v127
	v_add_f32_e32 v2, v2, v3
	v_mul_f32_e32 v3, v53, v128
	v_add_f32_e32 v23, v23, v24
	s_waitcnt vmcnt(40) lgkmcnt(1)
	v_mul_f32_e32 v24, v54, v130
	v_fma_f32 v3, v52, v127, -v3
	v_fmac_f32_e32 v24, v55, v129
	v_add_f32_e32 v2, v2, v3
	v_mul_f32_e32 v3, v55, v130
	v_add_f32_e32 v23, v23, v24
	s_waitcnt vmcnt(38)
	v_mul_f32_e32 v24, v56, v132
	v_fma_f32 v3, v54, v129, -v3
	v_fmac_f32_e32 v24, v57, v131
	ds_read2_b64 v[62:65], v1 offset0:107 offset1:108
	ds_read2_b64 v[66:69], v1 offset0:109 offset1:110
	v_add_f32_e32 v2, v2, v3
	v_mul_f32_e32 v3, v57, v132
	v_add_f32_e32 v23, v23, v24
	s_waitcnt vmcnt(36) lgkmcnt(2)
	v_mul_f32_e32 v24, v58, v134
	v_fma_f32 v3, v56, v131, -v3
	v_fmac_f32_e32 v24, v59, v133
	v_add_f32_e32 v2, v2, v3
	v_mul_f32_e32 v3, v59, v134
	v_add_f32_e32 v23, v23, v24
	s_waitcnt vmcnt(34)
	v_mul_f32_e32 v24, v60, v136
	v_fma_f32 v3, v58, v133, -v3
	v_fmac_f32_e32 v24, v61, v135
	v_add_f32_e32 v2, v2, v3
	v_mul_f32_e32 v3, v61, v136
	v_add_f32_e32 v23, v23, v24
	s_waitcnt vmcnt(32) lgkmcnt(1)
	v_mul_f32_e32 v24, v62, v138
	v_fma_f32 v3, v60, v135, -v3
	v_fmac_f32_e32 v24, v63, v137
	v_add_f32_e32 v2, v2, v3
	v_mul_f32_e32 v3, v63, v138
	v_add_f32_e32 v23, v23, v24
	s_waitcnt vmcnt(31)
	v_mul_f32_e32 v24, v64, v139
	v_fma_f32 v3, v62, v137, -v3
	s_waitcnt vmcnt(28)
	v_fmac_f32_e32 v24, v65, v142
	ds_read2_b64 v[70:73], v1 offset0:111 offset1:112
	ds_read2_b64 v[74:77], v1 offset0:113 offset1:114
	v_add_f32_e32 v2, v2, v3
	v_mul_f32_e32 v3, v65, v139
	v_add_f32_e32 v23, v23, v24
	s_waitcnt lgkmcnt(2)
	v_mul_f32_e32 v24, v66, v141
	v_fma_f32 v3, v64, v142, -v3
	v_fmac_f32_e32 v24, v67, v140
	v_add_f32_e32 v2, v2, v3
	v_mul_f32_e32 v3, v67, v141
	v_add_f32_e32 v23, v23, v24
	s_waitcnt vmcnt(26)
	v_mul_f32_e32 v24, v68, v144
	v_fma_f32 v3, v66, v140, -v3
	v_fmac_f32_e32 v24, v69, v143
	v_add_f32_e32 v2, v2, v3
	v_mul_f32_e32 v3, v69, v144
	v_add_f32_e32 v23, v23, v24
	s_waitcnt vmcnt(24) lgkmcnt(1)
	v_mul_f32_e32 v24, v70, v146
	v_fma_f32 v3, v68, v143, -v3
	v_fmac_f32_e32 v24, v71, v145
	v_add_f32_e32 v2, v2, v3
	v_mul_f32_e32 v3, v71, v146
	v_add_f32_e32 v23, v23, v24
	s_waitcnt vmcnt(23)
	v_mul_f32_e32 v24, v72, v147
	v_fma_f32 v3, v70, v145, -v3
	s_waitcnt vmcnt(20)
	v_fmac_f32_e32 v24, v73, v150
	ds_read2_b64 v[78:81], v1 offset0:115 offset1:116
	ds_read2_b64 v[82:85], v1 offset0:117 offset1:118
	v_add_f32_e32 v2, v2, v3
	v_mul_f32_e32 v3, v73, v147
	v_add_f32_e32 v23, v23, v24
	s_waitcnt lgkmcnt(2)
	;; [unrolled: 31-line block ×3, first 2 shown]
	v_mul_f32_e32 v24, v82, v157
	v_fma_f32 v3, v80, v158, -v3
	v_fmac_f32_e32 v24, v83, v156
	v_add_f32_e32 v2, v2, v3
	v_mul_f32_e32 v3, v83, v157
	v_add_f32_e32 v23, v23, v24
	s_waitcnt vmcnt(10)
	v_mul_f32_e32 v24, v84, v160
	v_fma_f32 v3, v82, v156, -v3
	v_fmac_f32_e32 v24, v85, v159
	v_add_f32_e32 v2, v2, v3
	v_mul_f32_e32 v3, v85, v160
	v_add_f32_e32 v23, v23, v24
	s_waitcnt vmcnt(8) lgkmcnt(1)
	v_mul_f32_e32 v24, v86, v162
	v_fma_f32 v3, v84, v159, -v3
	v_fmac_f32_e32 v24, v87, v161
	v_add_f32_e32 v2, v2, v3
	v_mul_f32_e32 v3, v87, v162
	v_add_f32_e32 v23, v23, v24
	s_waitcnt vmcnt(7)
	v_mul_f32_e32 v24, v88, v163
	v_fma_f32 v3, v86, v161, -v3
	s_waitcnt vmcnt(4)
	v_fmac_f32_e32 v24, v89, v166
	v_add_f32_e32 v2, v2, v3
	v_mul_f32_e32 v3, v89, v163
	v_add_f32_e32 v171, v23, v24
	ds_read_b64 v[23:24], v1 offset:984
	v_fma_f32 v3, v88, v166, -v3
	v_add_f32_e32 v2, v2, v3
	s_waitcnt lgkmcnt(1)
	v_mul_f32_e32 v3, v91, v165
	v_mul_f32_e32 v172, v90, v165
	v_fma_f32 v3, v90, v164, -v3
	v_fmac_f32_e32 v172, v91, v164
	v_add_f32_e32 v2, v2, v3
	s_waitcnt vmcnt(3)
	v_mul_f32_e32 v3, v93, v167
	v_add_f32_e32 v171, v171, v172
	v_mul_f32_e32 v172, v92, v167
	s_waitcnt vmcnt(0)
	v_fma_f32 v3, v92, v170, -v3
	v_fmac_f32_e32 v172, v93, v170
	v_add_f32_e32 v2, v2, v3
	s_waitcnt lgkmcnt(0)
	v_mul_f32_e32 v3, v24, v169
	v_add_f32_e32 v171, v171, v172
	v_mul_f32_e32 v172, v23, v169
	v_fma_f32 v3, v23, v168, -v3
	v_fmac_f32_e32 v172, v24, v168
	v_add_f32_e32 v2, v2, v3
	v_add_f32_e32 v171, v171, v172
	v_sub_f32_e32 v2, v4, v2
	v_sub_f32_e32 v3, v5, v171
	buffer_store_dword v2, off, s[0:3], 0 offset:160
	buffer_store_dword v3, off, s[0:3], 0 offset:164
	s_and_saveexec_b64 s[4:5], vcc
	s_cbranch_execz .LBB125_347
; %bb.346:
	buffer_load_dword v2, off, s[0:3], 0 offset:152
	buffer_load_dword v3, off, s[0:3], 0 offset:156
	s_waitcnt vmcnt(0)
	ds_write_b64 v25, v[2:3]
	buffer_store_dword v1, off, s[0:3], 0 offset:152
	buffer_store_dword v1, off, s[0:3], 0 offset:156
.LBB125_347:
	s_or_b64 exec, exec, s[4:5]
	s_waitcnt lgkmcnt(0)
	; wave barrier
	buffer_load_dword v22, off, s[0:3], 0 offset:164
	buffer_load_dword v23, off, s[0:3], 0 offset:172
	;; [unrolled: 1-line block ×32, first 2 shown]
	ds_read_b128 v[2:5], v1 offset:656
	ds_read_b128 v[6:9], v1 offset:672
	ds_read_b128 v[10:13], v1 offset:688
	ds_read_b128 v[14:17], v1 offset:704
	ds_read_b128 v[18:21], v1 offset:720
	ds_read_b128 v[26:29], v1 offset:736
	buffer_load_dword v119, off, s[0:3], 0 offset:280
	buffer_load_dword v122, off, s[0:3], 0 offset:284
	;; [unrolled: 1-line block ×18, first 2 shown]
	v_cmp_lt_u32_e32 vcc, 18, v0
	s_waitcnt vmcnt(49) lgkmcnt(5)
	v_mul_f32_e32 v30, v2, v22
	s_waitcnt vmcnt(48)
	v_mul_f32_e32 v31, v4, v23
	s_waitcnt vmcnt(47) lgkmcnt(4)
	v_mul_f32_e32 v32, v6, v24
	s_waitcnt vmcnt(46)
	v_mul_f32_e32 v33, v8, v90
	;; [unrolled: 4-line block ×6, first 2 shown]
	s_waitcnt vmcnt(37)
	v_fmac_f32_e32 v32, v7, v99
	s_waitcnt vmcnt(36)
	v_fmac_f32_e32 v31, v5, v100
	;; [unrolled: 2-line block ×3, first 2 shown]
	v_add_f32_e32 v30, 0, v30
	v_add_f32_e32 v30, v30, v31
	;; [unrolled: 1-line block ×3, first 2 shown]
	s_waitcnt vmcnt(31)
	v_fmac_f32_e32 v33, v9, v105
	v_fmac_f32_e32 v34, v11, v104
	v_add_f32_e32 v30, v30, v33
	v_fmac_f32_e32 v35, v13, v103
	v_add_f32_e32 v30, v30, v34
	;; [unrolled: 2-line block ×3, first 2 shown]
	s_waitcnt vmcnt(27)
	v_fmac_f32_e32 v37, v17, v109
	v_add_f32_e32 v30, v30, v36
	v_fmac_f32_e32 v38, v19, v108
	v_add_f32_e32 v30, v30, v37
	;; [unrolled: 2-line block ×3, first 2 shown]
	v_add_f32_e32 v34, v30, v39
	ds_read_b128 v[30:33], v1 offset:752
	buffer_load_dword v139, off, s[0:3], 0 offset:352
	buffer_load_dword v140, off, s[0:3], 0 offset:356
	;; [unrolled: 1-line block ×6, first 2 shown]
	v_fmac_f32_e32 v40, v27, v106
	s_waitcnt vmcnt(27)
	v_fmac_f32_e32 v41, v29, v115
	v_add_f32_e32 v34, v34, v40
	v_add_f32_e32 v38, v34, v41
	ds_read_b128 v[34:37], v1 offset:768
	buffer_load_dword v145, off, s[0:3], 0 offset:376
	buffer_load_dword v146, off, s[0:3], 0 offset:380
	;; [unrolled: 1-line block ×10, first 2 shown]
	s_waitcnt vmcnt(36) lgkmcnt(1)
	v_mul_f32_e32 v39, v30, v116
	buffer_load_dword v155, off, s[0:3], 0 offset:416
	buffer_load_dword v156, off, s[0:3], 0 offset:420
	;; [unrolled: 1-line block ×6, first 2 shown]
	v_fmac_f32_e32 v39, v31, v114
	v_add_f32_e32 v38, v38, v39
	v_mul_f32_e32 v39, v32, v111
	v_fmac_f32_e32 v39, v33, v110
	v_add_f32_e32 v38, v38, v39
	s_waitcnt lgkmcnt(0)
	v_mul_f32_e32 v39, v34, v113
	v_fmac_f32_e32 v39, v35, v112
	v_add_f32_e32 v42, v38, v39
	ds_read_b128 v[38:41], v1 offset:784
	buffer_load_dword v161, off, s[0:3], 0 offset:440
	buffer_load_dword v162, off, s[0:3], 0 offset:444
	s_waitcnt vmcnt(40)
	v_mul_f32_e32 v43, v36, v122
	v_fmac_f32_e32 v43, v37, v119
	v_add_f32_e32 v46, v42, v43
	ds_read_b128 v[42:45], v1 offset:800
	buffer_load_dword v163, off, s[0:3], 0 offset:448
	buffer_load_dword v164, off, s[0:3], 0 offset:452
	buffer_load_dword v165, off, s[0:3], 0 offset:460
	buffer_load_dword v166, off, s[0:3], 0 offset:464
	buffer_load_dword v167, off, s[0:3], 0 offset:468
	buffer_load_dword v168, off, s[0:3], 0 offset:456
	buffer_load_dword v169, off, s[0:3], 0 offset:472
	buffer_load_dword v170, off, s[0:3], 0 offset:476
	buffer_load_dword v171, off, s[0:3], 0 offset:484
	buffer_load_dword v172, off, s[0:3], 0 offset:488
	buffer_load_dword v173, off, s[0:3], 0 offset:492
	buffer_load_dword v174, off, s[0:3], 0 offset:480
	v_mul_f32_e32 v3, v3, v22
	v_fma_f32 v2, v2, v101, -v3
	v_mul_f32_e32 v3, v5, v23
	v_add_f32_e32 v2, 0, v2
	v_fma_f32 v3, v4, v100, -v3
	v_add_f32_e32 v2, v2, v3
	v_mul_f32_e32 v3, v7, v24
	v_fma_f32 v3, v6, v99, -v3
	v_add_f32_e32 v2, v2, v3
	v_mul_f32_e32 v3, v9, v90
	;; [unrolled: 3-line block ×6, first 2 shown]
	v_fma_f32 v3, v16, v109, -v3
	s_waitcnt vmcnt(50) lgkmcnt(1)
	v_mul_f32_e32 v47, v38, v124
	v_add_f32_e32 v2, v2, v3
	v_mul_f32_e32 v3, v19, v95
	v_fmac_f32_e32 v47, v39, v123
	v_fma_f32 v3, v18, v108, -v3
	v_add_f32_e32 v46, v46, v47
	s_waitcnt vmcnt(48)
	v_mul_f32_e32 v47, v40, v126
	v_add_f32_e32 v2, v2, v3
	v_mul_f32_e32 v3, v21, v96
	v_fmac_f32_e32 v47, v41, v125
	v_fma_f32 v3, v20, v107, -v3
	v_add_f32_e32 v46, v46, v47
	s_waitcnt vmcnt(46) lgkmcnt(0)
	v_mul_f32_e32 v47, v42, v128
	v_add_f32_e32 v2, v2, v3
	v_mul_f32_e32 v3, v27, v97
	v_fmac_f32_e32 v47, v43, v127
	v_fma_f32 v3, v26, v106, -v3
	v_add_f32_e32 v50, v46, v47
	ds_read_b128 v[46:49], v1 offset:816
	v_add_f32_e32 v2, v2, v3
	v_mul_f32_e32 v3, v29, v98
	v_fma_f32 v3, v28, v115, -v3
	s_waitcnt vmcnt(44)
	v_mul_f32_e32 v51, v44, v130
	v_add_f32_e32 v2, v2, v3
	v_mul_f32_e32 v3, v31, v116
	v_fmac_f32_e32 v51, v45, v129
	v_fma_f32 v3, v30, v114, -v3
	v_add_f32_e32 v54, v50, v51
	ds_read_b128 v[50:53], v1 offset:832
	v_add_f32_e32 v2, v2, v3
	v_mul_f32_e32 v3, v33, v111
	s_waitcnt vmcnt(42) lgkmcnt(1)
	v_mul_f32_e32 v55, v46, v132
	v_fma_f32 v3, v32, v110, -v3
	v_fmac_f32_e32 v55, v47, v131
	v_add_f32_e32 v2, v2, v3
	v_mul_f32_e32 v3, v35, v113
	v_add_f32_e32 v54, v54, v55
	s_waitcnt vmcnt(40)
	v_mul_f32_e32 v55, v48, v134
	v_fma_f32 v3, v34, v112, -v3
	v_fmac_f32_e32 v55, v49, v133
	v_add_f32_e32 v2, v2, v3
	v_mul_f32_e32 v3, v37, v122
	v_add_f32_e32 v54, v54, v55
	s_waitcnt vmcnt(38) lgkmcnt(0)
	v_mul_f32_e32 v55, v50, v136
	v_fma_f32 v3, v36, v119, -v3
	v_fmac_f32_e32 v55, v51, v135
	v_add_f32_e32 v2, v2, v3
	v_mul_f32_e32 v3, v39, v124
	v_add_f32_e32 v58, v54, v55
	ds_read_b128 v[54:57], v1 offset:848
	v_fma_f32 v3, v38, v123, -v3
	v_add_f32_e32 v2, v2, v3
	v_mul_f32_e32 v3, v41, v126
	s_waitcnt vmcnt(36)
	v_mul_f32_e32 v59, v52, v138
	v_fma_f32 v3, v40, v125, -v3
	v_fmac_f32_e32 v59, v53, v137
	v_add_f32_e32 v2, v2, v3
	v_mul_f32_e32 v3, v43, v128
	v_add_f32_e32 v62, v58, v59
	ds_read_b128 v[58:61], v1 offset:864
	v_fma_f32 v3, v42, v127, -v3
	s_waitcnt vmcnt(34) lgkmcnt(1)
	v_mul_f32_e32 v63, v54, v140
	v_add_f32_e32 v2, v2, v3
	v_mul_f32_e32 v3, v45, v130
	v_fmac_f32_e32 v63, v55, v139
	v_fma_f32 v3, v44, v129, -v3
	v_add_f32_e32 v62, v62, v63
	s_waitcnt vmcnt(33)
	v_mul_f32_e32 v63, v56, v141
	v_add_f32_e32 v2, v2, v3
	v_mul_f32_e32 v3, v47, v132
	s_waitcnt vmcnt(30)
	v_fmac_f32_e32 v63, v57, v144
	v_fma_f32 v3, v46, v131, -v3
	v_add_f32_e32 v62, v62, v63
	s_waitcnt lgkmcnt(0)
	v_mul_f32_e32 v63, v58, v143
	v_add_f32_e32 v2, v2, v3
	v_mul_f32_e32 v3, v49, v134
	v_fmac_f32_e32 v63, v59, v142
	v_fma_f32 v3, v48, v133, -v3
	v_add_f32_e32 v66, v62, v63
	ds_read_b128 v[62:65], v1 offset:880
	v_add_f32_e32 v2, v2, v3
	v_mul_f32_e32 v3, v51, v136
	v_fma_f32 v3, v50, v135, -v3
	s_waitcnt vmcnt(28)
	v_mul_f32_e32 v67, v60, v146
	v_add_f32_e32 v2, v2, v3
	v_mul_f32_e32 v3, v53, v138
	v_fmac_f32_e32 v67, v61, v145
	v_fma_f32 v3, v52, v137, -v3
	v_add_f32_e32 v70, v66, v67
	ds_read_b128 v[66:69], v1 offset:896
	v_add_f32_e32 v2, v2, v3
	v_mul_f32_e32 v3, v55, v140
	s_waitcnt vmcnt(26) lgkmcnt(1)
	v_mul_f32_e32 v71, v62, v148
	v_fma_f32 v3, v54, v139, -v3
	v_fmac_f32_e32 v71, v63, v147
	v_add_f32_e32 v2, v2, v3
	v_mul_f32_e32 v3, v57, v141
	v_add_f32_e32 v70, v70, v71
	s_waitcnt vmcnt(25)
	v_mul_f32_e32 v71, v64, v149
	v_fma_f32 v3, v56, v144, -v3
	s_waitcnt vmcnt(22)
	v_fmac_f32_e32 v71, v65, v152
	v_add_f32_e32 v2, v2, v3
	v_mul_f32_e32 v3, v59, v143
	v_add_f32_e32 v70, v70, v71
	s_waitcnt lgkmcnt(0)
	v_mul_f32_e32 v71, v66, v151
	v_fma_f32 v3, v58, v142, -v3
	v_fmac_f32_e32 v71, v67, v150
	v_add_f32_e32 v2, v2, v3
	v_mul_f32_e32 v3, v61, v146
	v_add_f32_e32 v74, v70, v71
	ds_read_b128 v[70:73], v1 offset:912
	v_fma_f32 v3, v60, v145, -v3
	v_add_f32_e32 v2, v2, v3
	v_mul_f32_e32 v3, v63, v148
	s_waitcnt vmcnt(20)
	v_mul_f32_e32 v75, v68, v154
	v_fma_f32 v3, v62, v147, -v3
	v_fmac_f32_e32 v75, v69, v153
	v_add_f32_e32 v2, v2, v3
	v_mul_f32_e32 v3, v65, v149
	v_add_f32_e32 v78, v74, v75
	ds_read_b128 v[74:77], v1 offset:928
	v_fma_f32 v3, v64, v152, -v3
	s_waitcnt vmcnt(18) lgkmcnt(1)
	v_mul_f32_e32 v79, v70, v156
	v_add_f32_e32 v2, v2, v3
	v_mul_f32_e32 v3, v67, v151
	v_fmac_f32_e32 v79, v71, v155
	v_fma_f32 v3, v66, v150, -v3
	v_add_f32_e32 v78, v78, v79
	s_waitcnt vmcnt(17)
	v_mul_f32_e32 v79, v72, v157
	v_add_f32_e32 v2, v2, v3
	v_mul_f32_e32 v3, v69, v154
	s_waitcnt vmcnt(14)
	v_fmac_f32_e32 v79, v73, v160
	v_fma_f32 v3, v68, v153, -v3
	v_add_f32_e32 v78, v78, v79
	s_waitcnt lgkmcnt(0)
	v_mul_f32_e32 v79, v74, v159
	v_add_f32_e32 v2, v2, v3
	v_mul_f32_e32 v3, v71, v156
	v_fmac_f32_e32 v79, v75, v158
	v_fma_f32 v3, v70, v155, -v3
	v_add_f32_e32 v82, v78, v79
	ds_read_b128 v[78:81], v1 offset:944
	v_add_f32_e32 v2, v2, v3
	v_mul_f32_e32 v3, v73, v157
	v_fma_f32 v3, v72, v160, -v3
	v_add_f32_e32 v2, v2, v3
	v_mul_f32_e32 v3, v75, v159
	s_waitcnt vmcnt(12)
	v_mul_f32_e32 v83, v76, v162
	v_fma_f32 v3, v74, v158, -v3
	v_fmac_f32_e32 v83, v77, v161
	v_add_f32_e32 v2, v2, v3
	v_mul_f32_e32 v3, v77, v162
	v_add_f32_e32 v86, v82, v83
	ds_read_b128 v[82:85], v1 offset:960
	s_waitcnt vmcnt(10) lgkmcnt(1)
	v_mul_f32_e32 v87, v78, v164
	v_fma_f32 v3, v76, v161, -v3
	v_fmac_f32_e32 v87, v79, v163
	v_add_f32_e32 v2, v2, v3
	v_mul_f32_e32 v3, v79, v164
	v_add_f32_e32 v86, v86, v87
	s_waitcnt vmcnt(9)
	v_mul_f32_e32 v87, v80, v165
	v_fma_f32 v3, v78, v163, -v3
	s_waitcnt vmcnt(6)
	v_fmac_f32_e32 v87, v81, v168
	v_add_f32_e32 v2, v2, v3
	v_mul_f32_e32 v3, v81, v165
	v_add_f32_e32 v175, v86, v87
	ds_read_b128 v[86:89], v1 offset:976
	v_fma_f32 v3, v80, v168, -v3
	v_add_f32_e32 v2, v2, v3
	s_waitcnt lgkmcnt(1)
	v_mul_f32_e32 v3, v83, v167
	v_mul_f32_e32 v176, v82, v167
	v_fma_f32 v3, v82, v166, -v3
	v_fmac_f32_e32 v176, v83, v166
	v_add_f32_e32 v2, v2, v3
	s_waitcnt vmcnt(4)
	v_mul_f32_e32 v3, v85, v170
	v_add_f32_e32 v1, v175, v176
	v_mul_f32_e32 v175, v84, v170
	v_fma_f32 v3, v84, v169, -v3
	v_fmac_f32_e32 v175, v85, v169
	v_add_f32_e32 v2, v2, v3
	s_waitcnt vmcnt(3) lgkmcnt(0)
	v_mul_f32_e32 v3, v87, v171
	v_add_f32_e32 v1, v1, v175
	v_mul_f32_e32 v175, v86, v171
	s_waitcnt vmcnt(0)
	v_fma_f32 v3, v86, v174, -v3
	v_fmac_f32_e32 v175, v87, v174
	v_add_f32_e32 v2, v2, v3
	v_mul_f32_e32 v3, v89, v173
	v_add_f32_e32 v1, v1, v175
	v_mul_f32_e32 v175, v88, v173
	v_fma_f32 v3, v88, v172, -v3
	v_fmac_f32_e32 v175, v89, v172
	v_add_f32_e32 v2, v2, v3
	v_add_f32_e32 v1, v1, v175
	v_sub_f32_e32 v2, v117, v2
	v_sub_f32_e32 v1, v118, v1
	buffer_store_dword v2, off, s[0:3], 0 offset:152
	buffer_store_dword v1, off, s[0:3], 0 offset:156
	s_and_saveexec_b64 s[4:5], vcc
	s_cbranch_execz .LBB125_349
; %bb.348:
	buffer_load_dword v1, off, s[0:3], 0 offset:144
	buffer_load_dword v2, off, s[0:3], 0 offset:148
	v_mov_b32_e32 v3, 0
	buffer_store_dword v3, off, s[0:3], 0 offset:144
	buffer_store_dword v3, off, s[0:3], 0 offset:148
	s_waitcnt vmcnt(2)
	ds_write_b64 v25, v[1:2]
.LBB125_349:
	s_or_b64 exec, exec, s[4:5]
	s_waitcnt lgkmcnt(0)
	; wave barrier
	buffer_load_dword v10, off, s[0:3], 0 offset:156
	buffer_load_dword v9, off, s[0:3], 0 offset:164
	;; [unrolled: 1-line block ×48, first 2 shown]
	v_mov_b32_e32 v1, 0
	ds_read2_b64 v[16:19], v1 offset0:81 offset1:82
	ds_read2_b64 v[20:23], v1 offset0:83 offset1:84
	;; [unrolled: 1-line block ×6, first 2 shown]
	buffer_load_dword v139, off, s[0:3], 0 offset:336
	buffer_load_dword v140, off, s[0:3], 0 offset:340
	v_cmp_lt_u32_e32 vcc, 17, v0
	s_waitcnt vmcnt(49) lgkmcnt(5)
	v_mul_f32_e32 v42, v16, v10
	s_waitcnt vmcnt(48)
	v_mul_f32_e32 v43, v18, v9
	s_waitcnt vmcnt(47) lgkmcnt(4)
	v_mul_f32_e32 v44, v20, v8
	s_waitcnt vmcnt(46)
	v_mul_f32_e32 v45, v22, v7
	s_waitcnt vmcnt(45) lgkmcnt(3)
	v_mul_f32_e32 v46, v26, v6
	s_waitcnt vmcnt(44)
	v_mul_f32_e32 v47, v28, v5
	s_waitcnt vmcnt(43) lgkmcnt(2)
	v_mul_f32_e32 v48, v30, v4
	s_waitcnt vmcnt(42)
	v_mul_f32_e32 v49, v32, v11
	s_waitcnt vmcnt(41) lgkmcnt(1)
	v_mul_f32_e32 v50, v34, v12
	s_waitcnt vmcnt(40)
	v_mul_f32_e32 v51, v36, v13
	s_waitcnt vmcnt(39) lgkmcnt(0)
	v_mul_f32_e32 v52, v38, v14
	s_waitcnt vmcnt(38)
	v_mul_f32_e32 v53, v40, v15
	s_waitcnt vmcnt(37)
	v_fmac_f32_e32 v44, v21, v24
	s_waitcnt vmcnt(36)
	v_fmac_f32_e32 v43, v19, v104
	;; [unrolled: 2-line block ×3, first 2 shown]
	v_add_f32_e32 v42, 0, v42
	v_add_f32_e32 v42, v42, v43
	;; [unrolled: 1-line block ×3, first 2 shown]
	s_waitcnt vmcnt(31)
	v_fmac_f32_e32 v45, v23, v109
	v_fmac_f32_e32 v46, v27, v108
	v_add_f32_e32 v42, v42, v45
	v_fmac_f32_e32 v47, v29, v107
	v_add_f32_e32 v42, v42, v46
	;; [unrolled: 2-line block ×3, first 2 shown]
	s_waitcnt vmcnt(27)
	v_fmac_f32_e32 v49, v33, v113
	v_add_f32_e32 v42, v42, v48
	v_fmac_f32_e32 v50, v35, v112
	v_add_f32_e32 v42, v42, v49
	;; [unrolled: 2-line block ×4, first 2 shown]
	v_add_f32_e32 v46, v42, v52
	ds_read2_b64 v[42:45], v1 offset0:93 offset1:94
	buffer_load_dword v141, off, s[0:3], 0 offset:344
	buffer_load_dword v142, off, s[0:3], 0 offset:348
	;; [unrolled: 1-line block ×6, first 2 shown]
	s_waitcnt vmcnt(28)
	v_fmac_f32_e32 v53, v41, v118
	v_add_f32_e32 v50, v46, v53
	ds_read2_b64 v[46:49], v1 offset0:95 offset1:96
	buffer_load_dword v147, off, s[0:3], 0 offset:368
	buffer_load_dword v148, off, s[0:3], 0 offset:372
	;; [unrolled: 1-line block ×8, first 2 shown]
	s_waitcnt vmcnt(35) lgkmcnt(1)
	v_mul_f32_e32 v51, v42, v119
	buffer_load_dword v155, off, s[0:3], 0 offset:400
	buffer_load_dword v156, off, s[0:3], 0 offset:404
	v_fmac_f32_e32 v51, v43, v117
	v_add_f32_e32 v50, v50, v51
	s_waitcnt vmcnt(36)
	v_mul_f32_e32 v51, v44, v122
	v_fmac_f32_e32 v51, v45, v116
	v_add_f32_e32 v50, v50, v51
	s_waitcnt lgkmcnt(0)
	v_mul_f32_e32 v51, v46, v115
	v_fmac_f32_e32 v51, v47, v114
	v_add_f32_e32 v54, v50, v51
	ds_read2_b64 v[50:53], v1 offset0:97 offset1:98
	buffer_load_dword v157, off, s[0:3], 0 offset:408
	buffer_load_dword v158, off, s[0:3], 0 offset:412
	;; [unrolled: 1-line block ×6, first 2 shown]
	s_waitcnt vmcnt(38)
	v_mul_f32_e32 v55, v48, v124
	v_fmac_f32_e32 v55, v49, v123
	v_add_f32_e32 v58, v54, v55
	ds_read2_b64 v[54:57], v1 offset0:99 offset1:100
	buffer_load_dword v163, off, s[0:3], 0 offset:432
	buffer_load_dword v164, off, s[0:3], 0 offset:436
	buffer_load_dword v165, off, s[0:3], 0 offset:440
	buffer_load_dword v166, off, s[0:3], 0 offset:444
	buffer_load_dword v167, off, s[0:3], 0 offset:452
	buffer_load_dword v168, off, s[0:3], 0 offset:456
	buffer_load_dword v169, off, s[0:3], 0 offset:460
	buffer_load_dword v170, off, s[0:3], 0 offset:448
	buffer_load_dword v171, off, s[0:3], 0 offset:464
	buffer_load_dword v172, off, s[0:3], 0 offset:468
	buffer_load_dword v173, off, s[0:3], 0 offset:472
	buffer_load_dword v174, off, s[0:3], 0 offset:476
	buffer_load_dword v175, off, s[0:3], 0 offset:484
	buffer_load_dword v176, off, s[0:3], 0 offset:488
	buffer_load_dword v177, off, s[0:3], 0 offset:492
	buffer_load_dword v178, off, s[0:3], 0 offset:480
	v_mul_f32_e32 v10, v17, v10
	v_fma_f32 v10, v16, v105, -v10
	v_mul_f32_e32 v9, v19, v9
	v_add_f32_e32 v10, 0, v10
	v_fma_f32 v9, v18, v104, -v9
	v_mul_f32_e32 v8, v21, v8
	v_add_f32_e32 v9, v10, v9
	;; [unrolled: 3-line block ×6, first 2 shown]
	v_fma_f32 v4, v30, v106, -v4
	s_waitcnt vmcnt(52) lgkmcnt(1)
	v_mul_f32_e32 v59, v50, v126
	v_add_f32_e32 v4, v5, v4
	v_mul_f32_e32 v5, v33, v11
	v_fmac_f32_e32 v59, v51, v125
	v_fma_f32 v5, v32, v113, -v5
	v_add_f32_e32 v58, v58, v59
	s_waitcnt vmcnt(50)
	v_mul_f32_e32 v59, v52, v128
	v_add_f32_e32 v4, v4, v5
	v_mul_f32_e32 v5, v35, v12
	v_fmac_f32_e32 v59, v53, v127
	v_fma_f32 v5, v34, v112, -v5
	v_add_f32_e32 v58, v58, v59
	s_waitcnt vmcnt(48) lgkmcnt(0)
	v_mul_f32_e32 v59, v54, v130
	v_add_f32_e32 v4, v4, v5
	v_mul_f32_e32 v5, v37, v13
	v_fmac_f32_e32 v59, v55, v129
	v_fma_f32 v5, v36, v111, -v5
	v_add_f32_e32 v62, v58, v59
	ds_read2_b64 v[58:61], v1 offset0:101 offset1:102
	v_add_f32_e32 v4, v4, v5
	v_mul_f32_e32 v5, v39, v14
	v_fma_f32 v5, v38, v110, -v5
	s_waitcnt vmcnt(46)
	v_mul_f32_e32 v63, v56, v132
	v_add_f32_e32 v4, v4, v5
	v_mul_f32_e32 v5, v41, v15
	v_fmac_f32_e32 v63, v57, v131
	v_fma_f32 v5, v40, v118, -v5
	v_add_f32_e32 v66, v62, v63
	ds_read2_b64 v[62:65], v1 offset0:103 offset1:104
	v_add_f32_e32 v4, v4, v5
	v_mul_f32_e32 v5, v43, v119
	s_waitcnt vmcnt(44) lgkmcnt(1)
	v_mul_f32_e32 v67, v58, v134
	v_fma_f32 v5, v42, v117, -v5
	v_fmac_f32_e32 v67, v59, v133
	v_add_f32_e32 v4, v4, v5
	v_mul_f32_e32 v5, v45, v122
	v_add_f32_e32 v66, v66, v67
	s_waitcnt vmcnt(42)
	v_mul_f32_e32 v67, v60, v136
	v_fma_f32 v5, v44, v116, -v5
	v_fmac_f32_e32 v67, v61, v135
	v_add_f32_e32 v4, v4, v5
	v_mul_f32_e32 v5, v47, v115
	v_add_f32_e32 v66, v66, v67
	s_waitcnt vmcnt(40) lgkmcnt(0)
	v_mul_f32_e32 v67, v62, v138
	v_fma_f32 v5, v46, v114, -v5
	v_fmac_f32_e32 v67, v63, v137
	v_add_f32_e32 v4, v4, v5
	v_mul_f32_e32 v5, v49, v124
	v_add_f32_e32 v70, v66, v67
	ds_read2_b64 v[66:69], v1 offset0:105 offset1:106
	v_fma_f32 v5, v48, v123, -v5
	v_add_f32_e32 v4, v4, v5
	v_mul_f32_e32 v5, v51, v126
	s_waitcnt vmcnt(38)
	v_mul_f32_e32 v71, v64, v140
	v_fma_f32 v5, v50, v125, -v5
	v_fmac_f32_e32 v71, v65, v139
	v_add_f32_e32 v4, v4, v5
	v_mul_f32_e32 v5, v53, v128
	v_add_f32_e32 v74, v70, v71
	ds_read2_b64 v[70:73], v1 offset0:107 offset1:108
	v_fma_f32 v5, v52, v127, -v5
	s_waitcnt vmcnt(36) lgkmcnt(1)
	v_mul_f32_e32 v75, v66, v142
	v_add_f32_e32 v4, v4, v5
	v_mul_f32_e32 v5, v55, v130
	v_fmac_f32_e32 v75, v67, v141
	v_fma_f32 v5, v54, v129, -v5
	v_add_f32_e32 v74, v74, v75
	s_waitcnt vmcnt(35)
	v_mul_f32_e32 v75, v68, v143
	v_add_f32_e32 v4, v4, v5
	v_mul_f32_e32 v5, v57, v132
	s_waitcnt vmcnt(32)
	v_fmac_f32_e32 v75, v69, v146
	v_fma_f32 v5, v56, v131, -v5
	v_add_f32_e32 v74, v74, v75
	s_waitcnt lgkmcnt(0)
	v_mul_f32_e32 v75, v70, v145
	v_add_f32_e32 v4, v4, v5
	v_mul_f32_e32 v5, v59, v134
	v_fmac_f32_e32 v75, v71, v144
	v_fma_f32 v5, v58, v133, -v5
	v_add_f32_e32 v78, v74, v75
	ds_read2_b64 v[74:77], v1 offset0:109 offset1:110
	v_add_f32_e32 v4, v4, v5
	v_mul_f32_e32 v5, v61, v136
	v_fma_f32 v5, v60, v135, -v5
	s_waitcnt vmcnt(30)
	v_mul_f32_e32 v79, v72, v148
	v_add_f32_e32 v4, v4, v5
	v_mul_f32_e32 v5, v63, v138
	v_fmac_f32_e32 v79, v73, v147
	v_fma_f32 v5, v62, v137, -v5
	v_add_f32_e32 v82, v78, v79
	ds_read2_b64 v[78:81], v1 offset0:111 offset1:112
	v_add_f32_e32 v4, v4, v5
	v_mul_f32_e32 v5, v65, v140
	s_waitcnt vmcnt(28) lgkmcnt(1)
	v_mul_f32_e32 v83, v74, v150
	v_fma_f32 v5, v64, v139, -v5
	v_fmac_f32_e32 v83, v75, v149
	v_add_f32_e32 v4, v4, v5
	v_mul_f32_e32 v5, v67, v142
	v_add_f32_e32 v82, v82, v83
	s_waitcnt vmcnt(27)
	v_mul_f32_e32 v83, v76, v151
	v_fma_f32 v5, v66, v141, -v5
	s_waitcnt vmcnt(24)
	v_fmac_f32_e32 v83, v77, v154
	v_add_f32_e32 v4, v4, v5
	v_mul_f32_e32 v5, v69, v143
	v_add_f32_e32 v82, v82, v83
	s_waitcnt lgkmcnt(0)
	v_mul_f32_e32 v83, v78, v153
	v_fma_f32 v5, v68, v146, -v5
	v_fmac_f32_e32 v83, v79, v152
	v_add_f32_e32 v4, v4, v5
	v_mul_f32_e32 v5, v71, v145
	v_add_f32_e32 v86, v82, v83
	ds_read2_b64 v[82:85], v1 offset0:113 offset1:114
	v_fma_f32 v5, v70, v144, -v5
	v_add_f32_e32 v4, v4, v5
	v_mul_f32_e32 v5, v73, v148
	s_waitcnt vmcnt(22)
	v_mul_f32_e32 v87, v80, v156
	v_fma_f32 v5, v72, v147, -v5
	v_fmac_f32_e32 v87, v81, v155
	v_add_f32_e32 v4, v4, v5
	v_mul_f32_e32 v5, v75, v150
	v_add_f32_e32 v90, v86, v87
	ds_read2_b64 v[86:89], v1 offset0:115 offset1:116
	v_fma_f32 v5, v74, v149, -v5
	s_waitcnt vmcnt(20) lgkmcnt(1)
	v_mul_f32_e32 v91, v82, v158
	v_add_f32_e32 v4, v4, v5
	v_mul_f32_e32 v5, v77, v151
	v_fmac_f32_e32 v91, v83, v157
	v_fma_f32 v5, v76, v154, -v5
	v_add_f32_e32 v90, v90, v91
	s_waitcnt vmcnt(19)
	v_mul_f32_e32 v91, v84, v159
	v_add_f32_e32 v4, v4, v5
	v_mul_f32_e32 v5, v79, v153
	s_waitcnt vmcnt(16)
	v_fmac_f32_e32 v91, v85, v162
	v_fma_f32 v5, v78, v152, -v5
	v_add_f32_e32 v90, v90, v91
	s_waitcnt lgkmcnt(0)
	v_mul_f32_e32 v91, v86, v161
	v_add_f32_e32 v4, v4, v5
	v_mul_f32_e32 v5, v81, v156
	v_fmac_f32_e32 v91, v87, v160
	v_fma_f32 v5, v80, v155, -v5
	v_add_f32_e32 v94, v90, v91
	ds_read2_b64 v[90:93], v1 offset0:117 offset1:118
	v_add_f32_e32 v4, v4, v5
	v_mul_f32_e32 v5, v83, v158
	v_fma_f32 v5, v82, v157, -v5
	s_waitcnt vmcnt(14)
	v_mul_f32_e32 v95, v88, v164
	v_add_f32_e32 v4, v4, v5
	v_mul_f32_e32 v5, v85, v159
	v_fmac_f32_e32 v95, v89, v163
	v_fma_f32 v5, v84, v162, -v5
	v_add_f32_e32 v98, v94, v95
	ds_read2_b64 v[94:97], v1 offset0:119 offset1:120
	v_add_f32_e32 v4, v4, v5
	v_mul_f32_e32 v5, v87, v161
	s_waitcnt vmcnt(12) lgkmcnt(1)
	v_mul_f32_e32 v99, v90, v166
	v_fma_f32 v5, v86, v160, -v5
	v_fmac_f32_e32 v99, v91, v165
	v_add_f32_e32 v4, v4, v5
	v_mul_f32_e32 v5, v89, v164
	v_add_f32_e32 v98, v98, v99
	s_waitcnt vmcnt(11)
	v_mul_f32_e32 v99, v92, v167
	v_fma_f32 v5, v88, v163, -v5
	s_waitcnt vmcnt(8)
	v_fmac_f32_e32 v99, v93, v170
	v_add_f32_e32 v4, v4, v5
	v_mul_f32_e32 v5, v91, v166
	v_add_f32_e32 v98, v98, v99
	s_waitcnt lgkmcnt(0)
	v_mul_f32_e32 v99, v94, v169
	v_fma_f32 v5, v90, v165, -v5
	v_fmac_f32_e32 v99, v95, v168
	v_add_f32_e32 v4, v4, v5
	v_mul_f32_e32 v5, v93, v167
	v_add_f32_e32 v102, v98, v99
	ds_read2_b64 v[98:101], v1 offset0:121 offset1:122
	v_fma_f32 v5, v92, v170, -v5
	v_add_f32_e32 v4, v4, v5
	v_mul_f32_e32 v5, v95, v169
	s_waitcnt vmcnt(6)
	v_mul_f32_e32 v103, v96, v172
	v_fma_f32 v5, v94, v168, -v5
	v_fmac_f32_e32 v103, v97, v171
	v_add_f32_e32 v4, v4, v5
	v_mul_f32_e32 v5, v97, v172
	v_add_f32_e32 v179, v102, v103
	ds_read_b64 v[102:103], v1 offset:984
	v_fma_f32 v5, v96, v171, -v5
	v_add_f32_e32 v4, v4, v5
	s_waitcnt vmcnt(4) lgkmcnt(1)
	v_mul_f32_e32 v5, v99, v174
	v_mul_f32_e32 v180, v98, v174
	v_fma_f32 v5, v98, v173, -v5
	v_fmac_f32_e32 v180, v99, v173
	v_add_f32_e32 v4, v4, v5
	s_waitcnt vmcnt(3)
	v_mul_f32_e32 v5, v101, v175
	v_add_f32_e32 v179, v179, v180
	v_mul_f32_e32 v180, v100, v175
	s_waitcnt vmcnt(0)
	v_fma_f32 v5, v100, v178, -v5
	v_fmac_f32_e32 v180, v101, v178
	v_add_f32_e32 v4, v4, v5
	s_waitcnt lgkmcnt(0)
	v_mul_f32_e32 v5, v103, v177
	v_add_f32_e32 v179, v179, v180
	v_mul_f32_e32 v180, v102, v177
	v_fma_f32 v5, v102, v176, -v5
	v_fmac_f32_e32 v180, v103, v176
	v_add_f32_e32 v4, v4, v5
	v_add_f32_e32 v179, v179, v180
	v_sub_f32_e32 v2, v2, v4
	v_sub_f32_e32 v3, v3, v179
	buffer_store_dword v2, off, s[0:3], 0 offset:144
	buffer_store_dword v3, off, s[0:3], 0 offset:148
	s_and_saveexec_b64 s[4:5], vcc
	s_cbranch_execz .LBB125_351
; %bb.350:
	buffer_load_dword v2, off, s[0:3], 0 offset:136
	buffer_load_dword v3, off, s[0:3], 0 offset:140
	s_waitcnt vmcnt(0)
	ds_write_b64 v25, v[2:3]
	buffer_store_dword v1, off, s[0:3], 0 offset:136
	buffer_store_dword v1, off, s[0:3], 0 offset:140
.LBB125_351:
	s_or_b64 exec, exec, s[4:5]
	s_waitcnt lgkmcnt(0)
	; wave barrier
	buffer_load_dword v10, off, s[0:3], 0 offset:148
	buffer_load_dword v9, off, s[0:3], 0 offset:156
	;; [unrolled: 1-line block ×32, first 2 shown]
	ds_read_b128 v[16:19], v1 offset:640
	ds_read_b128 v[20:23], v1 offset:656
	;; [unrolled: 1-line block ×4, first 2 shown]
	buffer_load_dword v125, off, s[0:3], 0 offset:264
	buffer_load_dword v126, off, s[0:3], 0 offset:268
	ds_read_b128 v[34:37], v1 offset:704
	ds_read_b128 v[38:41], v1 offset:720
	;; [unrolled: 1-line block ×3, first 2 shown]
	buffer_load_dword v127, off, s[0:3], 0 offset:272
	buffer_load_dword v128, off, s[0:3], 0 offset:276
	;; [unrolled: 1-line block ×16, first 2 shown]
	v_cmp_lt_u32_e32 vcc, 16, v0
	s_waitcnt vmcnt(49) lgkmcnt(6)
	v_mul_f32_e32 v46, v16, v10
	s_waitcnt vmcnt(48)
	v_mul_f32_e32 v47, v18, v9
	s_waitcnt vmcnt(47) lgkmcnt(5)
	v_mul_f32_e32 v48, v20, v8
	s_waitcnt vmcnt(46)
	v_mul_f32_e32 v49, v22, v7
	;; [unrolled: 4-line block ×6, first 2 shown]
	s_waitcnt vmcnt(37)
	v_fmac_f32_e32 v48, v21, v24
	s_waitcnt vmcnt(36)
	v_fmac_f32_e32 v47, v19, v106
	;; [unrolled: 2-line block ×3, first 2 shown]
	v_add_f32_e32 v46, 0, v46
	v_add_f32_e32 v46, v46, v47
	;; [unrolled: 1-line block ×3, first 2 shown]
	s_waitcnt vmcnt(31)
	v_fmac_f32_e32 v49, v23, v111
	v_fmac_f32_e32 v50, v27, v110
	v_add_f32_e32 v46, v46, v49
	v_fmac_f32_e32 v51, v29, v109
	v_add_f32_e32 v46, v46, v50
	;; [unrolled: 2-line block ×3, first 2 shown]
	s_waitcnt vmcnt(27)
	v_fmac_f32_e32 v53, v33, v115
	v_add_f32_e32 v46, v46, v52
	v_fmac_f32_e32 v54, v35, v114
	v_add_f32_e32 v46, v46, v53
	;; [unrolled: 2-line block ×4, first 2 shown]
	s_waitcnt vmcnt(23)
	v_fmac_f32_e32 v57, v41, v119
	v_add_f32_e32 v46, v46, v56
	v_add_f32_e32 v50, v46, v57
	ds_read_b128 v[46:49], v1 offset:752
	buffer_load_dword v143, off, s[0:3], 0 offset:336
	buffer_load_dword v144, off, s[0:3], 0 offset:340
	;; [unrolled: 1-line block ×14, first 2 shown]
	s_waitcnt vmcnt(36) lgkmcnt(1)
	v_mul_f32_e32 v51, v42, v122
	buffer_load_dword v157, off, s[0:3], 0 offset:392
	buffer_load_dword v158, off, s[0:3], 0 offset:396
	v_fmac_f32_e32 v51, v43, v118
	v_add_f32_e32 v50, v50, v51
	s_waitcnt vmcnt(37)
	v_mul_f32_e32 v51, v44, v123
	v_fmac_f32_e32 v51, v45, v117
	v_add_f32_e32 v50, v50, v51
	s_waitcnt vmcnt(36) lgkmcnt(0)
	v_mul_f32_e32 v51, v46, v124
	v_fmac_f32_e32 v51, v47, v116
	v_add_f32_e32 v54, v50, v51
	ds_read_b128 v[50:53], v1 offset:768
	buffer_load_dword v159, off, s[0:3], 0 offset:400
	buffer_load_dword v160, off, s[0:3], 0 offset:404
	;; [unrolled: 1-line block ×6, first 2 shown]
	s_waitcnt vmcnt(38)
	v_mul_f32_e32 v55, v48, v126
	v_fmac_f32_e32 v55, v49, v125
	v_add_f32_e32 v58, v54, v55
	ds_read_b128 v[54:57], v1 offset:784
	buffer_load_dword v165, off, s[0:3], 0 offset:424
	buffer_load_dword v166, off, s[0:3], 0 offset:428
	;; [unrolled: 1-line block ×10, first 2 shown]
	s_waitcnt vmcnt(46) lgkmcnt(1)
	v_mul_f32_e32 v59, v50, v128
	v_fmac_f32_e32 v59, v51, v127
	v_add_f32_e32 v58, v58, v59
	s_waitcnt vmcnt(44)
	v_mul_f32_e32 v59, v52, v130
	v_fmac_f32_e32 v59, v53, v129
	v_add_f32_e32 v58, v58, v59
	s_waitcnt vmcnt(42) lgkmcnt(0)
	v_mul_f32_e32 v59, v54, v132
	buffer_load_dword v175, off, s[0:3], 0 offset:464
	buffer_load_dword v176, off, s[0:3], 0 offset:468
	;; [unrolled: 1-line block ×6, first 2 shown]
	v_fmac_f32_e32 v59, v55, v131
	s_waitcnt vmcnt(46)
	v_mul_f32_e32 v63, v56, v134
	v_add_f32_e32 v62, v58, v59
	v_fmac_f32_e32 v63, v57, v133
	ds_read_b128 v[58:61], v1 offset:800
	v_add_f32_e32 v66, v62, v63
	ds_read_b128 v[62:65], v1 offset:816
	buffer_load_dword v181, off, s[0:3], 0 offset:488
	buffer_load_dword v182, off, s[0:3], 0 offset:492
	v_mul_f32_e32 v10, v17, v10
	v_fma_f32 v10, v16, v107, -v10
	v_mul_f32_e32 v9, v19, v9
	v_add_f32_e32 v10, 0, v10
	v_fma_f32 v9, v18, v106, -v9
	v_mul_f32_e32 v8, v21, v8
	v_add_f32_e32 v9, v10, v9
	;; [unrolled: 3-line block ×6, first 2 shown]
	v_fma_f32 v4, v30, v108, -v4
	v_add_f32_e32 v4, v5, v4
	v_mul_f32_e32 v5, v33, v11
	v_fma_f32 v5, v32, v115, -v5
	v_add_f32_e32 v4, v4, v5
	v_mul_f32_e32 v5, v35, v12
	v_fma_f32 v5, v34, v114, -v5
	v_add_f32_e32 v4, v4, v5
	v_mul_f32_e32 v5, v37, v13
	v_fma_f32 v5, v36, v113, -v5
	v_add_f32_e32 v4, v4, v5
	v_mul_f32_e32 v5, v39, v14
	v_fma_f32 v5, v38, v112, -v5
	v_add_f32_e32 v4, v4, v5
	v_mul_f32_e32 v5, v41, v15
	v_fma_f32 v5, v40, v119, -v5
	v_add_f32_e32 v4, v4, v5
	v_mul_f32_e32 v5, v43, v122
	s_waitcnt vmcnt(46) lgkmcnt(1)
	v_mul_f32_e32 v67, v58, v136
	v_fma_f32 v5, v42, v118, -v5
	v_fmac_f32_e32 v67, v59, v135
	v_add_f32_e32 v4, v4, v5
	v_mul_f32_e32 v5, v45, v123
	v_add_f32_e32 v66, v66, v67
	s_waitcnt vmcnt(44)
	v_mul_f32_e32 v67, v60, v138
	v_fma_f32 v5, v44, v117, -v5
	v_fmac_f32_e32 v67, v61, v137
	v_add_f32_e32 v4, v4, v5
	v_mul_f32_e32 v5, v47, v124
	v_add_f32_e32 v66, v66, v67
	s_waitcnt vmcnt(42) lgkmcnt(0)
	v_mul_f32_e32 v67, v62, v140
	v_fma_f32 v5, v46, v116, -v5
	v_fmac_f32_e32 v67, v63, v139
	v_add_f32_e32 v4, v4, v5
	v_mul_f32_e32 v5, v49, v126
	v_add_f32_e32 v70, v66, v67
	ds_read_b128 v[66:69], v1 offset:832
	v_fma_f32 v5, v48, v125, -v5
	v_add_f32_e32 v4, v4, v5
	v_mul_f32_e32 v5, v51, v128
	s_waitcnt vmcnt(40)
	v_mul_f32_e32 v71, v64, v142
	v_fma_f32 v5, v50, v127, -v5
	v_fmac_f32_e32 v71, v65, v141
	v_add_f32_e32 v4, v4, v5
	v_mul_f32_e32 v5, v53, v130
	v_add_f32_e32 v74, v70, v71
	ds_read_b128 v[70:73], v1 offset:848
	v_fma_f32 v5, v52, v129, -v5
	s_waitcnt vmcnt(38) lgkmcnt(1)
	v_mul_f32_e32 v75, v66, v144
	v_add_f32_e32 v4, v4, v5
	v_mul_f32_e32 v5, v55, v132
	v_fmac_f32_e32 v75, v67, v143
	v_fma_f32 v5, v54, v131, -v5
	v_add_f32_e32 v74, v74, v75
	s_waitcnt vmcnt(37)
	v_mul_f32_e32 v75, v68, v145
	v_add_f32_e32 v4, v4, v5
	v_mul_f32_e32 v5, v57, v134
	s_waitcnt vmcnt(34)
	v_fmac_f32_e32 v75, v69, v148
	v_fma_f32 v5, v56, v133, -v5
	v_add_f32_e32 v74, v74, v75
	s_waitcnt lgkmcnt(0)
	v_mul_f32_e32 v75, v70, v147
	v_add_f32_e32 v4, v4, v5
	v_mul_f32_e32 v5, v59, v136
	v_fmac_f32_e32 v75, v71, v146
	v_fma_f32 v5, v58, v135, -v5
	v_add_f32_e32 v78, v74, v75
	ds_read_b128 v[74:77], v1 offset:864
	v_add_f32_e32 v4, v4, v5
	v_mul_f32_e32 v5, v61, v138
	v_fma_f32 v5, v60, v137, -v5
	s_waitcnt vmcnt(32)
	v_mul_f32_e32 v79, v72, v150
	v_add_f32_e32 v4, v4, v5
	v_mul_f32_e32 v5, v63, v140
	v_fmac_f32_e32 v79, v73, v149
	v_fma_f32 v5, v62, v139, -v5
	v_add_f32_e32 v82, v78, v79
	ds_read_b128 v[78:81], v1 offset:880
	v_add_f32_e32 v4, v4, v5
	v_mul_f32_e32 v5, v65, v142
	s_waitcnt vmcnt(30) lgkmcnt(1)
	v_mul_f32_e32 v83, v74, v152
	v_fma_f32 v5, v64, v141, -v5
	v_fmac_f32_e32 v83, v75, v151
	v_add_f32_e32 v4, v4, v5
	v_mul_f32_e32 v5, v67, v144
	v_add_f32_e32 v82, v82, v83
	s_waitcnt vmcnt(29)
	v_mul_f32_e32 v83, v76, v153
	v_fma_f32 v5, v66, v143, -v5
	s_waitcnt vmcnt(26)
	v_fmac_f32_e32 v83, v77, v156
	v_add_f32_e32 v4, v4, v5
	v_mul_f32_e32 v5, v69, v145
	v_add_f32_e32 v82, v82, v83
	s_waitcnt lgkmcnt(0)
	v_mul_f32_e32 v83, v78, v155
	v_fma_f32 v5, v68, v148, -v5
	v_fmac_f32_e32 v83, v79, v154
	v_add_f32_e32 v4, v4, v5
	v_mul_f32_e32 v5, v71, v147
	v_add_f32_e32 v86, v82, v83
	ds_read_b128 v[82:85], v1 offset:896
	v_fma_f32 v5, v70, v146, -v5
	v_add_f32_e32 v4, v4, v5
	v_mul_f32_e32 v5, v73, v150
	s_waitcnt vmcnt(24)
	v_mul_f32_e32 v87, v80, v158
	v_fma_f32 v5, v72, v149, -v5
	v_fmac_f32_e32 v87, v81, v157
	v_add_f32_e32 v4, v4, v5
	v_mul_f32_e32 v5, v75, v152
	v_add_f32_e32 v90, v86, v87
	ds_read_b128 v[86:89], v1 offset:912
	v_fma_f32 v5, v74, v151, -v5
	s_waitcnt vmcnt(22) lgkmcnt(1)
	v_mul_f32_e32 v91, v82, v160
	v_add_f32_e32 v4, v4, v5
	v_mul_f32_e32 v5, v77, v153
	v_fmac_f32_e32 v91, v83, v159
	v_fma_f32 v5, v76, v156, -v5
	v_add_f32_e32 v90, v90, v91
	s_waitcnt vmcnt(21)
	v_mul_f32_e32 v91, v84, v161
	v_add_f32_e32 v4, v4, v5
	v_mul_f32_e32 v5, v79, v155
	s_waitcnt vmcnt(18)
	v_fmac_f32_e32 v91, v85, v164
	v_fma_f32 v5, v78, v154, -v5
	v_add_f32_e32 v90, v90, v91
	s_waitcnt lgkmcnt(0)
	v_mul_f32_e32 v91, v86, v163
	v_add_f32_e32 v4, v4, v5
	v_mul_f32_e32 v5, v81, v158
	v_fmac_f32_e32 v91, v87, v162
	v_fma_f32 v5, v80, v157, -v5
	v_add_f32_e32 v94, v90, v91
	ds_read_b128 v[90:93], v1 offset:928
	v_add_f32_e32 v4, v4, v5
	v_mul_f32_e32 v5, v83, v160
	v_fma_f32 v5, v82, v159, -v5
	s_waitcnt vmcnt(16)
	v_mul_f32_e32 v95, v88, v166
	v_add_f32_e32 v4, v4, v5
	v_mul_f32_e32 v5, v85, v161
	v_fmac_f32_e32 v95, v89, v165
	v_fma_f32 v5, v84, v164, -v5
	v_add_f32_e32 v98, v94, v95
	ds_read_b128 v[94:97], v1 offset:944
	v_add_f32_e32 v4, v4, v5
	v_mul_f32_e32 v5, v87, v163
	s_waitcnt vmcnt(14) lgkmcnt(1)
	v_mul_f32_e32 v99, v90, v168
	v_fma_f32 v5, v86, v162, -v5
	v_fmac_f32_e32 v99, v91, v167
	v_add_f32_e32 v4, v4, v5
	v_mul_f32_e32 v5, v89, v166
	v_add_f32_e32 v98, v98, v99
	s_waitcnt vmcnt(13)
	v_mul_f32_e32 v99, v92, v169
	v_fma_f32 v5, v88, v165, -v5
	s_waitcnt vmcnt(10)
	v_fmac_f32_e32 v99, v93, v172
	v_add_f32_e32 v4, v4, v5
	v_mul_f32_e32 v5, v91, v168
	v_add_f32_e32 v98, v98, v99
	s_waitcnt lgkmcnt(0)
	v_mul_f32_e32 v99, v94, v171
	v_fma_f32 v5, v90, v167, -v5
	v_fmac_f32_e32 v99, v95, v170
	v_add_f32_e32 v4, v4, v5
	v_mul_f32_e32 v5, v93, v169
	v_add_f32_e32 v102, v98, v99
	ds_read_b128 v[98:101], v1 offset:960
	v_fma_f32 v5, v92, v172, -v5
	v_add_f32_e32 v4, v4, v5
	v_mul_f32_e32 v5, v95, v171
	s_waitcnt vmcnt(8)
	v_mul_f32_e32 v103, v96, v174
	v_fma_f32 v5, v94, v170, -v5
	v_fmac_f32_e32 v103, v97, v173
	v_add_f32_e32 v4, v4, v5
	v_mul_f32_e32 v5, v97, v174
	v_add_f32_e32 v183, v102, v103
	ds_read_b128 v[102:105], v1 offset:976
	v_fma_f32 v5, v96, v173, -v5
	v_add_f32_e32 v4, v4, v5
	s_waitcnt vmcnt(6) lgkmcnt(1)
	v_mul_f32_e32 v5, v99, v176
	v_mul_f32_e32 v1, v98, v176
	v_fma_f32 v5, v98, v175, -v5
	v_fmac_f32_e32 v1, v99, v175
	v_add_f32_e32 v4, v4, v5
	s_waitcnt vmcnt(5)
	v_mul_f32_e32 v5, v101, v177
	v_add_f32_e32 v1, v183, v1
	v_mul_f32_e32 v183, v100, v177
	s_waitcnt vmcnt(2)
	v_fma_f32 v5, v100, v180, -v5
	v_fmac_f32_e32 v183, v101, v180
	v_add_f32_e32 v4, v4, v5
	s_waitcnt lgkmcnt(0)
	v_mul_f32_e32 v5, v103, v179
	v_add_f32_e32 v1, v1, v183
	v_mul_f32_e32 v183, v102, v179
	v_fma_f32 v5, v102, v178, -v5
	v_fmac_f32_e32 v183, v103, v178
	v_add_f32_e32 v4, v4, v5
	s_waitcnt vmcnt(0)
	v_mul_f32_e32 v5, v105, v182
	v_add_f32_e32 v1, v1, v183
	v_mul_f32_e32 v183, v104, v182
	v_fma_f32 v5, v104, v181, -v5
	v_fmac_f32_e32 v183, v105, v181
	v_add_f32_e32 v4, v4, v5
	v_add_f32_e32 v1, v1, v183
	v_sub_f32_e32 v2, v2, v4
	v_sub_f32_e32 v1, v3, v1
	buffer_store_dword v2, off, s[0:3], 0 offset:136
	buffer_store_dword v1, off, s[0:3], 0 offset:140
	s_and_saveexec_b64 s[4:5], vcc
	s_cbranch_execz .LBB125_353
; %bb.352:
	buffer_load_dword v1, off, s[0:3], 0 offset:128
	buffer_load_dword v2, off, s[0:3], 0 offset:132
	v_mov_b32_e32 v3, 0
	buffer_store_dword v3, off, s[0:3], 0 offset:128
	buffer_store_dword v3, off, s[0:3], 0 offset:132
	s_waitcnt vmcnt(2)
	ds_write_b64 v25, v[1:2]
.LBB125_353:
	s_or_b64 exec, exec, s[4:5]
	s_waitcnt lgkmcnt(0)
	; wave barrier
	buffer_load_dword v24, off, s[0:3], 0 offset:140
	buffer_load_dword v96, off, s[0:3], 0 offset:148
	;; [unrolled: 1-line block ×48, first 2 shown]
	v_mov_b32_e32 v1, 0
	ds_read2_b64 v[4:7], v1 offset0:79 offset1:80
	ds_read2_b64 v[8:11], v1 offset0:81 offset1:82
	ds_read2_b64 v[12:15], v1 offset0:83 offset1:84
	ds_read2_b64 v[16:19], v1 offset0:85 offset1:86
	ds_read2_b64 v[20:23], v1 offset0:87 offset1:88
	ds_read2_b64 v[26:29], v1 offset0:89 offset1:90
	ds_read2_b64 v[30:33], v1 offset0:91 offset1:92
	v_cmp_lt_u32_e32 vcc, 15, v0
	s_waitcnt vmcnt(47) lgkmcnt(6)
	v_mul_f32_e32 v34, v4, v24
	s_waitcnt vmcnt(46)
	v_mul_f32_e32 v35, v6, v96
	s_waitcnt vmcnt(45) lgkmcnt(5)
	v_mul_f32_e32 v36, v8, v97
	s_waitcnt vmcnt(44)
	v_mul_f32_e32 v37, v10, v98
	;; [unrolled: 4-line block ×6, first 2 shown]
	s_waitcnt vmcnt(35)
	v_fmac_f32_e32 v36, v9, v107
	s_waitcnt vmcnt(34)
	v_fmac_f32_e32 v35, v7, v108
	;; [unrolled: 2-line block ×3, first 2 shown]
	v_add_f32_e32 v34, 0, v34
	v_add_f32_e32 v34, v34, v35
	;; [unrolled: 1-line block ×3, first 2 shown]
	s_waitcnt vmcnt(29)
	v_fmac_f32_e32 v37, v11, v113
	v_fmac_f32_e32 v38, v13, v112
	v_add_f32_e32 v34, v34, v37
	v_fmac_f32_e32 v39, v15, v111
	v_add_f32_e32 v34, v34, v38
	;; [unrolled: 2-line block ×3, first 2 shown]
	s_waitcnt vmcnt(25)
	v_fmac_f32_e32 v41, v19, v117
	v_add_f32_e32 v34, v34, v40
	v_fmac_f32_e32 v42, v21, v116
	v_add_f32_e32 v34, v34, v41
	;; [unrolled: 2-line block ×4, first 2 shown]
	s_waitcnt vmcnt(21)
	v_fmac_f32_e32 v45, v29, v123
	v_add_f32_e32 v34, v34, v44
	v_add_f32_e32 v38, v34, v45
	ds_read2_b64 v[34:37], v1 offset0:93 offset1:94
	buffer_load_dword v143, off, s[0:3], 0 offset:320
	buffer_load_dword v144, off, s[0:3], 0 offset:324
	;; [unrolled: 1-line block ×10, first 2 shown]
	s_waitcnt vmcnt(30) lgkmcnt(1)
	v_mul_f32_e32 v39, v30, v124
	v_fmac_f32_e32 v39, v31, v122
	buffer_load_dword v153, off, s[0:3], 0 offset:360
	buffer_load_dword v154, off, s[0:3], 0 offset:364
	;; [unrolled: 1-line block ×6, first 2 shown]
	v_add_f32_e32 v38, v38, v39
	s_waitcnt vmcnt(35)
	v_mul_f32_e32 v39, v32, v125
	v_fmac_f32_e32 v39, v33, v119
	v_add_f32_e32 v38, v38, v39
	s_waitcnt vmcnt(34) lgkmcnt(0)
	v_mul_f32_e32 v39, v34, v126
	v_fmac_f32_e32 v39, v35, v118
	v_add_f32_e32 v42, v38, v39
	ds_read2_b64 v[38:41], v1 offset0:95 offset1:96
	buffer_load_dword v159, off, s[0:3], 0 offset:384
	buffer_load_dword v160, off, s[0:3], 0 offset:388
	s_waitcnt vmcnt(32)
	v_mul_f32_e32 v43, v36, v128
	v_fmac_f32_e32 v43, v37, v127
	v_add_f32_e32 v46, v42, v43
	ds_read2_b64 v[42:45], v1 offset0:97 offset1:98
	buffer_load_dword v161, off, s[0:3], 0 offset:392
	buffer_load_dword v162, off, s[0:3], 0 offset:396
	;; [unrolled: 1-line block ×14, first 2 shown]
	s_waitcnt vmcnt(44) lgkmcnt(1)
	v_mul_f32_e32 v47, v38, v130
	v_fmac_f32_e32 v47, v39, v129
	buffer_load_dword v175, off, s[0:3], 0 offset:448
	buffer_load_dword v176, off, s[0:3], 0 offset:452
	v_add_f32_e32 v46, v46, v47
	s_waitcnt vmcnt(44)
	v_mul_f32_e32 v47, v40, v132
	v_fmac_f32_e32 v47, v41, v131
	v_add_f32_e32 v46, v46, v47
	s_waitcnt vmcnt(42) lgkmcnt(0)
	v_mul_f32_e32 v47, v42, v134
	v_fmac_f32_e32 v47, v43, v133
	v_mul_f32_e32 v5, v5, v24
	v_add_f32_e32 v50, v46, v47
	ds_read2_b64 v[46:49], v1 offset0:99 offset1:100
	buffer_load_dword v177, off, s[0:3], 0 offset:456
	buffer_load_dword v178, off, s[0:3], 0 offset:460
	;; [unrolled: 1-line block ×6, first 2 shown]
	v_fma_f32 v4, v4, v109, -v5
	v_mul_f32_e32 v5, v7, v96
	v_add_f32_e32 v4, 0, v4
	v_fma_f32 v5, v6, v108, -v5
	v_add_f32_e32 v4, v4, v5
	v_mul_f32_e32 v5, v9, v97
	s_waitcnt vmcnt(46)
	v_mul_f32_e32 v51, v44, v136
	v_fma_f32 v5, v8, v107, -v5
	v_fmac_f32_e32 v51, v45, v135
	v_add_f32_e32 v4, v4, v5
	v_mul_f32_e32 v5, v11, v98
	v_add_f32_e32 v54, v50, v51
	ds_read2_b64 v[50:53], v1 offset0:101 offset1:102
	buffer_load_dword v183, off, s[0:3], 0 offset:484
	buffer_load_dword v184, off, s[0:3], 0 offset:488
	buffer_load_dword v185, off, s[0:3], 0 offset:492
	buffer_load_dword v186, off, s[0:3], 0 offset:480
	v_fma_f32 v5, v10, v113, -v5
	v_add_f32_e32 v4, v4, v5
	v_mul_f32_e32 v5, v13, v99
	v_fma_f32 v5, v12, v112, -v5
	v_add_f32_e32 v4, v4, v5
	v_mul_f32_e32 v5, v15, v100
	;; [unrolled: 3-line block ×8, first 2 shown]
	v_fma_f32 v5, v28, v123, -v5
	s_waitcnt vmcnt(48) lgkmcnt(1)
	v_mul_f32_e32 v55, v46, v138
	v_add_f32_e32 v4, v4, v5
	v_mul_f32_e32 v5, v31, v124
	v_fmac_f32_e32 v55, v47, v137
	v_fma_f32 v5, v30, v122, -v5
	v_add_f32_e32 v54, v54, v55
	s_waitcnt vmcnt(46)
	v_mul_f32_e32 v55, v48, v140
	v_add_f32_e32 v4, v4, v5
	v_mul_f32_e32 v5, v33, v125
	v_fmac_f32_e32 v55, v49, v139
	v_fma_f32 v5, v32, v119, -v5
	v_add_f32_e32 v54, v54, v55
	s_waitcnt vmcnt(44) lgkmcnt(0)
	v_mul_f32_e32 v55, v50, v142
	v_add_f32_e32 v4, v4, v5
	v_mul_f32_e32 v5, v35, v126
	v_fmac_f32_e32 v55, v51, v141
	v_fma_f32 v5, v34, v118, -v5
	v_add_f32_e32 v58, v54, v55
	ds_read2_b64 v[54:57], v1 offset0:103 offset1:104
	v_add_f32_e32 v4, v4, v5
	v_mul_f32_e32 v5, v37, v128
	v_fma_f32 v5, v36, v127, -v5
	s_waitcnt vmcnt(42)
	v_mul_f32_e32 v59, v52, v144
	v_add_f32_e32 v4, v4, v5
	v_mul_f32_e32 v5, v39, v130
	v_fmac_f32_e32 v59, v53, v143
	v_fma_f32 v5, v38, v129, -v5
	v_add_f32_e32 v62, v58, v59
	ds_read2_b64 v[58:61], v1 offset0:105 offset1:106
	v_add_f32_e32 v4, v4, v5
	v_mul_f32_e32 v5, v41, v132
	s_waitcnt vmcnt(40) lgkmcnt(1)
	v_mul_f32_e32 v63, v54, v146
	v_fma_f32 v5, v40, v131, -v5
	v_fmac_f32_e32 v63, v55, v145
	v_add_f32_e32 v4, v4, v5
	v_mul_f32_e32 v5, v43, v134
	v_add_f32_e32 v62, v62, v63
	s_waitcnt vmcnt(39)
	v_mul_f32_e32 v63, v56, v147
	v_fma_f32 v5, v42, v133, -v5
	s_waitcnt vmcnt(36)
	v_fmac_f32_e32 v63, v57, v150
	v_add_f32_e32 v4, v4, v5
	v_mul_f32_e32 v5, v45, v136
	v_add_f32_e32 v62, v62, v63
	s_waitcnt lgkmcnt(0)
	v_mul_f32_e32 v63, v58, v149
	v_fma_f32 v5, v44, v135, -v5
	v_fmac_f32_e32 v63, v59, v148
	v_add_f32_e32 v4, v4, v5
	v_mul_f32_e32 v5, v47, v138
	v_add_f32_e32 v66, v62, v63
	ds_read2_b64 v[62:65], v1 offset0:107 offset1:108
	v_fma_f32 v5, v46, v137, -v5
	v_add_f32_e32 v4, v4, v5
	v_mul_f32_e32 v5, v49, v140
	s_waitcnt vmcnt(34)
	v_mul_f32_e32 v67, v60, v152
	v_fma_f32 v5, v48, v139, -v5
	v_fmac_f32_e32 v67, v61, v151
	v_add_f32_e32 v4, v4, v5
	v_mul_f32_e32 v5, v51, v142
	v_add_f32_e32 v70, v66, v67
	ds_read2_b64 v[66:69], v1 offset0:109 offset1:110
	v_fma_f32 v5, v50, v141, -v5
	s_waitcnt vmcnt(32) lgkmcnt(1)
	v_mul_f32_e32 v71, v62, v154
	v_add_f32_e32 v4, v4, v5
	v_mul_f32_e32 v5, v53, v144
	v_fmac_f32_e32 v71, v63, v153
	v_fma_f32 v5, v52, v143, -v5
	v_add_f32_e32 v70, v70, v71
	s_waitcnt vmcnt(31)
	v_mul_f32_e32 v71, v64, v155
	v_add_f32_e32 v4, v4, v5
	v_mul_f32_e32 v5, v55, v146
	s_waitcnt vmcnt(28)
	v_fmac_f32_e32 v71, v65, v158
	v_fma_f32 v5, v54, v145, -v5
	v_add_f32_e32 v70, v70, v71
	s_waitcnt lgkmcnt(0)
	v_mul_f32_e32 v71, v66, v157
	v_add_f32_e32 v4, v4, v5
	v_mul_f32_e32 v5, v57, v147
	v_fmac_f32_e32 v71, v67, v156
	v_fma_f32 v5, v56, v150, -v5
	v_add_f32_e32 v74, v70, v71
	ds_read2_b64 v[70:73], v1 offset0:111 offset1:112
	v_add_f32_e32 v4, v4, v5
	v_mul_f32_e32 v5, v59, v149
	v_fma_f32 v5, v58, v148, -v5
	s_waitcnt vmcnt(26)
	v_mul_f32_e32 v75, v68, v160
	v_add_f32_e32 v4, v4, v5
	v_mul_f32_e32 v5, v61, v152
	v_fmac_f32_e32 v75, v69, v159
	v_fma_f32 v5, v60, v151, -v5
	v_add_f32_e32 v78, v74, v75
	ds_read2_b64 v[74:77], v1 offset0:113 offset1:114
	v_add_f32_e32 v4, v4, v5
	v_mul_f32_e32 v5, v63, v154
	s_waitcnt vmcnt(24) lgkmcnt(1)
	v_mul_f32_e32 v79, v70, v162
	v_fma_f32 v5, v62, v153, -v5
	v_fmac_f32_e32 v79, v71, v161
	v_add_f32_e32 v4, v4, v5
	v_mul_f32_e32 v5, v65, v155
	v_add_f32_e32 v78, v78, v79
	s_waitcnt vmcnt(23)
	v_mul_f32_e32 v79, v72, v163
	v_fma_f32 v5, v64, v158, -v5
	s_waitcnt vmcnt(20)
	v_fmac_f32_e32 v79, v73, v166
	v_add_f32_e32 v4, v4, v5
	v_mul_f32_e32 v5, v67, v157
	v_add_f32_e32 v78, v78, v79
	s_waitcnt lgkmcnt(0)
	v_mul_f32_e32 v79, v74, v165
	v_fma_f32 v5, v66, v156, -v5
	v_fmac_f32_e32 v79, v75, v164
	v_add_f32_e32 v4, v4, v5
	v_mul_f32_e32 v5, v69, v160
	v_add_f32_e32 v82, v78, v79
	ds_read2_b64 v[78:81], v1 offset0:115 offset1:116
	v_fma_f32 v5, v68, v159, -v5
	v_add_f32_e32 v4, v4, v5
	v_mul_f32_e32 v5, v71, v162
	s_waitcnt vmcnt(18)
	v_mul_f32_e32 v83, v76, v168
	v_fma_f32 v5, v70, v161, -v5
	v_fmac_f32_e32 v83, v77, v167
	v_add_f32_e32 v4, v4, v5
	v_mul_f32_e32 v5, v73, v163
	v_add_f32_e32 v86, v82, v83
	ds_read2_b64 v[82:85], v1 offset0:117 offset1:118
	v_fma_f32 v5, v72, v166, -v5
	s_waitcnt vmcnt(16) lgkmcnt(1)
	v_mul_f32_e32 v87, v78, v170
	v_add_f32_e32 v4, v4, v5
	v_mul_f32_e32 v5, v75, v165
	v_fmac_f32_e32 v87, v79, v169
	v_fma_f32 v5, v74, v164, -v5
	v_add_f32_e32 v86, v86, v87
	s_waitcnt vmcnt(15)
	v_mul_f32_e32 v87, v80, v171
	v_add_f32_e32 v4, v4, v5
	v_mul_f32_e32 v5, v77, v168
	s_waitcnt vmcnt(12)
	v_fmac_f32_e32 v87, v81, v174
	v_fma_f32 v5, v76, v167, -v5
	v_add_f32_e32 v86, v86, v87
	s_waitcnt lgkmcnt(0)
	v_mul_f32_e32 v87, v82, v173
	v_add_f32_e32 v4, v4, v5
	v_mul_f32_e32 v5, v79, v170
	v_fmac_f32_e32 v87, v83, v172
	v_fma_f32 v5, v78, v169, -v5
	v_add_f32_e32 v90, v86, v87
	ds_read2_b64 v[86:89], v1 offset0:119 offset1:120
	v_add_f32_e32 v4, v4, v5
	v_mul_f32_e32 v5, v81, v171
	v_fma_f32 v5, v80, v174, -v5
	v_add_f32_e32 v4, v4, v5
	v_mul_f32_e32 v5, v83, v173
	s_waitcnt vmcnt(10)
	v_mul_f32_e32 v91, v84, v176
	v_fma_f32 v5, v82, v172, -v5
	v_fmac_f32_e32 v91, v85, v175
	v_add_f32_e32 v4, v4, v5
	v_mul_f32_e32 v5, v85, v176
	v_add_f32_e32 v94, v90, v91
	ds_read2_b64 v[90:93], v1 offset0:121 offset1:122
	s_waitcnt vmcnt(8) lgkmcnt(1)
	v_mul_f32_e32 v95, v86, v178
	v_fma_f32 v5, v84, v175, -v5
	v_fmac_f32_e32 v95, v87, v177
	v_add_f32_e32 v4, v4, v5
	v_mul_f32_e32 v5, v87, v178
	v_add_f32_e32 v94, v94, v95
	s_waitcnt vmcnt(7)
	v_mul_f32_e32 v95, v88, v179
	v_fma_f32 v5, v86, v177, -v5
	s_waitcnt vmcnt(4)
	v_fmac_f32_e32 v95, v89, v182
	v_add_f32_e32 v4, v4, v5
	v_mul_f32_e32 v5, v89, v179
	v_add_f32_e32 v187, v94, v95
	ds_read_b64 v[94:95], v1 offset:984
	v_fma_f32 v5, v88, v182, -v5
	v_add_f32_e32 v4, v4, v5
	s_waitcnt lgkmcnt(1)
	v_mul_f32_e32 v5, v91, v181
	v_mul_f32_e32 v188, v90, v181
	v_fma_f32 v5, v90, v180, -v5
	v_fmac_f32_e32 v188, v91, v180
	v_add_f32_e32 v4, v4, v5
	s_waitcnt vmcnt(3)
	v_mul_f32_e32 v5, v93, v183
	v_add_f32_e32 v187, v187, v188
	v_mul_f32_e32 v188, v92, v183
	s_waitcnt vmcnt(0)
	v_fma_f32 v5, v92, v186, -v5
	v_fmac_f32_e32 v188, v93, v186
	v_add_f32_e32 v4, v4, v5
	s_waitcnt lgkmcnt(0)
	v_mul_f32_e32 v5, v95, v185
	v_add_f32_e32 v187, v187, v188
	v_mul_f32_e32 v188, v94, v185
	v_fma_f32 v5, v94, v184, -v5
	v_fmac_f32_e32 v188, v95, v184
	v_add_f32_e32 v4, v4, v5
	v_add_f32_e32 v187, v187, v188
	v_sub_f32_e32 v2, v2, v4
	v_sub_f32_e32 v3, v3, v187
	buffer_store_dword v2, off, s[0:3], 0 offset:128
	buffer_store_dword v3, off, s[0:3], 0 offset:132
	s_and_saveexec_b64 s[4:5], vcc
	s_cbranch_execz .LBB125_355
; %bb.354:
	buffer_load_dword v2, off, s[0:3], 0 offset:120
	buffer_load_dword v3, off, s[0:3], 0 offset:124
	s_waitcnt vmcnt(0)
	ds_write_b64 v25, v[2:3]
	buffer_store_dword v1, off, s[0:3], 0 offset:120
	buffer_store_dword v1, off, s[0:3], 0 offset:124
.LBB125_355:
	s_or_b64 exec, exec, s[4:5]
	s_waitcnt lgkmcnt(0)
	; wave barrier
	buffer_load_dword v10, off, s[0:3], 0 offset:132
	buffer_load_dword v9, off, s[0:3], 0 offset:140
	;; [unrolled: 1-line block ×33, first 2 shown]
	ds_read_b128 v[11:14], v1 offset:624
	ds_read_b128 v[15:18], v1 offset:640
	;; [unrolled: 1-line block ×6, first 2 shown]
	buffer_load_dword v130, off, s[0:3], 0 offset:248
	buffer_load_dword v131, off, s[0:3], 0 offset:260
	;; [unrolled: 1-line block ×7, first 2 shown]
	ds_read_b128 v[38:41], v1 offset:720
	ds_read_b128 v[42:45], v1 offset:736
	buffer_load_dword v137, off, s[0:3], 0 offset:280
	buffer_load_dword v138, off, s[0:3], 0 offset:284
	;; [unrolled: 1-line block ×18, first 2 shown]
	v_cmp_lt_u32_e32 vcc, 14, v0
	s_waitcnt vmcnt(57) lgkmcnt(7)
	v_mul_f32_e32 v46, v11, v10
	s_waitcnt vmcnt(56)
	v_mul_f32_e32 v47, v13, v9
	s_waitcnt vmcnt(55) lgkmcnt(6)
	v_mul_f32_e32 v48, v15, v8
	s_waitcnt vmcnt(54)
	v_mul_f32_e32 v49, v17, v7
	;; [unrolled: 4-line block ×6, first 2 shown]
	s_waitcnt vmcnt(45)
	v_fmac_f32_e32 v48, v16, v109
	s_waitcnt vmcnt(44)
	v_fmac_f32_e32 v47, v14, v110
	s_waitcnt vmcnt(43)
	v_fmac_f32_e32 v46, v12, v111
	v_add_f32_e32 v46, 0, v46
	v_add_f32_e32 v46, v46, v47
	;; [unrolled: 1-line block ×3, first 2 shown]
	s_waitcnt vmcnt(39)
	v_fmac_f32_e32 v49, v18, v115
	v_fmac_f32_e32 v50, v20, v114
	v_add_f32_e32 v46, v46, v49
	v_fmac_f32_e32 v51, v22, v113
	v_add_f32_e32 v46, v46, v50
	;; [unrolled: 2-line block ×3, first 2 shown]
	s_waitcnt vmcnt(35)
	v_fmac_f32_e32 v53, v29, v119
	v_add_f32_e32 v46, v46, v52
	v_fmac_f32_e32 v54, v31, v118
	v_add_f32_e32 v46, v46, v53
	;; [unrolled: 2-line block ×4, first 2 shown]
	s_waitcnt vmcnt(31)
	v_fmac_f32_e32 v57, v37, v125
	v_add_f32_e32 v46, v46, v56
	s_waitcnt vmcnt(30) lgkmcnt(1)
	v_mul_f32_e32 v47, v38, v126
	v_add_f32_e32 v46, v46, v57
	v_fmac_f32_e32 v47, v39, v124
	v_add_f32_e32 v46, v46, v47
	s_waitcnt vmcnt(29)
	v_mul_f32_e32 v47, v40, v127
	v_fmac_f32_e32 v47, v41, v123
	v_add_f32_e32 v46, v46, v47
	s_waitcnt vmcnt(28) lgkmcnt(0)
	v_mul_f32_e32 v47, v42, v128
	v_fmac_f32_e32 v47, v43, v122
	v_add_f32_e32 v50, v46, v47
	ds_read_b128 v[46:49], v1 offset:752
	buffer_load_dword v155, off, s[0:3], 0 offset:352
	buffer_load_dword v156, off, s[0:3], 0 offset:356
	;; [unrolled: 1-line block ×6, first 2 shown]
	s_waitcnt vmcnt(33)
	v_mul_f32_e32 v51, v44, v129
	s_waitcnt vmcnt(30)
	v_fmac_f32_e32 v51, v45, v130
	v_add_f32_e32 v54, v50, v51
	ds_read_b128 v[50:53], v1 offset:768
	buffer_load_dword v161, off, s[0:3], 0 offset:376
	buffer_load_dword v162, off, s[0:3], 0 offset:380
	;; [unrolled: 1-line block ×10, first 2 shown]
	s_waitcnt vmcnt(39) lgkmcnt(1)
	v_mul_f32_e32 v55, v46, v131
	buffer_load_dword v171, off, s[0:3], 0 offset:416
	buffer_load_dword v172, off, s[0:3], 0 offset:420
	;; [unrolled: 1-line block ×6, first 2 shown]
	s_waitcnt vmcnt(40)
	v_fmac_f32_e32 v55, v47, v136
	v_add_f32_e32 v54, v54, v55
	v_mul_f32_e32 v55, v48, v133
	v_fmac_f32_e32 v55, v49, v132
	v_add_f32_e32 v54, v54, v55
	s_waitcnt lgkmcnt(0)
	v_mul_f32_e32 v55, v50, v135
	v_fmac_f32_e32 v55, v51, v134
	v_add_f32_e32 v58, v54, v55
	ds_read_b128 v[54:57], v1 offset:784
	buffer_load_dword v177, off, s[0:3], 0 offset:440
	buffer_load_dword v178, off, s[0:3], 0 offset:444
	s_waitcnt vmcnt(40)
	v_mul_f32_e32 v59, v52, v138
	v_fmac_f32_e32 v59, v53, v137
	v_add_f32_e32 v62, v58, v59
	ds_read_b128 v[58:61], v1 offset:800
	buffer_load_dword v179, off, s[0:3], 0 offset:448
	buffer_load_dword v180, off, s[0:3], 0 offset:452
	;; [unrolled: 1-line block ×6, first 2 shown]
	v_mul_f32_e32 v10, v12, v10
	v_fma_f32 v10, v11, v111, -v10
	v_mul_f32_e32 v9, v14, v9
	v_add_f32_e32 v10, 0, v10
	v_fma_f32 v9, v13, v110, -v9
	v_mul_f32_e32 v8, v16, v8
	buffer_load_dword v185, off, s[0:3], 0 offset:472
	buffer_load_dword v186, off, s[0:3], 0 offset:476
	;; [unrolled: 1-line block ×6, first 2 shown]
	v_add_f32_e32 v9, v10, v9
	v_fma_f32 v8, v15, v109, -v8
	v_mul_f32_e32 v7, v18, v7
	v_add_f32_e32 v8, v9, v8
	v_fma_f32 v7, v17, v115, -v7
	v_mul_f32_e32 v6, v20, v6
	;; [unrolled: 3-line block ×4, first 2 shown]
	v_add_f32_e32 v5, v6, v5
	v_fma_f32 v4, v26, v112, -v4
	v_add_f32_e32 v4, v5, v4
	v_mul_f32_e32 v5, v29, v23
	v_fma_f32 v5, v28, v119, -v5
	v_add_f32_e32 v4, v4, v5
	v_mul_f32_e32 v5, v31, v24
	;; [unrolled: 3-line block ×5, first 2 shown]
	v_fma_f32 v5, v36, v125, -v5
	s_waitcnt vmcnt(50) lgkmcnt(1)
	v_mul_f32_e32 v63, v54, v140
	v_add_f32_e32 v4, v4, v5
	v_mul_f32_e32 v5, v39, v126
	v_fmac_f32_e32 v63, v55, v139
	v_fma_f32 v5, v38, v124, -v5
	v_add_f32_e32 v62, v62, v63
	s_waitcnt vmcnt(48)
	v_mul_f32_e32 v63, v56, v142
	v_add_f32_e32 v4, v4, v5
	v_mul_f32_e32 v5, v41, v127
	v_fmac_f32_e32 v63, v57, v141
	v_fma_f32 v5, v40, v123, -v5
	v_add_f32_e32 v62, v62, v63
	s_waitcnt vmcnt(46) lgkmcnt(0)
	v_mul_f32_e32 v63, v58, v144
	v_add_f32_e32 v4, v4, v5
	v_mul_f32_e32 v5, v43, v128
	v_fmac_f32_e32 v63, v59, v143
	v_fma_f32 v5, v42, v122, -v5
	v_add_f32_e32 v66, v62, v63
	ds_read_b128 v[62:65], v1 offset:816
	v_add_f32_e32 v4, v4, v5
	v_mul_f32_e32 v5, v45, v129
	v_fma_f32 v5, v44, v130, -v5
	s_waitcnt vmcnt(44)
	v_mul_f32_e32 v67, v60, v146
	v_add_f32_e32 v4, v4, v5
	v_mul_f32_e32 v5, v47, v131
	v_fmac_f32_e32 v67, v61, v145
	v_fma_f32 v5, v46, v136, -v5
	v_add_f32_e32 v70, v66, v67
	ds_read_b128 v[66:69], v1 offset:832
	v_add_f32_e32 v4, v4, v5
	v_mul_f32_e32 v5, v49, v133
	s_waitcnt vmcnt(42) lgkmcnt(1)
	v_mul_f32_e32 v71, v62, v148
	v_fma_f32 v5, v48, v132, -v5
	v_fmac_f32_e32 v71, v63, v147
	v_add_f32_e32 v4, v4, v5
	v_mul_f32_e32 v5, v51, v135
	v_add_f32_e32 v70, v70, v71
	s_waitcnt vmcnt(41)
	v_mul_f32_e32 v71, v64, v149
	v_fma_f32 v5, v50, v134, -v5
	s_waitcnt vmcnt(38)
	v_fmac_f32_e32 v71, v65, v152
	v_add_f32_e32 v4, v4, v5
	v_mul_f32_e32 v5, v53, v138
	v_add_f32_e32 v70, v70, v71
	s_waitcnt lgkmcnt(0)
	v_mul_f32_e32 v71, v66, v151
	v_fma_f32 v5, v52, v137, -v5
	v_fmac_f32_e32 v71, v67, v150
	v_add_f32_e32 v4, v4, v5
	v_mul_f32_e32 v5, v55, v140
	v_add_f32_e32 v74, v70, v71
	ds_read_b128 v[70:73], v1 offset:848
	v_fma_f32 v5, v54, v139, -v5
	v_add_f32_e32 v4, v4, v5
	v_mul_f32_e32 v5, v57, v142
	s_waitcnt vmcnt(36)
	v_mul_f32_e32 v75, v68, v154
	v_fma_f32 v5, v56, v141, -v5
	v_fmac_f32_e32 v75, v69, v153
	v_add_f32_e32 v4, v4, v5
	v_mul_f32_e32 v5, v59, v144
	v_add_f32_e32 v78, v74, v75
	ds_read_b128 v[74:77], v1 offset:864
	v_fma_f32 v5, v58, v143, -v5
	s_waitcnt vmcnt(34) lgkmcnt(1)
	v_mul_f32_e32 v79, v70, v156
	v_add_f32_e32 v4, v4, v5
	v_mul_f32_e32 v5, v61, v146
	v_fmac_f32_e32 v79, v71, v155
	v_fma_f32 v5, v60, v145, -v5
	v_add_f32_e32 v78, v78, v79
	s_waitcnt vmcnt(33)
	v_mul_f32_e32 v79, v72, v157
	v_add_f32_e32 v4, v4, v5
	v_mul_f32_e32 v5, v63, v148
	s_waitcnt vmcnt(30)
	v_fmac_f32_e32 v79, v73, v160
	v_fma_f32 v5, v62, v147, -v5
	v_add_f32_e32 v78, v78, v79
	s_waitcnt lgkmcnt(0)
	v_mul_f32_e32 v79, v74, v159
	v_add_f32_e32 v4, v4, v5
	v_mul_f32_e32 v5, v65, v149
	v_fmac_f32_e32 v79, v75, v158
	v_fma_f32 v5, v64, v152, -v5
	v_add_f32_e32 v82, v78, v79
	ds_read_b128 v[78:81], v1 offset:880
	v_add_f32_e32 v4, v4, v5
	v_mul_f32_e32 v5, v67, v151
	v_fma_f32 v5, v66, v150, -v5
	s_waitcnt vmcnt(28)
	v_mul_f32_e32 v83, v76, v162
	v_add_f32_e32 v4, v4, v5
	v_mul_f32_e32 v5, v69, v154
	v_fmac_f32_e32 v83, v77, v161
	v_fma_f32 v5, v68, v153, -v5
	v_add_f32_e32 v86, v82, v83
	ds_read_b128 v[82:85], v1 offset:896
	v_add_f32_e32 v4, v4, v5
	v_mul_f32_e32 v5, v71, v156
	s_waitcnt vmcnt(26) lgkmcnt(1)
	v_mul_f32_e32 v87, v78, v164
	v_fma_f32 v5, v70, v155, -v5
	v_fmac_f32_e32 v87, v79, v163
	v_add_f32_e32 v4, v4, v5
	v_mul_f32_e32 v5, v73, v157
	v_add_f32_e32 v86, v86, v87
	s_waitcnt vmcnt(25)
	v_mul_f32_e32 v87, v80, v165
	v_fma_f32 v5, v72, v160, -v5
	s_waitcnt vmcnt(22)
	v_fmac_f32_e32 v87, v81, v168
	v_add_f32_e32 v4, v4, v5
	v_mul_f32_e32 v5, v75, v159
	v_add_f32_e32 v86, v86, v87
	s_waitcnt lgkmcnt(0)
	v_mul_f32_e32 v87, v82, v167
	v_fma_f32 v5, v74, v158, -v5
	v_fmac_f32_e32 v87, v83, v166
	v_add_f32_e32 v4, v4, v5
	v_mul_f32_e32 v5, v77, v162
	v_add_f32_e32 v90, v86, v87
	ds_read_b128 v[86:89], v1 offset:912
	v_fma_f32 v5, v76, v161, -v5
	v_add_f32_e32 v4, v4, v5
	v_mul_f32_e32 v5, v79, v164
	s_waitcnt vmcnt(20)
	v_mul_f32_e32 v91, v84, v170
	v_fma_f32 v5, v78, v163, -v5
	v_fmac_f32_e32 v91, v85, v169
	v_add_f32_e32 v4, v4, v5
	v_mul_f32_e32 v5, v81, v165
	v_add_f32_e32 v94, v90, v91
	ds_read_b128 v[90:93], v1 offset:928
	v_fma_f32 v5, v80, v168, -v5
	s_waitcnt vmcnt(18) lgkmcnt(1)
	v_mul_f32_e32 v95, v86, v172
	v_add_f32_e32 v4, v4, v5
	v_mul_f32_e32 v5, v83, v167
	v_fmac_f32_e32 v95, v87, v171
	v_fma_f32 v5, v82, v166, -v5
	v_add_f32_e32 v94, v94, v95
	s_waitcnt vmcnt(17)
	v_mul_f32_e32 v95, v88, v173
	v_add_f32_e32 v4, v4, v5
	v_mul_f32_e32 v5, v85, v170
	s_waitcnt vmcnt(14)
	v_fmac_f32_e32 v95, v89, v176
	v_fma_f32 v5, v84, v169, -v5
	v_add_f32_e32 v94, v94, v95
	s_waitcnt lgkmcnt(0)
	v_mul_f32_e32 v95, v90, v175
	v_add_f32_e32 v4, v4, v5
	v_mul_f32_e32 v5, v87, v172
	v_fmac_f32_e32 v95, v91, v174
	v_fma_f32 v5, v86, v171, -v5
	v_add_f32_e32 v98, v94, v95
	ds_read_b128 v[94:97], v1 offset:944
	v_add_f32_e32 v4, v4, v5
	v_mul_f32_e32 v5, v89, v173
	v_fma_f32 v5, v88, v176, -v5
	v_add_f32_e32 v4, v4, v5
	v_mul_f32_e32 v5, v91, v175
	s_waitcnt vmcnt(12)
	v_mul_f32_e32 v99, v92, v178
	v_fma_f32 v5, v90, v174, -v5
	v_fmac_f32_e32 v99, v93, v177
	v_add_f32_e32 v4, v4, v5
	v_mul_f32_e32 v5, v93, v178
	v_add_f32_e32 v102, v98, v99
	ds_read_b128 v[98:101], v1 offset:960
	s_waitcnt vmcnt(10) lgkmcnt(1)
	v_mul_f32_e32 v103, v94, v180
	v_fma_f32 v5, v92, v177, -v5
	v_fmac_f32_e32 v103, v95, v179
	v_add_f32_e32 v4, v4, v5
	v_mul_f32_e32 v5, v95, v180
	v_add_f32_e32 v102, v102, v103
	s_waitcnt vmcnt(9)
	v_mul_f32_e32 v103, v96, v181
	v_fma_f32 v5, v94, v179, -v5
	s_waitcnt vmcnt(6)
	v_fmac_f32_e32 v103, v97, v184
	v_add_f32_e32 v4, v4, v5
	v_mul_f32_e32 v5, v97, v181
	v_add_f32_e32 v191, v102, v103
	ds_read_b128 v[102:105], v1 offset:976
	v_fma_f32 v5, v96, v184, -v5
	v_add_f32_e32 v4, v4, v5
	s_waitcnt lgkmcnt(1)
	v_mul_f32_e32 v5, v99, v183
	v_mul_f32_e32 v192, v98, v183
	v_fma_f32 v5, v98, v182, -v5
	v_fmac_f32_e32 v192, v99, v182
	v_add_f32_e32 v4, v4, v5
	s_waitcnt vmcnt(4)
	v_mul_f32_e32 v5, v101, v186
	v_add_f32_e32 v1, v191, v192
	v_mul_f32_e32 v191, v100, v186
	v_fma_f32 v5, v100, v185, -v5
	v_fmac_f32_e32 v191, v101, v185
	v_add_f32_e32 v4, v4, v5
	s_waitcnt vmcnt(3) lgkmcnt(0)
	v_mul_f32_e32 v5, v103, v187
	v_add_f32_e32 v1, v1, v191
	v_mul_f32_e32 v191, v102, v187
	s_waitcnt vmcnt(0)
	v_fma_f32 v5, v102, v190, -v5
	v_fmac_f32_e32 v191, v103, v190
	v_add_f32_e32 v4, v4, v5
	v_mul_f32_e32 v5, v105, v189
	v_add_f32_e32 v1, v1, v191
	v_mul_f32_e32 v191, v104, v189
	v_fma_f32 v5, v104, v188, -v5
	v_fmac_f32_e32 v191, v105, v188
	v_add_f32_e32 v4, v4, v5
	v_add_f32_e32 v1, v1, v191
	v_sub_f32_e32 v2, v2, v4
	v_sub_f32_e32 v1, v3, v1
	buffer_store_dword v2, off, s[0:3], 0 offset:120
	buffer_store_dword v1, off, s[0:3], 0 offset:124
	s_and_saveexec_b64 s[4:5], vcc
	s_cbranch_execz .LBB125_357
; %bb.356:
	buffer_load_dword v1, off, s[0:3], 0 offset:112
	buffer_load_dword v2, off, s[0:3], 0 offset:116
	v_mov_b32_e32 v3, 0
	buffer_store_dword v3, off, s[0:3], 0 offset:112
	buffer_store_dword v3, off, s[0:3], 0 offset:116
	s_waitcnt vmcnt(2)
	ds_write_b64 v25, v[1:2]
.LBB125_357:
	s_or_b64 exec, exec, s[4:5]
	s_waitcnt lgkmcnt(0)
	; wave barrier
	buffer_load_dword v8, off, s[0:3], 0 offset:124
	buffer_load_dword v7, off, s[0:3], 0 offset:132
	;; [unrolled: 1-line block ×40, first 2 shown]
	v_mov_b32_e32 v1, 0
	buffer_load_dword v139, off, s[0:3], 0 offset:272
	buffer_load_dword v140, off, s[0:3], 0 offset:276
	;; [unrolled: 1-line block ×8, first 2 shown]
	ds_read2_b64 v[11:14], v1 offset0:77 offset1:78
	ds_read2_b64 v[15:18], v1 offset0:79 offset1:80
	ds_read2_b64 v[19:22], v1 offset0:81 offset1:82
	ds_read2_b64 v[26:29], v1 offset0:83 offset1:84
	ds_read2_b64 v[30:33], v1 offset0:85 offset1:86
	ds_read2_b64 v[34:37], v1 offset0:87 offset1:88
	ds_read2_b64 v[38:41], v1 offset0:89 offset1:90
	v_cmp_lt_u32_e32 vcc, 13, v0
	s_waitcnt vmcnt(47) lgkmcnt(6)
	v_mul_f32_e32 v23, v11, v8
	s_waitcnt vmcnt(46)
	v_mul_f32_e32 v24, v13, v7
	s_waitcnt vmcnt(45) lgkmcnt(5)
	v_mul_f32_e32 v42, v15, v6
	s_waitcnt vmcnt(44)
	v_mul_f32_e32 v43, v17, v5
	;; [unrolled: 4-line block ×6, first 2 shown]
	s_waitcnt vmcnt(35)
	v_fmac_f32_e32 v42, v16, v111
	s_waitcnt vmcnt(34)
	v_fmac_f32_e32 v24, v14, v112
	;; [unrolled: 2-line block ×3, first 2 shown]
	v_add_f32_e32 v23, 0, v23
	v_add_f32_e32 v23, v23, v24
	;; [unrolled: 1-line block ×3, first 2 shown]
	s_waitcnt vmcnt(29)
	v_fmac_f32_e32 v43, v18, v117
	v_fmac_f32_e32 v44, v20, v116
	v_add_f32_e32 v23, v23, v43
	v_fmac_f32_e32 v45, v22, v115
	v_add_f32_e32 v23, v23, v44
	v_add_f32_e32 v23, v23, v45
	ds_read2_b64 v[42:45], v1 offset0:91 offset1:92
	buffer_load_dword v147, off, s[0:3], 0 offset:304
	buffer_load_dword v148, off, s[0:3], 0 offset:308
	;; [unrolled: 1-line block ×10, first 2 shown]
	v_fmac_f32_e32 v46, v27, v114
	s_waitcnt vmcnt(35)
	v_fmac_f32_e32 v47, v29, v123
	v_add_f32_e32 v23, v23, v46
	v_fmac_f32_e32 v48, v31, v122
	v_add_f32_e32 v23, v23, v47
	;; [unrolled: 2-line block ×3, first 2 shown]
	v_add_f32_e32 v23, v23, v49
	ds_read2_b64 v[46:49], v1 offset0:93 offset1:94
	buffer_load_dword v157, off, s[0:3], 0 offset:344
	buffer_load_dword v158, off, s[0:3], 0 offset:348
	;; [unrolled: 1-line block ×6, first 2 shown]
	v_fmac_f32_e32 v50, v35, v118
	s_waitcnt vmcnt(37)
	v_fmac_f32_e32 v51, v37, v127
	v_add_f32_e32 v23, v23, v50
	v_add_f32_e32 v23, v23, v51
	ds_read2_b64 v[50:53], v1 offset0:95 offset1:96
	buffer_load_dword v163, off, s[0:3], 0 offset:368
	buffer_load_dword v164, off, s[0:3], 0 offset:372
	;; [unrolled: 1-line block ×10, first 2 shown]
	ds_read2_b64 v[54:57], v1 offset0:97 offset1:98
	buffer_load_dword v173, off, s[0:3], 0 offset:408
	buffer_load_dword v174, off, s[0:3], 0 offset:412
	;; [unrolled: 1-line block ×6, first 2 shown]
	ds_read2_b64 v[58:61], v1 offset0:99 offset1:100
	buffer_load_dword v179, off, s[0:3], 0 offset:432
	buffer_load_dword v180, off, s[0:3], 0 offset:436
	;; [unrolled: 1-line block ×10, first 2 shown]
	v_mul_f32_e32 v8, v12, v8
	v_fma_f32 v8, v11, v113, -v8
	v_mul_f32_e32 v7, v14, v7
	v_add_f32_e32 v8, 0, v8
	v_fma_f32 v7, v13, v112, -v7
	v_mul_f32_e32 v6, v16, v6
	v_add_f32_e32 v7, v8, v7
	;; [unrolled: 3-line block ×3, first 2 shown]
	v_fma_f32 v5, v17, v117, -v5
	v_mul_f32_e32 v4, v20, v4
	buffer_load_dword v189, off, s[0:3], 0 offset:472
	buffer_load_dword v190, off, s[0:3], 0 offset:476
	;; [unrolled: 1-line block ×6, first 2 shown]
	v_add_f32_e32 v5, v6, v5
	v_fma_f32 v4, v19, v116, -v4
	v_mul_f32_e32 v3, v22, v3
	v_add_f32_e32 v4, v5, v4
	v_fma_f32 v3, v21, v115, -v3
	v_mul_f32_e32 v2, v27, v2
	v_add_f32_e32 v3, v4, v3
	v_fma_f32 v2, v26, v114, -v2
	v_add_f32_e32 v2, v3, v2
	v_mul_f32_e32 v3, v29, v106
	v_fma_f32 v3, v28, v123, -v3
	v_add_f32_e32 v2, v2, v3
	v_mul_f32_e32 v3, v31, v107
	;; [unrolled: 3-line block ×5, first 2 shown]
	s_waitcnt vmcnt(62) lgkmcnt(5)
	v_mul_f32_e32 v24, v38, v128
	v_fma_f32 v3, v36, v127, -v3
	v_fmac_f32_e32 v24, v39, v126
	v_add_f32_e32 v2, v2, v3
	v_mul_f32_e32 v3, v39, v128
	v_add_f32_e32 v23, v23, v24
	v_mul_f32_e32 v24, v40, v129
	v_fma_f32 v3, v38, v126, -v3
	v_fmac_f32_e32 v24, v41, v125
	v_add_f32_e32 v2, v2, v3
	v_mul_f32_e32 v3, v41, v129
	v_add_f32_e32 v23, v23, v24
	s_waitcnt lgkmcnt(4)
	v_mul_f32_e32 v24, v42, v130
	v_fma_f32 v3, v40, v125, -v3
	v_fmac_f32_e32 v24, v43, v124
	v_add_f32_e32 v2, v2, v3
	v_mul_f32_e32 v3, v43, v130
	v_add_f32_e32 v23, v23, v24
	v_mul_f32_e32 v24, v44, v131
	v_fma_f32 v3, v42, v124, -v3
	s_waitcnt vmcnt(58)
	v_fmac_f32_e32 v24, v45, v138
	v_add_f32_e32 v2, v2, v3
	v_mul_f32_e32 v3, v45, v131
	v_add_f32_e32 v23, v23, v24
	s_waitcnt lgkmcnt(3)
	v_mul_f32_e32 v24, v46, v133
	v_fma_f32 v3, v44, v138, -v3
	v_fmac_f32_e32 v24, v47, v132
	v_add_f32_e32 v2, v2, v3
	v_mul_f32_e32 v3, v47, v133
	v_add_f32_e32 v23, v23, v24
	v_mul_f32_e32 v24, v48, v135
	v_fma_f32 v3, v46, v132, -v3
	v_fmac_f32_e32 v24, v49, v134
	v_add_f32_e32 v2, v2, v3
	v_mul_f32_e32 v3, v49, v135
	v_add_f32_e32 v23, v23, v24
	s_waitcnt lgkmcnt(2)
	v_mul_f32_e32 v24, v50, v137
	v_fma_f32 v3, v48, v134, -v3
	v_fmac_f32_e32 v24, v51, v136
	v_add_f32_e32 v2, v2, v3
	v_mul_f32_e32 v3, v51, v137
	v_add_f32_e32 v23, v23, v24
	s_waitcnt vmcnt(54)
	v_mul_f32_e32 v24, v52, v140
	v_fma_f32 v3, v50, v136, -v3
	v_fmac_f32_e32 v24, v53, v139
	v_add_f32_e32 v2, v2, v3
	v_mul_f32_e32 v3, v53, v140
	v_add_f32_e32 v23, v23, v24
	s_waitcnt vmcnt(52) lgkmcnt(1)
	v_mul_f32_e32 v24, v54, v142
	v_fma_f32 v3, v52, v139, -v3
	v_fmac_f32_e32 v24, v55, v141
	v_add_f32_e32 v2, v2, v3
	v_mul_f32_e32 v3, v55, v142
	v_add_f32_e32 v23, v23, v24
	s_waitcnt vmcnt(50)
	v_mul_f32_e32 v24, v56, v144
	v_fma_f32 v3, v54, v141, -v3
	v_fmac_f32_e32 v24, v57, v143
	ds_read2_b64 v[62:65], v1 offset0:101 offset1:102
	ds_read2_b64 v[66:69], v1 offset0:103 offset1:104
	v_add_f32_e32 v2, v2, v3
	v_mul_f32_e32 v3, v57, v144
	v_add_f32_e32 v23, v23, v24
	s_waitcnt vmcnt(48) lgkmcnt(2)
	v_mul_f32_e32 v24, v58, v146
	v_fma_f32 v3, v56, v143, -v3
	v_fmac_f32_e32 v24, v59, v145
	v_add_f32_e32 v2, v2, v3
	v_mul_f32_e32 v3, v59, v146
	v_add_f32_e32 v23, v23, v24
	s_waitcnt vmcnt(46)
	v_mul_f32_e32 v24, v60, v148
	v_fma_f32 v3, v58, v145, -v3
	v_fmac_f32_e32 v24, v61, v147
	v_add_f32_e32 v2, v2, v3
	v_mul_f32_e32 v3, v61, v148
	v_add_f32_e32 v23, v23, v24
	s_waitcnt vmcnt(44) lgkmcnt(1)
	v_mul_f32_e32 v24, v62, v150
	v_fma_f32 v3, v60, v147, -v3
	v_fmac_f32_e32 v24, v63, v149
	v_add_f32_e32 v2, v2, v3
	v_mul_f32_e32 v3, v63, v150
	v_add_f32_e32 v23, v23, v24
	s_waitcnt vmcnt(43)
	v_mul_f32_e32 v24, v64, v151
	v_fma_f32 v3, v62, v149, -v3
	s_waitcnt vmcnt(40)
	v_fmac_f32_e32 v24, v65, v154
	ds_read2_b64 v[70:73], v1 offset0:105 offset1:106
	ds_read2_b64 v[74:77], v1 offset0:107 offset1:108
	v_add_f32_e32 v2, v2, v3
	v_mul_f32_e32 v3, v65, v151
	v_add_f32_e32 v23, v23, v24
	s_waitcnt lgkmcnt(2)
	v_mul_f32_e32 v24, v66, v153
	v_fma_f32 v3, v64, v154, -v3
	v_fmac_f32_e32 v24, v67, v152
	v_add_f32_e32 v2, v2, v3
	v_mul_f32_e32 v3, v67, v153
	v_add_f32_e32 v23, v23, v24
	s_waitcnt vmcnt(38)
	v_mul_f32_e32 v24, v68, v156
	v_fma_f32 v3, v66, v152, -v3
	v_fmac_f32_e32 v24, v69, v155
	v_add_f32_e32 v2, v2, v3
	v_mul_f32_e32 v3, v69, v156
	v_add_f32_e32 v23, v23, v24
	s_waitcnt vmcnt(36) lgkmcnt(1)
	v_mul_f32_e32 v24, v70, v158
	v_fma_f32 v3, v68, v155, -v3
	v_fmac_f32_e32 v24, v71, v157
	v_add_f32_e32 v2, v2, v3
	v_mul_f32_e32 v3, v71, v158
	v_add_f32_e32 v23, v23, v24
	s_waitcnt vmcnt(35)
	v_mul_f32_e32 v24, v72, v159
	v_fma_f32 v3, v70, v157, -v3
	s_waitcnt vmcnt(32)
	v_fmac_f32_e32 v24, v73, v162
	ds_read2_b64 v[78:81], v1 offset0:109 offset1:110
	ds_read2_b64 v[82:85], v1 offset0:111 offset1:112
	v_add_f32_e32 v2, v2, v3
	v_mul_f32_e32 v3, v73, v159
	v_add_f32_e32 v23, v23, v24
	s_waitcnt lgkmcnt(2)
	;; [unrolled: 31-line block ×4, first 2 shown]
	v_mul_f32_e32 v24, v90, v177
	v_fma_f32 v3, v88, v178, -v3
	v_fmac_f32_e32 v24, v91, v176
	v_add_f32_e32 v2, v2, v3
	v_mul_f32_e32 v3, v91, v177
	v_add_f32_e32 v23, v23, v24
	s_waitcnt vmcnt(14)
	v_mul_f32_e32 v24, v92, v180
	v_fma_f32 v3, v90, v176, -v3
	v_fmac_f32_e32 v24, v93, v179
	v_add_f32_e32 v2, v2, v3
	v_mul_f32_e32 v3, v93, v180
	v_add_f32_e32 v23, v23, v24
	s_waitcnt vmcnt(12) lgkmcnt(1)
	v_mul_f32_e32 v24, v94, v182
	v_fma_f32 v3, v92, v179, -v3
	v_fmac_f32_e32 v24, v95, v181
	v_add_f32_e32 v2, v2, v3
	v_mul_f32_e32 v3, v95, v182
	v_add_f32_e32 v23, v23, v24
	s_waitcnt vmcnt(11)
	v_mul_f32_e32 v24, v96, v183
	v_fma_f32 v3, v94, v181, -v3
	s_waitcnt vmcnt(8)
	v_fmac_f32_e32 v24, v97, v186
	v_add_f32_e32 v2, v2, v3
	v_mul_f32_e32 v3, v97, v183
	v_add_f32_e32 v23, v23, v24
	s_waitcnt lgkmcnt(0)
	v_mul_f32_e32 v24, v98, v185
	ds_read2_b64 v[102:105], v1 offset0:121 offset1:122
	v_fma_f32 v3, v96, v186, -v3
	v_fmac_f32_e32 v24, v99, v184
	v_add_f32_e32 v2, v2, v3
	v_mul_f32_e32 v3, v99, v185
	v_add_f32_e32 v23, v23, v24
	s_waitcnt vmcnt(6)
	v_mul_f32_e32 v24, v100, v188
	v_fma_f32 v3, v98, v184, -v3
	v_fmac_f32_e32 v24, v101, v187
	v_add_f32_e32 v2, v2, v3
	v_mul_f32_e32 v3, v101, v188
	v_add_f32_e32 v195, v23, v24
	ds_read_b64 v[23:24], v1 offset:984
	v_fma_f32 v3, v100, v187, -v3
	v_add_f32_e32 v2, v2, v3
	s_waitcnt vmcnt(4) lgkmcnt(1)
	v_mul_f32_e32 v3, v103, v190
	v_mul_f32_e32 v196, v102, v190
	v_fma_f32 v3, v102, v189, -v3
	v_fmac_f32_e32 v196, v103, v189
	v_add_f32_e32 v2, v2, v3
	s_waitcnt vmcnt(3)
	v_mul_f32_e32 v3, v105, v191
	v_add_f32_e32 v195, v195, v196
	v_mul_f32_e32 v196, v104, v191
	s_waitcnt vmcnt(0)
	v_fma_f32 v3, v104, v194, -v3
	v_fmac_f32_e32 v196, v105, v194
	v_add_f32_e32 v2, v2, v3
	s_waitcnt lgkmcnt(0)
	v_mul_f32_e32 v3, v24, v193
	v_add_f32_e32 v195, v195, v196
	v_mul_f32_e32 v196, v23, v193
	v_fma_f32 v3, v23, v192, -v3
	v_fmac_f32_e32 v196, v24, v192
	v_add_f32_e32 v2, v2, v3
	v_add_f32_e32 v195, v195, v196
	v_sub_f32_e32 v2, v9, v2
	v_sub_f32_e32 v3, v10, v195
	buffer_store_dword v2, off, s[0:3], 0 offset:112
	buffer_store_dword v3, off, s[0:3], 0 offset:116
	s_and_saveexec_b64 s[4:5], vcc
	s_cbranch_execz .LBB125_359
; %bb.358:
	buffer_load_dword v2, off, s[0:3], 0 offset:104
	buffer_load_dword v3, off, s[0:3], 0 offset:108
	s_waitcnt vmcnt(0)
	ds_write_b64 v25, v[2:3]
	buffer_store_dword v1, off, s[0:3], 0 offset:104
	buffer_store_dword v1, off, s[0:3], 0 offset:108
.LBB125_359:
	s_or_b64 exec, exec, s[4:5]
	s_waitcnt lgkmcnt(0)
	; wave barrier
	buffer_load_dword v8, off, s[0:3], 0 offset:116
	buffer_load_dword v7, off, s[0:3], 0 offset:124
	;; [unrolled: 1-line block ×40, first 2 shown]
	ds_read_b128 v[40:43], v1 offset:608
	ds_read_b128 v[44:47], v1 offset:624
	;; [unrolled: 1-line block ×7, first 2 shown]
	buffer_load_dword v141, off, s[0:3], 0 offset:264
	buffer_load_dword v142, off, s[0:3], 0 offset:268
	buffer_load_dword v143, off, s[0:3], 0 offset:272
	buffer_load_dword v144, off, s[0:3], 0 offset:276
	buffer_load_dword v145, off, s[0:3], 0 offset:280
	buffer_load_dword v146, off, s[0:3], 0 offset:284
	buffer_load_dword v147, off, s[0:3], 0 offset:288
	buffer_load_dword v148, off, s[0:3], 0 offset:292
	buffer_load_dword v149, off, s[0:3], 0 offset:296
	buffer_load_dword v150, off, s[0:3], 0 offset:300
	v_cmp_lt_u32_e32 vcc, 12, v0
	s_waitcnt vmcnt(49) lgkmcnt(6)
	v_mul_f32_e32 v68, v40, v8
	s_waitcnt vmcnt(48)
	v_mul_f32_e32 v69, v42, v7
	s_waitcnt vmcnt(47) lgkmcnt(5)
	v_mul_f32_e32 v70, v44, v6
	s_waitcnt vmcnt(46)
	v_mul_f32_e32 v71, v46, v5
	;; [unrolled: 4-line block ×6, first 2 shown]
	s_waitcnt vmcnt(37)
	v_fmac_f32_e32 v70, v45, v21
	s_waitcnt vmcnt(36)
	v_fmac_f32_e32 v69, v43, v24
	;; [unrolled: 2-line block ×3, first 2 shown]
	v_add_f32_e32 v68, 0, v68
	v_add_f32_e32 v68, v68, v69
	;; [unrolled: 1-line block ×3, first 2 shown]
	s_waitcnt vmcnt(31)
	v_fmac_f32_e32 v71, v47, v27
	v_fmac_f32_e32 v72, v49, v23
	v_add_f32_e32 v68, v68, v71
	v_fmac_f32_e32 v73, v51, v20
	v_add_f32_e32 v68, v68, v72
	;; [unrolled: 2-line block ×3, first 2 shown]
	s_waitcnt vmcnt(27)
	v_fmac_f32_e32 v75, v55, v22
	v_add_f32_e32 v68, v68, v74
	v_fmac_f32_e32 v76, v57, v19
	v_add_f32_e32 v68, v68, v75
	;; [unrolled: 2-line block ×4, first 2 shown]
	s_waitcnt vmcnt(23)
	v_fmac_f32_e32 v79, v63, v35
	v_add_f32_e32 v68, v68, v78
	v_add_f32_e32 v72, v68, v79
	ds_read_b128 v[68:71], v1 offset:720
	s_waitcnt vmcnt(22) lgkmcnt(1)
	v_mul_f32_e32 v73, v64, v34
	v_fmac_f32_e32 v73, v65, v31
	buffer_load_dword v151, off, s[0:3], 0 offset:304
	buffer_load_dword v152, off, s[0:3], 0 offset:308
	;; [unrolled: 1-line block ×6, first 2 shown]
	v_add_f32_e32 v72, v72, v73
	s_waitcnt vmcnt(27)
	v_mul_f32_e32 v73, v66, v32
	v_fmac_f32_e32 v73, v67, v29
	v_add_f32_e32 v72, v72, v73
	s_waitcnt vmcnt(26) lgkmcnt(0)
	v_mul_f32_e32 v73, v68, v30
	v_fmac_f32_e32 v73, v69, v26
	v_add_f32_e32 v76, v72, v73
	ds_read_b128 v[72:75], v1 offset:736
	buffer_load_dword v157, off, s[0:3], 0 offset:328
	buffer_load_dword v158, off, s[0:3], 0 offset:332
	s_waitcnt vmcnt(27)
	v_mul_f32_e32 v77, v70, v33
	s_waitcnt vmcnt(20)
	v_fmac_f32_e32 v77, v71, v140
	v_add_f32_e32 v80, v76, v77
	ds_read_b128 v[76:79], v1 offset:752
	buffer_load_dword v159, off, s[0:3], 0 offset:336
	buffer_load_dword v160, off, s[0:3], 0 offset:340
	;; [unrolled: 1-line block ×14, first 2 shown]
	s_waitcnt lgkmcnt(1)
	v_mul_f32_e32 v81, v72, v37
	buffer_load_dword v173, off, s[0:3], 0 offset:392
	buffer_load_dword v174, off, s[0:3], 0 offset:396
	v_fmac_f32_e32 v81, v73, v36
	v_add_f32_e32 v80, v80, v81
	v_mul_f32_e32 v81, v74, v39
	v_fmac_f32_e32 v81, v75, v38
	v_add_f32_e32 v80, v80, v81
	s_waitcnt lgkmcnt(0)
	v_mul_f32_e32 v81, v76, v139
	v_fmac_f32_e32 v81, v77, v138
	v_add_f32_e32 v84, v80, v81
	ds_read_b128 v[80:83], v1 offset:768
	buffer_load_dword v175, off, s[0:3], 0 offset:400
	buffer_load_dword v176, off, s[0:3], 0 offset:404
	;; [unrolled: 1-line block ×6, first 2 shown]
	s_waitcnt vmcnt(38)
	v_mul_f32_e32 v85, v78, v142
	v_fmac_f32_e32 v85, v79, v141
	v_add_f32_e32 v88, v84, v85
	ds_read_b128 v[84:87], v1 offset:784
	buffer_load_dword v181, off, s[0:3], 0 offset:424
	buffer_load_dword v182, off, s[0:3], 0 offset:428
	;; [unrolled: 1-line block ×10, first 2 shown]
	v_mul_f32_e32 v8, v41, v8
	s_waitcnt vmcnt(46) lgkmcnt(1)
	v_mul_f32_e32 v89, v80, v144
	v_fma_f32 v8, v40, v28, -v8
	v_mul_f32_e32 v7, v43, v7
	v_fmac_f32_e32 v89, v81, v143
	v_add_f32_e32 v8, 0, v8
	v_fma_f32 v7, v42, v24, -v7
	v_mul_f32_e32 v6, v45, v6
	v_add_f32_e32 v88, v88, v89
	s_waitcnt vmcnt(44)
	v_mul_f32_e32 v89, v82, v146
	v_add_f32_e32 v7, v8, v7
	v_fma_f32 v6, v44, v21, -v6
	v_mul_f32_e32 v5, v47, v5
	v_fmac_f32_e32 v89, v83, v145
	v_add_f32_e32 v6, v7, v6
	v_fma_f32 v5, v46, v27, -v5
	v_mul_f32_e32 v4, v49, v4
	v_add_f32_e32 v88, v88, v89
	s_waitcnt vmcnt(42) lgkmcnt(0)
	v_mul_f32_e32 v89, v84, v148
	buffer_load_dword v191, off, s[0:3], 0 offset:464
	buffer_load_dword v192, off, s[0:3], 0 offset:468
	;; [unrolled: 1-line block ×6, first 2 shown]
	v_add_f32_e32 v5, v6, v5
	v_fma_f32 v4, v48, v23, -v4
	v_mul_f32_e32 v3, v51, v3
	v_fmac_f32_e32 v89, v85, v147
	s_waitcnt vmcnt(46)
	v_mul_f32_e32 v93, v86, v150
	v_add_f32_e32 v4, v5, v4
	v_fma_f32 v3, v50, v20, -v3
	v_mul_f32_e32 v2, v53, v2
	v_add_f32_e32 v92, v88, v89
	v_fmac_f32_e32 v93, v87, v149
	v_add_f32_e32 v3, v4, v3
	v_fma_f32 v2, v52, v18, -v2
	ds_read_b128 v[88:91], v1 offset:800
	v_add_f32_e32 v96, v92, v93
	ds_read_b128 v[92:95], v1 offset:816
	buffer_load_dword v197, off, s[0:3], 0 offset:488
	buffer_load_dword v198, off, s[0:3], 0 offset:492
	v_add_f32_e32 v2, v3, v2
	v_mul_f32_e32 v3, v55, v11
	v_fma_f32 v3, v54, v22, -v3
	v_add_f32_e32 v2, v2, v3
	v_mul_f32_e32 v3, v57, v12
	v_fma_f32 v3, v56, v19, -v3
	;; [unrolled: 3-line block ×9, first 2 shown]
	v_add_f32_e32 v2, v2, v3
	v_mul_f32_e32 v3, v73, v37
	s_waitcnt vmcnt(46) lgkmcnt(1)
	v_mul_f32_e32 v97, v88, v152
	v_fma_f32 v3, v72, v36, -v3
	v_fmac_f32_e32 v97, v89, v151
	v_add_f32_e32 v2, v2, v3
	v_mul_f32_e32 v3, v75, v39
	v_add_f32_e32 v96, v96, v97
	s_waitcnt vmcnt(45)
	v_mul_f32_e32 v97, v90, v153
	v_fma_f32 v3, v74, v38, -v3
	s_waitcnt vmcnt(42)
	v_fmac_f32_e32 v97, v91, v156
	v_add_f32_e32 v2, v2, v3
	v_mul_f32_e32 v3, v77, v139
	v_add_f32_e32 v96, v96, v97
	s_waitcnt lgkmcnt(0)
	v_mul_f32_e32 v97, v92, v155
	v_fma_f32 v3, v76, v138, -v3
	v_fmac_f32_e32 v97, v93, v154
	v_add_f32_e32 v2, v2, v3
	v_mul_f32_e32 v3, v79, v142
	v_add_f32_e32 v100, v96, v97
	ds_read_b128 v[96:99], v1 offset:832
	v_fma_f32 v3, v78, v141, -v3
	v_add_f32_e32 v2, v2, v3
	v_mul_f32_e32 v3, v81, v144
	s_waitcnt vmcnt(40)
	v_mul_f32_e32 v101, v94, v158
	v_fma_f32 v3, v80, v143, -v3
	v_fmac_f32_e32 v101, v95, v157
	v_add_f32_e32 v2, v2, v3
	v_mul_f32_e32 v3, v83, v146
	v_add_f32_e32 v104, v100, v101
	ds_read_b128 v[100:103], v1 offset:848
	v_fma_f32 v3, v82, v145, -v3
	s_waitcnt vmcnt(38) lgkmcnt(1)
	v_mul_f32_e32 v105, v96, v160
	v_add_f32_e32 v2, v2, v3
	v_mul_f32_e32 v3, v85, v148
	v_fmac_f32_e32 v105, v97, v159
	v_fma_f32 v3, v84, v147, -v3
	v_add_f32_e32 v104, v104, v105
	s_waitcnt vmcnt(37)
	v_mul_f32_e32 v105, v98, v161
	v_add_f32_e32 v2, v2, v3
	v_mul_f32_e32 v3, v87, v150
	s_waitcnt vmcnt(34)
	v_fmac_f32_e32 v105, v99, v164
	v_fma_f32 v3, v86, v149, -v3
	v_add_f32_e32 v104, v104, v105
	s_waitcnt lgkmcnt(0)
	v_mul_f32_e32 v105, v100, v163
	v_add_f32_e32 v2, v2, v3
	v_mul_f32_e32 v3, v89, v152
	v_fmac_f32_e32 v105, v101, v162
	v_fma_f32 v3, v88, v151, -v3
	v_add_f32_e32 v108, v104, v105
	ds_read_b128 v[104:107], v1 offset:864
	v_add_f32_e32 v2, v2, v3
	v_mul_f32_e32 v3, v91, v153
	v_fma_f32 v3, v90, v156, -v3
	s_waitcnt vmcnt(32)
	v_mul_f32_e32 v109, v102, v166
	v_add_f32_e32 v2, v2, v3
	v_mul_f32_e32 v3, v93, v155
	v_fmac_f32_e32 v109, v103, v165
	v_fma_f32 v3, v92, v154, -v3
	v_add_f32_e32 v112, v108, v109
	ds_read_b128 v[108:111], v1 offset:880
	v_add_f32_e32 v2, v2, v3
	v_mul_f32_e32 v3, v95, v158
	s_waitcnt vmcnt(30) lgkmcnt(1)
	v_mul_f32_e32 v113, v104, v168
	v_fma_f32 v3, v94, v157, -v3
	v_fmac_f32_e32 v113, v105, v167
	v_add_f32_e32 v2, v2, v3
	v_mul_f32_e32 v3, v97, v160
	v_add_f32_e32 v112, v112, v113
	s_waitcnt vmcnt(29)
	v_mul_f32_e32 v113, v106, v169
	v_fma_f32 v3, v96, v159, -v3
	s_waitcnt vmcnt(26)
	v_fmac_f32_e32 v113, v107, v172
	v_add_f32_e32 v2, v2, v3
	v_mul_f32_e32 v3, v99, v161
	v_add_f32_e32 v112, v112, v113
	s_waitcnt lgkmcnt(0)
	v_mul_f32_e32 v113, v108, v171
	v_fma_f32 v3, v98, v164, -v3
	v_fmac_f32_e32 v113, v109, v170
	v_add_f32_e32 v2, v2, v3
	v_mul_f32_e32 v3, v101, v163
	v_add_f32_e32 v116, v112, v113
	ds_read_b128 v[112:115], v1 offset:896
	v_fma_f32 v3, v100, v162, -v3
	v_add_f32_e32 v2, v2, v3
	v_mul_f32_e32 v3, v103, v166
	s_waitcnt vmcnt(24)
	v_mul_f32_e32 v117, v110, v174
	v_fma_f32 v3, v102, v165, -v3
	v_fmac_f32_e32 v117, v111, v173
	v_add_f32_e32 v2, v2, v3
	v_mul_f32_e32 v3, v105, v168
	v_add_f32_e32 v122, v116, v117
	ds_read_b128 v[116:119], v1 offset:912
	v_fma_f32 v3, v104, v167, -v3
	s_waitcnt vmcnt(22) lgkmcnt(1)
	v_mul_f32_e32 v123, v112, v176
	v_add_f32_e32 v2, v2, v3
	v_mul_f32_e32 v3, v107, v169
	v_fmac_f32_e32 v123, v113, v175
	v_fma_f32 v3, v106, v172, -v3
	v_add_f32_e32 v122, v122, v123
	s_waitcnt vmcnt(21)
	v_mul_f32_e32 v123, v114, v177
	v_add_f32_e32 v2, v2, v3
	v_mul_f32_e32 v3, v109, v171
	s_waitcnt vmcnt(18)
	v_fmac_f32_e32 v123, v115, v180
	v_fma_f32 v3, v108, v170, -v3
	v_add_f32_e32 v122, v122, v123
	s_waitcnt lgkmcnt(0)
	v_mul_f32_e32 v123, v116, v179
	v_add_f32_e32 v2, v2, v3
	v_mul_f32_e32 v3, v111, v174
	v_fmac_f32_e32 v123, v117, v178
	v_fma_f32 v3, v110, v173, -v3
	v_add_f32_e32 v126, v122, v123
	ds_read_b128 v[122:125], v1 offset:928
	v_add_f32_e32 v2, v2, v3
	v_mul_f32_e32 v3, v113, v176
	v_fma_f32 v3, v112, v175, -v3
	s_waitcnt vmcnt(16)
	v_mul_f32_e32 v127, v118, v182
	v_add_f32_e32 v2, v2, v3
	v_mul_f32_e32 v3, v115, v177
	v_fmac_f32_e32 v127, v119, v181
	v_fma_f32 v3, v114, v180, -v3
	v_add_f32_e32 v130, v126, v127
	ds_read_b128 v[126:129], v1 offset:944
	v_add_f32_e32 v2, v2, v3
	v_mul_f32_e32 v3, v117, v179
	s_waitcnt vmcnt(14) lgkmcnt(1)
	v_mul_f32_e32 v131, v122, v184
	v_fma_f32 v3, v116, v178, -v3
	v_fmac_f32_e32 v131, v123, v183
	v_add_f32_e32 v2, v2, v3
	v_mul_f32_e32 v3, v119, v182
	v_add_f32_e32 v130, v130, v131
	s_waitcnt vmcnt(13)
	v_mul_f32_e32 v131, v124, v185
	v_fma_f32 v3, v118, v181, -v3
	s_waitcnt vmcnt(10)
	v_fmac_f32_e32 v131, v125, v188
	v_add_f32_e32 v2, v2, v3
	v_mul_f32_e32 v3, v123, v184
	v_add_f32_e32 v130, v130, v131
	s_waitcnt lgkmcnt(0)
	v_mul_f32_e32 v131, v126, v187
	v_fma_f32 v3, v122, v183, -v3
	v_fmac_f32_e32 v131, v127, v186
	v_add_f32_e32 v2, v2, v3
	v_mul_f32_e32 v3, v125, v185
	v_add_f32_e32 v134, v130, v131
	ds_read_b128 v[130:133], v1 offset:960
	v_fma_f32 v3, v124, v188, -v3
	v_add_f32_e32 v2, v2, v3
	v_mul_f32_e32 v3, v127, v187
	s_waitcnt vmcnt(8)
	v_mul_f32_e32 v135, v128, v190
	v_fma_f32 v3, v126, v186, -v3
	v_fmac_f32_e32 v135, v129, v189
	v_add_f32_e32 v2, v2, v3
	v_mul_f32_e32 v3, v129, v190
	v_add_f32_e32 v199, v134, v135
	ds_read_b128 v[134:137], v1 offset:976
	v_fma_f32 v3, v128, v189, -v3
	v_add_f32_e32 v2, v2, v3
	s_waitcnt vmcnt(6) lgkmcnt(1)
	v_mul_f32_e32 v3, v131, v192
	v_mul_f32_e32 v1, v130, v192
	v_fma_f32 v3, v130, v191, -v3
	v_fmac_f32_e32 v1, v131, v191
	v_add_f32_e32 v2, v2, v3
	s_waitcnt vmcnt(5)
	v_mul_f32_e32 v3, v133, v193
	v_add_f32_e32 v1, v199, v1
	v_mul_f32_e32 v199, v132, v193
	s_waitcnt vmcnt(2)
	v_fma_f32 v3, v132, v196, -v3
	v_fmac_f32_e32 v199, v133, v196
	v_add_f32_e32 v2, v2, v3
	s_waitcnt lgkmcnt(0)
	v_mul_f32_e32 v3, v135, v195
	v_add_f32_e32 v1, v1, v199
	v_mul_f32_e32 v199, v134, v195
	v_fma_f32 v3, v134, v194, -v3
	v_fmac_f32_e32 v199, v135, v194
	v_add_f32_e32 v2, v2, v3
	s_waitcnt vmcnt(0)
	v_mul_f32_e32 v3, v137, v198
	v_add_f32_e32 v1, v1, v199
	v_mul_f32_e32 v199, v136, v198
	v_fma_f32 v3, v136, v197, -v3
	v_fmac_f32_e32 v199, v137, v197
	v_add_f32_e32 v2, v2, v3
	v_add_f32_e32 v1, v1, v199
	v_sub_f32_e32 v2, v9, v2
	v_sub_f32_e32 v1, v10, v1
	buffer_store_dword v2, off, s[0:3], 0 offset:104
	buffer_store_dword v1, off, s[0:3], 0 offset:108
	s_and_saveexec_b64 s[4:5], vcc
	s_cbranch_execz .LBB125_361
; %bb.360:
	buffer_load_dword v1, off, s[0:3], 0 offset:96
	buffer_load_dword v2, off, s[0:3], 0 offset:100
	v_mov_b32_e32 v3, 0
	buffer_store_dword v3, off, s[0:3], 0 offset:96
	buffer_store_dword v3, off, s[0:3], 0 offset:100
	s_waitcnt vmcnt(2)
	ds_write_b64 v25, v[1:2]
.LBB125_361:
	s_or_b64 exec, exec, s[4:5]
	s_waitcnt lgkmcnt(0)
	; wave barrier
	buffer_load_dword v8, off, s[0:3], 0 offset:108
	buffer_load_dword v7, off, s[0:3], 0 offset:116
	;; [unrolled: 1-line block ×40, first 2 shown]
	v_mov_b32_e32 v1, 0
	buffer_load_dword v143, off, s[0:3], 0 offset:256
	buffer_load_dword v144, off, s[0:3], 0 offset:260
	;; [unrolled: 1-line block ×10, first 2 shown]
	ds_read2_b64 v[15:18], v1 offset0:75 offset1:76
	ds_read2_b64 v[19:22], v1 offset0:77 offset1:78
	;; [unrolled: 1-line block ×7, first 2 shown]
	v_cmp_lt_u32_e32 vcc, 11, v0
	s_waitcnt vmcnt(49) lgkmcnt(6)
	v_mul_f32_e32 v23, v15, v8
	s_waitcnt vmcnt(48)
	v_mul_f32_e32 v24, v17, v7
	s_waitcnt vmcnt(47) lgkmcnt(5)
	v_mul_f32_e32 v46, v19, v6
	s_waitcnt vmcnt(46)
	v_mul_f32_e32 v47, v21, v5
	;; [unrolled: 4-line block ×5, first 2 shown]
	s_waitcnt vmcnt(39) lgkmcnt(1)
	v_mul_f32_e32 v54, v38, v14
	s_waitcnt vmcnt(38)
	v_fmac_f32_e32 v46, v20, v114
	s_waitcnt vmcnt(37)
	v_fmac_f32_e32 v24, v18, v115
	;; [unrolled: 2-line block ×3, first 2 shown]
	v_add_f32_e32 v23, 0, v23
	v_add_f32_e32 v23, v23, v24
	;; [unrolled: 1-line block ×3, first 2 shown]
	s_waitcnt vmcnt(32)
	v_fmac_f32_e32 v47, v22, v122
	v_fmac_f32_e32 v48, v27, v119
	v_add_f32_e32 v23, v23, v47
	v_fmac_f32_e32 v49, v29, v118
	v_add_f32_e32 v23, v23, v48
	;; [unrolled: 2-line block ×3, first 2 shown]
	s_waitcnt vmcnt(28)
	v_fmac_f32_e32 v51, v33, v126
	v_add_f32_e32 v23, v23, v50
	ds_read2_b64 v[46:49], v1 offset0:89 offset1:90
	buffer_load_dword v153, off, s[0:3], 0 offset:296
	buffer_load_dword v154, off, s[0:3], 0 offset:300
	v_fmac_f32_e32 v52, v35, v125
	v_add_f32_e32 v23, v23, v51
	v_fmac_f32_e32 v53, v37, v124
	v_add_f32_e32 v23, v23, v52
	v_add_f32_e32 v23, v23, v53
	ds_read2_b64 v[50:53], v1 offset0:91 offset1:92
	buffer_load_dword v155, off, s[0:3], 0 offset:308
	buffer_load_dword v156, off, s[0:3], 0 offset:312
	;; [unrolled: 1-line block ×4, first 2 shown]
	v_fmac_f32_e32 v54, v39, v123
	v_add_f32_e32 v23, v23, v54
	ds_read2_b64 v[54:57], v1 offset0:93 offset1:94
	buffer_load_dword v159, off, s[0:3], 0 offset:320
	buffer_load_dword v160, off, s[0:3], 0 offset:324
	;; [unrolled: 1-line block ×16, first 2 shown]
	ds_read2_b64 v[58:61], v1 offset0:95 offset1:96
	buffer_load_dword v175, off, s[0:3], 0 offset:384
	buffer_load_dword v176, off, s[0:3], 0 offset:388
	ds_read2_b64 v[62:65], v1 offset0:97 offset1:98
	buffer_load_dword v177, off, s[0:3], 0 offset:392
	buffer_load_dword v178, off, s[0:3], 0 offset:396
	;; [unrolled: 1-line block ×16, first 2 shown]
	v_mul_f32_e32 v8, v16, v8
	v_fma_f32 v8, v15, v116, -v8
	v_mul_f32_e32 v7, v18, v7
	v_add_f32_e32 v8, 0, v8
	v_fma_f32 v7, v17, v115, -v7
	v_mul_f32_e32 v6, v20, v6
	v_add_f32_e32 v7, v8, v7
	v_fma_f32 v6, v19, v114, -v6
	v_mul_f32_e32 v5, v22, v5
	ds_read2_b64 v[66:69], v1 offset0:99 offset1:100
	buffer_load_dword v193, off, s[0:3], 0 offset:456
	buffer_load_dword v194, off, s[0:3], 0 offset:460
	;; [unrolled: 1-line block ×6, first 2 shown]
	v_add_f32_e32 v6, v7, v6
	v_fma_f32 v5, v21, v122, -v5
	v_mul_f32_e32 v4, v27, v4
	v_add_f32_e32 v5, v6, v5
	v_fma_f32 v4, v26, v119, -v4
	v_mul_f32_e32 v3, v29, v3
	v_add_f32_e32 v4, v5, v4
	v_fma_f32 v3, v28, v118, -v3
	v_mul_f32_e32 v2, v31, v2
	v_add_f32_e32 v3, v4, v3
	v_fma_f32 v2, v30, v117, -v2
	v_add_f32_e32 v2, v3, v2
	v_mul_f32_e32 v3, v33, v11
	ds_read2_b64 v[70:73], v1 offset0:101 offset1:102
	buffer_load_dword v199, off, s[0:3], 0 offset:484
	buffer_load_dword v200, off, s[0:3], 0 offset:488
	;; [unrolled: 1-line block ×4, first 2 shown]
	v_fma_f32 v3, v32, v126, -v3
	v_add_f32_e32 v2, v2, v3
	v_mul_f32_e32 v3, v35, v12
	v_fma_f32 v3, v34, v125, -v3
	v_add_f32_e32 v2, v2, v3
	v_mul_f32_e32 v3, v37, v13
	;; [unrolled: 3-line block ×3, first 2 shown]
	s_waitcnt vmcnt(62)
	v_mul_f32_e32 v24, v40, v127
	v_fma_f32 v3, v38, v123, -v3
	v_fmac_f32_e32 v24, v41, v131
	v_add_f32_e32 v2, v2, v3
	v_mul_f32_e32 v3, v41, v127
	v_add_f32_e32 v23, v23, v24
	s_waitcnt lgkmcnt(7)
	v_mul_f32_e32 v24, v42, v132
	v_fma_f32 v3, v40, v131, -v3
	v_fmac_f32_e32 v24, v43, v130
	v_add_f32_e32 v2, v2, v3
	v_mul_f32_e32 v3, v43, v132
	v_add_f32_e32 v23, v23, v24
	v_mul_f32_e32 v24, v44, v133
	v_fma_f32 v3, v42, v130, -v3
	v_fmac_f32_e32 v24, v45, v129
	v_add_f32_e32 v2, v2, v3
	v_mul_f32_e32 v3, v45, v133
	v_add_f32_e32 v23, v23, v24
	s_waitcnt lgkmcnt(6)
	v_mul_f32_e32 v24, v46, v134
	v_fma_f32 v3, v44, v129, -v3
	v_fmac_f32_e32 v24, v47, v128
	v_add_f32_e32 v2, v2, v3
	v_mul_f32_e32 v3, v47, v134
	v_add_f32_e32 v23, v23, v24
	v_mul_f32_e32 v24, v48, v135
	v_fma_f32 v3, v46, v128, -v3
	v_fmac_f32_e32 v24, v49, v141
	v_add_f32_e32 v2, v2, v3
	v_mul_f32_e32 v3, v49, v135
	v_add_f32_e32 v23, v23, v24
	s_waitcnt lgkmcnt(5)
	v_mul_f32_e32 v24, v50, v142
	v_fma_f32 v3, v48, v141, -v3
	v_fmac_f32_e32 v24, v51, v140
	v_add_f32_e32 v2, v2, v3
	v_mul_f32_e32 v3, v51, v142
	v_add_f32_e32 v23, v23, v24
	v_mul_f32_e32 v24, v52, v137
	v_fma_f32 v3, v50, v140, -v3
	v_fmac_f32_e32 v24, v53, v136
	v_add_f32_e32 v2, v2, v3
	v_mul_f32_e32 v3, v53, v137
	v_add_f32_e32 v23, v23, v24
	s_waitcnt lgkmcnt(4)
	v_mul_f32_e32 v24, v54, v139
	v_fma_f32 v3, v52, v136, -v3
	v_fmac_f32_e32 v24, v55, v138
	v_add_f32_e32 v2, v2, v3
	v_mul_f32_e32 v3, v55, v139
	v_add_f32_e32 v23, v23, v24
	s_waitcnt vmcnt(58)
	v_mul_f32_e32 v24, v56, v144
	v_fma_f32 v3, v54, v138, -v3
	v_fmac_f32_e32 v24, v57, v143
	v_add_f32_e32 v2, v2, v3
	v_mul_f32_e32 v3, v57, v144
	v_add_f32_e32 v23, v23, v24
	s_waitcnt vmcnt(56) lgkmcnt(3)
	v_mul_f32_e32 v24, v58, v146
	v_fma_f32 v3, v56, v143, -v3
	v_fmac_f32_e32 v24, v59, v145
	v_add_f32_e32 v2, v2, v3
	v_mul_f32_e32 v3, v59, v146
	v_add_f32_e32 v23, v23, v24
	s_waitcnt vmcnt(54)
	v_mul_f32_e32 v24, v60, v148
	v_fma_f32 v3, v58, v145, -v3
	v_fmac_f32_e32 v24, v61, v147
	v_add_f32_e32 v2, v2, v3
	v_mul_f32_e32 v3, v61, v148
	v_add_f32_e32 v23, v23, v24
	s_waitcnt vmcnt(52) lgkmcnt(2)
	v_mul_f32_e32 v24, v62, v150
	v_fma_f32 v3, v60, v147, -v3
	v_fmac_f32_e32 v24, v63, v149
	v_add_f32_e32 v2, v2, v3
	v_mul_f32_e32 v3, v63, v150
	v_add_f32_e32 v23, v23, v24
	;; [unrolled: 14-line block ×3, first 2 shown]
	s_waitcnt vmcnt(47)
	v_mul_f32_e32 v24, v68, v155
	v_fma_f32 v3, v66, v153, -v3
	s_waitcnt vmcnt(44)
	v_fmac_f32_e32 v24, v69, v158
	ds_read2_b64 v[74:77], v1 offset0:103 offset1:104
	ds_read2_b64 v[78:81], v1 offset0:105 offset1:106
	v_add_f32_e32 v2, v2, v3
	v_mul_f32_e32 v3, v69, v155
	v_add_f32_e32 v23, v23, v24
	s_waitcnt lgkmcnt(2)
	v_mul_f32_e32 v24, v70, v157
	v_fma_f32 v3, v68, v158, -v3
	v_fmac_f32_e32 v24, v71, v156
	v_add_f32_e32 v2, v2, v3
	v_mul_f32_e32 v3, v71, v157
	v_add_f32_e32 v23, v23, v24
	s_waitcnt vmcnt(42)
	v_mul_f32_e32 v24, v72, v160
	v_fma_f32 v3, v70, v156, -v3
	v_fmac_f32_e32 v24, v73, v159
	v_add_f32_e32 v2, v2, v3
	v_mul_f32_e32 v3, v73, v160
	v_add_f32_e32 v23, v23, v24
	s_waitcnt vmcnt(40) lgkmcnt(1)
	v_mul_f32_e32 v24, v74, v162
	v_fma_f32 v3, v72, v159, -v3
	v_fmac_f32_e32 v24, v75, v161
	v_add_f32_e32 v2, v2, v3
	v_mul_f32_e32 v3, v75, v162
	v_add_f32_e32 v23, v23, v24
	s_waitcnt vmcnt(39)
	v_mul_f32_e32 v24, v76, v163
	v_fma_f32 v3, v74, v161, -v3
	s_waitcnt vmcnt(36)
	v_fmac_f32_e32 v24, v77, v166
	ds_read2_b64 v[82:85], v1 offset0:107 offset1:108
	ds_read2_b64 v[86:89], v1 offset0:109 offset1:110
	v_add_f32_e32 v2, v2, v3
	v_mul_f32_e32 v3, v77, v163
	v_add_f32_e32 v23, v23, v24
	s_waitcnt lgkmcnt(2)
	v_mul_f32_e32 v24, v78, v165
	v_fma_f32 v3, v76, v166, -v3
	v_fmac_f32_e32 v24, v79, v164
	v_add_f32_e32 v2, v2, v3
	v_mul_f32_e32 v3, v79, v165
	v_add_f32_e32 v23, v23, v24
	s_waitcnt vmcnt(34)
	v_mul_f32_e32 v24, v80, v168
	v_fma_f32 v3, v78, v164, -v3
	v_fmac_f32_e32 v24, v81, v167
	v_add_f32_e32 v2, v2, v3
	v_mul_f32_e32 v3, v81, v168
	v_add_f32_e32 v23, v23, v24
	s_waitcnt vmcnt(32) lgkmcnt(1)
	v_mul_f32_e32 v24, v82, v170
	v_fma_f32 v3, v80, v167, -v3
	v_fmac_f32_e32 v24, v83, v169
	v_add_f32_e32 v2, v2, v3
	v_mul_f32_e32 v3, v83, v170
	v_add_f32_e32 v23, v23, v24
	;; [unrolled: 31-line block ×5, first 2 shown]
	s_waitcnt vmcnt(7)
	v_mul_f32_e32 v24, v108, v195
	v_fma_f32 v3, v106, v193, -v3
	s_waitcnt vmcnt(4)
	v_fmac_f32_e32 v24, v109, v198
	v_add_f32_e32 v2, v2, v3
	v_mul_f32_e32 v3, v109, v195
	v_add_f32_e32 v203, v23, v24
	ds_read_b64 v[23:24], v1 offset:984
	v_fma_f32 v3, v108, v198, -v3
	v_add_f32_e32 v2, v2, v3
	s_waitcnt lgkmcnt(1)
	v_mul_f32_e32 v3, v111, v197
	v_mul_f32_e32 v204, v110, v197
	v_fma_f32 v3, v110, v196, -v3
	v_fmac_f32_e32 v204, v111, v196
	v_add_f32_e32 v2, v2, v3
	s_waitcnt vmcnt(3)
	v_mul_f32_e32 v3, v113, v199
	v_add_f32_e32 v203, v203, v204
	v_mul_f32_e32 v204, v112, v199
	s_waitcnt vmcnt(0)
	v_fma_f32 v3, v112, v202, -v3
	v_fmac_f32_e32 v204, v113, v202
	v_add_f32_e32 v2, v2, v3
	s_waitcnt lgkmcnt(0)
	v_mul_f32_e32 v3, v24, v201
	v_add_f32_e32 v203, v203, v204
	v_mul_f32_e32 v204, v23, v201
	v_fma_f32 v3, v23, v200, -v3
	v_fmac_f32_e32 v204, v24, v200
	v_add_f32_e32 v2, v2, v3
	v_add_f32_e32 v203, v203, v204
	v_sub_f32_e32 v2, v9, v2
	v_sub_f32_e32 v3, v10, v203
	buffer_store_dword v2, off, s[0:3], 0 offset:96
	buffer_store_dword v3, off, s[0:3], 0 offset:100
	s_and_saveexec_b64 s[4:5], vcc
	s_cbranch_execz .LBB125_363
; %bb.362:
	buffer_load_dword v2, off, s[0:3], 0 offset:88
	buffer_load_dword v3, off, s[0:3], 0 offset:92
	s_waitcnt vmcnt(0)
	ds_write_b64 v25, v[2:3]
	buffer_store_dword v1, off, s[0:3], 0 offset:88
	buffer_store_dword v1, off, s[0:3], 0 offset:92
.LBB125_363:
	s_or_b64 exec, exec, s[4:5]
	s_waitcnt lgkmcnt(0)
	; wave barrier
	buffer_load_dword v8, off, s[0:3], 0 offset:100
	buffer_load_dword v7, off, s[0:3], 0 offset:108
	buffer_load_dword v6, off, s[0:3], 0 offset:116
	buffer_load_dword v5, off, s[0:3], 0 offset:124
	buffer_load_dword v4, off, s[0:3], 0 offset:132
	buffer_load_dword v3, off, s[0:3], 0 offset:140
	buffer_load_dword v2, off, s[0:3], 0 offset:148
	buffer_load_dword v11, off, s[0:3], 0 offset:156
	buffer_load_dword v12, off, s[0:3], 0 offset:164
	buffer_load_dword v13, off, s[0:3], 0 offset:172
	buffer_load_dword v14, off, s[0:3], 0 offset:180
	buffer_load_dword v15, off, s[0:3], 0 offset:188
	buffer_load_dword v24, off, s[0:3], 0 offset:112
	buffer_load_dword v118, off, s[0:3], 0 offset:104
	buffer_load_dword v119, off, s[0:3], 0 offset:96
	buffer_load_dword v122, off, s[0:3], 0 offset:144
	buffer_load_dword v123, off, s[0:3], 0 offset:136
	buffer_load_dword v124, off, s[0:3], 0 offset:128
	buffer_load_dword v125, off, s[0:3], 0 offset:120
	buffer_load_dword v126, off, s[0:3], 0 offset:176
	buffer_load_dword v127, off, s[0:3], 0 offset:168
	buffer_load_dword v128, off, s[0:3], 0 offset:160
	buffer_load_dword v129, off, s[0:3], 0 offset:152
	buffer_load_dword v130, off, s[0:3], 0 offset:208
	buffer_load_dword v131, off, s[0:3], 0 offset:200
	buffer_load_dword v132, off, s[0:3], 0 offset:192
	buffer_load_dword v133, off, s[0:3], 0 offset:184
	buffer_load_dword v134, off, s[0:3], 0 offset:196
	buffer_load_dword v135, off, s[0:3], 0 offset:204
	buffer_load_dword v136, off, s[0:3], 0 offset:212
	buffer_load_dword v137, off, s[0:3], 0 offset:220
	buffer_load_dword v138, off, s[0:3], 0 offset:232
	buffer_load_dword v139, off, s[0:3], 0 offset:236
	buffer_load_dword v140, off, s[0:3], 0 offset:240
	buffer_load_dword v141, off, s[0:3], 0 offset:244
	buffer_load_dword v142, off, s[0:3], 0 offset:224
	buffer_load_dword v143, off, s[0:3], 0 offset:216
	buffer_load_dword v144, off, s[0:3], 0 offset:228
	buffer_load_dword v9, off, s[0:3], 0 offset:88
	buffer_load_dword v10, off, s[0:3], 0 offset:92
	ds_read_b128 v[16:19], v1 offset:592
	ds_read_b128 v[20:23], v1 offset:608
	ds_read_b128 v[26:29], v1 offset:624
	ds_read_b128 v[30:33], v1 offset:640
	ds_read_b128 v[34:37], v1 offset:656
	ds_read_b128 v[38:41], v1 offset:672
	ds_read_b128 v[42:45], v1 offset:688
	buffer_load_dword v145, off, s[0:3], 0 offset:248
	buffer_load_dword v146, off, s[0:3], 0 offset:252
	;; [unrolled: 1-line block ×11, first 2 shown]
	v_cmp_lt_u32_e32 vcc, 10, v0
	s_waitcnt vmcnt(50) lgkmcnt(6)
	v_mul_f32_e32 v46, v16, v8
	s_waitcnt vmcnt(49)
	v_mul_f32_e32 v47, v18, v7
	s_waitcnt vmcnt(48) lgkmcnt(5)
	v_mul_f32_e32 v48, v20, v6
	s_waitcnt vmcnt(47)
	v_mul_f32_e32 v49, v22, v5
	;; [unrolled: 4-line block ×6, first 2 shown]
	s_waitcnt vmcnt(38)
	v_fmac_f32_e32 v48, v21, v24
	s_waitcnt vmcnt(37)
	v_fmac_f32_e32 v47, v19, v118
	;; [unrolled: 2-line block ×3, first 2 shown]
	v_add_f32_e32 v46, 0, v46
	v_add_f32_e32 v46, v46, v47
	;; [unrolled: 1-line block ×3, first 2 shown]
	s_waitcnt vmcnt(32)
	v_fmac_f32_e32 v49, v23, v125
	v_fmac_f32_e32 v50, v27, v124
	v_add_f32_e32 v46, v46, v49
	v_fmac_f32_e32 v51, v29, v123
	v_add_f32_e32 v46, v46, v50
	v_fmac_f32_e32 v52, v31, v122
	v_add_f32_e32 v46, v46, v51
	s_waitcnt vmcnt(28)
	v_fmac_f32_e32 v53, v33, v129
	v_add_f32_e32 v46, v46, v52
	v_fmac_f32_e32 v54, v35, v128
	v_add_f32_e32 v46, v46, v53
	;; [unrolled: 2-line block ×4, first 2 shown]
	v_add_f32_e32 v46, v46, v56
	s_waitcnt vmcnt(24)
	v_fmac_f32_e32 v57, v41, v133
	v_add_f32_e32 v50, v46, v57
	ds_read_b128 v[46:49], v1 offset:704
	s_waitcnt vmcnt(23) lgkmcnt(1)
	v_mul_f32_e32 v51, v42, v134
	v_fmac_f32_e32 v51, v43, v132
	v_add_f32_e32 v50, v50, v51
	s_waitcnt vmcnt(22)
	v_mul_f32_e32 v51, v44, v135
	v_fmac_f32_e32 v51, v45, v131
	v_add_f32_e32 v50, v50, v51
	s_waitcnt vmcnt(21) lgkmcnt(0)
	v_mul_f32_e32 v51, v46, v136
	buffer_load_dword v156, off, s[0:3], 0 offset:288
	buffer_load_dword v157, off, s[0:3], 0 offset:296
	;; [unrolled: 1-line block ×3, first 2 shown]
	v_fmac_f32_e32 v51, v47, v130
	v_add_f32_e32 v54, v50, v51
	ds_read_b128 v[50:53], v1 offset:720
	buffer_load_dword v159, off, s[0:3], 0 offset:304
	buffer_load_dword v160, off, s[0:3], 0 offset:308
	s_waitcnt vmcnt(25)
	v_mul_f32_e32 v55, v48, v137
	s_waitcnt vmcnt(19)
	v_fmac_f32_e32 v55, v49, v143
	v_add_f32_e32 v58, v54, v55
	ds_read_b128 v[54:57], v1 offset:736
	buffer_load_dword v161, off, s[0:3], 0 offset:312
	buffer_load_dword v162, off, s[0:3], 0 offset:316
	;; [unrolled: 1-line block ×8, first 2 shown]
	s_waitcnt vmcnt(26) lgkmcnt(1)
	v_mul_f32_e32 v59, v50, v144
	buffer_load_dword v169, off, s[0:3], 0 offset:344
	buffer_load_dword v170, off, s[0:3], 0 offset:348
	v_fmac_f32_e32 v59, v51, v142
	v_add_f32_e32 v58, v58, v59
	v_mul_f32_e32 v59, v52, v139
	v_fmac_f32_e32 v59, v53, v138
	v_add_f32_e32 v58, v58, v59
	s_waitcnt lgkmcnt(0)
	v_mul_f32_e32 v59, v54, v141
	v_fmac_f32_e32 v59, v55, v140
	v_add_f32_e32 v62, v58, v59
	ds_read_b128 v[58:61], v1 offset:752
	buffer_load_dword v171, off, s[0:3], 0 offset:352
	buffer_load_dword v172, off, s[0:3], 0 offset:356
	;; [unrolled: 1-line block ×6, first 2 shown]
	s_waitcnt vmcnt(30)
	v_mul_f32_e32 v63, v56, v146
	v_fmac_f32_e32 v63, v57, v145
	v_add_f32_e32 v66, v62, v63
	ds_read_b128 v[62:65], v1 offset:768
	buffer_load_dword v177, off, s[0:3], 0 offset:376
	buffer_load_dword v178, off, s[0:3], 0 offset:380
	;; [unrolled: 1-line block ×10, first 2 shown]
	s_waitcnt vmcnt(38) lgkmcnt(1)
	v_mul_f32_e32 v67, v58, v148
	buffer_load_dword v187, off, s[0:3], 0 offset:416
	buffer_load_dword v188, off, s[0:3], 0 offset:420
	;; [unrolled: 1-line block ×6, first 2 shown]
	v_fmac_f32_e32 v67, v59, v147
	v_add_f32_e32 v66, v66, v67
	s_waitcnt vmcnt(42)
	v_mul_f32_e32 v67, v60, v150
	v_fmac_f32_e32 v67, v61, v149
	v_add_f32_e32 v66, v66, v67
	s_waitcnt vmcnt(40) lgkmcnt(0)
	v_mul_f32_e32 v67, v62, v152
	v_fmac_f32_e32 v67, v63, v151
	v_add_f32_e32 v70, v66, v67
	ds_read_b128 v[66:69], v1 offset:784
	buffer_load_dword v193, off, s[0:3], 0 offset:440
	buffer_load_dword v194, off, s[0:3], 0 offset:444
	v_mul_f32_e32 v8, v17, v8
	v_fma_f32 v8, v16, v119, -v8
	v_mul_f32_e32 v7, v19, v7
	s_waitcnt vmcnt(40)
	v_mul_f32_e32 v71, v64, v154
	v_add_f32_e32 v8, 0, v8
	v_fma_f32 v7, v18, v118, -v7
	v_mul_f32_e32 v6, v21, v6
	v_fmac_f32_e32 v71, v65, v153
	v_add_f32_e32 v7, v8, v7
	v_fma_f32 v6, v20, v24, -v6
	v_mul_f32_e32 v5, v23, v5
	v_add_f32_e32 v74, v70, v71
	ds_read_b128 v[70:73], v1 offset:800
	buffer_load_dword v195, off, s[0:3], 0 offset:448
	buffer_load_dword v196, off, s[0:3], 0 offset:452
	;; [unrolled: 1-line block ×6, first 2 shown]
	v_add_f32_e32 v6, v7, v6
	v_fma_f32 v5, v22, v125, -v5
	v_mul_f32_e32 v4, v27, v4
	v_add_f32_e32 v5, v6, v5
	v_fma_f32 v4, v26, v124, -v4
	v_mul_f32_e32 v3, v29, v3
	;; [unrolled: 3-line block ×3, first 2 shown]
	v_add_f32_e32 v3, v4, v3
	v_fma_f32 v2, v30, v122, -v2
	v_add_f32_e32 v2, v3, v2
	v_mul_f32_e32 v3, v33, v11
	v_fma_f32 v3, v32, v129, -v3
	v_add_f32_e32 v2, v2, v3
	v_mul_f32_e32 v3, v35, v12
	buffer_load_dword v201, off, s[0:3], 0 offset:472
	buffer_load_dword v202, off, s[0:3], 0 offset:476
	buffer_load_dword v203, off, s[0:3], 0 offset:484
	buffer_load_dword v204, off, s[0:3], 0 offset:488
	buffer_load_dword v205, off, s[0:3], 0 offset:492
	buffer_load_dword v206, off, s[0:3], 0 offset:480
	v_fma_f32 v3, v34, v128, -v3
	v_add_f32_e32 v2, v2, v3
	v_mul_f32_e32 v3, v37, v13
	v_fma_f32 v3, v36, v127, -v3
	v_add_f32_e32 v2, v2, v3
	v_mul_f32_e32 v3, v39, v14
	;; [unrolled: 3-line block ×7, first 2 shown]
	v_fma_f32 v3, v48, v143, -v3
	s_waitcnt vmcnt(51) lgkmcnt(1)
	v_mul_f32_e32 v75, v66, v155
	v_add_f32_e32 v2, v2, v3
	v_mul_f32_e32 v3, v51, v144
	s_waitcnt vmcnt(50)
	v_fmac_f32_e32 v75, v67, v156
	v_fma_f32 v3, v50, v142, -v3
	v_add_f32_e32 v74, v74, v75
	s_waitcnt vmcnt(48)
	v_mul_f32_e32 v75, v68, v158
	v_add_f32_e32 v2, v2, v3
	v_mul_f32_e32 v3, v53, v139
	v_fmac_f32_e32 v75, v69, v157
	v_fma_f32 v3, v52, v138, -v3
	v_add_f32_e32 v74, v74, v75
	s_waitcnt vmcnt(46) lgkmcnt(0)
	v_mul_f32_e32 v75, v70, v160
	v_add_f32_e32 v2, v2, v3
	v_mul_f32_e32 v3, v55, v141
	v_fmac_f32_e32 v75, v71, v159
	v_fma_f32 v3, v54, v140, -v3
	v_add_f32_e32 v78, v74, v75
	ds_read_b128 v[74:77], v1 offset:816
	v_add_f32_e32 v2, v2, v3
	v_mul_f32_e32 v3, v57, v146
	v_fma_f32 v3, v56, v145, -v3
	s_waitcnt vmcnt(44)
	v_mul_f32_e32 v79, v72, v162
	v_add_f32_e32 v2, v2, v3
	v_mul_f32_e32 v3, v59, v148
	v_fmac_f32_e32 v79, v73, v161
	v_fma_f32 v3, v58, v147, -v3
	v_add_f32_e32 v82, v78, v79
	ds_read_b128 v[78:81], v1 offset:832
	v_add_f32_e32 v2, v2, v3
	v_mul_f32_e32 v3, v61, v150
	s_waitcnt vmcnt(42) lgkmcnt(1)
	v_mul_f32_e32 v83, v74, v164
	v_fma_f32 v3, v60, v149, -v3
	v_fmac_f32_e32 v83, v75, v163
	v_add_f32_e32 v2, v2, v3
	v_mul_f32_e32 v3, v63, v152
	v_add_f32_e32 v82, v82, v83
	s_waitcnt vmcnt(41)
	v_mul_f32_e32 v83, v76, v165
	v_fma_f32 v3, v62, v151, -v3
	s_waitcnt vmcnt(38)
	v_fmac_f32_e32 v83, v77, v168
	v_add_f32_e32 v2, v2, v3
	v_mul_f32_e32 v3, v65, v154
	v_add_f32_e32 v82, v82, v83
	s_waitcnt lgkmcnt(0)
	v_mul_f32_e32 v83, v78, v167
	v_fma_f32 v3, v64, v153, -v3
	v_fmac_f32_e32 v83, v79, v166
	v_add_f32_e32 v2, v2, v3
	v_mul_f32_e32 v3, v67, v155
	v_add_f32_e32 v86, v82, v83
	ds_read_b128 v[82:85], v1 offset:848
	v_fma_f32 v3, v66, v156, -v3
	v_add_f32_e32 v2, v2, v3
	v_mul_f32_e32 v3, v69, v158
	s_waitcnt vmcnt(36)
	v_mul_f32_e32 v87, v80, v170
	v_fma_f32 v3, v68, v157, -v3
	v_fmac_f32_e32 v87, v81, v169
	v_add_f32_e32 v2, v2, v3
	v_mul_f32_e32 v3, v71, v160
	v_add_f32_e32 v90, v86, v87
	ds_read_b128 v[86:89], v1 offset:864
	v_fma_f32 v3, v70, v159, -v3
	s_waitcnt vmcnt(34) lgkmcnt(1)
	v_mul_f32_e32 v91, v82, v172
	v_add_f32_e32 v2, v2, v3
	v_mul_f32_e32 v3, v73, v162
	v_fmac_f32_e32 v91, v83, v171
	v_fma_f32 v3, v72, v161, -v3
	v_add_f32_e32 v90, v90, v91
	s_waitcnt vmcnt(33)
	v_mul_f32_e32 v91, v84, v173
	v_add_f32_e32 v2, v2, v3
	v_mul_f32_e32 v3, v75, v164
	s_waitcnt vmcnt(30)
	v_fmac_f32_e32 v91, v85, v176
	v_fma_f32 v3, v74, v163, -v3
	v_add_f32_e32 v90, v90, v91
	s_waitcnt lgkmcnt(0)
	v_mul_f32_e32 v91, v86, v175
	v_add_f32_e32 v2, v2, v3
	v_mul_f32_e32 v3, v77, v165
	v_fmac_f32_e32 v91, v87, v174
	v_fma_f32 v3, v76, v168, -v3
	v_add_f32_e32 v94, v90, v91
	ds_read_b128 v[90:93], v1 offset:880
	v_add_f32_e32 v2, v2, v3
	v_mul_f32_e32 v3, v79, v167
	v_fma_f32 v3, v78, v166, -v3
	s_waitcnt vmcnt(28)
	v_mul_f32_e32 v95, v88, v178
	v_add_f32_e32 v2, v2, v3
	v_mul_f32_e32 v3, v81, v170
	v_fmac_f32_e32 v95, v89, v177
	v_fma_f32 v3, v80, v169, -v3
	v_add_f32_e32 v98, v94, v95
	ds_read_b128 v[94:97], v1 offset:896
	v_add_f32_e32 v2, v2, v3
	v_mul_f32_e32 v3, v83, v172
	s_waitcnt vmcnt(26) lgkmcnt(1)
	v_mul_f32_e32 v99, v90, v180
	v_fma_f32 v3, v82, v171, -v3
	v_fmac_f32_e32 v99, v91, v179
	v_add_f32_e32 v2, v2, v3
	v_mul_f32_e32 v3, v85, v173
	v_add_f32_e32 v98, v98, v99
	s_waitcnt vmcnt(25)
	v_mul_f32_e32 v99, v92, v181
	v_fma_f32 v3, v84, v176, -v3
	s_waitcnt vmcnt(22)
	v_fmac_f32_e32 v99, v93, v184
	v_add_f32_e32 v2, v2, v3
	v_mul_f32_e32 v3, v87, v175
	v_add_f32_e32 v98, v98, v99
	s_waitcnt lgkmcnt(0)
	v_mul_f32_e32 v99, v94, v183
	v_fma_f32 v3, v86, v174, -v3
	v_fmac_f32_e32 v99, v95, v182
	v_add_f32_e32 v2, v2, v3
	v_mul_f32_e32 v3, v89, v178
	v_add_f32_e32 v102, v98, v99
	ds_read_b128 v[98:101], v1 offset:912
	v_fma_f32 v3, v88, v177, -v3
	v_add_f32_e32 v2, v2, v3
	v_mul_f32_e32 v3, v91, v180
	s_waitcnt vmcnt(20)
	v_mul_f32_e32 v103, v96, v186
	v_fma_f32 v3, v90, v179, -v3
	v_fmac_f32_e32 v103, v97, v185
	v_add_f32_e32 v2, v2, v3
	v_mul_f32_e32 v3, v93, v181
	v_add_f32_e32 v106, v102, v103
	ds_read_b128 v[102:105], v1 offset:928
	v_fma_f32 v3, v92, v184, -v3
	s_waitcnt vmcnt(18) lgkmcnt(1)
	v_mul_f32_e32 v107, v98, v188
	v_add_f32_e32 v2, v2, v3
	v_mul_f32_e32 v3, v95, v183
	v_fmac_f32_e32 v107, v99, v187
	v_fma_f32 v3, v94, v182, -v3
	v_add_f32_e32 v106, v106, v107
	s_waitcnt vmcnt(17)
	v_mul_f32_e32 v107, v100, v189
	v_add_f32_e32 v2, v2, v3
	v_mul_f32_e32 v3, v97, v186
	s_waitcnt vmcnt(14)
	v_fmac_f32_e32 v107, v101, v192
	v_fma_f32 v3, v96, v185, -v3
	v_add_f32_e32 v106, v106, v107
	s_waitcnt lgkmcnt(0)
	v_mul_f32_e32 v107, v102, v191
	v_add_f32_e32 v2, v2, v3
	v_mul_f32_e32 v3, v99, v188
	v_fmac_f32_e32 v107, v103, v190
	v_fma_f32 v3, v98, v187, -v3
	v_add_f32_e32 v110, v106, v107
	ds_read_b128 v[106:109], v1 offset:944
	v_add_f32_e32 v2, v2, v3
	v_mul_f32_e32 v3, v101, v189
	v_fma_f32 v3, v100, v192, -v3
	v_add_f32_e32 v2, v2, v3
	v_mul_f32_e32 v3, v103, v191
	s_waitcnt vmcnt(12)
	v_mul_f32_e32 v111, v104, v194
	v_fma_f32 v3, v102, v190, -v3
	v_fmac_f32_e32 v111, v105, v193
	v_add_f32_e32 v2, v2, v3
	v_mul_f32_e32 v3, v105, v194
	v_add_f32_e32 v114, v110, v111
	ds_read_b128 v[110:113], v1 offset:960
	s_waitcnt vmcnt(10) lgkmcnt(1)
	v_mul_f32_e32 v115, v106, v196
	v_fma_f32 v3, v104, v193, -v3
	v_fmac_f32_e32 v115, v107, v195
	v_add_f32_e32 v2, v2, v3
	v_mul_f32_e32 v3, v107, v196
	v_add_f32_e32 v114, v114, v115
	s_waitcnt vmcnt(9)
	v_mul_f32_e32 v115, v108, v197
	v_fma_f32 v3, v106, v195, -v3
	s_waitcnt vmcnt(6)
	v_fmac_f32_e32 v115, v109, v200
	v_add_f32_e32 v2, v2, v3
	v_mul_f32_e32 v3, v109, v197
	v_add_f32_e32 v207, v114, v115
	ds_read_b128 v[114:117], v1 offset:976
	v_fma_f32 v3, v108, v200, -v3
	v_add_f32_e32 v2, v2, v3
	s_waitcnt lgkmcnt(1)
	v_mul_f32_e32 v3, v111, v199
	v_mul_f32_e32 v208, v110, v199
	v_fma_f32 v3, v110, v198, -v3
	v_fmac_f32_e32 v208, v111, v198
	v_add_f32_e32 v2, v2, v3
	s_waitcnt vmcnt(4)
	v_mul_f32_e32 v3, v113, v202
	v_add_f32_e32 v1, v207, v208
	v_mul_f32_e32 v207, v112, v202
	v_fma_f32 v3, v112, v201, -v3
	v_fmac_f32_e32 v207, v113, v201
	v_add_f32_e32 v2, v2, v3
	s_waitcnt vmcnt(3) lgkmcnt(0)
	v_mul_f32_e32 v3, v115, v203
	v_add_f32_e32 v1, v1, v207
	v_mul_f32_e32 v207, v114, v203
	s_waitcnt vmcnt(0)
	v_fma_f32 v3, v114, v206, -v3
	v_fmac_f32_e32 v207, v115, v206
	v_add_f32_e32 v2, v2, v3
	v_mul_f32_e32 v3, v117, v205
	v_add_f32_e32 v1, v1, v207
	v_mul_f32_e32 v207, v116, v205
	v_fma_f32 v3, v116, v204, -v3
	v_fmac_f32_e32 v207, v117, v204
	v_add_f32_e32 v2, v2, v3
	v_add_f32_e32 v1, v1, v207
	v_sub_f32_e32 v2, v9, v2
	v_sub_f32_e32 v1, v10, v1
	buffer_store_dword v2, off, s[0:3], 0 offset:88
	buffer_store_dword v1, off, s[0:3], 0 offset:92
	s_and_saveexec_b64 s[4:5], vcc
	s_cbranch_execz .LBB125_365
; %bb.364:
	buffer_load_dword v1, off, s[0:3], 0 offset:80
	buffer_load_dword v2, off, s[0:3], 0 offset:84
	v_mov_b32_e32 v3, 0
	buffer_store_dword v3, off, s[0:3], 0 offset:80
	buffer_store_dword v3, off, s[0:3], 0 offset:84
	s_waitcnt vmcnt(2)
	ds_write_b64 v25, v[1:2]
.LBB125_365:
	s_or_b64 exec, exec, s[4:5]
	s_waitcnt lgkmcnt(0)
	; wave barrier
	buffer_load_dword v10, off, s[0:3], 0 offset:92
	buffer_load_dword v9, off, s[0:3], 0 offset:100
	;; [unrolled: 1-line block ×50, first 2 shown]
	v_mov_b32_e32 v1, 0
	ds_read2_b64 v[17:20], v1 offset0:73 offset1:74
	ds_read2_b64 v[21:24], v1 offset0:75 offset1:76
	;; [unrolled: 1-line block ×6, first 2 shown]
	v_cmp_lt_u32_e32 vcc, 9, v0
	s_waitcnt vmcnt(49) lgkmcnt(5)
	v_mul_f32_e32 v42, v17, v10
	s_waitcnt vmcnt(48)
	v_mul_f32_e32 v43, v19, v9
	s_waitcnt vmcnt(47) lgkmcnt(4)
	v_mul_f32_e32 v44, v21, v6
	s_waitcnt vmcnt(46)
	v_mul_f32_e32 v45, v23, v5
	;; [unrolled: 4-line block ×6, first 2 shown]
	s_waitcnt vmcnt(37)
	v_fmac_f32_e32 v44, v22, v122
	s_waitcnt vmcnt(36)
	v_fmac_f32_e32 v43, v20, v123
	;; [unrolled: 2-line block ×3, first 2 shown]
	v_add_f32_e32 v42, 0, v42
	v_add_f32_e32 v42, v42, v43
	;; [unrolled: 1-line block ×3, first 2 shown]
	s_waitcnt vmcnt(31)
	v_fmac_f32_e32 v45, v24, v128
	v_fmac_f32_e32 v46, v27, v127
	v_add_f32_e32 v42, v42, v45
	v_fmac_f32_e32 v47, v29, v126
	v_add_f32_e32 v42, v42, v46
	;; [unrolled: 2-line block ×3, first 2 shown]
	s_waitcnt vmcnt(27)
	v_fmac_f32_e32 v49, v33, v131
	v_add_f32_e32 v42, v42, v48
	v_fmac_f32_e32 v50, v35, v130
	v_add_f32_e32 v42, v42, v49
	;; [unrolled: 2-line block ×4, first 2 shown]
	v_add_f32_e32 v46, v42, v52
	ds_read2_b64 v[42:45], v1 offset0:85 offset1:86
	s_waitcnt vmcnt(23)
	v_fmac_f32_e32 v53, v41, v135
	v_add_f32_e32 v50, v46, v53
	buffer_load_dword v157, off, s[0:3], 0 offset:280
	buffer_load_dword v158, off, s[0:3], 0 offset:284
	ds_read2_b64 v[46:49], v1 offset0:87 offset1:88
	s_waitcnt vmcnt(24) lgkmcnt(1)
	v_mul_f32_e32 v51, v42, v136
	v_fmac_f32_e32 v51, v43, v134
	v_add_f32_e32 v50, v50, v51
	s_waitcnt vmcnt(23)
	v_mul_f32_e32 v51, v44, v137
	v_fmac_f32_e32 v51, v45, v133
	buffer_load_dword v159, off, s[0:3], 0 offset:292
	buffer_load_dword v160, off, s[0:3], 0 offset:288
	;; [unrolled: 1-line block ×4, first 2 shown]
	v_add_f32_e32 v50, v50, v51
	s_waitcnt vmcnt(26) lgkmcnt(0)
	v_mul_f32_e32 v51, v46, v138
	v_fmac_f32_e32 v51, v47, v132
	s_waitcnt vmcnt(25)
	v_mul_f32_e32 v55, v48, v139
	v_add_f32_e32 v54, v50, v51
	s_waitcnt vmcnt(18)
	v_fmac_f32_e32 v55, v49, v146
	ds_read2_b64 v[50:53], v1 offset0:89 offset1:90
	v_add_f32_e32 v58, v54, v55
	ds_read2_b64 v[54:57], v1 offset0:91 offset1:92
	buffer_load_dword v163, off, s[0:3], 0 offset:304
	buffer_load_dword v164, off, s[0:3], 0 offset:308
	buffer_load_dword v165, off, s[0:3], 0 offset:312
	buffer_load_dword v166, off, s[0:3], 0 offset:316
	buffer_load_dword v167, off, s[0:3], 0 offset:324
	buffer_load_dword v168, off, s[0:3], 0 offset:328
	buffer_load_dword v169, off, s[0:3], 0 offset:332
	buffer_load_dword v170, off, s[0:3], 0 offset:320
	s_waitcnt lgkmcnt(1)
	v_mul_f32_e32 v59, v50, v141
	buffer_load_dword v171, off, s[0:3], 0 offset:336
	buffer_load_dword v172, off, s[0:3], 0 offset:340
	v_fmac_f32_e32 v59, v51, v140
	v_add_f32_e32 v58, v58, v59
	v_mul_f32_e32 v59, v52, v143
	v_fmac_f32_e32 v59, v53, v142
	v_add_f32_e32 v58, v58, v59
	s_waitcnt lgkmcnt(0)
	v_mul_f32_e32 v59, v54, v145
	v_fmac_f32_e32 v59, v55, v144
	v_add_f32_e32 v62, v58, v59
	ds_read2_b64 v[58:61], v1 offset0:93 offset1:94
	buffer_load_dword v173, off, s[0:3], 0 offset:344
	buffer_load_dword v174, off, s[0:3], 0 offset:348
	;; [unrolled: 1-line block ×6, first 2 shown]
	s_waitcnt vmcnt(30)
	v_mul_f32_e32 v63, v56, v148
	v_fmac_f32_e32 v63, v57, v147
	v_add_f32_e32 v66, v62, v63
	ds_read2_b64 v[62:65], v1 offset0:95 offset1:96
	buffer_load_dword v179, off, s[0:3], 0 offset:368
	buffer_load_dword v180, off, s[0:3], 0 offset:372
	buffer_load_dword v181, off, s[0:3], 0 offset:376
	buffer_load_dword v182, off, s[0:3], 0 offset:380
	buffer_load_dword v183, off, s[0:3], 0 offset:388
	buffer_load_dword v184, off, s[0:3], 0 offset:392
	buffer_load_dword v185, off, s[0:3], 0 offset:396
	buffer_load_dword v186, off, s[0:3], 0 offset:384
	s_waitcnt vmcnt(36) lgkmcnt(1)
	v_mul_f32_e32 v67, v58, v150
	buffer_load_dword v187, off, s[0:3], 0 offset:400
	buffer_load_dword v188, off, s[0:3], 0 offset:404
	v_fmac_f32_e32 v67, v59, v149
	v_add_f32_e32 v66, v66, v67
	s_waitcnt vmcnt(36)
	v_mul_f32_e32 v67, v60, v152
	v_fmac_f32_e32 v67, v61, v151
	v_add_f32_e32 v66, v66, v67
	s_waitcnt vmcnt(34) lgkmcnt(0)
	v_mul_f32_e32 v67, v62, v154
	v_fmac_f32_e32 v67, v63, v153
	v_add_f32_e32 v70, v66, v67
	ds_read2_b64 v[66:69], v1 offset0:97 offset1:98
	buffer_load_dword v189, off, s[0:3], 0 offset:408
	buffer_load_dword v190, off, s[0:3], 0 offset:412
	;; [unrolled: 1-line block ×6, first 2 shown]
	s_waitcnt vmcnt(38)
	v_mul_f32_e32 v71, v64, v156
	v_fmac_f32_e32 v71, v65, v155
	v_add_f32_e32 v74, v70, v71
	ds_read2_b64 v[70:73], v1 offset0:99 offset1:100
	buffer_load_dword v195, off, s[0:3], 0 offset:432
	buffer_load_dword v196, off, s[0:3], 0 offset:436
	v_mul_f32_e32 v10, v18, v10
	v_fma_f32 v10, v17, v124, -v10
	v_mul_f32_e32 v9, v20, v9
	buffer_load_dword v197, off, s[0:3], 0 offset:440
	buffer_load_dword v198, off, s[0:3], 0 offset:444
	buffer_load_dword v199, off, s[0:3], 0 offset:452
	buffer_load_dword v200, off, s[0:3], 0 offset:456
	buffer_load_dword v201, off, s[0:3], 0 offset:460
	buffer_load_dword v202, off, s[0:3], 0 offset:448
	v_add_f32_e32 v10, 0, v10
	v_fma_f32 v9, v19, v123, -v9
	v_mul_f32_e32 v6, v22, v6
	v_add_f32_e32 v9, v10, v9
	v_fma_f32 v6, v21, v122, -v6
	v_mul_f32_e32 v5, v24, v5
	;; [unrolled: 3-line block ×5, first 2 shown]
	buffer_load_dword v203, off, s[0:3], 0 offset:464
	buffer_load_dword v204, off, s[0:3], 0 offset:468
	v_add_f32_e32 v3, v4, v3
	v_fma_f32 v2, v30, v125, -v2
	v_add_f32_e32 v2, v3, v2
	v_mul_f32_e32 v3, v33, v11
	v_fma_f32 v3, v32, v131, -v3
	v_add_f32_e32 v2, v2, v3
	v_mul_f32_e32 v3, v35, v12
	;; [unrolled: 3-line block ×3, first 2 shown]
	buffer_load_dword v205, off, s[0:3], 0 offset:472
	buffer_load_dword v206, off, s[0:3], 0 offset:476
	;; [unrolled: 1-line block ×6, first 2 shown]
	v_fma_f32 v3, v36, v129, -v3
	v_add_f32_e32 v2, v2, v3
	v_mul_f32_e32 v3, v39, v14
	v_fma_f32 v3, v38, v16, -v3
	v_add_f32_e32 v2, v2, v3
	v_mul_f32_e32 v3, v41, v15
	v_fma_f32 v3, v40, v135, -v3
	v_add_f32_e32 v2, v2, v3
	v_mul_f32_e32 v3, v43, v136
	v_fma_f32 v3, v42, v134, -v3
	v_add_f32_e32 v2, v2, v3
	v_mul_f32_e32 v3, v45, v137
	v_fma_f32 v3, v44, v133, -v3
	v_add_f32_e32 v2, v2, v3
	v_mul_f32_e32 v3, v47, v138
	v_fma_f32 v3, v46, v132, -v3
	s_waitcnt vmcnt(52) lgkmcnt(1)
	v_mul_f32_e32 v75, v66, v158
	v_add_f32_e32 v2, v2, v3
	v_mul_f32_e32 v3, v49, v139
	v_fmac_f32_e32 v75, v67, v157
	v_fma_f32 v3, v48, v146, -v3
	v_add_f32_e32 v74, v74, v75
	s_waitcnt vmcnt(51)
	v_mul_f32_e32 v75, v68, v159
	v_add_f32_e32 v2, v2, v3
	v_mul_f32_e32 v3, v51, v141
	s_waitcnt vmcnt(50)
	v_fmac_f32_e32 v75, v69, v160
	v_fma_f32 v3, v50, v140, -v3
	v_add_f32_e32 v74, v74, v75
	s_waitcnt vmcnt(48) lgkmcnt(0)
	v_mul_f32_e32 v75, v70, v162
	v_add_f32_e32 v2, v2, v3
	v_mul_f32_e32 v3, v53, v143
	v_fmac_f32_e32 v75, v71, v161
	v_fma_f32 v3, v52, v142, -v3
	v_add_f32_e32 v78, v74, v75
	ds_read2_b64 v[74:77], v1 offset0:101 offset1:102
	v_add_f32_e32 v2, v2, v3
	v_mul_f32_e32 v3, v55, v145
	v_fma_f32 v3, v54, v144, -v3
	s_waitcnt vmcnt(46)
	v_mul_f32_e32 v79, v72, v164
	v_add_f32_e32 v2, v2, v3
	v_mul_f32_e32 v3, v57, v148
	v_fmac_f32_e32 v79, v73, v163
	v_fma_f32 v3, v56, v147, -v3
	v_add_f32_e32 v82, v78, v79
	ds_read2_b64 v[78:81], v1 offset0:103 offset1:104
	v_add_f32_e32 v2, v2, v3
	v_mul_f32_e32 v3, v59, v150
	s_waitcnt vmcnt(44) lgkmcnt(1)
	v_mul_f32_e32 v83, v74, v166
	v_fma_f32 v3, v58, v149, -v3
	v_fmac_f32_e32 v83, v75, v165
	v_add_f32_e32 v2, v2, v3
	v_mul_f32_e32 v3, v61, v152
	v_add_f32_e32 v82, v82, v83
	s_waitcnt vmcnt(43)
	v_mul_f32_e32 v83, v76, v167
	v_fma_f32 v3, v60, v151, -v3
	s_waitcnt vmcnt(40)
	v_fmac_f32_e32 v83, v77, v170
	v_add_f32_e32 v2, v2, v3
	v_mul_f32_e32 v3, v63, v154
	v_add_f32_e32 v82, v82, v83
	s_waitcnt lgkmcnt(0)
	v_mul_f32_e32 v83, v78, v169
	v_fma_f32 v3, v62, v153, -v3
	v_fmac_f32_e32 v83, v79, v168
	v_add_f32_e32 v2, v2, v3
	v_mul_f32_e32 v3, v65, v156
	v_add_f32_e32 v86, v82, v83
	ds_read2_b64 v[82:85], v1 offset0:105 offset1:106
	v_fma_f32 v3, v64, v155, -v3
	v_add_f32_e32 v2, v2, v3
	v_mul_f32_e32 v3, v67, v158
	s_waitcnt vmcnt(38)
	v_mul_f32_e32 v87, v80, v172
	v_fma_f32 v3, v66, v157, -v3
	v_fmac_f32_e32 v87, v81, v171
	v_add_f32_e32 v2, v2, v3
	v_mul_f32_e32 v3, v69, v159
	v_add_f32_e32 v90, v86, v87
	ds_read2_b64 v[86:89], v1 offset0:107 offset1:108
	v_fma_f32 v3, v68, v160, -v3
	s_waitcnt vmcnt(36) lgkmcnt(1)
	v_mul_f32_e32 v91, v82, v174
	v_add_f32_e32 v2, v2, v3
	v_mul_f32_e32 v3, v71, v162
	v_fmac_f32_e32 v91, v83, v173
	v_fma_f32 v3, v70, v161, -v3
	v_add_f32_e32 v90, v90, v91
	s_waitcnt vmcnt(35)
	v_mul_f32_e32 v91, v84, v175
	v_add_f32_e32 v2, v2, v3
	v_mul_f32_e32 v3, v73, v164
	s_waitcnt vmcnt(32)
	v_fmac_f32_e32 v91, v85, v178
	v_fma_f32 v3, v72, v163, -v3
	v_add_f32_e32 v90, v90, v91
	s_waitcnt lgkmcnt(0)
	v_mul_f32_e32 v91, v86, v177
	v_add_f32_e32 v2, v2, v3
	v_mul_f32_e32 v3, v75, v166
	v_fmac_f32_e32 v91, v87, v176
	v_fma_f32 v3, v74, v165, -v3
	v_add_f32_e32 v94, v90, v91
	ds_read2_b64 v[90:93], v1 offset0:109 offset1:110
	v_add_f32_e32 v2, v2, v3
	v_mul_f32_e32 v3, v77, v167
	v_fma_f32 v3, v76, v170, -v3
	s_waitcnt vmcnt(30)
	v_mul_f32_e32 v95, v88, v180
	v_add_f32_e32 v2, v2, v3
	v_mul_f32_e32 v3, v79, v169
	v_fmac_f32_e32 v95, v89, v179
	v_fma_f32 v3, v78, v168, -v3
	v_add_f32_e32 v98, v94, v95
	ds_read2_b64 v[94:97], v1 offset0:111 offset1:112
	v_add_f32_e32 v2, v2, v3
	v_mul_f32_e32 v3, v81, v172
	s_waitcnt vmcnt(28) lgkmcnt(1)
	v_mul_f32_e32 v99, v90, v182
	v_fma_f32 v3, v80, v171, -v3
	v_fmac_f32_e32 v99, v91, v181
	v_add_f32_e32 v2, v2, v3
	v_mul_f32_e32 v3, v83, v174
	v_add_f32_e32 v98, v98, v99
	s_waitcnt vmcnt(27)
	v_mul_f32_e32 v99, v92, v183
	v_fma_f32 v3, v82, v173, -v3
	s_waitcnt vmcnt(24)
	v_fmac_f32_e32 v99, v93, v186
	v_add_f32_e32 v2, v2, v3
	v_mul_f32_e32 v3, v85, v175
	v_add_f32_e32 v98, v98, v99
	s_waitcnt lgkmcnt(0)
	v_mul_f32_e32 v99, v94, v185
	v_fma_f32 v3, v84, v178, -v3
	v_fmac_f32_e32 v99, v95, v184
	v_add_f32_e32 v2, v2, v3
	v_mul_f32_e32 v3, v87, v177
	v_add_f32_e32 v102, v98, v99
	ds_read2_b64 v[98:101], v1 offset0:113 offset1:114
	v_fma_f32 v3, v86, v176, -v3
	v_add_f32_e32 v2, v2, v3
	v_mul_f32_e32 v3, v89, v180
	s_waitcnt vmcnt(22)
	v_mul_f32_e32 v103, v96, v188
	v_fma_f32 v3, v88, v179, -v3
	v_fmac_f32_e32 v103, v97, v187
	v_add_f32_e32 v2, v2, v3
	v_mul_f32_e32 v3, v91, v182
	v_add_f32_e32 v106, v102, v103
	ds_read2_b64 v[102:105], v1 offset0:115 offset1:116
	v_fma_f32 v3, v90, v181, -v3
	s_waitcnt vmcnt(20) lgkmcnt(1)
	v_mul_f32_e32 v107, v98, v190
	v_add_f32_e32 v2, v2, v3
	v_mul_f32_e32 v3, v93, v183
	v_fmac_f32_e32 v107, v99, v189
	v_fma_f32 v3, v92, v186, -v3
	v_add_f32_e32 v106, v106, v107
	s_waitcnt vmcnt(19)
	v_mul_f32_e32 v107, v100, v191
	v_add_f32_e32 v2, v2, v3
	v_mul_f32_e32 v3, v95, v185
	s_waitcnt vmcnt(16)
	v_fmac_f32_e32 v107, v101, v194
	v_fma_f32 v3, v94, v184, -v3
	v_add_f32_e32 v106, v106, v107
	s_waitcnt lgkmcnt(0)
	v_mul_f32_e32 v107, v102, v193
	v_add_f32_e32 v2, v2, v3
	v_mul_f32_e32 v3, v97, v188
	v_fmac_f32_e32 v107, v103, v192
	v_fma_f32 v3, v96, v187, -v3
	v_add_f32_e32 v110, v106, v107
	ds_read2_b64 v[106:109], v1 offset0:117 offset1:118
	v_add_f32_e32 v2, v2, v3
	v_mul_f32_e32 v3, v99, v190
	v_fma_f32 v3, v98, v189, -v3
	s_waitcnt vmcnt(14)
	v_mul_f32_e32 v111, v104, v196
	v_add_f32_e32 v2, v2, v3
	v_mul_f32_e32 v3, v101, v191
	v_fmac_f32_e32 v111, v105, v195
	v_fma_f32 v3, v100, v194, -v3
	v_add_f32_e32 v114, v110, v111
	ds_read2_b64 v[110:113], v1 offset0:119 offset1:120
	v_add_f32_e32 v2, v2, v3
	v_mul_f32_e32 v3, v103, v193
	s_waitcnt vmcnt(12) lgkmcnt(1)
	v_mul_f32_e32 v115, v106, v198
	v_fma_f32 v3, v102, v192, -v3
	v_fmac_f32_e32 v115, v107, v197
	v_add_f32_e32 v2, v2, v3
	v_mul_f32_e32 v3, v105, v196
	v_add_f32_e32 v114, v114, v115
	s_waitcnt vmcnt(11)
	v_mul_f32_e32 v115, v108, v199
	v_fma_f32 v3, v104, v195, -v3
	s_waitcnt vmcnt(8)
	v_fmac_f32_e32 v115, v109, v202
	v_add_f32_e32 v2, v2, v3
	v_mul_f32_e32 v3, v107, v198
	v_add_f32_e32 v114, v114, v115
	s_waitcnt lgkmcnt(0)
	v_mul_f32_e32 v115, v110, v201
	v_fma_f32 v3, v106, v197, -v3
	v_fmac_f32_e32 v115, v111, v200
	v_add_f32_e32 v2, v2, v3
	v_mul_f32_e32 v3, v109, v199
	v_add_f32_e32 v118, v114, v115
	ds_read2_b64 v[114:117], v1 offset0:121 offset1:122
	v_fma_f32 v3, v108, v202, -v3
	v_add_f32_e32 v2, v2, v3
	v_mul_f32_e32 v3, v111, v201
	s_waitcnt vmcnt(6)
	v_mul_f32_e32 v119, v112, v204
	v_fma_f32 v3, v110, v200, -v3
	v_fmac_f32_e32 v119, v113, v203
	v_add_f32_e32 v2, v2, v3
	v_mul_f32_e32 v3, v113, v204
	v_add_f32_e32 v211, v118, v119
	ds_read_b64 v[118:119], v1 offset:984
	v_fma_f32 v3, v112, v203, -v3
	v_add_f32_e32 v2, v2, v3
	s_waitcnt vmcnt(4) lgkmcnt(1)
	v_mul_f32_e32 v3, v115, v206
	v_mul_f32_e32 v212, v114, v206
	v_fma_f32 v3, v114, v205, -v3
	v_fmac_f32_e32 v212, v115, v205
	v_add_f32_e32 v2, v2, v3
	s_waitcnt vmcnt(3)
	v_mul_f32_e32 v3, v117, v207
	v_add_f32_e32 v211, v211, v212
	v_mul_f32_e32 v212, v116, v207
	s_waitcnt vmcnt(0)
	v_fma_f32 v3, v116, v210, -v3
	v_fmac_f32_e32 v212, v117, v210
	v_add_f32_e32 v2, v2, v3
	s_waitcnt lgkmcnt(0)
	v_mul_f32_e32 v3, v119, v209
	v_add_f32_e32 v211, v211, v212
	v_mul_f32_e32 v212, v118, v209
	v_fma_f32 v3, v118, v208, -v3
	v_fmac_f32_e32 v212, v119, v208
	v_add_f32_e32 v2, v2, v3
	v_add_f32_e32 v211, v211, v212
	v_sub_f32_e32 v2, v7, v2
	v_sub_f32_e32 v3, v8, v211
	buffer_store_dword v2, off, s[0:3], 0 offset:80
	buffer_store_dword v3, off, s[0:3], 0 offset:84
	s_and_saveexec_b64 s[4:5], vcc
	s_cbranch_execz .LBB125_367
; %bb.366:
	buffer_load_dword v2, off, s[0:3], 0 offset:72
	buffer_load_dword v3, off, s[0:3], 0 offset:76
	s_waitcnt vmcnt(0)
	ds_write_b64 v25, v[2:3]
	buffer_store_dword v1, off, s[0:3], 0 offset:72
	buffer_store_dword v1, off, s[0:3], 0 offset:76
.LBB125_367:
	s_or_b64 exec, exec, s[4:5]
	s_waitcnt lgkmcnt(0)
	; wave barrier
	buffer_load_dword v10, off, s[0:3], 0 offset:84
	buffer_load_dword v7, off, s[0:3], 0 offset:92
	;; [unrolled: 1-line block ×40, first 2 shown]
	ds_read_b128 v[26:29], v1 offset:576
	ds_read_b128 v[30:33], v1 offset:592
	;; [unrolled: 1-line block ×6, first 2 shown]
	buffer_load_dword v149, off, s[0:3], 0 offset:232
	buffer_load_dword v150, off, s[0:3], 0 offset:236
	;; [unrolled: 1-line block ×12, first 2 shown]
	v_cmp_lt_u32_e32 vcc, 8, v0
	s_waitcnt vmcnt(51) lgkmcnt(5)
	v_mul_f32_e32 v50, v26, v10
	s_waitcnt vmcnt(50)
	v_mul_f32_e32 v51, v28, v7
	s_waitcnt vmcnt(49) lgkmcnt(4)
	v_mul_f32_e32 v52, v30, v6
	s_waitcnt vmcnt(48)
	v_mul_f32_e32 v53, v32, v5
	;; [unrolled: 4-line block ×5, first 2 shown]
	s_waitcnt vmcnt(41) lgkmcnt(0)
	v_mul_f32_e32 v60, v46, v14
	s_waitcnt vmcnt(40)
	v_fmac_f32_e32 v52, v31, v21
	s_waitcnt vmcnt(39)
	v_fmac_f32_e32 v51, v29, v24
	;; [unrolled: 2-line block ×3, first 2 shown]
	v_add_f32_e32 v50, 0, v50
	v_add_f32_e32 v50, v50, v51
	;; [unrolled: 1-line block ×3, first 2 shown]
	s_waitcnt vmcnt(34)
	v_fmac_f32_e32 v53, v33, v119
	v_fmac_f32_e32 v54, v35, v23
	v_add_f32_e32 v50, v50, v53
	v_fmac_f32_e32 v55, v37, v20
	v_add_f32_e32 v50, v50, v54
	;; [unrolled: 2-line block ×3, first 2 shown]
	s_waitcnt vmcnt(30)
	v_fmac_f32_e32 v57, v41, v22
	v_add_f32_e32 v50, v50, v56
	v_fmac_f32_e32 v58, v43, v19
	v_add_f32_e32 v50, v50, v57
	;; [unrolled: 2-line block ×4, first 2 shown]
	v_add_f32_e32 v54, v50, v60
	ds_read_b128 v[50:53], v1 offset:672
	s_waitcnt vmcnt(29)
	v_mul_f32_e32 v55, v48, v18
	s_waitcnt vmcnt(25)
	v_fmac_f32_e32 v55, v49, v137
	v_add_f32_e32 v58, v54, v55
	ds_read_b128 v[54:57], v1 offset:688
	s_waitcnt vmcnt(24) lgkmcnt(1)
	v_mul_f32_e32 v59, v50, v138
	v_fmac_f32_e32 v59, v51, v136
	v_add_f32_e32 v58, v58, v59
	s_waitcnt vmcnt(23)
	v_mul_f32_e32 v59, v52, v139
	buffer_load_dword v161, off, s[0:3], 0 offset:280
	buffer_load_dword v162, off, s[0:3], 0 offset:284
	v_fmac_f32_e32 v59, v53, v135
	v_add_f32_e32 v58, v58, v59
	s_waitcnt vmcnt(24) lgkmcnt(0)
	v_mul_f32_e32 v59, v54, v140
	buffer_load_dword v163, off, s[0:3], 0 offset:288
	buffer_load_dword v164, off, s[0:3], 0 offset:292
	v_fmac_f32_e32 v59, v55, v134
	v_add_f32_e32 v62, v58, v59
	ds_read_b128 v[58:61], v1 offset:704
	buffer_load_dword v165, off, s[0:3], 0 offset:296
	buffer_load_dword v166, off, s[0:3], 0 offset:300
	s_waitcnt vmcnt(27)
	v_mul_f32_e32 v63, v56, v141
	s_waitcnt vmcnt(21)
	v_fmac_f32_e32 v63, v57, v147
	v_add_f32_e32 v66, v62, v63
	ds_read_b128 v[62:65], v1 offset:720
	s_waitcnt vmcnt(20) lgkmcnt(1)
	v_mul_f32_e32 v67, v58, v148
	v_fmac_f32_e32 v67, v59, v146
	buffer_load_dword v167, off, s[0:3], 0 offset:304
	buffer_load_dword v168, off, s[0:3], 0 offset:308
	;; [unrolled: 1-line block ×6, first 2 shown]
	v_add_f32_e32 v66, v66, v67
	v_mul_f32_e32 v67, v60, v143
	v_fmac_f32_e32 v67, v61, v142
	v_add_f32_e32 v66, v66, v67
	s_waitcnt lgkmcnt(0)
	v_mul_f32_e32 v67, v62, v145
	v_fmac_f32_e32 v67, v63, v144
	v_add_f32_e32 v70, v66, v67
	ds_read_b128 v[66:69], v1 offset:736
	buffer_load_dword v173, off, s[0:3], 0 offset:328
	buffer_load_dword v174, off, s[0:3], 0 offset:332
	s_waitcnt vmcnt(24)
	v_mul_f32_e32 v71, v64, v150
	v_fmac_f32_e32 v71, v65, v149
	v_add_f32_e32 v74, v70, v71
	ds_read_b128 v[70:73], v1 offset:752
	buffer_load_dword v175, off, s[0:3], 0 offset:336
	buffer_load_dword v176, off, s[0:3], 0 offset:340
	;; [unrolled: 1-line block ×14, first 2 shown]
	s_waitcnt vmcnt(36) lgkmcnt(1)
	v_mul_f32_e32 v75, v66, v152
	buffer_load_dword v189, off, s[0:3], 0 offset:392
	buffer_load_dword v190, off, s[0:3], 0 offset:396
	v_fmac_f32_e32 v75, v67, v151
	v_add_f32_e32 v74, v74, v75
	s_waitcnt vmcnt(36)
	v_mul_f32_e32 v75, v68, v154
	v_fmac_f32_e32 v75, v69, v153
	v_add_f32_e32 v74, v74, v75
	s_waitcnt vmcnt(34) lgkmcnt(0)
	v_mul_f32_e32 v75, v70, v156
	v_fmac_f32_e32 v75, v71, v155
	v_add_f32_e32 v78, v74, v75
	ds_read_b128 v[74:77], v1 offset:768
	buffer_load_dword v191, off, s[0:3], 0 offset:400
	buffer_load_dword v192, off, s[0:3], 0 offset:404
	;; [unrolled: 1-line block ×6, first 2 shown]
	s_waitcnt vmcnt(38)
	v_mul_f32_e32 v79, v72, v158
	v_fmac_f32_e32 v79, v73, v157
	v_add_f32_e32 v82, v78, v79
	ds_read_b128 v[78:81], v1 offset:784
	buffer_load_dword v197, off, s[0:3], 0 offset:424
	buffer_load_dword v198, off, s[0:3], 0 offset:428
	v_mul_f32_e32 v10, v27, v10
	v_fma_f32 v10, v26, v118, -v10
	v_mul_f32_e32 v7, v29, v7
	buffer_load_dword v199, off, s[0:3], 0 offset:432
	buffer_load_dword v200, off, s[0:3], 0 offset:436
	;; [unrolled: 1-line block ×6, first 2 shown]
	v_add_f32_e32 v10, 0, v10
	v_fma_f32 v7, v28, v24, -v7
	v_mul_f32_e32 v6, v31, v6
	v_add_f32_e32 v7, v10, v7
	v_fma_f32 v6, v30, v21, -v6
	v_mul_f32_e32 v5, v33, v5
	;; [unrolled: 3-line block ×5, first 2 shown]
	buffer_load_dword v205, off, s[0:3], 0 offset:456
	buffer_load_dword v206, off, s[0:3], 0 offset:460
	v_add_f32_e32 v3, v4, v3
	v_fma_f32 v2, v38, v17, -v2
	v_add_f32_e32 v2, v3, v2
	v_mul_f32_e32 v3, v41, v11
	s_waitcnt vmcnt(46) lgkmcnt(1)
	v_mul_f32_e32 v83, v74, v160
	v_fma_f32 v3, v40, v22, -v3
	v_fmac_f32_e32 v83, v75, v159
	v_add_f32_e32 v2, v2, v3
	v_mul_f32_e32 v3, v43, v12
	v_add_f32_e32 v82, v82, v83
	v_fma_f32 v3, v42, v19, -v3
	s_waitcnt vmcnt(44)
	v_mul_f32_e32 v83, v76, v162
	v_fmac_f32_e32 v83, v77, v161
	v_add_f32_e32 v2, v2, v3
	v_mul_f32_e32 v3, v45, v13
	v_add_f32_e32 v82, v82, v83
	s_waitcnt vmcnt(42) lgkmcnt(0)
	v_mul_f32_e32 v83, v78, v164
	buffer_load_dword v207, off, s[0:3], 0 offset:464
	buffer_load_dword v208, off, s[0:3], 0 offset:468
	;; [unrolled: 1-line block ×6, first 2 shown]
	v_fma_f32 v3, v44, v16, -v3
	v_fmac_f32_e32 v83, v79, v163
	s_waitcnt vmcnt(46)
	v_mul_f32_e32 v87, v80, v166
	v_add_f32_e32 v2, v2, v3
	v_mul_f32_e32 v3, v47, v14
	v_add_f32_e32 v86, v82, v83
	v_fmac_f32_e32 v87, v81, v165
	v_fma_f32 v3, v46, v15, -v3
	ds_read_b128 v[82:85], v1 offset:800
	v_add_f32_e32 v90, v86, v87
	ds_read_b128 v[86:89], v1 offset:816
	buffer_load_dword v213, off, s[0:3], 0 offset:488
	buffer_load_dword v214, off, s[0:3], 0 offset:492
	v_add_f32_e32 v2, v2, v3
	v_mul_f32_e32 v3, v49, v18
	v_fma_f32 v3, v48, v137, -v3
	v_add_f32_e32 v2, v2, v3
	v_mul_f32_e32 v3, v51, v138
	v_fma_f32 v3, v50, v136, -v3
	;; [unrolled: 3-line block ×9, first 2 shown]
	v_add_f32_e32 v2, v2, v3
	v_mul_f32_e32 v3, v67, v152
	s_waitcnt vmcnt(46) lgkmcnt(1)
	v_mul_f32_e32 v91, v82, v168
	v_fma_f32 v3, v66, v151, -v3
	v_fmac_f32_e32 v91, v83, v167
	v_add_f32_e32 v2, v2, v3
	v_mul_f32_e32 v3, v69, v154
	v_add_f32_e32 v90, v90, v91
	s_waitcnt vmcnt(45)
	v_mul_f32_e32 v91, v84, v169
	v_fma_f32 v3, v68, v153, -v3
	s_waitcnt vmcnt(42)
	v_fmac_f32_e32 v91, v85, v172
	v_add_f32_e32 v2, v2, v3
	v_mul_f32_e32 v3, v71, v156
	v_add_f32_e32 v90, v90, v91
	s_waitcnt lgkmcnt(0)
	v_mul_f32_e32 v91, v86, v171
	v_fma_f32 v3, v70, v155, -v3
	v_fmac_f32_e32 v91, v87, v170
	v_add_f32_e32 v2, v2, v3
	v_mul_f32_e32 v3, v73, v158
	v_add_f32_e32 v94, v90, v91
	ds_read_b128 v[90:93], v1 offset:832
	v_fma_f32 v3, v72, v157, -v3
	v_add_f32_e32 v2, v2, v3
	v_mul_f32_e32 v3, v75, v160
	s_waitcnt vmcnt(40)
	v_mul_f32_e32 v95, v88, v174
	v_fma_f32 v3, v74, v159, -v3
	v_fmac_f32_e32 v95, v89, v173
	v_add_f32_e32 v2, v2, v3
	v_mul_f32_e32 v3, v77, v162
	v_add_f32_e32 v98, v94, v95
	ds_read_b128 v[94:97], v1 offset:848
	v_fma_f32 v3, v76, v161, -v3
	s_waitcnt vmcnt(38) lgkmcnt(1)
	v_mul_f32_e32 v99, v90, v176
	v_add_f32_e32 v2, v2, v3
	v_mul_f32_e32 v3, v79, v164
	v_fmac_f32_e32 v99, v91, v175
	v_fma_f32 v3, v78, v163, -v3
	v_add_f32_e32 v98, v98, v99
	s_waitcnt vmcnt(37)
	v_mul_f32_e32 v99, v92, v177
	v_add_f32_e32 v2, v2, v3
	v_mul_f32_e32 v3, v81, v166
	s_waitcnt vmcnt(34)
	v_fmac_f32_e32 v99, v93, v180
	v_fma_f32 v3, v80, v165, -v3
	v_add_f32_e32 v98, v98, v99
	s_waitcnt lgkmcnt(0)
	v_mul_f32_e32 v99, v94, v179
	v_add_f32_e32 v2, v2, v3
	v_mul_f32_e32 v3, v83, v168
	v_fmac_f32_e32 v99, v95, v178
	v_fma_f32 v3, v82, v167, -v3
	v_add_f32_e32 v102, v98, v99
	ds_read_b128 v[98:101], v1 offset:864
	v_add_f32_e32 v2, v2, v3
	v_mul_f32_e32 v3, v85, v169
	v_fma_f32 v3, v84, v172, -v3
	s_waitcnt vmcnt(32)
	v_mul_f32_e32 v103, v96, v182
	v_add_f32_e32 v2, v2, v3
	v_mul_f32_e32 v3, v87, v171
	v_fmac_f32_e32 v103, v97, v181
	v_fma_f32 v3, v86, v170, -v3
	v_add_f32_e32 v106, v102, v103
	ds_read_b128 v[102:105], v1 offset:880
	v_add_f32_e32 v2, v2, v3
	v_mul_f32_e32 v3, v89, v174
	s_waitcnt vmcnt(30) lgkmcnt(1)
	v_mul_f32_e32 v107, v98, v184
	v_fma_f32 v3, v88, v173, -v3
	v_fmac_f32_e32 v107, v99, v183
	v_add_f32_e32 v2, v2, v3
	v_mul_f32_e32 v3, v91, v176
	v_add_f32_e32 v106, v106, v107
	s_waitcnt vmcnt(29)
	v_mul_f32_e32 v107, v100, v185
	v_fma_f32 v3, v90, v175, -v3
	s_waitcnt vmcnt(26)
	v_fmac_f32_e32 v107, v101, v188
	v_add_f32_e32 v2, v2, v3
	v_mul_f32_e32 v3, v93, v177
	v_add_f32_e32 v106, v106, v107
	s_waitcnt lgkmcnt(0)
	v_mul_f32_e32 v107, v102, v187
	v_fma_f32 v3, v92, v180, -v3
	v_fmac_f32_e32 v107, v103, v186
	v_add_f32_e32 v2, v2, v3
	v_mul_f32_e32 v3, v95, v179
	v_add_f32_e32 v110, v106, v107
	ds_read_b128 v[106:109], v1 offset:896
	v_fma_f32 v3, v94, v178, -v3
	v_add_f32_e32 v2, v2, v3
	v_mul_f32_e32 v3, v97, v182
	s_waitcnt vmcnt(24)
	v_mul_f32_e32 v111, v104, v190
	v_fma_f32 v3, v96, v181, -v3
	v_fmac_f32_e32 v111, v105, v189
	v_add_f32_e32 v2, v2, v3
	v_mul_f32_e32 v3, v99, v184
	v_add_f32_e32 v114, v110, v111
	ds_read_b128 v[110:113], v1 offset:912
	v_fma_f32 v3, v98, v183, -v3
	s_waitcnt vmcnt(22) lgkmcnt(1)
	v_mul_f32_e32 v115, v106, v192
	v_add_f32_e32 v2, v2, v3
	v_mul_f32_e32 v3, v101, v185
	v_fmac_f32_e32 v115, v107, v191
	v_fma_f32 v3, v100, v188, -v3
	v_add_f32_e32 v114, v114, v115
	s_waitcnt vmcnt(21)
	v_mul_f32_e32 v115, v108, v193
	v_add_f32_e32 v2, v2, v3
	v_mul_f32_e32 v3, v103, v187
	s_waitcnt vmcnt(18)
	v_fmac_f32_e32 v115, v109, v196
	v_fma_f32 v3, v102, v186, -v3
	v_add_f32_e32 v114, v114, v115
	s_waitcnt lgkmcnt(0)
	v_mul_f32_e32 v115, v110, v195
	v_add_f32_e32 v2, v2, v3
	v_mul_f32_e32 v3, v105, v190
	v_fmac_f32_e32 v115, v111, v194
	v_fma_f32 v3, v104, v189, -v3
	v_add_f32_e32 v122, v114, v115
	ds_read_b128 v[114:117], v1 offset:928
	v_add_f32_e32 v2, v2, v3
	v_mul_f32_e32 v3, v107, v192
	v_fma_f32 v3, v106, v191, -v3
	s_waitcnt vmcnt(16)
	v_mul_f32_e32 v123, v112, v198
	v_add_f32_e32 v2, v2, v3
	v_mul_f32_e32 v3, v109, v193
	v_fmac_f32_e32 v123, v113, v197
	v_fma_f32 v3, v108, v196, -v3
	v_add_f32_e32 v126, v122, v123
	ds_read_b128 v[122:125], v1 offset:944
	v_add_f32_e32 v2, v2, v3
	v_mul_f32_e32 v3, v111, v195
	s_waitcnt vmcnt(14) lgkmcnt(1)
	v_mul_f32_e32 v127, v114, v200
	v_fma_f32 v3, v110, v194, -v3
	v_fmac_f32_e32 v127, v115, v199
	v_add_f32_e32 v2, v2, v3
	v_mul_f32_e32 v3, v113, v198
	v_add_f32_e32 v126, v126, v127
	s_waitcnt vmcnt(13)
	v_mul_f32_e32 v127, v116, v201
	v_fma_f32 v3, v112, v197, -v3
	s_waitcnt vmcnt(10)
	v_fmac_f32_e32 v127, v117, v204
	v_add_f32_e32 v2, v2, v3
	v_mul_f32_e32 v3, v115, v200
	v_add_f32_e32 v126, v126, v127
	s_waitcnt lgkmcnt(0)
	v_mul_f32_e32 v127, v122, v203
	v_fma_f32 v3, v114, v199, -v3
	v_fmac_f32_e32 v127, v123, v202
	v_add_f32_e32 v2, v2, v3
	v_mul_f32_e32 v3, v117, v201
	v_add_f32_e32 v130, v126, v127
	ds_read_b128 v[126:129], v1 offset:960
	v_fma_f32 v3, v116, v204, -v3
	v_add_f32_e32 v2, v2, v3
	v_mul_f32_e32 v3, v123, v203
	s_waitcnt vmcnt(8)
	v_mul_f32_e32 v131, v124, v206
	v_fma_f32 v3, v122, v202, -v3
	v_fmac_f32_e32 v131, v125, v205
	v_add_f32_e32 v2, v2, v3
	v_mul_f32_e32 v3, v125, v206
	v_add_f32_e32 v215, v130, v131
	ds_read_b128 v[130:133], v1 offset:976
	v_fma_f32 v3, v124, v205, -v3
	v_add_f32_e32 v2, v2, v3
	s_waitcnt vmcnt(6) lgkmcnt(1)
	v_mul_f32_e32 v3, v127, v208
	v_mul_f32_e32 v1, v126, v208
	v_fma_f32 v3, v126, v207, -v3
	v_fmac_f32_e32 v1, v127, v207
	v_add_f32_e32 v2, v2, v3
	s_waitcnt vmcnt(5)
	v_mul_f32_e32 v3, v129, v209
	v_add_f32_e32 v1, v215, v1
	v_mul_f32_e32 v215, v128, v209
	s_waitcnt vmcnt(2)
	v_fma_f32 v3, v128, v212, -v3
	v_fmac_f32_e32 v215, v129, v212
	v_add_f32_e32 v2, v2, v3
	s_waitcnt lgkmcnt(0)
	v_mul_f32_e32 v3, v131, v211
	v_add_f32_e32 v1, v1, v215
	v_mul_f32_e32 v215, v130, v211
	v_fma_f32 v3, v130, v210, -v3
	v_fmac_f32_e32 v215, v131, v210
	v_add_f32_e32 v2, v2, v3
	s_waitcnt vmcnt(0)
	v_mul_f32_e32 v3, v133, v214
	v_add_f32_e32 v1, v1, v215
	v_mul_f32_e32 v215, v132, v214
	v_fma_f32 v3, v132, v213, -v3
	v_fmac_f32_e32 v215, v133, v213
	v_add_f32_e32 v2, v2, v3
	v_add_f32_e32 v1, v1, v215
	v_sub_f32_e32 v2, v8, v2
	v_sub_f32_e32 v1, v9, v1
	buffer_store_dword v2, off, s[0:3], 0 offset:72
	buffer_store_dword v1, off, s[0:3], 0 offset:76
	s_and_saveexec_b64 s[4:5], vcc
	s_cbranch_execz .LBB125_369
; %bb.368:
	buffer_load_dword v1, off, s[0:3], 0 offset:64
	buffer_load_dword v2, off, s[0:3], 0 offset:68
	v_mov_b32_e32 v3, 0
	buffer_store_dword v3, off, s[0:3], 0 offset:64
	buffer_store_dword v3, off, s[0:3], 0 offset:68
	s_waitcnt vmcnt(2)
	ds_write_b64 v25, v[1:2]
.LBB125_369:
	s_or_b64 exec, exec, s[4:5]
	s_waitcnt lgkmcnt(0)
	; wave barrier
	buffer_load_dword v10, off, s[0:3], 0 offset:76
	buffer_load_dword v9, off, s[0:3], 0 offset:84
	;; [unrolled: 1-line block ×51, first 2 shown]
	v_mov_b32_e32 v1, 0
	ds_read2_b64 v[39:42], v1 offset0:71 offset1:72
	ds_read2_b64 v[43:46], v1 offset0:73 offset1:74
	;; [unrolled: 1-line block ×6, first 2 shown]
	v_cmp_lt_u32_e32 vcc, 7, v0
	s_waitcnt vmcnt(50) lgkmcnt(5)
	v_mul_f32_e32 v63, v39, v10
	s_waitcnt vmcnt(49)
	v_mul_f32_e32 v64, v41, v9
	s_waitcnt vmcnt(48) lgkmcnt(4)
	v_mul_f32_e32 v65, v43, v8
	s_waitcnt vmcnt(47)
	v_mul_f32_e32 v66, v45, v7
	;; [unrolled: 4-line block ×5, first 2 shown]
	s_waitcnt vmcnt(40) lgkmcnt(0)
	v_mul_f32_e32 v73, v59, v14
	s_waitcnt vmcnt(39)
	v_fmac_f32_e32 v65, v44, v21
	s_waitcnt vmcnt(38)
	v_fmac_f32_e32 v64, v42, v24
	s_waitcnt vmcnt(37)
	v_fmac_f32_e32 v63, v40, v27
	v_add_f32_e32 v63, 0, v63
	v_add_f32_e32 v63, v63, v64
	;; [unrolled: 1-line block ×3, first 2 shown]
	s_waitcnt vmcnt(33)
	v_fmac_f32_e32 v66, v46, v26
	v_fmac_f32_e32 v67, v48, v23
	v_add_f32_e32 v63, v63, v66
	v_fmac_f32_e32 v68, v50, v20
	v_add_f32_e32 v63, v63, v67
	;; [unrolled: 2-line block ×3, first 2 shown]
	s_waitcnt vmcnt(29)
	v_fmac_f32_e32 v70, v54, v22
	v_add_f32_e32 v63, v63, v69
	v_fmac_f32_e32 v71, v56, v19
	v_add_f32_e32 v63, v63, v70
	;; [unrolled: 2-line block ×4, first 2 shown]
	s_waitcnt vmcnt(28)
	v_mul_f32_e32 v64, v61, v18
	v_add_f32_e32 v63, v63, v73
	s_waitcnt vmcnt(24)
	v_fmac_f32_e32 v64, v62, v34
	v_add_f32_e32 v71, v63, v64
	ds_read2_b64 v[63:66], v1 offset0:83 offset1:84
	ds_read2_b64 v[67:70], v1 offset0:85 offset1:86
	buffer_load_dword v162, off, s[0:3], 0 offset:264
	buffer_load_dword v163, off, s[0:3], 0 offset:272
	;; [unrolled: 1-line block ×5, first 2 shown]
	v_mul_f32_e32 v10, v40, v10
	s_waitcnt vmcnt(28) lgkmcnt(1)
	v_mul_f32_e32 v72, v63, v33
	v_fmac_f32_e32 v72, v64, v31
	v_add_f32_e32 v71, v71, v72
	s_waitcnt vmcnt(27)
	v_mul_f32_e32 v72, v65, v32
	v_fmac_f32_e32 v72, v66, v29
	v_add_f32_e32 v71, v71, v72
	s_waitcnt vmcnt(26) lgkmcnt(0)
	v_mul_f32_e32 v72, v67, v30
	v_fmac_f32_e32 v72, v68, v28
	v_add_f32_e32 v75, v71, v72
	ds_read2_b64 v[71:74], v1 offset0:87 offset1:88
	buffer_load_dword v167, off, s[0:3], 0 offset:288
	buffer_load_dword v168, off, s[0:3], 0 offset:292
	s_waitcnt vmcnt(27)
	v_mul_f32_e32 v76, v69, v35
	s_waitcnt vmcnt(20)
	v_fmac_f32_e32 v76, v70, v150
	v_add_f32_e32 v79, v75, v76
	ds_read2_b64 v[75:78], v1 offset0:89 offset1:90
	s_waitcnt lgkmcnt(1)
	v_mul_f32_e32 v80, v71, v37
	v_fmac_f32_e32 v80, v72, v36
	v_add_f32_e32 v79, v79, v80
	v_mul_f32_e32 v80, v73, v119
	buffer_load_dword v169, off, s[0:3], 0 offset:296
	buffer_load_dword v170, off, s[0:3], 0 offset:300
	v_fmac_f32_e32 v80, v74, v38
	v_add_f32_e32 v79, v79, v80
	s_waitcnt lgkmcnt(0)
	v_mul_f32_e32 v80, v75, v149
	v_fmac_f32_e32 v80, v76, v148
	v_add_f32_e32 v83, v79, v80
	ds_read2_b64 v[79:82], v1 offset0:91 offset1:92
	buffer_load_dword v171, off, s[0:3], 0 offset:308
	buffer_load_dword v172, off, s[0:3], 0 offset:312
	buffer_load_dword v173, off, s[0:3], 0 offset:316
	buffer_load_dword v174, off, s[0:3], 0 offset:304
	s_waitcnt vmcnt(22)
	v_mul_f32_e32 v84, v77, v152
	v_fmac_f32_e32 v84, v78, v151
	v_add_f32_e32 v87, v83, v84
	ds_read2_b64 v[83:86], v1 offset0:93 offset1:94
	buffer_load_dword v175, off, s[0:3], 0 offset:320
	buffer_load_dword v176, off, s[0:3], 0 offset:324
	;; [unrolled: 1-line block ×10, first 2 shown]
	s_waitcnt vmcnt(30) lgkmcnt(1)
	v_mul_f32_e32 v88, v79, v154
	v_fmac_f32_e32 v88, v80, v153
	buffer_load_dword v185, off, s[0:3], 0 offset:360
	buffer_load_dword v186, off, s[0:3], 0 offset:364
	;; [unrolled: 1-line block ×6, first 2 shown]
	v_add_f32_e32 v87, v87, v88
	s_waitcnt vmcnt(34)
	v_mul_f32_e32 v88, v81, v156
	v_fmac_f32_e32 v88, v82, v155
	v_add_f32_e32 v87, v87, v88
	s_waitcnt vmcnt(32) lgkmcnt(0)
	v_mul_f32_e32 v88, v83, v158
	v_fmac_f32_e32 v88, v84, v157
	v_add_f32_e32 v91, v87, v88
	ds_read2_b64 v[87:90], v1 offset0:95 offset1:96
	buffer_load_dword v191, off, s[0:3], 0 offset:384
	buffer_load_dword v192, off, s[0:3], 0 offset:388
	s_waitcnt vmcnt(32)
	v_mul_f32_e32 v92, v85, v160
	v_fmac_f32_e32 v92, v86, v159
	v_add_f32_e32 v95, v91, v92
	ds_read2_b64 v[91:94], v1 offset0:97 offset1:98
	buffer_load_dword v193, off, s[0:3], 0 offset:392
	buffer_load_dword v194, off, s[0:3], 0 offset:396
	;; [unrolled: 1-line block ×14, first 2 shown]
	v_fma_f32 v10, v39, v27, -v10
	v_mul_f32_e32 v9, v42, v9
	v_add_f32_e32 v10, 0, v10
	v_fma_f32 v9, v41, v24, -v9
	v_mul_f32_e32 v8, v44, v8
	v_add_f32_e32 v9, v10, v9
	;; [unrolled: 3-line block ×4, first 2 shown]
	v_fma_f32 v6, v47, v23, -v6
	v_mul_f32_e32 v5, v50, v5
	s_waitcnt vmcnt(45) lgkmcnt(1)
	v_mul_f32_e32 v96, v87, v161
	v_add_f32_e32 v6, v7, v6
	v_fma_f32 v5, v49, v20, -v5
	v_mul_f32_e32 v4, v52, v4
	buffer_load_dword v207, off, s[0:3], 0 offset:448
	buffer_load_dword v208, off, s[0:3], 0 offset:452
	v_add_f32_e32 v5, v6, v5
	v_fma_f32 v4, v51, v17, -v4
	v_add_f32_e32 v4, v5, v4
	s_waitcnt vmcnt(46)
	v_fmac_f32_e32 v96, v88, v162
	v_add_f32_e32 v95, v95, v96
	s_waitcnt vmcnt(44)
	v_mul_f32_e32 v96, v89, v164
	v_mul_f32_e32 v5, v54, v11
	v_fmac_f32_e32 v96, v90, v163
	v_fma_f32 v5, v53, v22, -v5
	v_add_f32_e32 v95, v95, v96
	s_waitcnt vmcnt(42) lgkmcnt(0)
	v_mul_f32_e32 v96, v91, v166
	v_add_f32_e32 v4, v4, v5
	v_mul_f32_e32 v5, v56, v12
	v_fmac_f32_e32 v96, v92, v165
	v_fma_f32 v5, v55, v19, -v5
	v_add_f32_e32 v99, v95, v96
	ds_read2_b64 v[95:98], v1 offset0:99 offset1:100
	buffer_load_dword v209, off, s[0:3], 0 offset:456
	buffer_load_dword v210, off, s[0:3], 0 offset:460
	;; [unrolled: 1-line block ×6, first 2 shown]
	v_add_f32_e32 v4, v4, v5
	v_mul_f32_e32 v5, v58, v13
	v_fma_f32 v5, v57, v16, -v5
	v_add_f32_e32 v4, v4, v5
	v_mul_f32_e32 v5, v60, v14
	s_waitcnt vmcnt(46)
	v_mul_f32_e32 v100, v93, v168
	v_fma_f32 v5, v59, v15, -v5
	v_fmac_f32_e32 v100, v94, v167
	v_add_f32_e32 v4, v4, v5
	v_mul_f32_e32 v5, v62, v18
	v_add_f32_e32 v103, v99, v100
	ds_read2_b64 v[99:102], v1 offset0:101 offset1:102
	buffer_load_dword v215, off, s[0:3], 0 offset:484
	buffer_load_dword v216, off, s[0:3], 0 offset:488
	;; [unrolled: 1-line block ×4, first 2 shown]
	v_fma_f32 v5, v61, v34, -v5
	v_add_f32_e32 v4, v4, v5
	v_mul_f32_e32 v5, v64, v33
	v_fma_f32 v5, v63, v31, -v5
	v_add_f32_e32 v4, v4, v5
	v_mul_f32_e32 v5, v66, v32
	;; [unrolled: 3-line block ×8, first 2 shown]
	v_fma_f32 v5, v77, v151, -v5
	s_waitcnt vmcnt(48) lgkmcnt(1)
	v_mul_f32_e32 v104, v95, v170
	v_add_f32_e32 v4, v4, v5
	v_mul_f32_e32 v5, v80, v154
	v_fmac_f32_e32 v104, v96, v169
	v_fma_f32 v5, v79, v153, -v5
	v_add_f32_e32 v103, v103, v104
	s_waitcnt vmcnt(47)
	v_mul_f32_e32 v104, v97, v171
	v_add_f32_e32 v4, v4, v5
	v_mul_f32_e32 v5, v82, v156
	s_waitcnt vmcnt(44)
	v_fmac_f32_e32 v104, v98, v174
	v_fma_f32 v5, v81, v155, -v5
	v_add_f32_e32 v103, v103, v104
	s_waitcnt lgkmcnt(0)
	v_mul_f32_e32 v104, v99, v173
	v_add_f32_e32 v4, v4, v5
	v_mul_f32_e32 v5, v84, v158
	v_fmac_f32_e32 v104, v100, v172
	v_fma_f32 v5, v83, v157, -v5
	v_add_f32_e32 v107, v103, v104
	ds_read2_b64 v[103:106], v1 offset0:103 offset1:104
	v_add_f32_e32 v4, v4, v5
	v_mul_f32_e32 v5, v86, v160
	v_fma_f32 v5, v85, v159, -v5
	s_waitcnt vmcnt(42)
	v_mul_f32_e32 v108, v101, v176
	v_add_f32_e32 v4, v4, v5
	v_mul_f32_e32 v5, v88, v161
	v_fmac_f32_e32 v108, v102, v175
	v_fma_f32 v5, v87, v162, -v5
	v_add_f32_e32 v111, v107, v108
	ds_read2_b64 v[107:110], v1 offset0:105 offset1:106
	v_add_f32_e32 v4, v4, v5
	v_mul_f32_e32 v5, v90, v164
	s_waitcnt vmcnt(40) lgkmcnt(1)
	v_mul_f32_e32 v112, v103, v178
	v_fma_f32 v5, v89, v163, -v5
	v_fmac_f32_e32 v112, v104, v177
	v_add_f32_e32 v4, v4, v5
	v_mul_f32_e32 v5, v92, v166
	v_add_f32_e32 v111, v111, v112
	s_waitcnt vmcnt(39)
	v_mul_f32_e32 v112, v105, v179
	v_fma_f32 v5, v91, v165, -v5
	s_waitcnt vmcnt(36)
	v_fmac_f32_e32 v112, v106, v182
	v_add_f32_e32 v4, v4, v5
	v_mul_f32_e32 v5, v94, v168
	v_add_f32_e32 v111, v111, v112
	s_waitcnt lgkmcnt(0)
	v_mul_f32_e32 v112, v107, v181
	v_fma_f32 v5, v93, v167, -v5
	v_fmac_f32_e32 v112, v108, v180
	v_add_f32_e32 v4, v4, v5
	v_mul_f32_e32 v5, v96, v170
	v_add_f32_e32 v115, v111, v112
	ds_read2_b64 v[111:114], v1 offset0:107 offset1:108
	v_fma_f32 v5, v95, v169, -v5
	v_add_f32_e32 v4, v4, v5
	v_mul_f32_e32 v5, v98, v171
	s_waitcnt vmcnt(34)
	v_mul_f32_e32 v116, v109, v184
	v_fma_f32 v5, v97, v174, -v5
	v_fmac_f32_e32 v116, v110, v183
	v_add_f32_e32 v4, v4, v5
	v_mul_f32_e32 v5, v100, v173
	v_add_f32_e32 v122, v115, v116
	ds_read2_b64 v[115:118], v1 offset0:109 offset1:110
	v_fma_f32 v5, v99, v172, -v5
	s_waitcnt vmcnt(32) lgkmcnt(1)
	v_mul_f32_e32 v123, v111, v186
	v_add_f32_e32 v4, v4, v5
	v_mul_f32_e32 v5, v102, v176
	v_fmac_f32_e32 v123, v112, v185
	v_fma_f32 v5, v101, v175, -v5
	v_add_f32_e32 v122, v122, v123
	s_waitcnt vmcnt(31)
	v_mul_f32_e32 v123, v113, v187
	v_add_f32_e32 v4, v4, v5
	v_mul_f32_e32 v5, v104, v178
	s_waitcnt vmcnt(28)
	v_fmac_f32_e32 v123, v114, v190
	v_fma_f32 v5, v103, v177, -v5
	v_add_f32_e32 v122, v122, v123
	s_waitcnt lgkmcnt(0)
	v_mul_f32_e32 v123, v115, v189
	v_add_f32_e32 v4, v4, v5
	v_mul_f32_e32 v5, v106, v179
	v_fmac_f32_e32 v123, v116, v188
	v_fma_f32 v5, v105, v182, -v5
	v_add_f32_e32 v126, v122, v123
	ds_read2_b64 v[122:125], v1 offset0:111 offset1:112
	v_add_f32_e32 v4, v4, v5
	v_mul_f32_e32 v5, v108, v181
	v_fma_f32 v5, v107, v180, -v5
	s_waitcnt vmcnt(26)
	v_mul_f32_e32 v127, v117, v192
	v_add_f32_e32 v4, v4, v5
	v_mul_f32_e32 v5, v110, v184
	v_fmac_f32_e32 v127, v118, v191
	v_fma_f32 v5, v109, v183, -v5
	v_add_f32_e32 v130, v126, v127
	ds_read2_b64 v[126:129], v1 offset0:113 offset1:114
	v_add_f32_e32 v4, v4, v5
	v_mul_f32_e32 v5, v112, v186
	s_waitcnt vmcnt(24) lgkmcnt(1)
	v_mul_f32_e32 v131, v122, v194
	v_fma_f32 v5, v111, v185, -v5
	v_fmac_f32_e32 v131, v123, v193
	v_add_f32_e32 v4, v4, v5
	v_mul_f32_e32 v5, v114, v187
	v_add_f32_e32 v130, v130, v131
	s_waitcnt vmcnt(23)
	v_mul_f32_e32 v131, v124, v195
	v_fma_f32 v5, v113, v190, -v5
	s_waitcnt vmcnt(20)
	v_fmac_f32_e32 v131, v125, v198
	v_add_f32_e32 v4, v4, v5
	v_mul_f32_e32 v5, v116, v189
	v_add_f32_e32 v130, v130, v131
	s_waitcnt lgkmcnt(0)
	v_mul_f32_e32 v131, v126, v197
	v_fma_f32 v5, v115, v188, -v5
	v_fmac_f32_e32 v131, v127, v196
	v_add_f32_e32 v4, v4, v5
	v_mul_f32_e32 v5, v118, v192
	v_add_f32_e32 v134, v130, v131
	ds_read2_b64 v[130:133], v1 offset0:115 offset1:116
	v_fma_f32 v5, v117, v191, -v5
	v_add_f32_e32 v4, v4, v5
	v_mul_f32_e32 v5, v123, v194
	s_waitcnt vmcnt(18)
	v_mul_f32_e32 v135, v128, v200
	v_fma_f32 v5, v122, v193, -v5
	v_fmac_f32_e32 v135, v129, v199
	v_add_f32_e32 v4, v4, v5
	v_mul_f32_e32 v5, v125, v195
	v_add_f32_e32 v138, v134, v135
	ds_read2_b64 v[134:137], v1 offset0:117 offset1:118
	v_fma_f32 v5, v124, v198, -v5
	s_waitcnt vmcnt(16) lgkmcnt(1)
	v_mul_f32_e32 v139, v130, v202
	v_add_f32_e32 v4, v4, v5
	v_mul_f32_e32 v5, v127, v197
	v_fmac_f32_e32 v139, v131, v201
	v_fma_f32 v5, v126, v196, -v5
	v_add_f32_e32 v138, v138, v139
	s_waitcnt vmcnt(15)
	v_mul_f32_e32 v139, v132, v203
	v_add_f32_e32 v4, v4, v5
	v_mul_f32_e32 v5, v129, v200
	s_waitcnt vmcnt(12)
	v_fmac_f32_e32 v139, v133, v206
	v_fma_f32 v5, v128, v199, -v5
	v_add_f32_e32 v138, v138, v139
	s_waitcnt lgkmcnt(0)
	v_mul_f32_e32 v139, v134, v205
	v_add_f32_e32 v4, v4, v5
	v_mul_f32_e32 v5, v131, v202
	v_fmac_f32_e32 v139, v135, v204
	v_fma_f32 v5, v130, v201, -v5
	v_add_f32_e32 v142, v138, v139
	ds_read2_b64 v[138:141], v1 offset0:119 offset1:120
	v_add_f32_e32 v4, v4, v5
	v_mul_f32_e32 v5, v133, v203
	v_fma_f32 v5, v132, v206, -v5
	v_add_f32_e32 v4, v4, v5
	v_mul_f32_e32 v5, v135, v205
	s_waitcnt vmcnt(10)
	v_mul_f32_e32 v143, v136, v208
	v_fma_f32 v5, v134, v204, -v5
	v_fmac_f32_e32 v143, v137, v207
	v_add_f32_e32 v4, v4, v5
	v_mul_f32_e32 v5, v137, v208
	v_add_f32_e32 v146, v142, v143
	ds_read2_b64 v[142:145], v1 offset0:121 offset1:122
	s_waitcnt vmcnt(8) lgkmcnt(1)
	v_mul_f32_e32 v147, v138, v210
	v_fma_f32 v5, v136, v207, -v5
	v_fmac_f32_e32 v147, v139, v209
	v_add_f32_e32 v4, v4, v5
	v_mul_f32_e32 v5, v139, v210
	v_add_f32_e32 v146, v146, v147
	s_waitcnt vmcnt(7)
	v_mul_f32_e32 v147, v140, v211
	v_fma_f32 v5, v138, v209, -v5
	s_waitcnt vmcnt(4)
	v_fmac_f32_e32 v147, v141, v214
	v_add_f32_e32 v4, v4, v5
	v_mul_f32_e32 v5, v141, v211
	v_add_f32_e32 v219, v146, v147
	ds_read_b64 v[146:147], v1 offset:984
	v_fma_f32 v5, v140, v214, -v5
	v_add_f32_e32 v4, v4, v5
	s_waitcnt lgkmcnt(1)
	v_mul_f32_e32 v5, v143, v213
	v_mul_f32_e32 v220, v142, v213
	v_fma_f32 v5, v142, v212, -v5
	v_fmac_f32_e32 v220, v143, v212
	v_add_f32_e32 v4, v4, v5
	s_waitcnt vmcnt(3)
	v_mul_f32_e32 v5, v145, v215
	v_add_f32_e32 v219, v219, v220
	v_mul_f32_e32 v220, v144, v215
	s_waitcnt vmcnt(0)
	v_fma_f32 v5, v144, v218, -v5
	v_fmac_f32_e32 v220, v145, v218
	v_add_f32_e32 v4, v4, v5
	s_waitcnt lgkmcnt(0)
	v_mul_f32_e32 v5, v147, v217
	v_add_f32_e32 v219, v219, v220
	v_mul_f32_e32 v220, v146, v217
	v_fma_f32 v5, v146, v216, -v5
	v_fmac_f32_e32 v220, v147, v216
	v_add_f32_e32 v4, v4, v5
	v_add_f32_e32 v219, v219, v220
	v_sub_f32_e32 v2, v2, v4
	v_sub_f32_e32 v3, v3, v219
	buffer_store_dword v2, off, s[0:3], 0 offset:64
	buffer_store_dword v3, off, s[0:3], 0 offset:68
	s_and_saveexec_b64 s[4:5], vcc
	s_cbranch_execz .LBB125_371
; %bb.370:
	buffer_load_dword v2, off, s[0:3], 0 offset:56
	buffer_load_dword v3, off, s[0:3], 0 offset:60
	s_waitcnt vmcnt(0)
	ds_write_b64 v25, v[2:3]
	buffer_store_dword v1, off, s[0:3], 0 offset:56
	buffer_store_dword v1, off, s[0:3], 0 offset:60
.LBB125_371:
	s_or_b64 exec, exec, s[4:5]
	s_waitcnt lgkmcnt(0)
	; wave barrier
	buffer_load_dword v10, off, s[0:3], 0 offset:68
	buffer_load_dword v9, off, s[0:3], 0 offset:76
	buffer_load_dword v8, off, s[0:3], 0 offset:84
	buffer_load_dword v7, off, s[0:3], 0 offset:92
	buffer_load_dword v6, off, s[0:3], 0 offset:100
	buffer_load_dword v3, off, s[0:3], 0 offset:108
	buffer_load_dword v2, off, s[0:3], 0 offset:116
	buffer_load_dword v11, off, s[0:3], 0 offset:124
	buffer_load_dword v12, off, s[0:3], 0 offset:132
	buffer_load_dword v13, off, s[0:3], 0 offset:140
	buffer_load_dword v14, off, s[0:3], 0 offset:148
	buffer_load_dword v21, off, s[0:3], 0 offset:80
	buffer_load_dword v24, off, s[0:3], 0 offset:72
	buffer_load_dword v27, off, s[0:3], 0 offset:64
	buffer_load_dword v17, off, s[0:3], 0 offset:112
	buffer_load_dword v20, off, s[0:3], 0 offset:104
	buffer_load_dword v23, off, s[0:3], 0 offset:96
	buffer_load_dword v26, off, s[0:3], 0 offset:88
	buffer_load_dword v15, off, s[0:3], 0 offset:144
	buffer_load_dword v16, off, s[0:3], 0 offset:136
	buffer_load_dword v19, off, s[0:3], 0 offset:128
	buffer_load_dword v22, off, s[0:3], 0 offset:120
	buffer_load_dword v18, off, s[0:3], 0 offset:156
	buffer_load_dword v28, off, s[0:3], 0 offset:176
	buffer_load_dword v29, off, s[0:3], 0 offset:168
	buffer_load_dword v31, off, s[0:3], 0 offset:160
	buffer_load_dword v34, off, s[0:3], 0 offset:152
	buffer_load_dword v33, off, s[0:3], 0 offset:164
	buffer_load_dword v32, off, s[0:3], 0 offset:172
	buffer_load_dword v30, off, s[0:3], 0 offset:180
	buffer_load_dword v35, off, s[0:3], 0 offset:188
	buffer_load_dword v146, off, s[0:3], 0 offset:200
	buffer_load_dword v147, off, s[0:3], 0 offset:204
	buffer_load_dword v148, off, s[0:3], 0 offset:208
	buffer_load_dword v149, off, s[0:3], 0 offset:212
	buffer_load_dword v150, off, s[0:3], 0 offset:192
	buffer_load_dword v151, off, s[0:3], 0 offset:184
	buffer_load_dword v152, off, s[0:3], 0 offset:196
	buffer_load_dword v4, off, s[0:3], 0 offset:56
	buffer_load_dword v5, off, s[0:3], 0 offset:60
	ds_read_b128 v[36:39], v1 offset:560
	ds_read_b128 v[40:43], v1 offset:576
	;; [unrolled: 1-line block ×6, first 2 shown]
	buffer_load_dword v153, off, s[0:3], 0 offset:216
	buffer_load_dword v154, off, s[0:3], 0 offset:220
	;; [unrolled: 1-line block ×12, first 2 shown]
	v_cmp_lt_u32_e32 vcc, 6, v0
	s_waitcnt vmcnt(51) lgkmcnt(5)
	v_mul_f32_e32 v60, v36, v10
	s_waitcnt vmcnt(50)
	v_mul_f32_e32 v61, v38, v9
	s_waitcnt vmcnt(49) lgkmcnt(4)
	v_mul_f32_e32 v62, v40, v8
	s_waitcnt vmcnt(48)
	v_mul_f32_e32 v63, v42, v7
	;; [unrolled: 4-line block ×5, first 2 shown]
	s_waitcnt vmcnt(41) lgkmcnt(0)
	v_mul_f32_e32 v70, v56, v14
	s_waitcnt vmcnt(40)
	v_fmac_f32_e32 v62, v41, v21
	s_waitcnt vmcnt(39)
	v_fmac_f32_e32 v61, v39, v24
	;; [unrolled: 2-line block ×3, first 2 shown]
	v_add_f32_e32 v60, 0, v60
	v_add_f32_e32 v60, v60, v61
	;; [unrolled: 1-line block ×3, first 2 shown]
	s_waitcnt vmcnt(34)
	v_fmac_f32_e32 v63, v43, v26
	v_fmac_f32_e32 v64, v45, v23
	v_add_f32_e32 v60, v60, v63
	v_fmac_f32_e32 v65, v47, v20
	v_add_f32_e32 v60, v60, v64
	;; [unrolled: 2-line block ×3, first 2 shown]
	s_waitcnt vmcnt(30)
	v_fmac_f32_e32 v67, v51, v22
	v_add_f32_e32 v60, v60, v66
	v_fmac_f32_e32 v68, v53, v19
	v_add_f32_e32 v60, v60, v67
	;; [unrolled: 2-line block ×4, first 2 shown]
	s_waitcnt vmcnt(29)
	v_mul_f32_e32 v65, v58, v18
	v_add_f32_e32 v64, v60, v70
	s_waitcnt vmcnt(25)
	v_fmac_f32_e32 v65, v59, v34
	ds_read_b128 v[60:63], v1 offset:656
	v_add_f32_e32 v68, v64, v65
	ds_read_b128 v[64:67], v1 offset:672
	buffer_load_dword v165, off, s[0:3], 0 offset:268
	buffer_load_dword v166, off, s[0:3], 0 offset:264
	;; [unrolled: 1-line block ×6, first 2 shown]
	s_waitcnt vmcnt(30) lgkmcnt(1)
	v_mul_f32_e32 v69, v60, v33
	v_fmac_f32_e32 v69, v61, v31
	v_add_f32_e32 v68, v68, v69
	s_waitcnt vmcnt(29)
	v_mul_f32_e32 v69, v62, v32
	v_fmac_f32_e32 v69, v63, v29
	v_add_f32_e32 v68, v68, v69
	s_waitcnt vmcnt(28) lgkmcnt(0)
	v_mul_f32_e32 v69, v64, v30
	v_fmac_f32_e32 v69, v65, v28
	v_add_f32_e32 v72, v68, v69
	ds_read_b128 v[68:71], v1 offset:688
	s_waitcnt vmcnt(27)
	v_mul_f32_e32 v73, v66, v35
	s_waitcnt vmcnt(21)
	v_fmac_f32_e32 v73, v67, v151
	v_add_f32_e32 v76, v72, v73
	ds_read_b128 v[72:75], v1 offset:704
	s_waitcnt vmcnt(20) lgkmcnt(1)
	v_mul_f32_e32 v77, v68, v152
	v_fmac_f32_e32 v77, v69, v150
	buffer_load_dword v171, off, s[0:3], 0 offset:292
	v_add_f32_e32 v76, v76, v77
	v_mul_f32_e32 v77, v70, v147
	v_fmac_f32_e32 v77, v71, v146
	v_add_f32_e32 v76, v76, v77
	s_waitcnt lgkmcnt(0)
	v_mul_f32_e32 v77, v72, v149
	buffer_load_dword v172, off, s[0:3], 0 offset:288
	buffer_load_dword v173, off, s[0:3], 0 offset:296
	;; [unrolled: 1-line block ×3, first 2 shown]
	v_fmac_f32_e32 v77, v73, v148
	v_add_f32_e32 v80, v76, v77
	ds_read_b128 v[76:79], v1 offset:720
	buffer_load_dword v175, off, s[0:3], 0 offset:304
	buffer_load_dword v176, off, s[0:3], 0 offset:308
	s_waitcnt vmcnt(22)
	v_mul_f32_e32 v81, v74, v154
	v_fmac_f32_e32 v81, v75, v153
	v_add_f32_e32 v84, v80, v81
	ds_read_b128 v[80:83], v1 offset:736
	buffer_load_dword v177, off, s[0:3], 0 offset:312
	buffer_load_dword v178, off, s[0:3], 0 offset:316
	;; [unrolled: 1-line block ×8, first 2 shown]
	s_waitcnt vmcnt(28) lgkmcnt(1)
	v_mul_f32_e32 v85, v76, v156
	buffer_load_dword v185, off, s[0:3], 0 offset:344
	buffer_load_dword v186, off, s[0:3], 0 offset:348
	v_fmac_f32_e32 v85, v77, v155
	v_add_f32_e32 v84, v84, v85
	s_waitcnt vmcnt(28)
	v_mul_f32_e32 v85, v78, v158
	v_fmac_f32_e32 v85, v79, v157
	v_add_f32_e32 v84, v84, v85
	s_waitcnt vmcnt(26) lgkmcnt(0)
	v_mul_f32_e32 v85, v80, v160
	v_fmac_f32_e32 v85, v81, v159
	v_add_f32_e32 v88, v84, v85
	ds_read_b128 v[84:87], v1 offset:752
	buffer_load_dword v187, off, s[0:3], 0 offset:352
	buffer_load_dword v188, off, s[0:3], 0 offset:356
	;; [unrolled: 1-line block ×6, first 2 shown]
	s_waitcnt vmcnt(30)
	v_mul_f32_e32 v89, v82, v162
	v_fmac_f32_e32 v89, v83, v161
	v_add_f32_e32 v92, v88, v89
	ds_read_b128 v[88:91], v1 offset:768
	buffer_load_dword v193, off, s[0:3], 0 offset:376
	buffer_load_dword v194, off, s[0:3], 0 offset:380
	;; [unrolled: 1-line block ×10, first 2 shown]
	v_mul_f32_e32 v10, v37, v10
	s_waitcnt vmcnt(38) lgkmcnt(1)
	v_mul_f32_e32 v93, v84, v164
	buffer_load_dword v203, off, s[0:3], 0 offset:416
	buffer_load_dword v204, off, s[0:3], 0 offset:420
	;; [unrolled: 1-line block ×6, first 2 shown]
	v_fma_f32 v10, v36, v27, -v10
	v_mul_f32_e32 v9, v39, v9
	v_fmac_f32_e32 v93, v85, v163
	v_add_f32_e32 v10, 0, v10
	v_fma_f32 v9, v38, v24, -v9
	v_mul_f32_e32 v8, v41, v8
	v_add_f32_e32 v92, v92, v93
	v_add_f32_e32 v9, v10, v9
	v_fma_f32 v8, v40, v21, -v8
	v_mul_f32_e32 v7, v43, v7
	v_add_f32_e32 v8, v9, v8
	v_fma_f32 v7, v42, v26, -v7
	v_mul_f32_e32 v6, v45, v6
	;; [unrolled: 3-line block ×4, first 2 shown]
	v_add_f32_e32 v3, v6, v3
	s_waitcnt vmcnt(43)
	v_mul_f32_e32 v93, v86, v165
	s_waitcnt vmcnt(42)
	v_fmac_f32_e32 v93, v87, v166
	v_add_f32_e32 v92, v92, v93
	s_waitcnt vmcnt(40) lgkmcnt(0)
	v_mul_f32_e32 v93, v88, v168
	v_fmac_f32_e32 v93, v89, v167
	v_add_f32_e32 v96, v92, v93
	ds_read_b128 v[92:95], v1 offset:784
	buffer_load_dword v209, off, s[0:3], 0 offset:440
	buffer_load_dword v210, off, s[0:3], 0 offset:444
	v_fma_f32 v2, v48, v17, -v2
	v_add_f32_e32 v2, v3, v2
	v_mul_f32_e32 v3, v51, v11
	v_fma_f32 v3, v50, v22, -v3
	s_waitcnt vmcnt(40)
	v_mul_f32_e32 v97, v90, v170
	v_add_f32_e32 v2, v2, v3
	v_mul_f32_e32 v3, v53, v12
	v_fmac_f32_e32 v97, v91, v169
	v_fma_f32 v3, v52, v19, -v3
	v_add_f32_e32 v100, v96, v97
	ds_read_b128 v[96:99], v1 offset:800
	buffer_load_dword v211, off, s[0:3], 0 offset:448
	buffer_load_dword v212, off, s[0:3], 0 offset:452
	;; [unrolled: 1-line block ×6, first 2 shown]
	v_add_f32_e32 v2, v2, v3
	v_mul_f32_e32 v3, v55, v13
	v_fma_f32 v3, v54, v16, -v3
	v_add_f32_e32 v2, v2, v3
	v_mul_f32_e32 v3, v57, v14
	v_fma_f32 v3, v56, v15, -v3
	;; [unrolled: 3-line block ×3, first 2 shown]
	v_add_f32_e32 v2, v2, v3
	v_mul_f32_e32 v3, v61, v33
	buffer_load_dword v217, off, s[0:3], 0 offset:472
	buffer_load_dword v218, off, s[0:3], 0 offset:476
	;; [unrolled: 1-line block ×6, first 2 shown]
	v_fma_f32 v3, v60, v31, -v3
	v_add_f32_e32 v2, v2, v3
	v_mul_f32_e32 v3, v63, v32
	v_fma_f32 v3, v62, v29, -v3
	v_add_f32_e32 v2, v2, v3
	v_mul_f32_e32 v3, v65, v30
	;; [unrolled: 3-line block ×7, first 2 shown]
	v_fma_f32 v3, v74, v153, -v3
	s_waitcnt vmcnt(51) lgkmcnt(1)
	v_mul_f32_e32 v101, v92, v171
	v_add_f32_e32 v2, v2, v3
	v_mul_f32_e32 v3, v77, v156
	s_waitcnt vmcnt(50)
	v_fmac_f32_e32 v101, v93, v172
	v_fma_f32 v3, v76, v155, -v3
	v_add_f32_e32 v100, v100, v101
	s_waitcnt vmcnt(48)
	v_mul_f32_e32 v101, v94, v174
	v_add_f32_e32 v2, v2, v3
	v_mul_f32_e32 v3, v79, v158
	v_fmac_f32_e32 v101, v95, v173
	v_fma_f32 v3, v78, v157, -v3
	v_add_f32_e32 v100, v100, v101
	s_waitcnt vmcnt(46) lgkmcnt(0)
	v_mul_f32_e32 v101, v96, v176
	v_add_f32_e32 v2, v2, v3
	v_mul_f32_e32 v3, v81, v160
	v_fmac_f32_e32 v101, v97, v175
	v_fma_f32 v3, v80, v159, -v3
	v_add_f32_e32 v104, v100, v101
	ds_read_b128 v[100:103], v1 offset:816
	v_add_f32_e32 v2, v2, v3
	v_mul_f32_e32 v3, v83, v162
	v_fma_f32 v3, v82, v161, -v3
	s_waitcnt vmcnt(44)
	v_mul_f32_e32 v105, v98, v178
	v_add_f32_e32 v2, v2, v3
	v_mul_f32_e32 v3, v85, v164
	v_fmac_f32_e32 v105, v99, v177
	v_fma_f32 v3, v84, v163, -v3
	v_add_f32_e32 v108, v104, v105
	ds_read_b128 v[104:107], v1 offset:832
	v_add_f32_e32 v2, v2, v3
	v_mul_f32_e32 v3, v87, v165
	s_waitcnt vmcnt(42) lgkmcnt(1)
	v_mul_f32_e32 v109, v100, v180
	v_fma_f32 v3, v86, v166, -v3
	v_fmac_f32_e32 v109, v101, v179
	v_add_f32_e32 v2, v2, v3
	v_mul_f32_e32 v3, v89, v168
	v_add_f32_e32 v108, v108, v109
	s_waitcnt vmcnt(41)
	v_mul_f32_e32 v109, v102, v181
	v_fma_f32 v3, v88, v167, -v3
	s_waitcnt vmcnt(38)
	v_fmac_f32_e32 v109, v103, v184
	v_add_f32_e32 v2, v2, v3
	v_mul_f32_e32 v3, v91, v170
	v_add_f32_e32 v108, v108, v109
	s_waitcnt lgkmcnt(0)
	v_mul_f32_e32 v109, v104, v183
	v_fma_f32 v3, v90, v169, -v3
	v_fmac_f32_e32 v109, v105, v182
	v_add_f32_e32 v2, v2, v3
	v_mul_f32_e32 v3, v93, v171
	v_add_f32_e32 v112, v108, v109
	ds_read_b128 v[108:111], v1 offset:848
	v_fma_f32 v3, v92, v172, -v3
	v_add_f32_e32 v2, v2, v3
	v_mul_f32_e32 v3, v95, v174
	s_waitcnt vmcnt(36)
	v_mul_f32_e32 v113, v106, v186
	v_fma_f32 v3, v94, v173, -v3
	v_fmac_f32_e32 v113, v107, v185
	v_add_f32_e32 v2, v2, v3
	v_mul_f32_e32 v3, v97, v176
	v_add_f32_e32 v116, v112, v113
	ds_read_b128 v[112:115], v1 offset:864
	v_fma_f32 v3, v96, v175, -v3
	s_waitcnt vmcnt(34) lgkmcnt(1)
	v_mul_f32_e32 v117, v108, v188
	v_add_f32_e32 v2, v2, v3
	v_mul_f32_e32 v3, v99, v178
	v_fmac_f32_e32 v117, v109, v187
	v_fma_f32 v3, v98, v177, -v3
	v_add_f32_e32 v116, v116, v117
	s_waitcnt vmcnt(33)
	v_mul_f32_e32 v117, v110, v189
	v_add_f32_e32 v2, v2, v3
	v_mul_f32_e32 v3, v101, v180
	s_waitcnt vmcnt(30)
	v_fmac_f32_e32 v117, v111, v192
	v_fma_f32 v3, v100, v179, -v3
	v_add_f32_e32 v116, v116, v117
	s_waitcnt lgkmcnt(0)
	v_mul_f32_e32 v117, v112, v191
	v_add_f32_e32 v2, v2, v3
	v_mul_f32_e32 v3, v103, v181
	v_fmac_f32_e32 v117, v113, v190
	v_fma_f32 v3, v102, v184, -v3
	v_add_f32_e32 v122, v116, v117
	ds_read_b128 v[116:119], v1 offset:880
	v_add_f32_e32 v2, v2, v3
	v_mul_f32_e32 v3, v105, v183
	v_fma_f32 v3, v104, v182, -v3
	s_waitcnt vmcnt(28)
	v_mul_f32_e32 v123, v114, v194
	v_add_f32_e32 v2, v2, v3
	v_mul_f32_e32 v3, v107, v186
	v_fmac_f32_e32 v123, v115, v193
	v_fma_f32 v3, v106, v185, -v3
	v_add_f32_e32 v126, v122, v123
	ds_read_b128 v[122:125], v1 offset:896
	v_add_f32_e32 v2, v2, v3
	v_mul_f32_e32 v3, v109, v188
	s_waitcnt vmcnt(26) lgkmcnt(1)
	v_mul_f32_e32 v127, v116, v196
	v_fma_f32 v3, v108, v187, -v3
	v_fmac_f32_e32 v127, v117, v195
	v_add_f32_e32 v2, v2, v3
	v_mul_f32_e32 v3, v111, v189
	v_add_f32_e32 v126, v126, v127
	s_waitcnt vmcnt(25)
	v_mul_f32_e32 v127, v118, v197
	v_fma_f32 v3, v110, v192, -v3
	s_waitcnt vmcnt(22)
	v_fmac_f32_e32 v127, v119, v200
	v_add_f32_e32 v2, v2, v3
	v_mul_f32_e32 v3, v113, v191
	v_add_f32_e32 v126, v126, v127
	s_waitcnt lgkmcnt(0)
	v_mul_f32_e32 v127, v122, v199
	v_fma_f32 v3, v112, v190, -v3
	v_fmac_f32_e32 v127, v123, v198
	v_add_f32_e32 v2, v2, v3
	v_mul_f32_e32 v3, v115, v194
	v_add_f32_e32 v130, v126, v127
	ds_read_b128 v[126:129], v1 offset:912
	v_fma_f32 v3, v114, v193, -v3
	v_add_f32_e32 v2, v2, v3
	v_mul_f32_e32 v3, v117, v196
	s_waitcnt vmcnt(20)
	v_mul_f32_e32 v131, v124, v202
	v_fma_f32 v3, v116, v195, -v3
	v_fmac_f32_e32 v131, v125, v201
	v_add_f32_e32 v2, v2, v3
	v_mul_f32_e32 v3, v119, v197
	v_add_f32_e32 v134, v130, v131
	ds_read_b128 v[130:133], v1 offset:928
	v_fma_f32 v3, v118, v200, -v3
	s_waitcnt vmcnt(18) lgkmcnt(1)
	v_mul_f32_e32 v135, v126, v204
	v_add_f32_e32 v2, v2, v3
	v_mul_f32_e32 v3, v123, v199
	v_fmac_f32_e32 v135, v127, v203
	v_fma_f32 v3, v122, v198, -v3
	v_add_f32_e32 v134, v134, v135
	s_waitcnt vmcnt(17)
	v_mul_f32_e32 v135, v128, v205
	v_add_f32_e32 v2, v2, v3
	v_mul_f32_e32 v3, v125, v202
	s_waitcnt vmcnt(14)
	v_fmac_f32_e32 v135, v129, v208
	v_fma_f32 v3, v124, v201, -v3
	v_add_f32_e32 v134, v134, v135
	s_waitcnt lgkmcnt(0)
	v_mul_f32_e32 v135, v130, v207
	v_add_f32_e32 v2, v2, v3
	v_mul_f32_e32 v3, v127, v204
	v_fmac_f32_e32 v135, v131, v206
	v_fma_f32 v3, v126, v203, -v3
	v_add_f32_e32 v138, v134, v135
	ds_read_b128 v[134:137], v1 offset:944
	v_add_f32_e32 v2, v2, v3
	v_mul_f32_e32 v3, v129, v205
	v_fma_f32 v3, v128, v208, -v3
	v_add_f32_e32 v2, v2, v3
	v_mul_f32_e32 v3, v131, v207
	s_waitcnt vmcnt(12)
	v_mul_f32_e32 v139, v132, v210
	v_fma_f32 v3, v130, v206, -v3
	v_fmac_f32_e32 v139, v133, v209
	v_add_f32_e32 v2, v2, v3
	v_mul_f32_e32 v3, v133, v210
	v_add_f32_e32 v142, v138, v139
	ds_read_b128 v[138:141], v1 offset:960
	s_waitcnt vmcnt(10) lgkmcnt(1)
	v_mul_f32_e32 v143, v134, v212
	v_fma_f32 v3, v132, v209, -v3
	v_fmac_f32_e32 v143, v135, v211
	v_add_f32_e32 v2, v2, v3
	v_mul_f32_e32 v3, v135, v212
	v_add_f32_e32 v142, v142, v143
	s_waitcnt vmcnt(9)
	v_mul_f32_e32 v143, v136, v213
	v_fma_f32 v3, v134, v211, -v3
	s_waitcnt vmcnt(6)
	v_fmac_f32_e32 v143, v137, v216
	v_add_f32_e32 v2, v2, v3
	v_mul_f32_e32 v3, v137, v213
	v_add_f32_e32 v223, v142, v143
	ds_read_b128 v[142:145], v1 offset:976
	v_fma_f32 v3, v136, v216, -v3
	v_add_f32_e32 v2, v2, v3
	s_waitcnt lgkmcnt(1)
	v_mul_f32_e32 v3, v139, v215
	v_mul_f32_e32 v224, v138, v215
	v_fma_f32 v3, v138, v214, -v3
	v_fmac_f32_e32 v224, v139, v214
	v_add_f32_e32 v2, v2, v3
	s_waitcnt vmcnt(4)
	v_mul_f32_e32 v3, v141, v218
	v_add_f32_e32 v1, v223, v224
	v_mul_f32_e32 v223, v140, v218
	v_fma_f32 v3, v140, v217, -v3
	v_fmac_f32_e32 v223, v141, v217
	v_add_f32_e32 v2, v2, v3
	s_waitcnt vmcnt(3) lgkmcnt(0)
	v_mul_f32_e32 v3, v143, v219
	v_add_f32_e32 v1, v1, v223
	v_mul_f32_e32 v223, v142, v219
	s_waitcnt vmcnt(0)
	v_fma_f32 v3, v142, v222, -v3
	v_fmac_f32_e32 v223, v143, v222
	v_add_f32_e32 v2, v2, v3
	v_mul_f32_e32 v3, v145, v221
	v_add_f32_e32 v1, v1, v223
	v_mul_f32_e32 v223, v144, v221
	v_fma_f32 v3, v144, v220, -v3
	v_fmac_f32_e32 v223, v145, v220
	v_add_f32_e32 v2, v2, v3
	v_add_f32_e32 v1, v1, v223
	v_sub_f32_e32 v2, v4, v2
	v_sub_f32_e32 v1, v5, v1
	buffer_store_dword v2, off, s[0:3], 0 offset:56
	buffer_store_dword v1, off, s[0:3], 0 offset:60
	s_and_saveexec_b64 s[4:5], vcc
	s_cbranch_execz .LBB125_373
; %bb.372:
	buffer_load_dword v1, off, s[0:3], 0 offset:48
	buffer_load_dword v2, off, s[0:3], 0 offset:52
	v_mov_b32_e32 v3, 0
	buffer_store_dword v3, off, s[0:3], 0 offset:48
	buffer_store_dword v3, off, s[0:3], 0 offset:52
	s_waitcnt vmcnt(2)
	ds_write_b64 v25, v[1:2]
.LBB125_373:
	s_or_b64 exec, exec, s[4:5]
	s_waitcnt lgkmcnt(0)
	; wave barrier
	buffer_load_dword v10, off, s[0:3], 0 offset:60
	buffer_load_dword v9, off, s[0:3], 0 offset:68
	;; [unrolled: 1-line block ×52, first 2 shown]
	v_mov_b32_e32 v1, 0
	ds_read2_b64 v[42:45], v1 offset0:69 offset1:70
	ds_read2_b64 v[46:49], v1 offset0:71 offset1:72
	;; [unrolled: 1-line block ×6, first 2 shown]
	buffer_load_dword v167, off, s[0:3], 0 offset:256
	buffer_load_dword v168, off, s[0:3], 0 offset:260
	v_cmp_lt_u32_e32 vcc, 5, v0
	s_waitcnt vmcnt(53) lgkmcnt(5)
	v_mul_f32_e32 v66, v42, v10
	s_waitcnt vmcnt(52)
	v_mul_f32_e32 v67, v44, v9
	s_waitcnt vmcnt(51) lgkmcnt(4)
	v_mul_f32_e32 v68, v46, v8
	s_waitcnt vmcnt(50)
	v_mul_f32_e32 v69, v48, v7
	;; [unrolled: 4-line block ×5, first 2 shown]
	s_waitcnt vmcnt(43) lgkmcnt(0)
	v_mul_f32_e32 v76, v62, v14
	s_waitcnt vmcnt(42)
	v_fmac_f32_e32 v68, v47, v21
	s_waitcnt vmcnt(41)
	v_fmac_f32_e32 v67, v45, v24
	;; [unrolled: 2-line block ×3, first 2 shown]
	v_add_f32_e32 v66, 0, v66
	v_add_f32_e32 v66, v66, v67
	;; [unrolled: 1-line block ×3, first 2 shown]
	s_waitcnt vmcnt(36)
	v_fmac_f32_e32 v69, v49, v26
	v_fmac_f32_e32 v70, v51, v23
	v_add_f32_e32 v66, v66, v69
	v_fmac_f32_e32 v71, v53, v20
	v_add_f32_e32 v66, v66, v70
	;; [unrolled: 2-line block ×3, first 2 shown]
	s_waitcnt vmcnt(32)
	v_fmac_f32_e32 v73, v57, v22
	v_add_f32_e32 v66, v66, v72
	v_fmac_f32_e32 v74, v59, v19
	v_add_f32_e32 v66, v66, v73
	;; [unrolled: 2-line block ×3, first 2 shown]
	v_add_f32_e32 v66, v66, v75
	v_fmac_f32_e32 v76, v63, v15
	v_add_f32_e32 v70, v66, v76
	ds_read2_b64 v[66:69], v1 offset0:81 offset1:82
	buffer_load_dword v169, off, s[0:3], 0 offset:264
	buffer_load_dword v170, off, s[0:3], 0 offset:268
	s_waitcnt vmcnt(33)
	v_mul_f32_e32 v71, v64, v18
	s_waitcnt vmcnt(28)
	v_fmac_f32_e32 v71, v65, v35
	v_add_f32_e32 v74, v70, v71
	ds_read2_b64 v[70:73], v1 offset0:83 offset1:84
	buffer_load_dword v171, off, s[0:3], 0 offset:272
	buffer_load_dword v172, off, s[0:3], 0 offset:276
	s_waitcnt vmcnt(29) lgkmcnt(1)
	v_mul_f32_e32 v75, v66, v33
	v_fmac_f32_e32 v75, v67, v31
	v_add_f32_e32 v74, v74, v75
	s_waitcnt vmcnt(28)
	v_mul_f32_e32 v75, v68, v32
	v_fmac_f32_e32 v75, v69, v30
	v_add_f32_e32 v74, v74, v75
	s_waitcnt lgkmcnt(0)
	v_mul_f32_e32 v75, v70, v29
	v_fmac_f32_e32 v75, v71, v28
	v_add_f32_e32 v78, v74, v75
	ds_read2_b64 v[74:77], v1 offset0:85 offset1:86
	s_waitcnt vmcnt(27)
	v_mul_f32_e32 v79, v72, v34
	s_waitcnt vmcnt(20)
	v_fmac_f32_e32 v79, v73, v154
	v_add_f32_e32 v82, v78, v79
	buffer_load_dword v173, off, s[0:3], 0 offset:280
	buffer_load_dword v174, off, s[0:3], 0 offset:284
	ds_read2_b64 v[78:81], v1 offset0:87 offset1:88
	s_waitcnt lgkmcnt(1)
	v_mul_f32_e32 v83, v74, v37
	v_fmac_f32_e32 v83, v75, v36
	v_add_f32_e32 v82, v82, v83
	v_mul_f32_e32 v83, v76, v39
	v_fmac_f32_e32 v83, v77, v38
	buffer_load_dword v175, off, s[0:3], 0 offset:292
	buffer_load_dword v176, off, s[0:3], 0 offset:288
	;; [unrolled: 1-line block ×4, first 2 shown]
	v_add_f32_e32 v82, v82, v83
	s_waitcnt lgkmcnt(0)
	v_mul_f32_e32 v83, v78, v41
	v_fmac_f32_e32 v83, v79, v40
	s_waitcnt vmcnt(22)
	v_mul_f32_e32 v87, v80, v156
	v_add_f32_e32 v86, v82, v83
	v_fmac_f32_e32 v87, v81, v155
	ds_read2_b64 v[82:85], v1 offset0:89 offset1:90
	v_add_f32_e32 v90, v86, v87
	ds_read2_b64 v[86:89], v1 offset0:91 offset1:92
	buffer_load_dword v179, off, s[0:3], 0 offset:304
	buffer_load_dword v180, off, s[0:3], 0 offset:308
	;; [unrolled: 1-line block ×8, first 2 shown]
	s_waitcnt vmcnt(28) lgkmcnt(1)
	v_mul_f32_e32 v91, v82, v158
	v_fmac_f32_e32 v91, v83, v157
	buffer_load_dword v187, off, s[0:3], 0 offset:336
	buffer_load_dword v188, off, s[0:3], 0 offset:340
	v_add_f32_e32 v90, v90, v91
	s_waitcnt vmcnt(28)
	v_mul_f32_e32 v91, v84, v160
	v_fmac_f32_e32 v91, v85, v159
	v_add_f32_e32 v90, v90, v91
	s_waitcnt vmcnt(26) lgkmcnt(0)
	v_mul_f32_e32 v91, v86, v162
	v_fmac_f32_e32 v91, v87, v161
	v_add_f32_e32 v94, v90, v91
	ds_read2_b64 v[90:93], v1 offset0:93 offset1:94
	buffer_load_dword v189, off, s[0:3], 0 offset:344
	buffer_load_dword v190, off, s[0:3], 0 offset:348
	;; [unrolled: 1-line block ×6, first 2 shown]
	s_waitcnt vmcnt(30)
	v_mul_f32_e32 v95, v88, v164
	v_fmac_f32_e32 v95, v89, v163
	v_add_f32_e32 v98, v94, v95
	ds_read2_b64 v[94:97], v1 offset0:95 offset1:96
	buffer_load_dword v195, off, s[0:3], 0 offset:368
	buffer_load_dword v196, off, s[0:3], 0 offset:372
	;; [unrolled: 1-line block ×8, first 2 shown]
	s_waitcnt vmcnt(36) lgkmcnt(1)
	v_mul_f32_e32 v99, v90, v166
	v_fmac_f32_e32 v99, v91, v165
	buffer_load_dword v203, off, s[0:3], 0 offset:400
	buffer_load_dword v204, off, s[0:3], 0 offset:404
	v_add_f32_e32 v98, v98, v99
	s_waitcnt vmcnt(36)
	v_mul_f32_e32 v99, v92, v168
	v_mul_f32_e32 v10, v43, v10
	v_fmac_f32_e32 v99, v93, v167
	v_fma_f32 v10, v42, v27, -v10
	v_mul_f32_e32 v9, v45, v9
	v_add_f32_e32 v98, v98, v99
	v_add_f32_e32 v10, 0, v10
	v_fma_f32 v9, v44, v24, -v9
	v_mul_f32_e32 v8, v47, v8
	v_add_f32_e32 v9, v10, v9
	v_fma_f32 v8, v46, v21, -v8
	v_mul_f32_e32 v7, v49, v7
	;; [unrolled: 3-line block ×4, first 2 shown]
	v_add_f32_e32 v6, v7, v6
	v_fma_f32 v5, v52, v20, -v5
	s_waitcnt vmcnt(34) lgkmcnt(0)
	v_mul_f32_e32 v99, v94, v170
	v_fmac_f32_e32 v99, v95, v169
	v_add_f32_e32 v102, v98, v99
	ds_read2_b64 v[98:101], v1 offset0:97 offset1:98
	buffer_load_dword v205, off, s[0:3], 0 offset:408
	buffer_load_dword v206, off, s[0:3], 0 offset:412
	;; [unrolled: 1-line block ×6, first 2 shown]
	s_waitcnt vmcnt(38)
	v_mul_f32_e32 v103, v96, v172
	v_fmac_f32_e32 v103, v97, v171
	v_mul_f32_e32 v4, v55, v4
	v_add_f32_e32 v106, v102, v103
	ds_read2_b64 v[102:105], v1 offset0:99 offset1:100
	buffer_load_dword v211, off, s[0:3], 0 offset:432
	buffer_load_dword v212, off, s[0:3], 0 offset:436
	v_add_f32_e32 v5, v6, v5
	v_fma_f32 v4, v54, v17, -v4
	v_add_f32_e32 v4, v5, v4
	v_mul_f32_e32 v5, v57, v11
	v_fma_f32 v5, v56, v22, -v5
	v_add_f32_e32 v4, v4, v5
	v_mul_f32_e32 v5, v59, v12
	v_fma_f32 v5, v58, v19, -v5
	buffer_load_dword v213, off, s[0:3], 0 offset:440
	buffer_load_dword v214, off, s[0:3], 0 offset:444
	;; [unrolled: 1-line block ×6, first 2 shown]
	v_add_f32_e32 v4, v4, v5
	v_mul_f32_e32 v5, v61, v13
	v_fma_f32 v5, v60, v16, -v5
	v_add_f32_e32 v4, v4, v5
	v_mul_f32_e32 v5, v63, v14
	buffer_load_dword v219, off, s[0:3], 0 offset:464
	buffer_load_dword v220, off, s[0:3], 0 offset:468
	v_fma_f32 v5, v62, v15, -v5
	v_add_f32_e32 v4, v4, v5
	v_mul_f32_e32 v5, v65, v18
	v_fma_f32 v5, v64, v35, -v5
	v_add_f32_e32 v4, v4, v5
	v_mul_f32_e32 v5, v67, v33
	;; [unrolled: 3-line block ×3, first 2 shown]
	buffer_load_dword v221, off, s[0:3], 0 offset:472
	buffer_load_dword v222, off, s[0:3], 0 offset:476
	;; [unrolled: 1-line block ×6, first 2 shown]
	v_fma_f32 v5, v68, v30, -v5
	v_add_f32_e32 v4, v4, v5
	v_mul_f32_e32 v5, v71, v29
	v_fma_f32 v5, v70, v28, -v5
	v_add_f32_e32 v4, v4, v5
	v_mul_f32_e32 v5, v73, v34
	;; [unrolled: 3-line block ×11, first 2 shown]
	s_waitcnt vmcnt(52) lgkmcnt(1)
	v_mul_f32_e32 v107, v98, v174
	v_fma_f32 v5, v90, v165, -v5
	v_fmac_f32_e32 v107, v99, v173
	v_add_f32_e32 v4, v4, v5
	v_mul_f32_e32 v5, v93, v168
	v_add_f32_e32 v106, v106, v107
	s_waitcnt vmcnt(51)
	v_mul_f32_e32 v107, v100, v175
	v_fma_f32 v5, v92, v167, -v5
	s_waitcnt vmcnt(50)
	v_fmac_f32_e32 v107, v101, v176
	v_add_f32_e32 v4, v4, v5
	v_mul_f32_e32 v5, v95, v170
	v_add_f32_e32 v106, v106, v107
	s_waitcnt vmcnt(48) lgkmcnt(0)
	v_mul_f32_e32 v107, v102, v178
	v_fma_f32 v5, v94, v169, -v5
	v_fmac_f32_e32 v107, v103, v177
	v_add_f32_e32 v4, v4, v5
	v_mul_f32_e32 v5, v97, v172
	v_add_f32_e32 v110, v106, v107
	ds_read2_b64 v[106:109], v1 offset0:101 offset1:102
	v_fma_f32 v5, v96, v171, -v5
	v_add_f32_e32 v4, v4, v5
	v_mul_f32_e32 v5, v99, v174
	s_waitcnt vmcnt(46)
	v_mul_f32_e32 v111, v104, v180
	v_fma_f32 v5, v98, v173, -v5
	v_fmac_f32_e32 v111, v105, v179
	v_add_f32_e32 v4, v4, v5
	v_mul_f32_e32 v5, v101, v175
	v_add_f32_e32 v114, v110, v111
	ds_read2_b64 v[110:113], v1 offset0:103 offset1:104
	v_fma_f32 v5, v100, v176, -v5
	s_waitcnt vmcnt(44) lgkmcnt(1)
	v_mul_f32_e32 v115, v106, v182
	v_add_f32_e32 v4, v4, v5
	v_mul_f32_e32 v5, v103, v178
	v_fmac_f32_e32 v115, v107, v181
	v_fma_f32 v5, v102, v177, -v5
	v_add_f32_e32 v114, v114, v115
	s_waitcnt vmcnt(43)
	v_mul_f32_e32 v115, v108, v183
	v_add_f32_e32 v4, v4, v5
	v_mul_f32_e32 v5, v105, v180
	s_waitcnt vmcnt(40)
	v_fmac_f32_e32 v115, v109, v186
	v_fma_f32 v5, v104, v179, -v5
	v_add_f32_e32 v114, v114, v115
	s_waitcnt lgkmcnt(0)
	v_mul_f32_e32 v115, v110, v185
	v_add_f32_e32 v4, v4, v5
	v_mul_f32_e32 v5, v107, v182
	v_fmac_f32_e32 v115, v111, v184
	v_fma_f32 v5, v106, v181, -v5
	v_add_f32_e32 v118, v114, v115
	ds_read2_b64 v[114:117], v1 offset0:105 offset1:106
	ds_read2_b64 v[122:125], v1 offset0:107 offset1:108
	v_add_f32_e32 v4, v4, v5
	v_mul_f32_e32 v5, v109, v183
	v_fma_f32 v5, v108, v186, -v5
	v_add_f32_e32 v4, v4, v5
	v_mul_f32_e32 v5, v111, v185
	s_waitcnt vmcnt(38)
	v_mul_f32_e32 v119, v112, v188
	v_fma_f32 v5, v110, v184, -v5
	v_fmac_f32_e32 v119, v113, v187
	v_add_f32_e32 v4, v4, v5
	v_mul_f32_e32 v5, v113, v188
	v_add_f32_e32 v118, v118, v119
	s_waitcnt vmcnt(36) lgkmcnt(1)
	v_mul_f32_e32 v119, v114, v190
	v_fma_f32 v5, v112, v187, -v5
	v_fmac_f32_e32 v119, v115, v189
	v_add_f32_e32 v4, v4, v5
	v_mul_f32_e32 v5, v115, v190
	v_add_f32_e32 v118, v118, v119
	s_waitcnt vmcnt(35)
	v_mul_f32_e32 v119, v116, v191
	v_fma_f32 v5, v114, v189, -v5
	s_waitcnt vmcnt(32)
	v_fmac_f32_e32 v119, v117, v194
	ds_read2_b64 v[126:129], v1 offset0:109 offset1:110
	ds_read2_b64 v[130:133], v1 offset0:111 offset1:112
	v_add_f32_e32 v4, v4, v5
	v_mul_f32_e32 v5, v117, v191
	v_add_f32_e32 v118, v118, v119
	s_waitcnt lgkmcnt(2)
	v_mul_f32_e32 v119, v122, v193
	v_fma_f32 v5, v116, v194, -v5
	v_fmac_f32_e32 v119, v123, v192
	v_add_f32_e32 v4, v4, v5
	v_mul_f32_e32 v5, v123, v193
	v_add_f32_e32 v118, v118, v119
	s_waitcnt vmcnt(30)
	v_mul_f32_e32 v119, v124, v196
	v_fma_f32 v5, v122, v192, -v5
	v_fmac_f32_e32 v119, v125, v195
	v_add_f32_e32 v4, v4, v5
	v_mul_f32_e32 v5, v125, v196
	v_add_f32_e32 v118, v118, v119
	s_waitcnt vmcnt(28) lgkmcnt(1)
	v_mul_f32_e32 v119, v126, v198
	v_fma_f32 v5, v124, v195, -v5
	v_fmac_f32_e32 v119, v127, v197
	v_add_f32_e32 v4, v4, v5
	v_mul_f32_e32 v5, v127, v198
	v_add_f32_e32 v118, v118, v119
	s_waitcnt vmcnt(27)
	v_mul_f32_e32 v119, v128, v199
	v_fma_f32 v5, v126, v197, -v5
	s_waitcnt vmcnt(24)
	v_fmac_f32_e32 v119, v129, v202
	ds_read2_b64 v[134:137], v1 offset0:113 offset1:114
	ds_read2_b64 v[138:141], v1 offset0:115 offset1:116
	v_add_f32_e32 v4, v4, v5
	v_mul_f32_e32 v5, v129, v199
	v_add_f32_e32 v118, v118, v119
	s_waitcnt lgkmcnt(2)
	v_mul_f32_e32 v119, v130, v201
	v_fma_f32 v5, v128, v202, -v5
	v_fmac_f32_e32 v119, v131, v200
	v_add_f32_e32 v4, v4, v5
	v_mul_f32_e32 v5, v131, v201
	v_add_f32_e32 v118, v118, v119
	s_waitcnt vmcnt(22)
	v_mul_f32_e32 v119, v132, v204
	v_fma_f32 v5, v130, v200, -v5
	v_fmac_f32_e32 v119, v133, v203
	v_add_f32_e32 v4, v4, v5
	v_mul_f32_e32 v5, v133, v204
	v_add_f32_e32 v118, v118, v119
	s_waitcnt vmcnt(20) lgkmcnt(1)
	v_mul_f32_e32 v119, v134, v206
	v_fma_f32 v5, v132, v203, -v5
	v_fmac_f32_e32 v119, v135, v205
	v_add_f32_e32 v4, v4, v5
	v_mul_f32_e32 v5, v135, v206
	v_add_f32_e32 v118, v118, v119
	s_waitcnt vmcnt(19)
	v_mul_f32_e32 v119, v136, v207
	v_fma_f32 v5, v134, v205, -v5
	s_waitcnt vmcnt(16)
	v_fmac_f32_e32 v119, v137, v210
	ds_read2_b64 v[142:145], v1 offset0:117 offset1:118
	ds_read2_b64 v[146:149], v1 offset0:119 offset1:120
	v_add_f32_e32 v4, v4, v5
	v_mul_f32_e32 v5, v137, v207
	v_add_f32_e32 v118, v118, v119
	s_waitcnt lgkmcnt(2)
	v_mul_f32_e32 v119, v138, v209
	v_fma_f32 v5, v136, v210, -v5
	v_fmac_f32_e32 v119, v139, v208
	v_add_f32_e32 v4, v4, v5
	v_mul_f32_e32 v5, v139, v209
	v_add_f32_e32 v118, v118, v119
	s_waitcnt vmcnt(14)
	v_mul_f32_e32 v119, v140, v212
	v_fma_f32 v5, v138, v208, -v5
	v_fmac_f32_e32 v119, v141, v211
	v_add_f32_e32 v4, v4, v5
	v_mul_f32_e32 v5, v141, v212
	v_add_f32_e32 v118, v118, v119
	s_waitcnt vmcnt(12) lgkmcnt(1)
	v_mul_f32_e32 v119, v142, v214
	v_fma_f32 v5, v140, v211, -v5
	v_fmac_f32_e32 v119, v143, v213
	v_add_f32_e32 v4, v4, v5
	v_mul_f32_e32 v5, v143, v214
	v_add_f32_e32 v118, v118, v119
	s_waitcnt vmcnt(11)
	v_mul_f32_e32 v119, v144, v215
	v_fma_f32 v5, v142, v213, -v5
	s_waitcnt vmcnt(8)
	v_fmac_f32_e32 v119, v145, v218
	v_add_f32_e32 v4, v4, v5
	v_mul_f32_e32 v5, v145, v215
	v_add_f32_e32 v118, v118, v119
	s_waitcnt lgkmcnt(0)
	v_mul_f32_e32 v119, v146, v217
	ds_read2_b64 v[150:153], v1 offset0:121 offset1:122
	v_fma_f32 v5, v144, v218, -v5
	v_fmac_f32_e32 v119, v147, v216
	v_add_f32_e32 v4, v4, v5
	v_mul_f32_e32 v5, v147, v217
	v_add_f32_e32 v118, v118, v119
	s_waitcnt vmcnt(6)
	v_mul_f32_e32 v119, v148, v220
	v_fma_f32 v5, v146, v216, -v5
	v_fmac_f32_e32 v119, v149, v219
	v_add_f32_e32 v4, v4, v5
	v_mul_f32_e32 v5, v149, v220
	v_add_f32_e32 v227, v118, v119
	ds_read_b64 v[118:119], v1 offset:984
	v_fma_f32 v5, v148, v219, -v5
	v_add_f32_e32 v4, v4, v5
	s_waitcnt vmcnt(4) lgkmcnt(1)
	v_mul_f32_e32 v5, v151, v222
	v_mul_f32_e32 v228, v150, v222
	v_fma_f32 v5, v150, v221, -v5
	v_fmac_f32_e32 v228, v151, v221
	v_add_f32_e32 v4, v4, v5
	s_waitcnt vmcnt(3)
	v_mul_f32_e32 v5, v153, v223
	v_add_f32_e32 v227, v227, v228
	v_mul_f32_e32 v228, v152, v223
	s_waitcnt vmcnt(0)
	v_fma_f32 v5, v152, v226, -v5
	v_fmac_f32_e32 v228, v153, v226
	v_add_f32_e32 v4, v4, v5
	s_waitcnt lgkmcnt(0)
	v_mul_f32_e32 v5, v119, v225
	v_add_f32_e32 v227, v227, v228
	v_mul_f32_e32 v228, v118, v225
	v_fma_f32 v5, v118, v224, -v5
	v_fmac_f32_e32 v228, v119, v224
	v_add_f32_e32 v4, v4, v5
	v_add_f32_e32 v227, v227, v228
	v_sub_f32_e32 v2, v2, v4
	v_sub_f32_e32 v3, v3, v227
	buffer_store_dword v2, off, s[0:3], 0 offset:48
	buffer_store_dword v3, off, s[0:3], 0 offset:52
	s_and_saveexec_b64 s[4:5], vcc
	s_cbranch_execz .LBB125_375
; %bb.374:
	buffer_load_dword v2, off, s[0:3], 0 offset:40
	buffer_load_dword v3, off, s[0:3], 0 offset:44
	s_waitcnt vmcnt(0)
	ds_write_b64 v25, v[2:3]
	buffer_store_dword v1, off, s[0:3], 0 offset:40
	buffer_store_dword v1, off, s[0:3], 0 offset:44
.LBB125_375:
	s_or_b64 exec, exec, s[4:5]
	s_waitcnt lgkmcnt(0)
	; wave barrier
	buffer_load_dword v10, off, s[0:3], 0 offset:52
	buffer_load_dword v9, off, s[0:3], 0 offset:60
	;; [unrolled: 1-line block ×40, first 2 shown]
	ds_read_b128 v[42:45], v1 offset:544
	ds_read_b128 v[46:49], v1 offset:560
	ds_read_b128 v[50:53], v1 offset:576
	ds_read_b128 v[54:57], v1 offset:592
	ds_read_b128 v[58:61], v1 offset:608
	ds_read_b128 v[62:65], v1 offset:624
	buffer_load_dword v119, off, s[0:3], 0 offset:200
	buffer_load_dword v158, off, s[0:3], 0 offset:204
	;; [unrolled: 1-line block ×16, first 2 shown]
	v_cmp_lt_u32_e32 vcc, 4, v0
	s_waitcnt vmcnt(55) lgkmcnt(5)
	v_mul_f32_e32 v66, v42, v10
	s_waitcnt vmcnt(54)
	v_mul_f32_e32 v67, v44, v9
	s_waitcnt vmcnt(53) lgkmcnt(4)
	v_mul_f32_e32 v68, v46, v8
	s_waitcnt vmcnt(52)
	v_mul_f32_e32 v69, v48, v7
	;; [unrolled: 4-line block ×5, first 2 shown]
	s_waitcnt vmcnt(45)
	v_fmac_f32_e32 v68, v47, v17
	s_waitcnt vmcnt(44)
	v_fmac_f32_e32 v67, v45, v21
	;; [unrolled: 2-line block ×3, first 2 shown]
	v_add_f32_e32 v66, 0, v66
	v_add_f32_e32 v66, v66, v67
	;; [unrolled: 1-line block ×3, first 2 shown]
	s_waitcnt vmcnt(39)
	v_fmac_f32_e32 v69, v49, v24
	v_fmac_f32_e32 v70, v51, v20
	v_add_f32_e32 v66, v66, v69
	v_fmac_f32_e32 v71, v53, v16
	v_add_f32_e32 v66, v66, v70
	;; [unrolled: 2-line block ×3, first 2 shown]
	s_waitcnt vmcnt(35)
	v_fmac_f32_e32 v73, v57, v27
	v_add_f32_e32 v66, v66, v72
	v_fmac_f32_e32 v74, v59, v22
	v_add_f32_e32 v66, v66, v73
	;; [unrolled: 2-line block ×3, first 2 shown]
	s_waitcnt vmcnt(34) lgkmcnt(0)
	v_mul_f32_e32 v67, v62, v19
	v_add_f32_e32 v66, v66, v75
	v_fmac_f32_e32 v67, v63, v15
	v_add_f32_e32 v70, v66, v67
	ds_read_b128 v[66:69], v1 offset:640
	s_waitcnt vmcnt(33)
	v_mul_f32_e32 v71, v64, v23
	s_waitcnt vmcnt(29)
	v_fmac_f32_e32 v71, v65, v34
	v_add_f32_e32 v74, v70, v71
	ds_read_b128 v[70:73], v1 offset:656
	buffer_load_dword v173, off, s[0:3], 0 offset:264
	buffer_load_dword v174, off, s[0:3], 0 offset:268
	s_waitcnt vmcnt(30) lgkmcnt(1)
	v_mul_f32_e32 v75, v66, v33
	v_fmac_f32_e32 v75, v67, v31
	v_add_f32_e32 v74, v74, v75
	s_waitcnt vmcnt(29)
	v_mul_f32_e32 v75, v68, v32
	v_fmac_f32_e32 v75, v69, v29
	v_add_f32_e32 v74, v74, v75
	s_waitcnt vmcnt(28) lgkmcnt(0)
	v_mul_f32_e32 v75, v70, v30
	v_fmac_f32_e32 v75, v71, v28
	v_add_f32_e32 v78, v74, v75
	buffer_load_dword v175, off, s[0:3], 0 offset:272
	buffer_load_dword v176, off, s[0:3], 0 offset:276
	ds_read_b128 v[74:77], v1 offset:672
	s_waitcnt vmcnt(29)
	v_mul_f32_e32 v79, v72, v35
	s_waitcnt vmcnt(22)
	v_fmac_f32_e32 v79, v73, v118
	v_add_f32_e32 v82, v78, v79
	ds_read_b128 v[78:81], v1 offset:688
	s_waitcnt lgkmcnt(1)
	v_mul_f32_e32 v83, v74, v37
	v_fmac_f32_e32 v83, v75, v36
	v_add_f32_e32 v82, v82, v83
	v_mul_f32_e32 v83, v76, v39
	buffer_load_dword v177, off, s[0:3], 0 offset:280
	buffer_load_dword v178, off, s[0:3], 0 offset:284
	v_fmac_f32_e32 v83, v77, v38
	v_add_f32_e32 v82, v82, v83
	s_waitcnt lgkmcnt(0)
	v_mul_f32_e32 v83, v78, v41
	buffer_load_dword v179, off, s[0:3], 0 offset:288
	buffer_load_dword v180, off, s[0:3], 0 offset:292
	v_fmac_f32_e32 v83, v79, v40
	v_add_f32_e32 v86, v82, v83
	ds_read_b128 v[82:85], v1 offset:704
	buffer_load_dword v181, off, s[0:3], 0 offset:296
	buffer_load_dword v182, off, s[0:3], 0 offset:300
	s_waitcnt vmcnt(24)
	v_mul_f32_e32 v87, v80, v158
	v_fmac_f32_e32 v87, v81, v119
	v_add_f32_e32 v90, v86, v87
	ds_read_b128 v[86:89], v1 offset:720
	s_waitcnt vmcnt(22) lgkmcnt(1)
	v_mul_f32_e32 v91, v82, v160
	v_fmac_f32_e32 v91, v83, v159
	buffer_load_dword v183, off, s[0:3], 0 offset:304
	buffer_load_dword v184, off, s[0:3], 0 offset:308
	;; [unrolled: 1-line block ×6, first 2 shown]
	v_add_f32_e32 v90, v90, v91
	s_waitcnt vmcnt(26)
	v_mul_f32_e32 v91, v84, v162
	v_fmac_f32_e32 v91, v85, v161
	v_add_f32_e32 v90, v90, v91
	s_waitcnt vmcnt(24) lgkmcnt(0)
	v_mul_f32_e32 v91, v86, v164
	v_fmac_f32_e32 v91, v87, v163
	v_add_f32_e32 v94, v90, v91
	ds_read_b128 v[90:93], v1 offset:736
	buffer_load_dword v189, off, s[0:3], 0 offset:328
	buffer_load_dword v190, off, s[0:3], 0 offset:332
	s_waitcnt vmcnt(24)
	v_mul_f32_e32 v95, v88, v166
	v_fmac_f32_e32 v95, v89, v165
	v_add_f32_e32 v98, v94, v95
	ds_read_b128 v[94:97], v1 offset:752
	buffer_load_dword v191, off, s[0:3], 0 offset:336
	buffer_load_dword v192, off, s[0:3], 0 offset:340
	;; [unrolled: 1-line block ×14, first 2 shown]
	s_waitcnt vmcnt(36) lgkmcnt(1)
	v_mul_f32_e32 v99, v90, v168
	buffer_load_dword v205, off, s[0:3], 0 offset:392
	buffer_load_dword v206, off, s[0:3], 0 offset:396
	v_fmac_f32_e32 v99, v91, v167
	v_add_f32_e32 v98, v98, v99
	s_waitcnt vmcnt(36)
	v_mul_f32_e32 v99, v92, v170
	v_fmac_f32_e32 v99, v93, v169
	v_add_f32_e32 v98, v98, v99
	s_waitcnt vmcnt(34) lgkmcnt(0)
	v_mul_f32_e32 v99, v94, v172
	v_fmac_f32_e32 v99, v95, v171
	v_add_f32_e32 v102, v98, v99
	ds_read_b128 v[98:101], v1 offset:768
	buffer_load_dword v207, off, s[0:3], 0 offset:400
	buffer_load_dword v208, off, s[0:3], 0 offset:404
	;; [unrolled: 1-line block ×6, first 2 shown]
	v_mul_f32_e32 v10, v43, v10
	v_fma_f32 v10, v42, v26, -v10
	v_mul_f32_e32 v9, v45, v9
	v_add_f32_e32 v10, 0, v10
	v_fma_f32 v9, v44, v21, -v9
	v_mul_f32_e32 v8, v47, v8
	v_add_f32_e32 v9, v10, v9
	;; [unrolled: 3-line block ×5, first 2 shown]
	s_waitcnt vmcnt(38)
	v_mul_f32_e32 v103, v96, v174
	v_fmac_f32_e32 v103, v97, v173
	v_add_f32_e32 v106, v102, v103
	ds_read_b128 v[102:105], v1 offset:784
	buffer_load_dword v213, off, s[0:3], 0 offset:424
	buffer_load_dword v214, off, s[0:3], 0 offset:428
	v_fma_f32 v5, v52, v16, -v5
	v_mul_f32_e32 v4, v55, v4
	v_add_f32_e32 v5, v6, v5
	v_fma_f32 v4, v54, v14, -v4
	v_add_f32_e32 v4, v5, v4
	v_mul_f32_e32 v5, v57, v11
	v_fma_f32 v5, v56, v27, -v5
	buffer_load_dword v215, off, s[0:3], 0 offset:432
	buffer_load_dword v216, off, s[0:3], 0 offset:436
	;; [unrolled: 1-line block ×6, first 2 shown]
	v_add_f32_e32 v4, v4, v5
	v_mul_f32_e32 v5, v59, v12
	v_fma_f32 v5, v58, v22, -v5
	v_add_f32_e32 v4, v4, v5
	v_mul_f32_e32 v5, v61, v13
	v_fma_f32 v5, v60, v18, -v5
	v_add_f32_e32 v4, v4, v5
	v_mul_f32_e32 v5, v63, v19
	buffer_load_dword v221, off, s[0:3], 0 offset:456
	buffer_load_dword v222, off, s[0:3], 0 offset:460
	v_fma_f32 v5, v62, v15, -v5
	v_add_f32_e32 v4, v4, v5
	v_mul_f32_e32 v5, v65, v23
	s_waitcnt vmcnt(46) lgkmcnt(1)
	v_mul_f32_e32 v107, v98, v176
	v_fma_f32 v5, v64, v34, -v5
	v_fmac_f32_e32 v107, v99, v175
	v_add_f32_e32 v4, v4, v5
	v_mul_f32_e32 v5, v67, v33
	v_add_f32_e32 v106, v106, v107
	s_waitcnt vmcnt(44)
	v_mul_f32_e32 v107, v100, v178
	v_fma_f32 v5, v66, v31, -v5
	v_fmac_f32_e32 v107, v101, v177
	v_add_f32_e32 v4, v4, v5
	v_mul_f32_e32 v5, v69, v32
	v_add_f32_e32 v106, v106, v107
	s_waitcnt vmcnt(42) lgkmcnt(0)
	v_mul_f32_e32 v107, v102, v180
	buffer_load_dword v223, off, s[0:3], 0 offset:464
	buffer_load_dword v224, off, s[0:3], 0 offset:468
	;; [unrolled: 1-line block ×6, first 2 shown]
	v_fma_f32 v5, v68, v29, -v5
	v_fmac_f32_e32 v107, v103, v179
	s_waitcnt vmcnt(46)
	v_mul_f32_e32 v111, v104, v182
	v_add_f32_e32 v4, v4, v5
	v_mul_f32_e32 v5, v71, v30
	v_add_f32_e32 v110, v106, v107
	v_fmac_f32_e32 v111, v105, v181
	v_fma_f32 v5, v70, v28, -v5
	ds_read_b128 v[106:109], v1 offset:800
	v_add_f32_e32 v114, v110, v111
	ds_read_b128 v[110:113], v1 offset:816
	buffer_load_dword v229, off, s[0:3], 0 offset:488
	buffer_load_dword v230, off, s[0:3], 0 offset:492
	v_add_f32_e32 v4, v4, v5
	v_mul_f32_e32 v5, v73, v35
	v_fma_f32 v5, v72, v118, -v5
	v_add_f32_e32 v4, v4, v5
	v_mul_f32_e32 v5, v75, v37
	v_fma_f32 v5, v74, v36, -v5
	;; [unrolled: 3-line block ×9, first 2 shown]
	v_add_f32_e32 v4, v4, v5
	v_mul_f32_e32 v5, v91, v168
	s_waitcnt vmcnt(46) lgkmcnt(1)
	v_mul_f32_e32 v115, v106, v184
	v_fma_f32 v5, v90, v167, -v5
	v_fmac_f32_e32 v115, v107, v183
	v_add_f32_e32 v4, v4, v5
	v_mul_f32_e32 v5, v93, v170
	v_add_f32_e32 v114, v114, v115
	s_waitcnt vmcnt(45)
	v_mul_f32_e32 v115, v108, v185
	v_fma_f32 v5, v92, v169, -v5
	s_waitcnt vmcnt(42)
	v_fmac_f32_e32 v115, v109, v188
	v_add_f32_e32 v4, v4, v5
	v_mul_f32_e32 v5, v95, v172
	v_add_f32_e32 v114, v114, v115
	s_waitcnt lgkmcnt(0)
	v_mul_f32_e32 v115, v110, v187
	v_fma_f32 v5, v94, v171, -v5
	v_fmac_f32_e32 v115, v111, v186
	v_add_f32_e32 v4, v4, v5
	v_mul_f32_e32 v5, v97, v174
	v_add_f32_e32 v122, v114, v115
	ds_read_b128 v[114:117], v1 offset:832
	v_fma_f32 v5, v96, v173, -v5
	v_add_f32_e32 v4, v4, v5
	v_mul_f32_e32 v5, v99, v176
	s_waitcnt vmcnt(40)
	v_mul_f32_e32 v123, v112, v190
	v_fma_f32 v5, v98, v175, -v5
	v_fmac_f32_e32 v123, v113, v189
	v_add_f32_e32 v4, v4, v5
	v_mul_f32_e32 v5, v101, v178
	v_add_f32_e32 v126, v122, v123
	ds_read_b128 v[122:125], v1 offset:848
	v_fma_f32 v5, v100, v177, -v5
	s_waitcnt vmcnt(38) lgkmcnt(1)
	v_mul_f32_e32 v127, v114, v192
	v_add_f32_e32 v4, v4, v5
	v_mul_f32_e32 v5, v103, v180
	v_fmac_f32_e32 v127, v115, v191
	v_fma_f32 v5, v102, v179, -v5
	v_add_f32_e32 v126, v126, v127
	s_waitcnt vmcnt(37)
	v_mul_f32_e32 v127, v116, v193
	v_add_f32_e32 v4, v4, v5
	v_mul_f32_e32 v5, v105, v182
	s_waitcnt vmcnt(34)
	v_fmac_f32_e32 v127, v117, v196
	v_fma_f32 v5, v104, v181, -v5
	v_add_f32_e32 v126, v126, v127
	s_waitcnt lgkmcnt(0)
	v_mul_f32_e32 v127, v122, v195
	v_add_f32_e32 v4, v4, v5
	v_mul_f32_e32 v5, v107, v184
	v_fmac_f32_e32 v127, v123, v194
	v_fma_f32 v5, v106, v183, -v5
	v_add_f32_e32 v130, v126, v127
	ds_read_b128 v[126:129], v1 offset:864
	v_add_f32_e32 v4, v4, v5
	v_mul_f32_e32 v5, v109, v185
	v_fma_f32 v5, v108, v188, -v5
	s_waitcnt vmcnt(32)
	v_mul_f32_e32 v131, v124, v198
	v_add_f32_e32 v4, v4, v5
	v_mul_f32_e32 v5, v111, v187
	v_fmac_f32_e32 v131, v125, v197
	v_fma_f32 v5, v110, v186, -v5
	v_add_f32_e32 v134, v130, v131
	ds_read_b128 v[130:133], v1 offset:880
	v_add_f32_e32 v4, v4, v5
	v_mul_f32_e32 v5, v113, v190
	s_waitcnt vmcnt(30) lgkmcnt(1)
	v_mul_f32_e32 v135, v126, v200
	v_fma_f32 v5, v112, v189, -v5
	v_fmac_f32_e32 v135, v127, v199
	v_add_f32_e32 v4, v4, v5
	v_mul_f32_e32 v5, v115, v192
	v_add_f32_e32 v134, v134, v135
	s_waitcnt vmcnt(29)
	v_mul_f32_e32 v135, v128, v201
	v_fma_f32 v5, v114, v191, -v5
	s_waitcnt vmcnt(26)
	v_fmac_f32_e32 v135, v129, v204
	v_add_f32_e32 v4, v4, v5
	v_mul_f32_e32 v5, v117, v193
	v_add_f32_e32 v134, v134, v135
	s_waitcnt lgkmcnt(0)
	v_mul_f32_e32 v135, v130, v203
	v_fma_f32 v5, v116, v196, -v5
	v_fmac_f32_e32 v135, v131, v202
	v_add_f32_e32 v4, v4, v5
	v_mul_f32_e32 v5, v123, v195
	v_add_f32_e32 v138, v134, v135
	ds_read_b128 v[134:137], v1 offset:896
	v_fma_f32 v5, v122, v194, -v5
	v_add_f32_e32 v4, v4, v5
	v_mul_f32_e32 v5, v125, v198
	s_waitcnt vmcnt(24)
	v_mul_f32_e32 v139, v132, v206
	v_fma_f32 v5, v124, v197, -v5
	v_fmac_f32_e32 v139, v133, v205
	v_add_f32_e32 v4, v4, v5
	v_mul_f32_e32 v5, v127, v200
	v_add_f32_e32 v142, v138, v139
	ds_read_b128 v[138:141], v1 offset:912
	v_fma_f32 v5, v126, v199, -v5
	s_waitcnt vmcnt(22) lgkmcnt(1)
	v_mul_f32_e32 v143, v134, v208
	v_add_f32_e32 v4, v4, v5
	v_mul_f32_e32 v5, v129, v201
	v_fmac_f32_e32 v143, v135, v207
	v_fma_f32 v5, v128, v204, -v5
	v_add_f32_e32 v142, v142, v143
	s_waitcnt vmcnt(21)
	v_mul_f32_e32 v143, v136, v209
	v_add_f32_e32 v4, v4, v5
	v_mul_f32_e32 v5, v131, v203
	s_waitcnt vmcnt(18)
	v_fmac_f32_e32 v143, v137, v212
	v_fma_f32 v5, v130, v202, -v5
	v_add_f32_e32 v142, v142, v143
	s_waitcnt lgkmcnt(0)
	v_mul_f32_e32 v143, v138, v211
	v_add_f32_e32 v4, v4, v5
	v_mul_f32_e32 v5, v133, v206
	v_fmac_f32_e32 v143, v139, v210
	v_fma_f32 v5, v132, v205, -v5
	v_add_f32_e32 v146, v142, v143
	ds_read_b128 v[142:145], v1 offset:928
	v_add_f32_e32 v4, v4, v5
	v_mul_f32_e32 v5, v135, v208
	v_fma_f32 v5, v134, v207, -v5
	s_waitcnt vmcnt(16)
	v_mul_f32_e32 v147, v140, v214
	v_add_f32_e32 v4, v4, v5
	v_mul_f32_e32 v5, v137, v209
	v_fmac_f32_e32 v147, v141, v213
	v_fma_f32 v5, v136, v212, -v5
	v_add_f32_e32 v150, v146, v147
	ds_read_b128 v[146:149], v1 offset:944
	v_add_f32_e32 v4, v4, v5
	v_mul_f32_e32 v5, v139, v211
	s_waitcnt vmcnt(14) lgkmcnt(1)
	v_mul_f32_e32 v151, v142, v216
	v_fma_f32 v5, v138, v210, -v5
	v_fmac_f32_e32 v151, v143, v215
	v_add_f32_e32 v4, v4, v5
	v_mul_f32_e32 v5, v141, v214
	v_add_f32_e32 v150, v150, v151
	s_waitcnt vmcnt(13)
	v_mul_f32_e32 v151, v144, v217
	v_fma_f32 v5, v140, v213, -v5
	s_waitcnt vmcnt(10)
	v_fmac_f32_e32 v151, v145, v220
	v_add_f32_e32 v4, v4, v5
	v_mul_f32_e32 v5, v143, v216
	v_add_f32_e32 v150, v150, v151
	s_waitcnt lgkmcnt(0)
	v_mul_f32_e32 v151, v146, v219
	v_fma_f32 v5, v142, v215, -v5
	v_fmac_f32_e32 v151, v147, v218
	v_add_f32_e32 v4, v4, v5
	v_mul_f32_e32 v5, v145, v217
	v_add_f32_e32 v154, v150, v151
	ds_read_b128 v[150:153], v1 offset:960
	v_fma_f32 v5, v144, v220, -v5
	v_add_f32_e32 v4, v4, v5
	v_mul_f32_e32 v5, v147, v219
	s_waitcnt vmcnt(8)
	v_mul_f32_e32 v155, v148, v222
	v_fma_f32 v5, v146, v218, -v5
	v_fmac_f32_e32 v155, v149, v221
	v_add_f32_e32 v4, v4, v5
	v_mul_f32_e32 v5, v149, v222
	v_add_f32_e32 v231, v154, v155
	ds_read_b128 v[154:157], v1 offset:976
	v_fma_f32 v5, v148, v221, -v5
	v_add_f32_e32 v4, v4, v5
	s_waitcnt vmcnt(6) lgkmcnt(1)
	v_mul_f32_e32 v5, v151, v224
	v_mul_f32_e32 v1, v150, v224
	v_fma_f32 v5, v150, v223, -v5
	v_fmac_f32_e32 v1, v151, v223
	v_add_f32_e32 v4, v4, v5
	s_waitcnt vmcnt(5)
	v_mul_f32_e32 v5, v153, v225
	v_add_f32_e32 v1, v231, v1
	v_mul_f32_e32 v231, v152, v225
	s_waitcnt vmcnt(2)
	v_fma_f32 v5, v152, v228, -v5
	v_fmac_f32_e32 v231, v153, v228
	v_add_f32_e32 v4, v4, v5
	s_waitcnt lgkmcnt(0)
	v_mul_f32_e32 v5, v155, v227
	v_add_f32_e32 v1, v1, v231
	v_mul_f32_e32 v231, v154, v227
	v_fma_f32 v5, v154, v226, -v5
	v_fmac_f32_e32 v231, v155, v226
	v_add_f32_e32 v4, v4, v5
	s_waitcnt vmcnt(0)
	v_mul_f32_e32 v5, v157, v230
	v_add_f32_e32 v1, v1, v231
	v_mul_f32_e32 v231, v156, v230
	v_fma_f32 v5, v156, v229, -v5
	v_fmac_f32_e32 v231, v157, v229
	v_add_f32_e32 v4, v4, v5
	v_add_f32_e32 v1, v1, v231
	v_sub_f32_e32 v2, v2, v4
	v_sub_f32_e32 v1, v3, v1
	buffer_store_dword v2, off, s[0:3], 0 offset:40
	buffer_store_dword v1, off, s[0:3], 0 offset:44
	s_and_saveexec_b64 s[4:5], vcc
	s_cbranch_execz .LBB125_377
; %bb.376:
	buffer_load_dword v1, off, s[0:3], 0 offset:32
	buffer_load_dword v2, off, s[0:3], 0 offset:36
	v_mov_b32_e32 v3, 0
	buffer_store_dword v3, off, s[0:3], 0 offset:32
	buffer_store_dword v3, off, s[0:3], 0 offset:36
	s_waitcnt vmcnt(2)
	ds_write_b64 v25, v[1:2]
.LBB125_377:
	s_or_b64 exec, exec, s[4:5]
	s_waitcnt lgkmcnt(0)
	; wave barrier
	buffer_load_dword v9, off, s[0:3], 0 offset:44
	buffer_load_dword v8, off, s[0:3], 0 offset:52
	;; [unrolled: 1-line block ×52, first 2 shown]
	v_mov_b32_e32 v26, 0
	ds_read2_b64 v[55:58], v26 offset0:67 offset1:68
	ds_read2_b64 v[59:62], v26 offset0:69 offset1:70
	;; [unrolled: 1-line block ×6, first 2 shown]
	buffer_load_dword v119, off, s[0:3], 0 offset:244
	buffer_load_dword v172, off, s[0:3], 0 offset:240
	;; [unrolled: 1-line block ×4, first 2 shown]
	v_cmp_lt_u32_e32 vcc, 3, v0
	s_waitcnt vmcnt(55) lgkmcnt(5)
	v_mul_f32_e32 v79, v55, v9
	s_waitcnt vmcnt(54)
	v_mul_f32_e32 v80, v57, v8
	s_waitcnt vmcnt(53) lgkmcnt(4)
	v_mul_f32_e32 v81, v59, v7
	s_waitcnt vmcnt(52)
	v_mul_f32_e32 v82, v61, v6
	;; [unrolled: 4-line block ×3, first 2 shown]
	s_waitcnt vmcnt(49) lgkmcnt(2)
	v_mul_f32_e32 v85, v67, v3
	s_waitcnt vmcnt(48)
	v_fmac_f32_e32 v81, v60, v14
	s_waitcnt vmcnt(47)
	v_fmac_f32_e32 v80, v58, v16
	;; [unrolled: 2-line block ×3, first 2 shown]
	v_add_f32_e32 v79, 0, v79
	v_add_f32_e32 v79, v79, v80
	;; [unrolled: 1-line block ×3, first 2 shown]
	s_waitcnt vmcnt(45)
	v_mul_f32_e32 v86, v69, v12
	s_waitcnt vmcnt(41)
	v_fmac_f32_e32 v85, v68, v20
	s_waitcnt vmcnt(40)
	v_fmac_f32_e32 v84, v66, v22
	;; [unrolled: 2-line block ×4, first 2 shown]
	v_add_f32_e32 v79, v79, v82
	v_add_f32_e32 v79, v79, v83
	v_add_f32_e32 v79, v79, v84
	s_waitcnt lgkmcnt(1)
	v_mul_f32_e32 v87, v71, v11
	s_waitcnt vmcnt(34)
	v_fmac_f32_e32 v86, v70, v23
	v_add_f32_e32 v79, v79, v85
	v_mul_f32_e32 v88, v73, v10
	v_fmac_f32_e32 v87, v72, v21
	v_add_f32_e32 v79, v79, v86
	s_waitcnt lgkmcnt(0)
	v_mul_f32_e32 v89, v75, v13
	v_fmac_f32_e32 v88, v74, v17
	v_add_f32_e32 v79, v79, v87
	v_add_f32_e32 v79, v79, v88
	v_fmac_f32_e32 v89, v76, v15
	v_add_f32_e32 v83, v79, v89
	ds_read2_b64 v[79:82], v26 offset0:79 offset1:80
	buffer_load_dword v175, off, s[0:3], 0 offset:256
	buffer_load_dword v176, off, s[0:3], 0 offset:260
	s_waitcnt vmcnt(35)
	v_mul_f32_e32 v84, v77, v18
	s_waitcnt vmcnt(31)
	v_fmac_f32_e32 v84, v78, v34
	v_add_f32_e32 v87, v83, v84
	ds_read2_b64 v[83:86], v26 offset0:81 offset1:82
	s_waitcnt vmcnt(30) lgkmcnt(1)
	v_mul_f32_e32 v88, v79, v33
	v_fmac_f32_e32 v88, v80, v31
	v_add_f32_e32 v87, v87, v88
	s_waitcnt vmcnt(29)
	v_mul_f32_e32 v88, v81, v32
	v_fmac_f32_e32 v88, v82, v29
	v_add_f32_e32 v87, v87, v88
	s_waitcnt vmcnt(28) lgkmcnt(0)
	v_mul_f32_e32 v88, v83, v30
	v_fmac_f32_e32 v88, v84, v28
	v_add_f32_e32 v87, v87, v88
	s_waitcnt vmcnt(25)
	v_mul_f32_e32 v88, v85, v36
	s_waitcnt vmcnt(24)
	v_fmac_f32_e32 v88, v86, v35
	buffer_load_dword v177, off, s[0:3], 0 offset:268
	v_add_f32_e32 v95, v87, v88
	ds_read2_b64 v[87:90], v26 offset0:83 offset1:84
	ds_read2_b64 v[91:94], v26 offset0:85 offset1:86
	buffer_load_dword v178, off, s[0:3], 0 offset:264
	buffer_load_dword v179, off, s[0:3], 0 offset:272
	;; [unrolled: 1-line block ×5, first 2 shown]
	v_mul_f32_e32 v9, v56, v9
	s_waitcnt vmcnt(28) lgkmcnt(1)
	v_mul_f32_e32 v96, v87, v38
	v_fmac_f32_e32 v96, v88, v37
	v_add_f32_e32 v95, v95, v96
	s_waitcnt vmcnt(26)
	v_mul_f32_e32 v96, v89, v40
	v_fmac_f32_e32 v96, v90, v39
	v_add_f32_e32 v95, v95, v96
	s_waitcnt vmcnt(24) lgkmcnt(0)
	v_mul_f32_e32 v96, v91, v42
	v_fmac_f32_e32 v96, v92, v41
	v_add_f32_e32 v99, v95, v96
	ds_read2_b64 v[95:98], v26 offset0:87 offset1:88
	buffer_load_dword v183, off, s[0:3], 0 offset:288
	buffer_load_dword v184, off, s[0:3], 0 offset:292
	s_waitcnt vmcnt(24)
	v_mul_f32_e32 v100, v93, v44
	v_fmac_f32_e32 v100, v94, v43
	v_add_f32_e32 v103, v99, v100
	ds_read2_b64 v[99:102], v26 offset0:89 offset1:90
	s_waitcnt vmcnt(22) lgkmcnt(1)
	v_mul_f32_e32 v104, v95, v46
	v_fmac_f32_e32 v104, v96, v45
	v_add_f32_e32 v103, v103, v104
	s_waitcnt vmcnt(20)
	v_mul_f32_e32 v104, v97, v48
	buffer_load_dword v185, off, s[0:3], 0 offset:296
	buffer_load_dword v186, off, s[0:3], 0 offset:300
	v_fmac_f32_e32 v104, v98, v47
	v_add_f32_e32 v103, v103, v104
	s_waitcnt vmcnt(20) lgkmcnt(0)
	v_mul_f32_e32 v104, v99, v50
	v_fmac_f32_e32 v104, v100, v49
	v_add_f32_e32 v107, v103, v104
	ds_read2_b64 v[103:106], v26 offset0:91 offset1:92
	buffer_load_dword v187, off, s[0:3], 0 offset:308
	buffer_load_dword v188, off, s[0:3], 0 offset:312
	;; [unrolled: 1-line block ×4, first 2 shown]
	s_waitcnt vmcnt(22)
	v_mul_f32_e32 v108, v101, v52
	v_fmac_f32_e32 v108, v102, v51
	v_add_f32_e32 v111, v107, v108
	ds_read2_b64 v[107:110], v26 offset0:93 offset1:94
	buffer_load_dword v191, off, s[0:3], 0 offset:320
	buffer_load_dword v192, off, s[0:3], 0 offset:324
	;; [unrolled: 1-line block ×10, first 2 shown]
	s_waitcnt vmcnt(30) lgkmcnt(1)
	v_mul_f32_e32 v112, v103, v54
	v_fmac_f32_e32 v112, v104, v53
	buffer_load_dword v201, off, s[0:3], 0 offset:360
	buffer_load_dword v202, off, s[0:3], 0 offset:364
	;; [unrolled: 1-line block ×6, first 2 shown]
	v_add_f32_e32 v111, v111, v112
	s_waitcnt vmcnt(35)
	v_mul_f32_e32 v112, v105, v119
	s_waitcnt vmcnt(34)
	v_fmac_f32_e32 v112, v106, v172
	v_add_f32_e32 v111, v111, v112
	s_waitcnt vmcnt(32) lgkmcnt(0)
	v_mul_f32_e32 v112, v107, v174
	v_fmac_f32_e32 v112, v108, v173
	v_add_f32_e32 v115, v111, v112
	ds_read2_b64 v[111:114], v26 offset0:95 offset1:96
	buffer_load_dword v207, off, s[0:3], 0 offset:384
	buffer_load_dword v208, off, s[0:3], 0 offset:388
	v_fma_f32 v9, v55, v19, -v9
	v_mul_f32_e32 v8, v58, v8
	v_add_f32_e32 v9, 0, v9
	v_fma_f32 v8, v57, v16, -v8
	v_mul_f32_e32 v7, v60, v7
	v_add_f32_e32 v8, v9, v8
	;; [unrolled: 3-line block ×4, first 2 shown]
	s_waitcnt vmcnt(32)
	v_mul_f32_e32 v116, v109, v176
	v_fmac_f32_e32 v116, v110, v175
	v_add_f32_e32 v122, v115, v116
	ds_read2_b64 v[115:118], v26 offset0:97 offset1:98
	buffer_load_dword v209, off, s[0:3], 0 offset:392
	buffer_load_dword v210, off, s[0:3], 0 offset:396
	;; [unrolled: 1-line block ×8, first 2 shown]
	v_fma_f32 v5, v63, v24, -v5
	v_mul_f32_e32 v4, v66, v4
	v_add_f32_e32 v5, v6, v5
	v_fma_f32 v4, v65, v22, -v4
	v_mul_f32_e32 v3, v68, v3
	v_add_f32_e32 v4, v5, v4
	v_fma_f32 v3, v67, v20, -v3
	v_add_f32_e32 v3, v4, v3
	v_mul_f32_e32 v4, v70, v12
	buffer_load_dword v217, off, s[0:3], 0 offset:424
	buffer_load_dword v218, off, s[0:3], 0 offset:428
	;; [unrolled: 1-line block ×6, first 2 shown]
	v_fma_f32 v4, v69, v23, -v4
	v_add_f32_e32 v3, v3, v4
	v_mul_f32_e32 v4, v72, v11
	v_fma_f32 v4, v71, v21, -v4
	v_add_f32_e32 v3, v3, v4
	v_mul_f32_e32 v4, v74, v10
	v_fma_f32 v4, v73, v17, -v4
	s_waitcnt vmcnt(45) lgkmcnt(1)
	v_mul_f32_e32 v123, v111, v177
	v_add_f32_e32 v3, v3, v4
	v_mul_f32_e32 v4, v76, v13
	s_waitcnt vmcnt(44)
	v_fmac_f32_e32 v123, v112, v178
	buffer_load_dword v223, off, s[0:3], 0 offset:448
	buffer_load_dword v224, off, s[0:3], 0 offset:452
	v_fma_f32 v4, v75, v15, -v4
	v_add_f32_e32 v122, v122, v123
	s_waitcnt vmcnt(44)
	v_mul_f32_e32 v123, v113, v180
	v_add_f32_e32 v3, v3, v4
	v_mul_f32_e32 v4, v78, v18
	v_fmac_f32_e32 v123, v114, v179
	v_fma_f32 v4, v77, v34, -v4
	v_add_f32_e32 v122, v122, v123
	s_waitcnt vmcnt(42) lgkmcnt(0)
	v_mul_f32_e32 v123, v115, v182
	v_add_f32_e32 v3, v3, v4
	v_mul_f32_e32 v4, v80, v33
	v_fmac_f32_e32 v123, v116, v181
	v_fma_f32 v4, v79, v31, -v4
	v_add_f32_e32 v126, v122, v123
	ds_read2_b64 v[122:125], v26 offset0:99 offset1:100
	buffer_load_dword v225, off, s[0:3], 0 offset:456
	buffer_load_dword v226, off, s[0:3], 0 offset:460
	;; [unrolled: 1-line block ×6, first 2 shown]
	v_add_f32_e32 v3, v3, v4
	v_mul_f32_e32 v4, v82, v32
	v_fma_f32 v4, v81, v29, -v4
	v_add_f32_e32 v3, v3, v4
	v_mul_f32_e32 v4, v84, v30
	s_waitcnt vmcnt(46)
	v_mul_f32_e32 v127, v117, v184
	v_fma_f32 v4, v83, v28, -v4
	v_fmac_f32_e32 v127, v118, v183
	v_add_f32_e32 v3, v3, v4
	v_mul_f32_e32 v4, v86, v36
	v_add_f32_e32 v130, v126, v127
	ds_read2_b64 v[126:129], v26 offset0:101 offset1:102
	buffer_load_dword v231, off, s[0:3], 0 offset:484
	buffer_load_dword v232, off, s[0:3], 0 offset:488
	buffer_load_dword v233, off, s[0:3], 0 offset:492
	buffer_load_dword v244, off, s[0:3], 0 offset:480
	v_fma_f32 v4, v85, v35, -v4
	v_add_f32_e32 v3, v3, v4
	v_mul_f32_e32 v4, v88, v38
	v_fma_f32 v4, v87, v37, -v4
	v_add_f32_e32 v3, v3, v4
	v_mul_f32_e32 v4, v90, v40
	;; [unrolled: 3-line block ×8, first 2 shown]
	v_fma_f32 v4, v101, v51, -v4
	s_waitcnt vmcnt(48) lgkmcnt(1)
	v_mul_f32_e32 v131, v122, v186
	v_add_f32_e32 v3, v3, v4
	v_mul_f32_e32 v4, v104, v54
	v_fmac_f32_e32 v131, v123, v185
	v_fma_f32 v4, v103, v53, -v4
	v_add_f32_e32 v130, v130, v131
	s_waitcnt vmcnt(47)
	v_mul_f32_e32 v131, v124, v187
	v_add_f32_e32 v3, v3, v4
	v_mul_f32_e32 v4, v106, v119
	s_waitcnt vmcnt(44)
	v_fmac_f32_e32 v131, v125, v190
	v_fma_f32 v4, v105, v172, -v4
	v_add_f32_e32 v130, v130, v131
	s_waitcnt lgkmcnt(0)
	v_mul_f32_e32 v131, v126, v189
	v_add_f32_e32 v3, v3, v4
	v_mul_f32_e32 v4, v108, v174
	v_fmac_f32_e32 v131, v127, v188
	v_fma_f32 v4, v107, v173, -v4
	v_add_f32_e32 v134, v130, v131
	ds_read2_b64 v[130:133], v26 offset0:103 offset1:104
	v_add_f32_e32 v3, v3, v4
	v_mul_f32_e32 v4, v110, v176
	v_fma_f32 v4, v109, v175, -v4
	s_waitcnt vmcnt(42)
	v_mul_f32_e32 v135, v128, v192
	v_add_f32_e32 v3, v3, v4
	v_mul_f32_e32 v4, v112, v177
	v_fmac_f32_e32 v135, v129, v191
	v_fma_f32 v4, v111, v178, -v4
	v_add_f32_e32 v138, v134, v135
	ds_read2_b64 v[134:137], v26 offset0:105 offset1:106
	v_add_f32_e32 v3, v3, v4
	v_mul_f32_e32 v4, v114, v180
	s_waitcnt vmcnt(40) lgkmcnt(1)
	v_mul_f32_e32 v139, v130, v194
	v_fma_f32 v4, v113, v179, -v4
	v_fmac_f32_e32 v139, v131, v193
	v_add_f32_e32 v3, v3, v4
	v_mul_f32_e32 v4, v116, v182
	v_add_f32_e32 v138, v138, v139
	s_waitcnt vmcnt(39)
	v_mul_f32_e32 v139, v132, v195
	v_fma_f32 v4, v115, v181, -v4
	s_waitcnt vmcnt(36)
	v_fmac_f32_e32 v139, v133, v198
	v_add_f32_e32 v3, v3, v4
	v_mul_f32_e32 v4, v118, v184
	v_add_f32_e32 v138, v138, v139
	s_waitcnt lgkmcnt(0)
	v_mul_f32_e32 v139, v134, v197
	v_fma_f32 v4, v117, v183, -v4
	v_fmac_f32_e32 v139, v135, v196
	v_add_f32_e32 v3, v3, v4
	v_mul_f32_e32 v4, v123, v186
	v_add_f32_e32 v142, v138, v139
	ds_read2_b64 v[138:141], v26 offset0:107 offset1:108
	v_fma_f32 v4, v122, v185, -v4
	v_add_f32_e32 v3, v3, v4
	v_mul_f32_e32 v4, v125, v187
	s_waitcnt vmcnt(34)
	v_mul_f32_e32 v143, v136, v200
	v_fma_f32 v4, v124, v190, -v4
	v_fmac_f32_e32 v143, v137, v199
	v_add_f32_e32 v3, v3, v4
	v_mul_f32_e32 v4, v127, v189
	v_add_f32_e32 v146, v142, v143
	ds_read2_b64 v[142:145], v26 offset0:109 offset1:110
	v_fma_f32 v4, v126, v188, -v4
	s_waitcnt vmcnt(32) lgkmcnt(1)
	v_mul_f32_e32 v147, v138, v202
	v_add_f32_e32 v3, v3, v4
	v_mul_f32_e32 v4, v129, v192
	v_fmac_f32_e32 v147, v139, v201
	v_fma_f32 v4, v128, v191, -v4
	v_add_f32_e32 v146, v146, v147
	s_waitcnt vmcnt(31)
	v_mul_f32_e32 v147, v140, v203
	v_add_f32_e32 v3, v3, v4
	v_mul_f32_e32 v4, v131, v194
	s_waitcnt vmcnt(28)
	v_fmac_f32_e32 v147, v141, v206
	v_fma_f32 v4, v130, v193, -v4
	v_add_f32_e32 v146, v146, v147
	s_waitcnt lgkmcnt(0)
	v_mul_f32_e32 v147, v142, v205
	v_add_f32_e32 v3, v3, v4
	v_mul_f32_e32 v4, v133, v195
	v_fmac_f32_e32 v147, v143, v204
	v_fma_f32 v4, v132, v198, -v4
	v_add_f32_e32 v150, v146, v147
	ds_read2_b64 v[146:149], v26 offset0:111 offset1:112
	v_add_f32_e32 v3, v3, v4
	v_mul_f32_e32 v4, v135, v197
	v_fma_f32 v4, v134, v196, -v4
	s_waitcnt vmcnt(26)
	v_mul_f32_e32 v151, v144, v208
	v_add_f32_e32 v3, v3, v4
	v_mul_f32_e32 v4, v137, v200
	v_fmac_f32_e32 v151, v145, v207
	v_fma_f32 v4, v136, v199, -v4
	v_add_f32_e32 v154, v150, v151
	ds_read2_b64 v[150:153], v26 offset0:113 offset1:114
	v_add_f32_e32 v3, v3, v4
	v_mul_f32_e32 v4, v139, v202
	s_waitcnt vmcnt(24) lgkmcnt(1)
	v_mul_f32_e32 v155, v146, v210
	v_fma_f32 v4, v138, v201, -v4
	v_fmac_f32_e32 v155, v147, v209
	v_add_f32_e32 v3, v3, v4
	v_mul_f32_e32 v4, v141, v203
	v_add_f32_e32 v154, v154, v155
	s_waitcnt vmcnt(23)
	v_mul_f32_e32 v155, v148, v211
	v_fma_f32 v4, v140, v206, -v4
	s_waitcnt vmcnt(20)
	v_fmac_f32_e32 v155, v149, v214
	v_add_f32_e32 v3, v3, v4
	v_mul_f32_e32 v4, v143, v205
	v_add_f32_e32 v154, v154, v155
	s_waitcnt lgkmcnt(0)
	v_mul_f32_e32 v155, v150, v213
	v_fma_f32 v4, v142, v204, -v4
	v_fmac_f32_e32 v155, v151, v212
	v_add_f32_e32 v3, v3, v4
	v_mul_f32_e32 v4, v145, v208
	v_add_f32_e32 v158, v154, v155
	ds_read2_b64 v[154:157], v26 offset0:115 offset1:116
	v_fma_f32 v4, v144, v207, -v4
	v_add_f32_e32 v3, v3, v4
	v_mul_f32_e32 v4, v147, v210
	s_waitcnt vmcnt(18)
	v_mul_f32_e32 v159, v152, v216
	v_fma_f32 v4, v146, v209, -v4
	v_fmac_f32_e32 v159, v153, v215
	v_add_f32_e32 v3, v3, v4
	v_mul_f32_e32 v4, v149, v211
	v_add_f32_e32 v162, v158, v159
	ds_read2_b64 v[158:161], v26 offset0:117 offset1:118
	v_fma_f32 v4, v148, v214, -v4
	s_waitcnt vmcnt(16) lgkmcnt(1)
	v_mul_f32_e32 v163, v154, v218
	v_add_f32_e32 v3, v3, v4
	v_mul_f32_e32 v4, v151, v213
	v_fmac_f32_e32 v163, v155, v217
	v_fma_f32 v4, v150, v212, -v4
	v_add_f32_e32 v162, v162, v163
	s_waitcnt vmcnt(15)
	v_mul_f32_e32 v163, v156, v219
	v_add_f32_e32 v3, v3, v4
	v_mul_f32_e32 v4, v153, v216
	s_waitcnt vmcnt(12)
	v_fmac_f32_e32 v163, v157, v222
	v_fma_f32 v4, v152, v215, -v4
	v_add_f32_e32 v162, v162, v163
	s_waitcnt lgkmcnt(0)
	v_mul_f32_e32 v163, v158, v221
	v_add_f32_e32 v3, v3, v4
	v_mul_f32_e32 v4, v155, v218
	v_fmac_f32_e32 v163, v159, v220
	v_fma_f32 v4, v154, v217, -v4
	v_add_f32_e32 v166, v162, v163
	ds_read2_b64 v[162:165], v26 offset0:119 offset1:120
	v_add_f32_e32 v3, v3, v4
	v_mul_f32_e32 v4, v157, v219
	v_fma_f32 v4, v156, v222, -v4
	v_add_f32_e32 v3, v3, v4
	v_mul_f32_e32 v4, v159, v221
	s_waitcnt vmcnt(10)
	v_mul_f32_e32 v167, v160, v224
	v_fma_f32 v4, v158, v220, -v4
	v_fmac_f32_e32 v167, v161, v223
	v_add_f32_e32 v3, v3, v4
	v_mul_f32_e32 v4, v161, v224
	v_add_f32_e32 v170, v166, v167
	ds_read2_b64 v[166:169], v26 offset0:121 offset1:122
	s_waitcnt vmcnt(8) lgkmcnt(1)
	v_mul_f32_e32 v171, v162, v226
	v_fma_f32 v4, v160, v223, -v4
	v_fmac_f32_e32 v171, v163, v225
	v_add_f32_e32 v3, v3, v4
	v_mul_f32_e32 v4, v163, v226
	v_add_f32_e32 v170, v170, v171
	s_waitcnt vmcnt(7)
	v_mul_f32_e32 v171, v164, v227
	v_fma_f32 v4, v162, v225, -v4
	s_waitcnt vmcnt(4)
	v_fmac_f32_e32 v171, v165, v230
	v_add_f32_e32 v3, v3, v4
	v_mul_f32_e32 v4, v165, v227
	v_add_f32_e32 v245, v170, v171
	ds_read_b64 v[170:171], v26 offset:984
	v_fma_f32 v4, v164, v230, -v4
	v_add_f32_e32 v3, v3, v4
	s_waitcnt lgkmcnt(1)
	v_mul_f32_e32 v4, v167, v229
	v_mul_f32_e32 v246, v166, v229
	v_fma_f32 v4, v166, v228, -v4
	v_fmac_f32_e32 v246, v167, v228
	v_add_f32_e32 v3, v3, v4
	s_waitcnt vmcnt(3)
	v_mul_f32_e32 v4, v169, v231
	v_add_f32_e32 v245, v245, v246
	v_mul_f32_e32 v246, v168, v231
	s_waitcnt vmcnt(0)
	v_fma_f32 v4, v168, v244, -v4
	v_fmac_f32_e32 v246, v169, v244
	v_add_f32_e32 v3, v3, v4
	s_waitcnt lgkmcnt(0)
	v_mul_f32_e32 v4, v171, v233
	v_add_f32_e32 v245, v245, v246
	v_mul_f32_e32 v246, v170, v233
	v_fma_f32 v4, v170, v232, -v4
	v_fmac_f32_e32 v246, v171, v232
	v_add_f32_e32 v3, v3, v4
	v_add_f32_e32 v245, v245, v246
	v_sub_f32_e32 v1, v1, v3
	v_sub_f32_e32 v2, v2, v245
	buffer_store_dword v1, off, s[0:3], 0 offset:32
	buffer_store_dword v2, off, s[0:3], 0 offset:36
	s_and_saveexec_b64 s[4:5], vcc
	s_cbranch_execz .LBB125_379
; %bb.378:
	buffer_load_dword v1, off, s[0:3], 0 offset:24
	buffer_load_dword v2, off, s[0:3], 0 offset:28
	s_waitcnt vmcnt(0)
	ds_write_b64 v25, v[1:2]
	buffer_store_dword v26, off, s[0:3], 0 offset:24
	buffer_store_dword v26, off, s[0:3], 0 offset:28
.LBB125_379:
	s_or_b64 exec, exec, s[4:5]
	s_waitcnt lgkmcnt(0)
	; wave barrier
	buffer_load_dword v35, off, s[0:3], 0 offset:36
	buffer_load_dword v34, off, s[0:3], 0 offset:44
	buffer_load_dword v33, off, s[0:3], 0 offset:52
	buffer_load_dword v32, off, s[0:3], 0 offset:60
	buffer_load_dword v31, off, s[0:3], 0 offset:68
	buffer_load_dword v30, off, s[0:3], 0 offset:76
	buffer_load_dword v29, off, s[0:3], 0 offset:84
	buffer_load_dword v36, off, s[0:3], 0 offset:92
	buffer_load_dword v37, off, s[0:3], 0 offset:100
	buffer_load_dword v40, off, s[0:3], 0 offset:48
	buffer_load_dword v43, off, s[0:3], 0 offset:40
	buffer_load_dword v46, off, s[0:3], 0 offset:32
	buffer_load_dword v38, off, s[0:3], 0 offset:80
	buffer_load_dword v39, off, s[0:3], 0 offset:72
	buffer_load_dword v41, off, s[0:3], 0 offset:64
	buffer_load_dword v44, off, s[0:3], 0 offset:56
	buffer_load_dword v42, off, s[0:3], 0 offset:112
	buffer_load_dword v45, off, s[0:3], 0 offset:104
	buffer_load_dword v48, off, s[0:3], 0 offset:96
	buffer_load_dword v51, off, s[0:3], 0 offset:88
	buffer_load_dword v49, off, s[0:3], 0 offset:108
	buffer_load_dword v47, off, s[0:3], 0 offset:116
	buffer_load_dword v50, off, s[0:3], 0 offset:124
	buffer_load_dword v52, off, s[0:3], 0 offset:144
	buffer_load_dword v53, off, s[0:3], 0 offset:136
	buffer_load_dword v55, off, s[0:3], 0 offset:128
	buffer_load_dword v58, off, s[0:3], 0 offset:120
	buffer_load_dword v57, off, s[0:3], 0 offset:132
	buffer_load_dword v56, off, s[0:3], 0 offset:140
	buffer_load_dword v54, off, s[0:3], 0 offset:148
	buffer_load_dword v27, off, s[0:3], 0 offset:24
	buffer_load_dword v28, off, s[0:3], 0 offset:28
	buffer_load_dword v59, off, s[0:3], 0 offset:152
	buffer_load_dword v60, off, s[0:3], 0 offset:156
	ds_read_b128 v[17:20], v26 offset:528
	ds_read_b128 v[9:12], v26 offset:544
	;; [unrolled: 1-line block ×4, first 2 shown]
	buffer_load_dword v61, off, s[0:3], 0 offset:164
	buffer_load_dword v62, off, s[0:3], 0 offset:168
	;; [unrolled: 1-line block ×6, first 2 shown]
	ds_read_b128 v[21:24], v26 offset:592
	ds_read_b128 v[13:16], v26 offset:608
	buffer_load_dword v66, off, s[0:3], 0 offset:184
	buffer_load_dword v68, off, s[0:3], 0 offset:188
	;; [unrolled: 1-line block ×16, first 2 shown]
	v_cmp_lt_u32_e32 vcc, 2, v0
	s_waitcnt vmcnt(55) lgkmcnt(5)
	v_mul_f32_e32 v80, v17, v35
	s_waitcnt vmcnt(54)
	v_mul_f32_e32 v81, v19, v34
	s_waitcnt vmcnt(53) lgkmcnt(4)
	v_mul_f32_e32 v82, v9, v33
	s_waitcnt vmcnt(52)
	v_mul_f32_e32 v83, v11, v32
	;; [unrolled: 4-line block ×4, first 2 shown]
	s_waitcnt vmcnt(47) lgkmcnt(1)
	v_mul_f32_e32 v88, v21, v37
	s_waitcnt vmcnt(46)
	v_fmac_f32_e32 v82, v10, v40
	s_waitcnt vmcnt(45)
	v_fmac_f32_e32 v81, v20, v43
	;; [unrolled: 2-line block ×3, first 2 shown]
	v_add_f32_e32 v80, 0, v80
	v_add_f32_e32 v80, v80, v81
	;; [unrolled: 1-line block ×3, first 2 shown]
	s_waitcnt vmcnt(40)
	v_fmac_f32_e32 v83, v12, v44
	v_fmac_f32_e32 v84, v6, v41
	v_add_f32_e32 v80, v80, v83
	v_fmac_f32_e32 v85, v8, v39
	v_add_f32_e32 v80, v80, v84
	;; [unrolled: 2-line block ×3, first 2 shown]
	s_waitcnt vmcnt(36)
	v_fmac_f32_e32 v87, v4, v51
	v_add_f32_e32 v80, v80, v86
	v_fmac_f32_e32 v88, v22, v48
	v_add_f32_e32 v80, v80, v87
	s_waitcnt vmcnt(35)
	v_mul_f32_e32 v81, v23, v49
	v_add_f32_e32 v80, v80, v88
	v_fmac_f32_e32 v81, v24, v45
	v_add_f32_e32 v80, v80, v81
	s_waitcnt vmcnt(34) lgkmcnt(0)
	v_mul_f32_e32 v81, v13, v47
	v_fmac_f32_e32 v81, v14, v42
	v_add_f32_e32 v84, v80, v81
	ds_read_b128 v[80:83], v26 offset:624
	buffer_load_dword v177, off, s[0:3], 0 offset:248
	buffer_load_dword v178, off, s[0:3], 0 offset:252
	s_waitcnt vmcnt(35)
	v_mul_f32_e32 v85, v15, v50
	s_waitcnt vmcnt(31)
	v_fmac_f32_e32 v85, v16, v58
	v_add_f32_e32 v88, v84, v85
	ds_read_b128 v[84:87], v26 offset:640
	s_waitcnt vmcnt(30) lgkmcnt(1)
	v_mul_f32_e32 v89, v80, v57
	v_fmac_f32_e32 v89, v81, v55
	v_add_f32_e32 v88, v88, v89
	s_waitcnt vmcnt(29)
	v_mul_f32_e32 v89, v82, v56
	v_fmac_f32_e32 v89, v83, v53
	buffer_load_dword v179, off, s[0:3], 0 offset:256
	buffer_load_dword v180, off, s[0:3], 0 offset:260
	v_add_f32_e32 v88, v88, v89
	s_waitcnt vmcnt(30) lgkmcnt(0)
	v_mul_f32_e32 v89, v84, v54
	v_fmac_f32_e32 v89, v85, v52
	s_waitcnt vmcnt(26)
	v_mul_f32_e32 v93, v86, v60
	v_add_f32_e32 v92, v88, v89
	v_fmac_f32_e32 v93, v87, v59
	ds_read_b128 v[88:91], v26 offset:656
	v_add_f32_e32 v96, v92, v93
	ds_read_b128 v[92:95], v26 offset:672
	buffer_load_dword v181, off, s[0:3], 0 offset:268
	buffer_load_dword v182, off, s[0:3], 0 offset:264
	buffer_load_dword v183, off, s[0:3], 0 offset:272
	buffer_load_dword v184, off, s[0:3], 0 offset:276
	buffer_load_dword v185, off, s[0:3], 0 offset:280
	buffer_load_dword v186, off, s[0:3], 0 offset:284
	s_waitcnt vmcnt(31) lgkmcnt(1)
	v_mul_f32_e32 v97, v88, v61
	s_waitcnt vmcnt(26)
	v_fmac_f32_e32 v97, v89, v67
	v_add_f32_e32 v96, v96, v97
	v_mul_f32_e32 v97, v90, v63
	v_fmac_f32_e32 v97, v91, v62
	v_add_f32_e32 v96, v96, v97
	s_waitcnt lgkmcnt(0)
	v_mul_f32_e32 v97, v92, v65
	v_fmac_f32_e32 v97, v93, v64
	v_add_f32_e32 v100, v96, v97
	ds_read_b128 v[96:99], v26 offset:688
	s_waitcnt vmcnt(24)
	v_mul_f32_e32 v101, v94, v68
	v_fmac_f32_e32 v101, v95, v66
	v_add_f32_e32 v104, v100, v101
	ds_read_b128 v[100:103], v26 offset:704
	s_waitcnt vmcnt(22) lgkmcnt(1)
	v_mul_f32_e32 v105, v96, v70
	v_fmac_f32_e32 v105, v97, v69
	buffer_load_dword v187, off, s[0:3], 0 offset:292
	v_add_f32_e32 v104, v104, v105
	s_waitcnt vmcnt(21)
	v_mul_f32_e32 v105, v98, v72
	v_fmac_f32_e32 v105, v99, v71
	v_add_f32_e32 v104, v104, v105
	s_waitcnt vmcnt(19) lgkmcnt(0)
	v_mul_f32_e32 v105, v100, v74
	buffer_load_dword v188, off, s[0:3], 0 offset:288
	buffer_load_dword v189, off, s[0:3], 0 offset:296
	;; [unrolled: 1-line block ×3, first 2 shown]
	v_fmac_f32_e32 v105, v101, v73
	v_add_f32_e32 v108, v104, v105
	ds_read_b128 v[104:107], v26 offset:720
	buffer_load_dword v191, off, s[0:3], 0 offset:304
	buffer_load_dword v192, off, s[0:3], 0 offset:308
	s_waitcnt vmcnt(22)
	v_mul_f32_e32 v109, v102, v76
	v_fmac_f32_e32 v109, v103, v75
	v_add_f32_e32 v112, v108, v109
	ds_read_b128 v[108:111], v26 offset:736
	buffer_load_dword v193, off, s[0:3], 0 offset:312
	buffer_load_dword v194, off, s[0:3], 0 offset:316
	;; [unrolled: 1-line block ×8, first 2 shown]
	s_waitcnt vmcnt(28) lgkmcnt(1)
	v_mul_f32_e32 v113, v104, v78
	buffer_load_dword v201, off, s[0:3], 0 offset:344
	buffer_load_dword v202, off, s[0:3], 0 offset:348
	v_fmac_f32_e32 v113, v105, v77
	v_add_f32_e32 v112, v112, v113
	s_waitcnt vmcnt(28)
	v_mul_f32_e32 v113, v106, v174
	v_fmac_f32_e32 v113, v107, v79
	v_add_f32_e32 v112, v112, v113
	s_waitcnt vmcnt(26) lgkmcnt(0)
	v_mul_f32_e32 v113, v108, v176
	v_fmac_f32_e32 v113, v109, v175
	v_add_f32_e32 v116, v112, v113
	ds_read_b128 v[112:115], v26 offset:752
	buffer_load_dword v203, off, s[0:3], 0 offset:352
	buffer_load_dword v204, off, s[0:3], 0 offset:356
	;; [unrolled: 1-line block ×6, first 2 shown]
	v_mul_f32_e32 v18, v18, v35
	v_fma_f32 v17, v17, v46, -v18
	v_mul_f32_e32 v18, v20, v34
	v_add_f32_e32 v17, 0, v17
	v_fma_f32 v18, v19, v43, -v18
	v_mul_f32_e32 v10, v10, v33
	v_add_f32_e32 v17, v17, v18
	;; [unrolled: 3-line block ×4, first 2 shown]
	s_waitcnt vmcnt(30)
	v_mul_f32_e32 v117, v110, v178
	v_fmac_f32_e32 v117, v111, v177
	v_add_f32_e32 v122, v116, v117
	ds_read_b128 v[116:119], v26 offset:768
	buffer_load_dword v209, off, s[0:3], 0 offset:376
	buffer_load_dword v210, off, s[0:3], 0 offset:380
	;; [unrolled: 1-line block ×10, first 2 shown]
	v_fma_f32 v5, v5, v41, -v6
	v_mul_f32_e32 v6, v8, v30
	v_add_f32_e32 v5, v9, v5
	v_fma_f32 v6, v7, v39, -v6
	v_mul_f32_e32 v2, v2, v29
	v_add_f32_e32 v5, v5, v6
	v_fma_f32 v1, v1, v38, -v2
	v_mul_f32_e32 v2, v4, v36
	s_waitcnt vmcnt(38) lgkmcnt(1)
	v_mul_f32_e32 v123, v112, v180
	buffer_load_dword v219, off, s[0:3], 0 offset:416
	buffer_load_dword v220, off, s[0:3], 0 offset:420
	;; [unrolled: 1-line block ×6, first 2 shown]
	v_add_f32_e32 v1, v5, v1
	v_fma_f32 v2, v3, v51, -v2
	v_fmac_f32_e32 v123, v113, v179
	v_add_f32_e32 v1, v1, v2
	v_mul_f32_e32 v2, v22, v37
	v_add_f32_e32 v122, v122, v123
	s_waitcnt vmcnt(43)
	v_mul_f32_e32 v123, v114, v181
	v_fma_f32 v2, v21, v48, -v2
	s_waitcnt vmcnt(42)
	v_fmac_f32_e32 v123, v115, v182
	v_add_f32_e32 v1, v1, v2
	v_mul_f32_e32 v2, v24, v49
	v_add_f32_e32 v122, v122, v123
	s_waitcnt vmcnt(40) lgkmcnt(0)
	v_mul_f32_e32 v123, v116, v184
	v_fma_f32 v2, v23, v45, -v2
	v_fmac_f32_e32 v123, v117, v183
	v_add_f32_e32 v1, v1, v2
	v_mul_f32_e32 v2, v14, v47
	v_add_f32_e32 v126, v122, v123
	ds_read_b128 v[122:125], v26 offset:784
	buffer_load_dword v225, off, s[0:3], 0 offset:440
	buffer_load_dword v226, off, s[0:3], 0 offset:444
	v_fma_f32 v2, v13, v42, -v2
	v_add_f32_e32 v1, v1, v2
	v_mul_f32_e32 v2, v16, v50
	v_fma_f32 v2, v15, v58, -v2
	s_waitcnt vmcnt(40)
	v_mul_f32_e32 v127, v118, v186
	v_add_f32_e32 v1, v1, v2
	v_mul_f32_e32 v2, v81, v57
	v_fmac_f32_e32 v127, v119, v185
	v_fma_f32 v2, v80, v55, -v2
	v_add_f32_e32 v130, v126, v127
	ds_read_b128 v[126:129], v26 offset:800
	buffer_load_dword v227, off, s[0:3], 0 offset:448
	buffer_load_dword v228, off, s[0:3], 0 offset:452
	;; [unrolled: 1-line block ×6, first 2 shown]
	v_add_f32_e32 v1, v1, v2
	v_mul_f32_e32 v2, v83, v56
	v_fma_f32 v2, v82, v53, -v2
	v_add_f32_e32 v1, v1, v2
	v_mul_f32_e32 v2, v85, v54
	v_fma_f32 v2, v84, v52, -v2
	;; [unrolled: 3-line block ×3, first 2 shown]
	v_add_f32_e32 v1, v1, v2
	v_mul_f32_e32 v2, v89, v61
	buffer_load_dword v233, off, s[0:3], 0 offset:472
	buffer_load_dword v244, off, s[0:3], 0 offset:476
	buffer_load_dword v245, off, s[0:3], 0 offset:484
	buffer_load_dword v246, off, s[0:3], 0 offset:488
	buffer_load_dword v247, off, s[0:3], 0 offset:492
	buffer_load_dword v248, off, s[0:3], 0 offset:480
	v_fma_f32 v2, v88, v67, -v2
	v_add_f32_e32 v1, v1, v2
	v_mul_f32_e32 v2, v91, v63
	v_fma_f32 v2, v90, v62, -v2
	v_add_f32_e32 v1, v1, v2
	v_mul_f32_e32 v2, v93, v65
	;; [unrolled: 3-line block ×7, first 2 shown]
	v_fma_f32 v2, v102, v75, -v2
	s_waitcnt vmcnt(51) lgkmcnt(1)
	v_mul_f32_e32 v131, v122, v187
	v_add_f32_e32 v1, v1, v2
	v_mul_f32_e32 v2, v105, v78
	s_waitcnt vmcnt(50)
	v_fmac_f32_e32 v131, v123, v188
	v_fma_f32 v2, v104, v77, -v2
	v_add_f32_e32 v130, v130, v131
	s_waitcnt vmcnt(48)
	v_mul_f32_e32 v131, v124, v190
	v_add_f32_e32 v1, v1, v2
	v_mul_f32_e32 v2, v107, v174
	v_fmac_f32_e32 v131, v125, v189
	v_fma_f32 v2, v106, v79, -v2
	v_add_f32_e32 v130, v130, v131
	s_waitcnt vmcnt(46) lgkmcnt(0)
	v_mul_f32_e32 v131, v126, v192
	v_add_f32_e32 v1, v1, v2
	v_mul_f32_e32 v2, v109, v176
	v_fmac_f32_e32 v131, v127, v191
	v_fma_f32 v2, v108, v175, -v2
	v_add_f32_e32 v134, v130, v131
	ds_read_b128 v[130:133], v26 offset:816
	v_add_f32_e32 v1, v1, v2
	v_mul_f32_e32 v2, v111, v178
	v_fma_f32 v2, v110, v177, -v2
	s_waitcnt vmcnt(44)
	v_mul_f32_e32 v135, v128, v194
	v_add_f32_e32 v1, v1, v2
	v_mul_f32_e32 v2, v113, v180
	v_fmac_f32_e32 v135, v129, v193
	v_fma_f32 v2, v112, v179, -v2
	v_add_f32_e32 v138, v134, v135
	ds_read_b128 v[134:137], v26 offset:832
	v_add_f32_e32 v1, v1, v2
	v_mul_f32_e32 v2, v115, v181
	s_waitcnt vmcnt(42) lgkmcnt(1)
	v_mul_f32_e32 v139, v130, v196
	v_fma_f32 v2, v114, v182, -v2
	v_fmac_f32_e32 v139, v131, v195
	v_add_f32_e32 v1, v1, v2
	v_mul_f32_e32 v2, v117, v184
	v_add_f32_e32 v138, v138, v139
	s_waitcnt vmcnt(41)
	v_mul_f32_e32 v139, v132, v197
	v_fma_f32 v2, v116, v183, -v2
	s_waitcnt vmcnt(38)
	v_fmac_f32_e32 v139, v133, v200
	v_add_f32_e32 v1, v1, v2
	v_mul_f32_e32 v2, v119, v186
	v_add_f32_e32 v138, v138, v139
	s_waitcnt lgkmcnt(0)
	v_mul_f32_e32 v139, v134, v199
	v_fma_f32 v2, v118, v185, -v2
	v_fmac_f32_e32 v139, v135, v198
	v_add_f32_e32 v1, v1, v2
	v_mul_f32_e32 v2, v123, v187
	v_add_f32_e32 v142, v138, v139
	ds_read_b128 v[138:141], v26 offset:848
	v_fma_f32 v2, v122, v188, -v2
	v_add_f32_e32 v1, v1, v2
	v_mul_f32_e32 v2, v125, v190
	s_waitcnt vmcnt(36)
	v_mul_f32_e32 v143, v136, v202
	v_fma_f32 v2, v124, v189, -v2
	v_fmac_f32_e32 v143, v137, v201
	v_add_f32_e32 v1, v1, v2
	v_mul_f32_e32 v2, v127, v192
	v_add_f32_e32 v146, v142, v143
	ds_read_b128 v[142:145], v26 offset:864
	v_fma_f32 v2, v126, v191, -v2
	s_waitcnt vmcnt(34) lgkmcnt(1)
	v_mul_f32_e32 v147, v138, v204
	v_add_f32_e32 v1, v1, v2
	v_mul_f32_e32 v2, v129, v194
	v_fmac_f32_e32 v147, v139, v203
	v_fma_f32 v2, v128, v193, -v2
	v_add_f32_e32 v146, v146, v147
	s_waitcnt vmcnt(33)
	v_mul_f32_e32 v147, v140, v205
	v_add_f32_e32 v1, v1, v2
	v_mul_f32_e32 v2, v131, v196
	s_waitcnt vmcnt(30)
	v_fmac_f32_e32 v147, v141, v208
	v_fma_f32 v2, v130, v195, -v2
	v_add_f32_e32 v146, v146, v147
	s_waitcnt lgkmcnt(0)
	v_mul_f32_e32 v147, v142, v207
	v_add_f32_e32 v1, v1, v2
	v_mul_f32_e32 v2, v133, v197
	v_fmac_f32_e32 v147, v143, v206
	v_fma_f32 v2, v132, v200, -v2
	v_add_f32_e32 v150, v146, v147
	ds_read_b128 v[146:149], v26 offset:880
	v_add_f32_e32 v1, v1, v2
	v_mul_f32_e32 v2, v135, v199
	v_fma_f32 v2, v134, v198, -v2
	s_waitcnt vmcnt(28)
	v_mul_f32_e32 v151, v144, v210
	v_add_f32_e32 v1, v1, v2
	v_mul_f32_e32 v2, v137, v202
	v_fmac_f32_e32 v151, v145, v209
	v_fma_f32 v2, v136, v201, -v2
	v_add_f32_e32 v154, v150, v151
	ds_read_b128 v[150:153], v26 offset:896
	v_add_f32_e32 v1, v1, v2
	v_mul_f32_e32 v2, v139, v204
	s_waitcnt vmcnt(26) lgkmcnt(1)
	v_mul_f32_e32 v155, v146, v212
	v_fma_f32 v2, v138, v203, -v2
	v_fmac_f32_e32 v155, v147, v211
	v_add_f32_e32 v1, v1, v2
	v_mul_f32_e32 v2, v141, v205
	v_add_f32_e32 v154, v154, v155
	s_waitcnt vmcnt(25)
	v_mul_f32_e32 v155, v148, v213
	v_fma_f32 v2, v140, v208, -v2
	s_waitcnt vmcnt(22)
	v_fmac_f32_e32 v155, v149, v216
	v_add_f32_e32 v1, v1, v2
	v_mul_f32_e32 v2, v143, v207
	v_add_f32_e32 v154, v154, v155
	s_waitcnt lgkmcnt(0)
	v_mul_f32_e32 v155, v150, v215
	v_fma_f32 v2, v142, v206, -v2
	v_fmac_f32_e32 v155, v151, v214
	v_add_f32_e32 v1, v1, v2
	v_mul_f32_e32 v2, v145, v210
	v_add_f32_e32 v158, v154, v155
	ds_read_b128 v[154:157], v26 offset:912
	v_fma_f32 v2, v144, v209, -v2
	v_add_f32_e32 v1, v1, v2
	v_mul_f32_e32 v2, v147, v212
	s_waitcnt vmcnt(20)
	v_mul_f32_e32 v159, v152, v218
	v_fma_f32 v2, v146, v211, -v2
	v_fmac_f32_e32 v159, v153, v217
	v_add_f32_e32 v1, v1, v2
	v_mul_f32_e32 v2, v149, v213
	v_add_f32_e32 v162, v158, v159
	ds_read_b128 v[158:161], v26 offset:928
	v_fma_f32 v2, v148, v216, -v2
	s_waitcnt vmcnt(18) lgkmcnt(1)
	v_mul_f32_e32 v163, v154, v220
	v_add_f32_e32 v1, v1, v2
	v_mul_f32_e32 v2, v151, v215
	v_fmac_f32_e32 v163, v155, v219
	v_fma_f32 v2, v150, v214, -v2
	v_add_f32_e32 v162, v162, v163
	s_waitcnt vmcnt(17)
	v_mul_f32_e32 v163, v156, v221
	v_add_f32_e32 v1, v1, v2
	v_mul_f32_e32 v2, v153, v218
	s_waitcnt vmcnt(14)
	v_fmac_f32_e32 v163, v157, v224
	v_fma_f32 v2, v152, v217, -v2
	v_add_f32_e32 v162, v162, v163
	s_waitcnt lgkmcnt(0)
	v_mul_f32_e32 v163, v158, v223
	v_add_f32_e32 v1, v1, v2
	v_mul_f32_e32 v2, v155, v220
	v_fmac_f32_e32 v163, v159, v222
	v_fma_f32 v2, v154, v219, -v2
	v_add_f32_e32 v166, v162, v163
	ds_read_b128 v[162:165], v26 offset:944
	v_add_f32_e32 v1, v1, v2
	v_mul_f32_e32 v2, v157, v221
	v_fma_f32 v2, v156, v224, -v2
	v_add_f32_e32 v1, v1, v2
	v_mul_f32_e32 v2, v159, v223
	s_waitcnt vmcnt(12)
	v_mul_f32_e32 v167, v160, v226
	v_fma_f32 v2, v158, v222, -v2
	v_fmac_f32_e32 v167, v161, v225
	v_add_f32_e32 v1, v1, v2
	v_mul_f32_e32 v2, v161, v226
	v_add_f32_e32 v170, v166, v167
	ds_read_b128 v[166:169], v26 offset:960
	s_waitcnt vmcnt(10) lgkmcnt(1)
	v_mul_f32_e32 v171, v162, v228
	v_fma_f32 v2, v160, v225, -v2
	v_fmac_f32_e32 v171, v163, v227
	v_add_f32_e32 v1, v1, v2
	v_mul_f32_e32 v2, v163, v228
	v_add_f32_e32 v170, v170, v171
	s_waitcnt vmcnt(9)
	v_mul_f32_e32 v171, v164, v229
	v_fma_f32 v2, v162, v227, -v2
	s_waitcnt vmcnt(6)
	v_fmac_f32_e32 v171, v165, v232
	v_add_f32_e32 v1, v1, v2
	v_mul_f32_e32 v2, v165, v229
	v_add_f32_e32 v249, v170, v171
	ds_read_b128 v[170:173], v26 offset:976
	v_fma_f32 v2, v164, v232, -v2
	v_add_f32_e32 v1, v1, v2
	s_waitcnt lgkmcnt(1)
	v_mul_f32_e32 v2, v167, v231
	v_mul_f32_e32 v250, v166, v231
	v_fma_f32 v2, v166, v230, -v2
	v_fmac_f32_e32 v250, v167, v230
	v_add_f32_e32 v1, v1, v2
	s_waitcnt vmcnt(4)
	v_mul_f32_e32 v2, v169, v244
	v_add_f32_e32 v26, v249, v250
	v_mul_f32_e32 v249, v168, v244
	v_fma_f32 v2, v168, v233, -v2
	v_fmac_f32_e32 v249, v169, v233
	v_add_f32_e32 v1, v1, v2
	s_waitcnt vmcnt(3) lgkmcnt(0)
	v_mul_f32_e32 v2, v171, v245
	v_add_f32_e32 v26, v26, v249
	v_mul_f32_e32 v249, v170, v245
	s_waitcnt vmcnt(0)
	v_fma_f32 v2, v170, v248, -v2
	v_fmac_f32_e32 v249, v171, v248
	v_add_f32_e32 v1, v1, v2
	v_mul_f32_e32 v2, v173, v247
	v_add_f32_e32 v26, v26, v249
	v_mul_f32_e32 v249, v172, v247
	v_fma_f32 v2, v172, v246, -v2
	v_fmac_f32_e32 v249, v173, v246
	v_add_f32_e32 v1, v1, v2
	v_add_f32_e32 v26, v26, v249
	v_sub_f32_e32 v1, v27, v1
	v_sub_f32_e32 v2, v28, v26
	buffer_store_dword v1, off, s[0:3], 0 offset:24
	buffer_store_dword v2, off, s[0:3], 0 offset:28
	s_and_saveexec_b64 s[4:5], vcc
	s_cbranch_execz .LBB125_381
; %bb.380:
	buffer_load_dword v1, off, s[0:3], 0 offset:16
	buffer_load_dword v2, off, s[0:3], 0 offset:20
	v_mov_b32_e32 v3, 0
	buffer_store_dword v3, off, s[0:3], 0 offset:16
	buffer_store_dword v3, off, s[0:3], 0 offset:20
	s_waitcnt vmcnt(2)
	ds_write_b64 v25, v[1:2]
.LBB125_381:
	s_or_b64 exec, exec, s[4:5]
	s_waitcnt lgkmcnt(0)
	; wave barrier
	buffer_load_dword v9, off, s[0:3], 0 offset:28
	buffer_load_dword v8, off, s[0:3], 0 offset:36
	;; [unrolled: 1-line block ×56, first 2 shown]
	v_mov_b32_e32 v26, 0
	ds_read2_b64 v[59:62], v26 offset0:65 offset1:66
	ds_read2_b64 v[63:66], v26 offset0:67 offset1:68
	;; [unrolled: 1-line block ×6, first 2 shown]
	buffer_load_dword v119, off, s[0:3], 0 offset:240
	buffer_load_dword v180, off, s[0:3], 0 offset:244
	v_cmp_lt_u32_e32 vcc, 1, v0
	s_waitcnt vmcnt(57) lgkmcnt(5)
	v_mul_f32_e32 v83, v59, v9
	s_waitcnt vmcnt(56)
	v_mul_f32_e32 v84, v61, v8
	s_waitcnt vmcnt(55) lgkmcnt(4)
	v_mul_f32_e32 v85, v63, v7
	s_waitcnt vmcnt(54)
	v_mul_f32_e32 v86, v65, v6
	;; [unrolled: 4-line block ×4, first 2 shown]
	s_waitcnt vmcnt(49) lgkmcnt(1)
	v_mul_f32_e32 v91, v75, v11
	s_waitcnt vmcnt(48)
	v_fmac_f32_e32 v85, v64, v14
	s_waitcnt vmcnt(47)
	v_fmac_f32_e32 v84, v62, v17
	;; [unrolled: 2-line block ×3, first 2 shown]
	v_add_f32_e32 v83, 0, v83
	v_add_f32_e32 v83, v83, v84
	;; [unrolled: 1-line block ×3, first 2 shown]
	s_waitcnt vmcnt(42)
	v_fmac_f32_e32 v86, v66, v18
	v_fmac_f32_e32 v87, v68, v15
	v_add_f32_e32 v83, v83, v86
	v_fmac_f32_e32 v88, v70, v13
	v_add_f32_e32 v83, v83, v87
	;; [unrolled: 2-line block ×3, first 2 shown]
	s_waitcnt vmcnt(38)
	v_fmac_f32_e32 v90, v74, v27
	v_add_f32_e32 v83, v83, v89
	v_add_f32_e32 v83, v83, v90
	v_fmac_f32_e32 v91, v76, v22
	s_waitcnt vmcnt(37)
	v_mul_f32_e32 v84, v77, v23
	v_add_f32_e32 v83, v83, v91
	v_fmac_f32_e32 v84, v78, v19
	v_add_f32_e32 v83, v83, v84
	s_waitcnt vmcnt(36) lgkmcnt(0)
	v_mul_f32_e32 v84, v79, v21
	v_fmac_f32_e32 v84, v80, v16
	v_add_f32_e32 v87, v83, v84
	ds_read2_b64 v[83:86], v26 offset0:77 offset1:78
	s_waitcnt vmcnt(35)
	v_mul_f32_e32 v88, v81, v24
	s_waitcnt vmcnt(30)
	v_fmac_f32_e32 v88, v82, v35
	v_add_f32_e32 v91, v87, v88
	ds_read2_b64 v[87:90], v26 offset0:79 offset1:80
	s_waitcnt vmcnt(29) lgkmcnt(1)
	v_mul_f32_e32 v92, v83, v34
	v_fmac_f32_e32 v92, v84, v31
	buffer_load_dword v181, off, s[0:3], 0 offset:248
	buffer_load_dword v182, off, s[0:3], 0 offset:252
	v_add_f32_e32 v91, v91, v92
	s_waitcnt vmcnt(30)
	v_mul_f32_e32 v92, v85, v32
	v_fmac_f32_e32 v92, v86, v30
	v_add_f32_e32 v91, v91, v92
	s_waitcnt lgkmcnt(0)
	v_mul_f32_e32 v92, v87, v29
	buffer_load_dword v183, off, s[0:3], 0 offset:256
	buffer_load_dword v184, off, s[0:3], 0 offset:260
	v_fmac_f32_e32 v92, v88, v28
	v_add_f32_e32 v95, v91, v92
	ds_read2_b64 v[91:94], v26 offset0:81 offset1:82
	buffer_load_dword v185, off, s[0:3], 0 offset:264
	buffer_load_dword v186, off, s[0:3], 0 offset:268
	s_waitcnt vmcnt(30)
	v_mul_f32_e32 v96, v89, v36
	v_fmac_f32_e32 v96, v90, v33
	v_add_f32_e32 v99, v95, v96
	ds_read2_b64 v[95:98], v26 offset0:83 offset1:84
	buffer_load_dword v187, off, s[0:3], 0 offset:272
	buffer_load_dword v188, off, s[0:3], 0 offset:276
	s_waitcnt vmcnt(30) lgkmcnt(1)
	v_mul_f32_e32 v100, v91, v38
	v_fmac_f32_e32 v100, v92, v37
	v_add_f32_e32 v99, v99, v100
	s_waitcnt vmcnt(28)
	v_mul_f32_e32 v100, v93, v40
	v_fmac_f32_e32 v100, v94, v39
	v_add_f32_e32 v99, v99, v100
	s_waitcnt vmcnt(26) lgkmcnt(0)
	v_mul_f32_e32 v100, v95, v42
	v_fmac_f32_e32 v100, v96, v41
	v_add_f32_e32 v103, v99, v100
	ds_read2_b64 v[99:102], v26 offset0:85 offset1:86
	s_waitcnt vmcnt(24)
	v_mul_f32_e32 v104, v97, v44
	v_fmac_f32_e32 v104, v98, v43
	v_add_f32_e32 v107, v103, v104
	buffer_load_dword v189, off, s[0:3], 0 offset:280
	buffer_load_dword v190, off, s[0:3], 0 offset:284
	ds_read2_b64 v[103:106], v26 offset0:87 offset1:88
	s_waitcnt vmcnt(24) lgkmcnt(1)
	v_mul_f32_e32 v108, v99, v46
	v_fmac_f32_e32 v108, v100, v45
	v_add_f32_e32 v107, v107, v108
	s_waitcnt vmcnt(22)
	v_mul_f32_e32 v108, v101, v48
	v_fmac_f32_e32 v108, v102, v47
	buffer_load_dword v191, off, s[0:3], 0 offset:292
	buffer_load_dword v192, off, s[0:3], 0 offset:288
	;; [unrolled: 1-line block ×4, first 2 shown]
	v_add_f32_e32 v107, v107, v108
	s_waitcnt vmcnt(24) lgkmcnt(0)
	v_mul_f32_e32 v108, v103, v50
	v_fmac_f32_e32 v108, v104, v49
	s_waitcnt vmcnt(22)
	v_mul_f32_e32 v112, v105, v52
	v_add_f32_e32 v111, v107, v108
	v_fmac_f32_e32 v112, v106, v51
	ds_read2_b64 v[107:110], v26 offset0:89 offset1:90
	v_add_f32_e32 v115, v111, v112
	ds_read2_b64 v[111:114], v26 offset0:91 offset1:92
	buffer_load_dword v195, off, s[0:3], 0 offset:304
	buffer_load_dword v196, off, s[0:3], 0 offset:308
	;; [unrolled: 1-line block ×8, first 2 shown]
	s_waitcnt vmcnt(28) lgkmcnt(1)
	v_mul_f32_e32 v116, v107, v54
	buffer_load_dword v203, off, s[0:3], 0 offset:336
	buffer_load_dword v204, off, s[0:3], 0 offset:340
	v_fmac_f32_e32 v116, v108, v53
	v_add_f32_e32 v115, v115, v116
	s_waitcnt vmcnt(28)
	v_mul_f32_e32 v116, v109, v56
	v_fmac_f32_e32 v116, v110, v55
	v_add_f32_e32 v115, v115, v116
	s_waitcnt vmcnt(26) lgkmcnt(0)
	v_mul_f32_e32 v116, v111, v58
	v_fmac_f32_e32 v116, v112, v57
	v_add_f32_e32 v122, v115, v116
	ds_read2_b64 v[115:118], v26 offset0:93 offset1:94
	buffer_load_dword v205, off, s[0:3], 0 offset:344
	buffer_load_dword v206, off, s[0:3], 0 offset:348
	;; [unrolled: 1-line block ×6, first 2 shown]
	s_waitcnt vmcnt(30)
	v_mul_f32_e32 v123, v113, v180
	v_fmac_f32_e32 v123, v114, v119
	v_add_f32_e32 v126, v122, v123
	ds_read2_b64 v[122:125], v26 offset0:95 offset1:96
	buffer_load_dword v211, off, s[0:3], 0 offset:368
	buffer_load_dword v212, off, s[0:3], 0 offset:372
	;; [unrolled: 1-line block ×8, first 2 shown]
	v_mul_f32_e32 v9, v60, v9
	buffer_load_dword v219, off, s[0:3], 0 offset:400
	buffer_load_dword v220, off, s[0:3], 0 offset:404
	v_fma_f32 v9, v59, v20, -v9
	v_mul_f32_e32 v8, v62, v8
	v_add_f32_e32 v9, 0, v9
	v_fma_f32 v8, v61, v17, -v8
	v_mul_f32_e32 v7, v64, v7
	v_add_f32_e32 v8, v9, v8
	;; [unrolled: 3-line block ×4, first 2 shown]
	s_waitcnt vmcnt(38) lgkmcnt(1)
	v_mul_f32_e32 v127, v115, v182
	v_fmac_f32_e32 v127, v116, v181
	v_add_f32_e32 v126, v126, v127
	v_fma_f32 v5, v67, v15, -v5
	v_mul_f32_e32 v4, v70, v4
	v_add_f32_e32 v5, v6, v5
	s_waitcnt vmcnt(36)
	v_mul_f32_e32 v127, v117, v184
	v_fmac_f32_e32 v127, v118, v183
	v_add_f32_e32 v126, v126, v127
	v_fma_f32 v4, v69, v13, -v4
	s_waitcnt vmcnt(34) lgkmcnt(0)
	v_mul_f32_e32 v127, v122, v186
	v_fmac_f32_e32 v127, v123, v185
	v_mul_f32_e32 v3, v72, v3
	v_add_f32_e32 v130, v126, v127
	ds_read2_b64 v[126:129], v26 offset0:97 offset1:98
	buffer_load_dword v221, off, s[0:3], 0 offset:408
	buffer_load_dword v222, off, s[0:3], 0 offset:412
	buffer_load_dword v223, off, s[0:3], 0 offset:420
	buffer_load_dword v224, off, s[0:3], 0 offset:424
	buffer_load_dword v225, off, s[0:3], 0 offset:428
	buffer_load_dword v226, off, s[0:3], 0 offset:416
	v_add_f32_e32 v4, v5, v4
	v_fma_f32 v3, v71, v12, -v3
	v_add_f32_e32 v3, v4, v3
	v_mul_f32_e32 v4, v74, v10
	v_fma_f32 v4, v73, v27, -v4
	s_waitcnt vmcnt(38)
	v_mul_f32_e32 v131, v124, v188
	v_add_f32_e32 v3, v3, v4
	v_mul_f32_e32 v4, v76, v11
	v_fmac_f32_e32 v131, v125, v187
	v_fma_f32 v4, v75, v22, -v4
	v_add_f32_e32 v134, v130, v131
	ds_read2_b64 v[130:133], v26 offset0:99 offset1:100
	buffer_load_dword v227, off, s[0:3], 0 offset:432
	buffer_load_dword v228, off, s[0:3], 0 offset:436
	v_add_f32_e32 v3, v3, v4
	v_mul_f32_e32 v4, v78, v23
	v_fma_f32 v4, v77, v19, -v4
	v_add_f32_e32 v3, v3, v4
	v_mul_f32_e32 v4, v80, v21
	v_fma_f32 v4, v79, v16, -v4
	;; [unrolled: 3-line block ×3, first 2 shown]
	buffer_load_dword v229, off, s[0:3], 0 offset:440
	buffer_load_dword v230, off, s[0:3], 0 offset:444
	;; [unrolled: 1-line block ×6, first 2 shown]
	v_add_f32_e32 v3, v3, v4
	v_mul_f32_e32 v4, v84, v34
	v_fma_f32 v4, v83, v31, -v4
	v_add_f32_e32 v3, v3, v4
	v_mul_f32_e32 v4, v86, v32
	v_fma_f32 v4, v85, v30, -v4
	v_add_f32_e32 v3, v3, v4
	v_mul_f32_e32 v4, v88, v29
	buffer_load_dword v245, off, s[0:3], 0 offset:464
	buffer_load_dword v246, off, s[0:3], 0 offset:468
	v_fma_f32 v4, v87, v28, -v4
	v_add_f32_e32 v3, v3, v4
	v_mul_f32_e32 v4, v90, v36
	v_fma_f32 v4, v89, v33, -v4
	v_add_f32_e32 v3, v3, v4
	v_mul_f32_e32 v4, v92, v38
	;; [unrolled: 3-line block ×3, first 2 shown]
	buffer_load_dword v247, off, s[0:3], 0 offset:472
	buffer_load_dword v248, off, s[0:3], 0 offset:476
	;; [unrolled: 1-line block ×6, first 2 shown]
	v_fma_f32 v4, v93, v39, -v4
	v_add_f32_e32 v3, v3, v4
	v_mul_f32_e32 v4, v96, v42
	v_fma_f32 v4, v95, v41, -v4
	v_add_f32_e32 v3, v3, v4
	v_mul_f32_e32 v4, v98, v44
	;; [unrolled: 3-line block ×5, first 2 shown]
	v_fma_f32 v4, v103, v49, -v4
	s_waitcnt vmcnt(52) lgkmcnt(1)
	v_mul_f32_e32 v135, v126, v190
	v_add_f32_e32 v3, v3, v4
	v_mul_f32_e32 v4, v106, v52
	v_fmac_f32_e32 v135, v127, v189
	v_fma_f32 v4, v105, v51, -v4
	v_add_f32_e32 v134, v134, v135
	s_waitcnt vmcnt(51)
	v_mul_f32_e32 v135, v128, v191
	v_add_f32_e32 v3, v3, v4
	v_mul_f32_e32 v4, v108, v54
	s_waitcnt vmcnt(50)
	v_fmac_f32_e32 v135, v129, v192
	v_fma_f32 v4, v107, v53, -v4
	v_add_f32_e32 v134, v134, v135
	s_waitcnt vmcnt(48) lgkmcnt(0)
	v_mul_f32_e32 v135, v130, v194
	v_add_f32_e32 v3, v3, v4
	v_mul_f32_e32 v4, v110, v56
	v_fmac_f32_e32 v135, v131, v193
	v_fma_f32 v4, v109, v55, -v4
	v_add_f32_e32 v138, v134, v135
	ds_read2_b64 v[134:137], v26 offset0:101 offset1:102
	v_add_f32_e32 v3, v3, v4
	v_mul_f32_e32 v4, v112, v58
	v_fma_f32 v4, v111, v57, -v4
	s_waitcnt vmcnt(46)
	v_mul_f32_e32 v139, v132, v196
	v_add_f32_e32 v3, v3, v4
	v_mul_f32_e32 v4, v114, v180
	v_fmac_f32_e32 v139, v133, v195
	v_fma_f32 v4, v113, v119, -v4
	v_add_f32_e32 v142, v138, v139
	ds_read2_b64 v[138:141], v26 offset0:103 offset1:104
	v_add_f32_e32 v3, v3, v4
	v_mul_f32_e32 v4, v116, v182
	s_waitcnt vmcnt(44) lgkmcnt(1)
	v_mul_f32_e32 v143, v134, v198
	v_fma_f32 v4, v115, v181, -v4
	v_fmac_f32_e32 v143, v135, v197
	v_add_f32_e32 v3, v3, v4
	v_mul_f32_e32 v4, v118, v184
	v_add_f32_e32 v142, v142, v143
	s_waitcnt vmcnt(43)
	v_mul_f32_e32 v143, v136, v199
	v_fma_f32 v4, v117, v183, -v4
	s_waitcnt vmcnt(40)
	v_fmac_f32_e32 v143, v137, v202
	v_add_f32_e32 v3, v3, v4
	v_mul_f32_e32 v4, v123, v186
	v_add_f32_e32 v142, v142, v143
	s_waitcnt lgkmcnt(0)
	v_mul_f32_e32 v143, v138, v201
	v_fma_f32 v4, v122, v185, -v4
	v_fmac_f32_e32 v143, v139, v200
	v_add_f32_e32 v3, v3, v4
	v_mul_f32_e32 v4, v125, v188
	v_add_f32_e32 v146, v142, v143
	ds_read2_b64 v[142:145], v26 offset0:105 offset1:106
	v_fma_f32 v4, v124, v187, -v4
	v_add_f32_e32 v3, v3, v4
	v_mul_f32_e32 v4, v127, v190
	s_waitcnt vmcnt(38)
	v_mul_f32_e32 v147, v140, v204
	v_fma_f32 v4, v126, v189, -v4
	v_fmac_f32_e32 v147, v141, v203
	v_add_f32_e32 v3, v3, v4
	v_mul_f32_e32 v4, v129, v191
	v_add_f32_e32 v150, v146, v147
	ds_read2_b64 v[146:149], v26 offset0:107 offset1:108
	v_fma_f32 v4, v128, v192, -v4
	s_waitcnt vmcnt(36) lgkmcnt(1)
	v_mul_f32_e32 v151, v142, v206
	v_add_f32_e32 v3, v3, v4
	v_mul_f32_e32 v4, v131, v194
	v_fmac_f32_e32 v151, v143, v205
	v_fma_f32 v4, v130, v193, -v4
	v_add_f32_e32 v150, v150, v151
	s_waitcnt vmcnt(35)
	v_mul_f32_e32 v151, v144, v207
	v_add_f32_e32 v3, v3, v4
	v_mul_f32_e32 v4, v133, v196
	s_waitcnt vmcnt(32)
	v_fmac_f32_e32 v151, v145, v210
	v_fma_f32 v4, v132, v195, -v4
	v_add_f32_e32 v150, v150, v151
	s_waitcnt lgkmcnt(0)
	v_mul_f32_e32 v151, v146, v209
	v_add_f32_e32 v3, v3, v4
	v_mul_f32_e32 v4, v135, v198
	v_fmac_f32_e32 v151, v147, v208
	v_fma_f32 v4, v134, v197, -v4
	v_add_f32_e32 v154, v150, v151
	ds_read2_b64 v[150:153], v26 offset0:109 offset1:110
	v_add_f32_e32 v3, v3, v4
	v_mul_f32_e32 v4, v137, v199
	v_fma_f32 v4, v136, v202, -v4
	s_waitcnt vmcnt(30)
	v_mul_f32_e32 v155, v148, v212
	v_add_f32_e32 v3, v3, v4
	v_mul_f32_e32 v4, v139, v201
	v_fmac_f32_e32 v155, v149, v211
	v_fma_f32 v4, v138, v200, -v4
	v_add_f32_e32 v158, v154, v155
	ds_read2_b64 v[154:157], v26 offset0:111 offset1:112
	v_add_f32_e32 v3, v3, v4
	v_mul_f32_e32 v4, v141, v204
	s_waitcnt vmcnt(28) lgkmcnt(1)
	v_mul_f32_e32 v159, v150, v214
	v_fma_f32 v4, v140, v203, -v4
	v_fmac_f32_e32 v159, v151, v213
	v_add_f32_e32 v3, v3, v4
	v_mul_f32_e32 v4, v143, v206
	v_add_f32_e32 v158, v158, v159
	s_waitcnt vmcnt(27)
	v_mul_f32_e32 v159, v152, v215
	v_fma_f32 v4, v142, v205, -v4
	s_waitcnt vmcnt(24)
	v_fmac_f32_e32 v159, v153, v218
	v_add_f32_e32 v3, v3, v4
	v_mul_f32_e32 v4, v145, v207
	v_add_f32_e32 v158, v158, v159
	s_waitcnt lgkmcnt(0)
	v_mul_f32_e32 v159, v154, v217
	v_fma_f32 v4, v144, v210, -v4
	v_fmac_f32_e32 v159, v155, v216
	v_add_f32_e32 v3, v3, v4
	v_mul_f32_e32 v4, v147, v209
	v_add_f32_e32 v162, v158, v159
	ds_read2_b64 v[158:161], v26 offset0:113 offset1:114
	v_fma_f32 v4, v146, v208, -v4
	v_add_f32_e32 v3, v3, v4
	v_mul_f32_e32 v4, v149, v212
	s_waitcnt vmcnt(22)
	v_mul_f32_e32 v163, v156, v220
	v_fma_f32 v4, v148, v211, -v4
	v_fmac_f32_e32 v163, v157, v219
	v_add_f32_e32 v3, v3, v4
	v_mul_f32_e32 v4, v151, v214
	v_add_f32_e32 v166, v162, v163
	ds_read2_b64 v[162:165], v26 offset0:115 offset1:116
	v_fma_f32 v4, v150, v213, -v4
	s_waitcnt vmcnt(20) lgkmcnt(1)
	v_mul_f32_e32 v167, v158, v222
	v_add_f32_e32 v3, v3, v4
	v_mul_f32_e32 v4, v153, v215
	v_fmac_f32_e32 v167, v159, v221
	v_fma_f32 v4, v152, v218, -v4
	v_add_f32_e32 v166, v166, v167
	s_waitcnt vmcnt(19)
	v_mul_f32_e32 v167, v160, v223
	v_add_f32_e32 v3, v3, v4
	v_mul_f32_e32 v4, v155, v217
	s_waitcnt vmcnt(16)
	v_fmac_f32_e32 v167, v161, v226
	v_fma_f32 v4, v154, v216, -v4
	v_add_f32_e32 v166, v166, v167
	s_waitcnt lgkmcnt(0)
	v_mul_f32_e32 v167, v162, v225
	v_add_f32_e32 v3, v3, v4
	v_mul_f32_e32 v4, v157, v220
	v_fmac_f32_e32 v167, v163, v224
	v_fma_f32 v4, v156, v219, -v4
	v_add_f32_e32 v170, v166, v167
	ds_read2_b64 v[166:169], v26 offset0:117 offset1:118
	v_add_f32_e32 v3, v3, v4
	v_mul_f32_e32 v4, v159, v222
	v_fma_f32 v4, v158, v221, -v4
	s_waitcnt vmcnt(14)
	v_mul_f32_e32 v171, v164, v228
	v_add_f32_e32 v3, v3, v4
	v_mul_f32_e32 v4, v161, v223
	v_fmac_f32_e32 v171, v165, v227
	v_fma_f32 v4, v160, v226, -v4
	v_add_f32_e32 v174, v170, v171
	ds_read2_b64 v[170:173], v26 offset0:119 offset1:120
	v_add_f32_e32 v3, v3, v4
	v_mul_f32_e32 v4, v163, v225
	s_waitcnt vmcnt(12) lgkmcnt(1)
	v_mul_f32_e32 v175, v166, v230
	v_fma_f32 v4, v162, v224, -v4
	v_fmac_f32_e32 v175, v167, v229
	v_add_f32_e32 v3, v3, v4
	v_mul_f32_e32 v4, v165, v228
	v_add_f32_e32 v174, v174, v175
	s_waitcnt vmcnt(11)
	v_mul_f32_e32 v175, v168, v231
	v_fma_f32 v4, v164, v227, -v4
	s_waitcnt vmcnt(8)
	v_fmac_f32_e32 v175, v169, v244
	v_add_f32_e32 v3, v3, v4
	v_mul_f32_e32 v4, v167, v230
	v_add_f32_e32 v174, v174, v175
	s_waitcnt lgkmcnt(0)
	v_mul_f32_e32 v175, v170, v233
	v_fma_f32 v4, v166, v229, -v4
	v_fmac_f32_e32 v175, v171, v232
	v_add_f32_e32 v3, v3, v4
	v_mul_f32_e32 v4, v169, v231
	v_add_f32_e32 v178, v174, v175
	ds_read2_b64 v[174:177], v26 offset0:121 offset1:122
	v_fma_f32 v4, v168, v244, -v4
	v_add_f32_e32 v3, v3, v4
	v_mul_f32_e32 v4, v171, v233
	s_waitcnt vmcnt(6)
	v_mul_f32_e32 v179, v172, v246
	v_fma_f32 v4, v170, v232, -v4
	v_fmac_f32_e32 v179, v173, v245
	v_add_f32_e32 v3, v3, v4
	v_mul_f32_e32 v4, v173, v246
	v_add_f32_e32 v253, v178, v179
	ds_read_b64 v[178:179], v26 offset:984
	v_fma_f32 v4, v172, v245, -v4
	v_add_f32_e32 v3, v3, v4
	s_waitcnt vmcnt(4) lgkmcnt(1)
	v_mul_f32_e32 v4, v175, v248
	v_mul_f32_e32 v254, v174, v248
	v_fma_f32 v4, v174, v247, -v4
	v_fmac_f32_e32 v254, v175, v247
	v_add_f32_e32 v3, v3, v4
	s_waitcnt vmcnt(3)
	v_mul_f32_e32 v4, v177, v249
	v_add_f32_e32 v253, v253, v254
	v_mul_f32_e32 v254, v176, v249
	s_waitcnt vmcnt(0)
	v_fma_f32 v4, v176, v252, -v4
	v_fmac_f32_e32 v254, v177, v252
	v_add_f32_e32 v3, v3, v4
	s_waitcnt lgkmcnt(0)
	v_mul_f32_e32 v4, v179, v251
	v_add_f32_e32 v253, v253, v254
	v_mul_f32_e32 v254, v178, v251
	v_fma_f32 v4, v178, v250, -v4
	v_fmac_f32_e32 v254, v179, v250
	v_add_f32_e32 v3, v3, v4
	v_add_f32_e32 v253, v253, v254
	v_sub_f32_e32 v1, v1, v3
	v_sub_f32_e32 v2, v2, v253
	buffer_store_dword v1, off, s[0:3], 0 offset:16
	buffer_store_dword v2, off, s[0:3], 0 offset:20
	s_and_saveexec_b64 s[4:5], vcc
	s_cbranch_execz .LBB125_383
; %bb.382:
	buffer_load_dword v1, off, s[0:3], 0 offset:8
	buffer_load_dword v2, off, s[0:3], 0 offset:12
	s_waitcnt vmcnt(0)
	ds_write_b64 v25, v[1:2]
	buffer_store_dword v26, off, s[0:3], 0 offset:8
	buffer_store_dword v26, off, s[0:3], 0 offset:12
.LBB125_383:
	s_or_b64 exec, exec, s[4:5]
	s_waitcnt lgkmcnt(0)
	; wave barrier
	buffer_load_dword v35, off, s[0:3], 0 offset:20
	buffer_load_dword v34, off, s[0:3], 0 offset:28
	;; [unrolled: 1-line block ×40, first 2 shown]
	ds_read_b128 v[21:24], v26 offset:512
	ds_read_b128 v[17:20], v26 offset:528
	;; [unrolled: 1-line block ×6, first 2 shown]
	buffer_load_dword v66, off, s[0:3], 0 offset:168
	buffer_load_dword v68, off, s[0:3], 0 offset:172
	;; [unrolled: 1-line block ×19, first 2 shown]
	v_cmp_ne_u32_e32 vcc, 0, v0
	s_waitcnt vmcnt(58) lgkmcnt(5)
	v_mul_f32_e32 v83, v21, v35
	s_waitcnt vmcnt(57)
	v_mul_f32_e32 v84, v23, v34
	s_waitcnt vmcnt(56) lgkmcnt(4)
	v_mul_f32_e32 v85, v17, v33
	s_waitcnt vmcnt(55)
	v_mul_f32_e32 v86, v19, v32
	;; [unrolled: 4-line block ×4, first 2 shown]
	s_waitcnt vmcnt(50) lgkmcnt(1)
	v_mul_f32_e32 v91, v5, v37
	s_waitcnt vmcnt(49)
	v_fmac_f32_e32 v85, v18, v40
	s_waitcnt vmcnt(48)
	v_fmac_f32_e32 v84, v24, v43
	;; [unrolled: 2-line block ×3, first 2 shown]
	v_add_f32_e32 v83, 0, v83
	v_add_f32_e32 v83, v83, v84
	v_add_f32_e32 v83, v83, v85
	s_waitcnt vmcnt(43)
	v_fmac_f32_e32 v86, v20, v44
	v_fmac_f32_e32 v87, v14, v41
	v_add_f32_e32 v83, v83, v86
	v_fmac_f32_e32 v88, v16, v39
	v_add_f32_e32 v83, v83, v87
	;; [unrolled: 2-line block ×3, first 2 shown]
	s_waitcnt vmcnt(39)
	v_fmac_f32_e32 v90, v12, v51
	v_add_f32_e32 v83, v83, v89
	v_fmac_f32_e32 v91, v6, v48
	v_add_f32_e32 v83, v83, v90
	s_waitcnt vmcnt(38)
	v_mul_f32_e32 v84, v7, v49
	v_add_f32_e32 v83, v83, v91
	v_fmac_f32_e32 v84, v8, v45
	v_add_f32_e32 v83, v83, v84
	s_waitcnt vmcnt(37) lgkmcnt(0)
	v_mul_f32_e32 v84, v1, v47
	v_fmac_f32_e32 v84, v2, v42
	v_add_f32_e32 v87, v83, v84
	ds_read_b128 v[83:86], v26 offset:608
	s_waitcnt vmcnt(36)
	v_mul_f32_e32 v88, v3, v50
	s_waitcnt vmcnt(30)
	v_fmac_f32_e32 v88, v4, v58
	v_add_f32_e32 v91, v87, v88
	ds_read_b128 v[87:90], v26 offset:624
	s_waitcnt vmcnt(29) lgkmcnt(1)
	v_mul_f32_e32 v92, v83, v57
	v_fmac_f32_e32 v92, v84, v56
	buffer_load_dword v184, off, s[0:3], 0 offset:240
	buffer_load_dword v185, off, s[0:3], 0 offset:248
	;; [unrolled: 1-line block ×3, first 2 shown]
	v_add_f32_e32 v91, v91, v92
	v_mul_f32_e32 v92, v85, v53
	v_fmac_f32_e32 v92, v86, v52
	buffer_load_dword v187, off, s[0:3], 0 offset:256
	buffer_load_dword v188, off, s[0:3], 0 offset:260
	v_add_f32_e32 v91, v91, v92
	s_waitcnt lgkmcnt(0)
	v_mul_f32_e32 v92, v87, v55
	v_fmac_f32_e32 v92, v88, v54
	v_add_f32_e32 v95, v91, v92
	ds_read_b128 v[91:94], v26 offset:640
	s_waitcnt vmcnt(31)
	v_mul_f32_e32 v96, v89, v59
	s_waitcnt vmcnt(24)
	v_fmac_f32_e32 v96, v90, v67
	v_add_f32_e32 v99, v95, v96
	ds_read_b128 v[95:98], v26 offset:656
	buffer_load_dword v189, off, s[0:3], 0 offset:264
	buffer_load_dword v190, off, s[0:3], 0 offset:268
	s_waitcnt lgkmcnt(1)
	v_mul_f32_e32 v100, v91, v61
	v_fmac_f32_e32 v100, v92, v60
	v_add_f32_e32 v99, v99, v100
	v_mul_f32_e32 v100, v93, v63
	v_fmac_f32_e32 v100, v94, v62
	v_add_f32_e32 v99, v99, v100
	s_waitcnt lgkmcnt(0)
	v_mul_f32_e32 v100, v95, v65
	v_fmac_f32_e32 v100, v96, v64
	v_add_f32_e32 v103, v99, v100
	buffer_load_dword v191, off, s[0:3], 0 offset:272
	buffer_load_dword v192, off, s[0:3], 0 offset:276
	ds_read_b128 v[99:102], v26 offset:672
	s_waitcnt vmcnt(26)
	v_mul_f32_e32 v104, v97, v68
	v_fmac_f32_e32 v104, v98, v66
	v_add_f32_e32 v107, v103, v104
	ds_read_b128 v[103:106], v26 offset:688
	s_waitcnt vmcnt(24) lgkmcnt(1)
	v_mul_f32_e32 v108, v99, v70
	v_fmac_f32_e32 v108, v100, v69
	v_add_f32_e32 v107, v107, v108
	s_waitcnt vmcnt(22)
	v_mul_f32_e32 v108, v101, v72
	buffer_load_dword v193, off, s[0:3], 0 offset:280
	buffer_load_dword v194, off, s[0:3], 0 offset:284
	v_fmac_f32_e32 v108, v102, v71
	v_add_f32_e32 v107, v107, v108
	s_waitcnt vmcnt(22) lgkmcnt(0)
	v_mul_f32_e32 v108, v103, v74
	buffer_load_dword v195, off, s[0:3], 0 offset:288
	buffer_load_dword v196, off, s[0:3], 0 offset:292
	v_fmac_f32_e32 v108, v104, v73
	v_add_f32_e32 v111, v107, v108
	ds_read_b128 v[107:110], v26 offset:704
	buffer_load_dword v197, off, s[0:3], 0 offset:296
	buffer_load_dword v198, off, s[0:3], 0 offset:300
	s_waitcnt vmcnt(24)
	v_mul_f32_e32 v112, v105, v76
	v_fmac_f32_e32 v112, v106, v75
	v_add_f32_e32 v115, v111, v112
	ds_read_b128 v[111:114], v26 offset:720
	s_waitcnt vmcnt(22) lgkmcnt(1)
	v_mul_f32_e32 v116, v107, v78
	v_fmac_f32_e32 v116, v108, v77
	buffer_load_dword v199, off, s[0:3], 0 offset:304
	buffer_load_dword v200, off, s[0:3], 0 offset:308
	;; [unrolled: 1-line block ×6, first 2 shown]
	v_add_f32_e32 v115, v115, v116
	s_waitcnt vmcnt(26)
	v_mul_f32_e32 v116, v109, v80
	v_fmac_f32_e32 v116, v110, v79
	v_add_f32_e32 v115, v115, v116
	s_waitcnt vmcnt(24) lgkmcnt(0)
	v_mul_f32_e32 v116, v111, v82
	v_fmac_f32_e32 v116, v112, v81
	v_add_f32_e32 v122, v115, v116
	ds_read_b128 v[115:118], v26 offset:736
	buffer_load_dword v205, off, s[0:3], 0 offset:328
	buffer_load_dword v206, off, s[0:3], 0 offset:332
	s_waitcnt vmcnt(24)
	v_mul_f32_e32 v123, v113, v182
	v_fmac_f32_e32 v123, v114, v119
	v_add_f32_e32 v126, v122, v123
	ds_read_b128 v[122:125], v26 offset:752
	buffer_load_dword v207, off, s[0:3], 0 offset:336
	buffer_load_dword v208, off, s[0:3], 0 offset:340
	;; [unrolled: 1-line block ×14, first 2 shown]
	s_waitcnt vmcnt(37) lgkmcnt(1)
	v_mul_f32_e32 v127, v115, v183
	buffer_load_dword v221, off, s[0:3], 0 offset:392
	buffer_load_dword v222, off, s[0:3], 0 offset:396
	v_mul_f32_e32 v22, v22, v35
	v_fma_f32 v21, v21, v46, -v22
	v_mul_f32_e32 v22, v24, v34
	v_add_f32_e32 v21, 0, v21
	v_fma_f32 v22, v23, v43, -v22
	v_mul_f32_e32 v18, v18, v33
	v_add_f32_e32 v21, v21, v22
	;; [unrolled: 3-line block ×3, first 2 shown]
	s_waitcnt vmcnt(38)
	v_fmac_f32_e32 v127, v116, v184
	v_add_f32_e32 v126, v126, v127
	s_waitcnt vmcnt(36)
	v_mul_f32_e32 v127, v117, v186
	v_fmac_f32_e32 v127, v118, v185
	v_add_f32_e32 v126, v126, v127
	v_fma_f32 v18, v19, v44, -v18
	s_waitcnt vmcnt(34) lgkmcnt(0)
	v_mul_f32_e32 v127, v122, v188
	v_fmac_f32_e32 v127, v123, v187
	v_add_f32_e32 v130, v126, v127
	ds_read_b128 v[126:129], v26 offset:768
	buffer_load_dword v223, off, s[0:3], 0 offset:400
	buffer_load_dword v224, off, s[0:3], 0 offset:404
	;; [unrolled: 1-line block ×6, first 2 shown]
	v_mul_f32_e32 v14, v14, v31
	v_add_f32_e32 v17, v17, v18
	v_fma_f32 v13, v13, v41, -v14
	v_mul_f32_e32 v14, v16, v30
	v_add_f32_e32 v13, v17, v13
	s_waitcnt vmcnt(38)
	v_mul_f32_e32 v131, v124, v190
	v_fmac_f32_e32 v131, v125, v189
	v_fma_f32 v14, v15, v39, -v14
	v_mul_f32_e32 v10, v10, v29
	v_add_f32_e32 v134, v130, v131
	ds_read_b128 v[130:133], v26 offset:784
	buffer_load_dword v229, off, s[0:3], 0 offset:424
	buffer_load_dword v230, off, s[0:3], 0 offset:428
	v_add_f32_e32 v13, v13, v14
	v_fma_f32 v9, v9, v38, -v10
	v_mul_f32_e32 v10, v12, v36
	v_add_f32_e32 v9, v13, v9
	v_fma_f32 v10, v11, v51, -v10
	v_mul_f32_e32 v6, v6, v37
	;; [unrolled: 3-line block ×5, first 2 shown]
	v_add_f32_e32 v1, v5, v1
	v_fma_f32 v2, v3, v58, -v2
	buffer_load_dword v231, off, s[0:3], 0 offset:432
	buffer_load_dword v232, off, s[0:3], 0 offset:436
	;; [unrolled: 1-line block ×6, first 2 shown]
	v_add_f32_e32 v1, v1, v2
	v_mul_f32_e32 v2, v84, v57
	v_fma_f32 v2, v83, v56, -v2
	v_add_f32_e32 v1, v1, v2
	v_mul_f32_e32 v2, v86, v53
	v_fma_f32 v2, v85, v52, -v2
	v_add_f32_e32 v1, v1, v2
	v_mul_f32_e32 v2, v88, v55
	buffer_load_dword v247, off, s[0:3], 0 offset:456
	buffer_load_dword v248, off, s[0:3], 0 offset:460
	v_fma_f32 v2, v87, v54, -v2
	v_add_f32_e32 v1, v1, v2
	v_mul_f32_e32 v2, v90, v59
	s_waitcnt vmcnt(46) lgkmcnt(1)
	v_mul_f32_e32 v135, v126, v192
	v_fma_f32 v2, v89, v67, -v2
	v_fmac_f32_e32 v135, v127, v191
	v_add_f32_e32 v1, v1, v2
	v_mul_f32_e32 v2, v92, v61
	v_add_f32_e32 v134, v134, v135
	s_waitcnt vmcnt(44)
	v_mul_f32_e32 v135, v128, v194
	v_fma_f32 v2, v91, v60, -v2
	v_fmac_f32_e32 v135, v129, v193
	v_add_f32_e32 v1, v1, v2
	v_mul_f32_e32 v2, v94, v63
	v_add_f32_e32 v134, v134, v135
	s_waitcnt vmcnt(42) lgkmcnt(0)
	v_mul_f32_e32 v135, v130, v196
	buffer_load_dword v249, off, s[0:3], 0 offset:464
	buffer_load_dword v250, off, s[0:3], 0 offset:468
	;; [unrolled: 1-line block ×6, first 2 shown]
	v_fma_f32 v2, v93, v62, -v2
	v_fmac_f32_e32 v135, v131, v195
	s_waitcnt vmcnt(46)
	v_mul_f32_e32 v139, v132, v198
	v_add_f32_e32 v1, v1, v2
	v_mul_f32_e32 v2, v96, v65
	v_add_f32_e32 v138, v134, v135
	v_fmac_f32_e32 v139, v133, v197
	v_fma_f32 v2, v95, v64, -v2
	ds_read_b128 v[134:137], v26 offset:800
	v_add_f32_e32 v142, v138, v139
	ds_read_b128 v[138:141], v26 offset:816
	buffer_load_dword v255, off, s[0:3], 0 offset:488
	buffer_load_dword v234, off, s[0:3], 0 offset:492
	v_add_f32_e32 v1, v1, v2
	v_mul_f32_e32 v2, v98, v68
	v_fma_f32 v2, v97, v66, -v2
	v_add_f32_e32 v1, v1, v2
	v_mul_f32_e32 v2, v100, v70
	v_fma_f32 v2, v99, v69, -v2
	;; [unrolled: 3-line block ×9, first 2 shown]
	v_add_f32_e32 v1, v1, v2
	v_mul_f32_e32 v2, v116, v183
	s_waitcnt vmcnt(46) lgkmcnt(1)
	v_mul_f32_e32 v143, v134, v200
	v_fma_f32 v2, v115, v184, -v2
	v_fmac_f32_e32 v143, v135, v199
	v_add_f32_e32 v1, v1, v2
	v_mul_f32_e32 v2, v118, v186
	v_add_f32_e32 v142, v142, v143
	s_waitcnt vmcnt(45)
	v_mul_f32_e32 v143, v136, v201
	v_fma_f32 v2, v117, v185, -v2
	s_waitcnt vmcnt(42)
	v_fmac_f32_e32 v143, v137, v204
	v_add_f32_e32 v1, v1, v2
	v_mul_f32_e32 v2, v123, v188
	v_add_f32_e32 v142, v142, v143
	s_waitcnt lgkmcnt(0)
	v_mul_f32_e32 v143, v138, v203
	v_fma_f32 v2, v122, v187, -v2
	v_fmac_f32_e32 v143, v139, v202
	v_add_f32_e32 v1, v1, v2
	v_mul_f32_e32 v2, v125, v190
	v_add_f32_e32 v146, v142, v143
	ds_read_b128 v[142:145], v26 offset:832
	v_fma_f32 v2, v124, v189, -v2
	v_add_f32_e32 v1, v1, v2
	v_mul_f32_e32 v2, v127, v192
	s_waitcnt vmcnt(40)
	v_mul_f32_e32 v147, v140, v206
	v_fma_f32 v2, v126, v191, -v2
	v_fmac_f32_e32 v147, v141, v205
	v_add_f32_e32 v1, v1, v2
	v_mul_f32_e32 v2, v129, v194
	v_add_f32_e32 v150, v146, v147
	ds_read_b128 v[146:149], v26 offset:848
	v_fma_f32 v2, v128, v193, -v2
	s_waitcnt vmcnt(38) lgkmcnt(1)
	v_mul_f32_e32 v151, v142, v208
	v_add_f32_e32 v1, v1, v2
	v_mul_f32_e32 v2, v131, v196
	v_fmac_f32_e32 v151, v143, v207
	v_fma_f32 v2, v130, v195, -v2
	v_add_f32_e32 v150, v150, v151
	s_waitcnt vmcnt(37)
	v_mul_f32_e32 v151, v144, v209
	v_add_f32_e32 v1, v1, v2
	v_mul_f32_e32 v2, v133, v198
	s_waitcnt vmcnt(34)
	v_fmac_f32_e32 v151, v145, v212
	v_fma_f32 v2, v132, v197, -v2
	v_add_f32_e32 v150, v150, v151
	s_waitcnt lgkmcnt(0)
	v_mul_f32_e32 v151, v146, v211
	v_add_f32_e32 v1, v1, v2
	v_mul_f32_e32 v2, v135, v200
	v_fmac_f32_e32 v151, v147, v210
	v_fma_f32 v2, v134, v199, -v2
	v_add_f32_e32 v154, v150, v151
	ds_read_b128 v[150:153], v26 offset:864
	v_add_f32_e32 v1, v1, v2
	v_mul_f32_e32 v2, v137, v201
	v_fma_f32 v2, v136, v204, -v2
	s_waitcnt vmcnt(32)
	v_mul_f32_e32 v155, v148, v214
	v_add_f32_e32 v1, v1, v2
	v_mul_f32_e32 v2, v139, v203
	v_fmac_f32_e32 v155, v149, v213
	v_fma_f32 v2, v138, v202, -v2
	v_add_f32_e32 v158, v154, v155
	ds_read_b128 v[154:157], v26 offset:880
	v_add_f32_e32 v1, v1, v2
	v_mul_f32_e32 v2, v141, v206
	s_waitcnt vmcnt(30) lgkmcnt(1)
	v_mul_f32_e32 v159, v150, v216
	v_fma_f32 v2, v140, v205, -v2
	v_fmac_f32_e32 v159, v151, v215
	v_add_f32_e32 v1, v1, v2
	v_mul_f32_e32 v2, v143, v208
	v_add_f32_e32 v158, v158, v159
	s_waitcnt vmcnt(29)
	v_mul_f32_e32 v159, v152, v217
	v_fma_f32 v2, v142, v207, -v2
	s_waitcnt vmcnt(26)
	v_fmac_f32_e32 v159, v153, v220
	v_add_f32_e32 v1, v1, v2
	v_mul_f32_e32 v2, v145, v209
	v_add_f32_e32 v158, v158, v159
	s_waitcnt lgkmcnt(0)
	v_mul_f32_e32 v159, v154, v219
	v_fma_f32 v2, v144, v212, -v2
	v_fmac_f32_e32 v159, v155, v218
	v_add_f32_e32 v1, v1, v2
	v_mul_f32_e32 v2, v147, v211
	v_add_f32_e32 v162, v158, v159
	ds_read_b128 v[158:161], v26 offset:896
	v_fma_f32 v2, v146, v210, -v2
	v_add_f32_e32 v1, v1, v2
	v_mul_f32_e32 v2, v149, v214
	s_waitcnt vmcnt(24)
	v_mul_f32_e32 v163, v156, v222
	v_fma_f32 v2, v148, v213, -v2
	v_fmac_f32_e32 v163, v157, v221
	v_add_f32_e32 v1, v1, v2
	v_mul_f32_e32 v2, v151, v216
	v_add_f32_e32 v166, v162, v163
	ds_read_b128 v[162:165], v26 offset:912
	v_fma_f32 v2, v150, v215, -v2
	s_waitcnt vmcnt(22) lgkmcnt(1)
	v_mul_f32_e32 v167, v158, v224
	v_add_f32_e32 v1, v1, v2
	v_mul_f32_e32 v2, v153, v217
	v_fmac_f32_e32 v167, v159, v223
	v_fma_f32 v2, v152, v220, -v2
	v_add_f32_e32 v166, v166, v167
	s_waitcnt vmcnt(21)
	v_mul_f32_e32 v167, v160, v225
	v_add_f32_e32 v1, v1, v2
	v_mul_f32_e32 v2, v155, v219
	s_waitcnt vmcnt(18)
	v_fmac_f32_e32 v167, v161, v228
	v_fma_f32 v2, v154, v218, -v2
	v_add_f32_e32 v166, v166, v167
	s_waitcnt lgkmcnt(0)
	v_mul_f32_e32 v167, v162, v227
	v_add_f32_e32 v1, v1, v2
	v_mul_f32_e32 v2, v157, v222
	v_fmac_f32_e32 v167, v163, v226
	v_fma_f32 v2, v156, v221, -v2
	v_add_f32_e32 v170, v166, v167
	ds_read_b128 v[166:169], v26 offset:928
	v_add_f32_e32 v1, v1, v2
	v_mul_f32_e32 v2, v159, v224
	v_fma_f32 v2, v158, v223, -v2
	s_waitcnt vmcnt(16)
	v_mul_f32_e32 v171, v164, v230
	v_add_f32_e32 v1, v1, v2
	v_mul_f32_e32 v2, v161, v225
	v_fmac_f32_e32 v171, v165, v229
	v_fma_f32 v2, v160, v228, -v2
	v_add_f32_e32 v174, v170, v171
	ds_read_b128 v[170:173], v26 offset:944
	v_add_f32_e32 v1, v1, v2
	v_mul_f32_e32 v2, v163, v227
	s_waitcnt vmcnt(14) lgkmcnt(1)
	v_mul_f32_e32 v175, v166, v232
	v_fma_f32 v2, v162, v226, -v2
	v_fmac_f32_e32 v175, v167, v231
	v_add_f32_e32 v1, v1, v2
	v_mul_f32_e32 v2, v165, v230
	v_add_f32_e32 v174, v174, v175
	s_waitcnt vmcnt(13)
	v_mul_f32_e32 v175, v168, v233
	v_fma_f32 v2, v164, v229, -v2
	s_waitcnt vmcnt(10)
	v_fmac_f32_e32 v175, v169, v246
	v_add_f32_e32 v1, v1, v2
	v_mul_f32_e32 v2, v167, v232
	v_add_f32_e32 v174, v174, v175
	s_waitcnt lgkmcnt(0)
	v_mul_f32_e32 v175, v170, v245
	v_fma_f32 v2, v166, v231, -v2
	v_fmac_f32_e32 v175, v171, v244
	v_add_f32_e32 v1, v1, v2
	v_mul_f32_e32 v2, v169, v233
	v_add_f32_e32 v178, v174, v175
	ds_read_b128 v[174:177], v26 offset:960
	v_fma_f32 v2, v168, v246, -v2
	v_add_f32_e32 v1, v1, v2
	v_mul_f32_e32 v2, v171, v245
	s_waitcnt vmcnt(8)
	v_mul_f32_e32 v179, v172, v248
	v_fma_f32 v2, v170, v244, -v2
	v_fmac_f32_e32 v179, v173, v247
	v_add_f32_e32 v1, v1, v2
	v_mul_f32_e32 v2, v173, v248
	v_add_f32_e32 v235, v178, v179
	ds_read_b128 v[178:181], v26 offset:976
	v_fma_f32 v2, v172, v247, -v2
	v_add_f32_e32 v1, v1, v2
	s_waitcnt vmcnt(6) lgkmcnt(1)
	v_mul_f32_e32 v2, v175, v250
	v_mul_f32_e32 v26, v174, v250
	v_fma_f32 v2, v174, v249, -v2
	v_fmac_f32_e32 v26, v175, v249
	v_add_f32_e32 v1, v1, v2
	s_waitcnt vmcnt(5)
	v_mul_f32_e32 v2, v177, v251
	v_add_f32_e32 v26, v235, v26
	v_mul_f32_e32 v235, v176, v251
	s_waitcnt vmcnt(2)
	v_fma_f32 v2, v176, v254, -v2
	v_fmac_f32_e32 v235, v177, v254
	v_add_f32_e32 v1, v1, v2
	s_waitcnt lgkmcnt(0)
	v_mul_f32_e32 v2, v179, v253
	v_add_f32_e32 v26, v26, v235
	v_mul_f32_e32 v235, v178, v253
	v_fma_f32 v2, v178, v252, -v2
	v_fmac_f32_e32 v235, v179, v252
	v_add_f32_e32 v1, v1, v2
	s_waitcnt vmcnt(0)
	v_mul_f32_e32 v2, v181, v234
	v_add_f32_e32 v26, v26, v235
	v_mul_f32_e32 v235, v180, v234
	v_fma_f32 v2, v180, v255, -v2
	v_fmac_f32_e32 v235, v181, v255
	v_add_f32_e32 v1, v1, v2
	v_add_f32_e32 v26, v26, v235
	v_sub_f32_e32 v1, v27, v1
	v_sub_f32_e32 v2, v28, v26
	buffer_store_dword v1, off, s[0:3], 0 offset:8
	buffer_store_dword v2, off, s[0:3], 0 offset:12
	s_and_saveexec_b64 s[4:5], vcc
	s_cbranch_execz .LBB125_385
; %bb.384:
	buffer_load_dword v0, off, s[0:3], 0
	buffer_load_dword v1, off, s[0:3], 0 offset:4
	v_mov_b32_e32 v2, 0
	buffer_store_dword v2, off, s[0:3], 0
	buffer_store_dword v2, off, s[0:3], 0 offset:4
	s_waitcnt vmcnt(2)
	ds_write_b64 v25, v[0:1]
.LBB125_385:
	s_or_b64 exec, exec, s[4:5]
	s_waitcnt lgkmcnt(0)
	; wave barrier
	buffer_load_dword v233, off, s[0:3], 0 offset:12
	buffer_load_dword v251, off, s[0:3], 0 offset:20
	;; [unrolled: 1-line block ×26, first 2 shown]
	buffer_load_dword v245, off, s[0:3], 0
	buffer_load_dword v136, off, s[0:3], 0 offset:112
	buffer_load_dword v137, off, s[0:3], 0 offset:116
	;; [unrolled: 1-line block ×28, first 2 shown]
	v_mov_b32_e32 v244, 0
	ds_read2_b64 v[28:31], v244 offset0:63 offset1:64
	ds_read2_b64 v[16:19], v244 offset0:65 offset1:66
	ds_read2_b64 v[12:15], v244 offset0:67 offset1:68
	ds_read2_b64 v[8:11], v244 offset0:69 offset1:70
	ds_read2_b64 v[4:7], v244 offset0:71 offset1:72
	ds_read2_b64 v[0:3], v244 offset0:73 offset1:74
	buffer_load_dword v164, off, s[0:3], 0 offset:224
	buffer_load_dword v165, off, s[0:3], 0 offset:228
	s_and_b64 vcc, exec, s[14:15]
	s_waitcnt vmcnt(56) lgkmcnt(5)
	v_mul_f32_e32 v20, v28, v233
	s_waitcnt vmcnt(55)
	v_mul_f32_e32 v21, v30, v251
	s_waitcnt vmcnt(54) lgkmcnt(4)
	v_mul_f32_e32 v22, v16, v250
	s_waitcnt vmcnt(53)
	v_mul_f32_e32 v23, v18, v249
	;; [unrolled: 4-line block ×4, first 2 shown]
	s_waitcnt vmcnt(48) lgkmcnt(1)
	v_mul_f32_e32 v32, v4, v253
	s_waitcnt vmcnt(47)
	v_fmac_f32_e32 v20, v29, v234
	s_waitcnt vmcnt(46)
	v_fmac_f32_e32 v21, v31, v131
	v_add_f32_e32 v20, 0, v20
	s_waitcnt vmcnt(45)
	v_fmac_f32_e32 v22, v17, v129
	v_add_f32_e32 v20, v20, v21
	s_waitcnt vmcnt(44)
	v_fmac_f32_e32 v23, v19, v128
	v_add_f32_e32 v20, v20, v22
	s_waitcnt vmcnt(43)
	v_fmac_f32_e32 v24, v13, v126
	v_add_f32_e32 v20, v20, v23
	s_waitcnt vmcnt(42)
	v_fmac_f32_e32 v25, v15, v124
	v_add_f32_e32 v20, v20, v24
	s_waitcnt vmcnt(41)
	v_fmac_f32_e32 v26, v9, v127
	v_add_f32_e32 v20, v20, v25
	s_waitcnt vmcnt(40)
	v_fmac_f32_e32 v27, v11, v125
	v_add_f32_e32 v20, v20, v26
	s_waitcnt vmcnt(39)
	v_fmac_f32_e32 v32, v5, v123
	v_add_f32_e32 v20, v20, v27
	s_waitcnt vmcnt(38)
	v_mul_f32_e32 v21, v6, v122
	v_add_f32_e32 v20, v20, v32
	s_waitcnt vmcnt(37)
	v_fmac_f32_e32 v21, v7, v255
	v_add_f32_e32 v20, v20, v21
	s_waitcnt vmcnt(36) lgkmcnt(0)
	v_mul_f32_e32 v21, v0, v254
	ds_read2_b64 v[24:27], v244 offset0:75 offset1:76
	s_waitcnt vmcnt(35)
	v_fmac_f32_e32 v21, v1, v130
	v_add_f32_e32 v20, v20, v21
	s_waitcnt vmcnt(34)
	v_mul_f32_e32 v21, v2, v135
	buffer_load_dword v166, off, s[0:3], 0 offset:232
	buffer_load_dword v167, off, s[0:3], 0 offset:236
	s_waitcnt vmcnt(35)
	v_fmac_f32_e32 v21, v3, v134
	v_add_f32_e32 v32, v20, v21
	ds_read2_b64 v[20:23], v244 offset0:77 offset1:78
	s_waitcnt vmcnt(34) lgkmcnt(1)
	v_mul_f32_e32 v33, v24, v133
	buffer_load_dword v168, off, s[0:3], 0 offset:240
	buffer_load_dword v169, off, s[0:3], 0 offset:244
	s_waitcnt vmcnt(35)
	v_fmac_f32_e32 v33, v25, v132
	v_add_f32_e32 v32, v32, v33
	s_waitcnt vmcnt(32)
	v_mul_f32_e32 v33, v26, v137
	buffer_load_dword v170, off, s[0:3], 0 offset:248
	buffer_load_dword v171, off, s[0:3], 0 offset:252
	v_fmac_f32_e32 v33, v27, v136
	v_add_f32_e32 v32, v32, v33
	s_waitcnt vmcnt(32) lgkmcnt(0)
	v_mul_f32_e32 v33, v20, v139
	ds_read2_b64 v[36:39], v244 offset0:79 offset1:80
	buffer_load_dword v172, off, s[0:3], 0 offset:256
	buffer_load_dword v173, off, s[0:3], 0 offset:260
	v_fmac_f32_e32 v33, v21, v138
	v_add_f32_e32 v32, v32, v33
	s_waitcnt vmcnt(32)
	v_mul_f32_e32 v33, v22, v141
	v_fmac_f32_e32 v33, v23, v140
	v_add_f32_e32 v40, v32, v33
	ds_read2_b64 v[32:35], v244 offset0:81 offset1:82
	s_waitcnt vmcnt(30) lgkmcnt(1)
	v_mul_f32_e32 v41, v36, v143
	v_fmac_f32_e32 v41, v37, v142
	v_add_f32_e32 v40, v40, v41
	s_waitcnt vmcnt(28)
	v_mul_f32_e32 v41, v38, v145
	v_fmac_f32_e32 v41, v39, v144
	v_add_f32_e32 v40, v40, v41
	s_waitcnt vmcnt(26) lgkmcnt(0)
	v_mul_f32_e32 v41, v32, v147
	buffer_load_dword v174, off, s[0:3], 0 offset:264
	buffer_load_dword v175, off, s[0:3], 0 offset:268
	ds_read2_b64 v[44:47], v244 offset0:83 offset1:84
	v_fmac_f32_e32 v41, v33, v146
	v_add_f32_e32 v40, v40, v41
	s_waitcnt vmcnt(26)
	v_mul_f32_e32 v41, v34, v149
	v_fmac_f32_e32 v41, v35, v148
	v_add_f32_e32 v48, v40, v41
	ds_read2_b64 v[40:43], v244 offset0:85 offset1:86
	s_waitcnt vmcnt(24) lgkmcnt(1)
	v_mul_f32_e32 v49, v44, v151
	v_fmac_f32_e32 v49, v45, v150
	buffer_load_dword v176, off, s[0:3], 0 offset:272
	buffer_load_dword v177, off, s[0:3], 0 offset:276
	v_add_f32_e32 v48, v48, v49
	s_waitcnt vmcnt(24)
	v_mul_f32_e32 v49, v46, v153
	v_fmac_f32_e32 v49, v47, v152
	buffer_load_dword v178, off, s[0:3], 0 offset:280
	buffer_load_dword v179, off, s[0:3], 0 offset:284
	v_add_f32_e32 v48, v48, v49
	s_waitcnt vmcnt(24) lgkmcnt(0)
	v_mul_f32_e32 v49, v40, v155
	v_fmac_f32_e32 v49, v41, v154
	v_add_f32_e32 v52, v48, v49
	ds_read2_b64 v[48:51], v244 offset0:87 offset1:88
	buffer_load_dword v180, off, s[0:3], 0 offset:288
	buffer_load_dword v181, off, s[0:3], 0 offset:292
	s_waitcnt vmcnt(24)
	v_mul_f32_e32 v53, v42, v157
	v_fmac_f32_e32 v53, v43, v156
	v_add_f32_e32 v56, v52, v53
	ds_read2_b64 v[52:55], v244 offset0:89 offset1:90
	s_waitcnt vmcnt(22) lgkmcnt(1)
	v_mul_f32_e32 v57, v48, v159
	v_fmac_f32_e32 v57, v49, v158
	v_add_f32_e32 v56, v56, v57
	buffer_load_dword v182, off, s[0:3], 0 offset:296
	buffer_load_dword v183, off, s[0:3], 0 offset:300
	s_waitcnt vmcnt(23)
	v_mul_f32_e32 v57, v50, v161
	s_waitcnt vmcnt(22)
	v_fmac_f32_e32 v57, v51, v160
	v_add_f32_e32 v56, v56, v57
	s_waitcnt vmcnt(20) lgkmcnt(0)
	v_mul_f32_e32 v57, v52, v163
	buffer_load_dword v184, off, s[0:3], 0 offset:308
	v_fmac_f32_e32 v57, v53, v162
	v_add_f32_e32 v56, v56, v57
	s_waitcnt vmcnt(19)
	v_mul_f32_e32 v57, v54, v165
	ds_read2_b64 v[60:63], v244 offset0:91 offset1:92
	buffer_load_dword v187, off, s[0:3], 0 offset:304
	buffer_load_dword v185, off, s[0:3], 0 offset:312
	buffer_load_dword v188, off, s[0:3], 0 offset:316
	v_fmac_f32_e32 v57, v55, v164
	v_add_f32_e32 v64, v56, v57
	ds_read2_b64 v[56:59], v244 offset0:93 offset1:94
	buffer_load_dword v186, off, s[0:3], 0 offset:320
	buffer_load_dword v191, off, s[0:3], 0 offset:324
	;; [unrolled: 1-line block ×16, first 2 shown]
	ds_read2_b64 v[68:71], v244 offset0:95 offset1:96
	buffer_load_dword v200, off, s[0:3], 0 offset:384
	buffer_load_dword v207, off, s[0:3], 0 offset:388
	v_mul_f32_e32 v29, v29, v233
	v_fma_f32 v28, v28, v234, -v29
	s_waitcnt vmcnt(38) lgkmcnt(2)
	v_mul_f32_e32 v65, v60, v167
	v_fmac_f32_e32 v65, v61, v166
	v_add_f32_e32 v64, v64, v65
	v_mul_f32_e32 v29, v31, v251
	v_fma_f32 v31, v30, v131, -v29
	s_waitcnt vmcnt(36)
	v_mul_f32_e32 v65, v62, v169
	v_fmac_f32_e32 v65, v63, v168
	v_add_f32_e32 v64, v64, v65
	v_add_f32_e32 v28, 0, v28
	s_waitcnt vmcnt(34) lgkmcnt(1)
	v_mul_f32_e32 v65, v56, v171
	v_fmac_f32_e32 v65, v57, v170
	v_add_f32_e32 v64, v64, v65
	v_mul_f32_e32 v17, v17, v250
	v_add_f32_e32 v28, v28, v31
	s_waitcnt vmcnt(32)
	v_mul_f32_e32 v65, v58, v173
	v_fmac_f32_e32 v65, v59, v172
	v_add_f32_e32 v72, v64, v65
	ds_read2_b64 v[64:67], v244 offset0:97 offset1:98
	buffer_load_dword v205, off, s[0:3], 0 offset:392
	buffer_load_dword v209, off, s[0:3], 0 offset:396
	;; [unrolled: 1-line block ×6, first 2 shown]
	v_fma_f32 v16, v16, v129, -v17
	v_mul_f32_e32 v17, v19, v249
	v_add_f32_e32 v16, v28, v16
	v_fma_f32 v17, v18, v128, -v17
	v_mul_f32_e32 v13, v13, v248
	buffer_load_dword v208, off, s[0:3], 0 offset:416
	buffer_load_dword v215, off, s[0:3], 0 offset:420
	v_add_f32_e32 v16, v16, v17
	v_fma_f32 v12, v12, v126, -v13
	v_mul_f32_e32 v13, v15, v247
	v_add_f32_e32 v12, v16, v12
	v_fma_f32 v13, v14, v124, -v13
	v_mul_f32_e32 v9, v9, v246
	buffer_load_dword v213, off, s[0:3], 0 offset:424
	buffer_load_dword v217, off, s[0:3], 0 offset:428
	v_add_f32_e32 v12, v12, v13
	v_fma_f32 v8, v8, v127, -v9
	v_mul_f32_e32 v9, v11, v252
	v_add_f32_e32 v8, v12, v8
	v_fma_f32 v9, v10, v125, -v9
	v_mul_f32_e32 v5, v5, v253
	;; [unrolled: 3-line block ×4, first 2 shown]
	s_waitcnt vmcnt(40) lgkmcnt(1)
	v_mul_f32_e32 v73, v68, v175
	v_add_f32_e32 v4, v4, v5
	v_fma_f32 v0, v0, v130, -v1
	v_mul_f32_e32 v1, v3, v135
	v_fmac_f32_e32 v73, v69, v174
	buffer_load_dword v219, off, s[0:3], 0 offset:436
	buffer_load_dword v218, off, s[0:3], 0 offset:432
	;; [unrolled: 1-line block ×4, first 2 shown]
	v_add_f32_e32 v0, v4, v0
	v_fma_f32 v1, v2, v134, -v1
	v_add_f32_e32 v72, v72, v73
	s_waitcnt vmcnt(42)
	v_mul_f32_e32 v73, v70, v177
	v_add_f32_e32 v0, v0, v1
	v_mul_f32_e32 v1, v25, v133
	v_fmac_f32_e32 v73, v71, v176
	buffer_load_dword v216, off, s[0:3], 0 offset:448
	buffer_load_dword v222, off, s[0:3], 0 offset:452
	v_fma_f32 v1, v24, v132, -v1
	v_add_f32_e32 v72, v72, v73
	s_waitcnt vmcnt(42) lgkmcnt(0)
	v_mul_f32_e32 v73, v64, v179
	v_add_f32_e32 v0, v0, v1
	v_mul_f32_e32 v1, v27, v137
	v_fmac_f32_e32 v73, v65, v178
	v_fma_f32 v1, v26, v136, -v1
	v_add_f32_e32 v72, v72, v73
	s_waitcnt vmcnt(40)
	v_mul_f32_e32 v73, v66, v181
	ds_read2_b64 v[76:79], v244 offset0:99 offset1:100
	buffer_load_dword v224, off, s[0:3], 0 offset:460
	buffer_load_dword v223, off, s[0:3], 0 offset:456
	v_add_f32_e32 v0, v0, v1
	v_mul_f32_e32 v1, v21, v139
	v_fmac_f32_e32 v73, v67, v180
	v_fma_f32 v1, v20, v138, -v1
	v_add_f32_e32 v80, v72, v73
	ds_read2_b64 v[72:75], v244 offset0:101 offset1:102
	buffer_load_dword v226, off, s[0:3], 0 offset:468
	buffer_load_dword v225, off, s[0:3], 0 offset:464
	v_add_f32_e32 v0, v0, v1
	v_mul_f32_e32 v1, v23, v141
	v_fma_f32 v1, v22, v140, -v1
	v_add_f32_e32 v0, v0, v1
	v_mul_f32_e32 v1, v37, v143
	v_fma_f32 v1, v36, v142, -v1
	;; [unrolled: 3-line block ×3, first 2 shown]
	buffer_load_dword v221, off, s[0:3], 0 offset:472
	buffer_load_dword v228, off, s[0:3], 0 offset:476
	v_add_f32_e32 v0, v0, v1
	v_mul_f32_e32 v1, v33, v147
	v_fma_f32 v1, v32, v146, -v1
	v_add_f32_e32 v0, v0, v1
	v_mul_f32_e32 v1, v35, v149
	v_fma_f32 v1, v34, v148, -v1
	buffer_load_dword v230, off, s[0:3], 0 offset:484
	buffer_load_dword v229, off, s[0:3], 0 offset:480
	;; [unrolled: 1-line block ×4, first 2 shown]
	v_add_f32_e32 v0, v0, v1
	v_mul_f32_e32 v1, v45, v151
	v_fma_f32 v1, v44, v150, -v1
	v_add_f32_e32 v0, v0, v1
	v_mul_f32_e32 v1, v47, v153
	v_fma_f32 v1, v46, v152, -v1
	buffer_load_dword v233, off, s[0:3], 0 offset:4
	v_add_f32_e32 v0, v0, v1
	v_mul_f32_e32 v1, v41, v155
	v_fma_f32 v1, v40, v154, -v1
	v_add_f32_e32 v0, v0, v1
	v_mul_f32_e32 v1, v43, v157
	v_fma_f32 v1, v42, v156, -v1
	;; [unrolled: 3-line block ×9, first 2 shown]
	v_add_f32_e32 v0, v0, v1
	v_mul_f32_e32 v1, v59, v173
	s_waitcnt vmcnt(49) lgkmcnt(1)
	v_mul_f32_e32 v81, v76, v183
	v_fma_f32 v1, v58, v172, -v1
	v_fmac_f32_e32 v81, v77, v182
	v_add_f32_e32 v0, v0, v1
	v_mul_f32_e32 v1, v69, v175
	v_add_f32_e32 v80, v80, v81
	s_waitcnt vmcnt(48)
	v_mul_f32_e32 v81, v78, v184
	v_fma_f32 v1, v68, v174, -v1
	s_waitcnt vmcnt(47)
	v_fmac_f32_e32 v81, v79, v187
	v_add_f32_e32 v0, v0, v1
	v_mul_f32_e32 v1, v71, v177
	v_add_f32_e32 v80, v80, v81
	s_waitcnt vmcnt(45) lgkmcnt(0)
	v_mul_f32_e32 v81, v72, v188
	ds_read2_b64 v[84:87], v244 offset0:103 offset1:104
	v_fma_f32 v1, v70, v176, -v1
	v_fmac_f32_e32 v81, v73, v185
	v_add_f32_e32 v0, v0, v1
	v_mul_f32_e32 v1, v65, v179
	v_add_f32_e32 v80, v80, v81
	s_waitcnt vmcnt(43)
	v_mul_f32_e32 v81, v74, v191
	v_fma_f32 v1, v64, v178, -v1
	v_fmac_f32_e32 v81, v75, v186
	v_add_f32_e32 v0, v0, v1
	v_mul_f32_e32 v1, v67, v181
	v_add_f32_e32 v88, v80, v81
	ds_read2_b64 v[80:83], v244 offset0:105 offset1:106
	v_fma_f32 v1, v66, v180, -v1
	s_waitcnt vmcnt(41) lgkmcnt(1)
	v_mul_f32_e32 v89, v84, v193
	v_add_f32_e32 v0, v0, v1
	v_mul_f32_e32 v1, v77, v183
	v_fmac_f32_e32 v89, v85, v189
	v_fma_f32 v1, v76, v182, -v1
	v_add_f32_e32 v88, v88, v89
	s_waitcnt vmcnt(40)
	v_mul_f32_e32 v89, v86, v195
	v_add_f32_e32 v0, v0, v1
	v_mul_f32_e32 v1, v79, v184
	s_waitcnt vmcnt(39)
	v_fmac_f32_e32 v89, v87, v194
	v_fma_f32 v1, v78, v187, -v1
	v_add_f32_e32 v88, v88, v89
	s_waitcnt vmcnt(37) lgkmcnt(0)
	v_mul_f32_e32 v89, v80, v196
	ds_read2_b64 v[92:95], v244 offset0:107 offset1:108
	v_add_f32_e32 v0, v0, v1
	v_mul_f32_e32 v1, v73, v188
	v_fmac_f32_e32 v89, v81, v190
	v_fma_f32 v1, v72, v185, -v1
	v_add_f32_e32 v88, v88, v89
	s_waitcnt vmcnt(35)
	v_mul_f32_e32 v89, v82, v199
	v_add_f32_e32 v0, v0, v1
	v_mul_f32_e32 v1, v75, v191
	v_fmac_f32_e32 v89, v83, v192
	v_fma_f32 v1, v74, v186, -v1
	v_add_f32_e32 v96, v88, v89
	ds_read2_b64 v[88:91], v244 offset0:109 offset1:110
	v_add_f32_e32 v0, v0, v1
	v_mul_f32_e32 v1, v85, v193
	s_waitcnt vmcnt(33) lgkmcnt(1)
	v_mul_f32_e32 v97, v92, v201
	v_fma_f32 v1, v84, v189, -v1
	v_fmac_f32_e32 v97, v93, v197
	v_add_f32_e32 v0, v0, v1
	v_mul_f32_e32 v1, v87, v195
	v_add_f32_e32 v96, v96, v97
	s_waitcnt vmcnt(32)
	v_mul_f32_e32 v97, v94, v203
	v_fma_f32 v1, v86, v194, -v1
	s_waitcnt vmcnt(31)
	v_fmac_f32_e32 v97, v95, v202
	v_add_f32_e32 v0, v0, v1
	v_mul_f32_e32 v1, v81, v196
	v_add_f32_e32 v96, v96, v97
	s_waitcnt vmcnt(29) lgkmcnt(0)
	v_mul_f32_e32 v97, v88, v204
	ds_read2_b64 v[100:103], v244 offset0:111 offset1:112
	v_fma_f32 v1, v80, v190, -v1
	v_fmac_f32_e32 v97, v89, v198
	v_add_f32_e32 v0, v0, v1
	v_mul_f32_e32 v1, v83, v199
	v_add_f32_e32 v96, v96, v97
	s_waitcnt vmcnt(27)
	v_mul_f32_e32 v97, v90, v207
	v_fma_f32 v1, v82, v192, -v1
	v_fmac_f32_e32 v97, v91, v200
	v_add_f32_e32 v0, v0, v1
	v_mul_f32_e32 v1, v93, v201
	v_add_f32_e32 v104, v96, v97
	ds_read2_b64 v[96:99], v244 offset0:113 offset1:114
	v_fma_f32 v1, v92, v197, -v1
	s_waitcnt vmcnt(25) lgkmcnt(1)
	v_mul_f32_e32 v105, v100, v209
	v_add_f32_e32 v0, v0, v1
	v_mul_f32_e32 v1, v95, v203
	v_fmac_f32_e32 v105, v101, v205
	v_fma_f32 v1, v94, v202, -v1
	v_add_f32_e32 v104, v104, v105
	s_waitcnt vmcnt(24)
	v_mul_f32_e32 v105, v102, v211
	v_add_f32_e32 v0, v0, v1
	v_mul_f32_e32 v1, v89, v204
	s_waitcnt vmcnt(23)
	v_fmac_f32_e32 v105, v103, v210
	ds_read2_b64 v[108:111], v244 offset0:115 offset1:116
	v_fma_f32 v1, v88, v198, -v1
	v_add_f32_e32 v104, v104, v105
	s_waitcnt vmcnt(21) lgkmcnt(1)
	v_mul_f32_e32 v105, v96, v212
	v_add_f32_e32 v0, v0, v1
	v_mul_f32_e32 v1, v91, v207
	v_fmac_f32_e32 v105, v97, v206
	v_fma_f32 v1, v90, v200, -v1
	v_add_f32_e32 v104, v104, v105
	s_waitcnt vmcnt(19)
	v_mul_f32_e32 v105, v98, v215
	v_add_f32_e32 v0, v0, v1
	v_mul_f32_e32 v1, v101, v209
	v_fmac_f32_e32 v105, v99, v208
	v_fma_f32 v1, v100, v205, -v1
	v_add_f32_e32 v112, v104, v105
	ds_read2_b64 v[104:107], v244 offset0:117 offset1:118
	s_waitcnt vmcnt(17) lgkmcnt(1)
	v_mul_f32_e32 v113, v108, v217
	v_add_f32_e32 v0, v0, v1
	v_mul_f32_e32 v1, v103, v211
	v_fmac_f32_e32 v113, v109, v213
	v_fma_f32 v1, v102, v210, -v1
	v_add_f32_e32 v112, v112, v113
	s_waitcnt vmcnt(16)
	v_mul_f32_e32 v113, v110, v219
	v_add_f32_e32 v0, v0, v1
	v_mul_f32_e32 v1, v97, v212
	s_waitcnt vmcnt(15)
	v_fmac_f32_e32 v113, v111, v218
	v_fma_f32 v1, v96, v206, -v1
	v_add_f32_e32 v116, v112, v113
	ds_read2_b64 v[112:115], v244 offset0:119 offset1:120
	ds_read_b64 v[29:30], v244 offset:984
	v_add_f32_e32 v0, v0, v1
	v_mul_f32_e32 v1, v99, v215
	s_waitcnt vmcnt(13) lgkmcnt(2)
	v_mul_f32_e32 v117, v104, v220
	v_fma_f32 v1, v98, v208, -v1
	v_fmac_f32_e32 v117, v105, v214
	v_add_f32_e32 v0, v0, v1
	v_mul_f32_e32 v1, v109, v217
	v_add_f32_e32 v116, v116, v117
	s_waitcnt vmcnt(11)
	v_mul_f32_e32 v117, v106, v222
	v_fma_f32 v1, v108, v213, -v1
	v_fmac_f32_e32 v117, v107, v216
	v_add_f32_e32 v0, v0, v1
	v_mul_f32_e32 v1, v111, v219
	v_add_f32_e32 v116, v116, v117
	s_waitcnt vmcnt(10) lgkmcnt(1)
	v_mul_f32_e32 v117, v112, v224
	v_fma_f32 v1, v110, v218, -v1
	s_waitcnt vmcnt(9)
	v_fmac_f32_e32 v117, v113, v223
	v_add_f32_e32 v0, v0, v1
	v_mul_f32_e32 v1, v105, v220
	v_add_f32_e32 v116, v116, v117
	s_waitcnt vmcnt(8)
	v_mul_f32_e32 v117, v114, v226
	v_fma_f32 v1, v104, v214, -v1
	s_waitcnt vmcnt(7)
	v_fmac_f32_e32 v117, v115, v225
	v_add_f32_e32 v0, v0, v1
	v_mul_f32_e32 v1, v107, v222
	v_add_f32_e32 v232, v116, v117
	ds_read2_b64 v[116:119], v244 offset0:121 offset1:122
	v_fma_f32 v1, v106, v216, -v1
	v_add_f32_e32 v0, v0, v1
	v_mul_f32_e32 v1, v113, v224
	v_fma_f32 v1, v112, v223, -v1
	v_add_f32_e32 v0, v0, v1
	v_mul_f32_e32 v1, v115, v226
	v_fma_f32 v1, v114, v225, -v1
	v_add_f32_e32 v0, v0, v1
	s_waitcnt vmcnt(5) lgkmcnt(0)
	v_mul_f32_e32 v1, v117, v228
	v_mul_f32_e32 v131, v116, v228
	v_fma_f32 v1, v116, v221, -v1
	v_fmac_f32_e32 v131, v117, v221
	v_add_f32_e32 v0, v0, v1
	s_waitcnt vmcnt(4)
	v_mul_f32_e32 v1, v119, v230
	v_add_f32_e32 v131, v232, v131
	v_mul_f32_e32 v232, v118, v230
	s_waitcnt vmcnt(3)
	v_fma_f32 v1, v118, v229, -v1
	v_fmac_f32_e32 v232, v119, v229
	v_add_f32_e32 v0, v0, v1
	s_waitcnt vmcnt(1)
	v_mul_f32_e32 v1, v30, v231
	v_add_f32_e32 v131, v131, v232
	v_mul_f32_e32 v232, v29, v231
	v_fma_f32 v1, v29, v227, -v1
	v_fmac_f32_e32 v232, v30, v227
	v_add_f32_e32 v0, v0, v1
	v_add_f32_e32 v131, v131, v232
	v_sub_f32_e32 v0, v245, v0
	s_waitcnt vmcnt(0)
	v_sub_f32_e32 v1, v233, v131
	buffer_store_dword v0, off, s[0:3], 0
	buffer_store_dword v1, off, s[0:3], 0 offset:4
	s_cbranch_vccz .LBB125_508
; %bb.386:
	global_load_dword v0, v244, s[12:13] offset:240
	s_waitcnt vmcnt(0)
	v_add_u32_e32 v0, -1, v0
	v_cmp_ne_u32_e32 vcc, 60, v0
	s_cbranch_vccz .LBB125_388
; %bb.387:
	v_lshlrev_b32_e32 v0, 3, v0
	buffer_load_dword v1, v0, s[0:3], 0 offen
	buffer_load_dword v2, v0, s[0:3], 0 offen offset:4
	buffer_load_dword v3, off, s[0:3], 0 offset:484
	buffer_load_dword v4, off, s[0:3], 0 offset:480
	s_waitcnt vmcnt(3)
	buffer_store_dword v1, off, s[0:3], 0 offset:480
	s_waitcnt vmcnt(3)
	buffer_store_dword v2, off, s[0:3], 0 offset:484
	s_waitcnt vmcnt(3)
	buffer_store_dword v3, v0, s[0:3], 0 offen offset:4
	s_waitcnt vmcnt(3)
	buffer_store_dword v4, v0, s[0:3], 0 offen
.LBB125_388:
	v_mov_b32_e32 v0, 0
	global_load_dword v1, v0, s[12:13] offset:236
	s_waitcnt vmcnt(0)
	v_add_u32_e32 v1, -1, v1
	v_cmp_eq_u32_e32 vcc, 59, v1
	s_cbranch_vccnz .LBB125_390
; %bb.389:
	v_lshlrev_b32_e32 v1, 3, v1
	buffer_load_dword v2, v1, s[0:3], 0 offen
	buffer_load_dword v3, v1, s[0:3], 0 offen offset:4
	buffer_load_dword v4, off, s[0:3], 0 offset:472
	buffer_load_dword v5, off, s[0:3], 0 offset:476
	s_waitcnt vmcnt(3)
	buffer_store_dword v2, off, s[0:3], 0 offset:472
	s_waitcnt vmcnt(3)
	buffer_store_dword v3, off, s[0:3], 0 offset:476
	s_waitcnt vmcnt(3)
	buffer_store_dword v4, v1, s[0:3], 0 offen
	s_waitcnt vmcnt(3)
	buffer_store_dword v5, v1, s[0:3], 0 offen offset:4
.LBB125_390:
	global_load_dword v0, v0, s[12:13] offset:232
	s_waitcnt vmcnt(0)
	v_add_u32_e32 v0, -1, v0
	v_cmp_eq_u32_e32 vcc, 58, v0
	s_cbranch_vccnz .LBB125_392
; %bb.391:
	v_lshlrev_b32_e32 v0, 3, v0
	buffer_load_dword v1, v0, s[0:3], 0 offen
	buffer_load_dword v2, v0, s[0:3], 0 offen offset:4
	buffer_load_dword v3, off, s[0:3], 0 offset:468
	buffer_load_dword v4, off, s[0:3], 0 offset:464
	s_waitcnt vmcnt(3)
	buffer_store_dword v1, off, s[0:3], 0 offset:464
	s_waitcnt vmcnt(3)
	buffer_store_dword v2, off, s[0:3], 0 offset:468
	s_waitcnt vmcnt(3)
	buffer_store_dword v3, v0, s[0:3], 0 offen offset:4
	s_waitcnt vmcnt(3)
	buffer_store_dword v4, v0, s[0:3], 0 offen
.LBB125_392:
	v_mov_b32_e32 v0, 0
	global_load_dword v1, v0, s[12:13] offset:228
	s_waitcnt vmcnt(0)
	v_add_u32_e32 v1, -1, v1
	v_cmp_eq_u32_e32 vcc, 57, v1
	s_cbranch_vccnz .LBB125_394
; %bb.393:
	v_lshlrev_b32_e32 v1, 3, v1
	buffer_load_dword v2, v1, s[0:3], 0 offen
	buffer_load_dword v3, v1, s[0:3], 0 offen offset:4
	buffer_load_dword v4, off, s[0:3], 0 offset:456
	buffer_load_dword v5, off, s[0:3], 0 offset:460
	s_waitcnt vmcnt(3)
	buffer_store_dword v2, off, s[0:3], 0 offset:456
	s_waitcnt vmcnt(3)
	buffer_store_dword v3, off, s[0:3], 0 offset:460
	s_waitcnt vmcnt(3)
	buffer_store_dword v4, v1, s[0:3], 0 offen
	s_waitcnt vmcnt(3)
	buffer_store_dword v5, v1, s[0:3], 0 offen offset:4
.LBB125_394:
	global_load_dword v0, v0, s[12:13] offset:224
	s_waitcnt vmcnt(0)
	v_add_u32_e32 v0, -1, v0
	v_cmp_eq_u32_e32 vcc, 56, v0
	s_cbranch_vccnz .LBB125_396
; %bb.395:
	v_lshlrev_b32_e32 v0, 3, v0
	buffer_load_dword v1, v0, s[0:3], 0 offen
	buffer_load_dword v2, v0, s[0:3], 0 offen offset:4
	buffer_load_dword v3, off, s[0:3], 0 offset:452
	buffer_load_dword v4, off, s[0:3], 0 offset:448
	s_waitcnt vmcnt(3)
	buffer_store_dword v1, off, s[0:3], 0 offset:448
	s_waitcnt vmcnt(3)
	buffer_store_dword v2, off, s[0:3], 0 offset:452
	s_waitcnt vmcnt(3)
	buffer_store_dword v3, v0, s[0:3], 0 offen offset:4
	s_waitcnt vmcnt(3)
	buffer_store_dword v4, v0, s[0:3], 0 offen
.LBB125_396:
	;; [unrolled: 41-line block ×29, first 2 shown]
	v_mov_b32_e32 v0, 0
	global_load_dword v1, v0, s[12:13] offset:4
	s_waitcnt vmcnt(0)
	v_add_u32_e32 v1, -1, v1
	v_cmp_eq_u32_e32 vcc, 1, v1
	s_cbranch_vccnz .LBB125_506
; %bb.505:
	v_lshlrev_b32_e32 v1, 3, v1
	buffer_load_dword v2, v1, s[0:3], 0 offen
	buffer_load_dword v3, v1, s[0:3], 0 offen offset:4
	buffer_load_dword v4, off, s[0:3], 0 offset:8
	buffer_load_dword v5, off, s[0:3], 0 offset:12
	s_waitcnt vmcnt(3)
	buffer_store_dword v2, off, s[0:3], 0 offset:8
	s_waitcnt vmcnt(3)
	buffer_store_dword v3, off, s[0:3], 0 offset:12
	s_waitcnt vmcnt(3)
	buffer_store_dword v4, v1, s[0:3], 0 offen
	s_waitcnt vmcnt(3)
	buffer_store_dword v5, v1, s[0:3], 0 offen offset:4
.LBB125_506:
	global_load_dword v0, v0, s[12:13]
	s_waitcnt vmcnt(0)
	v_add_u32_e32 v0, -1, v0
	v_cmp_eq_u32_e32 vcc, 0, v0
	s_cbranch_vccnz .LBB125_508
; %bb.507:
	v_lshlrev_b32_e32 v0, 3, v0
	buffer_load_dword v1, v0, s[0:3], 0 offen
	buffer_load_dword v2, v0, s[0:3], 0 offen offset:4
	buffer_load_dword v3, off, s[0:3], 0 offset:4
	buffer_load_dword v4, off, s[0:3], 0
	s_waitcnt vmcnt(3)
	buffer_store_dword v1, off, s[0:3], 0
	s_waitcnt vmcnt(3)
	buffer_store_dword v2, off, s[0:3], 0 offset:4
	s_waitcnt vmcnt(3)
	buffer_store_dword v3, v0, s[0:3], 0 offen offset:4
	s_waitcnt vmcnt(3)
	buffer_store_dword v4, v0, s[0:3], 0 offen
.LBB125_508:
	buffer_load_dword v0, off, s[0:3], 0
	s_nop 0
	buffer_load_dword v1, off, s[0:3], 0 offset:4
	s_waitcnt vmcnt(0)
	flat_store_dwordx2 v[120:121], v[0:1]
	buffer_load_dword v0, off, s[0:3], 0 offset:8
	s_nop 0
	buffer_load_dword v1, off, s[0:3], 0 offset:12
	buffer_load_dword v2, off, s[0:3], 0 offset:496 ; 4-byte Folded Reload
	buffer_load_dword v3, off, s[0:3], 0 offset:500 ; 4-byte Folded Reload
	s_waitcnt vmcnt(0)
	flat_store_dwordx2 v[2:3], v[0:1]
	buffer_load_dword v0, off, s[0:3], 0 offset:16
	s_nop 0
	buffer_load_dword v1, off, s[0:3], 0 offset:20
	buffer_load_dword v2, off, s[0:3], 0 offset:504 ; 4-byte Folded Reload
	buffer_load_dword v3, off, s[0:3], 0 offset:508 ; 4-byte Folded Reload
	s_waitcnt vmcnt(0)
	flat_store_dwordx2 v[2:3], v[0:1]
	buffer_load_dword v0, off, s[0:3], 0 offset:24
	s_nop 0
	buffer_load_dword v1, off, s[0:3], 0 offset:28
	buffer_load_dword v2, off, s[0:3], 0 offset:512 ; 4-byte Folded Reload
	buffer_load_dword v3, off, s[0:3], 0 offset:516 ; 4-byte Folded Reload
	s_waitcnt vmcnt(0)
	flat_store_dwordx2 v[2:3], v[0:1]
	buffer_load_dword v0, off, s[0:3], 0 offset:32
	s_nop 0
	buffer_load_dword v1, off, s[0:3], 0 offset:36
	buffer_load_dword v2, off, s[0:3], 0 offset:520 ; 4-byte Folded Reload
	buffer_load_dword v3, off, s[0:3], 0 offset:524 ; 4-byte Folded Reload
	s_waitcnt vmcnt(0)
	flat_store_dwordx2 v[2:3], v[0:1]
	buffer_load_dword v0, off, s[0:3], 0 offset:40
	s_nop 0
	buffer_load_dword v1, off, s[0:3], 0 offset:44
	buffer_load_dword v2, off, s[0:3], 0 offset:528 ; 4-byte Folded Reload
	buffer_load_dword v3, off, s[0:3], 0 offset:532 ; 4-byte Folded Reload
	s_waitcnt vmcnt(0)
	flat_store_dwordx2 v[2:3], v[0:1]
	buffer_load_dword v0, off, s[0:3], 0 offset:48
	s_nop 0
	buffer_load_dword v1, off, s[0:3], 0 offset:52
	buffer_load_dword v2, off, s[0:3], 0 offset:536 ; 4-byte Folded Reload
	buffer_load_dword v3, off, s[0:3], 0 offset:540 ; 4-byte Folded Reload
	s_waitcnt vmcnt(0)
	flat_store_dwordx2 v[2:3], v[0:1]
	buffer_load_dword v0, off, s[0:3], 0 offset:56
	s_nop 0
	buffer_load_dword v1, off, s[0:3], 0 offset:60
	buffer_load_dword v2, off, s[0:3], 0 offset:544 ; 4-byte Folded Reload
	buffer_load_dword v3, off, s[0:3], 0 offset:548 ; 4-byte Folded Reload
	s_waitcnt vmcnt(0)
	flat_store_dwordx2 v[2:3], v[0:1]
	buffer_load_dword v0, off, s[0:3], 0 offset:64
	s_nop 0
	buffer_load_dword v1, off, s[0:3], 0 offset:68
	buffer_load_dword v2, off, s[0:3], 0 offset:552 ; 4-byte Folded Reload
	buffer_load_dword v3, off, s[0:3], 0 offset:556 ; 4-byte Folded Reload
	s_waitcnt vmcnt(0)
	flat_store_dwordx2 v[2:3], v[0:1]
	buffer_load_dword v0, off, s[0:3], 0 offset:72
	s_nop 0
	buffer_load_dword v1, off, s[0:3], 0 offset:76
	buffer_load_dword v2, off, s[0:3], 0 offset:560 ; 4-byte Folded Reload
	buffer_load_dword v3, off, s[0:3], 0 offset:564 ; 4-byte Folded Reload
	s_waitcnt vmcnt(0)
	flat_store_dwordx2 v[2:3], v[0:1]
	buffer_load_dword v0, off, s[0:3], 0 offset:80
	s_nop 0
	buffer_load_dword v1, off, s[0:3], 0 offset:84
	buffer_load_dword v2, off, s[0:3], 0 offset:568 ; 4-byte Folded Reload
	buffer_load_dword v3, off, s[0:3], 0 offset:572 ; 4-byte Folded Reload
	s_waitcnt vmcnt(0)
	flat_store_dwordx2 v[2:3], v[0:1]
	buffer_load_dword v0, off, s[0:3], 0 offset:88
	s_nop 0
	buffer_load_dword v1, off, s[0:3], 0 offset:92
	buffer_load_dword v2, off, s[0:3], 0 offset:576 ; 4-byte Folded Reload
	buffer_load_dword v3, off, s[0:3], 0 offset:580 ; 4-byte Folded Reload
	s_waitcnt vmcnt(0)
	flat_store_dwordx2 v[2:3], v[0:1]
	buffer_load_dword v0, off, s[0:3], 0 offset:96
	s_nop 0
	buffer_load_dword v1, off, s[0:3], 0 offset:100
	buffer_load_dword v2, off, s[0:3], 0 offset:584 ; 4-byte Folded Reload
	buffer_load_dword v3, off, s[0:3], 0 offset:588 ; 4-byte Folded Reload
	s_waitcnt vmcnt(0)
	flat_store_dwordx2 v[2:3], v[0:1]
	buffer_load_dword v0, off, s[0:3], 0 offset:104
	s_nop 0
	buffer_load_dword v1, off, s[0:3], 0 offset:108
	buffer_load_dword v2, off, s[0:3], 0 offset:592 ; 4-byte Folded Reload
	buffer_load_dword v3, off, s[0:3], 0 offset:596 ; 4-byte Folded Reload
	s_waitcnt vmcnt(0)
	flat_store_dwordx2 v[2:3], v[0:1]
	buffer_load_dword v0, off, s[0:3], 0 offset:112
	s_nop 0
	buffer_load_dword v1, off, s[0:3], 0 offset:116
	buffer_load_dword v2, off, s[0:3], 0 offset:600 ; 4-byte Folded Reload
	buffer_load_dword v3, off, s[0:3], 0 offset:604 ; 4-byte Folded Reload
	s_waitcnt vmcnt(0)
	flat_store_dwordx2 v[2:3], v[0:1]
	buffer_load_dword v0, off, s[0:3], 0 offset:120
	s_nop 0
	buffer_load_dword v1, off, s[0:3], 0 offset:124
	buffer_load_dword v2, off, s[0:3], 0 offset:608 ; 4-byte Folded Reload
	buffer_load_dword v3, off, s[0:3], 0 offset:612 ; 4-byte Folded Reload
	s_waitcnt vmcnt(0)
	flat_store_dwordx2 v[2:3], v[0:1]
	buffer_load_dword v0, off, s[0:3], 0 offset:128
	s_nop 0
	buffer_load_dword v1, off, s[0:3], 0 offset:132
	buffer_load_dword v2, off, s[0:3], 0 offset:616 ; 4-byte Folded Reload
	buffer_load_dword v3, off, s[0:3], 0 offset:620 ; 4-byte Folded Reload
	s_waitcnt vmcnt(0)
	flat_store_dwordx2 v[2:3], v[0:1]
	buffer_load_dword v0, off, s[0:3], 0 offset:136
	s_nop 0
	buffer_load_dword v1, off, s[0:3], 0 offset:140
	buffer_load_dword v2, off, s[0:3], 0 offset:624 ; 4-byte Folded Reload
	buffer_load_dword v3, off, s[0:3], 0 offset:628 ; 4-byte Folded Reload
	s_waitcnt vmcnt(0)
	flat_store_dwordx2 v[2:3], v[0:1]
	buffer_load_dword v0, off, s[0:3], 0 offset:144
	s_nop 0
	buffer_load_dword v1, off, s[0:3], 0 offset:148
	buffer_load_dword v2, off, s[0:3], 0 offset:632 ; 4-byte Folded Reload
	buffer_load_dword v3, off, s[0:3], 0 offset:636 ; 4-byte Folded Reload
	s_waitcnt vmcnt(0)
	flat_store_dwordx2 v[2:3], v[0:1]
	buffer_load_dword v0, off, s[0:3], 0 offset:152
	s_nop 0
	buffer_load_dword v1, off, s[0:3], 0 offset:156
	buffer_load_dword v2, off, s[0:3], 0 offset:640 ; 4-byte Folded Reload
	buffer_load_dword v3, off, s[0:3], 0 offset:644 ; 4-byte Folded Reload
	s_waitcnt vmcnt(0)
	flat_store_dwordx2 v[2:3], v[0:1]
	buffer_load_dword v0, off, s[0:3], 0 offset:160
	s_nop 0
	buffer_load_dword v1, off, s[0:3], 0 offset:164
	buffer_load_dword v2, off, s[0:3], 0 offset:648 ; 4-byte Folded Reload
	buffer_load_dword v3, off, s[0:3], 0 offset:652 ; 4-byte Folded Reload
	s_waitcnt vmcnt(0)
	flat_store_dwordx2 v[2:3], v[0:1]
	buffer_load_dword v0, off, s[0:3], 0 offset:168
	s_nop 0
	buffer_load_dword v1, off, s[0:3], 0 offset:172
	buffer_load_dword v2, off, s[0:3], 0 offset:656 ; 4-byte Folded Reload
	buffer_load_dword v3, off, s[0:3], 0 offset:660 ; 4-byte Folded Reload
	s_waitcnt vmcnt(0)
	flat_store_dwordx2 v[2:3], v[0:1]
	buffer_load_dword v0, off, s[0:3], 0 offset:176
	s_nop 0
	buffer_load_dword v1, off, s[0:3], 0 offset:180
	buffer_load_dword v2, off, s[0:3], 0 offset:664 ; 4-byte Folded Reload
	buffer_load_dword v3, off, s[0:3], 0 offset:668 ; 4-byte Folded Reload
	s_waitcnt vmcnt(0)
	flat_store_dwordx2 v[2:3], v[0:1]
	buffer_load_dword v0, off, s[0:3], 0 offset:184
	s_nop 0
	buffer_load_dword v1, off, s[0:3], 0 offset:188
	buffer_load_dword v2, off, s[0:3], 0 offset:672 ; 4-byte Folded Reload
	buffer_load_dword v3, off, s[0:3], 0 offset:676 ; 4-byte Folded Reload
	s_waitcnt vmcnt(0)
	flat_store_dwordx2 v[2:3], v[0:1]
	buffer_load_dword v0, off, s[0:3], 0 offset:192
	s_nop 0
	buffer_load_dword v1, off, s[0:3], 0 offset:196
	buffer_load_dword v2, off, s[0:3], 0 offset:680 ; 4-byte Folded Reload
	buffer_load_dword v3, off, s[0:3], 0 offset:684 ; 4-byte Folded Reload
	s_waitcnt vmcnt(0)
	flat_store_dwordx2 v[2:3], v[0:1]
	buffer_load_dword v0, off, s[0:3], 0 offset:200
	s_nop 0
	buffer_load_dword v1, off, s[0:3], 0 offset:204
	buffer_load_dword v2, off, s[0:3], 0 offset:688 ; 4-byte Folded Reload
	buffer_load_dword v3, off, s[0:3], 0 offset:692 ; 4-byte Folded Reload
	s_waitcnt vmcnt(0)
	flat_store_dwordx2 v[2:3], v[0:1]
	buffer_load_dword v0, off, s[0:3], 0 offset:208
	s_nop 0
	buffer_load_dword v1, off, s[0:3], 0 offset:212
	buffer_load_dword v2, off, s[0:3], 0 offset:696 ; 4-byte Folded Reload
	buffer_load_dword v3, off, s[0:3], 0 offset:700 ; 4-byte Folded Reload
	s_waitcnt vmcnt(0)
	flat_store_dwordx2 v[2:3], v[0:1]
	buffer_load_dword v0, off, s[0:3], 0 offset:216
	s_nop 0
	buffer_load_dword v1, off, s[0:3], 0 offset:220
	buffer_load_dword v2, off, s[0:3], 0 offset:704 ; 4-byte Folded Reload
	buffer_load_dword v3, off, s[0:3], 0 offset:708 ; 4-byte Folded Reload
	s_waitcnt vmcnt(0)
	flat_store_dwordx2 v[2:3], v[0:1]
	buffer_load_dword v0, off, s[0:3], 0 offset:224
	s_nop 0
	buffer_load_dword v1, off, s[0:3], 0 offset:228
	buffer_load_dword v2, off, s[0:3], 0 offset:712 ; 4-byte Folded Reload
	buffer_load_dword v3, off, s[0:3], 0 offset:716 ; 4-byte Folded Reload
	s_waitcnt vmcnt(0)
	flat_store_dwordx2 v[2:3], v[0:1]
	buffer_load_dword v0, off, s[0:3], 0 offset:232
	s_nop 0
	buffer_load_dword v1, off, s[0:3], 0 offset:236
	buffer_load_dword v2, off, s[0:3], 0 offset:720 ; 4-byte Folded Reload
	buffer_load_dword v3, off, s[0:3], 0 offset:724 ; 4-byte Folded Reload
	s_waitcnt vmcnt(0)
	flat_store_dwordx2 v[2:3], v[0:1]
	buffer_load_dword v0, off, s[0:3], 0 offset:240
	s_nop 0
	buffer_load_dword v1, off, s[0:3], 0 offset:244
	buffer_load_dword v2, off, s[0:3], 0 offset:728 ; 4-byte Folded Reload
	buffer_load_dword v3, off, s[0:3], 0 offset:732 ; 4-byte Folded Reload
	s_waitcnt vmcnt(0)
	flat_store_dwordx2 v[2:3], v[0:1]
	buffer_load_dword v0, off, s[0:3], 0 offset:248
	s_nop 0
	buffer_load_dword v1, off, s[0:3], 0 offset:252
	buffer_load_dword v2, off, s[0:3], 0 offset:736 ; 4-byte Folded Reload
	buffer_load_dword v3, off, s[0:3], 0 offset:740 ; 4-byte Folded Reload
	s_waitcnt vmcnt(0)
	flat_store_dwordx2 v[2:3], v[0:1]
	buffer_load_dword v0, off, s[0:3], 0 offset:256
	s_nop 0
	buffer_load_dword v1, off, s[0:3], 0 offset:260
	buffer_load_dword v2, off, s[0:3], 0 offset:744 ; 4-byte Folded Reload
	buffer_load_dword v3, off, s[0:3], 0 offset:748 ; 4-byte Folded Reload
	s_waitcnt vmcnt(0)
	flat_store_dwordx2 v[2:3], v[0:1]
	buffer_load_dword v0, off, s[0:3], 0 offset:264
	s_nop 0
	buffer_load_dword v1, off, s[0:3], 0 offset:268
	buffer_load_dword v2, off, s[0:3], 0 offset:752 ; 4-byte Folded Reload
	buffer_load_dword v3, off, s[0:3], 0 offset:756 ; 4-byte Folded Reload
	s_waitcnt vmcnt(0)
	flat_store_dwordx2 v[2:3], v[0:1]
	buffer_load_dword v0, off, s[0:3], 0 offset:272
	s_nop 0
	buffer_load_dword v1, off, s[0:3], 0 offset:276
	buffer_load_dword v2, off, s[0:3], 0 offset:760 ; 4-byte Folded Reload
	buffer_load_dword v3, off, s[0:3], 0 offset:764 ; 4-byte Folded Reload
	s_waitcnt vmcnt(0)
	flat_store_dwordx2 v[2:3], v[0:1]
	buffer_load_dword v0, off, s[0:3], 0 offset:280
	s_nop 0
	buffer_load_dword v1, off, s[0:3], 0 offset:284
	buffer_load_dword v2, off, s[0:3], 0 offset:768 ; 4-byte Folded Reload
	buffer_load_dword v3, off, s[0:3], 0 offset:772 ; 4-byte Folded Reload
	s_waitcnt vmcnt(0)
	flat_store_dwordx2 v[2:3], v[0:1]
	buffer_load_dword v0, off, s[0:3], 0 offset:288
	s_nop 0
	buffer_load_dword v1, off, s[0:3], 0 offset:292
	buffer_load_dword v2, off, s[0:3], 0 offset:776 ; 4-byte Folded Reload
	buffer_load_dword v3, off, s[0:3], 0 offset:780 ; 4-byte Folded Reload
	s_waitcnt vmcnt(0)
	flat_store_dwordx2 v[2:3], v[0:1]
	buffer_load_dword v0, off, s[0:3], 0 offset:296
	s_nop 0
	buffer_load_dword v1, off, s[0:3], 0 offset:300
	buffer_load_dword v2, off, s[0:3], 0 offset:784 ; 4-byte Folded Reload
	buffer_load_dword v3, off, s[0:3], 0 offset:788 ; 4-byte Folded Reload
	s_waitcnt vmcnt(0)
	flat_store_dwordx2 v[2:3], v[0:1]
	buffer_load_dword v0, off, s[0:3], 0 offset:304
	s_nop 0
	buffer_load_dword v1, off, s[0:3], 0 offset:308
	buffer_load_dword v2, off, s[0:3], 0 offset:792 ; 4-byte Folded Reload
	buffer_load_dword v3, off, s[0:3], 0 offset:796 ; 4-byte Folded Reload
	s_waitcnt vmcnt(0)
	flat_store_dwordx2 v[2:3], v[0:1]
	buffer_load_dword v0, off, s[0:3], 0 offset:312
	s_nop 0
	buffer_load_dword v1, off, s[0:3], 0 offset:316
	buffer_load_dword v2, off, s[0:3], 0 offset:800 ; 4-byte Folded Reload
	buffer_load_dword v3, off, s[0:3], 0 offset:804 ; 4-byte Folded Reload
	s_waitcnt vmcnt(0)
	flat_store_dwordx2 v[2:3], v[0:1]
	buffer_load_dword v0, off, s[0:3], 0 offset:320
	s_nop 0
	buffer_load_dword v1, off, s[0:3], 0 offset:324
	buffer_load_dword v2, off, s[0:3], 0 offset:808 ; 4-byte Folded Reload
	buffer_load_dword v3, off, s[0:3], 0 offset:812 ; 4-byte Folded Reload
	s_waitcnt vmcnt(0)
	flat_store_dwordx2 v[2:3], v[0:1]
	buffer_load_dword v0, off, s[0:3], 0 offset:328
	s_nop 0
	buffer_load_dword v1, off, s[0:3], 0 offset:332
	buffer_load_dword v2, off, s[0:3], 0 offset:816 ; 4-byte Folded Reload
	buffer_load_dword v3, off, s[0:3], 0 offset:820 ; 4-byte Folded Reload
	s_waitcnt vmcnt(0)
	flat_store_dwordx2 v[2:3], v[0:1]
	buffer_load_dword v0, off, s[0:3], 0 offset:336
	s_nop 0
	buffer_load_dword v1, off, s[0:3], 0 offset:340
	buffer_load_dword v2, off, s[0:3], 0 offset:824 ; 4-byte Folded Reload
	buffer_load_dword v3, off, s[0:3], 0 offset:828 ; 4-byte Folded Reload
	s_waitcnt vmcnt(0)
	flat_store_dwordx2 v[2:3], v[0:1]
	buffer_load_dword v0, off, s[0:3], 0 offset:344
	s_nop 0
	buffer_load_dword v1, off, s[0:3], 0 offset:348
	buffer_load_dword v2, off, s[0:3], 0 offset:832 ; 4-byte Folded Reload
	buffer_load_dword v3, off, s[0:3], 0 offset:836 ; 4-byte Folded Reload
	s_waitcnt vmcnt(0)
	flat_store_dwordx2 v[2:3], v[0:1]
	buffer_load_dword v0, off, s[0:3], 0 offset:352
	s_nop 0
	buffer_load_dword v1, off, s[0:3], 0 offset:356
	buffer_load_dword v2, off, s[0:3], 0 offset:840 ; 4-byte Folded Reload
	buffer_load_dword v3, off, s[0:3], 0 offset:844 ; 4-byte Folded Reload
	s_waitcnt vmcnt(0)
	flat_store_dwordx2 v[2:3], v[0:1]
	buffer_load_dword v0, off, s[0:3], 0 offset:360
	s_nop 0
	buffer_load_dword v1, off, s[0:3], 0 offset:364
	buffer_load_dword v2, off, s[0:3], 0 offset:848 ; 4-byte Folded Reload
	buffer_load_dword v3, off, s[0:3], 0 offset:852 ; 4-byte Folded Reload
	s_waitcnt vmcnt(0)
	flat_store_dwordx2 v[2:3], v[0:1]
	buffer_load_dword v0, off, s[0:3], 0 offset:368
	s_nop 0
	buffer_load_dword v1, off, s[0:3], 0 offset:372
	buffer_load_dword v2, off, s[0:3], 0 offset:856 ; 4-byte Folded Reload
	buffer_load_dword v3, off, s[0:3], 0 offset:860 ; 4-byte Folded Reload
	s_waitcnt vmcnt(0)
	flat_store_dwordx2 v[2:3], v[0:1]
	buffer_load_dword v0, off, s[0:3], 0 offset:376
	s_nop 0
	buffer_load_dword v1, off, s[0:3], 0 offset:380
	buffer_load_dword v2, off, s[0:3], 0 offset:864 ; 4-byte Folded Reload
	buffer_load_dword v3, off, s[0:3], 0 offset:868 ; 4-byte Folded Reload
	s_waitcnt vmcnt(0)
	flat_store_dwordx2 v[2:3], v[0:1]
	buffer_load_dword v0, off, s[0:3], 0 offset:384
	s_nop 0
	buffer_load_dword v1, off, s[0:3], 0 offset:388
	buffer_load_dword v2, off, s[0:3], 0 offset:872 ; 4-byte Folded Reload
	buffer_load_dword v3, off, s[0:3], 0 offset:876 ; 4-byte Folded Reload
	s_waitcnt vmcnt(0)
	flat_store_dwordx2 v[2:3], v[0:1]
	buffer_load_dword v0, off, s[0:3], 0 offset:392
	s_nop 0
	buffer_load_dword v1, off, s[0:3], 0 offset:396
	buffer_load_dword v2, off, s[0:3], 0 offset:880 ; 4-byte Folded Reload
	buffer_load_dword v3, off, s[0:3], 0 offset:884 ; 4-byte Folded Reload
	s_waitcnt vmcnt(0)
	flat_store_dwordx2 v[2:3], v[0:1]
	buffer_load_dword v0, off, s[0:3], 0 offset:400
	s_nop 0
	buffer_load_dword v1, off, s[0:3], 0 offset:404
	buffer_load_dword v2, off, s[0:3], 0 offset:888 ; 4-byte Folded Reload
	buffer_load_dword v3, off, s[0:3], 0 offset:892 ; 4-byte Folded Reload
	s_waitcnt vmcnt(0)
	flat_store_dwordx2 v[2:3], v[0:1]
	buffer_load_dword v0, off, s[0:3], 0 offset:408
	s_nop 0
	buffer_load_dword v1, off, s[0:3], 0 offset:412
	buffer_load_dword v2, off, s[0:3], 0 offset:896 ; 4-byte Folded Reload
	buffer_load_dword v3, off, s[0:3], 0 offset:900 ; 4-byte Folded Reload
	s_waitcnt vmcnt(0)
	flat_store_dwordx2 v[2:3], v[0:1]
	buffer_load_dword v0, off, s[0:3], 0 offset:416
	s_nop 0
	buffer_load_dword v1, off, s[0:3], 0 offset:420
	buffer_load_dword v2, off, s[0:3], 0 offset:904 ; 4-byte Folded Reload
	buffer_load_dword v3, off, s[0:3], 0 offset:908 ; 4-byte Folded Reload
	s_waitcnt vmcnt(0)
	flat_store_dwordx2 v[2:3], v[0:1]
	buffer_load_dword v0, off, s[0:3], 0 offset:424
	s_nop 0
	buffer_load_dword v1, off, s[0:3], 0 offset:428
	buffer_load_dword v2, off, s[0:3], 0 offset:912 ; 4-byte Folded Reload
	buffer_load_dword v3, off, s[0:3], 0 offset:916 ; 4-byte Folded Reload
	s_waitcnt vmcnt(0)
	flat_store_dwordx2 v[2:3], v[0:1]
	buffer_load_dword v0, off, s[0:3], 0 offset:432
	s_nop 0
	buffer_load_dword v1, off, s[0:3], 0 offset:436
	buffer_load_dword v2, off, s[0:3], 0 offset:920 ; 4-byte Folded Reload
	buffer_load_dword v3, off, s[0:3], 0 offset:924 ; 4-byte Folded Reload
	s_waitcnt vmcnt(0)
	flat_store_dwordx2 v[2:3], v[0:1]
	buffer_load_dword v0, off, s[0:3], 0 offset:440
	s_nop 0
	buffer_load_dword v1, off, s[0:3], 0 offset:444
	buffer_load_dword v2, off, s[0:3], 0 offset:928 ; 4-byte Folded Reload
	buffer_load_dword v3, off, s[0:3], 0 offset:932 ; 4-byte Folded Reload
	s_waitcnt vmcnt(0)
	flat_store_dwordx2 v[2:3], v[0:1]
	buffer_load_dword v0, off, s[0:3], 0 offset:448
	s_nop 0
	buffer_load_dword v1, off, s[0:3], 0 offset:452
	buffer_load_dword v2, off, s[0:3], 0 offset:936 ; 4-byte Folded Reload
	buffer_load_dword v3, off, s[0:3], 0 offset:940 ; 4-byte Folded Reload
	s_waitcnt vmcnt(0)
	flat_store_dwordx2 v[2:3], v[0:1]
	buffer_load_dword v0, off, s[0:3], 0 offset:456
	s_nop 0
	buffer_load_dword v1, off, s[0:3], 0 offset:460
	buffer_load_dword v2, off, s[0:3], 0 offset:944 ; 4-byte Folded Reload
	buffer_load_dword v3, off, s[0:3], 0 offset:948 ; 4-byte Folded Reload
	s_waitcnt vmcnt(0)
	flat_store_dwordx2 v[2:3], v[0:1]
	buffer_load_dword v0, off, s[0:3], 0 offset:464
	s_nop 0
	buffer_load_dword v1, off, s[0:3], 0 offset:468
	s_waitcnt vmcnt(0)
	flat_store_dwordx2 v[236:237], v[0:1]
	buffer_load_dword v0, off, s[0:3], 0 offset:472
	s_nop 0
	buffer_load_dword v1, off, s[0:3], 0 offset:476
	;; [unrolled: 5-line block ×4, first 2 shown]
	s_waitcnt vmcnt(0)
	flat_store_dwordx2 v[242:243], v[0:1]
	s_endpgm
	.section	.rodata,"a",@progbits
	.p2align	6, 0x0
	.amdhsa_kernel _ZN9rocsolver6v33100L18getri_kernel_smallILi62E19rocblas_complex_numIfEPKPS3_EEvT1_iilPiilS8_bb
		.amdhsa_group_segment_fixed_size 996
		.amdhsa_private_segment_fixed_size 960
		.amdhsa_kernarg_size 60
		.amdhsa_user_sgpr_count 6
		.amdhsa_user_sgpr_private_segment_buffer 1
		.amdhsa_user_sgpr_dispatch_ptr 0
		.amdhsa_user_sgpr_queue_ptr 0
		.amdhsa_user_sgpr_kernarg_segment_ptr 1
		.amdhsa_user_sgpr_dispatch_id 0
		.amdhsa_user_sgpr_flat_scratch_init 0
		.amdhsa_user_sgpr_private_segment_size 0
		.amdhsa_uses_dynamic_stack 0
		.amdhsa_system_sgpr_private_segment_wavefront_offset 1
		.amdhsa_system_sgpr_workgroup_id_x 1
		.amdhsa_system_sgpr_workgroup_id_y 0
		.amdhsa_system_sgpr_workgroup_id_z 0
		.amdhsa_system_sgpr_workgroup_info 0
		.amdhsa_system_vgpr_workitem_id 0
		.amdhsa_next_free_vgpr 256
		.amdhsa_next_free_sgpr 21
		.amdhsa_reserve_vcc 1
		.amdhsa_reserve_flat_scratch 0
		.amdhsa_float_round_mode_32 0
		.amdhsa_float_round_mode_16_64 0
		.amdhsa_float_denorm_mode_32 3
		.amdhsa_float_denorm_mode_16_64 3
		.amdhsa_dx10_clamp 1
		.amdhsa_ieee_mode 1
		.amdhsa_fp16_overflow 0
		.amdhsa_exception_fp_ieee_invalid_op 0
		.amdhsa_exception_fp_denorm_src 0
		.amdhsa_exception_fp_ieee_div_zero 0
		.amdhsa_exception_fp_ieee_overflow 0
		.amdhsa_exception_fp_ieee_underflow 0
		.amdhsa_exception_fp_ieee_inexact 0
		.amdhsa_exception_int_div_zero 0
	.end_amdhsa_kernel
	.section	.text._ZN9rocsolver6v33100L18getri_kernel_smallILi62E19rocblas_complex_numIfEPKPS3_EEvT1_iilPiilS8_bb,"axG",@progbits,_ZN9rocsolver6v33100L18getri_kernel_smallILi62E19rocblas_complex_numIfEPKPS3_EEvT1_iilPiilS8_bb,comdat
.Lfunc_end125:
	.size	_ZN9rocsolver6v33100L18getri_kernel_smallILi62E19rocblas_complex_numIfEPKPS3_EEvT1_iilPiilS8_bb, .Lfunc_end125-_ZN9rocsolver6v33100L18getri_kernel_smallILi62E19rocblas_complex_numIfEPKPS3_EEvT1_iilPiilS8_bb
                                        ; -- End function
	.set _ZN9rocsolver6v33100L18getri_kernel_smallILi62E19rocblas_complex_numIfEPKPS3_EEvT1_iilPiilS8_bb.num_vgpr, 256
	.set _ZN9rocsolver6v33100L18getri_kernel_smallILi62E19rocblas_complex_numIfEPKPS3_EEvT1_iilPiilS8_bb.num_agpr, 0
	.set _ZN9rocsolver6v33100L18getri_kernel_smallILi62E19rocblas_complex_numIfEPKPS3_EEvT1_iilPiilS8_bb.numbered_sgpr, 21
	.set _ZN9rocsolver6v33100L18getri_kernel_smallILi62E19rocblas_complex_numIfEPKPS3_EEvT1_iilPiilS8_bb.num_named_barrier, 0
	.set _ZN9rocsolver6v33100L18getri_kernel_smallILi62E19rocblas_complex_numIfEPKPS3_EEvT1_iilPiilS8_bb.private_seg_size, 960
	.set _ZN9rocsolver6v33100L18getri_kernel_smallILi62E19rocblas_complex_numIfEPKPS3_EEvT1_iilPiilS8_bb.uses_vcc, 1
	.set _ZN9rocsolver6v33100L18getri_kernel_smallILi62E19rocblas_complex_numIfEPKPS3_EEvT1_iilPiilS8_bb.uses_flat_scratch, 0
	.set _ZN9rocsolver6v33100L18getri_kernel_smallILi62E19rocblas_complex_numIfEPKPS3_EEvT1_iilPiilS8_bb.has_dyn_sized_stack, 0
	.set _ZN9rocsolver6v33100L18getri_kernel_smallILi62E19rocblas_complex_numIfEPKPS3_EEvT1_iilPiilS8_bb.has_recursion, 0
	.set _ZN9rocsolver6v33100L18getri_kernel_smallILi62E19rocblas_complex_numIfEPKPS3_EEvT1_iilPiilS8_bb.has_indirect_call, 0
	.section	.AMDGPU.csdata,"",@progbits
; Kernel info:
; codeLenInByte = 136296
; TotalNumSgprs: 25
; NumVgprs: 256
; ScratchSize: 960
; MemoryBound: 0
; FloatMode: 240
; IeeeMode: 1
; LDSByteSize: 996 bytes/workgroup (compile time only)
; SGPRBlocks: 3
; VGPRBlocks: 63
; NumSGPRsForWavesPerEU: 25
; NumVGPRsForWavesPerEU: 256
; Occupancy: 1
; WaveLimiterHint : 1
; COMPUTE_PGM_RSRC2:SCRATCH_EN: 1
; COMPUTE_PGM_RSRC2:USER_SGPR: 6
; COMPUTE_PGM_RSRC2:TRAP_HANDLER: 0
; COMPUTE_PGM_RSRC2:TGID_X_EN: 1
; COMPUTE_PGM_RSRC2:TGID_Y_EN: 0
; COMPUTE_PGM_RSRC2:TGID_Z_EN: 0
; COMPUTE_PGM_RSRC2:TIDIG_COMP_CNT: 0
	.section	.text._ZN9rocsolver6v33100L18getri_kernel_smallILi63E19rocblas_complex_numIfEPKPS3_EEvT1_iilPiilS8_bb,"axG",@progbits,_ZN9rocsolver6v33100L18getri_kernel_smallILi63E19rocblas_complex_numIfEPKPS3_EEvT1_iilPiilS8_bb,comdat
	.globl	_ZN9rocsolver6v33100L18getri_kernel_smallILi63E19rocblas_complex_numIfEPKPS3_EEvT1_iilPiilS8_bb ; -- Begin function _ZN9rocsolver6v33100L18getri_kernel_smallILi63E19rocblas_complex_numIfEPKPS3_EEvT1_iilPiilS8_bb
	.p2align	8
	.type	_ZN9rocsolver6v33100L18getri_kernel_smallILi63E19rocblas_complex_numIfEPKPS3_EEvT1_iilPiilS8_bb,@function
_ZN9rocsolver6v33100L18getri_kernel_smallILi63E19rocblas_complex_numIfEPKPS3_EEvT1_iilPiilS8_bb: ; @_ZN9rocsolver6v33100L18getri_kernel_smallILi63E19rocblas_complex_numIfEPKPS3_EEvT1_iilPiilS8_bb
; %bb.0:
	s_add_u32 s0, s0, s7
	s_addc_u32 s1, s1, 0
	v_cmp_gt_u32_e32 vcc, 63, v0
	s_and_saveexec_b64 s[8:9], vcc
	s_cbranch_execz .LBB126_266
; %bb.1:
	s_load_dword s18, s[4:5], 0x38
	s_load_dwordx2 s[12:13], s[4:5], 0x0
	s_load_dwordx4 s[8:11], s[4:5], 0x28
	s_waitcnt lgkmcnt(0)
	s_bitcmp1_b32 s18, 8
	s_cselect_b64 s[14:15], -1, 0
	s_ashr_i32 s7, s6, 31
	s_lshl_b64 s[16:17], s[6:7], 3
	s_add_u32 s12, s12, s16
	s_addc_u32 s13, s13, s17
	s_load_dwordx2 s[16:17], s[12:13], 0x0
	s_bfe_u32 s12, s18, 0x10008
	s_cmp_eq_u32 s12, 0
                                        ; implicit-def: $sgpr12_sgpr13
	s_cbranch_scc1 .LBB126_3
; %bb.2:
	s_load_dword s12, s[4:5], 0x20
	s_load_dwordx2 s[18:19], s[4:5], 0x18
	s_mul_i32 s13, s8, s7
	s_mul_hi_u32 s20, s8, s6
	s_add_i32 s20, s20, s13
	s_mul_i32 s9, s9, s6
	s_add_i32 s9, s20, s9
	s_mul_i32 s8, s8, s6
	s_waitcnt lgkmcnt(0)
	s_ashr_i32 s13, s12, 31
	s_lshl_b64 s[8:9], s[8:9], 2
	s_add_u32 s18, s18, s8
	s_addc_u32 s19, s19, s9
	s_lshl_b64 s[8:9], s[12:13], 2
	s_add_u32 s12, s18, s8
	s_addc_u32 s13, s19, s9
.LBB126_3:
	s_load_dwordx2 s[8:9], s[4:5], 0x8
	v_lshlrev_b32_e32 v3, 3, v0
	s_load_dword s4, s[4:5], 0x38
	s_waitcnt lgkmcnt(0)
	s_ashr_i32 s19, s8, 31
	s_mov_b32 s18, s8
	s_lshl_b64 s[18:19], s[18:19], 3
	s_add_u32 s5, s16, s18
	s_addc_u32 s8, s17, s19
	v_mov_b32_e32 v1, s8
	v_add_co_u32_e32 v120, vcc, s5, v3
	v_addc_co_u32_e32 v121, vcc, 0, v1, vcc
	flat_load_dwordx2 v[1:2], v[120:121]
	s_mov_b32 s16, s9
	s_ashr_i32 s17, s9, 31
	s_lshl_b64 s[16:17], s[16:17], 3
	v_mov_b32_e32 v4, s17
	v_add_co_u32_e32 v5, vcc, s16, v120
	v_addc_co_u32_e32 v6, vcc, v121, v4, vcc
	s_add_i32 s16, s9, s9
	v_add_u32_e32 v4, s16, v0
	v_mov_b32_e32 v7, s8
	s_bitcmp0_b32 s4, 0
	s_waitcnt vmcnt(0) lgkmcnt(0)
	buffer_store_dword v2, off, s[0:3], 0 offset:4
	buffer_store_dword v1, off, s[0:3], 0
	buffer_store_dword v5, off, s[0:3], 0 offset:504 ; 4-byte Folded Spill
	s_nop 0
	buffer_store_dword v6, off, s[0:3], 0 offset:508 ; 4-byte Folded Spill
	flat_load_dwordx2 v[1:2], v[5:6]
	v_ashrrev_i32_e32 v5, 31, v4
	v_lshlrev_b64 v[5:6], 3, v[4:5]
	v_add_u32_e32 v4, s9, v4
	v_add_co_u32_e32 v5, vcc, s5, v5
	v_addc_co_u32_e32 v6, vcc, v7, v6, vcc
	s_waitcnt vmcnt(0) lgkmcnt(0)
	buffer_store_dword v2, off, s[0:3], 0 offset:12
	buffer_store_dword v1, off, s[0:3], 0 offset:8
	buffer_store_dword v5, off, s[0:3], 0 offset:512 ; 4-byte Folded Spill
	s_nop 0
	buffer_store_dword v6, off, s[0:3], 0 offset:516 ; 4-byte Folded Spill
	flat_load_dwordx2 v[1:2], v[5:6]
	v_ashrrev_i32_e32 v5, 31, v4
	v_lshlrev_b64 v[5:6], 3, v[4:5]
	v_add_u32_e32 v4, s9, v4
	v_add_co_u32_e32 v5, vcc, s5, v5
	v_addc_co_u32_e32 v6, vcc, v7, v6, vcc
	s_waitcnt vmcnt(0) lgkmcnt(0)
	buffer_store_dword v2, off, s[0:3], 0 offset:20
	buffer_store_dword v1, off, s[0:3], 0 offset:16
	buffer_store_dword v5, off, s[0:3], 0 offset:520 ; 4-byte Folded Spill
	s_nop 0
	buffer_store_dword v6, off, s[0:3], 0 offset:524 ; 4-byte Folded Spill
	flat_load_dwordx2 v[1:2], v[5:6]
	v_ashrrev_i32_e32 v5, 31, v4
	v_lshlrev_b64 v[5:6], 3, v[4:5]
	v_add_u32_e32 v4, s9, v4
	v_add_co_u32_e32 v5, vcc, s5, v5
	v_addc_co_u32_e32 v6, vcc, v7, v6, vcc
	s_waitcnt vmcnt(0) lgkmcnt(0)
	buffer_store_dword v2, off, s[0:3], 0 offset:28
	buffer_store_dword v1, off, s[0:3], 0 offset:24
	buffer_store_dword v5, off, s[0:3], 0 offset:528 ; 4-byte Folded Spill
	s_nop 0
	buffer_store_dword v6, off, s[0:3], 0 offset:532 ; 4-byte Folded Spill
	flat_load_dwordx2 v[1:2], v[5:6]
	v_ashrrev_i32_e32 v5, 31, v4
	v_lshlrev_b64 v[5:6], 3, v[4:5]
	v_add_u32_e32 v4, s9, v4
	v_add_co_u32_e32 v5, vcc, s5, v5
	v_addc_co_u32_e32 v6, vcc, v7, v6, vcc
	s_waitcnt vmcnt(0) lgkmcnt(0)
	buffer_store_dword v2, off, s[0:3], 0 offset:36
	buffer_store_dword v1, off, s[0:3], 0 offset:32
	buffer_store_dword v5, off, s[0:3], 0 offset:536 ; 4-byte Folded Spill
	s_nop 0
	buffer_store_dword v6, off, s[0:3], 0 offset:540 ; 4-byte Folded Spill
	flat_load_dwordx2 v[1:2], v[5:6]
	v_ashrrev_i32_e32 v5, 31, v4
	v_lshlrev_b64 v[5:6], 3, v[4:5]
	v_add_u32_e32 v4, s9, v4
	v_add_co_u32_e32 v5, vcc, s5, v5
	v_addc_co_u32_e32 v6, vcc, v7, v6, vcc
	s_waitcnt vmcnt(0) lgkmcnt(0)
	buffer_store_dword v2, off, s[0:3], 0 offset:44
	buffer_store_dword v1, off, s[0:3], 0 offset:40
	buffer_store_dword v5, off, s[0:3], 0 offset:544 ; 4-byte Folded Spill
	s_nop 0
	buffer_store_dword v6, off, s[0:3], 0 offset:548 ; 4-byte Folded Spill
	flat_load_dwordx2 v[1:2], v[5:6]
	v_ashrrev_i32_e32 v5, 31, v4
	v_lshlrev_b64 v[5:6], 3, v[4:5]
	v_add_u32_e32 v4, s9, v4
	v_add_co_u32_e32 v5, vcc, s5, v5
	v_addc_co_u32_e32 v6, vcc, v7, v6, vcc
	s_waitcnt vmcnt(0) lgkmcnt(0)
	buffer_store_dword v2, off, s[0:3], 0 offset:52
	buffer_store_dword v1, off, s[0:3], 0 offset:48
	buffer_store_dword v5, off, s[0:3], 0 offset:552 ; 4-byte Folded Spill
	s_nop 0
	buffer_store_dword v6, off, s[0:3], 0 offset:556 ; 4-byte Folded Spill
	flat_load_dwordx2 v[1:2], v[5:6]
	v_ashrrev_i32_e32 v5, 31, v4
	v_lshlrev_b64 v[5:6], 3, v[4:5]
	v_add_u32_e32 v4, s9, v4
	v_add_co_u32_e32 v5, vcc, s5, v5
	v_addc_co_u32_e32 v6, vcc, v7, v6, vcc
	s_waitcnt vmcnt(0) lgkmcnt(0)
	buffer_store_dword v2, off, s[0:3], 0 offset:60
	buffer_store_dword v1, off, s[0:3], 0 offset:56
	buffer_store_dword v5, off, s[0:3], 0 offset:560 ; 4-byte Folded Spill
	s_nop 0
	buffer_store_dword v6, off, s[0:3], 0 offset:564 ; 4-byte Folded Spill
	flat_load_dwordx2 v[1:2], v[5:6]
	v_ashrrev_i32_e32 v5, 31, v4
	v_lshlrev_b64 v[5:6], 3, v[4:5]
	v_add_u32_e32 v4, s9, v4
	v_add_co_u32_e32 v5, vcc, s5, v5
	v_addc_co_u32_e32 v6, vcc, v7, v6, vcc
	s_waitcnt vmcnt(0) lgkmcnt(0)
	buffer_store_dword v2, off, s[0:3], 0 offset:68
	buffer_store_dword v1, off, s[0:3], 0 offset:64
	buffer_store_dword v5, off, s[0:3], 0 offset:568 ; 4-byte Folded Spill
	s_nop 0
	buffer_store_dword v6, off, s[0:3], 0 offset:572 ; 4-byte Folded Spill
	flat_load_dwordx2 v[1:2], v[5:6]
	v_ashrrev_i32_e32 v5, 31, v4
	v_lshlrev_b64 v[5:6], 3, v[4:5]
	v_add_u32_e32 v4, s9, v4
	v_add_co_u32_e32 v5, vcc, s5, v5
	v_addc_co_u32_e32 v6, vcc, v7, v6, vcc
	s_waitcnt vmcnt(0) lgkmcnt(0)
	buffer_store_dword v2, off, s[0:3], 0 offset:76
	buffer_store_dword v1, off, s[0:3], 0 offset:72
	buffer_store_dword v5, off, s[0:3], 0 offset:576 ; 4-byte Folded Spill
	s_nop 0
	buffer_store_dword v6, off, s[0:3], 0 offset:580 ; 4-byte Folded Spill
	flat_load_dwordx2 v[1:2], v[5:6]
	v_ashrrev_i32_e32 v5, 31, v4
	v_lshlrev_b64 v[5:6], 3, v[4:5]
	v_add_u32_e32 v4, s9, v4
	v_add_co_u32_e32 v5, vcc, s5, v5
	v_addc_co_u32_e32 v6, vcc, v7, v6, vcc
	s_waitcnt vmcnt(0) lgkmcnt(0)
	buffer_store_dword v2, off, s[0:3], 0 offset:84
	buffer_store_dword v1, off, s[0:3], 0 offset:80
	buffer_store_dword v5, off, s[0:3], 0 offset:584 ; 4-byte Folded Spill
	s_nop 0
	buffer_store_dword v6, off, s[0:3], 0 offset:588 ; 4-byte Folded Spill
	flat_load_dwordx2 v[1:2], v[5:6]
	v_ashrrev_i32_e32 v5, 31, v4
	v_lshlrev_b64 v[5:6], 3, v[4:5]
	v_add_u32_e32 v4, s9, v4
	v_add_co_u32_e32 v5, vcc, s5, v5
	v_addc_co_u32_e32 v6, vcc, v7, v6, vcc
	s_waitcnt vmcnt(0) lgkmcnt(0)
	buffer_store_dword v2, off, s[0:3], 0 offset:92
	buffer_store_dword v1, off, s[0:3], 0 offset:88
	buffer_store_dword v5, off, s[0:3], 0 offset:592 ; 4-byte Folded Spill
	s_nop 0
	buffer_store_dword v6, off, s[0:3], 0 offset:596 ; 4-byte Folded Spill
	flat_load_dwordx2 v[1:2], v[5:6]
	v_ashrrev_i32_e32 v5, 31, v4
	v_lshlrev_b64 v[5:6], 3, v[4:5]
	v_add_u32_e32 v4, s9, v4
	v_add_co_u32_e32 v5, vcc, s5, v5
	v_addc_co_u32_e32 v6, vcc, v7, v6, vcc
	s_waitcnt vmcnt(0) lgkmcnt(0)
	buffer_store_dword v2, off, s[0:3], 0 offset:100
	buffer_store_dword v1, off, s[0:3], 0 offset:96
	buffer_store_dword v5, off, s[0:3], 0 offset:600 ; 4-byte Folded Spill
	s_nop 0
	buffer_store_dword v6, off, s[0:3], 0 offset:604 ; 4-byte Folded Spill
	flat_load_dwordx2 v[1:2], v[5:6]
	v_ashrrev_i32_e32 v5, 31, v4
	v_lshlrev_b64 v[5:6], 3, v[4:5]
	v_add_u32_e32 v4, s9, v4
	v_add_co_u32_e32 v5, vcc, s5, v5
	v_addc_co_u32_e32 v6, vcc, v7, v6, vcc
	s_waitcnt vmcnt(0) lgkmcnt(0)
	buffer_store_dword v2, off, s[0:3], 0 offset:108
	buffer_store_dword v1, off, s[0:3], 0 offset:104
	buffer_store_dword v5, off, s[0:3], 0 offset:608 ; 4-byte Folded Spill
	s_nop 0
	buffer_store_dword v6, off, s[0:3], 0 offset:612 ; 4-byte Folded Spill
	flat_load_dwordx2 v[1:2], v[5:6]
	v_ashrrev_i32_e32 v5, 31, v4
	v_lshlrev_b64 v[5:6], 3, v[4:5]
	v_add_u32_e32 v4, s9, v4
	v_add_co_u32_e32 v5, vcc, s5, v5
	v_addc_co_u32_e32 v6, vcc, v7, v6, vcc
	s_waitcnt vmcnt(0) lgkmcnt(0)
	buffer_store_dword v2, off, s[0:3], 0 offset:116
	buffer_store_dword v1, off, s[0:3], 0 offset:112
	buffer_store_dword v5, off, s[0:3], 0 offset:616 ; 4-byte Folded Spill
	s_nop 0
	buffer_store_dword v6, off, s[0:3], 0 offset:620 ; 4-byte Folded Spill
	flat_load_dwordx2 v[1:2], v[5:6]
	v_ashrrev_i32_e32 v5, 31, v4
	v_lshlrev_b64 v[5:6], 3, v[4:5]
	v_add_u32_e32 v4, s9, v4
	v_add_co_u32_e32 v5, vcc, s5, v5
	v_addc_co_u32_e32 v6, vcc, v7, v6, vcc
	s_waitcnt vmcnt(0) lgkmcnt(0)
	buffer_store_dword v2, off, s[0:3], 0 offset:124
	buffer_store_dword v1, off, s[0:3], 0 offset:120
	buffer_store_dword v5, off, s[0:3], 0 offset:624 ; 4-byte Folded Spill
	s_nop 0
	buffer_store_dword v6, off, s[0:3], 0 offset:628 ; 4-byte Folded Spill
	flat_load_dwordx2 v[1:2], v[5:6]
	v_ashrrev_i32_e32 v5, 31, v4
	v_lshlrev_b64 v[5:6], 3, v[4:5]
	v_add_u32_e32 v4, s9, v4
	v_add_co_u32_e32 v5, vcc, s5, v5
	v_addc_co_u32_e32 v6, vcc, v7, v6, vcc
	s_waitcnt vmcnt(0) lgkmcnt(0)
	buffer_store_dword v2, off, s[0:3], 0 offset:132
	buffer_store_dword v1, off, s[0:3], 0 offset:128
	buffer_store_dword v5, off, s[0:3], 0 offset:632 ; 4-byte Folded Spill
	s_nop 0
	buffer_store_dword v6, off, s[0:3], 0 offset:636 ; 4-byte Folded Spill
	flat_load_dwordx2 v[1:2], v[5:6]
	v_ashrrev_i32_e32 v5, 31, v4
	v_lshlrev_b64 v[5:6], 3, v[4:5]
	v_add_u32_e32 v4, s9, v4
	v_add_co_u32_e32 v5, vcc, s5, v5
	v_addc_co_u32_e32 v6, vcc, v7, v6, vcc
	s_waitcnt vmcnt(0) lgkmcnt(0)
	buffer_store_dword v2, off, s[0:3], 0 offset:140
	buffer_store_dword v1, off, s[0:3], 0 offset:136
	buffer_store_dword v5, off, s[0:3], 0 offset:640 ; 4-byte Folded Spill
	s_nop 0
	buffer_store_dword v6, off, s[0:3], 0 offset:644 ; 4-byte Folded Spill
	flat_load_dwordx2 v[1:2], v[5:6]
	v_ashrrev_i32_e32 v5, 31, v4
	v_lshlrev_b64 v[5:6], 3, v[4:5]
	v_add_u32_e32 v4, s9, v4
	v_add_co_u32_e32 v5, vcc, s5, v5
	v_addc_co_u32_e32 v6, vcc, v7, v6, vcc
	s_waitcnt vmcnt(0) lgkmcnt(0)
	buffer_store_dword v2, off, s[0:3], 0 offset:148
	buffer_store_dword v1, off, s[0:3], 0 offset:144
	buffer_store_dword v5, off, s[0:3], 0 offset:648 ; 4-byte Folded Spill
	s_nop 0
	buffer_store_dword v6, off, s[0:3], 0 offset:652 ; 4-byte Folded Spill
	flat_load_dwordx2 v[1:2], v[5:6]
	v_ashrrev_i32_e32 v5, 31, v4
	v_lshlrev_b64 v[5:6], 3, v[4:5]
	v_add_u32_e32 v4, s9, v4
	v_add_co_u32_e32 v5, vcc, s5, v5
	v_addc_co_u32_e32 v6, vcc, v7, v6, vcc
	s_waitcnt vmcnt(0) lgkmcnt(0)
	buffer_store_dword v2, off, s[0:3], 0 offset:156
	buffer_store_dword v1, off, s[0:3], 0 offset:152
	buffer_store_dword v5, off, s[0:3], 0 offset:656 ; 4-byte Folded Spill
	s_nop 0
	buffer_store_dword v6, off, s[0:3], 0 offset:660 ; 4-byte Folded Spill
	flat_load_dwordx2 v[1:2], v[5:6]
	v_ashrrev_i32_e32 v5, 31, v4
	v_lshlrev_b64 v[5:6], 3, v[4:5]
	v_add_u32_e32 v4, s9, v4
	v_add_co_u32_e32 v5, vcc, s5, v5
	v_addc_co_u32_e32 v6, vcc, v7, v6, vcc
	s_waitcnt vmcnt(0) lgkmcnt(0)
	buffer_store_dword v2, off, s[0:3], 0 offset:164
	buffer_store_dword v1, off, s[0:3], 0 offset:160
	buffer_store_dword v5, off, s[0:3], 0 offset:664 ; 4-byte Folded Spill
	s_nop 0
	buffer_store_dword v6, off, s[0:3], 0 offset:668 ; 4-byte Folded Spill
	flat_load_dwordx2 v[1:2], v[5:6]
	v_ashrrev_i32_e32 v5, 31, v4
	v_lshlrev_b64 v[5:6], 3, v[4:5]
	v_add_u32_e32 v4, s9, v4
	v_add_co_u32_e32 v5, vcc, s5, v5
	v_addc_co_u32_e32 v6, vcc, v7, v6, vcc
	s_waitcnt vmcnt(0) lgkmcnt(0)
	buffer_store_dword v2, off, s[0:3], 0 offset:172
	buffer_store_dword v1, off, s[0:3], 0 offset:168
	buffer_store_dword v5, off, s[0:3], 0 offset:672 ; 4-byte Folded Spill
	s_nop 0
	buffer_store_dword v6, off, s[0:3], 0 offset:676 ; 4-byte Folded Spill
	flat_load_dwordx2 v[1:2], v[5:6]
	v_ashrrev_i32_e32 v5, 31, v4
	v_lshlrev_b64 v[5:6], 3, v[4:5]
	v_add_u32_e32 v4, s9, v4
	v_add_co_u32_e32 v5, vcc, s5, v5
	v_addc_co_u32_e32 v6, vcc, v7, v6, vcc
	s_waitcnt vmcnt(0) lgkmcnt(0)
	buffer_store_dword v2, off, s[0:3], 0 offset:180
	buffer_store_dword v1, off, s[0:3], 0 offset:176
	buffer_store_dword v5, off, s[0:3], 0 offset:680 ; 4-byte Folded Spill
	s_nop 0
	buffer_store_dword v6, off, s[0:3], 0 offset:684 ; 4-byte Folded Spill
	flat_load_dwordx2 v[1:2], v[5:6]
	v_ashrrev_i32_e32 v5, 31, v4
	v_lshlrev_b64 v[5:6], 3, v[4:5]
	v_add_u32_e32 v4, s9, v4
	v_add_co_u32_e32 v5, vcc, s5, v5
	v_addc_co_u32_e32 v6, vcc, v7, v6, vcc
	s_waitcnt vmcnt(0) lgkmcnt(0)
	buffer_store_dword v2, off, s[0:3], 0 offset:188
	buffer_store_dword v1, off, s[0:3], 0 offset:184
	buffer_store_dword v5, off, s[0:3], 0 offset:688 ; 4-byte Folded Spill
	s_nop 0
	buffer_store_dword v6, off, s[0:3], 0 offset:692 ; 4-byte Folded Spill
	flat_load_dwordx2 v[1:2], v[5:6]
	v_ashrrev_i32_e32 v5, 31, v4
	v_lshlrev_b64 v[5:6], 3, v[4:5]
	v_add_u32_e32 v4, s9, v4
	v_add_co_u32_e32 v5, vcc, s5, v5
	v_addc_co_u32_e32 v6, vcc, v7, v6, vcc
	s_waitcnt vmcnt(0) lgkmcnt(0)
	buffer_store_dword v2, off, s[0:3], 0 offset:196
	buffer_store_dword v1, off, s[0:3], 0 offset:192
	buffer_store_dword v5, off, s[0:3], 0 offset:696 ; 4-byte Folded Spill
	s_nop 0
	buffer_store_dword v6, off, s[0:3], 0 offset:700 ; 4-byte Folded Spill
	flat_load_dwordx2 v[1:2], v[5:6]
	v_ashrrev_i32_e32 v5, 31, v4
	v_lshlrev_b64 v[5:6], 3, v[4:5]
	v_add_u32_e32 v4, s9, v4
	v_add_co_u32_e32 v5, vcc, s5, v5
	v_addc_co_u32_e32 v6, vcc, v7, v6, vcc
	s_waitcnt vmcnt(0) lgkmcnt(0)
	buffer_store_dword v2, off, s[0:3], 0 offset:204
	buffer_store_dword v1, off, s[0:3], 0 offset:200
	buffer_store_dword v5, off, s[0:3], 0 offset:704 ; 4-byte Folded Spill
	s_nop 0
	buffer_store_dword v6, off, s[0:3], 0 offset:708 ; 4-byte Folded Spill
	flat_load_dwordx2 v[1:2], v[5:6]
	v_ashrrev_i32_e32 v5, 31, v4
	v_lshlrev_b64 v[5:6], 3, v[4:5]
	v_add_u32_e32 v4, s9, v4
	v_add_co_u32_e32 v5, vcc, s5, v5
	v_addc_co_u32_e32 v6, vcc, v7, v6, vcc
	s_waitcnt vmcnt(0) lgkmcnt(0)
	buffer_store_dword v2, off, s[0:3], 0 offset:212
	buffer_store_dword v1, off, s[0:3], 0 offset:208
	buffer_store_dword v5, off, s[0:3], 0 offset:712 ; 4-byte Folded Spill
	s_nop 0
	buffer_store_dword v6, off, s[0:3], 0 offset:716 ; 4-byte Folded Spill
	flat_load_dwordx2 v[1:2], v[5:6]
	v_ashrrev_i32_e32 v5, 31, v4
	v_lshlrev_b64 v[5:6], 3, v[4:5]
	v_add_u32_e32 v4, s9, v4
	v_add_co_u32_e32 v5, vcc, s5, v5
	v_addc_co_u32_e32 v6, vcc, v7, v6, vcc
	s_waitcnt vmcnt(0) lgkmcnt(0)
	buffer_store_dword v2, off, s[0:3], 0 offset:220
	buffer_store_dword v1, off, s[0:3], 0 offset:216
	buffer_store_dword v5, off, s[0:3], 0 offset:720 ; 4-byte Folded Spill
	s_nop 0
	buffer_store_dword v6, off, s[0:3], 0 offset:724 ; 4-byte Folded Spill
	flat_load_dwordx2 v[1:2], v[5:6]
	v_ashrrev_i32_e32 v5, 31, v4
	v_lshlrev_b64 v[5:6], 3, v[4:5]
	v_add_u32_e32 v4, s9, v4
	v_add_co_u32_e32 v5, vcc, s5, v5
	v_addc_co_u32_e32 v6, vcc, v7, v6, vcc
	s_waitcnt vmcnt(0) lgkmcnt(0)
	buffer_store_dword v2, off, s[0:3], 0 offset:228
	buffer_store_dword v1, off, s[0:3], 0 offset:224
	buffer_store_dword v5, off, s[0:3], 0 offset:728 ; 4-byte Folded Spill
	s_nop 0
	buffer_store_dword v6, off, s[0:3], 0 offset:732 ; 4-byte Folded Spill
	flat_load_dwordx2 v[1:2], v[5:6]
	v_ashrrev_i32_e32 v5, 31, v4
	v_lshlrev_b64 v[5:6], 3, v[4:5]
	v_add_u32_e32 v4, s9, v4
	v_add_co_u32_e32 v5, vcc, s5, v5
	v_addc_co_u32_e32 v6, vcc, v7, v6, vcc
	s_waitcnt vmcnt(0) lgkmcnt(0)
	buffer_store_dword v2, off, s[0:3], 0 offset:236
	buffer_store_dword v1, off, s[0:3], 0 offset:232
	buffer_store_dword v5, off, s[0:3], 0 offset:736 ; 4-byte Folded Spill
	s_nop 0
	buffer_store_dword v6, off, s[0:3], 0 offset:740 ; 4-byte Folded Spill
	flat_load_dwordx2 v[1:2], v[5:6]
	v_ashrrev_i32_e32 v5, 31, v4
	v_lshlrev_b64 v[5:6], 3, v[4:5]
	v_add_u32_e32 v4, s9, v4
	v_add_co_u32_e32 v5, vcc, s5, v5
	v_addc_co_u32_e32 v6, vcc, v7, v6, vcc
	s_waitcnt vmcnt(0) lgkmcnt(0)
	buffer_store_dword v2, off, s[0:3], 0 offset:244
	buffer_store_dword v1, off, s[0:3], 0 offset:240
	buffer_store_dword v5, off, s[0:3], 0 offset:744 ; 4-byte Folded Spill
	s_nop 0
	buffer_store_dword v6, off, s[0:3], 0 offset:748 ; 4-byte Folded Spill
	flat_load_dwordx2 v[1:2], v[5:6]
	v_ashrrev_i32_e32 v5, 31, v4
	v_lshlrev_b64 v[5:6], 3, v[4:5]
	v_add_u32_e32 v4, s9, v4
	v_add_co_u32_e32 v5, vcc, s5, v5
	v_addc_co_u32_e32 v6, vcc, v7, v6, vcc
	s_waitcnt vmcnt(0) lgkmcnt(0)
	buffer_store_dword v2, off, s[0:3], 0 offset:252
	buffer_store_dword v1, off, s[0:3], 0 offset:248
	buffer_store_dword v5, off, s[0:3], 0 offset:752 ; 4-byte Folded Spill
	s_nop 0
	buffer_store_dword v6, off, s[0:3], 0 offset:756 ; 4-byte Folded Spill
	flat_load_dwordx2 v[1:2], v[5:6]
	v_ashrrev_i32_e32 v5, 31, v4
	v_lshlrev_b64 v[5:6], 3, v[4:5]
	v_add_u32_e32 v4, s9, v4
	v_add_co_u32_e32 v5, vcc, s5, v5
	v_addc_co_u32_e32 v6, vcc, v7, v6, vcc
	s_waitcnt vmcnt(0) lgkmcnt(0)
	buffer_store_dword v2, off, s[0:3], 0 offset:260
	buffer_store_dword v1, off, s[0:3], 0 offset:256
	buffer_store_dword v5, off, s[0:3], 0 offset:760 ; 4-byte Folded Spill
	s_nop 0
	buffer_store_dword v6, off, s[0:3], 0 offset:764 ; 4-byte Folded Spill
	flat_load_dwordx2 v[1:2], v[5:6]
	v_ashrrev_i32_e32 v5, 31, v4
	v_lshlrev_b64 v[5:6], 3, v[4:5]
	v_add_u32_e32 v4, s9, v4
	v_add_co_u32_e32 v5, vcc, s5, v5
	v_addc_co_u32_e32 v6, vcc, v7, v6, vcc
	s_waitcnt vmcnt(0) lgkmcnt(0)
	buffer_store_dword v2, off, s[0:3], 0 offset:268
	buffer_store_dword v1, off, s[0:3], 0 offset:264
	buffer_store_dword v5, off, s[0:3], 0 offset:768 ; 4-byte Folded Spill
	s_nop 0
	buffer_store_dword v6, off, s[0:3], 0 offset:772 ; 4-byte Folded Spill
	flat_load_dwordx2 v[1:2], v[5:6]
	v_ashrrev_i32_e32 v5, 31, v4
	v_lshlrev_b64 v[5:6], 3, v[4:5]
	v_add_u32_e32 v4, s9, v4
	v_add_co_u32_e32 v5, vcc, s5, v5
	v_addc_co_u32_e32 v6, vcc, v7, v6, vcc
	s_waitcnt vmcnt(0) lgkmcnt(0)
	buffer_store_dword v2, off, s[0:3], 0 offset:276
	buffer_store_dword v1, off, s[0:3], 0 offset:272
	buffer_store_dword v5, off, s[0:3], 0 offset:776 ; 4-byte Folded Spill
	s_nop 0
	buffer_store_dword v6, off, s[0:3], 0 offset:780 ; 4-byte Folded Spill
	flat_load_dwordx2 v[1:2], v[5:6]
	v_ashrrev_i32_e32 v5, 31, v4
	v_lshlrev_b64 v[5:6], 3, v[4:5]
	v_add_u32_e32 v4, s9, v4
	v_add_co_u32_e32 v5, vcc, s5, v5
	v_addc_co_u32_e32 v6, vcc, v7, v6, vcc
	s_waitcnt vmcnt(0) lgkmcnt(0)
	buffer_store_dword v2, off, s[0:3], 0 offset:284
	buffer_store_dword v1, off, s[0:3], 0 offset:280
	buffer_store_dword v5, off, s[0:3], 0 offset:784 ; 4-byte Folded Spill
	s_nop 0
	buffer_store_dword v6, off, s[0:3], 0 offset:788 ; 4-byte Folded Spill
	flat_load_dwordx2 v[1:2], v[5:6]
	v_ashrrev_i32_e32 v5, 31, v4
	v_lshlrev_b64 v[5:6], 3, v[4:5]
	v_add_u32_e32 v4, s9, v4
	v_add_co_u32_e32 v5, vcc, s5, v5
	v_addc_co_u32_e32 v6, vcc, v7, v6, vcc
	s_waitcnt vmcnt(0) lgkmcnt(0)
	buffer_store_dword v2, off, s[0:3], 0 offset:292
	buffer_store_dword v1, off, s[0:3], 0 offset:288
	buffer_store_dword v5, off, s[0:3], 0 offset:792 ; 4-byte Folded Spill
	s_nop 0
	buffer_store_dword v6, off, s[0:3], 0 offset:796 ; 4-byte Folded Spill
	flat_load_dwordx2 v[1:2], v[5:6]
	v_ashrrev_i32_e32 v5, 31, v4
	v_lshlrev_b64 v[5:6], 3, v[4:5]
	v_add_u32_e32 v4, s9, v4
	v_add_co_u32_e32 v5, vcc, s5, v5
	v_addc_co_u32_e32 v6, vcc, v7, v6, vcc
	s_waitcnt vmcnt(0) lgkmcnt(0)
	buffer_store_dword v2, off, s[0:3], 0 offset:300
	buffer_store_dword v1, off, s[0:3], 0 offset:296
	buffer_store_dword v5, off, s[0:3], 0 offset:800 ; 4-byte Folded Spill
	s_nop 0
	buffer_store_dword v6, off, s[0:3], 0 offset:804 ; 4-byte Folded Spill
	flat_load_dwordx2 v[1:2], v[5:6]
	v_ashrrev_i32_e32 v5, 31, v4
	v_lshlrev_b64 v[5:6], 3, v[4:5]
	v_add_u32_e32 v4, s9, v4
	v_add_co_u32_e32 v5, vcc, s5, v5
	v_addc_co_u32_e32 v6, vcc, v7, v6, vcc
	s_waitcnt vmcnt(0) lgkmcnt(0)
	buffer_store_dword v2, off, s[0:3], 0 offset:308
	buffer_store_dword v1, off, s[0:3], 0 offset:304
	buffer_store_dword v5, off, s[0:3], 0 offset:808 ; 4-byte Folded Spill
	s_nop 0
	buffer_store_dword v6, off, s[0:3], 0 offset:812 ; 4-byte Folded Spill
	flat_load_dwordx2 v[1:2], v[5:6]
	v_ashrrev_i32_e32 v5, 31, v4
	v_lshlrev_b64 v[5:6], 3, v[4:5]
	v_add_u32_e32 v4, s9, v4
	v_add_co_u32_e32 v5, vcc, s5, v5
	v_addc_co_u32_e32 v6, vcc, v7, v6, vcc
	s_waitcnt vmcnt(0) lgkmcnt(0)
	buffer_store_dword v2, off, s[0:3], 0 offset:316
	buffer_store_dword v1, off, s[0:3], 0 offset:312
	buffer_store_dword v5, off, s[0:3], 0 offset:816 ; 4-byte Folded Spill
	s_nop 0
	buffer_store_dword v6, off, s[0:3], 0 offset:820 ; 4-byte Folded Spill
	flat_load_dwordx2 v[1:2], v[5:6]
	v_ashrrev_i32_e32 v5, 31, v4
	v_lshlrev_b64 v[5:6], 3, v[4:5]
	v_add_u32_e32 v4, s9, v4
	v_add_co_u32_e32 v5, vcc, s5, v5
	v_addc_co_u32_e32 v6, vcc, v7, v6, vcc
	s_waitcnt vmcnt(0) lgkmcnt(0)
	buffer_store_dword v2, off, s[0:3], 0 offset:324
	buffer_store_dword v1, off, s[0:3], 0 offset:320
	buffer_store_dword v5, off, s[0:3], 0 offset:824 ; 4-byte Folded Spill
	s_nop 0
	buffer_store_dword v6, off, s[0:3], 0 offset:828 ; 4-byte Folded Spill
	flat_load_dwordx2 v[1:2], v[5:6]
	v_ashrrev_i32_e32 v5, 31, v4
	v_lshlrev_b64 v[5:6], 3, v[4:5]
	v_add_u32_e32 v4, s9, v4
	v_add_co_u32_e32 v5, vcc, s5, v5
	v_addc_co_u32_e32 v6, vcc, v7, v6, vcc
	s_waitcnt vmcnt(0) lgkmcnt(0)
	buffer_store_dword v2, off, s[0:3], 0 offset:332
	buffer_store_dword v1, off, s[0:3], 0 offset:328
	buffer_store_dword v5, off, s[0:3], 0 offset:832 ; 4-byte Folded Spill
	s_nop 0
	buffer_store_dword v6, off, s[0:3], 0 offset:836 ; 4-byte Folded Spill
	flat_load_dwordx2 v[1:2], v[5:6]
	v_ashrrev_i32_e32 v5, 31, v4
	v_lshlrev_b64 v[5:6], 3, v[4:5]
	v_add_u32_e32 v4, s9, v4
	v_add_co_u32_e32 v5, vcc, s5, v5
	v_addc_co_u32_e32 v6, vcc, v7, v6, vcc
	s_waitcnt vmcnt(0) lgkmcnt(0)
	buffer_store_dword v2, off, s[0:3], 0 offset:340
	buffer_store_dword v1, off, s[0:3], 0 offset:336
	buffer_store_dword v5, off, s[0:3], 0 offset:840 ; 4-byte Folded Spill
	s_nop 0
	buffer_store_dword v6, off, s[0:3], 0 offset:844 ; 4-byte Folded Spill
	flat_load_dwordx2 v[1:2], v[5:6]
	v_ashrrev_i32_e32 v5, 31, v4
	v_lshlrev_b64 v[5:6], 3, v[4:5]
	v_add_u32_e32 v4, s9, v4
	v_add_co_u32_e32 v5, vcc, s5, v5
	v_addc_co_u32_e32 v6, vcc, v7, v6, vcc
	s_waitcnt vmcnt(0) lgkmcnt(0)
	buffer_store_dword v2, off, s[0:3], 0 offset:348
	buffer_store_dword v1, off, s[0:3], 0 offset:344
	buffer_store_dword v5, off, s[0:3], 0 offset:848 ; 4-byte Folded Spill
	s_nop 0
	buffer_store_dword v6, off, s[0:3], 0 offset:852 ; 4-byte Folded Spill
	flat_load_dwordx2 v[1:2], v[5:6]
	v_ashrrev_i32_e32 v5, 31, v4
	v_lshlrev_b64 v[5:6], 3, v[4:5]
	v_add_u32_e32 v4, s9, v4
	v_add_co_u32_e32 v5, vcc, s5, v5
	v_addc_co_u32_e32 v6, vcc, v7, v6, vcc
	s_waitcnt vmcnt(0) lgkmcnt(0)
	buffer_store_dword v2, off, s[0:3], 0 offset:356
	buffer_store_dword v1, off, s[0:3], 0 offset:352
	buffer_store_dword v5, off, s[0:3], 0 offset:856 ; 4-byte Folded Spill
	s_nop 0
	buffer_store_dword v6, off, s[0:3], 0 offset:860 ; 4-byte Folded Spill
	flat_load_dwordx2 v[1:2], v[5:6]
	v_ashrrev_i32_e32 v5, 31, v4
	v_lshlrev_b64 v[5:6], 3, v[4:5]
	v_add_u32_e32 v4, s9, v4
	v_add_co_u32_e32 v5, vcc, s5, v5
	v_addc_co_u32_e32 v6, vcc, v7, v6, vcc
	s_waitcnt vmcnt(0) lgkmcnt(0)
	buffer_store_dword v2, off, s[0:3], 0 offset:364
	buffer_store_dword v1, off, s[0:3], 0 offset:360
	buffer_store_dword v5, off, s[0:3], 0 offset:864 ; 4-byte Folded Spill
	s_nop 0
	buffer_store_dword v6, off, s[0:3], 0 offset:868 ; 4-byte Folded Spill
	flat_load_dwordx2 v[1:2], v[5:6]
	v_ashrrev_i32_e32 v5, 31, v4
	v_lshlrev_b64 v[5:6], 3, v[4:5]
	v_add_u32_e32 v4, s9, v4
	v_add_co_u32_e32 v5, vcc, s5, v5
	v_addc_co_u32_e32 v6, vcc, v7, v6, vcc
	s_waitcnt vmcnt(0) lgkmcnt(0)
	buffer_store_dword v2, off, s[0:3], 0 offset:372
	buffer_store_dword v1, off, s[0:3], 0 offset:368
	buffer_store_dword v5, off, s[0:3], 0 offset:872 ; 4-byte Folded Spill
	s_nop 0
	buffer_store_dword v6, off, s[0:3], 0 offset:876 ; 4-byte Folded Spill
	flat_load_dwordx2 v[1:2], v[5:6]
	v_ashrrev_i32_e32 v5, 31, v4
	v_lshlrev_b64 v[5:6], 3, v[4:5]
	v_add_u32_e32 v4, s9, v4
	v_add_co_u32_e32 v5, vcc, s5, v5
	v_addc_co_u32_e32 v6, vcc, v7, v6, vcc
	s_waitcnt vmcnt(0) lgkmcnt(0)
	buffer_store_dword v2, off, s[0:3], 0 offset:380
	buffer_store_dword v1, off, s[0:3], 0 offset:376
	buffer_store_dword v5, off, s[0:3], 0 offset:880 ; 4-byte Folded Spill
	s_nop 0
	buffer_store_dword v6, off, s[0:3], 0 offset:884 ; 4-byte Folded Spill
	flat_load_dwordx2 v[1:2], v[5:6]
	v_ashrrev_i32_e32 v5, 31, v4
	v_lshlrev_b64 v[5:6], 3, v[4:5]
	v_add_u32_e32 v4, s9, v4
	v_add_co_u32_e32 v5, vcc, s5, v5
	v_addc_co_u32_e32 v6, vcc, v7, v6, vcc
	s_waitcnt vmcnt(0) lgkmcnt(0)
	buffer_store_dword v2, off, s[0:3], 0 offset:388
	buffer_store_dword v1, off, s[0:3], 0 offset:384
	buffer_store_dword v5, off, s[0:3], 0 offset:888 ; 4-byte Folded Spill
	s_nop 0
	buffer_store_dword v6, off, s[0:3], 0 offset:892 ; 4-byte Folded Spill
	flat_load_dwordx2 v[1:2], v[5:6]
	v_ashrrev_i32_e32 v5, 31, v4
	v_lshlrev_b64 v[5:6], 3, v[4:5]
	v_add_u32_e32 v4, s9, v4
	v_add_co_u32_e32 v5, vcc, s5, v5
	v_addc_co_u32_e32 v6, vcc, v7, v6, vcc
	s_waitcnt vmcnt(0) lgkmcnt(0)
	buffer_store_dword v2, off, s[0:3], 0 offset:396
	buffer_store_dword v1, off, s[0:3], 0 offset:392
	buffer_store_dword v5, off, s[0:3], 0 offset:896 ; 4-byte Folded Spill
	s_nop 0
	buffer_store_dword v6, off, s[0:3], 0 offset:900 ; 4-byte Folded Spill
	flat_load_dwordx2 v[1:2], v[5:6]
	v_ashrrev_i32_e32 v5, 31, v4
	v_lshlrev_b64 v[5:6], 3, v[4:5]
	v_add_u32_e32 v4, s9, v4
	v_add_co_u32_e32 v5, vcc, s5, v5
	v_addc_co_u32_e32 v6, vcc, v7, v6, vcc
	s_waitcnt vmcnt(0) lgkmcnt(0)
	buffer_store_dword v2, off, s[0:3], 0 offset:404
	buffer_store_dword v1, off, s[0:3], 0 offset:400
	buffer_store_dword v5, off, s[0:3], 0 offset:904 ; 4-byte Folded Spill
	s_nop 0
	buffer_store_dword v6, off, s[0:3], 0 offset:908 ; 4-byte Folded Spill
	flat_load_dwordx2 v[1:2], v[5:6]
	v_ashrrev_i32_e32 v5, 31, v4
	v_lshlrev_b64 v[5:6], 3, v[4:5]
	v_add_u32_e32 v4, s9, v4
	v_add_co_u32_e32 v5, vcc, s5, v5
	v_addc_co_u32_e32 v6, vcc, v7, v6, vcc
	s_waitcnt vmcnt(0) lgkmcnt(0)
	buffer_store_dword v2, off, s[0:3], 0 offset:412
	buffer_store_dword v1, off, s[0:3], 0 offset:408
	buffer_store_dword v5, off, s[0:3], 0 offset:912 ; 4-byte Folded Spill
	s_nop 0
	buffer_store_dword v6, off, s[0:3], 0 offset:916 ; 4-byte Folded Spill
	flat_load_dwordx2 v[1:2], v[5:6]
	v_ashrrev_i32_e32 v5, 31, v4
	v_lshlrev_b64 v[5:6], 3, v[4:5]
	v_add_u32_e32 v4, s9, v4
	v_add_co_u32_e32 v5, vcc, s5, v5
	v_addc_co_u32_e32 v6, vcc, v7, v6, vcc
	s_waitcnt vmcnt(0) lgkmcnt(0)
	buffer_store_dword v2, off, s[0:3], 0 offset:420
	buffer_store_dword v1, off, s[0:3], 0 offset:416
	buffer_store_dword v5, off, s[0:3], 0 offset:920 ; 4-byte Folded Spill
	s_nop 0
	buffer_store_dword v6, off, s[0:3], 0 offset:924 ; 4-byte Folded Spill
	flat_load_dwordx2 v[1:2], v[5:6]
	v_ashrrev_i32_e32 v5, 31, v4
	v_lshlrev_b64 v[5:6], 3, v[4:5]
	v_add_u32_e32 v4, s9, v4
	v_add_co_u32_e32 v5, vcc, s5, v5
	v_addc_co_u32_e32 v6, vcc, v7, v6, vcc
	s_waitcnt vmcnt(0) lgkmcnt(0)
	buffer_store_dword v2, off, s[0:3], 0 offset:428
	buffer_store_dword v1, off, s[0:3], 0 offset:424
	buffer_store_dword v5, off, s[0:3], 0 offset:928 ; 4-byte Folded Spill
	s_nop 0
	buffer_store_dword v6, off, s[0:3], 0 offset:932 ; 4-byte Folded Spill
	flat_load_dwordx2 v[1:2], v[5:6]
	v_ashrrev_i32_e32 v5, 31, v4
	v_lshlrev_b64 v[5:6], 3, v[4:5]
	v_add_u32_e32 v4, s9, v4
	v_add_co_u32_e32 v5, vcc, s5, v5
	v_addc_co_u32_e32 v6, vcc, v7, v6, vcc
	s_waitcnt vmcnt(0) lgkmcnt(0)
	buffer_store_dword v2, off, s[0:3], 0 offset:436
	buffer_store_dword v1, off, s[0:3], 0 offset:432
	buffer_store_dword v5, off, s[0:3], 0 offset:936 ; 4-byte Folded Spill
	s_nop 0
	buffer_store_dword v6, off, s[0:3], 0 offset:940 ; 4-byte Folded Spill
	flat_load_dwordx2 v[1:2], v[5:6]
	v_ashrrev_i32_e32 v5, 31, v4
	v_lshlrev_b64 v[5:6], 3, v[4:5]
	v_add_u32_e32 v4, s9, v4
	v_add_co_u32_e32 v5, vcc, s5, v5
	v_addc_co_u32_e32 v6, vcc, v7, v6, vcc
	s_waitcnt vmcnt(0) lgkmcnt(0)
	buffer_store_dword v2, off, s[0:3], 0 offset:444
	buffer_store_dword v1, off, s[0:3], 0 offset:440
	buffer_store_dword v5, off, s[0:3], 0 offset:944 ; 4-byte Folded Spill
	s_nop 0
	buffer_store_dword v6, off, s[0:3], 0 offset:948 ; 4-byte Folded Spill
	flat_load_dwordx2 v[1:2], v[5:6]
	v_ashrrev_i32_e32 v5, 31, v4
	v_lshlrev_b64 v[5:6], 3, v[4:5]
	v_add_u32_e32 v4, s9, v4
	v_add_co_u32_e32 v5, vcc, s5, v5
	v_addc_co_u32_e32 v6, vcc, v7, v6, vcc
	s_waitcnt vmcnt(0) lgkmcnt(0)
	buffer_store_dword v2, off, s[0:3], 0 offset:452
	buffer_store_dword v1, off, s[0:3], 0 offset:448
	buffer_store_dword v5, off, s[0:3], 0 offset:952 ; 4-byte Folded Spill
	s_nop 0
	buffer_store_dword v6, off, s[0:3], 0 offset:956 ; 4-byte Folded Spill
	flat_load_dwordx2 v[1:2], v[5:6]
	v_ashrrev_i32_e32 v5, 31, v4
	v_lshlrev_b64 v[5:6], 3, v[4:5]
	v_add_u32_e32 v4, s9, v4
	v_add_co_u32_e32 v5, vcc, s5, v5
	v_addc_co_u32_e32 v6, vcc, v7, v6, vcc
	s_waitcnt vmcnt(0) lgkmcnt(0)
	buffer_store_dword v2, off, s[0:3], 0 offset:460
	buffer_store_dword v1, off, s[0:3], 0 offset:456
	buffer_store_dword v5, off, s[0:3], 0 offset:960 ; 4-byte Folded Spill
	s_nop 0
	buffer_store_dword v6, off, s[0:3], 0 offset:964 ; 4-byte Folded Spill
	flat_load_dwordx2 v[1:2], v[5:6]
	v_ashrrev_i32_e32 v5, 31, v4
	v_lshlrev_b64 v[5:6], 3, v[4:5]
	v_add_u32_e32 v4, s9, v4
	v_add_co_u32_e32 v238, vcc, s5, v5
	v_addc_co_u32_e32 v239, vcc, v7, v6, vcc
	v_ashrrev_i32_e32 v5, 31, v4
	v_lshlrev_b64 v[5:6], 3, v[4:5]
	v_add_u32_e32 v4, s9, v4
	v_add_co_u32_e32 v240, vcc, s5, v5
	v_addc_co_u32_e32 v241, vcc, v7, v6, vcc
	;; [unrolled: 5-line block ×3, first 2 shown]
	v_ashrrev_i32_e32 v5, 31, v4
	v_lshlrev_b64 v[4:5], 3, v[4:5]
	v_mov_b32_e32 v6, s8
	v_add_co_u32_e32 v244, vcc, s5, v4
	v_addc_co_u32_e32 v245, vcc, v6, v5, vcc
	s_mov_b64 s[8:9], -1
	s_waitcnt vmcnt(0) lgkmcnt(0)
	buffer_store_dword v2, off, s[0:3], 0 offset:468
	buffer_store_dword v1, off, s[0:3], 0 offset:464
	flat_load_dwordx2 v[1:2], v[238:239]
	s_waitcnt vmcnt(0) lgkmcnt(0)
	buffer_store_dword v2, off, s[0:3], 0 offset:476
	buffer_store_dword v1, off, s[0:3], 0 offset:472
	flat_load_dwordx2 v[1:2], v[240:241]
	;; [unrolled: 4-line block ×4, first 2 shown]
	s_waitcnt vmcnt(0) lgkmcnt(0)
	buffer_store_dword v2, off, s[0:3], 0 offset:500
	buffer_store_dword v1, off, s[0:3], 0 offset:496
	s_cbranch_scc1 .LBB126_264
; %bb.4:
	v_cmp_eq_u32_e64 s[4:5], 0, v0
	s_and_saveexec_b64 s[8:9], s[4:5]
; %bb.5:
	v_mov_b32_e32 v1, 0
	ds_write_b32 v1, v1 offset:504
; %bb.6:
	s_or_b64 exec, exec, s[8:9]
	v_mov_b32_e32 v1, 0
	v_lshl_add_u32 v5, v0, 3, v1
	s_waitcnt lgkmcnt(0)
	; wave barrier
	buffer_load_dword v1, v5, s[0:3], 0 offen
	buffer_load_dword v2, v5, s[0:3], 0 offen offset:4
	s_waitcnt vmcnt(1)
	v_cmp_eq_f32_e32 vcc, 0, v1
	s_waitcnt vmcnt(0)
	v_cmp_eq_f32_e64 s[8:9], 0, v2
	s_and_b64 s[8:9], vcc, s[8:9]
	s_and_saveexec_b64 s[16:17], s[8:9]
	s_cbranch_execz .LBB126_10
; %bb.7:
	v_mov_b32_e32 v1, 0
	ds_read_b32 v4, v1 offset:504
	v_add_u32_e32 v2, 1, v0
	s_waitcnt lgkmcnt(0)
	v_readfirstlane_b32 s8, v4
	s_cmp_eq_u32 s8, 0
	s_cselect_b64 s[18:19], -1, 0
	v_cmp_gt_i32_e32 vcc, s8, v2
	s_or_b64 s[18:19], s[18:19], vcc
	s_and_b64 exec, exec, s[18:19]
	s_cbranch_execz .LBB126_10
; %bb.8:
	s_mov_b64 s[18:19], 0
	v_mov_b32_e32 v4, s8
.LBB126_9:                              ; =>This Inner Loop Header: Depth=1
	ds_cmpst_rtn_b32 v4, v1, v4, v2 offset:504
	s_waitcnt lgkmcnt(0)
	v_cmp_ne_u32_e32 vcc, 0, v4
	v_cmp_le_i32_e64 s[8:9], v4, v2
	s_and_b64 s[8:9], vcc, s[8:9]
	s_and_b64 s[8:9], exec, s[8:9]
	s_or_b64 s[18:19], s[8:9], s[18:19]
	s_andn2_b64 exec, exec, s[18:19]
	s_cbranch_execnz .LBB126_9
.LBB126_10:
	s_or_b64 exec, exec, s[16:17]
	v_mov_b32_e32 v2, 0
	; wave barrier
	ds_read_b32 v1, v2 offset:504
	s_and_saveexec_b64 s[8:9], s[4:5]
	s_cbranch_execz .LBB126_12
; %bb.11:
	s_lshl_b64 s[16:17], s[6:7], 2
	s_add_u32 s16, s10, s16
	s_addc_u32 s17, s11, s17
	s_waitcnt lgkmcnt(0)
	global_store_dword v2, v1, s[16:17]
.LBB126_12:
	s_or_b64 exec, exec, s[8:9]
	s_waitcnt lgkmcnt(0)
	v_cmp_ne_u32_e32 vcc, 0, v1
	s_mov_b64 s[8:9], 0
	s_cbranch_vccnz .LBB126_264
; %bb.13:
	buffer_load_dword v2, v5, s[0:3], 0 offen
	buffer_load_dword v4, v5, s[0:3], 0 offen offset:4
                                        ; implicit-def: $vgpr7
                                        ; implicit-def: $vgpr6
                                        ; implicit-def: $vgpr1
	s_waitcnt vmcnt(0)
	v_cmp_ngt_f32_e64 s[8:9], |v2|, |v4|
	s_and_saveexec_b64 s[16:17], s[8:9]
	s_xor_b64 s[8:9], exec, s[16:17]
	s_cbranch_execz .LBB126_15
; %bb.14:
	v_div_scale_f32 v1, s[16:17], v4, v4, v2
	v_div_scale_f32 v6, vcc, v2, v4, v2
	v_rcp_f32_e32 v7, v1
	v_fma_f32 v8, -v1, v7, 1.0
	v_fmac_f32_e32 v7, v8, v7
	v_mul_f32_e32 v8, v6, v7
	v_fma_f32 v9, -v1, v8, v6
	v_fmac_f32_e32 v8, v9, v7
	v_fma_f32 v1, -v1, v8, v6
	v_div_fmas_f32 v1, v1, v7, v8
	v_div_fixup_f32 v1, v1, v4, v2
	v_fmac_f32_e32 v4, v2, v1
	v_div_scale_f32 v2, s[16:17], v4, v4, 1.0
	v_div_scale_f32 v6, vcc, 1.0, v4, 1.0
	v_rcp_f32_e32 v7, v2
	v_fma_f32 v8, -v2, v7, 1.0
	v_fmac_f32_e32 v7, v8, v7
	v_mul_f32_e32 v8, v6, v7
	v_fma_f32 v9, -v2, v8, v6
	v_fmac_f32_e32 v8, v9, v7
	v_fma_f32 v2, -v2, v8, v6
	v_div_fmas_f32 v2, v2, v7, v8
	v_div_fixup_f32 v2, v2, v4, 1.0
	v_mul_f32_e32 v7, v1, v2
	v_xor_b32_e32 v6, 0x80000000, v2
	v_xor_b32_e32 v1, 0x80000000, v7
                                        ; implicit-def: $vgpr2
                                        ; implicit-def: $vgpr4
.LBB126_15:
	s_andn2_saveexec_b64 s[8:9], s[8:9]
	s_cbranch_execz .LBB126_17
; %bb.16:
	v_div_scale_f32 v1, s[16:17], v2, v2, v4
	v_div_scale_f32 v6, vcc, v4, v2, v4
	v_rcp_f32_e32 v7, v1
	v_fma_f32 v8, -v1, v7, 1.0
	v_fmac_f32_e32 v7, v8, v7
	v_mul_f32_e32 v8, v6, v7
	v_fma_f32 v9, -v1, v8, v6
	v_fmac_f32_e32 v8, v9, v7
	v_fma_f32 v1, -v1, v8, v6
	v_div_fmas_f32 v1, v1, v7, v8
	v_div_fixup_f32 v6, v1, v2, v4
	v_fmac_f32_e32 v2, v4, v6
	v_div_scale_f32 v1, s[16:17], v2, v2, 1.0
	v_div_scale_f32 v4, vcc, 1.0, v2, 1.0
	v_rcp_f32_e32 v7, v1
	v_fma_f32 v8, -v1, v7, 1.0
	v_fmac_f32_e32 v7, v8, v7
	v_mul_f32_e32 v8, v4, v7
	v_fma_f32 v9, -v1, v8, v4
	v_fmac_f32_e32 v8, v9, v7
	v_fma_f32 v1, -v1, v8, v4
	v_div_fmas_f32 v1, v1, v7, v8
	v_div_fixup_f32 v7, v1, v2, 1.0
	v_xor_b32_e32 v1, 0x80000000, v7
	v_mul_f32_e64 v6, v6, -v7
.LBB126_17:
	s_or_b64 exec, exec, s[8:9]
	buffer_store_dword v7, v5, s[0:3], 0 offen
	buffer_store_dword v6, v5, s[0:3], 0 offen offset:4
	buffer_load_dword v8, off, s[0:3], 0 offset:12
	s_nop 0
	buffer_load_dword v7, off, s[0:3], 0 offset:8
	v_xor_b32_e32 v2, 0x80000000, v6
	v_or_b32_e32 v4, 0x200, v3
	s_waitcnt vmcnt(0)
	ds_write2st64_b64 v3, v[1:2], v[7:8] offset1:1
	s_waitcnt lgkmcnt(0)
	; wave barrier
	s_and_saveexec_b64 s[8:9], s[4:5]
	s_cbranch_execz .LBB126_19
; %bb.18:
	buffer_load_dword v8, v5, s[0:3], 0 offen offset:4
	buffer_load_dword v9, v5, s[0:3], 0 offen
	ds_read_b64 v[1:2], v4
	v_mov_b32_e32 v6, 0
	ds_read_b64 v[6:7], v6 offset:8
	s_waitcnt vmcnt(1) lgkmcnt(1)
	v_mul_f32_e32 v10, v2, v8
	v_mul_f32_e32 v8, v1, v8
	s_waitcnt vmcnt(0)
	v_fmac_f32_e32 v8, v2, v9
	v_fma_f32 v1, v1, v9, -v10
	v_add_f32_e32 v2, 0, v8
	v_add_f32_e32 v1, 0, v1
	s_waitcnt lgkmcnt(0)
	v_mul_f32_e32 v8, v2, v7
	v_mul_f32_e32 v7, v1, v7
	v_fma_f32 v1, v1, v6, -v8
	v_fmac_f32_e32 v7, v2, v6
	buffer_store_dword v1, off, s[0:3], 0 offset:8
	buffer_store_dword v7, off, s[0:3], 0 offset:12
.LBB126_19:
	s_or_b64 exec, exec, s[8:9]
	; wave barrier
	buffer_load_dword v1, off, s[0:3], 0 offset:16
	buffer_load_dword v2, off, s[0:3], 0 offset:20
	v_cmp_gt_u32_e32 vcc, 2, v0
	s_waitcnt vmcnt(0)
	ds_write_b64 v4, v[1:2]
	s_waitcnt lgkmcnt(0)
	; wave barrier
	s_and_saveexec_b64 s[8:9], vcc
	s_cbranch_execz .LBB126_23
; %bb.20:
	buffer_load_dword v6, v5, s[0:3], 0 offen offset:4
	s_nop 0
	buffer_load_dword v5, v5, s[0:3], 0 offen
	ds_read_b64 v[1:2], v4
	s_waitcnt vmcnt(1) lgkmcnt(0)
	v_mul_f32_e32 v7, v2, v6
	v_mul_f32_e32 v6, v1, v6
	s_waitcnt vmcnt(0)
	v_fma_f32 v1, v1, v5, -v7
	v_fmac_f32_e32 v6, v2, v5
	v_add_f32_e32 v2, 0, v1
	v_add_f32_e32 v1, 0, v6
	s_and_saveexec_b64 s[16:17], s[4:5]
	s_cbranch_execz .LBB126_22
; %bb.21:
	buffer_load_dword v7, off, s[0:3], 0 offset:12
	buffer_load_dword v8, off, s[0:3], 0 offset:8
	v_mov_b32_e32 v5, 0
	ds_read_b64 v[5:6], v5 offset:520
	s_waitcnt vmcnt(1) lgkmcnt(0)
	v_mul_f32_e32 v9, v5, v7
	v_mul_f32_e32 v7, v6, v7
	s_waitcnt vmcnt(0)
	v_fmac_f32_e32 v9, v6, v8
	v_fma_f32 v5, v5, v8, -v7
	v_add_f32_e32 v1, v1, v9
	v_add_f32_e32 v2, v2, v5
.LBB126_22:
	s_or_b64 exec, exec, s[16:17]
	v_mov_b32_e32 v5, 0
	ds_read_b64 v[5:6], v5 offset:16
	s_waitcnt lgkmcnt(0)
	v_mul_f32_e32 v7, v1, v6
	v_mul_f32_e32 v6, v2, v6
	v_fma_f32 v2, v2, v5, -v7
	v_fmac_f32_e32 v6, v1, v5
	buffer_store_dword v2, off, s[0:3], 0 offset:16
	buffer_store_dword v6, off, s[0:3], 0 offset:20
.LBB126_23:
	s_or_b64 exec, exec, s[8:9]
	; wave barrier
	buffer_load_dword v1, off, s[0:3], 0 offset:24
	buffer_load_dword v2, off, s[0:3], 0 offset:28
	v_cmp_gt_u32_e32 vcc, 3, v0
	s_waitcnt vmcnt(0)
	ds_write_b64 v4, v[1:2]
	v_add_u32_e32 v1, -1, v0
	s_waitcnt lgkmcnt(0)
	; wave barrier
	s_and_saveexec_b64 s[4:5], vcc
	s_cbranch_execz .LBB126_27
; %bb.24:
	v_add_u32_e32 v5, -1, v0
	v_or_b32_e32 v6, 0x200, v3
	v_mov_b32_e32 v7, v3
	v_mov_b32_e32 v2, 0
	s_mov_b64 s[8:9], 0
	v_mov_b32_e32 v8, 0
.LBB126_25:                             ; =>This Inner Loop Header: Depth=1
	buffer_load_dword v11, v7, s[0:3], 0 offen offset:4
	buffer_load_dword v12, v7, s[0:3], 0 offen
	ds_read_b64 v[9:10], v6
	v_add_u32_e32 v5, 1, v5
	v_cmp_lt_u32_e32 vcc, 1, v5
	v_add_u32_e32 v6, 8, v6
	v_add_u32_e32 v7, 8, v7
	s_or_b64 s[8:9], vcc, s[8:9]
	s_waitcnt vmcnt(1) lgkmcnt(0)
	v_mul_f32_e32 v13, v10, v11
	v_mul_f32_e32 v11, v9, v11
	s_waitcnt vmcnt(0)
	v_fma_f32 v9, v9, v12, -v13
	v_fmac_f32_e32 v11, v10, v12
	v_add_f32_e32 v8, v8, v9
	v_add_f32_e32 v2, v2, v11
	s_andn2_b64 exec, exec, s[8:9]
	s_cbranch_execnz .LBB126_25
; %bb.26:
	s_or_b64 exec, exec, s[8:9]
	v_mov_b32_e32 v5, 0
	ds_read_b64 v[5:6], v5 offset:24
	s_waitcnt lgkmcnt(0)
	v_mul_f32_e32 v7, v2, v6
	v_mul_f32_e32 v6, v8, v6
	v_fma_f32 v7, v8, v5, -v7
	v_fmac_f32_e32 v6, v2, v5
	buffer_store_dword v7, off, s[0:3], 0 offset:24
	buffer_store_dword v6, off, s[0:3], 0 offset:28
.LBB126_27:
	s_or_b64 exec, exec, s[4:5]
	; wave barrier
	buffer_load_dword v5, off, s[0:3], 0 offset:32
	buffer_load_dword v6, off, s[0:3], 0 offset:36
	v_cmp_gt_u32_e32 vcc, 4, v0
	s_waitcnt vmcnt(0)
	ds_write_b64 v4, v[5:6]
	s_waitcnt lgkmcnt(0)
	; wave barrier
	s_and_saveexec_b64 s[4:5], vcc
	s_cbranch_execz .LBB126_31
; %bb.28:
	v_add_u32_e32 v5, -1, v0
	v_or_b32_e32 v6, 0x200, v3
	v_mov_b32_e32 v7, v3
	v_mov_b32_e32 v2, 0
	s_mov_b64 s[8:9], 0
	v_mov_b32_e32 v8, 0
.LBB126_29:                             ; =>This Inner Loop Header: Depth=1
	buffer_load_dword v11, v7, s[0:3], 0 offen offset:4
	buffer_load_dword v12, v7, s[0:3], 0 offen
	ds_read_b64 v[9:10], v6
	v_add_u32_e32 v5, 1, v5
	v_cmp_lt_u32_e32 vcc, 2, v5
	v_add_u32_e32 v6, 8, v6
	v_add_u32_e32 v7, 8, v7
	s_or_b64 s[8:9], vcc, s[8:9]
	s_waitcnt vmcnt(1) lgkmcnt(0)
	v_mul_f32_e32 v13, v10, v11
	v_mul_f32_e32 v11, v9, v11
	s_waitcnt vmcnt(0)
	v_fma_f32 v9, v9, v12, -v13
	v_fmac_f32_e32 v11, v10, v12
	v_add_f32_e32 v8, v8, v9
	v_add_f32_e32 v2, v2, v11
	s_andn2_b64 exec, exec, s[8:9]
	s_cbranch_execnz .LBB126_29
; %bb.30:
	s_or_b64 exec, exec, s[8:9]
	v_mov_b32_e32 v5, 0
	ds_read_b64 v[5:6], v5 offset:32
	s_waitcnt lgkmcnt(0)
	v_mul_f32_e32 v7, v2, v6
	v_mul_f32_e32 v6, v8, v6
	v_fma_f32 v7, v8, v5, -v7
	v_fmac_f32_e32 v6, v2, v5
	buffer_store_dword v7, off, s[0:3], 0 offset:32
	buffer_store_dword v6, off, s[0:3], 0 offset:36
.LBB126_31:
	s_or_b64 exec, exec, s[4:5]
	; wave barrier
	buffer_load_dword v5, off, s[0:3], 0 offset:40
	buffer_load_dword v6, off, s[0:3], 0 offset:44
	v_cmp_gt_u32_e32 vcc, 5, v0
	s_waitcnt vmcnt(0)
	ds_write_b64 v4, v[5:6]
	;; [unrolled: 49-line block ×19, first 2 shown]
	s_waitcnt lgkmcnt(0)
	; wave barrier
	s_and_saveexec_b64 s[4:5], vcc
	s_cbranch_execz .LBB126_103
; %bb.100:
	v_add_u32_e32 v5, -1, v0
	v_or_b32_e32 v6, 0x200, v3
	v_mov_b32_e32 v7, v3
	v_mov_b32_e32 v2, 0
	s_mov_b64 s[8:9], 0
	v_mov_b32_e32 v8, 0
.LBB126_101:                            ; =>This Inner Loop Header: Depth=1
	buffer_load_dword v11, v7, s[0:3], 0 offen offset:4
	buffer_load_dword v12, v7, s[0:3], 0 offen
	ds_read_b64 v[9:10], v6
	v_add_u32_e32 v5, 1, v5
	v_cmp_lt_u32_e32 vcc, 20, v5
	v_add_u32_e32 v6, 8, v6
	v_add_u32_e32 v7, 8, v7
	s_or_b64 s[8:9], vcc, s[8:9]
	s_waitcnt vmcnt(1) lgkmcnt(0)
	v_mul_f32_e32 v13, v10, v11
	v_mul_f32_e32 v11, v9, v11
	s_waitcnt vmcnt(0)
	v_fma_f32 v9, v9, v12, -v13
	v_fmac_f32_e32 v11, v10, v12
	v_add_f32_e32 v8, v8, v9
	v_add_f32_e32 v2, v2, v11
	s_andn2_b64 exec, exec, s[8:9]
	s_cbranch_execnz .LBB126_101
; %bb.102:
	s_or_b64 exec, exec, s[8:9]
	v_mov_b32_e32 v5, 0
	ds_read_b64 v[5:6], v5 offset:176
	s_waitcnt lgkmcnt(0)
	v_mul_f32_e32 v7, v2, v6
	v_mul_f32_e32 v6, v8, v6
	v_fma_f32 v7, v8, v5, -v7
	v_fmac_f32_e32 v6, v2, v5
	buffer_store_dword v7, off, s[0:3], 0 offset:176
	buffer_store_dword v6, off, s[0:3], 0 offset:180
.LBB126_103:
	s_or_b64 exec, exec, s[4:5]
	; wave barrier
	buffer_load_dword v5, off, s[0:3], 0 offset:184
	buffer_load_dword v6, off, s[0:3], 0 offset:188
	v_cmp_gt_u32_e32 vcc, 23, v0
	s_waitcnt vmcnt(0)
	ds_write_b64 v4, v[5:6]
	s_waitcnt lgkmcnt(0)
	; wave barrier
	s_and_saveexec_b64 s[4:5], vcc
	s_cbranch_execz .LBB126_107
; %bb.104:
	v_add_u32_e32 v5, -1, v0
	v_or_b32_e32 v6, 0x200, v3
	v_mov_b32_e32 v7, v3
	v_mov_b32_e32 v2, 0
	s_mov_b64 s[8:9], 0
	v_mov_b32_e32 v8, 0
.LBB126_105:                            ; =>This Inner Loop Header: Depth=1
	buffer_load_dword v11, v7, s[0:3], 0 offen offset:4
	buffer_load_dword v12, v7, s[0:3], 0 offen
	ds_read_b64 v[9:10], v6
	v_add_u32_e32 v5, 1, v5
	v_cmp_lt_u32_e32 vcc, 21, v5
	v_add_u32_e32 v6, 8, v6
	v_add_u32_e32 v7, 8, v7
	s_or_b64 s[8:9], vcc, s[8:9]
	s_waitcnt vmcnt(1) lgkmcnt(0)
	v_mul_f32_e32 v13, v10, v11
	v_mul_f32_e32 v11, v9, v11
	s_waitcnt vmcnt(0)
	v_fma_f32 v9, v9, v12, -v13
	v_fmac_f32_e32 v11, v10, v12
	v_add_f32_e32 v8, v8, v9
	v_add_f32_e32 v2, v2, v11
	s_andn2_b64 exec, exec, s[8:9]
	s_cbranch_execnz .LBB126_105
; %bb.106:
	s_or_b64 exec, exec, s[8:9]
	v_mov_b32_e32 v5, 0
	ds_read_b64 v[5:6], v5 offset:184
	s_waitcnt lgkmcnt(0)
	v_mul_f32_e32 v7, v2, v6
	v_mul_f32_e32 v6, v8, v6
	v_fma_f32 v7, v8, v5, -v7
	v_fmac_f32_e32 v6, v2, v5
	buffer_store_dword v7, off, s[0:3], 0 offset:184
	buffer_store_dword v6, off, s[0:3], 0 offset:188
.LBB126_107:
	s_or_b64 exec, exec, s[4:5]
	; wave barrier
	buffer_load_dword v5, off, s[0:3], 0 offset:192
	buffer_load_dword v6, off, s[0:3], 0 offset:196
	v_cmp_gt_u32_e32 vcc, 24, v0
	s_waitcnt vmcnt(0)
	ds_write_b64 v4, v[5:6]
	;; [unrolled: 49-line block ×39, first 2 shown]
	s_waitcnt lgkmcnt(0)
	; wave barrier
	s_and_saveexec_b64 s[4:5], vcc
	s_cbranch_execz .LBB126_259
; %bb.256:
	v_add_u32_e32 v5, -1, v0
	v_or_b32_e32 v6, 0x200, v3
	v_mov_b32_e32 v7, v3
	v_mov_b32_e32 v2, 0
	s_mov_b64 s[8:9], 0
	v_mov_b32_e32 v8, 0
.LBB126_257:                            ; =>This Inner Loop Header: Depth=1
	buffer_load_dword v11, v7, s[0:3], 0 offen offset:4
	buffer_load_dword v12, v7, s[0:3], 0 offen
	ds_read_b64 v[9:10], v6
	v_add_u32_e32 v5, 1, v5
	v_cmp_lt_u32_e32 vcc, 59, v5
	v_add_u32_e32 v6, 8, v6
	v_add_u32_e32 v7, 8, v7
	s_or_b64 s[8:9], vcc, s[8:9]
	s_waitcnt vmcnt(1) lgkmcnt(0)
	v_mul_f32_e32 v13, v10, v11
	v_mul_f32_e32 v11, v9, v11
	s_waitcnt vmcnt(0)
	v_fma_f32 v9, v9, v12, -v13
	v_fmac_f32_e32 v11, v10, v12
	v_add_f32_e32 v8, v8, v9
	v_add_f32_e32 v2, v2, v11
	s_andn2_b64 exec, exec, s[8:9]
	s_cbranch_execnz .LBB126_257
; %bb.258:
	s_or_b64 exec, exec, s[8:9]
	v_mov_b32_e32 v5, 0
	ds_read_b64 v[5:6], v5 offset:488
	s_waitcnt lgkmcnt(0)
	v_mul_f32_e32 v7, v2, v6
	v_mul_f32_e32 v6, v8, v6
	v_fma_f32 v7, v8, v5, -v7
	v_fmac_f32_e32 v6, v2, v5
	buffer_store_dword v7, off, s[0:3], 0 offset:488
	buffer_store_dword v6, off, s[0:3], 0 offset:492
.LBB126_259:
	s_or_b64 exec, exec, s[4:5]
	; wave barrier
	buffer_load_dword v5, off, s[0:3], 0 offset:496
	buffer_load_dword v6, off, s[0:3], 0 offset:500
	v_cmp_ne_u32_e32 vcc, 62, v0
	s_waitcnt vmcnt(0)
	ds_write_b64 v4, v[5:6]
	s_waitcnt lgkmcnt(0)
	; wave barrier
	s_and_saveexec_b64 s[4:5], vcc
	s_cbranch_execz .LBB126_263
; %bb.260:
	v_or_b32_e32 v4, 0x200, v3
	v_mov_b32_e32 v2, 0
	s_mov_b64 s[8:9], 0
	v_mov_b32_e32 v5, 0
.LBB126_261:                            ; =>This Inner Loop Header: Depth=1
	buffer_load_dword v8, v3, s[0:3], 0 offen offset:4
	buffer_load_dword v9, v3, s[0:3], 0 offen
	ds_read_b64 v[6:7], v4
	v_add_u32_e32 v1, 1, v1
	v_cmp_lt_u32_e32 vcc, 60, v1
	v_add_u32_e32 v4, 8, v4
	v_add_u32_e32 v3, 8, v3
	s_or_b64 s[8:9], vcc, s[8:9]
	s_waitcnt vmcnt(1) lgkmcnt(0)
	v_mul_f32_e32 v10, v7, v8
	v_mul_f32_e32 v8, v6, v8
	s_waitcnt vmcnt(0)
	v_fma_f32 v6, v6, v9, -v10
	v_fmac_f32_e32 v8, v7, v9
	v_add_f32_e32 v5, v5, v6
	v_add_f32_e32 v2, v2, v8
	s_andn2_b64 exec, exec, s[8:9]
	s_cbranch_execnz .LBB126_261
; %bb.262:
	s_or_b64 exec, exec, s[8:9]
	v_mov_b32_e32 v1, 0
	ds_read_b64 v[3:4], v1 offset:496
	s_waitcnt lgkmcnt(0)
	v_mul_f32_e32 v1, v2, v4
	v_mul_f32_e32 v4, v5, v4
	v_fma_f32 v1, v5, v3, -v1
	v_fmac_f32_e32 v4, v2, v3
	buffer_store_dword v1, off, s[0:3], 0 offset:496
	buffer_store_dword v4, off, s[0:3], 0 offset:500
.LBB126_263:
	s_or_b64 exec, exec, s[4:5]
	s_mov_b64 s[8:9], -1
	; wave barrier
.LBB126_264:
	s_and_b64 vcc, exec, s[8:9]
	s_cbranch_vccz .LBB126_266
; %bb.265:
	s_lshl_b64 s[4:5], s[6:7], 2
	s_add_u32 s4, s10, s4
	s_addc_u32 s5, s11, s5
	v_mov_b32_e32 v1, 0
	global_load_dword v1, v1, s[4:5]
	s_waitcnt vmcnt(0)
	v_cmp_ne_u32_e32 vcc, 0, v1
	s_cbranch_vccz .LBB126_267
.LBB126_266:
	s_endpgm
.LBB126_267:
	v_mov_b32_e32 v1, 0x200
	v_lshl_or_b32 v25, v0, 3, v1
	v_cmp_eq_u32_e32 vcc, 62, v0
	s_and_saveexec_b64 s[4:5], vcc
	s_cbranch_execz .LBB126_269
; %bb.268:
	buffer_load_dword v1, off, s[0:3], 0 offset:488
	buffer_load_dword v2, off, s[0:3], 0 offset:492
	v_mov_b32_e32 v3, 0
	buffer_store_dword v3, off, s[0:3], 0 offset:488
	buffer_store_dword v3, off, s[0:3], 0 offset:492
	s_waitcnt vmcnt(2)
	ds_write_b64 v25, v[1:2]
.LBB126_269:
	s_or_b64 exec, exec, s[4:5]
	s_waitcnt lgkmcnt(0)
	; wave barrier
	buffer_load_dword v4, off, s[0:3], 0 offset:500
	buffer_load_dword v5, off, s[0:3], 0 offset:496
	;; [unrolled: 1-line block ×4, first 2 shown]
	v_mov_b32_e32 v1, 0
	ds_read_b64 v[2:3], v1 offset:1008
	v_cmp_lt_u32_e32 vcc, 60, v0
	s_waitcnt vmcnt(3) lgkmcnt(0)
	v_mul_f32_e32 v8, v2, v4
	v_mul_f32_e32 v4, v3, v4
	s_waitcnt vmcnt(2)
	v_fma_f32 v2, v2, v5, -v4
	v_fmac_f32_e32 v8, v3, v5
	v_add_f32_e32 v2, 0, v2
	v_add_f32_e32 v3, 0, v8
	s_waitcnt vmcnt(1)
	v_sub_f32_e32 v2, v6, v2
	s_waitcnt vmcnt(0)
	v_sub_f32_e32 v3, v7, v3
	buffer_store_dword v2, off, s[0:3], 0 offset:488
	buffer_store_dword v3, off, s[0:3], 0 offset:492
	s_and_saveexec_b64 s[4:5], vcc
	s_cbranch_execz .LBB126_271
; %bb.270:
	buffer_load_dword v2, off, s[0:3], 0 offset:480
	buffer_load_dword v3, off, s[0:3], 0 offset:484
	s_waitcnt vmcnt(0)
	ds_write_b64 v25, v[2:3]
	buffer_store_dword v1, off, s[0:3], 0 offset:480
	buffer_store_dword v1, off, s[0:3], 0 offset:484
.LBB126_271:
	s_or_b64 exec, exec, s[4:5]
	s_waitcnt lgkmcnt(0)
	; wave barrier
	buffer_load_dword v5, off, s[0:3], 0 offset:492
	buffer_load_dword v6, off, s[0:3], 0 offset:500
	;; [unrolled: 1-line block ×6, first 2 shown]
	ds_read2_b64 v[1:4], v1 offset0:125 offset1:126
	v_cmp_lt_u32_e32 vcc, 59, v0
	s_waitcnt vmcnt(5) lgkmcnt(0)
	v_mul_f32_e32 v11, v1, v5
	v_mul_f32_e32 v5, v2, v5
	s_waitcnt vmcnt(4)
	v_mul_f32_e32 v12, v3, v6
	v_mul_f32_e32 v6, v4, v6
	s_waitcnt vmcnt(3)
	v_fma_f32 v1, v1, v7, -v5
	v_fmac_f32_e32 v11, v2, v7
	s_waitcnt vmcnt(2)
	v_fma_f32 v2, v3, v8, -v6
	v_add_f32_e32 v1, 0, v1
	v_fmac_f32_e32 v12, v4, v8
	v_add_f32_e32 v3, 0, v11
	v_add_f32_e32 v1, v1, v2
	;; [unrolled: 1-line block ×3, first 2 shown]
	s_waitcnt vmcnt(1)
	v_sub_f32_e32 v1, v9, v1
	s_waitcnt vmcnt(0)
	v_sub_f32_e32 v2, v10, v3
	buffer_store_dword v1, off, s[0:3], 0 offset:480
	buffer_store_dword v2, off, s[0:3], 0 offset:484
	s_and_saveexec_b64 s[4:5], vcc
	s_cbranch_execz .LBB126_273
; %bb.272:
	buffer_load_dword v1, off, s[0:3], 0 offset:472
	buffer_load_dword v2, off, s[0:3], 0 offset:476
	v_mov_b32_e32 v3, 0
	buffer_store_dword v3, off, s[0:3], 0 offset:472
	buffer_store_dword v3, off, s[0:3], 0 offset:476
	s_waitcnt vmcnt(2)
	ds_write_b64 v25, v[1:2]
.LBB126_273:
	s_or_b64 exec, exec, s[4:5]
	s_waitcnt lgkmcnt(0)
	; wave barrier
	buffer_load_dword v8, off, s[0:3], 0 offset:484
	buffer_load_dword v9, off, s[0:3], 0 offset:492
	;; [unrolled: 1-line block ×8, first 2 shown]
	v_mov_b32_e32 v1, 0
	ds_read_b128 v[2:5], v1 offset:992
	ds_read_b64 v[6:7], v1 offset:1008
	v_cmp_lt_u32_e32 vcc, 58, v0
	s_waitcnt vmcnt(7) lgkmcnt(1)
	v_mul_f32_e32 v16, v2, v8
	v_mul_f32_e32 v8, v3, v8
	s_waitcnt vmcnt(6)
	v_mul_f32_e32 v17, v4, v9
	v_mul_f32_e32 v9, v5, v9
	s_waitcnt vmcnt(4)
	v_fma_f32 v2, v2, v11, -v8
	s_waitcnt lgkmcnt(0)
	v_mul_f32_e32 v18, v6, v10
	v_mul_f32_e32 v10, v7, v10
	v_fmac_f32_e32 v16, v3, v11
	s_waitcnt vmcnt(3)
	v_fma_f32 v3, v4, v12, -v9
	v_add_f32_e32 v2, 0, v2
	v_fmac_f32_e32 v17, v5, v12
	s_waitcnt vmcnt(2)
	v_fma_f32 v4, v6, v13, -v10
	v_add_f32_e32 v5, 0, v16
	v_add_f32_e32 v2, v2, v3
	v_fmac_f32_e32 v18, v7, v13
	v_add_f32_e32 v5, v5, v17
	v_add_f32_e32 v2, v2, v4
	;; [unrolled: 1-line block ×3, first 2 shown]
	s_waitcnt vmcnt(1)
	v_sub_f32_e32 v2, v14, v2
	s_waitcnt vmcnt(0)
	v_sub_f32_e32 v3, v15, v3
	buffer_store_dword v2, off, s[0:3], 0 offset:472
	buffer_store_dword v3, off, s[0:3], 0 offset:476
	s_and_saveexec_b64 s[4:5], vcc
	s_cbranch_execz .LBB126_275
; %bb.274:
	buffer_load_dword v2, off, s[0:3], 0 offset:464
	buffer_load_dword v3, off, s[0:3], 0 offset:468
	s_waitcnt vmcnt(0)
	ds_write_b64 v25, v[2:3]
	buffer_store_dword v1, off, s[0:3], 0 offset:464
	buffer_store_dword v1, off, s[0:3], 0 offset:468
.LBB126_275:
	s_or_b64 exec, exec, s[4:5]
	s_waitcnt lgkmcnt(0)
	; wave barrier
	buffer_load_dword v10, off, s[0:3], 0 offset:476
	buffer_load_dword v11, off, s[0:3], 0 offset:484
	buffer_load_dword v12, off, s[0:3], 0 offset:492
	buffer_load_dword v13, off, s[0:3], 0 offset:500
	buffer_load_dword v14, off, s[0:3], 0 offset:472
	buffer_load_dword v15, off, s[0:3], 0 offset:480
	buffer_load_dword v16, off, s[0:3], 0 offset:488
	buffer_load_dword v17, off, s[0:3], 0 offset:496
	buffer_load_dword v18, off, s[0:3], 0 offset:464
	buffer_load_dword v19, off, s[0:3], 0 offset:468
	ds_read2_b64 v[2:5], v1 offset0:123 offset1:124
	ds_read2_b64 v[6:9], v1 offset0:125 offset1:126
	v_cmp_lt_u32_e32 vcc, 57, v0
	s_waitcnt vmcnt(9) lgkmcnt(1)
	v_mul_f32_e32 v1, v2, v10
	v_mul_f32_e32 v10, v3, v10
	s_waitcnt vmcnt(8)
	v_mul_f32_e32 v20, v4, v11
	v_mul_f32_e32 v11, v5, v11
	s_waitcnt vmcnt(5)
	v_fma_f32 v2, v2, v14, -v10
	s_waitcnt lgkmcnt(0)
	v_mul_f32_e32 v21, v6, v12
	v_mul_f32_e32 v12, v7, v12
	v_fmac_f32_e32 v1, v3, v14
	s_waitcnt vmcnt(4)
	v_fma_f32 v3, v4, v15, -v11
	v_add_f32_e32 v2, 0, v2
	v_mul_f32_e32 v22, v8, v13
	v_mul_f32_e32 v13, v9, v13
	v_fmac_f32_e32 v20, v5, v15
	s_waitcnt vmcnt(3)
	v_fma_f32 v4, v6, v16, -v12
	v_add_f32_e32 v1, 0, v1
	v_add_f32_e32 v2, v2, v3
	v_fmac_f32_e32 v21, v7, v16
	s_waitcnt vmcnt(2)
	v_fma_f32 v5, v8, v17, -v13
	v_add_f32_e32 v1, v1, v20
	v_add_f32_e32 v2, v2, v4
	v_fmac_f32_e32 v22, v9, v17
	v_add_f32_e32 v1, v1, v21
	v_add_f32_e32 v2, v2, v5
	;; [unrolled: 1-line block ×3, first 2 shown]
	s_waitcnt vmcnt(1)
	v_sub_f32_e32 v2, v18, v2
	s_waitcnt vmcnt(0)
	v_sub_f32_e32 v1, v19, v1
	buffer_store_dword v2, off, s[0:3], 0 offset:464
	buffer_store_dword v1, off, s[0:3], 0 offset:468
	s_and_saveexec_b64 s[4:5], vcc
	s_cbranch_execz .LBB126_277
; %bb.276:
	buffer_load_dword v1, off, s[0:3], 0 offset:456
	buffer_load_dword v2, off, s[0:3], 0 offset:460
	v_mov_b32_e32 v3, 0
	buffer_store_dword v3, off, s[0:3], 0 offset:456
	buffer_store_dword v3, off, s[0:3], 0 offset:460
	s_waitcnt vmcnt(2)
	ds_write_b64 v25, v[1:2]
.LBB126_277:
	s_or_b64 exec, exec, s[4:5]
	s_waitcnt lgkmcnt(0)
	; wave barrier
	buffer_load_dword v12, off, s[0:3], 0 offset:468
	buffer_load_dword v13, off, s[0:3], 0 offset:476
	;; [unrolled: 1-line block ×12, first 2 shown]
	v_mov_b32_e32 v1, 0
	ds_read_b128 v[2:5], v1 offset:976
	ds_read_b128 v[6:9], v1 offset:992
	ds_read_b64 v[10:11], v1 offset:1008
	v_cmp_lt_u32_e32 vcc, 56, v0
	s_waitcnt vmcnt(11) lgkmcnt(2)
	v_mul_f32_e32 v24, v2, v12
	v_mul_f32_e32 v12, v3, v12
	s_waitcnt vmcnt(10)
	v_mul_f32_e32 v26, v4, v13
	v_mul_f32_e32 v13, v5, v13
	s_waitcnt vmcnt(9) lgkmcnt(1)
	v_mul_f32_e32 v27, v6, v14
	s_waitcnt vmcnt(6)
	v_fma_f32 v2, v2, v17, -v12
	v_mul_f32_e32 v14, v7, v14
	v_fmac_f32_e32 v24, v3, v17
	s_waitcnt vmcnt(5)
	v_fma_f32 v3, v4, v18, -v13
	v_add_f32_e32 v2, 0, v2
	v_mul_f32_e32 v28, v8, v15
	v_mul_f32_e32 v15, v9, v15
	v_fmac_f32_e32 v26, v5, v18
	s_waitcnt vmcnt(4)
	v_fmac_f32_e32 v27, v7, v19
	v_fma_f32 v4, v6, v19, -v14
	v_add_f32_e32 v7, 0, v24
	v_add_f32_e32 v2, v2, v3
	s_waitcnt lgkmcnt(0)
	v_mul_f32_e32 v29, v10, v16
	v_mul_f32_e32 v16, v11, v16
	s_waitcnt vmcnt(3)
	v_fma_f32 v5, v8, v20, -v15
	v_add_f32_e32 v7, v7, v26
	v_add_f32_e32 v2, v2, v4
	v_fmac_f32_e32 v28, v9, v20
	s_waitcnt vmcnt(2)
	v_fma_f32 v6, v10, v21, -v16
	v_add_f32_e32 v3, v7, v27
	v_add_f32_e32 v2, v2, v5
	v_fmac_f32_e32 v29, v11, v21
	v_add_f32_e32 v3, v3, v28
	v_add_f32_e32 v2, v2, v6
	;; [unrolled: 1-line block ×3, first 2 shown]
	s_waitcnt vmcnt(1)
	v_sub_f32_e32 v2, v22, v2
	s_waitcnt vmcnt(0)
	v_sub_f32_e32 v3, v23, v3
	buffer_store_dword v2, off, s[0:3], 0 offset:456
	buffer_store_dword v3, off, s[0:3], 0 offset:460
	s_and_saveexec_b64 s[4:5], vcc
	s_cbranch_execz .LBB126_279
; %bb.278:
	buffer_load_dword v2, off, s[0:3], 0 offset:448
	buffer_load_dword v3, off, s[0:3], 0 offset:452
	s_waitcnt vmcnt(0)
	ds_write_b64 v25, v[2:3]
	buffer_store_dword v1, off, s[0:3], 0 offset:448
	buffer_store_dword v1, off, s[0:3], 0 offset:452
.LBB126_279:
	s_or_b64 exec, exec, s[4:5]
	s_waitcnt lgkmcnt(0)
	; wave barrier
	buffer_load_dword v14, off, s[0:3], 0 offset:460
	buffer_load_dword v15, off, s[0:3], 0 offset:468
	;; [unrolled: 1-line block ×14, first 2 shown]
	ds_read2_b64 v[2:5], v1 offset0:121 offset1:122
	ds_read2_b64 v[6:9], v1 offset0:123 offset1:124
	;; [unrolled: 1-line block ×3, first 2 shown]
	v_cmp_lt_u32_e32 vcc, 55, v0
	s_waitcnt vmcnt(13) lgkmcnt(2)
	v_mul_f32_e32 v1, v2, v14
	v_mul_f32_e32 v14, v3, v14
	s_waitcnt vmcnt(12)
	v_mul_f32_e32 v29, v4, v15
	v_mul_f32_e32 v15, v5, v15
	s_waitcnt vmcnt(11) lgkmcnt(1)
	v_mul_f32_e32 v30, v6, v16
	v_mul_f32_e32 v16, v7, v16
	s_waitcnt vmcnt(7)
	v_fma_f32 v2, v2, v20, -v14
	v_fmac_f32_e32 v1, v3, v20
	s_waitcnt vmcnt(6)
	v_fma_f32 v3, v4, v21, -v15
	v_add_f32_e32 v2, 0, v2
	v_mul_f32_e32 v31, v8, v17
	v_mul_f32_e32 v17, v9, v17
	v_fmac_f32_e32 v29, v5, v21
	s_waitcnt vmcnt(5)
	v_fma_f32 v4, v6, v22, -v16
	v_add_f32_e32 v1, 0, v1
	v_add_f32_e32 v2, v2, v3
	s_waitcnt lgkmcnt(0)
	v_mul_f32_e32 v32, v10, v18
	v_mul_f32_e32 v18, v11, v18
	v_fmac_f32_e32 v30, v7, v22
	s_waitcnt vmcnt(4)
	v_fma_f32 v5, v8, v23, -v17
	v_add_f32_e32 v1, v1, v29
	v_add_f32_e32 v2, v2, v4
	v_mul_f32_e32 v33, v12, v19
	v_mul_f32_e32 v19, v13, v19
	v_fmac_f32_e32 v31, v9, v23
	s_waitcnt vmcnt(3)
	v_fma_f32 v6, v10, v24, -v18
	v_add_f32_e32 v1, v1, v30
	v_add_f32_e32 v2, v2, v5
	v_fmac_f32_e32 v32, v11, v24
	s_waitcnt vmcnt(2)
	v_fma_f32 v7, v12, v26, -v19
	v_add_f32_e32 v1, v1, v31
	v_add_f32_e32 v2, v2, v6
	v_fmac_f32_e32 v33, v13, v26
	v_add_f32_e32 v1, v1, v32
	v_add_f32_e32 v2, v2, v7
	v_add_f32_e32 v1, v1, v33
	s_waitcnt vmcnt(1)
	v_sub_f32_e32 v2, v27, v2
	s_waitcnt vmcnt(0)
	v_sub_f32_e32 v1, v28, v1
	buffer_store_dword v2, off, s[0:3], 0 offset:448
	buffer_store_dword v1, off, s[0:3], 0 offset:452
	s_and_saveexec_b64 s[4:5], vcc
	s_cbranch_execz .LBB126_281
; %bb.280:
	buffer_load_dword v1, off, s[0:3], 0 offset:440
	buffer_load_dword v2, off, s[0:3], 0 offset:444
	v_mov_b32_e32 v3, 0
	buffer_store_dword v3, off, s[0:3], 0 offset:440
	buffer_store_dword v3, off, s[0:3], 0 offset:444
	s_waitcnt vmcnt(2)
	ds_write_b64 v25, v[1:2]
.LBB126_281:
	s_or_b64 exec, exec, s[4:5]
	s_waitcnt lgkmcnt(0)
	; wave barrier
	buffer_load_dword v16, off, s[0:3], 0 offset:452
	buffer_load_dword v17, off, s[0:3], 0 offset:460
	;; [unrolled: 1-line block ×16, first 2 shown]
	v_mov_b32_e32 v1, 0
	ds_read_b128 v[2:5], v1 offset:960
	ds_read_b128 v[6:9], v1 offset:976
	;; [unrolled: 1-line block ×3, first 2 shown]
	ds_read_b64 v[14:15], v1 offset:1008
	v_cmp_lt_u32_e32 vcc, 54, v0
	s_waitcnt vmcnt(15) lgkmcnt(3)
	v_mul_f32_e32 v33, v2, v16
	v_mul_f32_e32 v16, v3, v16
	s_waitcnt vmcnt(14)
	v_mul_f32_e32 v34, v4, v17
	v_mul_f32_e32 v17, v5, v17
	s_waitcnt vmcnt(13) lgkmcnt(2)
	v_mul_f32_e32 v35, v6, v18
	s_waitcnt vmcnt(12)
	v_mul_f32_e32 v36, v8, v19
	v_mul_f32_e32 v18, v7, v18
	s_waitcnt vmcnt(8)
	v_fma_f32 v2, v2, v23, -v16
	v_fmac_f32_e32 v33, v3, v23
	s_waitcnt vmcnt(7)
	v_fma_f32 v3, v4, v24, -v17
	v_add_f32_e32 v2, 0, v2
	v_mul_f32_e32 v19, v9, v19
	v_fmac_f32_e32 v34, v5, v24
	s_waitcnt vmcnt(5)
	v_fmac_f32_e32 v36, v9, v27
	v_fma_f32 v4, v6, v26, -v18
	v_add_f32_e32 v9, 0, v33
	v_add_f32_e32 v2, v2, v3
	s_waitcnt lgkmcnt(1)
	v_mul_f32_e32 v37, v10, v20
	v_mul_f32_e32 v20, v11, v20
	v_fmac_f32_e32 v35, v7, v26
	v_fma_f32 v5, v8, v27, -v19
	v_add_f32_e32 v9, v9, v34
	v_add_f32_e32 v2, v2, v4
	v_mul_f32_e32 v38, v12, v21
	v_mul_f32_e32 v21, v13, v21
	s_waitcnt vmcnt(4)
	v_fma_f32 v6, v10, v28, -v20
	v_add_f32_e32 v3, v9, v35
	v_add_f32_e32 v2, v2, v5
	s_waitcnt lgkmcnt(0)
	v_mul_f32_e32 v39, v14, v22
	v_mul_f32_e32 v22, v15, v22
	v_fmac_f32_e32 v37, v11, v28
	s_waitcnt vmcnt(3)
	v_fma_f32 v7, v12, v29, -v21
	v_add_f32_e32 v3, v3, v36
	v_add_f32_e32 v2, v2, v6
	v_fmac_f32_e32 v38, v13, v29
	s_waitcnt vmcnt(2)
	v_fma_f32 v8, v14, v30, -v22
	v_add_f32_e32 v3, v3, v37
	v_add_f32_e32 v2, v2, v7
	v_fmac_f32_e32 v39, v15, v30
	v_add_f32_e32 v3, v3, v38
	v_add_f32_e32 v2, v2, v8
	;; [unrolled: 1-line block ×3, first 2 shown]
	s_waitcnt vmcnt(1)
	v_sub_f32_e32 v2, v31, v2
	s_waitcnt vmcnt(0)
	v_sub_f32_e32 v3, v32, v3
	buffer_store_dword v2, off, s[0:3], 0 offset:440
	buffer_store_dword v3, off, s[0:3], 0 offset:444
	s_and_saveexec_b64 s[4:5], vcc
	s_cbranch_execz .LBB126_283
; %bb.282:
	buffer_load_dword v2, off, s[0:3], 0 offset:432
	buffer_load_dword v3, off, s[0:3], 0 offset:436
	s_waitcnt vmcnt(0)
	ds_write_b64 v25, v[2:3]
	buffer_store_dword v1, off, s[0:3], 0 offset:432
	buffer_store_dword v1, off, s[0:3], 0 offset:436
.LBB126_283:
	s_or_b64 exec, exec, s[4:5]
	s_waitcnt lgkmcnt(0)
	; wave barrier
	buffer_load_dword v18, off, s[0:3], 0 offset:444
	buffer_load_dword v19, off, s[0:3], 0 offset:452
	;; [unrolled: 1-line block ×18, first 2 shown]
	ds_read2_b64 v[2:5], v1 offset0:119 offset1:120
	ds_read2_b64 v[6:9], v1 offset0:121 offset1:122
	ds_read2_b64 v[10:13], v1 offset0:123 offset1:124
	ds_read2_b64 v[14:17], v1 offset0:125 offset1:126
	v_cmp_lt_u32_e32 vcc, 53, v0
	s_waitcnt vmcnt(17) lgkmcnt(3)
	v_mul_f32_e32 v1, v2, v18
	v_mul_f32_e32 v18, v3, v18
	s_waitcnt vmcnt(16)
	v_mul_f32_e32 v37, v4, v19
	v_mul_f32_e32 v19, v5, v19
	s_waitcnt vmcnt(15) lgkmcnt(2)
	v_mul_f32_e32 v38, v6, v20
	v_mul_f32_e32 v20, v7, v20
	s_waitcnt vmcnt(14)
	v_mul_f32_e32 v39, v8, v21
	v_mul_f32_e32 v21, v9, v21
	s_waitcnt vmcnt(9)
	v_fma_f32 v2, v2, v27, -v18
	v_fmac_f32_e32 v1, v3, v27
	s_waitcnt vmcnt(8)
	v_fma_f32 v3, v4, v28, -v19
	v_add_f32_e32 v2, 0, v2
	v_fmac_f32_e32 v37, v5, v28
	s_waitcnt vmcnt(7)
	v_fma_f32 v4, v6, v29, -v20
	v_add_f32_e32 v1, 0, v1
	v_add_f32_e32 v2, v2, v3
	s_waitcnt lgkmcnt(1)
	v_mul_f32_e32 v40, v10, v22
	v_mul_f32_e32 v22, v11, v22
	v_fmac_f32_e32 v38, v7, v29
	s_waitcnt vmcnt(6)
	v_fma_f32 v5, v8, v30, -v21
	v_add_f32_e32 v1, v1, v37
	v_add_f32_e32 v2, v2, v4
	v_mul_f32_e32 v41, v12, v23
	v_mul_f32_e32 v23, v13, v23
	v_fmac_f32_e32 v39, v9, v30
	s_waitcnt vmcnt(5)
	v_fma_f32 v6, v10, v31, -v22
	v_add_f32_e32 v1, v1, v38
	v_add_f32_e32 v2, v2, v5
	s_waitcnt lgkmcnt(0)
	v_mul_f32_e32 v42, v14, v24
	v_mul_f32_e32 v24, v15, v24
	v_fmac_f32_e32 v40, v11, v31
	s_waitcnt vmcnt(4)
	v_fma_f32 v7, v12, v32, -v23
	v_add_f32_e32 v1, v1, v39
	v_add_f32_e32 v2, v2, v6
	v_mul_f32_e32 v43, v16, v26
	v_mul_f32_e32 v26, v17, v26
	v_fmac_f32_e32 v41, v13, v32
	s_waitcnt vmcnt(3)
	v_fma_f32 v8, v14, v33, -v24
	v_add_f32_e32 v1, v1, v40
	v_add_f32_e32 v2, v2, v7
	v_fmac_f32_e32 v42, v15, v33
	s_waitcnt vmcnt(2)
	v_fma_f32 v9, v16, v34, -v26
	v_add_f32_e32 v1, v1, v41
	v_add_f32_e32 v2, v2, v8
	v_fmac_f32_e32 v43, v17, v34
	v_add_f32_e32 v1, v1, v42
	v_add_f32_e32 v2, v2, v9
	;; [unrolled: 1-line block ×3, first 2 shown]
	s_waitcnt vmcnt(1)
	v_sub_f32_e32 v2, v35, v2
	s_waitcnt vmcnt(0)
	v_sub_f32_e32 v1, v36, v1
	buffer_store_dword v2, off, s[0:3], 0 offset:432
	buffer_store_dword v1, off, s[0:3], 0 offset:436
	s_and_saveexec_b64 s[4:5], vcc
	s_cbranch_execz .LBB126_285
; %bb.284:
	buffer_load_dword v1, off, s[0:3], 0 offset:424
	buffer_load_dword v2, off, s[0:3], 0 offset:428
	v_mov_b32_e32 v3, 0
	buffer_store_dword v3, off, s[0:3], 0 offset:424
	buffer_store_dword v3, off, s[0:3], 0 offset:428
	s_waitcnt vmcnt(2)
	ds_write_b64 v25, v[1:2]
.LBB126_285:
	s_or_b64 exec, exec, s[4:5]
	s_waitcnt lgkmcnt(0)
	; wave barrier
	buffer_load_dword v20, off, s[0:3], 0 offset:436
	buffer_load_dword v21, off, s[0:3], 0 offset:444
	;; [unrolled: 1-line block ×20, first 2 shown]
	v_mov_b32_e32 v1, 0
	ds_read_b128 v[2:5], v1 offset:944
	ds_read_b128 v[6:9], v1 offset:960
	ds_read_b128 v[10:13], v1 offset:976
	ds_read_b128 v[14:17], v1 offset:992
	ds_read_b64 v[18:19], v1 offset:1008
	v_cmp_lt_u32_e32 vcc, 52, v0
	s_waitcnt vmcnt(19) lgkmcnt(4)
	v_mul_f32_e32 v41, v2, v20
	v_mul_f32_e32 v20, v3, v20
	s_waitcnt vmcnt(18)
	v_mul_f32_e32 v42, v4, v21
	v_mul_f32_e32 v21, v5, v21
	s_waitcnt vmcnt(17) lgkmcnt(3)
	v_mul_f32_e32 v43, v6, v22
	s_waitcnt vmcnt(15) lgkmcnt(2)
	v_mul_f32_e32 v45, v10, v24
	v_mul_f32_e32 v22, v7, v22
	;; [unrolled: 1-line block ×4, first 2 shown]
	s_waitcnt vmcnt(10)
	v_fma_f32 v2, v2, v30, -v20
	v_fmac_f32_e32 v41, v3, v30
	s_waitcnt vmcnt(9)
	v_fma_f32 v3, v4, v31, -v21
	v_add_f32_e32 v2, 0, v2
	v_mul_f32_e32 v24, v11, v24
	v_fmac_f32_e32 v42, v5, v31
	s_waitcnt vmcnt(6)
	v_fmac_f32_e32 v45, v11, v34
	v_fma_f32 v4, v6, v32, -v22
	v_add_f32_e32 v11, 0, v41
	v_add_f32_e32 v2, v2, v3
	v_fmac_f32_e32 v43, v7, v32
	v_fma_f32 v5, v8, v33, -v23
	v_add_f32_e32 v11, v11, v42
	v_add_f32_e32 v2, v2, v4
	v_mul_f32_e32 v46, v12, v26
	v_mul_f32_e32 v26, v13, v26
	v_fmac_f32_e32 v44, v9, v33
	v_fma_f32 v6, v10, v34, -v24
	v_add_f32_e32 v3, v11, v43
	v_add_f32_e32 v2, v2, v5
	s_waitcnt lgkmcnt(1)
	v_mul_f32_e32 v47, v14, v27
	v_mul_f32_e32 v27, v15, v27
	s_waitcnt vmcnt(5)
	v_fma_f32 v7, v12, v35, -v26
	v_add_f32_e32 v3, v3, v44
	v_add_f32_e32 v2, v2, v6
	v_mul_f32_e32 v48, v16, v28
	v_mul_f32_e32 v28, v17, v28
	v_fmac_f32_e32 v46, v13, v35
	s_waitcnt vmcnt(4)
	v_fma_f32 v8, v14, v36, -v27
	v_add_f32_e32 v3, v3, v45
	v_add_f32_e32 v2, v2, v7
	s_waitcnt lgkmcnt(0)
	v_mul_f32_e32 v49, v18, v29
	v_mul_f32_e32 v29, v19, v29
	v_fmac_f32_e32 v47, v15, v36
	s_waitcnt vmcnt(3)
	v_fma_f32 v9, v16, v37, -v28
	v_add_f32_e32 v3, v3, v46
	v_add_f32_e32 v2, v2, v8
	v_fmac_f32_e32 v48, v17, v37
	s_waitcnt vmcnt(2)
	v_fma_f32 v10, v18, v38, -v29
	v_add_f32_e32 v3, v3, v47
	v_add_f32_e32 v2, v2, v9
	v_fmac_f32_e32 v49, v19, v38
	v_add_f32_e32 v3, v3, v48
	v_add_f32_e32 v2, v2, v10
	;; [unrolled: 1-line block ×3, first 2 shown]
	s_waitcnt vmcnt(1)
	v_sub_f32_e32 v2, v39, v2
	s_waitcnt vmcnt(0)
	v_sub_f32_e32 v3, v40, v3
	buffer_store_dword v2, off, s[0:3], 0 offset:424
	buffer_store_dword v3, off, s[0:3], 0 offset:428
	s_and_saveexec_b64 s[4:5], vcc
	s_cbranch_execz .LBB126_287
; %bb.286:
	buffer_load_dword v2, off, s[0:3], 0 offset:416
	buffer_load_dword v3, off, s[0:3], 0 offset:420
	s_waitcnt vmcnt(0)
	ds_write_b64 v25, v[2:3]
	buffer_store_dword v1, off, s[0:3], 0 offset:416
	buffer_store_dword v1, off, s[0:3], 0 offset:420
.LBB126_287:
	s_or_b64 exec, exec, s[4:5]
	s_waitcnt lgkmcnt(0)
	; wave barrier
	buffer_load_dword v22, off, s[0:3], 0 offset:428
	buffer_load_dword v23, off, s[0:3], 0 offset:436
	;; [unrolled: 1-line block ×22, first 2 shown]
	ds_read2_b64 v[2:5], v1 offset0:117 offset1:118
	ds_read2_b64 v[6:9], v1 offset0:119 offset1:120
	;; [unrolled: 1-line block ×5, first 2 shown]
	v_cmp_lt_u32_e32 vcc, 51, v0
	s_waitcnt vmcnt(21) lgkmcnt(4)
	v_mul_f32_e32 v1, v2, v22
	v_mul_f32_e32 v22, v3, v22
	s_waitcnt vmcnt(20)
	v_mul_f32_e32 v45, v4, v23
	v_mul_f32_e32 v23, v5, v23
	s_waitcnt vmcnt(19) lgkmcnt(3)
	v_mul_f32_e32 v46, v6, v24
	v_mul_f32_e32 v24, v7, v24
	s_waitcnt vmcnt(18)
	v_mul_f32_e32 v47, v8, v26
	v_mul_f32_e32 v26, v9, v26
	s_waitcnt vmcnt(17) lgkmcnt(2)
	v_mul_f32_e32 v48, v10, v27
	v_mul_f32_e32 v27, v11, v27
	s_waitcnt vmcnt(11)
	v_fma_f32 v2, v2, v33, -v22
	v_fmac_f32_e32 v1, v3, v33
	s_waitcnt vmcnt(10)
	v_fma_f32 v3, v4, v34, -v23
	v_add_f32_e32 v2, 0, v2
	v_fmac_f32_e32 v45, v5, v34
	s_waitcnt vmcnt(9)
	v_fma_f32 v4, v6, v35, -v24
	v_add_f32_e32 v1, 0, v1
	v_add_f32_e32 v2, v2, v3
	v_fmac_f32_e32 v46, v7, v35
	s_waitcnt vmcnt(8)
	v_fma_f32 v5, v8, v36, -v26
	v_add_f32_e32 v1, v1, v45
	v_add_f32_e32 v2, v2, v4
	v_mul_f32_e32 v49, v12, v28
	v_mul_f32_e32 v28, v13, v28
	v_fmac_f32_e32 v47, v9, v36
	s_waitcnt vmcnt(7)
	v_fma_f32 v6, v10, v37, -v27
	v_add_f32_e32 v1, v1, v46
	v_add_f32_e32 v2, v2, v5
	s_waitcnt lgkmcnt(1)
	v_mul_f32_e32 v50, v14, v29
	v_mul_f32_e32 v29, v15, v29
	v_fmac_f32_e32 v48, v11, v37
	s_waitcnt vmcnt(6)
	v_fma_f32 v7, v12, v38, -v28
	v_add_f32_e32 v1, v1, v47
	v_add_f32_e32 v2, v2, v6
	v_mul_f32_e32 v51, v16, v30
	v_mul_f32_e32 v30, v17, v30
	v_fmac_f32_e32 v49, v13, v38
	s_waitcnt vmcnt(5)
	v_fma_f32 v8, v14, v39, -v29
	v_add_f32_e32 v1, v1, v48
	v_add_f32_e32 v2, v2, v7
	s_waitcnt lgkmcnt(0)
	v_mul_f32_e32 v52, v18, v31
	v_mul_f32_e32 v31, v19, v31
	v_fmac_f32_e32 v50, v15, v39
	s_waitcnt vmcnt(4)
	v_fma_f32 v9, v16, v40, -v30
	v_add_f32_e32 v1, v1, v49
	v_add_f32_e32 v2, v2, v8
	v_mul_f32_e32 v53, v20, v32
	v_mul_f32_e32 v32, v21, v32
	v_fmac_f32_e32 v51, v17, v40
	s_waitcnt vmcnt(3)
	v_fma_f32 v10, v18, v41, -v31
	v_add_f32_e32 v1, v1, v50
	v_add_f32_e32 v2, v2, v9
	v_fmac_f32_e32 v52, v19, v41
	s_waitcnt vmcnt(2)
	v_fma_f32 v11, v20, v42, -v32
	v_add_f32_e32 v1, v1, v51
	v_add_f32_e32 v2, v2, v10
	v_fmac_f32_e32 v53, v21, v42
	v_add_f32_e32 v1, v1, v52
	v_add_f32_e32 v2, v2, v11
	;; [unrolled: 1-line block ×3, first 2 shown]
	s_waitcnt vmcnt(1)
	v_sub_f32_e32 v2, v43, v2
	s_waitcnt vmcnt(0)
	v_sub_f32_e32 v1, v44, v1
	buffer_store_dword v2, off, s[0:3], 0 offset:416
	buffer_store_dword v1, off, s[0:3], 0 offset:420
	s_and_saveexec_b64 s[4:5], vcc
	s_cbranch_execz .LBB126_289
; %bb.288:
	buffer_load_dword v1, off, s[0:3], 0 offset:408
	buffer_load_dword v2, off, s[0:3], 0 offset:412
	v_mov_b32_e32 v3, 0
	buffer_store_dword v3, off, s[0:3], 0 offset:408
	buffer_store_dword v3, off, s[0:3], 0 offset:412
	s_waitcnt vmcnt(2)
	ds_write_b64 v25, v[1:2]
.LBB126_289:
	s_or_b64 exec, exec, s[4:5]
	s_waitcnt lgkmcnt(0)
	; wave barrier
	buffer_load_dword v24, off, s[0:3], 0 offset:420
	buffer_load_dword v26, off, s[0:3], 0 offset:428
	;; [unrolled: 1-line block ×24, first 2 shown]
	v_mov_b32_e32 v1, 0
	ds_read_b128 v[2:5], v1 offset:928
	ds_read_b128 v[6:9], v1 offset:944
	;; [unrolled: 1-line block ×5, first 2 shown]
	ds_read_b64 v[22:23], v1 offset:1008
	v_cmp_lt_u32_e32 vcc, 50, v0
	s_waitcnt vmcnt(23) lgkmcnt(5)
	v_mul_f32_e32 v49, v2, v24
	v_mul_f32_e32 v24, v3, v24
	s_waitcnt vmcnt(22)
	v_mul_f32_e32 v50, v4, v26
	v_mul_f32_e32 v26, v5, v26
	s_waitcnt vmcnt(21) lgkmcnt(4)
	v_mul_f32_e32 v51, v6, v27
	v_mul_f32_e32 v27, v7, v27
	s_waitcnt vmcnt(20)
	v_mul_f32_e32 v52, v8, v28
	s_waitcnt vmcnt(19) lgkmcnt(3)
	v_mul_f32_e32 v53, v10, v29
	v_mul_f32_e32 v28, v9, v28
	;; [unrolled: 1-line block ×3, first 2 shown]
	s_waitcnt vmcnt(18)
	v_mul_f32_e32 v54, v12, v30
	s_waitcnt vmcnt(12)
	v_fma_f32 v2, v2, v36, -v24
	v_fmac_f32_e32 v49, v3, v36
	s_waitcnt vmcnt(11)
	v_fma_f32 v3, v4, v37, -v26
	v_add_f32_e32 v2, 0, v2
	s_waitcnt vmcnt(10)
	v_fma_f32 v4, v6, v38, -v27
	v_add_f32_e32 v2, v2, v3
	v_fmac_f32_e32 v50, v5, v37
	s_waitcnt vmcnt(8)
	v_fmac_f32_e32 v53, v11, v40
	v_fma_f32 v5, v8, v39, -v28
	v_add_f32_e32 v11, 0, v49
	v_add_f32_e32 v2, v2, v4
	v_mul_f32_e32 v30, v13, v30
	v_fmac_f32_e32 v51, v7, v38
	v_fma_f32 v6, v10, v40, -v29
	v_add_f32_e32 v11, v11, v50
	v_add_f32_e32 v2, v2, v5
	s_waitcnt lgkmcnt(2)
	v_mul_f32_e32 v55, v14, v31
	v_mul_f32_e32 v31, v15, v31
	v_fmac_f32_e32 v52, v9, v39
	s_waitcnt vmcnt(7)
	v_fma_f32 v7, v12, v41, -v30
	v_add_f32_e32 v3, v11, v51
	v_add_f32_e32 v2, v2, v6
	v_mul_f32_e32 v56, v16, v32
	v_mul_f32_e32 v32, v17, v32
	s_waitcnt vmcnt(6)
	v_fma_f32 v8, v14, v42, -v31
	v_add_f32_e32 v3, v3, v52
	v_add_f32_e32 v2, v2, v7
	s_waitcnt lgkmcnt(1)
	v_mul_f32_e32 v57, v18, v33
	v_mul_f32_e32 v33, v19, v33
	v_fmac_f32_e32 v54, v13, v41
	s_waitcnt vmcnt(5)
	v_fma_f32 v9, v16, v43, -v32
	v_add_f32_e32 v3, v3, v53
	v_add_f32_e32 v2, v2, v8
	v_fmac_f32_e32 v55, v15, v42
	s_waitcnt vmcnt(4)
	v_fma_f32 v10, v18, v44, -v33
	v_add_f32_e32 v3, v3, v54
	v_add_f32_e32 v2, v2, v9
	v_mul_f32_e32 v4, v21, v34
	v_fmac_f32_e32 v56, v17, v43
	v_add_f32_e32 v3, v3, v55
	v_add_f32_e32 v2, v2, v10
	s_waitcnt vmcnt(3)
	v_fma_f32 v4, v20, v45, -v4
	v_mul_f32_e32 v58, v20, v34
	v_fmac_f32_e32 v57, v19, v44
	v_add_f32_e32 v3, v3, v56
	v_add_f32_e32 v2, v2, v4
	s_waitcnt lgkmcnt(0)
	v_mul_f32_e32 v4, v23, v35
	v_mul_f32_e32 v59, v22, v35
	v_fmac_f32_e32 v58, v21, v45
	v_add_f32_e32 v3, v3, v57
	s_waitcnt vmcnt(2)
	v_fma_f32 v4, v22, v46, -v4
	v_fmac_f32_e32 v59, v23, v46
	v_add_f32_e32 v3, v3, v58
	v_add_f32_e32 v2, v2, v4
	;; [unrolled: 1-line block ×3, first 2 shown]
	s_waitcnt vmcnt(1)
	v_sub_f32_e32 v2, v47, v2
	s_waitcnt vmcnt(0)
	v_sub_f32_e32 v3, v48, v3
	buffer_store_dword v2, off, s[0:3], 0 offset:408
	buffer_store_dword v3, off, s[0:3], 0 offset:412
	s_and_saveexec_b64 s[4:5], vcc
	s_cbranch_execz .LBB126_291
; %bb.290:
	buffer_load_dword v2, off, s[0:3], 0 offset:400
	buffer_load_dword v3, off, s[0:3], 0 offset:404
	s_waitcnt vmcnt(0)
	ds_write_b64 v25, v[2:3]
	buffer_store_dword v1, off, s[0:3], 0 offset:400
	buffer_store_dword v1, off, s[0:3], 0 offset:404
.LBB126_291:
	s_or_b64 exec, exec, s[4:5]
	s_waitcnt lgkmcnt(0)
	; wave barrier
	buffer_load_dword v22, off, s[0:3], 0 offset:412
	buffer_load_dword v23, off, s[0:3], 0 offset:420
	buffer_load_dword v24, off, s[0:3], 0 offset:428
	buffer_load_dword v30, off, s[0:3], 0 offset:436
	buffer_load_dword v31, off, s[0:3], 0 offset:444
	buffer_load_dword v32, off, s[0:3], 0 offset:452
	buffer_load_dword v33, off, s[0:3], 0 offset:460
	buffer_load_dword v34, off, s[0:3], 0 offset:468
	buffer_load_dword v35, off, s[0:3], 0 offset:476
	buffer_load_dword v36, off, s[0:3], 0 offset:484
	buffer_load_dword v37, off, s[0:3], 0 offset:492
	buffer_load_dword v38, off, s[0:3], 0 offset:500
	buffer_load_dword v39, off, s[0:3], 0 offset:408
	buffer_load_dword v40, off, s[0:3], 0 offset:416
	buffer_load_dword v41, off, s[0:3], 0 offset:424
	buffer_load_dword v42, off, s[0:3], 0 offset:432
	buffer_load_dword v43, off, s[0:3], 0 offset:440
	buffer_load_dword v44, off, s[0:3], 0 offset:448
	buffer_load_dword v45, off, s[0:3], 0 offset:456
	buffer_load_dword v46, off, s[0:3], 0 offset:464
	buffer_load_dword v47, off, s[0:3], 0 offset:472
	buffer_load_dword v48, off, s[0:3], 0 offset:480
	buffer_load_dword v49, off, s[0:3], 0 offset:488
	buffer_load_dword v50, off, s[0:3], 0 offset:496
	buffer_load_dword v51, off, s[0:3], 0 offset:400
	buffer_load_dword v52, off, s[0:3], 0 offset:404
	ds_read2_b64 v[2:5], v1 offset0:115 offset1:116
	ds_read2_b64 v[6:9], v1 offset0:117 offset1:118
	;; [unrolled: 1-line block ×6, first 2 shown]
	v_cmp_lt_u32_e32 vcc, 49, v0
	s_waitcnt vmcnt(25) lgkmcnt(5)
	v_mul_f32_e32 v1, v2, v22
	v_mul_f32_e32 v22, v3, v22
	s_waitcnt vmcnt(24)
	v_mul_f32_e32 v53, v4, v23
	v_mul_f32_e32 v23, v5, v23
	s_waitcnt vmcnt(23) lgkmcnt(4)
	v_mul_f32_e32 v54, v6, v24
	v_mul_f32_e32 v24, v7, v24
	s_waitcnt vmcnt(22)
	v_mul_f32_e32 v55, v8, v30
	v_mul_f32_e32 v30, v9, v30
	;; [unrolled: 6-line block ×3, first 2 shown]
	s_waitcnt vmcnt(13)
	v_fma_f32 v2, v2, v39, -v22
	v_fmac_f32_e32 v1, v3, v39
	s_waitcnt vmcnt(12)
	v_fma_f32 v3, v4, v40, -v23
	v_add_f32_e32 v2, 0, v2
	s_waitcnt vmcnt(11)
	v_fma_f32 v4, v6, v41, -v24
	v_add_f32_e32 v2, v2, v3
	v_fmac_f32_e32 v53, v5, v40
	s_waitcnt vmcnt(10)
	v_fma_f32 v5, v8, v42, -v30
	v_add_f32_e32 v2, v2, v4
	s_waitcnt vmcnt(9)
	v_fma_f32 v6, v10, v43, -v31
	v_add_f32_e32 v2, v2, v5
	s_waitcnt lgkmcnt(2)
	v_mul_f32_e32 v58, v14, v33
	v_mul_f32_e32 v33, v15, v33
	v_fmac_f32_e32 v54, v7, v41
	s_waitcnt vmcnt(8)
	v_fma_f32 v7, v12, v44, -v32
	v_add_f32_e32 v1, 0, v1
	v_add_f32_e32 v2, v2, v6
	v_mul_f32_e32 v59, v16, v34
	v_mul_f32_e32 v34, v17, v34
	s_waitcnt vmcnt(7)
	v_fma_f32 v8, v14, v45, -v33
	v_add_f32_e32 v1, v1, v53
	v_add_f32_e32 v2, v2, v7
	v_fmac_f32_e32 v55, v9, v42
	s_waitcnt vmcnt(6)
	v_fma_f32 v9, v16, v46, -v34
	v_add_f32_e32 v1, v1, v54
	v_add_f32_e32 v2, v2, v8
	s_waitcnt lgkmcnt(1)
	v_mul_f32_e32 v3, v19, v35
	v_fmac_f32_e32 v56, v11, v43
	v_add_f32_e32 v1, v1, v55
	v_add_f32_e32 v2, v2, v9
	s_waitcnt vmcnt(5)
	v_fma_f32 v3, v18, v47, -v3
	v_fmac_f32_e32 v57, v13, v44
	v_add_f32_e32 v1, v1, v56
	v_add_f32_e32 v2, v2, v3
	v_mul_f32_e32 v3, v21, v36
	v_fmac_f32_e32 v58, v15, v45
	v_add_f32_e32 v1, v1, v57
	s_waitcnt vmcnt(4)
	v_fma_f32 v3, v20, v48, -v3
	v_mul_f32_e32 v60, v18, v35
	v_fmac_f32_e32 v59, v17, v46
	v_add_f32_e32 v1, v1, v58
	v_add_f32_e32 v2, v2, v3
	s_waitcnt lgkmcnt(0)
	v_mul_f32_e32 v3, v27, v37
	v_mul_f32_e32 v61, v20, v36
	v_fmac_f32_e32 v60, v19, v47
	v_add_f32_e32 v1, v1, v59
	s_waitcnt vmcnt(3)
	v_fma_f32 v3, v26, v49, -v3
	v_mul_f32_e32 v62, v26, v37
	v_fmac_f32_e32 v61, v21, v48
	v_add_f32_e32 v1, v1, v60
	v_add_f32_e32 v2, v2, v3
	v_mul_f32_e32 v3, v29, v38
	v_mul_f32_e32 v63, v28, v38
	v_fmac_f32_e32 v62, v27, v49
	v_add_f32_e32 v1, v1, v61
	s_waitcnt vmcnt(2)
	v_fma_f32 v3, v28, v50, -v3
	v_fmac_f32_e32 v63, v29, v50
	v_add_f32_e32 v1, v1, v62
	v_add_f32_e32 v2, v2, v3
	;; [unrolled: 1-line block ×3, first 2 shown]
	s_waitcnt vmcnt(1)
	v_sub_f32_e32 v2, v51, v2
	s_waitcnt vmcnt(0)
	v_sub_f32_e32 v1, v52, v1
	buffer_store_dword v2, off, s[0:3], 0 offset:400
	buffer_store_dword v1, off, s[0:3], 0 offset:404
	s_and_saveexec_b64 s[4:5], vcc
	s_cbranch_execz .LBB126_293
; %bb.292:
	buffer_load_dword v1, off, s[0:3], 0 offset:392
	buffer_load_dword v2, off, s[0:3], 0 offset:396
	v_mov_b32_e32 v3, 0
	buffer_store_dword v3, off, s[0:3], 0 offset:392
	buffer_store_dword v3, off, s[0:3], 0 offset:396
	s_waitcnt vmcnt(2)
	ds_write_b64 v25, v[1:2]
.LBB126_293:
	s_or_b64 exec, exec, s[4:5]
	s_waitcnt lgkmcnt(0)
	; wave barrier
	buffer_load_dword v24, off, s[0:3], 0 offset:404
	buffer_load_dword v30, off, s[0:3], 0 offset:412
	;; [unrolled: 1-line block ×28, first 2 shown]
	v_mov_b32_e32 v1, 0
	ds_read_b128 v[2:5], v1 offset:912
	ds_read_b128 v[6:9], v1 offset:928
	;; [unrolled: 1-line block ×6, first 2 shown]
	ds_read_b64 v[22:23], v1 offset:1008
	v_cmp_lt_u32_e32 vcc, 48, v0
	s_waitcnt vmcnt(27) lgkmcnt(6)
	v_mul_f32_e32 v57, v2, v24
	v_mul_f32_e32 v24, v3, v24
	s_waitcnt vmcnt(26)
	v_mul_f32_e32 v58, v4, v30
	v_mul_f32_e32 v30, v5, v30
	s_waitcnt vmcnt(25) lgkmcnt(5)
	v_mul_f32_e32 v59, v6, v31
	v_mul_f32_e32 v31, v7, v31
	s_waitcnt vmcnt(24)
	v_mul_f32_e32 v60, v8, v32
	v_mul_f32_e32 v32, v9, v32
	s_waitcnt vmcnt(23) lgkmcnt(4)
	v_mul_f32_e32 v61, v10, v33
	v_mul_f32_e32 v33, v11, v33
	s_waitcnt vmcnt(22)
	v_mul_f32_e32 v62, v12, v34
	v_mul_f32_e32 v34, v13, v34
	s_waitcnt vmcnt(21) lgkmcnt(3)
	v_mul_f32_e32 v63, v14, v35
	s_waitcnt vmcnt(14)
	v_fma_f32 v2, v2, v42, -v24
	v_fmac_f32_e32 v57, v3, v42
	s_waitcnt vmcnt(13)
	v_fma_f32 v3, v4, v43, -v30
	v_add_f32_e32 v2, 0, v2
	s_waitcnt vmcnt(12)
	v_fma_f32 v4, v6, v44, -v31
	v_add_f32_e32 v2, v2, v3
	v_fmac_f32_e32 v58, v5, v43
	s_waitcnt vmcnt(11)
	v_fma_f32 v5, v8, v45, -v32
	v_add_f32_e32 v2, v2, v4
	s_waitcnt vmcnt(10)
	v_fma_f32 v6, v10, v46, -v33
	v_add_f32_e32 v2, v2, v5
	v_fmac_f32_e32 v59, v7, v44
	s_waitcnt vmcnt(9)
	v_fma_f32 v7, v12, v47, -v34
	v_add_f32_e32 v2, v2, v6
	v_mul_f32_e32 v4, v15, v35
	v_add_f32_e32 v2, v2, v7
	s_waitcnt vmcnt(8)
	v_fma_f32 v4, v14, v48, -v4
	v_add_f32_e32 v2, v2, v4
	v_mul_f32_e32 v4, v17, v36
	v_add_f32_e32 v8, 0, v57
	s_waitcnt vmcnt(7)
	v_fma_f32 v4, v16, v49, -v4
	v_add_f32_e32 v8, v8, v58
	v_add_f32_e32 v2, v2, v4
	s_waitcnt lgkmcnt(2)
	v_mul_f32_e32 v4, v19, v37
	v_fmac_f32_e32 v60, v9, v45
	v_add_f32_e32 v3, v8, v59
	s_waitcnt vmcnt(6)
	v_fma_f32 v4, v18, v50, -v4
	v_fmac_f32_e32 v61, v11, v46
	v_add_f32_e32 v3, v3, v60
	v_add_f32_e32 v2, v2, v4
	v_mul_f32_e32 v4, v21, v38
	v_fmac_f32_e32 v62, v13, v47
	v_add_f32_e32 v3, v3, v61
	s_waitcnt vmcnt(5)
	v_fma_f32 v4, v20, v51, -v4
	v_mul_f32_e32 v64, v16, v36
	v_fmac_f32_e32 v63, v15, v48
	v_add_f32_e32 v3, v3, v62
	v_add_f32_e32 v2, v2, v4
	s_waitcnt lgkmcnt(1)
	v_mul_f32_e32 v4, v27, v39
	v_mul_f32_e32 v65, v18, v37
	v_fmac_f32_e32 v64, v17, v49
	v_add_f32_e32 v3, v3, v63
	s_waitcnt vmcnt(4)
	v_fma_f32 v4, v26, v52, -v4
	v_mul_f32_e32 v66, v20, v38
	v_fmac_f32_e32 v65, v19, v50
	v_add_f32_e32 v3, v3, v64
	v_add_f32_e32 v2, v2, v4
	v_mul_f32_e32 v4, v29, v40
	v_mul_f32_e32 v67, v26, v39
	v_fmac_f32_e32 v66, v21, v51
	v_add_f32_e32 v3, v3, v65
	s_waitcnt vmcnt(3)
	v_fma_f32 v4, v28, v53, -v4
	v_mul_f32_e32 v68, v28, v40
	v_fmac_f32_e32 v67, v27, v52
	v_add_f32_e32 v3, v3, v66
	v_add_f32_e32 v2, v2, v4
	s_waitcnt lgkmcnt(0)
	v_mul_f32_e32 v4, v23, v41
	v_mul_f32_e32 v69, v22, v41
	v_fmac_f32_e32 v68, v29, v53
	v_add_f32_e32 v3, v3, v67
	s_waitcnt vmcnt(2)
	v_fma_f32 v4, v22, v54, -v4
	v_fmac_f32_e32 v69, v23, v54
	v_add_f32_e32 v3, v3, v68
	v_add_f32_e32 v2, v2, v4
	;; [unrolled: 1-line block ×3, first 2 shown]
	s_waitcnt vmcnt(1)
	v_sub_f32_e32 v2, v55, v2
	s_waitcnt vmcnt(0)
	v_sub_f32_e32 v3, v56, v3
	buffer_store_dword v2, off, s[0:3], 0 offset:392
	buffer_store_dword v3, off, s[0:3], 0 offset:396
	s_and_saveexec_b64 s[4:5], vcc
	s_cbranch_execz .LBB126_295
; %bb.294:
	buffer_load_dword v2, off, s[0:3], 0 offset:384
	buffer_load_dword v3, off, s[0:3], 0 offset:388
	s_waitcnt vmcnt(0)
	ds_write_b64 v25, v[2:3]
	buffer_store_dword v1, off, s[0:3], 0 offset:384
	buffer_store_dword v1, off, s[0:3], 0 offset:388
.LBB126_295:
	s_or_b64 exec, exec, s[4:5]
	s_waitcnt lgkmcnt(0)
	; wave barrier
	buffer_load_dword v22, off, s[0:3], 0 offset:396
	buffer_load_dword v23, off, s[0:3], 0 offset:404
	;; [unrolled: 1-line block ×30, first 2 shown]
	ds_read2_b64 v[2:5], v1 offset0:113 offset1:114
	ds_read2_b64 v[6:9], v1 offset0:115 offset1:116
	;; [unrolled: 1-line block ×7, first 2 shown]
	v_cmp_lt_u32_e32 vcc, 47, v0
	s_waitcnt vmcnt(29) lgkmcnt(6)
	v_mul_f32_e32 v1, v2, v22
	v_mul_f32_e32 v22, v3, v22
	s_waitcnt vmcnt(28)
	v_mul_f32_e32 v61, v4, v23
	v_mul_f32_e32 v23, v5, v23
	s_waitcnt vmcnt(27) lgkmcnt(5)
	v_mul_f32_e32 v62, v6, v24
	v_mul_f32_e32 v24, v7, v24
	s_waitcnt vmcnt(26)
	v_mul_f32_e32 v63, v8, v34
	v_mul_f32_e32 v34, v9, v34
	s_waitcnt vmcnt(25) lgkmcnt(4)
	v_mul_f32_e32 v64, v10, v35
	v_mul_f32_e32 v35, v11, v35
	s_waitcnt vmcnt(24)
	v_mul_f32_e32 v65, v12, v36
	s_waitcnt vmcnt(23) lgkmcnt(3)
	v_mul_f32_e32 v66, v14, v37
	s_waitcnt vmcnt(22)
	v_mul_f32_e32 v67, v16, v38
	s_waitcnt vmcnt(21) lgkmcnt(2)
	v_mul_f32_e32 v68, v18, v39
	s_waitcnt vmcnt(15)
	v_fma_f32 v2, v2, v45, -v22
	v_fmac_f32_e32 v1, v3, v45
	s_waitcnt vmcnt(14)
	v_fma_f32 v3, v4, v46, -v23
	v_add_f32_e32 v2, 0, v2
	s_waitcnt vmcnt(13)
	v_fma_f32 v4, v6, v47, -v24
	v_add_f32_e32 v2, v2, v3
	v_fmac_f32_e32 v61, v5, v46
	s_waitcnt vmcnt(12)
	v_fma_f32 v5, v8, v48, -v34
	v_add_f32_e32 v2, v2, v4
	s_waitcnt vmcnt(11)
	v_fma_f32 v6, v10, v49, -v35
	v_add_f32_e32 v2, v2, v5
	v_mul_f32_e32 v3, v13, v36
	v_add_f32_e32 v2, v2, v6
	s_waitcnt vmcnt(10)
	v_fma_f32 v3, v12, v50, -v3
	v_add_f32_e32 v2, v2, v3
	v_mul_f32_e32 v3, v15, v37
	s_waitcnt vmcnt(9)
	v_fma_f32 v3, v14, v51, -v3
	v_add_f32_e32 v2, v2, v3
	v_mul_f32_e32 v3, v17, v38
	s_waitcnt vmcnt(8)
	v_fma_f32 v3, v16, v52, -v3
	v_add_f32_e32 v1, 0, v1
	v_add_f32_e32 v2, v2, v3
	v_mul_f32_e32 v3, v19, v39
	v_fmac_f32_e32 v62, v7, v47
	v_add_f32_e32 v1, v1, v61
	s_waitcnt vmcnt(7)
	v_fma_f32 v3, v18, v53, -v3
	v_fmac_f32_e32 v63, v9, v48
	v_add_f32_e32 v1, v1, v62
	v_add_f32_e32 v2, v2, v3
	v_mul_f32_e32 v3, v21, v40
	v_fmac_f32_e32 v64, v11, v49
	v_add_f32_e32 v1, v1, v63
	s_waitcnt vmcnt(6)
	v_fma_f32 v3, v20, v54, -v3
	v_fmac_f32_e32 v65, v13, v50
	v_add_f32_e32 v1, v1, v64
	v_add_f32_e32 v2, v2, v3
	s_waitcnt lgkmcnt(1)
	v_mul_f32_e32 v3, v27, v41
	v_fmac_f32_e32 v66, v15, v51
	v_add_f32_e32 v1, v1, v65
	s_waitcnt vmcnt(5)
	v_fma_f32 v3, v26, v55, -v3
	v_fmac_f32_e32 v67, v17, v52
	v_add_f32_e32 v1, v1, v66
	v_add_f32_e32 v2, v2, v3
	v_mul_f32_e32 v3, v29, v42
	v_mul_f32_e32 v69, v20, v40
	v_fmac_f32_e32 v68, v19, v53
	v_add_f32_e32 v1, v1, v67
	s_waitcnt vmcnt(4)
	v_fma_f32 v3, v28, v56, -v3
	v_mul_f32_e32 v70, v26, v41
	v_fmac_f32_e32 v69, v21, v54
	v_add_f32_e32 v1, v1, v68
	v_add_f32_e32 v2, v2, v3
	s_waitcnt lgkmcnt(0)
	v_mul_f32_e32 v3, v31, v43
	v_mul_f32_e32 v71, v28, v42
	v_fmac_f32_e32 v70, v27, v55
	v_add_f32_e32 v1, v1, v69
	s_waitcnt vmcnt(3)
	v_fma_f32 v3, v30, v57, -v3
	v_mul_f32_e32 v72, v30, v43
	v_fmac_f32_e32 v71, v29, v56
	v_add_f32_e32 v1, v1, v70
	v_add_f32_e32 v2, v2, v3
	v_mul_f32_e32 v3, v33, v44
	v_mul_f32_e32 v73, v32, v44
	v_fmac_f32_e32 v72, v31, v57
	v_add_f32_e32 v1, v1, v71
	s_waitcnt vmcnt(2)
	v_fma_f32 v3, v32, v58, -v3
	v_fmac_f32_e32 v73, v33, v58
	v_add_f32_e32 v1, v1, v72
	v_add_f32_e32 v2, v2, v3
	;; [unrolled: 1-line block ×3, first 2 shown]
	s_waitcnt vmcnt(1)
	v_sub_f32_e32 v2, v59, v2
	s_waitcnt vmcnt(0)
	v_sub_f32_e32 v1, v60, v1
	buffer_store_dword v2, off, s[0:3], 0 offset:384
	buffer_store_dword v1, off, s[0:3], 0 offset:388
	s_and_saveexec_b64 s[4:5], vcc
	s_cbranch_execz .LBB126_297
; %bb.296:
	buffer_load_dword v1, off, s[0:3], 0 offset:376
	buffer_load_dword v2, off, s[0:3], 0 offset:380
	v_mov_b32_e32 v3, 0
	buffer_store_dword v3, off, s[0:3], 0 offset:376
	buffer_store_dword v3, off, s[0:3], 0 offset:380
	s_waitcnt vmcnt(2)
	ds_write_b64 v25, v[1:2]
.LBB126_297:
	s_or_b64 exec, exec, s[4:5]
	s_waitcnt lgkmcnt(0)
	; wave barrier
	buffer_load_dword v24, off, s[0:3], 0 offset:388
	buffer_load_dword v34, off, s[0:3], 0 offset:396
	;; [unrolled: 1-line block ×32, first 2 shown]
	v_mov_b32_e32 v1, 0
	ds_read_b128 v[2:5], v1 offset:896
	ds_read_b128 v[6:9], v1 offset:912
	;; [unrolled: 1-line block ×7, first 2 shown]
	ds_read_b64 v[22:23], v1 offset:1008
	v_cmp_lt_u32_e32 vcc, 46, v0
	s_waitcnt vmcnt(31) lgkmcnt(7)
	v_mul_f32_e32 v65, v2, v24
	v_mul_f32_e32 v24, v3, v24
	s_waitcnt vmcnt(30)
	v_mul_f32_e32 v66, v4, v34
	v_mul_f32_e32 v34, v5, v34
	s_waitcnt vmcnt(29) lgkmcnt(6)
	v_mul_f32_e32 v67, v6, v35
	v_mul_f32_e32 v35, v7, v35
	s_waitcnt vmcnt(28)
	v_mul_f32_e32 v68, v8, v36
	s_waitcnt vmcnt(27) lgkmcnt(5)
	v_mul_f32_e32 v69, v10, v37
	s_waitcnt vmcnt(26)
	v_mul_f32_e32 v70, v12, v38
	s_waitcnt vmcnt(25) lgkmcnt(4)
	v_mul_f32_e32 v71, v14, v39
	s_waitcnt vmcnt(24)
	v_mul_f32_e32 v72, v16, v40
	s_waitcnt vmcnt(23) lgkmcnt(3)
	v_mul_f32_e32 v73, v18, v41
	s_waitcnt vmcnt(22)
	v_mul_f32_e32 v74, v20, v42
	s_waitcnt vmcnt(21) lgkmcnt(2)
	v_mul_f32_e32 v75, v26, v43
	s_waitcnt vmcnt(20)
	v_mul_f32_e32 v76, v28, v44
	s_waitcnt vmcnt(16)
	v_fma_f32 v2, v2, v48, -v24
	v_fmac_f32_e32 v65, v3, v48
	s_waitcnt vmcnt(15)
	v_fma_f32 v3, v4, v49, -v34
	v_add_f32_e32 v2, 0, v2
	s_waitcnt vmcnt(14)
	v_fma_f32 v4, v6, v50, -v35
	v_add_f32_e32 v2, v2, v3
	v_add_f32_e32 v2, v2, v4
	v_mul_f32_e32 v4, v9, v36
	s_waitcnt vmcnt(13)
	v_fma_f32 v4, v8, v51, -v4
	v_add_f32_e32 v2, v2, v4
	v_mul_f32_e32 v4, v11, v37
	s_waitcnt vmcnt(12)
	v_fma_f32 v4, v10, v52, -v4
	;; [unrolled: 4-line block ×5, first 2 shown]
	v_add_f32_e32 v2, v2, v4
	v_mul_f32_e32 v4, v19, v41
	v_fmac_f32_e32 v66, v5, v49
	v_add_f32_e32 v5, 0, v65
	s_waitcnt vmcnt(8)
	v_fma_f32 v4, v18, v56, -v4
	v_fmac_f32_e32 v67, v7, v50
	v_add_f32_e32 v5, v5, v66
	v_add_f32_e32 v2, v2, v4
	v_mul_f32_e32 v4, v21, v42
	v_fmac_f32_e32 v68, v9, v51
	v_add_f32_e32 v3, v5, v67
	s_waitcnt vmcnt(7)
	v_fma_f32 v4, v20, v57, -v4
	v_fmac_f32_e32 v69, v11, v52
	v_add_f32_e32 v3, v3, v68
	;; [unrolled: 8-line block ×4, first 2 shown]
	v_add_f32_e32 v2, v2, v4
	s_waitcnt lgkmcnt(1)
	v_mul_f32_e32 v4, v31, v45
	v_fmac_f32_e32 v74, v21, v57
	v_add_f32_e32 v3, v3, v73
	s_waitcnt vmcnt(4)
	v_fma_f32 v4, v30, v60, -v4
	v_fmac_f32_e32 v75, v27, v58
	v_add_f32_e32 v3, v3, v74
	v_add_f32_e32 v2, v2, v4
	v_mul_f32_e32 v4, v33, v46
	v_mul_f32_e32 v77, v30, v45
	v_fmac_f32_e32 v76, v29, v59
	v_add_f32_e32 v3, v3, v75
	s_waitcnt vmcnt(3)
	v_fma_f32 v4, v32, v61, -v4
	v_mul_f32_e32 v78, v32, v46
	v_fmac_f32_e32 v77, v31, v60
	v_add_f32_e32 v3, v3, v76
	v_add_f32_e32 v2, v2, v4
	s_waitcnt lgkmcnt(0)
	v_mul_f32_e32 v4, v23, v47
	v_mul_f32_e32 v79, v22, v47
	v_fmac_f32_e32 v78, v33, v61
	v_add_f32_e32 v3, v3, v77
	s_waitcnt vmcnt(2)
	v_fma_f32 v4, v22, v62, -v4
	v_fmac_f32_e32 v79, v23, v62
	v_add_f32_e32 v3, v3, v78
	v_add_f32_e32 v2, v2, v4
	;; [unrolled: 1-line block ×3, first 2 shown]
	s_waitcnt vmcnt(1)
	v_sub_f32_e32 v2, v63, v2
	s_waitcnt vmcnt(0)
	v_sub_f32_e32 v3, v64, v3
	buffer_store_dword v2, off, s[0:3], 0 offset:376
	buffer_store_dword v3, off, s[0:3], 0 offset:380
	s_and_saveexec_b64 s[4:5], vcc
	s_cbranch_execz .LBB126_299
; %bb.298:
	buffer_load_dword v2, off, s[0:3], 0 offset:368
	buffer_load_dword v3, off, s[0:3], 0 offset:372
	s_waitcnt vmcnt(0)
	ds_write_b64 v25, v[2:3]
	buffer_store_dword v1, off, s[0:3], 0 offset:368
	buffer_store_dword v1, off, s[0:3], 0 offset:372
.LBB126_299:
	s_or_b64 exec, exec, s[4:5]
	s_waitcnt lgkmcnt(0)
	; wave barrier
	buffer_load_dword v22, off, s[0:3], 0 offset:380
	buffer_load_dword v23, off, s[0:3], 0 offset:388
	;; [unrolled: 1-line block ×34, first 2 shown]
	ds_read2_b64 v[2:5], v1 offset0:111 offset1:112
	ds_read2_b64 v[6:9], v1 offset0:113 offset1:114
	;; [unrolled: 1-line block ×8, first 2 shown]
	v_cmp_lt_u32_e32 vcc, 45, v0
	s_waitcnt vmcnt(33) lgkmcnt(7)
	v_mul_f32_e32 v1, v2, v22
	v_mul_f32_e32 v22, v3, v22
	s_waitcnt vmcnt(32)
	v_mul_f32_e32 v69, v4, v23
	v_mul_f32_e32 v23, v5, v23
	s_waitcnt vmcnt(31) lgkmcnt(6)
	v_mul_f32_e32 v70, v6, v24
	s_waitcnt vmcnt(30)
	v_mul_f32_e32 v71, v8, v38
	s_waitcnt vmcnt(29) lgkmcnt(5)
	v_mul_f32_e32 v72, v10, v39
	s_waitcnt vmcnt(28)
	;; [unrolled: 4-line block ×6, first 2 shown]
	v_mul_f32_e32 v81, v32, v48
	s_waitcnt vmcnt(17)
	v_fma_f32 v2, v2, v51, -v22
	v_fmac_f32_e32 v1, v3, v51
	s_waitcnt vmcnt(16)
	v_fma_f32 v3, v4, v52, -v23
	v_add_f32_e32 v2, 0, v2
	v_add_f32_e32 v2, v2, v3
	v_mul_f32_e32 v3, v7, v24
	s_waitcnt vmcnt(15)
	v_fma_f32 v3, v6, v53, -v3
	v_add_f32_e32 v2, v2, v3
	v_mul_f32_e32 v3, v9, v38
	s_waitcnt vmcnt(14)
	v_fma_f32 v3, v8, v54, -v3
	;; [unrolled: 4-line block ×7, first 2 shown]
	v_fmac_f32_e32 v69, v5, v52
	v_add_f32_e32 v1, 0, v1
	v_add_f32_e32 v2, v2, v3
	v_mul_f32_e32 v3, v21, v44
	v_fmac_f32_e32 v70, v7, v53
	v_add_f32_e32 v1, v1, v69
	s_waitcnt vmcnt(8)
	v_fma_f32 v3, v20, v60, -v3
	v_fmac_f32_e32 v71, v9, v54
	v_add_f32_e32 v1, v1, v70
	v_add_f32_e32 v2, v2, v3
	v_mul_f32_e32 v3, v27, v45
	v_fmac_f32_e32 v72, v11, v55
	v_add_f32_e32 v1, v1, v71
	s_waitcnt vmcnt(7)
	v_fma_f32 v3, v26, v61, -v3
	;; [unrolled: 8-line block ×5, first 2 shown]
	v_fmac_f32_e32 v79, v29, v62
	v_add_f32_e32 v1, v1, v78
	v_add_f32_e32 v2, v2, v3
	s_waitcnt lgkmcnt(0)
	v_mul_f32_e32 v3, v35, v49
	v_fmac_f32_e32 v80, v31, v63
	v_add_f32_e32 v1, v1, v79
	s_waitcnt vmcnt(3)
	v_fma_f32 v3, v34, v65, -v3
	v_mul_f32_e32 v82, v34, v49
	v_fmac_f32_e32 v81, v33, v64
	v_add_f32_e32 v1, v1, v80
	v_add_f32_e32 v2, v2, v3
	v_mul_f32_e32 v3, v37, v50
	v_mul_f32_e32 v83, v36, v50
	v_fmac_f32_e32 v82, v35, v65
	v_add_f32_e32 v1, v1, v81
	s_waitcnt vmcnt(2)
	v_fma_f32 v3, v36, v66, -v3
	v_fmac_f32_e32 v83, v37, v66
	v_add_f32_e32 v1, v1, v82
	v_add_f32_e32 v2, v2, v3
	;; [unrolled: 1-line block ×3, first 2 shown]
	s_waitcnt vmcnt(1)
	v_sub_f32_e32 v2, v67, v2
	s_waitcnt vmcnt(0)
	v_sub_f32_e32 v1, v68, v1
	buffer_store_dword v2, off, s[0:3], 0 offset:368
	buffer_store_dword v1, off, s[0:3], 0 offset:372
	s_and_saveexec_b64 s[4:5], vcc
	s_cbranch_execz .LBB126_301
; %bb.300:
	buffer_load_dword v1, off, s[0:3], 0 offset:360
	buffer_load_dword v2, off, s[0:3], 0 offset:364
	v_mov_b32_e32 v3, 0
	buffer_store_dword v3, off, s[0:3], 0 offset:360
	buffer_store_dword v3, off, s[0:3], 0 offset:364
	s_waitcnt vmcnt(2)
	ds_write_b64 v25, v[1:2]
.LBB126_301:
	s_or_b64 exec, exec, s[4:5]
	s_waitcnt lgkmcnt(0)
	; wave barrier
	buffer_load_dword v24, off, s[0:3], 0 offset:372
	buffer_load_dword v38, off, s[0:3], 0 offset:380
	buffer_load_dword v39, off, s[0:3], 0 offset:388
	buffer_load_dword v40, off, s[0:3], 0 offset:396
	buffer_load_dword v41, off, s[0:3], 0 offset:404
	buffer_load_dword v42, off, s[0:3], 0 offset:412
	buffer_load_dword v43, off, s[0:3], 0 offset:420
	buffer_load_dword v44, off, s[0:3], 0 offset:428
	buffer_load_dword v45, off, s[0:3], 0 offset:436
	buffer_load_dword v46, off, s[0:3], 0 offset:444
	buffer_load_dword v47, off, s[0:3], 0 offset:452
	buffer_load_dword v48, off, s[0:3], 0 offset:460
	buffer_load_dword v49, off, s[0:3], 0 offset:468
	buffer_load_dword v50, off, s[0:3], 0 offset:476
	buffer_load_dword v51, off, s[0:3], 0 offset:484
	buffer_load_dword v52, off, s[0:3], 0 offset:492
	buffer_load_dword v53, off, s[0:3], 0 offset:500
	buffer_load_dword v54, off, s[0:3], 0 offset:368
	buffer_load_dword v55, off, s[0:3], 0 offset:376
	buffer_load_dword v56, off, s[0:3], 0 offset:384
	buffer_load_dword v57, off, s[0:3], 0 offset:392
	buffer_load_dword v58, off, s[0:3], 0 offset:400
	buffer_load_dword v59, off, s[0:3], 0 offset:408
	buffer_load_dword v60, off, s[0:3], 0 offset:416
	buffer_load_dword v61, off, s[0:3], 0 offset:424
	buffer_load_dword v62, off, s[0:3], 0 offset:432
	buffer_load_dword v63, off, s[0:3], 0 offset:440
	buffer_load_dword v64, off, s[0:3], 0 offset:448
	buffer_load_dword v65, off, s[0:3], 0 offset:456
	buffer_load_dword v66, off, s[0:3], 0 offset:464
	buffer_load_dword v67, off, s[0:3], 0 offset:472
	buffer_load_dword v68, off, s[0:3], 0 offset:480
	buffer_load_dword v69, off, s[0:3], 0 offset:488
	buffer_load_dword v70, off, s[0:3], 0 offset:496
	buffer_load_dword v71, off, s[0:3], 0 offset:360
	buffer_load_dword v72, off, s[0:3], 0 offset:364
	v_mov_b32_e32 v1, 0
	ds_read_b128 v[2:5], v1 offset:880
	ds_read_b128 v[6:9], v1 offset:896
	;; [unrolled: 1-line block ×8, first 2 shown]
	ds_read_b64 v[22:23], v1 offset:1008
	v_cmp_lt_u32_e32 vcc, 44, v0
	s_waitcnt vmcnt(35) lgkmcnt(8)
	v_mul_f32_e32 v73, v2, v24
	s_waitcnt vmcnt(34)
	v_mul_f32_e32 v74, v4, v38
	s_waitcnt vmcnt(33) lgkmcnt(7)
	v_mul_f32_e32 v75, v6, v39
	s_waitcnt vmcnt(32)
	v_mul_f32_e32 v76, v8, v40
	;; [unrolled: 4-line block ×8, first 2 shown]
	s_waitcnt vmcnt(19) lgkmcnt(0)
	v_mul_f32_e32 v89, v22, v53
	s_waitcnt vmcnt(18)
	v_fmac_f32_e32 v73, v3, v54
	v_mul_f32_e32 v3, v3, v24
	v_fma_f32 v2, v2, v54, -v3
	v_mul_f32_e32 v3, v5, v38
	v_add_f32_e32 v2, 0, v2
	s_waitcnt vmcnt(17)
	v_fma_f32 v3, v4, v55, -v3
	v_add_f32_e32 v2, v2, v3
	v_mul_f32_e32 v3, v7, v39
	s_waitcnt vmcnt(16)
	v_fma_f32 v3, v6, v56, -v3
	v_add_f32_e32 v2, v2, v3
	v_mul_f32_e32 v3, v9, v40
	;; [unrolled: 4-line block ×8, first 2 shown]
	v_fmac_f32_e32 v74, v5, v55
	v_add_f32_e32 v73, 0, v73
	s_waitcnt vmcnt(9)
	v_fma_f32 v3, v20, v63, -v3
	v_fmac_f32_e32 v75, v7, v56
	v_add_f32_e32 v73, v73, v74
	v_add_f32_e32 v2, v2, v3
	v_mul_f32_e32 v3, v27, v47
	v_fmac_f32_e32 v76, v9, v57
	v_add_f32_e32 v73, v73, v75
	s_waitcnt vmcnt(8)
	v_fma_f32 v3, v26, v64, -v3
	v_fmac_f32_e32 v77, v11, v58
	v_add_f32_e32 v73, v73, v76
	v_add_f32_e32 v2, v2, v3
	v_mul_f32_e32 v3, v29, v48
	;; [unrolled: 8-line block ×7, first 2 shown]
	v_fmac_f32_e32 v88, v37, v69
	v_add_f32_e32 v73, v73, v87
	s_waitcnt vmcnt(2)
	v_fma_f32 v3, v22, v70, -v3
	v_fmac_f32_e32 v89, v23, v70
	v_add_f32_e32 v73, v73, v88
	v_add_f32_e32 v2, v2, v3
	;; [unrolled: 1-line block ×3, first 2 shown]
	s_waitcnt vmcnt(1)
	v_sub_f32_e32 v2, v71, v2
	s_waitcnt vmcnt(0)
	v_sub_f32_e32 v3, v72, v73
	buffer_store_dword v2, off, s[0:3], 0 offset:360
	buffer_store_dword v3, off, s[0:3], 0 offset:364
	s_and_saveexec_b64 s[4:5], vcc
	s_cbranch_execz .LBB126_303
; %bb.302:
	buffer_load_dword v2, off, s[0:3], 0 offset:352
	buffer_load_dword v3, off, s[0:3], 0 offset:356
	s_waitcnt vmcnt(0)
	ds_write_b64 v25, v[2:3]
	buffer_store_dword v1, off, s[0:3], 0 offset:352
	buffer_store_dword v1, off, s[0:3], 0 offset:356
.LBB126_303:
	s_or_b64 exec, exec, s[4:5]
	s_waitcnt lgkmcnt(0)
	; wave barrier
	buffer_load_dword v22, off, s[0:3], 0 offset:364
	buffer_load_dword v23, off, s[0:3], 0 offset:372
	;; [unrolled: 1-line block ×38, first 2 shown]
	ds_read2_b64 v[2:5], v1 offset0:109 offset1:110
	ds_read2_b64 v[6:9], v1 offset0:111 offset1:112
	;; [unrolled: 1-line block ×9, first 2 shown]
	v_cmp_lt_u32_e32 vcc, 43, v0
	s_waitcnt vmcnt(37) lgkmcnt(8)
	v_mul_f32_e32 v1, v2, v22
	s_waitcnt vmcnt(36)
	v_mul_f32_e32 v77, v4, v23
	s_waitcnt vmcnt(35) lgkmcnt(7)
	v_mul_f32_e32 v78, v6, v24
	s_waitcnt vmcnt(34)
	v_mul_f32_e32 v79, v8, v42
	;; [unrolled: 4-line block ×8, first 2 shown]
	s_waitcnt vmcnt(21) lgkmcnt(0)
	v_mul_f32_e32 v92, v38, v55
	s_waitcnt vmcnt(20)
	v_fmac_f32_e32 v1, v3, v56
	v_mul_f32_e32 v3, v3, v22
	v_fma_f32 v2, v2, v56, -v3
	v_mul_f32_e32 v3, v5, v23
	v_add_f32_e32 v2, 0, v2
	s_waitcnt vmcnt(19)
	v_fma_f32 v3, v4, v57, -v3
	v_add_f32_e32 v2, v2, v3
	v_mul_f32_e32 v3, v7, v24
	s_waitcnt vmcnt(18)
	v_fma_f32 v3, v6, v58, -v3
	v_add_f32_e32 v2, v2, v3
	v_mul_f32_e32 v3, v9, v42
	;; [unrolled: 4-line block ×8, first 2 shown]
	s_waitcnt vmcnt(11)
	v_fma_f32 v3, v20, v65, -v3
	v_fmac_f32_e32 v77, v5, v57
	v_add_f32_e32 v1, 0, v1
	v_add_f32_e32 v2, v2, v3
	v_mul_f32_e32 v3, v27, v49
	v_fmac_f32_e32 v78, v7, v58
	v_add_f32_e32 v1, v1, v77
	s_waitcnt vmcnt(10)
	v_fma_f32 v3, v26, v66, -v3
	v_fmac_f32_e32 v79, v9, v59
	v_add_f32_e32 v1, v1, v78
	v_add_f32_e32 v2, v2, v3
	v_mul_f32_e32 v3, v29, v50
	v_fmac_f32_e32 v80, v11, v60
	v_add_f32_e32 v1, v1, v79
	;; [unrolled: 8-line block ×7, first 2 shown]
	s_waitcnt vmcnt(4)
	v_fma_f32 v3, v38, v72, -v3
	v_fmac_f32_e32 v91, v37, v71
	v_add_f32_e32 v1, v1, v90
	v_add_f32_e32 v2, v2, v3
	s_waitcnt vmcnt(3)
	v_mul_f32_e32 v3, v41, v73
	v_add_f32_e32 v1, v1, v91
	v_fmac_f32_e32 v92, v39, v72
	v_mul_f32_e32 v77, v40, v73
	s_waitcnt vmcnt(2)
	v_fma_f32 v3, v40, v74, -v3
	v_add_f32_e32 v1, v1, v92
	v_fmac_f32_e32 v77, v41, v74
	v_add_f32_e32 v2, v2, v3
	v_add_f32_e32 v1, v1, v77
	s_waitcnt vmcnt(1)
	v_sub_f32_e32 v2, v75, v2
	s_waitcnt vmcnt(0)
	v_sub_f32_e32 v1, v76, v1
	buffer_store_dword v2, off, s[0:3], 0 offset:352
	buffer_store_dword v1, off, s[0:3], 0 offset:356
	s_and_saveexec_b64 s[4:5], vcc
	s_cbranch_execz .LBB126_305
; %bb.304:
	buffer_load_dword v1, off, s[0:3], 0 offset:344
	buffer_load_dword v2, off, s[0:3], 0 offset:348
	v_mov_b32_e32 v3, 0
	buffer_store_dword v3, off, s[0:3], 0 offset:344
	buffer_store_dword v3, off, s[0:3], 0 offset:348
	s_waitcnt vmcnt(2)
	ds_write_b64 v25, v[1:2]
.LBB126_305:
	s_or_b64 exec, exec, s[4:5]
	s_waitcnt lgkmcnt(0)
	; wave barrier
	buffer_load_dword v24, off, s[0:3], 0 offset:356
	buffer_load_dword v42, off, s[0:3], 0 offset:364
	;; [unrolled: 1-line block ×40, first 2 shown]
	v_mov_b32_e32 v1, 0
	ds_read_b128 v[2:5], v1 offset:864
	ds_read_b128 v[6:9], v1 offset:880
	;; [unrolled: 1-line block ×9, first 2 shown]
	v_cmp_lt_u32_e32 vcc, 42, v0
	s_waitcnt vmcnt(39) lgkmcnt(8)
	v_mul_f32_e32 v22, v2, v24
	s_waitcnt vmcnt(38)
	v_mul_f32_e32 v23, v4, v42
	s_waitcnt vmcnt(37) lgkmcnt(7)
	v_mul_f32_e32 v81, v6, v43
	s_waitcnt vmcnt(36)
	v_mul_f32_e32 v82, v8, v44
	;; [unrolled: 4-line block ×7, first 2 shown]
	s_waitcnt vmcnt(25) lgkmcnt(1)
	v_mul_f32_e32 v93, v34, v55
	s_waitcnt vmcnt(24)
	v_fmac_f32_e32 v22, v3, v56
	v_mul_f32_e32 v3, v3, v24
	v_fma_f32 v2, v2, v56, -v3
	v_mul_f32_e32 v3, v5, v42
	v_add_f32_e32 v2, 0, v2
	s_waitcnt vmcnt(23)
	v_fma_f32 v3, v4, v57, -v3
	v_add_f32_e32 v2, v2, v3
	v_mul_f32_e32 v3, v7, v43
	s_waitcnt vmcnt(22)
	v_fma_f32 v3, v6, v58, -v3
	v_add_f32_e32 v2, v2, v3
	v_mul_f32_e32 v3, v9, v44
	s_waitcnt vmcnt(21)
	v_fma_f32 v3, v8, v59, -v3
	v_add_f32_e32 v2, v2, v3
	v_mul_f32_e32 v3, v11, v45
	s_waitcnt vmcnt(20)
	v_fma_f32 v3, v10, v60, -v3
	v_add_f32_e32 v2, v2, v3
	v_mul_f32_e32 v3, v13, v46
	s_waitcnt vmcnt(19)
	v_fma_f32 v3, v12, v61, -v3
	v_add_f32_e32 v2, v2, v3
	v_mul_f32_e32 v3, v15, v47
	s_waitcnt vmcnt(18)
	v_fma_f32 v3, v14, v62, -v3
	v_add_f32_e32 v2, v2, v3
	v_mul_f32_e32 v3, v17, v48
	s_waitcnt vmcnt(17)
	v_fma_f32 v3, v16, v63, -v3
	v_fmac_f32_e32 v23, v5, v57
	v_add_f32_e32 v22, 0, v22
	v_add_f32_e32 v2, v2, v3
	v_mul_f32_e32 v3, v19, v49
	v_fmac_f32_e32 v81, v7, v58
	v_add_f32_e32 v22, v22, v23
	s_waitcnt vmcnt(16)
	v_fma_f32 v3, v18, v64, -v3
	v_fmac_f32_e32 v82, v9, v59
	v_add_f32_e32 v22, v22, v81
	v_add_f32_e32 v2, v2, v3
	v_mul_f32_e32 v3, v21, v50
	v_fmac_f32_e32 v83, v11, v60
	v_add_f32_e32 v22, v22, v82
	s_waitcnt vmcnt(15)
	v_fma_f32 v3, v20, v65, -v3
	v_fmac_f32_e32 v84, v13, v61
	v_add_f32_e32 v22, v22, v83
	v_add_f32_e32 v2, v2, v3
	v_mul_f32_e32 v3, v27, v51
	v_fmac_f32_e32 v85, v15, v62
	v_add_f32_e32 v22, v22, v84
	s_waitcnt vmcnt(14)
	v_fma_f32 v3, v26, v66, -v3
	v_fmac_f32_e32 v86, v17, v63
	v_add_f32_e32 v22, v22, v85
	v_add_f32_e32 v2, v2, v3
	v_mul_f32_e32 v3, v29, v52
	v_fmac_f32_e32 v87, v19, v64
	v_add_f32_e32 v22, v22, v86
	s_waitcnt vmcnt(13)
	v_fma_f32 v3, v28, v67, -v3
	v_fmac_f32_e32 v88, v21, v65
	v_add_f32_e32 v22, v22, v87
	v_add_f32_e32 v2, v2, v3
	v_mul_f32_e32 v3, v31, v53
	v_fmac_f32_e32 v89, v27, v66
	v_add_f32_e32 v22, v22, v88
	s_waitcnt vmcnt(12)
	v_fma_f32 v3, v30, v68, -v3
	v_fmac_f32_e32 v90, v29, v67
	v_add_f32_e32 v22, v22, v89
	v_add_f32_e32 v2, v2, v3
	v_mul_f32_e32 v3, v33, v54
	v_fmac_f32_e32 v91, v31, v68
	v_add_f32_e32 v22, v22, v90
	s_waitcnt vmcnt(11)
	v_fma_f32 v3, v32, v69, -v3
	v_fmac_f32_e32 v92, v33, v69
	v_add_f32_e32 v22, v22, v91
	v_add_f32_e32 v2, v2, v3
	v_mul_f32_e32 v3, v35, v55
	s_waitcnt vmcnt(10)
	v_fmac_f32_e32 v93, v35, v70
	v_add_f32_e32 v22, v22, v92
	s_waitcnt vmcnt(9)
	v_mul_f32_e32 v23, v36, v71
	v_fma_f32 v3, v34, v70, -v3
	v_add_f32_e32 v22, v22, v93
	s_waitcnt vmcnt(8)
	v_fmac_f32_e32 v23, v37, v72
	v_add_f32_e32 v2, v2, v3
	v_mul_f32_e32 v3, v37, v71
	v_add_f32_e32 v81, v22, v23
	ds_read_b64 v[22:23], v1 offset:1008
	v_fma_f32 v3, v36, v72, -v3
	v_add_f32_e32 v2, v2, v3
	s_waitcnt vmcnt(7) lgkmcnt(1)
	v_mul_f32_e32 v3, v39, v73
	v_mul_f32_e32 v82, v38, v73
	s_waitcnt vmcnt(6)
	v_fma_f32 v3, v38, v74, -v3
	v_fmac_f32_e32 v82, v39, v74
	v_add_f32_e32 v2, v2, v3
	s_waitcnt vmcnt(5)
	v_mul_f32_e32 v3, v41, v75
	v_add_f32_e32 v81, v81, v82
	v_mul_f32_e32 v82, v40, v75
	s_waitcnt vmcnt(4)
	v_fma_f32 v3, v40, v76, -v3
	v_fmac_f32_e32 v82, v41, v76
	v_add_f32_e32 v2, v2, v3
	s_waitcnt vmcnt(3) lgkmcnt(0)
	v_mul_f32_e32 v3, v23, v77
	v_add_f32_e32 v81, v81, v82
	v_mul_f32_e32 v82, v22, v77
	s_waitcnt vmcnt(2)
	v_fma_f32 v3, v22, v78, -v3
	v_fmac_f32_e32 v82, v23, v78
	v_add_f32_e32 v2, v2, v3
	v_add_f32_e32 v81, v81, v82
	s_waitcnt vmcnt(1)
	v_sub_f32_e32 v2, v79, v2
	s_waitcnt vmcnt(0)
	v_sub_f32_e32 v3, v80, v81
	buffer_store_dword v2, off, s[0:3], 0 offset:344
	buffer_store_dword v3, off, s[0:3], 0 offset:348
	s_and_saveexec_b64 s[4:5], vcc
	s_cbranch_execz .LBB126_307
; %bb.306:
	buffer_load_dword v2, off, s[0:3], 0 offset:336
	buffer_load_dword v3, off, s[0:3], 0 offset:340
	s_waitcnt vmcnt(0)
	ds_write_b64 v25, v[2:3]
	buffer_store_dword v1, off, s[0:3], 0 offset:336
	buffer_store_dword v1, off, s[0:3], 0 offset:340
.LBB126_307:
	s_or_b64 exec, exec, s[4:5]
	s_waitcnt lgkmcnt(0)
	; wave barrier
	buffer_load_dword v22, off, s[0:3], 0 offset:348
	buffer_load_dword v23, off, s[0:3], 0 offset:356
	;; [unrolled: 1-line block ×42, first 2 shown]
	ds_read2_b64 v[2:5], v1 offset0:107 offset1:108
	ds_read2_b64 v[6:9], v1 offset0:109 offset1:110
	;; [unrolled: 1-line block ×8, first 2 shown]
	v_cmp_lt_u32_e32 vcc, 41, v0
	s_waitcnt vmcnt(41) lgkmcnt(7)
	v_mul_f32_e32 v38, v2, v22
	s_waitcnt vmcnt(40)
	v_mul_f32_e32 v39, v4, v23
	s_waitcnt vmcnt(39) lgkmcnt(6)
	v_mul_f32_e32 v40, v6, v24
	s_waitcnt vmcnt(38)
	v_mul_f32_e32 v41, v8, v46
	;; [unrolled: 4-line block ×7, first 2 shown]
	s_waitcnt vmcnt(27) lgkmcnt(0)
	v_mul_f32_e32 v91, v34, v57
	s_waitcnt vmcnt(26)
	v_fmac_f32_e32 v38, v3, v58
	v_mul_f32_e32 v3, v3, v22
	v_fma_f32 v2, v2, v58, -v3
	v_mul_f32_e32 v3, v5, v23
	v_add_f32_e32 v2, 0, v2
	s_waitcnt vmcnt(25)
	v_fma_f32 v3, v4, v59, -v3
	v_add_f32_e32 v2, v2, v3
	v_mul_f32_e32 v3, v7, v24
	s_waitcnt vmcnt(24)
	v_fma_f32 v3, v6, v60, -v3
	v_add_f32_e32 v2, v2, v3
	v_mul_f32_e32 v3, v9, v46
	;; [unrolled: 4-line block ×5, first 2 shown]
	v_fmac_f32_e32 v39, v5, v59
	v_add_f32_e32 v38, 0, v38
	s_waitcnt vmcnt(20)
	v_fma_f32 v3, v14, v64, -v3
	v_fmac_f32_e32 v40, v7, v60
	v_add_f32_e32 v38, v38, v39
	v_add_f32_e32 v2, v2, v3
	v_mul_f32_e32 v3, v17, v50
	v_fmac_f32_e32 v41, v9, v61
	v_add_f32_e32 v38, v38, v40
	s_waitcnt vmcnt(19)
	v_fma_f32 v3, v16, v65, -v3
	v_fmac_f32_e32 v42, v11, v62
	v_add_f32_e32 v38, v38, v41
	v_add_f32_e32 v2, v2, v3
	v_mul_f32_e32 v3, v19, v51
	;; [unrolled: 8-line block ×5, first 2 shown]
	s_waitcnt vmcnt(15)
	v_fmac_f32_e32 v88, v29, v69
	v_add_f32_e32 v38, v38, v87
	v_fma_f32 v3, v28, v69, -v3
	s_waitcnt vmcnt(14)
	v_fmac_f32_e32 v89, v31, v70
	v_add_f32_e32 v38, v38, v88
	v_add_f32_e32 v2, v2, v3
	v_mul_f32_e32 v3, v31, v55
	s_waitcnt vmcnt(13)
	v_fmac_f32_e32 v90, v33, v71
	v_add_f32_e32 v38, v38, v89
	v_fma_f32 v3, v30, v70, -v3
	s_waitcnt vmcnt(12)
	v_fmac_f32_e32 v91, v35, v72
	v_add_f32_e32 v38, v38, v90
	v_add_f32_e32 v2, v2, v3
	v_mul_f32_e32 v3, v33, v56
	v_add_f32_e32 v42, v38, v91
	ds_read2_b64 v[38:41], v1 offset0:123 offset1:124
	v_fma_f32 v3, v32, v71, -v3
	v_add_f32_e32 v2, v2, v3
	v_mul_f32_e32 v3, v35, v57
	s_waitcnt vmcnt(11)
	v_mul_f32_e32 v43, v36, v73
	v_fma_f32 v3, v34, v72, -v3
	s_waitcnt vmcnt(10)
	v_fmac_f32_e32 v43, v37, v74
	v_add_f32_e32 v2, v2, v3
	v_mul_f32_e32 v3, v37, v73
	v_add_f32_e32 v85, v42, v43
	ds_read2_b64 v[42:45], v1 offset0:125 offset1:126
	v_fma_f32 v3, v36, v74, -v3
	v_add_f32_e32 v2, v2, v3
	s_waitcnt vmcnt(9) lgkmcnt(1)
	v_mul_f32_e32 v3, v39, v75
	v_mul_f32_e32 v1, v38, v75
	s_waitcnt vmcnt(8)
	v_fma_f32 v3, v38, v76, -v3
	v_fmac_f32_e32 v1, v39, v76
	v_add_f32_e32 v2, v2, v3
	s_waitcnt vmcnt(7)
	v_mul_f32_e32 v3, v41, v77
	v_add_f32_e32 v1, v85, v1
	v_mul_f32_e32 v85, v40, v77
	s_waitcnt vmcnt(6)
	v_fma_f32 v3, v40, v78, -v3
	v_fmac_f32_e32 v85, v41, v78
	v_add_f32_e32 v2, v2, v3
	s_waitcnt vmcnt(5) lgkmcnt(0)
	v_mul_f32_e32 v3, v43, v79
	v_add_f32_e32 v1, v1, v85
	v_mul_f32_e32 v85, v42, v79
	s_waitcnt vmcnt(4)
	v_fma_f32 v3, v42, v80, -v3
	v_fmac_f32_e32 v85, v43, v80
	v_add_f32_e32 v2, v2, v3
	s_waitcnt vmcnt(3)
	v_mul_f32_e32 v3, v45, v81
	v_add_f32_e32 v1, v1, v85
	v_mul_f32_e32 v85, v44, v81
	s_waitcnt vmcnt(2)
	v_fma_f32 v3, v44, v82, -v3
	v_fmac_f32_e32 v85, v45, v82
	v_add_f32_e32 v2, v2, v3
	v_add_f32_e32 v1, v1, v85
	s_waitcnt vmcnt(1)
	v_sub_f32_e32 v2, v83, v2
	s_waitcnt vmcnt(0)
	v_sub_f32_e32 v1, v84, v1
	buffer_store_dword v2, off, s[0:3], 0 offset:336
	buffer_store_dword v1, off, s[0:3], 0 offset:340
	s_and_saveexec_b64 s[4:5], vcc
	s_cbranch_execz .LBB126_309
; %bb.308:
	buffer_load_dword v1, off, s[0:3], 0 offset:328
	buffer_load_dword v2, off, s[0:3], 0 offset:332
	v_mov_b32_e32 v3, 0
	buffer_store_dword v3, off, s[0:3], 0 offset:328
	buffer_store_dword v3, off, s[0:3], 0 offset:332
	s_waitcnt vmcnt(2)
	ds_write_b64 v25, v[1:2]
.LBB126_309:
	s_or_b64 exec, exec, s[4:5]
	s_waitcnt lgkmcnt(0)
	; wave barrier
	buffer_load_dword v24, off, s[0:3], 0 offset:340
	buffer_load_dword v46, off, s[0:3], 0 offset:348
	;; [unrolled: 1-line block ×44, first 2 shown]
	v_mov_b32_e32 v1, 0
	ds_read_b128 v[2:5], v1 offset:848
	ds_read_b128 v[6:9], v1 offset:864
	;; [unrolled: 1-line block ×8, first 2 shown]
	v_cmp_lt_u32_e32 vcc, 40, v0
	s_waitcnt vmcnt(43) lgkmcnt(7)
	v_mul_f32_e32 v22, v2, v24
	s_waitcnt vmcnt(42)
	v_mul_f32_e32 v23, v4, v46
	s_waitcnt vmcnt(41) lgkmcnt(6)
	v_mul_f32_e32 v38, v6, v47
	s_waitcnt vmcnt(40)
	v_mul_f32_e32 v39, v8, v48
	;; [unrolled: 4-line block ×7, first 2 shown]
	s_waitcnt vmcnt(29)
	v_fmac_f32_e32 v22, v3, v59
	v_mul_f32_e32 v3, v3, v24
	v_fma_f32 v2, v2, v59, -v3
	v_mul_f32_e32 v3, v5, v46
	v_add_f32_e32 v2, 0, v2
	s_waitcnt vmcnt(28)
	v_fma_f32 v3, v4, v60, -v3
	v_add_f32_e32 v2, v2, v3
	v_mul_f32_e32 v3, v7, v47
	s_waitcnt vmcnt(27)
	v_fma_f32 v3, v6, v61, -v3
	v_add_f32_e32 v2, v2, v3
	v_mul_f32_e32 v3, v9, v48
	;; [unrolled: 4-line block ×6, first 2 shown]
	v_fmac_f32_e32 v23, v5, v60
	v_add_f32_e32 v22, 0, v22
	s_waitcnt vmcnt(22)
	v_fma_f32 v3, v16, v66, -v3
	v_fmac_f32_e32 v38, v7, v61
	v_add_f32_e32 v22, v22, v23
	v_add_f32_e32 v2, v2, v3
	v_mul_f32_e32 v3, v19, v53
	v_fmac_f32_e32 v39, v9, v62
	v_add_f32_e32 v22, v22, v38
	s_waitcnt vmcnt(21)
	v_fma_f32 v3, v18, v67, -v3
	v_fmac_f32_e32 v40, v11, v63
	v_add_f32_e32 v22, v22, v39
	v_add_f32_e32 v2, v2, v3
	v_mul_f32_e32 v3, v21, v54
	;; [unrolled: 8-line block ×5, first 2 shown]
	v_fmac_f32_e32 v90, v29, v70
	v_add_f32_e32 v22, v22, v89
	s_waitcnt vmcnt(17)
	v_fma_f32 v3, v30, v71, -v3
	v_fmac_f32_e32 v91, v31, v71
	v_add_f32_e32 v22, v22, v90
	ds_read_b128 v[38:41], v1 offset:976
	ds_read_b128 v[42:45], v1 offset:992
	v_add_f32_e32 v2, v2, v3
	v_mul_f32_e32 v3, v33, v58
	v_add_f32_e32 v22, v22, v91
	s_waitcnt vmcnt(16)
	v_fmac_f32_e32 v92, v33, v72
	s_waitcnt vmcnt(15) lgkmcnt(2)
	v_mul_f32_e32 v23, v34, v73
	v_fma_f32 v3, v32, v72, -v3
	v_add_f32_e32 v22, v22, v92
	s_waitcnt vmcnt(14)
	v_fmac_f32_e32 v23, v35, v74
	v_add_f32_e32 v2, v2, v3
	v_mul_f32_e32 v3, v35, v73
	v_add_f32_e32 v22, v22, v23
	s_waitcnt vmcnt(13)
	v_mul_f32_e32 v23, v36, v75
	v_fma_f32 v3, v34, v74, -v3
	s_waitcnt vmcnt(12)
	v_fmac_f32_e32 v23, v37, v76
	v_add_f32_e32 v2, v2, v3
	v_mul_f32_e32 v3, v37, v75
	v_add_f32_e32 v22, v22, v23
	s_waitcnt vmcnt(11) lgkmcnt(1)
	v_mul_f32_e32 v23, v38, v77
	v_fma_f32 v3, v36, v76, -v3
	s_waitcnt vmcnt(10)
	v_fmac_f32_e32 v23, v39, v78
	v_add_f32_e32 v2, v2, v3
	v_mul_f32_e32 v3, v39, v77
	v_add_f32_e32 v22, v22, v23
	s_waitcnt vmcnt(9)
	v_mul_f32_e32 v23, v40, v79
	v_fma_f32 v3, v38, v78, -v3
	s_waitcnt vmcnt(8)
	v_fmac_f32_e32 v23, v41, v80
	v_add_f32_e32 v2, v2, v3
	v_mul_f32_e32 v3, v41, v79
	v_add_f32_e32 v89, v22, v23
	ds_read_b64 v[22:23], v1 offset:1008
	v_fma_f32 v3, v40, v80, -v3
	v_add_f32_e32 v2, v2, v3
	s_waitcnt vmcnt(7) lgkmcnt(1)
	v_mul_f32_e32 v3, v43, v81
	v_mul_f32_e32 v90, v42, v81
	s_waitcnt vmcnt(6)
	v_fma_f32 v3, v42, v82, -v3
	v_fmac_f32_e32 v90, v43, v82
	v_add_f32_e32 v2, v2, v3
	s_waitcnt vmcnt(5)
	v_mul_f32_e32 v3, v45, v83
	v_add_f32_e32 v89, v89, v90
	v_mul_f32_e32 v90, v44, v83
	s_waitcnt vmcnt(4)
	v_fma_f32 v3, v44, v84, -v3
	v_fmac_f32_e32 v90, v45, v84
	v_add_f32_e32 v2, v2, v3
	s_waitcnt vmcnt(3) lgkmcnt(0)
	v_mul_f32_e32 v3, v23, v85
	v_add_f32_e32 v89, v89, v90
	v_mul_f32_e32 v90, v22, v85
	s_waitcnt vmcnt(2)
	v_fma_f32 v3, v22, v86, -v3
	v_fmac_f32_e32 v90, v23, v86
	v_add_f32_e32 v2, v2, v3
	v_add_f32_e32 v89, v89, v90
	s_waitcnt vmcnt(1)
	v_sub_f32_e32 v2, v87, v2
	s_waitcnt vmcnt(0)
	v_sub_f32_e32 v3, v88, v89
	buffer_store_dword v2, off, s[0:3], 0 offset:328
	buffer_store_dword v3, off, s[0:3], 0 offset:332
	s_and_saveexec_b64 s[4:5], vcc
	s_cbranch_execz .LBB126_311
; %bb.310:
	buffer_load_dword v2, off, s[0:3], 0 offset:320
	buffer_load_dword v3, off, s[0:3], 0 offset:324
	s_waitcnt vmcnt(0)
	ds_write_b64 v25, v[2:3]
	buffer_store_dword v1, off, s[0:3], 0 offset:320
	buffer_store_dword v1, off, s[0:3], 0 offset:324
.LBB126_311:
	s_or_b64 exec, exec, s[4:5]
	s_waitcnt lgkmcnt(0)
	; wave barrier
	buffer_load_dword v22, off, s[0:3], 0 offset:332
	buffer_load_dword v23, off, s[0:3], 0 offset:340
	;; [unrolled: 1-line block ×46, first 2 shown]
	ds_read2_b64 v[2:5], v1 offset0:105 offset1:106
	ds_read2_b64 v[6:9], v1 offset0:107 offset1:108
	;; [unrolled: 1-line block ×8, first 2 shown]
	v_cmp_lt_u32_e32 vcc, 39, v0
	s_waitcnt vmcnt(45) lgkmcnt(7)
	v_mul_f32_e32 v38, v2, v22
	s_waitcnt vmcnt(44)
	v_mul_f32_e32 v39, v4, v23
	s_waitcnt vmcnt(43) lgkmcnt(6)
	v_mul_f32_e32 v40, v6, v24
	s_waitcnt vmcnt(42)
	v_mul_f32_e32 v41, v8, v50
	;; [unrolled: 4-line block ×6, first 2 shown]
	s_waitcnt vmcnt(33) lgkmcnt(1)
	v_mul_f32_e32 v93, v30, v59
	s_waitcnt vmcnt(32)
	v_fmac_f32_e32 v38, v3, v60
	v_mul_f32_e32 v3, v3, v22
	v_fma_f32 v2, v2, v60, -v3
	v_mul_f32_e32 v3, v5, v23
	v_add_f32_e32 v2, 0, v2
	s_waitcnt vmcnt(31)
	v_fma_f32 v3, v4, v61, -v3
	v_add_f32_e32 v2, v2, v3
	v_mul_f32_e32 v3, v7, v24
	s_waitcnt vmcnt(30)
	v_fma_f32 v3, v6, v62, -v3
	v_add_f32_e32 v2, v2, v3
	v_mul_f32_e32 v3, v9, v50
	;; [unrolled: 4-line block ×4, first 2 shown]
	v_fmac_f32_e32 v39, v5, v61
	v_add_f32_e32 v38, 0, v38
	s_waitcnt vmcnt(27)
	v_fma_f32 v3, v12, v65, -v3
	v_fmac_f32_e32 v40, v7, v62
	v_add_f32_e32 v38, v38, v39
	v_add_f32_e32 v2, v2, v3
	v_mul_f32_e32 v3, v15, v53
	v_fmac_f32_e32 v41, v9, v63
	v_add_f32_e32 v38, v38, v40
	s_waitcnt vmcnt(26)
	v_fma_f32 v3, v14, v66, -v3
	v_fmac_f32_e32 v42, v11, v64
	v_add_f32_e32 v38, v38, v41
	v_add_f32_e32 v2, v2, v3
	v_mul_f32_e32 v3, v17, v54
	;; [unrolled: 8-line block ×4, first 2 shown]
	s_waitcnt vmcnt(23)
	v_fmac_f32_e32 v47, v21, v69
	v_add_f32_e32 v38, v38, v46
	v_fma_f32 v3, v20, v69, -v3
	s_waitcnt vmcnt(22)
	v_fmac_f32_e32 v48, v27, v70
	v_add_f32_e32 v38, v38, v47
	v_add_f32_e32 v2, v2, v3
	v_mul_f32_e32 v3, v27, v57
	s_waitcnt vmcnt(21)
	v_fmac_f32_e32 v49, v29, v71
	v_add_f32_e32 v38, v38, v48
	v_fma_f32 v3, v26, v70, -v3
	s_waitcnt vmcnt(20)
	v_fmac_f32_e32 v93, v31, v72
	v_add_f32_e32 v38, v38, v49
	s_waitcnt vmcnt(19)
	v_mul_f32_e32 v39, v32, v73
	v_add_f32_e32 v2, v2, v3
	v_mul_f32_e32 v3, v29, v58
	v_add_f32_e32 v38, v38, v93
	s_waitcnt vmcnt(18)
	v_fmac_f32_e32 v39, v33, v74
	v_fma_f32 v3, v28, v71, -v3
	v_add_f32_e32 v38, v38, v39
	s_waitcnt vmcnt(17) lgkmcnt(0)
	v_mul_f32_e32 v39, v34, v75
	v_add_f32_e32 v2, v2, v3
	v_mul_f32_e32 v3, v31, v59
	s_waitcnt vmcnt(16)
	v_fmac_f32_e32 v39, v35, v76
	v_fma_f32 v3, v30, v72, -v3
	v_add_f32_e32 v42, v38, v39
	ds_read2_b64 v[38:41], v1 offset0:121 offset1:122
	v_add_f32_e32 v2, v2, v3
	v_mul_f32_e32 v3, v33, v73
	v_fma_f32 v3, v32, v74, -v3
	v_add_f32_e32 v2, v2, v3
	v_mul_f32_e32 v3, v35, v75
	s_waitcnt vmcnt(15)
	v_mul_f32_e32 v43, v36, v77
	v_fma_f32 v3, v34, v76, -v3
	s_waitcnt vmcnt(14)
	v_fmac_f32_e32 v43, v37, v78
	v_add_f32_e32 v2, v2, v3
	v_mul_f32_e32 v3, v37, v77
	v_add_f32_e32 v46, v42, v43
	ds_read2_b64 v[42:45], v1 offset0:123 offset1:124
	s_waitcnt vmcnt(13) lgkmcnt(1)
	v_mul_f32_e32 v47, v38, v79
	v_fma_f32 v3, v36, v78, -v3
	s_waitcnt vmcnt(12)
	v_fmac_f32_e32 v47, v39, v80
	v_add_f32_e32 v2, v2, v3
	v_mul_f32_e32 v3, v39, v79
	v_add_f32_e32 v46, v46, v47
	s_waitcnt vmcnt(11)
	v_mul_f32_e32 v47, v40, v81
	v_fma_f32 v3, v38, v80, -v3
	s_waitcnt vmcnt(10)
	v_fmac_f32_e32 v47, v41, v82
	v_add_f32_e32 v2, v2, v3
	v_mul_f32_e32 v3, v41, v81
	v_add_f32_e32 v93, v46, v47
	ds_read2_b64 v[46:49], v1 offset0:125 offset1:126
	v_fma_f32 v3, v40, v82, -v3
	v_add_f32_e32 v2, v2, v3
	s_waitcnt vmcnt(9) lgkmcnt(1)
	v_mul_f32_e32 v3, v43, v83
	v_mul_f32_e32 v94, v42, v83
	s_waitcnt vmcnt(8)
	v_fma_f32 v3, v42, v84, -v3
	v_fmac_f32_e32 v94, v43, v84
	v_add_f32_e32 v2, v2, v3
	s_waitcnt vmcnt(7)
	v_mul_f32_e32 v3, v45, v85
	v_add_f32_e32 v1, v93, v94
	v_mul_f32_e32 v93, v44, v85
	s_waitcnt vmcnt(6)
	v_fma_f32 v3, v44, v86, -v3
	v_fmac_f32_e32 v93, v45, v86
	v_add_f32_e32 v2, v2, v3
	s_waitcnt vmcnt(5) lgkmcnt(0)
	v_mul_f32_e32 v3, v47, v87
	v_add_f32_e32 v1, v1, v93
	v_mul_f32_e32 v93, v46, v87
	s_waitcnt vmcnt(4)
	v_fma_f32 v3, v46, v88, -v3
	v_fmac_f32_e32 v93, v47, v88
	v_add_f32_e32 v2, v2, v3
	s_waitcnt vmcnt(3)
	v_mul_f32_e32 v3, v49, v89
	v_add_f32_e32 v1, v1, v93
	v_mul_f32_e32 v93, v48, v89
	s_waitcnt vmcnt(2)
	v_fma_f32 v3, v48, v90, -v3
	v_fmac_f32_e32 v93, v49, v90
	v_add_f32_e32 v2, v2, v3
	v_add_f32_e32 v1, v1, v93
	s_waitcnt vmcnt(1)
	v_sub_f32_e32 v2, v91, v2
	s_waitcnt vmcnt(0)
	v_sub_f32_e32 v1, v92, v1
	buffer_store_dword v2, off, s[0:3], 0 offset:320
	buffer_store_dword v1, off, s[0:3], 0 offset:324
	s_and_saveexec_b64 s[4:5], vcc
	s_cbranch_execz .LBB126_313
; %bb.312:
	buffer_load_dword v1, off, s[0:3], 0 offset:312
	buffer_load_dword v2, off, s[0:3], 0 offset:316
	v_mov_b32_e32 v3, 0
	buffer_store_dword v3, off, s[0:3], 0 offset:312
	buffer_store_dword v3, off, s[0:3], 0 offset:316
	s_waitcnt vmcnt(2)
	ds_write_b64 v25, v[1:2]
.LBB126_313:
	s_or_b64 exec, exec, s[4:5]
	s_waitcnt lgkmcnt(0)
	; wave barrier
	buffer_load_dword v24, off, s[0:3], 0 offset:324
	buffer_load_dword v50, off, s[0:3], 0 offset:332
	;; [unrolled: 1-line block ×48, first 2 shown]
	v_mov_b32_e32 v1, 0
	ds_read_b128 v[2:5], v1 offset:832
	ds_read_b128 v[6:9], v1 offset:848
	;; [unrolled: 1-line block ×7, first 2 shown]
	v_cmp_lt_u32_e32 vcc, 38, v0
	ds_read_b128 v[46:49], v1 offset:992
	s_waitcnt vmcnt(47) lgkmcnt(7)
	v_mul_f32_e32 v22, v2, v24
	s_waitcnt vmcnt(46)
	v_mul_f32_e32 v23, v4, v50
	s_waitcnt vmcnt(45) lgkmcnt(6)
	v_mul_f32_e32 v34, v6, v51
	s_waitcnt vmcnt(44)
	v_mul_f32_e32 v35, v8, v52
	s_waitcnt vmcnt(43) lgkmcnt(5)
	v_mul_f32_e32 v36, v10, v53
	s_waitcnt vmcnt(42)
	v_mul_f32_e32 v37, v12, v54
	s_waitcnt vmcnt(41) lgkmcnt(4)
	v_mul_f32_e32 v38, v14, v55
	s_waitcnt vmcnt(40)
	v_mul_f32_e32 v39, v16, v56
	s_waitcnt vmcnt(39) lgkmcnt(3)
	v_mul_f32_e32 v40, v18, v57
	s_waitcnt vmcnt(38)
	v_mul_f32_e32 v41, v20, v58
	s_waitcnt vmcnt(37) lgkmcnt(2)
	v_mul_f32_e32 v42, v26, v59
	s_waitcnt vmcnt(36)
	v_mul_f32_e32 v43, v28, v60
	s_waitcnt vmcnt(35)
	v_fmac_f32_e32 v22, v3, v61
	v_mul_f32_e32 v3, v3, v24
	v_fma_f32 v2, v2, v61, -v3
	v_mul_f32_e32 v3, v5, v50
	v_add_f32_e32 v2, 0, v2
	s_waitcnt vmcnt(34)
	v_fma_f32 v3, v4, v62, -v3
	v_add_f32_e32 v2, v2, v3
	v_mul_f32_e32 v3, v7, v51
	s_waitcnt vmcnt(33)
	v_fma_f32 v3, v6, v63, -v3
	v_add_f32_e32 v2, v2, v3
	v_mul_f32_e32 v3, v9, v52
	;; [unrolled: 4-line block ×5, first 2 shown]
	v_fmac_f32_e32 v23, v5, v62
	v_add_f32_e32 v22, 0, v22
	s_waitcnt vmcnt(29)
	v_fma_f32 v3, v14, v67, -v3
	v_fmac_f32_e32 v34, v7, v63
	v_add_f32_e32 v22, v22, v23
	v_add_f32_e32 v2, v2, v3
	v_mul_f32_e32 v3, v17, v56
	v_fmac_f32_e32 v35, v9, v64
	v_add_f32_e32 v22, v22, v34
	s_waitcnt vmcnt(28)
	v_fma_f32 v3, v16, v68, -v3
	v_fmac_f32_e32 v36, v11, v65
	v_add_f32_e32 v22, v22, v35
	v_add_f32_e32 v2, v2, v3
	v_mul_f32_e32 v3, v19, v57
	;; [unrolled: 8-line block ×4, first 2 shown]
	v_fmac_f32_e32 v41, v21, v70
	v_add_f32_e32 v22, v22, v40
	s_waitcnt vmcnt(25)
	v_fma_f32 v3, v26, v71, -v3
	v_fmac_f32_e32 v42, v27, v71
	v_add_f32_e32 v22, v22, v41
	ds_read_b128 v[34:37], v1 offset:944
	ds_read_b128 v[38:41], v1 offset:960
	v_add_f32_e32 v2, v2, v3
	v_mul_f32_e32 v3, v29, v60
	s_waitcnt vmcnt(24)
	v_fmac_f32_e32 v43, v29, v72
	v_add_f32_e32 v22, v22, v42
	s_waitcnt vmcnt(23) lgkmcnt(3)
	v_mul_f32_e32 v23, v30, v73
	v_fma_f32 v3, v28, v72, -v3
	v_add_f32_e32 v22, v22, v43
	s_waitcnt vmcnt(22)
	v_fmac_f32_e32 v23, v31, v74
	v_add_f32_e32 v2, v2, v3
	v_mul_f32_e32 v3, v31, v73
	v_add_f32_e32 v22, v22, v23
	s_waitcnt vmcnt(21)
	v_mul_f32_e32 v23, v32, v75
	v_fma_f32 v3, v30, v74, -v3
	s_waitcnt vmcnt(20)
	v_fmac_f32_e32 v23, v33, v76
	v_add_f32_e32 v2, v2, v3
	v_mul_f32_e32 v3, v33, v75
	v_add_f32_e32 v22, v22, v23
	s_waitcnt vmcnt(19) lgkmcnt(1)
	v_mul_f32_e32 v23, v34, v77
	v_fma_f32 v3, v32, v76, -v3
	s_waitcnt vmcnt(18)
	v_fmac_f32_e32 v23, v35, v78
	v_add_f32_e32 v2, v2, v3
	v_mul_f32_e32 v3, v35, v77
	v_add_f32_e32 v22, v22, v23
	s_waitcnt vmcnt(17)
	v_mul_f32_e32 v23, v36, v79
	v_fma_f32 v3, v34, v78, -v3
	s_waitcnt vmcnt(16)
	v_fmac_f32_e32 v23, v37, v80
	ds_read_b128 v[42:45], v1 offset:976
	v_add_f32_e32 v2, v2, v3
	v_mul_f32_e32 v3, v37, v79
	v_add_f32_e32 v22, v22, v23
	s_waitcnt vmcnt(15) lgkmcnt(1)
	v_mul_f32_e32 v23, v38, v81
	v_fma_f32 v3, v36, v80, -v3
	s_waitcnt vmcnt(14)
	v_fmac_f32_e32 v23, v39, v82
	v_add_f32_e32 v2, v2, v3
	v_mul_f32_e32 v3, v39, v81
	v_add_f32_e32 v22, v22, v23
	s_waitcnt vmcnt(13)
	v_mul_f32_e32 v23, v40, v83
	v_fma_f32 v3, v38, v82, -v3
	s_waitcnt vmcnt(12)
	v_fmac_f32_e32 v23, v41, v84
	v_add_f32_e32 v2, v2, v3
	v_mul_f32_e32 v3, v41, v83
	v_add_f32_e32 v22, v22, v23
	s_waitcnt vmcnt(11) lgkmcnt(0)
	v_mul_f32_e32 v23, v42, v85
	v_fma_f32 v3, v40, v84, -v3
	s_waitcnt vmcnt(10)
	v_fmac_f32_e32 v23, v43, v86
	v_add_f32_e32 v2, v2, v3
	v_mul_f32_e32 v3, v43, v85
	v_add_f32_e32 v22, v22, v23
	s_waitcnt vmcnt(9)
	v_mul_f32_e32 v23, v44, v87
	v_fma_f32 v3, v42, v86, -v3
	s_waitcnt vmcnt(8)
	v_fmac_f32_e32 v23, v45, v88
	v_add_f32_e32 v2, v2, v3
	v_mul_f32_e32 v3, v45, v87
	v_add_f32_e32 v97, v22, v23
	ds_read_b64 v[22:23], v1 offset:1008
	v_fma_f32 v3, v44, v88, -v3
	v_add_f32_e32 v2, v2, v3
	s_waitcnt vmcnt(6)
	v_mul_f32_e32 v3, v47, v90
	v_mul_f32_e32 v98, v46, v90
	v_fma_f32 v3, v46, v89, -v3
	v_fmac_f32_e32 v98, v47, v89
	v_add_f32_e32 v2, v2, v3
	s_waitcnt vmcnt(3)
	v_mul_f32_e32 v3, v49, v93
	v_add_f32_e32 v97, v97, v98
	v_mul_f32_e32 v98, v48, v93
	s_waitcnt vmcnt(2)
	v_fma_f32 v3, v48, v94, -v3
	v_fmac_f32_e32 v98, v49, v94
	v_add_f32_e32 v2, v2, v3
	s_waitcnt vmcnt(0) lgkmcnt(0)
	v_mul_f32_e32 v3, v23, v96
	v_add_f32_e32 v97, v97, v98
	v_mul_f32_e32 v98, v22, v96
	v_fma_f32 v3, v22, v95, -v3
	v_fmac_f32_e32 v98, v23, v95
	v_add_f32_e32 v2, v2, v3
	v_add_f32_e32 v97, v97, v98
	v_sub_f32_e32 v2, v91, v2
	v_sub_f32_e32 v3, v92, v97
	buffer_store_dword v2, off, s[0:3], 0 offset:312
	buffer_store_dword v3, off, s[0:3], 0 offset:316
	s_and_saveexec_b64 s[4:5], vcc
	s_cbranch_execz .LBB126_315
; %bb.314:
	buffer_load_dword v2, off, s[0:3], 0 offset:304
	buffer_load_dword v3, off, s[0:3], 0 offset:308
	s_waitcnt vmcnt(0)
	ds_write_b64 v25, v[2:3]
	buffer_store_dword v1, off, s[0:3], 0 offset:304
	buffer_store_dword v1, off, s[0:3], 0 offset:308
.LBB126_315:
	s_or_b64 exec, exec, s[4:5]
	s_waitcnt lgkmcnt(0)
	; wave barrier
	buffer_load_dword v22, off, s[0:3], 0 offset:316
	buffer_load_dword v23, off, s[0:3], 0 offset:324
	;; [unrolled: 1-line block ×48, first 2 shown]
	ds_read2_b64 v[2:5], v1 offset0:103 offset1:104
	ds_read2_b64 v[6:9], v1 offset0:105 offset1:106
	buffer_load_dword v99, off, s[0:3], 0 offset:496
	buffer_load_dword v100, off, s[0:3], 0 offset:500
	ds_read2_b64 v[10:13], v1 offset0:107 offset1:108
	ds_read2_b64 v[14:17], v1 offset0:109 offset1:110
	;; [unrolled: 1-line block ×5, first 2 shown]
	v_cmp_lt_u32_e32 vcc, 37, v0
	s_waitcnt vmcnt(49) lgkmcnt(6)
	v_mul_f32_e32 v34, v2, v22
	s_waitcnt vmcnt(48)
	v_mul_f32_e32 v35, v4, v23
	s_waitcnt vmcnt(47) lgkmcnt(5)
	v_mul_f32_e32 v36, v6, v24
	s_waitcnt vmcnt(46)
	v_mul_f32_e32 v37, v8, v54
	;; [unrolled: 4-line block ×6, first 2 shown]
	s_waitcnt vmcnt(37)
	v_fmac_f32_e32 v34, v3, v63
	v_mul_f32_e32 v3, v3, v22
	v_fma_f32 v2, v2, v63, -v3
	v_mul_f32_e32 v3, v5, v23
	v_add_f32_e32 v2, 0, v2
	s_waitcnt vmcnt(36)
	v_fma_f32 v3, v4, v64, -v3
	v_add_f32_e32 v2, v2, v3
	v_mul_f32_e32 v3, v7, v24
	s_waitcnt vmcnt(35)
	v_fma_f32 v3, v6, v65, -v3
	v_fmac_f32_e32 v35, v5, v64
	v_add_f32_e32 v34, 0, v34
	v_add_f32_e32 v2, v2, v3
	v_mul_f32_e32 v3, v9, v54
	v_fmac_f32_e32 v36, v7, v65
	v_add_f32_e32 v34, v34, v35
	s_waitcnt vmcnt(34)
	v_fma_f32 v3, v8, v66, -v3
	v_fmac_f32_e32 v37, v9, v66
	v_add_f32_e32 v34, v34, v36
	v_add_f32_e32 v2, v2, v3
	v_mul_f32_e32 v3, v11, v55
	s_waitcnt vmcnt(33)
	v_fmac_f32_e32 v38, v11, v67
	v_add_f32_e32 v34, v34, v37
	v_fma_f32 v3, v10, v67, -v3
	s_waitcnt vmcnt(32)
	v_fmac_f32_e32 v39, v13, v68
	v_add_f32_e32 v34, v34, v38
	v_add_f32_e32 v2, v2, v3
	v_mul_f32_e32 v3, v13, v56
	s_waitcnt vmcnt(31)
	v_fmac_f32_e32 v40, v15, v69
	v_add_f32_e32 v34, v34, v39
	v_fma_f32 v3, v12, v68, -v3
	s_waitcnt vmcnt(30)
	;; [unrolled: 9-line block ×3, first 2 shown]
	v_fmac_f32_e32 v43, v21, v72
	v_add_f32_e32 v34, v34, v42
	v_add_f32_e32 v2, v2, v3
	v_mul_f32_e32 v3, v17, v58
	s_waitcnt vmcnt(27)
	v_fmac_f32_e32 v44, v27, v73
	v_add_f32_e32 v34, v34, v43
	v_fma_f32 v3, v16, v70, -v3
	v_add_f32_e32 v34, v34, v44
	s_waitcnt vmcnt(26)
	v_fmac_f32_e32 v45, v29, v74
	v_add_f32_e32 v2, v2, v3
	v_mul_f32_e32 v3, v19, v59
	v_add_f32_e32 v38, v34, v45
	ds_read2_b64 v[34:37], v1 offset0:117 offset1:118
	v_fma_f32 v3, v18, v71, -v3
	s_waitcnt vmcnt(25) lgkmcnt(1)
	v_mul_f32_e32 v39, v30, v75
	v_add_f32_e32 v2, v2, v3
	v_mul_f32_e32 v3, v21, v60
	s_waitcnt vmcnt(24)
	v_fmac_f32_e32 v39, v31, v76
	v_fma_f32 v3, v20, v72, -v3
	v_add_f32_e32 v38, v38, v39
	s_waitcnt vmcnt(23)
	v_mul_f32_e32 v39, v32, v77
	v_add_f32_e32 v2, v2, v3
	v_mul_f32_e32 v3, v27, v61
	s_waitcnt vmcnt(22)
	v_fmac_f32_e32 v39, v33, v78
	v_fma_f32 v3, v26, v73, -v3
	v_add_f32_e32 v38, v38, v39
	s_waitcnt vmcnt(21) lgkmcnt(0)
	v_mul_f32_e32 v39, v34, v79
	v_add_f32_e32 v2, v2, v3
	v_mul_f32_e32 v3, v29, v62
	s_waitcnt vmcnt(20)
	v_fmac_f32_e32 v39, v35, v80
	v_fma_f32 v3, v28, v74, -v3
	v_add_f32_e32 v42, v38, v39
	ds_read2_b64 v[38:41], v1 offset0:119 offset1:120
	v_add_f32_e32 v2, v2, v3
	v_mul_f32_e32 v3, v31, v75
	v_fma_f32 v3, v30, v76, -v3
	s_waitcnt vmcnt(19)
	v_mul_f32_e32 v43, v36, v81
	v_add_f32_e32 v2, v2, v3
	v_mul_f32_e32 v3, v33, v77
	s_waitcnt vmcnt(18)
	v_fmac_f32_e32 v43, v37, v82
	v_fma_f32 v3, v32, v78, -v3
	v_add_f32_e32 v46, v42, v43
	ds_read2_b64 v[42:45], v1 offset0:121 offset1:122
	v_add_f32_e32 v2, v2, v3
	v_mul_f32_e32 v3, v35, v79
	s_waitcnt vmcnt(17) lgkmcnt(1)
	v_mul_f32_e32 v47, v38, v83
	v_fma_f32 v3, v34, v80, -v3
	s_waitcnt vmcnt(16)
	v_fmac_f32_e32 v47, v39, v84
	v_add_f32_e32 v2, v2, v3
	v_mul_f32_e32 v3, v37, v81
	v_add_f32_e32 v46, v46, v47
	s_waitcnt vmcnt(15)
	v_mul_f32_e32 v47, v40, v85
	v_fma_f32 v3, v36, v82, -v3
	s_waitcnt vmcnt(14)
	v_fmac_f32_e32 v47, v41, v86
	v_add_f32_e32 v2, v2, v3
	v_mul_f32_e32 v3, v39, v83
	v_add_f32_e32 v46, v46, v47
	s_waitcnt vmcnt(13) lgkmcnt(0)
	v_mul_f32_e32 v47, v42, v87
	v_fma_f32 v3, v38, v84, -v3
	s_waitcnt vmcnt(12)
	v_fmac_f32_e32 v47, v43, v88
	v_add_f32_e32 v2, v2, v3
	v_mul_f32_e32 v3, v41, v85
	v_add_f32_e32 v50, v46, v47
	ds_read2_b64 v[46:49], v1 offset0:123 offset1:124
	v_fma_f32 v3, v40, v86, -v3
	v_add_f32_e32 v2, v2, v3
	v_mul_f32_e32 v3, v43, v87
	s_waitcnt vmcnt(11)
	v_mul_f32_e32 v51, v44, v89
	v_fma_f32 v3, v42, v88, -v3
	s_waitcnt vmcnt(10)
	v_fmac_f32_e32 v51, v45, v90
	v_add_f32_e32 v2, v2, v3
	v_mul_f32_e32 v3, v45, v89
	v_add_f32_e32 v101, v50, v51
	ds_read2_b64 v[50:53], v1 offset0:125 offset1:126
	v_fma_f32 v3, v44, v90, -v3
	v_add_f32_e32 v2, v2, v3
	s_waitcnt vmcnt(7) lgkmcnt(1)
	v_mul_f32_e32 v3, v47, v93
	v_mul_f32_e32 v1, v46, v93
	s_waitcnt vmcnt(6)
	v_fma_f32 v3, v46, v94, -v3
	v_fmac_f32_e32 v1, v47, v94
	v_add_f32_e32 v2, v2, v3
	s_waitcnt vmcnt(4)
	v_mul_f32_e32 v3, v49, v96
	v_add_f32_e32 v1, v101, v1
	v_mul_f32_e32 v101, v48, v96
	v_fma_f32 v3, v48, v95, -v3
	v_fmac_f32_e32 v101, v49, v95
	v_add_f32_e32 v2, v2, v3
	s_waitcnt vmcnt(2) lgkmcnt(0)
	v_mul_f32_e32 v3, v51, v98
	v_add_f32_e32 v1, v1, v101
	v_mul_f32_e32 v101, v50, v98
	v_fma_f32 v3, v50, v97, -v3
	v_fmac_f32_e32 v101, v51, v97
	v_add_f32_e32 v2, v2, v3
	s_waitcnt vmcnt(0)
	v_mul_f32_e32 v3, v53, v100
	v_add_f32_e32 v1, v1, v101
	v_mul_f32_e32 v101, v52, v100
	v_fma_f32 v3, v52, v99, -v3
	v_fmac_f32_e32 v101, v53, v99
	v_add_f32_e32 v2, v2, v3
	v_add_f32_e32 v1, v1, v101
	v_sub_f32_e32 v2, v91, v2
	v_sub_f32_e32 v1, v92, v1
	buffer_store_dword v2, off, s[0:3], 0 offset:304
	buffer_store_dword v1, off, s[0:3], 0 offset:308
	s_and_saveexec_b64 s[4:5], vcc
	s_cbranch_execz .LBB126_317
; %bb.316:
	buffer_load_dword v1, off, s[0:3], 0 offset:296
	buffer_load_dword v2, off, s[0:3], 0 offset:300
	v_mov_b32_e32 v3, 0
	buffer_store_dword v3, off, s[0:3], 0 offset:296
	buffer_store_dword v3, off, s[0:3], 0 offset:300
	s_waitcnt vmcnt(2)
	ds_write_b64 v25, v[1:2]
.LBB126_317:
	s_or_b64 exec, exec, s[4:5]
	s_waitcnt lgkmcnt(0)
	; wave barrier
	buffer_load_dword v24, off, s[0:3], 0 offset:308
	buffer_load_dword v54, off, s[0:3], 0 offset:316
	;; [unrolled: 1-line block ×52, first 2 shown]
	v_mov_b32_e32 v1, 0
	ds_read_b128 v[2:5], v1 offset:816
	ds_read_b128 v[6:9], v1 offset:832
	;; [unrolled: 1-line block ×8, first 2 shown]
	v_cmp_lt_u32_e32 vcc, 36, v0
	ds_read_b128 v[42:45], v1 offset:960
	s_waitcnt vmcnt(51) lgkmcnt(8)
	v_mul_f32_e32 v22, v2, v24
	s_waitcnt vmcnt(50)
	v_mul_f32_e32 v23, v4, v54
	s_waitcnt vmcnt(49) lgkmcnt(7)
	v_mul_f32_e32 v30, v6, v55
	s_waitcnt vmcnt(48)
	v_mul_f32_e32 v31, v8, v56
	;; [unrolled: 4-line block ×5, first 2 shown]
	s_waitcnt vmcnt(41) lgkmcnt(3)
	v_mul_f32_e32 v38, v26, v63
	s_waitcnt vmcnt(40)
	v_fmac_f32_e32 v22, v3, v64
	v_mul_f32_e32 v3, v3, v24
	v_fma_f32 v2, v2, v64, -v3
	v_mul_f32_e32 v3, v5, v54
	v_add_f32_e32 v2, 0, v2
	s_waitcnt vmcnt(39)
	v_fma_f32 v3, v4, v65, -v3
	v_add_f32_e32 v2, v2, v3
	v_mul_f32_e32 v3, v7, v55
	s_waitcnt vmcnt(38)
	v_fma_f32 v3, v6, v66, -v3
	v_add_f32_e32 v2, v2, v3
	v_mul_f32_e32 v3, v9, v56
	;; [unrolled: 4-line block ×4, first 2 shown]
	s_waitcnt vmcnt(35)
	v_fma_f32 v3, v12, v69, -v3
	v_fmac_f32_e32 v23, v5, v65
	v_add_f32_e32 v22, 0, v22
	v_add_f32_e32 v2, v2, v3
	v_mul_f32_e32 v3, v15, v59
	v_fmac_f32_e32 v30, v7, v66
	v_add_f32_e32 v22, v22, v23
	s_waitcnt vmcnt(34)
	v_fma_f32 v3, v14, v70, -v3
	v_fmac_f32_e32 v31, v9, v67
	v_add_f32_e32 v22, v22, v30
	v_add_f32_e32 v2, v2, v3
	v_mul_f32_e32 v3, v17, v60
	v_fmac_f32_e32 v32, v11, v68
	v_add_f32_e32 v22, v22, v31
	s_waitcnt vmcnt(33)
	v_fma_f32 v3, v16, v71, -v3
	v_fmac_f32_e32 v33, v13, v69
	v_add_f32_e32 v22, v22, v32
	v_add_f32_e32 v2, v2, v3
	v_mul_f32_e32 v3, v19, v61
	v_fmac_f32_e32 v34, v15, v70
	v_add_f32_e32 v22, v22, v33
	s_waitcnt vmcnt(32)
	v_fma_f32 v3, v18, v72, -v3
	v_fmac_f32_e32 v35, v17, v71
	v_add_f32_e32 v22, v22, v34
	ds_read_b128 v[30:33], v1 offset:912
	v_add_f32_e32 v2, v2, v3
	v_mul_f32_e32 v3, v21, v62
	v_fmac_f32_e32 v36, v19, v72
	v_add_f32_e32 v22, v22, v35
	s_waitcnt vmcnt(31)
	v_fma_f32 v3, v20, v73, -v3
	v_fmac_f32_e32 v37, v21, v73
	v_add_f32_e32 v22, v22, v36
	v_add_f32_e32 v2, v2, v3
	v_mul_f32_e32 v3, v27, v63
	v_add_f32_e32 v22, v22, v37
	s_waitcnt vmcnt(30)
	v_fmac_f32_e32 v38, v27, v74
	s_waitcnt vmcnt(29)
	v_mul_f32_e32 v23, v28, v75
	v_fma_f32 v3, v26, v74, -v3
	v_add_f32_e32 v22, v22, v38
	s_waitcnt vmcnt(28)
	v_fmac_f32_e32 v23, v29, v76
	ds_read_b128 v[34:37], v1 offset:928
	v_add_f32_e32 v2, v2, v3
	v_mul_f32_e32 v3, v29, v75
	v_add_f32_e32 v22, v22, v23
	s_waitcnt vmcnt(27) lgkmcnt(1)
	v_mul_f32_e32 v23, v30, v77
	v_fma_f32 v3, v28, v76, -v3
	s_waitcnt vmcnt(26)
	v_fmac_f32_e32 v23, v31, v78
	v_add_f32_e32 v2, v2, v3
	v_mul_f32_e32 v3, v31, v77
	v_add_f32_e32 v22, v22, v23
	s_waitcnt vmcnt(25)
	v_mul_f32_e32 v23, v32, v79
	v_fma_f32 v3, v30, v78, -v3
	s_waitcnt vmcnt(24)
	v_fmac_f32_e32 v23, v33, v80
	ds_read_b128 v[38:41], v1 offset:944
	v_add_f32_e32 v2, v2, v3
	v_mul_f32_e32 v3, v33, v79
	v_add_f32_e32 v22, v22, v23
	s_waitcnt vmcnt(23) lgkmcnt(1)
	v_mul_f32_e32 v23, v34, v81
	v_fma_f32 v3, v32, v80, -v3
	s_waitcnt vmcnt(22)
	v_fmac_f32_e32 v23, v35, v82
	v_add_f32_e32 v2, v2, v3
	v_mul_f32_e32 v3, v35, v81
	v_add_f32_e32 v22, v22, v23
	s_waitcnt vmcnt(21)
	v_mul_f32_e32 v23, v36, v83
	v_fma_f32 v3, v34, v82, -v3
	s_waitcnt vmcnt(20)
	v_fmac_f32_e32 v23, v37, v84
	v_add_f32_e32 v2, v2, v3
	v_mul_f32_e32 v3, v37, v83
	v_add_f32_e32 v22, v22, v23
	s_waitcnt vmcnt(19) lgkmcnt(0)
	v_mul_f32_e32 v23, v38, v85
	v_fma_f32 v3, v36, v84, -v3
	s_waitcnt vmcnt(18)
	v_fmac_f32_e32 v23, v39, v86
	v_add_f32_e32 v2, v2, v3
	v_mul_f32_e32 v3, v39, v85
	v_add_f32_e32 v22, v22, v23
	s_waitcnt vmcnt(17)
	v_mul_f32_e32 v23, v40, v87
	v_fma_f32 v3, v38, v86, -v3
	s_waitcnt vmcnt(16)
	v_fmac_f32_e32 v23, v41, v88
	v_add_f32_e32 v2, v2, v3
	v_mul_f32_e32 v3, v41, v87
	v_add_f32_e32 v22, v22, v23
	s_waitcnt vmcnt(14)
	v_mul_f32_e32 v23, v42, v90
	v_fma_f32 v3, v40, v88, -v3
	v_fmac_f32_e32 v23, v43, v89
	v_add_f32_e32 v2, v2, v3
	v_mul_f32_e32 v3, v43, v90
	v_add_f32_e32 v22, v22, v23
	s_waitcnt vmcnt(11)
	v_mul_f32_e32 v23, v44, v93
	v_fma_f32 v3, v42, v89, -v3
	s_waitcnt vmcnt(10)
	v_fmac_f32_e32 v23, v45, v94
	v_add_f32_e32 v2, v2, v3
	v_mul_f32_e32 v3, v45, v93
	v_add_f32_e32 v22, v22, v23
	s_waitcnt vmcnt(8)
	v_mul_f32_e32 v23, v46, v96
	v_fma_f32 v3, v44, v94, -v3
	v_fmac_f32_e32 v23, v47, v95
	v_add_f32_e32 v2, v2, v3
	v_mul_f32_e32 v3, v47, v96
	v_add_f32_e32 v22, v22, v23
	s_waitcnt vmcnt(6)
	v_mul_f32_e32 v23, v48, v98
	v_fma_f32 v3, v46, v95, -v3
	v_fmac_f32_e32 v23, v49, v97
	v_add_f32_e32 v2, v2, v3
	v_mul_f32_e32 v3, v49, v98
	v_add_f32_e32 v105, v22, v23
	ds_read_b64 v[22:23], v1 offset:1008
	v_fma_f32 v3, v48, v97, -v3
	v_add_f32_e32 v2, v2, v3
	s_waitcnt vmcnt(4)
	v_mul_f32_e32 v3, v51, v100
	v_mul_f32_e32 v106, v50, v100
	v_fma_f32 v3, v50, v99, -v3
	v_fmac_f32_e32 v106, v51, v99
	v_add_f32_e32 v2, v2, v3
	s_waitcnt vmcnt(2)
	v_mul_f32_e32 v3, v53, v102
	v_add_f32_e32 v105, v105, v106
	v_mul_f32_e32 v106, v52, v102
	v_fma_f32 v3, v52, v101, -v3
	v_fmac_f32_e32 v106, v53, v101
	v_add_f32_e32 v2, v2, v3
	s_waitcnt vmcnt(0) lgkmcnt(0)
	v_mul_f32_e32 v3, v23, v104
	v_add_f32_e32 v105, v105, v106
	v_mul_f32_e32 v106, v22, v104
	v_fma_f32 v3, v22, v103, -v3
	v_fmac_f32_e32 v106, v23, v103
	v_add_f32_e32 v2, v2, v3
	v_add_f32_e32 v105, v105, v106
	v_sub_f32_e32 v2, v91, v2
	v_sub_f32_e32 v3, v92, v105
	buffer_store_dword v2, off, s[0:3], 0 offset:296
	buffer_store_dword v3, off, s[0:3], 0 offset:300
	s_and_saveexec_b64 s[4:5], vcc
	s_cbranch_execz .LBB126_319
; %bb.318:
	buffer_load_dword v2, off, s[0:3], 0 offset:288
	buffer_load_dword v3, off, s[0:3], 0 offset:292
	s_waitcnt vmcnt(0)
	ds_write_b64 v25, v[2:3]
	buffer_store_dword v1, off, s[0:3], 0 offset:288
	buffer_store_dword v1, off, s[0:3], 0 offset:292
.LBB126_319:
	s_or_b64 exec, exec, s[4:5]
	s_waitcnt lgkmcnt(0)
	; wave barrier
	buffer_load_dword v22, off, s[0:3], 0 offset:300
	buffer_load_dword v23, off, s[0:3], 0 offset:308
	;; [unrolled: 1-line block ×42, first 2 shown]
	ds_read2_b64 v[2:5], v1 offset0:101 offset1:102
	ds_read2_b64 v[6:9], v1 offset0:103 offset1:104
	;; [unrolled: 1-line block ×4, first 2 shown]
	buffer_load_dword v97, off, s[0:3], 0 offset:460
	buffer_load_dword v98, off, s[0:3], 0 offset:456
	;; [unrolled: 1-line block ×6, first 2 shown]
	ds_read2_b64 v[18:21], v1 offset0:109 offset1:110
	ds_read2_b64 v[26:29], v1 offset0:111 offset1:112
	buffer_load_dword v103, off, s[0:3], 0 offset:480
	buffer_load_dword v104, off, s[0:3], 0 offset:484
	;; [unrolled: 1-line block ×6, first 2 shown]
	v_cmp_lt_u32_e32 vcc, 35, v0
	s_waitcnt vmcnt(53) lgkmcnt(5)
	v_mul_f32_e32 v30, v2, v22
	s_waitcnt vmcnt(52)
	v_mul_f32_e32 v31, v4, v23
	s_waitcnt vmcnt(51) lgkmcnt(4)
	v_mul_f32_e32 v32, v6, v24
	s_waitcnt vmcnt(50)
	v_mul_f32_e32 v33, v8, v58
	s_waitcnt vmcnt(49) lgkmcnt(3)
	v_mul_f32_e32 v34, v10, v59
	s_waitcnt vmcnt(48)
	v_mul_f32_e32 v35, v12, v60
	s_waitcnt vmcnt(47) lgkmcnt(2)
	v_mul_f32_e32 v36, v14, v61
	s_waitcnt vmcnt(46)
	v_mul_f32_e32 v37, v16, v62
	s_waitcnt vmcnt(45) lgkmcnt(1)
	v_mul_f32_e32 v38, v18, v63
	s_waitcnt vmcnt(44)
	v_mul_f32_e32 v39, v20, v64
	s_waitcnt vmcnt(43)
	v_fmac_f32_e32 v30, v3, v65
	v_mul_f32_e32 v3, v3, v22
	s_waitcnt vmcnt(42)
	v_fmac_f32_e32 v31, v5, v66
	v_add_f32_e32 v30, 0, v30
	v_fma_f32 v2, v2, v65, -v3
	v_mul_f32_e32 v3, v5, v23
	s_waitcnt vmcnt(41)
	v_fmac_f32_e32 v32, v7, v67
	v_add_f32_e32 v30, v30, v31
	v_add_f32_e32 v2, 0, v2
	v_fma_f32 v3, v4, v66, -v3
	s_waitcnt vmcnt(40)
	v_fmac_f32_e32 v33, v9, v68
	v_add_f32_e32 v30, v30, v32
	v_add_f32_e32 v2, v2, v3
	v_mul_f32_e32 v3, v7, v24
	s_waitcnt vmcnt(39)
	v_fmac_f32_e32 v34, v11, v69
	v_add_f32_e32 v30, v30, v33
	v_fma_f32 v3, v6, v67, -v3
	s_waitcnt vmcnt(38)
	v_fmac_f32_e32 v35, v13, v70
	v_add_f32_e32 v30, v30, v34
	v_add_f32_e32 v2, v2, v3
	v_mul_f32_e32 v3, v9, v58
	s_waitcnt vmcnt(37)
	v_fmac_f32_e32 v36, v15, v71
	;; [unrolled: 9-line block ×3, first 2 shown]
	v_add_f32_e32 v30, v30, v37
	v_fma_f32 v3, v10, v69, -v3
	s_waitcnt vmcnt(34)
	v_fmac_f32_e32 v39, v21, v74
	v_add_f32_e32 v30, v30, v38
	s_waitcnt vmcnt(33) lgkmcnt(0)
	v_mul_f32_e32 v31, v26, v75
	v_add_f32_e32 v2, v2, v3
	v_mul_f32_e32 v3, v13, v60
	v_add_f32_e32 v30, v30, v39
	s_waitcnt vmcnt(32)
	v_fmac_f32_e32 v31, v27, v76
	v_fma_f32 v3, v12, v70, -v3
	v_add_f32_e32 v34, v30, v31
	ds_read2_b64 v[30:33], v1 offset0:113 offset1:114
	v_add_f32_e32 v2, v2, v3
	v_mul_f32_e32 v3, v15, v61
	v_fma_f32 v3, v14, v71, -v3
	s_waitcnt vmcnt(31)
	v_mul_f32_e32 v35, v28, v77
	v_add_f32_e32 v2, v2, v3
	v_mul_f32_e32 v3, v17, v62
	s_waitcnt vmcnt(30)
	v_fmac_f32_e32 v35, v29, v78
	v_fma_f32 v3, v16, v72, -v3
	v_add_f32_e32 v38, v34, v35
	ds_read2_b64 v[34:37], v1 offset0:115 offset1:116
	v_add_f32_e32 v2, v2, v3
	v_mul_f32_e32 v3, v19, v63
	s_waitcnt vmcnt(29) lgkmcnt(1)
	v_mul_f32_e32 v39, v30, v79
	v_fma_f32 v3, v18, v73, -v3
	s_waitcnt vmcnt(28)
	v_fmac_f32_e32 v39, v31, v80
	v_add_f32_e32 v2, v2, v3
	v_mul_f32_e32 v3, v21, v64
	v_add_f32_e32 v38, v38, v39
	s_waitcnt vmcnt(27)
	v_mul_f32_e32 v39, v32, v81
	v_fma_f32 v3, v20, v74, -v3
	s_waitcnt vmcnt(26)
	v_fmac_f32_e32 v39, v33, v82
	v_add_f32_e32 v2, v2, v3
	v_mul_f32_e32 v3, v27, v75
	v_add_f32_e32 v38, v38, v39
	s_waitcnt vmcnt(25) lgkmcnt(0)
	v_mul_f32_e32 v39, v34, v83
	v_fma_f32 v3, v26, v76, -v3
	s_waitcnt vmcnt(24)
	v_fmac_f32_e32 v39, v35, v84
	v_add_f32_e32 v2, v2, v3
	v_mul_f32_e32 v3, v29, v77
	v_add_f32_e32 v42, v38, v39
	ds_read2_b64 v[38:41], v1 offset0:117 offset1:118
	v_fma_f32 v3, v28, v78, -v3
	v_add_f32_e32 v2, v2, v3
	v_mul_f32_e32 v3, v31, v79
	s_waitcnt vmcnt(23)
	v_mul_f32_e32 v43, v36, v85
	v_fma_f32 v3, v30, v80, -v3
	s_waitcnt vmcnt(22)
	v_fmac_f32_e32 v43, v37, v86
	v_add_f32_e32 v2, v2, v3
	v_mul_f32_e32 v3, v33, v81
	v_add_f32_e32 v46, v42, v43
	ds_read2_b64 v[42:45], v1 offset0:119 offset1:120
	v_fma_f32 v3, v32, v82, -v3
	s_waitcnt vmcnt(21) lgkmcnt(1)
	v_mul_f32_e32 v47, v38, v87
	v_add_f32_e32 v2, v2, v3
	v_mul_f32_e32 v3, v35, v83
	s_waitcnt vmcnt(20)
	v_fmac_f32_e32 v47, v39, v88
	v_fma_f32 v3, v34, v84, -v3
	v_add_f32_e32 v46, v46, v47
	s_waitcnt vmcnt(18)
	v_mul_f32_e32 v47, v40, v90
	v_add_f32_e32 v2, v2, v3
	v_mul_f32_e32 v3, v37, v85
	v_fmac_f32_e32 v47, v41, v89
	v_fma_f32 v3, v36, v86, -v3
	v_add_f32_e32 v46, v46, v47
	s_waitcnt vmcnt(15) lgkmcnt(0)
	v_mul_f32_e32 v47, v42, v93
	v_add_f32_e32 v2, v2, v3
	v_mul_f32_e32 v3, v39, v87
	s_waitcnt vmcnt(14)
	v_fmac_f32_e32 v47, v43, v94
	v_fma_f32 v3, v38, v88, -v3
	v_add_f32_e32 v50, v46, v47
	ds_read2_b64 v[46:49], v1 offset0:121 offset1:122
	v_add_f32_e32 v2, v2, v3
	v_mul_f32_e32 v3, v41, v90
	v_fma_f32 v3, v40, v89, -v3
	v_add_f32_e32 v2, v2, v3
	v_mul_f32_e32 v3, v43, v93
	s_waitcnt vmcnt(12)
	v_mul_f32_e32 v51, v44, v96
	v_fma_f32 v3, v42, v94, -v3
	v_fmac_f32_e32 v51, v45, v95
	v_add_f32_e32 v2, v2, v3
	v_mul_f32_e32 v3, v45, v96
	v_add_f32_e32 v54, v50, v51
	ds_read2_b64 v[50:53], v1 offset0:123 offset1:124
	s_waitcnt vmcnt(11) lgkmcnt(1)
	v_mul_f32_e32 v55, v46, v97
	v_fma_f32 v3, v44, v95, -v3
	s_waitcnt vmcnt(10)
	v_fmac_f32_e32 v55, v47, v98
	v_add_f32_e32 v2, v2, v3
	v_mul_f32_e32 v3, v47, v97
	v_add_f32_e32 v54, v54, v55
	s_waitcnt vmcnt(8)
	v_mul_f32_e32 v55, v48, v100
	v_fma_f32 v3, v46, v98, -v3
	v_fmac_f32_e32 v55, v49, v99
	v_add_f32_e32 v2, v2, v3
	v_mul_f32_e32 v3, v49, v100
	v_add_f32_e32 v109, v54, v55
	ds_read2_b64 v[54:57], v1 offset0:125 offset1:126
	v_fma_f32 v3, v48, v99, -v3
	v_add_f32_e32 v2, v2, v3
	s_waitcnt vmcnt(6) lgkmcnt(1)
	v_mul_f32_e32 v3, v51, v102
	v_mul_f32_e32 v110, v50, v102
	v_fma_f32 v3, v50, v101, -v3
	v_fmac_f32_e32 v110, v51, v101
	v_add_f32_e32 v2, v2, v3
	s_waitcnt vmcnt(4)
	v_mul_f32_e32 v3, v53, v104
	v_add_f32_e32 v1, v109, v110
	v_mul_f32_e32 v109, v52, v104
	v_fma_f32 v3, v52, v103, -v3
	v_fmac_f32_e32 v109, v53, v103
	v_add_f32_e32 v2, v2, v3
	s_waitcnt vmcnt(2) lgkmcnt(0)
	v_mul_f32_e32 v3, v55, v106
	v_add_f32_e32 v1, v1, v109
	v_mul_f32_e32 v109, v54, v106
	v_fma_f32 v3, v54, v105, -v3
	v_fmac_f32_e32 v109, v55, v105
	v_add_f32_e32 v2, v2, v3
	s_waitcnt vmcnt(0)
	v_mul_f32_e32 v3, v57, v108
	v_add_f32_e32 v1, v1, v109
	v_mul_f32_e32 v109, v56, v108
	v_fma_f32 v3, v56, v107, -v3
	v_fmac_f32_e32 v109, v57, v107
	v_add_f32_e32 v2, v2, v3
	v_add_f32_e32 v1, v1, v109
	v_sub_f32_e32 v2, v91, v2
	v_sub_f32_e32 v1, v92, v1
	buffer_store_dword v2, off, s[0:3], 0 offset:288
	buffer_store_dword v1, off, s[0:3], 0 offset:292
	s_and_saveexec_b64 s[4:5], vcc
	s_cbranch_execz .LBB126_321
; %bb.320:
	buffer_load_dword v1, off, s[0:3], 0 offset:280
	buffer_load_dword v2, off, s[0:3], 0 offset:284
	v_mov_b32_e32 v3, 0
	buffer_store_dword v3, off, s[0:3], 0 offset:280
	buffer_store_dword v3, off, s[0:3], 0 offset:284
	s_waitcnt vmcnt(2)
	ds_write_b64 v25, v[1:2]
.LBB126_321:
	s_or_b64 exec, exec, s[4:5]
	s_waitcnt lgkmcnt(0)
	; wave barrier
	buffer_load_dword v24, off, s[0:3], 0 offset:292
	buffer_load_dword v58, off, s[0:3], 0 offset:300
	;; [unrolled: 1-line block ×56, first 2 shown]
	v_mov_b32_e32 v1, 0
	ds_read_b128 v[2:5], v1 offset:800
	ds_read_b128 v[6:9], v1 offset:816
	;; [unrolled: 1-line block ×11, first 2 shown]
	v_cmp_lt_u32_e32 vcc, 34, v0
	s_waitcnt vmcnt(55) lgkmcnt(10)
	v_mul_f32_e32 v22, v2, v24
	s_waitcnt vmcnt(54)
	v_mul_f32_e32 v23, v4, v58
	s_waitcnt vmcnt(53) lgkmcnt(9)
	v_mul_f32_e32 v30, v6, v59
	s_waitcnt vmcnt(52)
	v_mul_f32_e32 v31, v8, v60
	;; [unrolled: 4-line block ×4, first 2 shown]
	s_waitcnt vmcnt(47) lgkmcnt(6)
	v_mul_f32_e32 v36, v18, v65
	s_waitcnt vmcnt(46)
	v_fmac_f32_e32 v22, v3, v66
	v_mul_f32_e32 v3, v3, v24
	v_fma_f32 v2, v2, v66, -v3
	v_mul_f32_e32 v3, v5, v58
	v_add_f32_e32 v2, 0, v2
	s_waitcnt vmcnt(45)
	v_fma_f32 v3, v4, v67, -v3
	v_add_f32_e32 v2, v2, v3
	v_mul_f32_e32 v3, v7, v59
	s_waitcnt vmcnt(44)
	v_fma_f32 v3, v6, v68, -v3
	v_add_f32_e32 v2, v2, v3
	v_mul_f32_e32 v3, v9, v60
	;; [unrolled: 4-line block ×3, first 2 shown]
	s_waitcnt vmcnt(42)
	v_fma_f32 v3, v10, v70, -v3
	v_fmac_f32_e32 v23, v5, v67
	v_add_f32_e32 v22, 0, v22
	v_add_f32_e32 v2, v2, v3
	v_mul_f32_e32 v3, v13, v62
	v_fmac_f32_e32 v30, v7, v68
	v_add_f32_e32 v22, v22, v23
	s_waitcnt vmcnt(41)
	v_fma_f32 v3, v12, v71, -v3
	v_fmac_f32_e32 v31, v9, v69
	v_add_f32_e32 v22, v22, v30
	v_add_f32_e32 v2, v2, v3
	v_mul_f32_e32 v3, v15, v63
	v_fmac_f32_e32 v32, v11, v70
	v_add_f32_e32 v22, v22, v31
	;; [unrolled: 8-line block ×3, first 2 shown]
	s_waitcnt vmcnt(39)
	v_fma_f32 v3, v16, v73, -v3
	v_fmac_f32_e32 v35, v17, v73
	v_add_f32_e32 v22, v22, v34
	v_add_f32_e32 v2, v2, v3
	v_mul_f32_e32 v3, v19, v65
	v_add_f32_e32 v22, v22, v35
	s_waitcnt vmcnt(38)
	v_fmac_f32_e32 v36, v19, v74
	s_waitcnt vmcnt(37)
	v_mul_f32_e32 v23, v20, v75
	v_fma_f32 v3, v18, v74, -v3
	v_add_f32_e32 v22, v22, v36
	s_waitcnt vmcnt(36)
	v_fmac_f32_e32 v23, v21, v76
	ds_read_b128 v[30:33], v1 offset:896
	ds_read_b128 v[34:37], v1 offset:912
	v_add_f32_e32 v2, v2, v3
	v_mul_f32_e32 v3, v21, v75
	v_add_f32_e32 v22, v22, v23
	s_waitcnt vmcnt(35) lgkmcnt(7)
	v_mul_f32_e32 v23, v26, v77
	v_fma_f32 v3, v20, v76, -v3
	s_waitcnt vmcnt(34)
	v_fmac_f32_e32 v23, v27, v78
	v_add_f32_e32 v2, v2, v3
	v_mul_f32_e32 v3, v27, v77
	v_add_f32_e32 v22, v22, v23
	s_waitcnt vmcnt(33)
	v_mul_f32_e32 v23, v28, v79
	v_fma_f32 v3, v26, v78, -v3
	s_waitcnt vmcnt(32)
	v_fmac_f32_e32 v23, v29, v80
	v_add_f32_e32 v2, v2, v3
	v_mul_f32_e32 v3, v29, v79
	v_add_f32_e32 v22, v22, v23
	s_waitcnt vmcnt(31) lgkmcnt(1)
	v_mul_f32_e32 v23, v30, v81
	v_fma_f32 v3, v28, v80, -v3
	s_waitcnt vmcnt(30)
	v_fmac_f32_e32 v23, v31, v82
	v_add_f32_e32 v2, v2, v3
	v_mul_f32_e32 v3, v31, v81
	v_add_f32_e32 v22, v22, v23
	s_waitcnt vmcnt(29)
	v_mul_f32_e32 v23, v32, v83
	v_fma_f32 v3, v30, v82, -v3
	s_waitcnt vmcnt(28)
	v_fmac_f32_e32 v23, v33, v84
	v_add_f32_e32 v2, v2, v3
	v_mul_f32_e32 v3, v33, v83
	v_add_f32_e32 v22, v22, v23
	s_waitcnt vmcnt(27) lgkmcnt(0)
	v_mul_f32_e32 v23, v34, v85
	v_fma_f32 v3, v32, v84, -v3
	s_waitcnt vmcnt(26)
	v_fmac_f32_e32 v23, v35, v86
	v_add_f32_e32 v2, v2, v3
	v_mul_f32_e32 v3, v35, v85
	v_add_f32_e32 v22, v22, v23
	s_waitcnt vmcnt(24)
	v_mul_f32_e32 v23, v36, v88
	v_fma_f32 v3, v34, v86, -v3
	v_fmac_f32_e32 v23, v37, v87
	v_add_f32_e32 v2, v2, v3
	v_mul_f32_e32 v3, v37, v88
	v_add_f32_e32 v22, v22, v23
	s_waitcnt vmcnt(21)
	v_mul_f32_e32 v23, v38, v91
	v_fma_f32 v3, v36, v87, -v3
	s_waitcnt vmcnt(20)
	v_fmac_f32_e32 v23, v39, v92
	v_add_f32_e32 v2, v2, v3
	v_mul_f32_e32 v3, v39, v91
	v_add_f32_e32 v22, v22, v23
	s_waitcnt vmcnt(18)
	v_mul_f32_e32 v23, v40, v94
	v_fma_f32 v3, v38, v92, -v3
	v_fmac_f32_e32 v23, v41, v93
	v_add_f32_e32 v2, v2, v3
	v_mul_f32_e32 v3, v41, v94
	v_add_f32_e32 v22, v22, v23
	s_waitcnt vmcnt(16)
	v_mul_f32_e32 v23, v42, v96
	v_fma_f32 v3, v40, v93, -v3
	;; [unrolled: 7-line block ×7, first 2 shown]
	v_fmac_f32_e32 v23, v53, v105
	v_add_f32_e32 v2, v2, v3
	v_mul_f32_e32 v3, v53, v106
	v_add_f32_e32 v113, v22, v23
	ds_read_b64 v[22:23], v1 offset:1008
	v_fma_f32 v3, v52, v105, -v3
	v_add_f32_e32 v2, v2, v3
	s_waitcnt vmcnt(4)
	v_mul_f32_e32 v3, v55, v108
	v_mul_f32_e32 v114, v54, v108
	v_fma_f32 v3, v54, v107, -v3
	v_fmac_f32_e32 v114, v55, v107
	v_add_f32_e32 v2, v2, v3
	s_waitcnt vmcnt(2)
	v_mul_f32_e32 v3, v57, v110
	v_add_f32_e32 v113, v113, v114
	v_mul_f32_e32 v114, v56, v110
	v_fma_f32 v3, v56, v109, -v3
	v_fmac_f32_e32 v114, v57, v109
	v_add_f32_e32 v2, v2, v3
	s_waitcnt vmcnt(0) lgkmcnt(0)
	v_mul_f32_e32 v3, v23, v112
	v_add_f32_e32 v113, v113, v114
	v_mul_f32_e32 v114, v22, v112
	v_fma_f32 v3, v22, v111, -v3
	v_fmac_f32_e32 v114, v23, v111
	v_add_f32_e32 v2, v2, v3
	v_add_f32_e32 v113, v113, v114
	v_sub_f32_e32 v2, v89, v2
	v_sub_f32_e32 v3, v90, v113
	buffer_store_dword v2, off, s[0:3], 0 offset:280
	buffer_store_dword v3, off, s[0:3], 0 offset:284
	s_and_saveexec_b64 s[4:5], vcc
	s_cbranch_execz .LBB126_323
; %bb.322:
	buffer_load_dword v2, off, s[0:3], 0 offset:272
	buffer_load_dword v3, off, s[0:3], 0 offset:276
	s_waitcnt vmcnt(0)
	ds_write_b64 v25, v[2:3]
	buffer_store_dword v1, off, s[0:3], 0 offset:272
	buffer_store_dword v1, off, s[0:3], 0 offset:276
.LBB126_323:
	s_or_b64 exec, exec, s[4:5]
	s_waitcnt lgkmcnt(0)
	; wave barrier
	buffer_load_dword v22, off, s[0:3], 0 offset:284
	buffer_load_dword v23, off, s[0:3], 0 offset:292
	buffer_load_dword v24, off, s[0:3], 0 offset:300
	buffer_load_dword v62, off, s[0:3], 0 offset:308
	buffer_load_dword v63, off, s[0:3], 0 offset:316
	buffer_load_dword v64, off, s[0:3], 0 offset:324
	buffer_load_dword v65, off, s[0:3], 0 offset:332
	buffer_load_dword v66, off, s[0:3], 0 offset:340
	buffer_load_dword v67, off, s[0:3], 0 offset:280
	buffer_load_dword v68, off, s[0:3], 0 offset:288
	buffer_load_dword v69, off, s[0:3], 0 offset:296
	buffer_load_dword v70, off, s[0:3], 0 offset:304
	buffer_load_dword v71, off, s[0:3], 0 offset:312
	buffer_load_dword v72, off, s[0:3], 0 offset:320
	buffer_load_dword v73, off, s[0:3], 0 offset:328
	buffer_load_dword v74, off, s[0:3], 0 offset:336
	buffer_load_dword v75, off, s[0:3], 0 offset:348
	buffer_load_dword v76, off, s[0:3], 0 offset:344
	buffer_load_dword v77, off, s[0:3], 0 offset:356
	buffer_load_dword v78, off, s[0:3], 0 offset:352
	buffer_load_dword v79, off, s[0:3], 0 offset:364
	buffer_load_dword v80, off, s[0:3], 0 offset:360
	buffer_load_dword v81, off, s[0:3], 0 offset:372
	buffer_load_dword v82, off, s[0:3], 0 offset:368
	buffer_load_dword v83, off, s[0:3], 0 offset:380
	buffer_load_dword v84, off, s[0:3], 0 offset:376
	buffer_load_dword v85, off, s[0:3], 0 offset:388
	buffer_load_dword v86, off, s[0:3], 0 offset:384
	buffer_load_dword v87, off, s[0:3], 0 offset:396
	buffer_load_dword v88, off, s[0:3], 0 offset:392
	buffer_load_dword v89, off, s[0:3], 0 offset:272
	buffer_load_dword v90, off, s[0:3], 0 offset:276
	buffer_load_dword v91, off, s[0:3], 0 offset:404
	buffer_load_dword v92, off, s[0:3], 0 offset:400
	ds_read2_b64 v[2:5], v1 offset0:99 offset1:100
	ds_read2_b64 v[6:9], v1 offset0:101 offset1:102
	buffer_load_dword v93, off, s[0:3], 0 offset:412
	buffer_load_dword v94, off, s[0:3], 0 offset:408
	;; [unrolled: 1-line block ×6, first 2 shown]
	ds_read2_b64 v[10:13], v1 offset0:103 offset1:104
	ds_read2_b64 v[14:17], v1 offset0:105 offset1:106
	;; [unrolled: 1-line block ×4, first 2 shown]
	buffer_load_dword v99, off, s[0:3], 0 offset:436
	buffer_load_dword v100, off, s[0:3], 0 offset:432
	;; [unrolled: 1-line block ×18, first 2 shown]
	v_cmp_lt_u32_e32 vcc, 33, v0
	s_waitcnt vmcnt(57) lgkmcnt(5)
	v_mul_f32_e32 v30, v2, v22
	s_waitcnt vmcnt(56)
	v_mul_f32_e32 v31, v4, v23
	s_waitcnt vmcnt(55) lgkmcnt(4)
	v_mul_f32_e32 v32, v6, v24
	s_waitcnt vmcnt(54)
	v_mul_f32_e32 v33, v8, v62
	;; [unrolled: 4-line block ×4, first 2 shown]
	s_waitcnt vmcnt(49)
	v_fmac_f32_e32 v30, v3, v67
	s_waitcnt vmcnt(48)
	v_fmac_f32_e32 v31, v5, v68
	v_add_f32_e32 v30, 0, v30
	s_waitcnt vmcnt(47)
	v_fmac_f32_e32 v32, v7, v69
	v_add_f32_e32 v30, v30, v31
	s_waitcnt vmcnt(46)
	v_fmac_f32_e32 v33, v9, v70
	v_add_f32_e32 v30, v30, v32
	s_waitcnt vmcnt(45)
	v_fmac_f32_e32 v34, v11, v71
	v_add_f32_e32 v30, v30, v33
	v_mul_f32_e32 v3, v3, v22
	s_waitcnt vmcnt(44)
	v_fmac_f32_e32 v35, v13, v72
	v_add_f32_e32 v30, v30, v34
	v_fma_f32 v2, v2, v67, -v3
	v_mul_f32_e32 v3, v5, v23
	s_waitcnt vmcnt(43)
	v_fmac_f32_e32 v36, v15, v73
	v_add_f32_e32 v30, v30, v35
	v_add_f32_e32 v2, 0, v2
	v_fma_f32 v3, v4, v68, -v3
	s_waitcnt vmcnt(42)
	v_fmac_f32_e32 v37, v17, v74
	v_add_f32_e32 v30, v30, v36
	s_waitcnt vmcnt(41) lgkmcnt(1)
	v_mul_f32_e32 v31, v18, v75
	v_add_f32_e32 v2, v2, v3
	v_mul_f32_e32 v3, v7, v24
	v_add_f32_e32 v30, v30, v37
	s_waitcnt vmcnt(40)
	v_fmac_f32_e32 v31, v19, v76
	v_fma_f32 v3, v6, v69, -v3
	v_add_f32_e32 v30, v30, v31
	s_waitcnt vmcnt(39)
	v_mul_f32_e32 v31, v20, v77
	v_add_f32_e32 v2, v2, v3
	v_mul_f32_e32 v3, v9, v62
	s_waitcnt vmcnt(38)
	v_fmac_f32_e32 v31, v21, v78
	v_fma_f32 v3, v8, v70, -v3
	v_add_f32_e32 v30, v30, v31
	s_waitcnt vmcnt(37) lgkmcnt(0)
	v_mul_f32_e32 v31, v26, v79
	v_add_f32_e32 v2, v2, v3
	v_mul_f32_e32 v3, v11, v63
	s_waitcnt vmcnt(36)
	v_fmac_f32_e32 v31, v27, v80
	v_fma_f32 v3, v10, v71, -v3
	v_add_f32_e32 v34, v30, v31
	ds_read2_b64 v[30:33], v1 offset0:111 offset1:112
	v_add_f32_e32 v2, v2, v3
	v_mul_f32_e32 v3, v13, v64
	v_fma_f32 v3, v12, v72, -v3
	s_waitcnt vmcnt(35)
	v_mul_f32_e32 v35, v28, v81
	v_add_f32_e32 v2, v2, v3
	v_mul_f32_e32 v3, v15, v65
	s_waitcnt vmcnt(34)
	v_fmac_f32_e32 v35, v29, v82
	v_fma_f32 v3, v14, v73, -v3
	v_add_f32_e32 v38, v34, v35
	ds_read2_b64 v[34:37], v1 offset0:113 offset1:114
	v_add_f32_e32 v2, v2, v3
	v_mul_f32_e32 v3, v17, v66
	s_waitcnt vmcnt(33) lgkmcnt(1)
	v_mul_f32_e32 v39, v30, v83
	v_fma_f32 v3, v16, v74, -v3
	s_waitcnt vmcnt(32)
	v_fmac_f32_e32 v39, v31, v84
	v_add_f32_e32 v2, v2, v3
	v_mul_f32_e32 v3, v19, v75
	v_add_f32_e32 v38, v38, v39
	s_waitcnt vmcnt(31)
	v_mul_f32_e32 v39, v32, v85
	v_fma_f32 v3, v18, v76, -v3
	s_waitcnt vmcnt(30)
	v_fmac_f32_e32 v39, v33, v86
	v_add_f32_e32 v2, v2, v3
	v_mul_f32_e32 v3, v21, v77
	v_add_f32_e32 v38, v38, v39
	s_waitcnt vmcnt(29) lgkmcnt(0)
	v_mul_f32_e32 v39, v34, v87
	v_fma_f32 v3, v20, v78, -v3
	s_waitcnt vmcnt(28)
	v_fmac_f32_e32 v39, v35, v88
	v_add_f32_e32 v2, v2, v3
	v_mul_f32_e32 v3, v27, v79
	v_add_f32_e32 v42, v38, v39
	ds_read2_b64 v[38:41], v1 offset0:115 offset1:116
	v_fma_f32 v3, v26, v80, -v3
	v_add_f32_e32 v2, v2, v3
	v_mul_f32_e32 v3, v29, v81
	s_waitcnt vmcnt(25)
	v_mul_f32_e32 v43, v36, v91
	v_fma_f32 v3, v28, v82, -v3
	s_waitcnt vmcnt(24)
	v_fmac_f32_e32 v43, v37, v92
	v_add_f32_e32 v2, v2, v3
	v_mul_f32_e32 v3, v31, v83
	v_add_f32_e32 v46, v42, v43
	ds_read2_b64 v[42:45], v1 offset0:117 offset1:118
	v_fma_f32 v3, v30, v84, -v3
	s_waitcnt vmcnt(23) lgkmcnt(1)
	v_mul_f32_e32 v47, v38, v93
	v_add_f32_e32 v2, v2, v3
	v_mul_f32_e32 v3, v33, v85
	s_waitcnt vmcnt(22)
	v_fmac_f32_e32 v47, v39, v94
	v_fma_f32 v3, v32, v86, -v3
	v_add_f32_e32 v46, v46, v47
	s_waitcnt vmcnt(20)
	v_mul_f32_e32 v47, v40, v96
	v_add_f32_e32 v2, v2, v3
	v_mul_f32_e32 v3, v35, v87
	v_fmac_f32_e32 v47, v41, v95
	v_fma_f32 v3, v34, v88, -v3
	v_add_f32_e32 v46, v46, v47
	s_waitcnt vmcnt(18) lgkmcnt(0)
	v_mul_f32_e32 v47, v42, v98
	v_add_f32_e32 v2, v2, v3
	v_mul_f32_e32 v3, v37, v91
	v_fmac_f32_e32 v47, v43, v97
	v_fma_f32 v3, v36, v92, -v3
	v_add_f32_e32 v50, v46, v47
	ds_read2_b64 v[46:49], v1 offset0:119 offset1:120
	v_add_f32_e32 v2, v2, v3
	v_mul_f32_e32 v3, v39, v93
	v_fma_f32 v3, v38, v94, -v3
	s_waitcnt vmcnt(17)
	v_mul_f32_e32 v51, v44, v99
	v_add_f32_e32 v2, v2, v3
	v_mul_f32_e32 v3, v41, v96
	s_waitcnt vmcnt(16)
	v_fmac_f32_e32 v51, v45, v100
	v_fma_f32 v3, v40, v95, -v3
	v_add_f32_e32 v54, v50, v51
	ds_read2_b64 v[50:53], v1 offset0:121 offset1:122
	v_add_f32_e32 v2, v2, v3
	v_mul_f32_e32 v3, v43, v98
	s_waitcnt vmcnt(14) lgkmcnt(1)
	v_mul_f32_e32 v55, v46, v102
	v_fma_f32 v3, v42, v97, -v3
	v_fmac_f32_e32 v55, v47, v101
	v_add_f32_e32 v2, v2, v3
	v_mul_f32_e32 v3, v45, v99
	v_add_f32_e32 v54, v54, v55
	s_waitcnt vmcnt(12)
	v_mul_f32_e32 v55, v48, v104
	v_fma_f32 v3, v44, v100, -v3
	v_fmac_f32_e32 v55, v49, v103
	v_add_f32_e32 v2, v2, v3
	v_mul_f32_e32 v3, v47, v102
	v_add_f32_e32 v54, v54, v55
	s_waitcnt vmcnt(10) lgkmcnt(0)
	v_mul_f32_e32 v55, v50, v106
	v_fma_f32 v3, v46, v101, -v3
	v_fmac_f32_e32 v55, v51, v105
	v_add_f32_e32 v2, v2, v3
	v_mul_f32_e32 v3, v49, v104
	v_add_f32_e32 v58, v54, v55
	ds_read2_b64 v[54:57], v1 offset0:123 offset1:124
	v_fma_f32 v3, v48, v103, -v3
	v_add_f32_e32 v2, v2, v3
	v_mul_f32_e32 v3, v51, v106
	s_waitcnt vmcnt(8)
	v_mul_f32_e32 v59, v52, v108
	v_fma_f32 v3, v50, v105, -v3
	v_fmac_f32_e32 v59, v53, v107
	v_add_f32_e32 v2, v2, v3
	v_mul_f32_e32 v3, v53, v108
	v_add_f32_e32 v117, v58, v59
	ds_read2_b64 v[58:61], v1 offset0:125 offset1:126
	v_fma_f32 v3, v52, v107, -v3
	v_add_f32_e32 v2, v2, v3
	s_waitcnt vmcnt(6) lgkmcnt(1)
	v_mul_f32_e32 v3, v55, v110
	v_mul_f32_e32 v1, v54, v110
	v_fma_f32 v3, v54, v109, -v3
	v_fmac_f32_e32 v1, v55, v109
	v_add_f32_e32 v2, v2, v3
	s_waitcnt vmcnt(4)
	v_mul_f32_e32 v3, v57, v112
	v_add_f32_e32 v1, v117, v1
	v_mul_f32_e32 v117, v56, v112
	v_fma_f32 v3, v56, v111, -v3
	v_fmac_f32_e32 v117, v57, v111
	v_add_f32_e32 v2, v2, v3
	s_waitcnt vmcnt(2) lgkmcnt(0)
	v_mul_f32_e32 v3, v59, v114
	v_add_f32_e32 v1, v1, v117
	v_mul_f32_e32 v117, v58, v114
	v_fma_f32 v3, v58, v113, -v3
	v_fmac_f32_e32 v117, v59, v113
	v_add_f32_e32 v2, v2, v3
	s_waitcnt vmcnt(0)
	v_mul_f32_e32 v3, v61, v116
	v_add_f32_e32 v1, v1, v117
	v_mul_f32_e32 v117, v60, v116
	v_fma_f32 v3, v60, v115, -v3
	v_fmac_f32_e32 v117, v61, v115
	v_add_f32_e32 v2, v2, v3
	v_add_f32_e32 v1, v1, v117
	v_sub_f32_e32 v2, v89, v2
	v_sub_f32_e32 v1, v90, v1
	buffer_store_dword v2, off, s[0:3], 0 offset:272
	buffer_store_dword v1, off, s[0:3], 0 offset:276
	s_and_saveexec_b64 s[4:5], vcc
	s_cbranch_execz .LBB126_325
; %bb.324:
	buffer_load_dword v1, off, s[0:3], 0 offset:264
	buffer_load_dword v2, off, s[0:3], 0 offset:268
	v_mov_b32_e32 v3, 0
	buffer_store_dword v3, off, s[0:3], 0 offset:264
	buffer_store_dword v3, off, s[0:3], 0 offset:268
	s_waitcnt vmcnt(2)
	ds_write_b64 v25, v[1:2]
.LBB126_325:
	s_or_b64 exec, exec, s[4:5]
	s_waitcnt lgkmcnt(0)
	; wave barrier
	buffer_load_dword v24, off, s[0:3], 0 offset:276
	buffer_load_dword v62, off, s[0:3], 0 offset:284
	;; [unrolled: 1-line block ×60, first 2 shown]
	v_mov_b32_e32 v1, 0
	ds_read_b128 v[2:5], v1 offset:784
	ds_read_b128 v[6:9], v1 offset:800
	;; [unrolled: 1-line block ×12, first 2 shown]
	v_cmp_lt_u32_e32 vcc, 32, v0
	s_waitcnt vmcnt(59) lgkmcnt(11)
	v_mul_f32_e32 v22, v2, v24
	s_waitcnt vmcnt(58)
	v_mul_f32_e32 v23, v4, v62
	s_waitcnt vmcnt(57) lgkmcnt(10)
	v_mul_f32_e32 v26, v6, v63
	s_waitcnt vmcnt(56)
	v_mul_f32_e32 v27, v8, v64
	;; [unrolled: 4-line block ×3, first 2 shown]
	s_waitcnt vmcnt(53) lgkmcnt(8)
	v_mul_f32_e32 v30, v14, v67
	s_waitcnt vmcnt(52)
	v_fmac_f32_e32 v22, v3, v68
	v_mul_f32_e32 v3, v3, v24
	v_fma_f32 v2, v2, v68, -v3
	v_mul_f32_e32 v3, v5, v62
	v_add_f32_e32 v2, 0, v2
	s_waitcnt vmcnt(51)
	v_fma_f32 v3, v4, v69, -v3
	v_add_f32_e32 v2, v2, v3
	v_mul_f32_e32 v3, v7, v63
	s_waitcnt vmcnt(50)
	v_fma_f32 v3, v6, v70, -v3
	v_add_f32_e32 v2, v2, v3
	v_mul_f32_e32 v3, v9, v64
	s_waitcnt vmcnt(49)
	v_fma_f32 v3, v8, v71, -v3
	v_fmac_f32_e32 v23, v5, v69
	v_add_f32_e32 v22, 0, v22
	v_add_f32_e32 v2, v2, v3
	v_mul_f32_e32 v3, v11, v65
	v_fmac_f32_e32 v26, v7, v70
	v_add_f32_e32 v22, v22, v23
	s_waitcnt vmcnt(48)
	v_fma_f32 v3, v10, v72, -v3
	v_fmac_f32_e32 v27, v9, v71
	v_add_f32_e32 v22, v22, v26
	v_add_f32_e32 v2, v2, v3
	v_mul_f32_e32 v3, v13, v66
	v_fmac_f32_e32 v28, v11, v72
	v_add_f32_e32 v22, v22, v27
	s_waitcnt vmcnt(47)
	v_fma_f32 v3, v12, v73, -v3
	v_fmac_f32_e32 v29, v13, v73
	v_add_f32_e32 v22, v22, v28
	v_add_f32_e32 v2, v2, v3
	v_mul_f32_e32 v3, v15, v67
	s_waitcnt vmcnt(46)
	v_fmac_f32_e32 v30, v15, v74
	v_add_f32_e32 v22, v22, v29
	s_waitcnt vmcnt(45)
	v_mul_f32_e32 v23, v16, v75
	v_fma_f32 v3, v14, v74, -v3
	v_add_f32_e32 v22, v22, v30
	s_waitcnt vmcnt(44)
	v_fmac_f32_e32 v23, v17, v76
	ds_read_b128 v[26:29], v1 offset:864
	ds_read_b128 v[30:33], v1 offset:880
	v_add_f32_e32 v2, v2, v3
	v_mul_f32_e32 v3, v17, v75
	v_add_f32_e32 v22, v22, v23
	s_waitcnt vmcnt(43) lgkmcnt(9)
	v_mul_f32_e32 v23, v18, v77
	v_fma_f32 v3, v16, v76, -v3
	s_waitcnt vmcnt(42)
	v_fmac_f32_e32 v23, v19, v78
	v_add_f32_e32 v2, v2, v3
	v_mul_f32_e32 v3, v19, v77
	v_add_f32_e32 v22, v22, v23
	s_waitcnt vmcnt(41)
	v_mul_f32_e32 v23, v20, v79
	v_fma_f32 v3, v18, v78, -v3
	s_waitcnt vmcnt(40)
	v_fmac_f32_e32 v23, v21, v80
	v_add_f32_e32 v2, v2, v3
	v_mul_f32_e32 v3, v21, v79
	v_add_f32_e32 v22, v22, v23
	s_waitcnt vmcnt(39) lgkmcnt(1)
	v_mul_f32_e32 v23, v26, v81
	v_fma_f32 v3, v20, v80, -v3
	s_waitcnt vmcnt(38)
	v_fmac_f32_e32 v23, v27, v82
	v_add_f32_e32 v2, v2, v3
	v_mul_f32_e32 v3, v27, v81
	v_add_f32_e32 v22, v22, v23
	s_waitcnt vmcnt(37)
	v_mul_f32_e32 v23, v28, v83
	v_fma_f32 v3, v26, v82, -v3
	s_waitcnt vmcnt(36)
	v_fmac_f32_e32 v23, v29, v84
	v_add_f32_e32 v2, v2, v3
	v_mul_f32_e32 v3, v29, v83
	v_add_f32_e32 v22, v22, v23
	s_waitcnt vmcnt(34) lgkmcnt(0)
	v_mul_f32_e32 v23, v30, v86
	v_fma_f32 v3, v28, v84, -v3
	v_fmac_f32_e32 v23, v31, v85
	v_add_f32_e32 v2, v2, v3
	v_mul_f32_e32 v3, v31, v86
	v_add_f32_e32 v22, v22, v23
	s_waitcnt vmcnt(31)
	v_mul_f32_e32 v23, v32, v89
	v_fma_f32 v3, v30, v85, -v3
	s_waitcnt vmcnt(30)
	v_fmac_f32_e32 v23, v33, v90
	v_add_f32_e32 v2, v2, v3
	v_mul_f32_e32 v3, v33, v89
	v_add_f32_e32 v22, v22, v23
	s_waitcnt vmcnt(28)
	v_mul_f32_e32 v23, v34, v92
	v_fma_f32 v3, v32, v90, -v3
	v_fmac_f32_e32 v23, v35, v91
	v_add_f32_e32 v2, v2, v3
	v_mul_f32_e32 v3, v35, v92
	v_add_f32_e32 v22, v22, v23
	s_waitcnt vmcnt(26)
	v_mul_f32_e32 v23, v36, v94
	v_fma_f32 v3, v34, v91, -v3
	;; [unrolled: 7-line block ×12, first 2 shown]
	v_fmac_f32_e32 v23, v57, v113
	v_add_f32_e32 v2, v2, v3
	v_mul_f32_e32 v3, v57, v114
	v_add_f32_e32 v123, v22, v23
	ds_read_b64 v[22:23], v1 offset:1008
	v_fma_f32 v3, v56, v113, -v3
	v_add_f32_e32 v2, v2, v3
	s_waitcnt vmcnt(4)
	v_mul_f32_e32 v3, v59, v116
	v_mul_f32_e32 v124, v58, v116
	v_fma_f32 v3, v58, v115, -v3
	v_fmac_f32_e32 v124, v59, v115
	v_add_f32_e32 v2, v2, v3
	s_waitcnt vmcnt(2)
	v_mul_f32_e32 v3, v61, v118
	v_add_f32_e32 v123, v123, v124
	v_mul_f32_e32 v124, v60, v118
	v_fma_f32 v3, v60, v117, -v3
	v_fmac_f32_e32 v124, v61, v117
	v_add_f32_e32 v2, v2, v3
	s_waitcnt vmcnt(0) lgkmcnt(0)
	v_mul_f32_e32 v3, v23, v122
	v_add_f32_e32 v123, v123, v124
	v_mul_f32_e32 v124, v22, v122
	v_fma_f32 v3, v22, v119, -v3
	v_fmac_f32_e32 v124, v23, v119
	v_add_f32_e32 v2, v2, v3
	v_add_f32_e32 v123, v123, v124
	v_sub_f32_e32 v2, v87, v2
	v_sub_f32_e32 v3, v88, v123
	buffer_store_dword v2, off, s[0:3], 0 offset:264
	buffer_store_dword v3, off, s[0:3], 0 offset:268
	s_and_saveexec_b64 s[4:5], vcc
	s_cbranch_execz .LBB126_327
; %bb.326:
	buffer_load_dword v2, off, s[0:3], 0 offset:256
	buffer_load_dword v3, off, s[0:3], 0 offset:260
	s_waitcnt vmcnt(0)
	ds_write_b64 v25, v[2:3]
	buffer_store_dword v1, off, s[0:3], 0 offset:256
	buffer_store_dword v1, off, s[0:3], 0 offset:260
.LBB126_327:
	s_or_b64 exec, exec, s[4:5]
	s_waitcnt lgkmcnt(0)
	; wave barrier
	buffer_load_dword v22, off, s[0:3], 0 offset:268
	buffer_load_dword v23, off, s[0:3], 0 offset:276
	;; [unrolled: 1-line block ×32, first 2 shown]
	ds_read2_b64 v[2:5], v1 offset0:97 offset1:98
	ds_read2_b64 v[6:9], v1 offset0:99 offset1:100
	;; [unrolled: 1-line block ×4, first 2 shown]
	buffer_load_dword v95, off, s[0:3], 0 offset:388
	buffer_load_dword v96, off, s[0:3], 0 offset:384
	;; [unrolled: 1-line block ×30, first 2 shown]
	v_cmp_lt_u32_e32 vcc, 31, v0
	s_waitcnt vmcnt(61) lgkmcnt(3)
	v_mul_f32_e32 v18, v2, v22
	s_waitcnt vmcnt(60)
	v_mul_f32_e32 v19, v4, v23
	s_waitcnt vmcnt(59) lgkmcnt(2)
	v_mul_f32_e32 v20, v6, v24
	s_waitcnt vmcnt(58)
	v_mul_f32_e32 v21, v8, v66
	;; [unrolled: 4-line block ×3, first 2 shown]
	s_waitcnt vmcnt(55) lgkmcnt(0)
	v_mul_f32_e32 v28, v14, v69
	s_waitcnt vmcnt(54)
	v_fmac_f32_e32 v18, v3, v70
	s_waitcnt vmcnt(53)
	v_fmac_f32_e32 v19, v5, v71
	v_add_f32_e32 v18, 0, v18
	s_waitcnt vmcnt(52)
	v_fmac_f32_e32 v20, v7, v72
	v_add_f32_e32 v18, v18, v19
	;; [unrolled: 3-line block ×6, first 2 shown]
	v_add_f32_e32 v26, v18, v28
	ds_read2_b64 v[18:21], v1 offset0:105 offset1:106
	s_waitcnt vmcnt(47)
	v_mul_f32_e32 v27, v16, v77
	s_waitcnt vmcnt(46)
	v_fmac_f32_e32 v27, v17, v78
	v_mul_f32_e32 v3, v3, v22
	v_add_f32_e32 v30, v26, v27
	ds_read2_b64 v[26:29], v1 offset0:107 offset1:108
	v_fma_f32 v2, v2, v70, -v3
	v_mul_f32_e32 v3, v5, v23
	s_waitcnt vmcnt(45) lgkmcnt(1)
	v_mul_f32_e32 v31, v18, v79
	v_add_f32_e32 v2, 0, v2
	v_fma_f32 v3, v4, v71, -v3
	s_waitcnt vmcnt(44)
	v_fmac_f32_e32 v31, v19, v80
	v_add_f32_e32 v2, v2, v3
	v_mul_f32_e32 v3, v7, v24
	v_add_f32_e32 v30, v30, v31
	s_waitcnt vmcnt(43)
	v_mul_f32_e32 v31, v20, v81
	v_fma_f32 v3, v6, v72, -v3
	s_waitcnt vmcnt(42)
	v_fmac_f32_e32 v31, v21, v82
	v_add_f32_e32 v2, v2, v3
	v_mul_f32_e32 v3, v9, v66
	v_add_f32_e32 v30, v30, v31
	s_waitcnt vmcnt(41) lgkmcnt(0)
	v_mul_f32_e32 v31, v26, v83
	v_fma_f32 v3, v8, v73, -v3
	s_waitcnt vmcnt(40)
	v_fmac_f32_e32 v31, v27, v84
	v_add_f32_e32 v2, v2, v3
	v_mul_f32_e32 v3, v11, v67
	v_add_f32_e32 v34, v30, v31
	ds_read2_b64 v[30:33], v1 offset0:109 offset1:110
	v_fma_f32 v3, v10, v74, -v3
	v_add_f32_e32 v2, v2, v3
	v_mul_f32_e32 v3, v13, v68
	s_waitcnt vmcnt(39)
	v_mul_f32_e32 v35, v28, v85
	v_fma_f32 v3, v12, v75, -v3
	s_waitcnt vmcnt(38)
	v_fmac_f32_e32 v35, v29, v86
	v_add_f32_e32 v2, v2, v3
	v_mul_f32_e32 v3, v15, v69
	v_add_f32_e32 v38, v34, v35
	ds_read2_b64 v[34:37], v1 offset0:111 offset1:112
	v_fma_f32 v3, v14, v76, -v3
	s_waitcnt vmcnt(35) lgkmcnt(1)
	v_mul_f32_e32 v39, v30, v89
	v_add_f32_e32 v2, v2, v3
	v_mul_f32_e32 v3, v17, v77
	s_waitcnt vmcnt(34)
	v_fmac_f32_e32 v39, v31, v90
	v_fma_f32 v3, v16, v78, -v3
	v_add_f32_e32 v38, v38, v39
	s_waitcnt vmcnt(32)
	v_mul_f32_e32 v39, v32, v92
	v_add_f32_e32 v2, v2, v3
	v_mul_f32_e32 v3, v19, v79
	v_fmac_f32_e32 v39, v33, v91
	v_fma_f32 v3, v18, v80, -v3
	v_add_f32_e32 v38, v38, v39
	s_waitcnt vmcnt(30) lgkmcnt(0)
	v_mul_f32_e32 v39, v34, v94
	v_add_f32_e32 v2, v2, v3
	v_mul_f32_e32 v3, v21, v81
	v_fmac_f32_e32 v39, v35, v93
	v_fma_f32 v3, v20, v82, -v3
	v_add_f32_e32 v42, v38, v39
	ds_read2_b64 v[38:41], v1 offset0:113 offset1:114
	v_add_f32_e32 v2, v2, v3
	v_mul_f32_e32 v3, v27, v83
	v_fma_f32 v3, v26, v84, -v3
	s_waitcnt vmcnt(29)
	v_mul_f32_e32 v43, v36, v95
	v_add_f32_e32 v2, v2, v3
	v_mul_f32_e32 v3, v29, v85
	s_waitcnt vmcnt(28)
	v_fmac_f32_e32 v43, v37, v96
	v_fma_f32 v3, v28, v86, -v3
	v_add_f32_e32 v46, v42, v43
	ds_read2_b64 v[42:45], v1 offset0:115 offset1:116
	v_add_f32_e32 v2, v2, v3
	v_mul_f32_e32 v3, v31, v89
	s_waitcnt vmcnt(26) lgkmcnt(1)
	v_mul_f32_e32 v47, v38, v98
	v_fma_f32 v3, v30, v90, -v3
	v_fmac_f32_e32 v47, v39, v97
	v_add_f32_e32 v2, v2, v3
	v_mul_f32_e32 v3, v33, v92
	v_add_f32_e32 v46, v46, v47
	s_waitcnt vmcnt(24)
	v_mul_f32_e32 v47, v40, v100
	v_fma_f32 v3, v32, v91, -v3
	v_fmac_f32_e32 v47, v41, v99
	v_add_f32_e32 v2, v2, v3
	v_mul_f32_e32 v3, v35, v94
	v_add_f32_e32 v46, v46, v47
	s_waitcnt vmcnt(22) lgkmcnt(0)
	v_mul_f32_e32 v47, v42, v102
	v_fma_f32 v3, v34, v93, -v3
	v_fmac_f32_e32 v47, v43, v101
	v_add_f32_e32 v2, v2, v3
	v_mul_f32_e32 v3, v37, v95
	v_add_f32_e32 v50, v46, v47
	ds_read2_b64 v[46:49], v1 offset0:117 offset1:118
	v_fma_f32 v3, v36, v96, -v3
	v_add_f32_e32 v2, v2, v3
	v_mul_f32_e32 v3, v39, v98
	s_waitcnt vmcnt(20)
	v_mul_f32_e32 v51, v44, v104
	v_fma_f32 v3, v38, v97, -v3
	v_fmac_f32_e32 v51, v45, v103
	v_add_f32_e32 v2, v2, v3
	v_mul_f32_e32 v3, v41, v100
	v_add_f32_e32 v54, v50, v51
	ds_read2_b64 v[50:53], v1 offset0:119 offset1:120
	v_fma_f32 v3, v40, v99, -v3
	s_waitcnt vmcnt(18) lgkmcnt(1)
	v_mul_f32_e32 v55, v46, v106
	v_add_f32_e32 v2, v2, v3
	v_mul_f32_e32 v3, v43, v102
	v_fmac_f32_e32 v55, v47, v105
	v_fma_f32 v3, v42, v101, -v3
	v_add_f32_e32 v54, v54, v55
	s_waitcnt vmcnt(16)
	v_mul_f32_e32 v55, v48, v108
	v_add_f32_e32 v2, v2, v3
	v_mul_f32_e32 v3, v45, v104
	v_fmac_f32_e32 v55, v49, v107
	v_fma_f32 v3, v44, v103, -v3
	v_add_f32_e32 v54, v54, v55
	s_waitcnt vmcnt(14) lgkmcnt(0)
	v_mul_f32_e32 v55, v50, v110
	v_add_f32_e32 v2, v2, v3
	v_mul_f32_e32 v3, v47, v106
	v_fmac_f32_e32 v55, v51, v109
	v_fma_f32 v3, v46, v105, -v3
	v_add_f32_e32 v58, v54, v55
	ds_read2_b64 v[54:57], v1 offset0:121 offset1:122
	v_add_f32_e32 v2, v2, v3
	v_mul_f32_e32 v3, v49, v108
	v_fma_f32 v3, v48, v107, -v3
	v_add_f32_e32 v2, v2, v3
	v_mul_f32_e32 v3, v51, v110
	s_waitcnt vmcnt(12)
	v_mul_f32_e32 v59, v52, v112
	v_fma_f32 v3, v50, v109, -v3
	v_fmac_f32_e32 v59, v53, v111
	v_add_f32_e32 v2, v2, v3
	v_mul_f32_e32 v3, v53, v112
	v_add_f32_e32 v62, v58, v59
	ds_read2_b64 v[58:61], v1 offset0:123 offset1:124
	s_waitcnt vmcnt(10) lgkmcnt(1)
	v_mul_f32_e32 v63, v54, v114
	v_fma_f32 v3, v52, v111, -v3
	v_fmac_f32_e32 v63, v55, v113
	v_add_f32_e32 v2, v2, v3
	v_mul_f32_e32 v3, v55, v114
	v_add_f32_e32 v62, v62, v63
	s_waitcnt vmcnt(8)
	v_mul_f32_e32 v63, v56, v116
	v_fma_f32 v3, v54, v113, -v3
	v_fmac_f32_e32 v63, v57, v115
	v_add_f32_e32 v2, v2, v3
	v_mul_f32_e32 v3, v57, v116
	v_add_f32_e32 v127, v62, v63
	ds_read2_b64 v[62:65], v1 offset0:125 offset1:126
	v_fma_f32 v3, v56, v115, -v3
	v_add_f32_e32 v2, v2, v3
	s_waitcnt vmcnt(6) lgkmcnt(1)
	v_mul_f32_e32 v3, v59, v118
	v_mul_f32_e32 v128, v58, v118
	v_fma_f32 v3, v58, v117, -v3
	v_fmac_f32_e32 v128, v59, v117
	v_add_f32_e32 v2, v2, v3
	s_waitcnt vmcnt(4)
	v_mul_f32_e32 v3, v61, v122
	v_add_f32_e32 v1, v127, v128
	v_mul_f32_e32 v127, v60, v122
	v_fma_f32 v3, v60, v119, -v3
	v_fmac_f32_e32 v127, v61, v119
	v_add_f32_e32 v2, v2, v3
	s_waitcnt vmcnt(2) lgkmcnt(0)
	v_mul_f32_e32 v3, v63, v124
	v_add_f32_e32 v1, v1, v127
	v_mul_f32_e32 v127, v62, v124
	v_fma_f32 v3, v62, v123, -v3
	v_fmac_f32_e32 v127, v63, v123
	v_add_f32_e32 v2, v2, v3
	s_waitcnt vmcnt(0)
	v_mul_f32_e32 v3, v65, v126
	v_add_f32_e32 v1, v1, v127
	v_mul_f32_e32 v127, v64, v126
	v_fma_f32 v3, v64, v125, -v3
	v_fmac_f32_e32 v127, v65, v125
	v_add_f32_e32 v2, v2, v3
	v_add_f32_e32 v1, v1, v127
	v_sub_f32_e32 v2, v87, v2
	v_sub_f32_e32 v1, v88, v1
	buffer_store_dword v2, off, s[0:3], 0 offset:256
	buffer_store_dword v1, off, s[0:3], 0 offset:260
	s_and_saveexec_b64 s[4:5], vcc
	s_cbranch_execz .LBB126_329
; %bb.328:
	buffer_load_dword v1, off, s[0:3], 0 offset:248
	buffer_load_dword v2, off, s[0:3], 0 offset:252
	v_mov_b32_e32 v3, 0
	buffer_store_dword v3, off, s[0:3], 0 offset:248
	buffer_store_dword v3, off, s[0:3], 0 offset:252
	s_waitcnt vmcnt(2)
	ds_write_b64 v25, v[1:2]
.LBB126_329:
	s_or_b64 exec, exec, s[4:5]
	s_waitcnt lgkmcnt(0)
	; wave barrier
	buffer_load_dword v24, off, s[0:3], 0 offset:260
	buffer_load_dword v66, off, s[0:3], 0 offset:268
	buffer_load_dword v67, off, s[0:3], 0 offset:276
	buffer_load_dword v68, off, s[0:3], 0 offset:284
	buffer_load_dword v69, off, s[0:3], 0 offset:292
	buffer_load_dword v70, off, s[0:3], 0 offset:300
	buffer_load_dword v71, off, s[0:3], 0 offset:308
	buffer_load_dword v72, off, s[0:3], 0 offset:316
	buffer_load_dword v73, off, s[0:3], 0 offset:272
	buffer_load_dword v74, off, s[0:3], 0 offset:264
	buffer_load_dword v75, off, s[0:3], 0 offset:256
	buffer_load_dword v76, off, s[0:3], 0 offset:304
	buffer_load_dword v77, off, s[0:3], 0 offset:296
	buffer_load_dword v78, off, s[0:3], 0 offset:288
	buffer_load_dword v79, off, s[0:3], 0 offset:280
	buffer_load_dword v80, off, s[0:3], 0 offset:336
	buffer_load_dword v81, off, s[0:3], 0 offset:340
	buffer_load_dword v82, off, s[0:3], 0 offset:328
	buffer_load_dword v83, off, s[0:3], 0 offset:320
	buffer_load_dword v84, off, s[0:3], 0 offset:312
	buffer_load_dword v85, off, s[0:3], 0 offset:324
	buffer_load_dword v86, off, s[0:3], 0 offset:332
	buffer_load_dword v87, off, s[0:3], 0 offset:348
	buffer_load_dword v88, off, s[0:3], 0 offset:352
	buffer_load_dword v89, off, s[0:3], 0 offset:356
	buffer_load_dword v90, off, s[0:3], 0 offset:360
	buffer_load_dword v91, off, s[0:3], 0 offset:364
	buffer_load_dword v92, off, s[0:3], 0 offset:368
	buffer_load_dword v93, off, s[0:3], 0 offset:372
	buffer_load_dword v94, off, s[0:3], 0 offset:344
	buffer_load_dword v95, off, s[0:3], 0 offset:248
	buffer_load_dword v96, off, s[0:3], 0 offset:252
	buffer_load_dword v97, off, s[0:3], 0 offset:376
	buffer_load_dword v98, off, s[0:3], 0 offset:380
	buffer_load_dword v99, off, s[0:3], 0 offset:384
	buffer_load_dword v100, off, s[0:3], 0 offset:388
	buffer_load_dword v101, off, s[0:3], 0 offset:392
	buffer_load_dword v102, off, s[0:3], 0 offset:396
	buffer_load_dword v103, off, s[0:3], 0 offset:400
	buffer_load_dword v104, off, s[0:3], 0 offset:404
	buffer_load_dword v105, off, s[0:3], 0 offset:408
	buffer_load_dword v106, off, s[0:3], 0 offset:412
	buffer_load_dword v107, off, s[0:3], 0 offset:416
	buffer_load_dword v108, off, s[0:3], 0 offset:420
	buffer_load_dword v109, off, s[0:3], 0 offset:424
	buffer_load_dword v110, off, s[0:3], 0 offset:428
	buffer_load_dword v111, off, s[0:3], 0 offset:432
	buffer_load_dword v112, off, s[0:3], 0 offset:436
	buffer_load_dword v113, off, s[0:3], 0 offset:440
	buffer_load_dword v114, off, s[0:3], 0 offset:444
	buffer_load_dword v115, off, s[0:3], 0 offset:448
	buffer_load_dword v116, off, s[0:3], 0 offset:452
	buffer_load_dword v117, off, s[0:3], 0 offset:456
	buffer_load_dword v118, off, s[0:3], 0 offset:460
	buffer_load_dword v119, off, s[0:3], 0 offset:464
	buffer_load_dword v122, off, s[0:3], 0 offset:468
	v_mov_b32_e32 v1, 0
	ds_read_b128 v[2:5], v1 offset:768
	buffer_load_dword v123, off, s[0:3], 0 offset:472
	buffer_load_dword v124, off, s[0:3], 0 offset:476
	ds_read_b128 v[6:9], v1 offset:784
	ds_read_b128 v[10:13], v1 offset:800
	;; [unrolled: 1-line block ×3, first 2 shown]
	buffer_load_dword v125, off, s[0:3], 0 offset:480
	buffer_load_dword v126, off, s[0:3], 0 offset:484
	;; [unrolled: 1-line block ×6, first 2 shown]
	ds_read_b128 v[30:33], v1 offset:864
	ds_read_b128 v[34:37], v1 offset:880
	;; [unrolled: 1-line block ×9, first 2 shown]
	v_cmp_lt_u32_e32 vcc, 30, v0
	s_waitcnt vmcnt(62) lgkmcnt(12)
	v_mul_f32_e32 v18, v2, v24
	v_mul_f32_e32 v19, v4, v66
	s_waitcnt vmcnt(61) lgkmcnt(11)
	v_mul_f32_e32 v20, v6, v67
	s_waitcnt vmcnt(60)
	v_mul_f32_e32 v21, v8, v68
	s_waitcnt vmcnt(59) lgkmcnt(10)
	v_mul_f32_e32 v22, v10, v69
	s_waitcnt vmcnt(58)
	;; [unrolled: 4-line block ×3, first 2 shown]
	v_mul_f32_e32 v27, v16, v72
	s_waitcnt vmcnt(55)
	v_fmac_f32_e32 v20, v7, v73
	s_waitcnt vmcnt(54)
	v_fmac_f32_e32 v19, v5, v74
	;; [unrolled: 2-line block ×3, first 2 shown]
	v_mul_f32_e32 v3, v3, v24
	v_fma_f32 v2, v2, v75, -v3
	v_mul_f32_e32 v3, v5, v66
	v_add_f32_e32 v2, 0, v2
	v_fma_f32 v3, v4, v74, -v3
	v_add_f32_e32 v2, v2, v3
	v_mul_f32_e32 v3, v7, v67
	v_add_f32_e32 v18, 0, v18
	v_fma_f32 v3, v6, v73, -v3
	v_add_f32_e32 v18, v18, v19
	v_add_f32_e32 v2, v2, v3
	v_mul_f32_e32 v3, v9, v68
	s_waitcnt vmcnt(49)
	v_fmac_f32_e32 v21, v9, v79
	v_add_f32_e32 v18, v18, v20
	v_fma_f32 v3, v8, v79, -v3
	v_fmac_f32_e32 v22, v11, v78
	v_add_f32_e32 v18, v18, v21
	v_add_f32_e32 v2, v2, v3
	v_mul_f32_e32 v3, v11, v69
	v_fmac_f32_e32 v23, v13, v77
	v_add_f32_e32 v18, v18, v22
	v_fma_f32 v3, v10, v78, -v3
	v_add_f32_e32 v22, v18, v23
	ds_read_b128 v[18:21], v1 offset:832
	v_add_f32_e32 v2, v2, v3
	v_mul_f32_e32 v3, v13, v70
	v_fma_f32 v3, v12, v77, -v3
	v_fmac_f32_e32 v26, v15, v76
	v_add_f32_e32 v2, v2, v3
	v_mul_f32_e32 v3, v15, v71
	v_add_f32_e32 v22, v22, v26
	s_waitcnt vmcnt(44)
	v_fmac_f32_e32 v27, v17, v84
	v_fma_f32 v3, v14, v76, -v3
	v_add_f32_e32 v22, v22, v27
	ds_read_b128 v[26:29], v1 offset:848
	v_add_f32_e32 v2, v2, v3
	v_mul_f32_e32 v3, v17, v72
	s_waitcnt vmcnt(43) lgkmcnt(1)
	v_mul_f32_e32 v23, v18, v85
	v_fma_f32 v3, v16, v84, -v3
	v_fmac_f32_e32 v23, v19, v83
	v_add_f32_e32 v2, v2, v3
	v_mul_f32_e32 v3, v19, v85
	v_add_f32_e32 v22, v22, v23
	s_waitcnt vmcnt(42)
	v_mul_f32_e32 v23, v20, v86
	v_fma_f32 v3, v18, v83, -v3
	v_fmac_f32_e32 v23, v21, v82
	v_add_f32_e32 v2, v2, v3
	v_mul_f32_e32 v3, v21, v86
	v_add_f32_e32 v22, v22, v23
	s_waitcnt lgkmcnt(0)
	v_mul_f32_e32 v23, v26, v81
	v_fma_f32 v3, v20, v82, -v3
	v_fmac_f32_e32 v23, v27, v80
	v_add_f32_e32 v2, v2, v3
	v_mul_f32_e32 v3, v27, v81
	v_add_f32_e32 v22, v22, v23
	s_waitcnt vmcnt(41)
	v_mul_f32_e32 v23, v28, v87
	v_fma_f32 v3, v26, v80, -v3
	s_waitcnt vmcnt(34)
	v_fmac_f32_e32 v23, v29, v94
	v_add_f32_e32 v2, v2, v3
	v_mul_f32_e32 v3, v29, v87
	v_add_f32_e32 v22, v22, v23
	v_mul_f32_e32 v23, v30, v89
	v_fma_f32 v3, v28, v94, -v3
	v_fmac_f32_e32 v23, v31, v88
	v_add_f32_e32 v2, v2, v3
	v_mul_f32_e32 v3, v31, v89
	v_add_f32_e32 v22, v22, v23
	v_mul_f32_e32 v23, v32, v91
	v_fma_f32 v3, v30, v88, -v3
	;; [unrolled: 6-line block ×3, first 2 shown]
	v_fmac_f32_e32 v23, v35, v92
	v_add_f32_e32 v2, v2, v3
	v_mul_f32_e32 v3, v35, v93
	v_add_f32_e32 v22, v22, v23
	s_waitcnt vmcnt(30)
	v_mul_f32_e32 v23, v36, v98
	v_fma_f32 v3, v34, v92, -v3
	v_fmac_f32_e32 v23, v37, v97
	v_add_f32_e32 v2, v2, v3
	v_mul_f32_e32 v3, v37, v98
	v_add_f32_e32 v22, v22, v23
	s_waitcnt vmcnt(28)
	v_mul_f32_e32 v23, v38, v100
	v_fma_f32 v3, v36, v97, -v3
	;; [unrolled: 7-line block ×13, first 2 shown]
	v_fmac_f32_e32 v23, v61, v123
	v_add_f32_e32 v2, v2, v3
	v_mul_f32_e32 v3, v61, v124
	v_add_f32_e32 v131, v22, v23
	ds_read_b64 v[22:23], v1 offset:1008
	v_fma_f32 v3, v60, v123, -v3
	v_add_f32_e32 v2, v2, v3
	s_waitcnt vmcnt(4)
	v_mul_f32_e32 v3, v63, v126
	v_mul_f32_e32 v132, v62, v126
	v_fma_f32 v3, v62, v125, -v3
	v_fmac_f32_e32 v132, v63, v125
	v_add_f32_e32 v2, v2, v3
	s_waitcnt vmcnt(3)
	v_mul_f32_e32 v3, v65, v127
	v_add_f32_e32 v131, v131, v132
	v_mul_f32_e32 v132, v64, v127
	s_waitcnt vmcnt(0)
	v_fma_f32 v3, v64, v130, -v3
	v_fmac_f32_e32 v132, v65, v130
	v_add_f32_e32 v2, v2, v3
	s_waitcnt lgkmcnt(0)
	v_mul_f32_e32 v3, v23, v129
	v_add_f32_e32 v131, v131, v132
	v_mul_f32_e32 v132, v22, v129
	v_fma_f32 v3, v22, v128, -v3
	v_fmac_f32_e32 v132, v23, v128
	v_add_f32_e32 v2, v2, v3
	v_add_f32_e32 v131, v131, v132
	v_sub_f32_e32 v2, v95, v2
	v_sub_f32_e32 v3, v96, v131
	buffer_store_dword v2, off, s[0:3], 0 offset:248
	buffer_store_dword v3, off, s[0:3], 0 offset:252
	s_and_saveexec_b64 s[4:5], vcc
	s_cbranch_execz .LBB126_331
; %bb.330:
	buffer_load_dword v2, off, s[0:3], 0 offset:240
	buffer_load_dword v3, off, s[0:3], 0 offset:244
	s_waitcnt vmcnt(0)
	ds_write_b64 v25, v[2:3]
	buffer_store_dword v1, off, s[0:3], 0 offset:240
	buffer_store_dword v1, off, s[0:3], 0 offset:244
.LBB126_331:
	s_or_b64 exec, exec, s[4:5]
	s_waitcnt lgkmcnt(0)
	; wave barrier
	buffer_load_dword v22, off, s[0:3], 0 offset:308
	buffer_load_dword v23, off, s[0:3], 0 offset:252
	;; [unrolled: 1-line block ×32, first 2 shown]
	ds_read2_b64 v[2:5], v1 offset0:95 offset1:96
	ds_read2_b64 v[6:9], v1 offset0:97 offset1:98
	;; [unrolled: 1-line block ×4, first 2 shown]
	buffer_load_dword v99, off, s[0:3], 0 offset:368
	buffer_load_dword v100, off, s[0:3], 0 offset:372
	;; [unrolled: 1-line block ×32, first 2 shown]
	v_cmp_lt_u32_e32 vcc, 29, v0
	s_waitcnt vmcnt(62) lgkmcnt(0)
	v_mul_f32_e32 v29, v16, v22
	v_mul_f32_e32 v18, v2, v23
	s_waitcnt vmcnt(61)
	v_mul_f32_e32 v19, v4, v24
	s_waitcnt vmcnt(60)
	;; [unrolled: 2-line block ×3, first 2 shown]
	v_fmac_f32_e32 v20, v7, v71
	s_waitcnt vmcnt(58)
	v_fmac_f32_e32 v19, v5, v72
	s_waitcnt vmcnt(57)
	v_fmac_f32_e32 v18, v3, v73
	v_add_f32_e32 v18, 0, v18
	s_waitcnt vmcnt(56)
	v_mul_f32_e32 v21, v8, v74
	v_add_f32_e32 v18, v18, v19
	s_waitcnt vmcnt(55)
	v_mul_f32_e32 v26, v10, v75
	;; [unrolled: 3-line block ×3, first 2 shown]
	s_waitcnt vmcnt(50)
	v_fmac_f32_e32 v26, v11, v80
	s_waitcnt vmcnt(49)
	v_fmac_f32_e32 v21, v9, v81
	v_add_f32_e32 v18, v18, v21
	v_mul_f32_e32 v28, v14, v77
	v_fmac_f32_e32 v27, v13, v79
	v_add_f32_e32 v18, v18, v26
	v_fmac_f32_e32 v28, v15, v78
	v_add_f32_e32 v18, v18, v27
	s_waitcnt vmcnt(44)
	v_fmac_f32_e32 v29, v17, v86
	v_add_f32_e32 v26, v18, v28
	ds_read2_b64 v[18:21], v1 offset0:103 offset1:104
	v_add_f32_e32 v30, v26, v29
	ds_read2_b64 v[26:29], v1 offset0:105 offset1:106
	buffer_load_dword v133, off, s[0:3], 0 offset:496
	buffer_load_dword v134, off, s[0:3], 0 offset:500
	v_mul_f32_e32 v3, v3, v23
	s_waitcnt vmcnt(45) lgkmcnt(1)
	v_mul_f32_e32 v31, v18, v87
	v_fmac_f32_e32 v31, v19, v85
	v_fma_f32 v2, v2, v73, -v3
	v_mul_f32_e32 v3, v5, v24
	v_add_f32_e32 v30, v30, v31
	v_mul_f32_e32 v31, v20, v83
	v_add_f32_e32 v2, 0, v2
	v_fma_f32 v3, v4, v72, -v3
	v_fmac_f32_e32 v31, v21, v82
	v_add_f32_e32 v2, v2, v3
	v_mul_f32_e32 v3, v7, v70
	v_add_f32_e32 v30, v30, v31
	s_waitcnt vmcnt(44) lgkmcnt(0)
	v_mul_f32_e32 v31, v26, v88
	v_fma_f32 v3, v6, v71, -v3
	v_fmac_f32_e32 v31, v27, v84
	v_add_f32_e32 v2, v2, v3
	v_mul_f32_e32 v3, v9, v74
	v_add_f32_e32 v34, v30, v31
	ds_read2_b64 v[30:33], v1 offset0:107 offset1:108
	v_fma_f32 v3, v8, v81, -v3
	v_add_f32_e32 v2, v2, v3
	v_mul_f32_e32 v3, v11, v75
	s_waitcnt vmcnt(40)
	v_mul_f32_e32 v35, v28, v92
	v_fma_f32 v3, v10, v80, -v3
	v_fmac_f32_e32 v35, v29, v91
	v_add_f32_e32 v2, v2, v3
	v_mul_f32_e32 v3, v13, v76
	v_add_f32_e32 v38, v34, v35
	ds_read2_b64 v[34:37], v1 offset0:109 offset1:110
	v_fma_f32 v3, v12, v79, -v3
	s_waitcnt vmcnt(39) lgkmcnt(1)
	v_mul_f32_e32 v39, v30, v93
	v_add_f32_e32 v2, v2, v3
	v_mul_f32_e32 v3, v15, v77
	s_waitcnt vmcnt(34)
	v_fmac_f32_e32 v39, v31, v98
	v_fma_f32 v3, v14, v78, -v3
	v_add_f32_e32 v38, v38, v39
	v_mul_f32_e32 v39, v32, v95
	v_add_f32_e32 v2, v2, v3
	v_mul_f32_e32 v3, v17, v22
	v_fmac_f32_e32 v39, v33, v94
	v_fma_f32 v3, v16, v86, -v3
	v_add_f32_e32 v38, v38, v39
	s_waitcnt lgkmcnt(0)
	v_mul_f32_e32 v39, v34, v97
	v_add_f32_e32 v2, v2, v3
	v_mul_f32_e32 v3, v19, v87
	v_fmac_f32_e32 v39, v35, v96
	v_fma_f32 v3, v18, v85, -v3
	v_add_f32_e32 v42, v38, v39
	ds_read2_b64 v[38:41], v1 offset0:111 offset1:112
	v_add_f32_e32 v2, v2, v3
	v_mul_f32_e32 v3, v21, v83
	v_fma_f32 v3, v20, v82, -v3
	s_waitcnt vmcnt(32)
	v_mul_f32_e32 v43, v36, v100
	v_add_f32_e32 v2, v2, v3
	v_mul_f32_e32 v3, v27, v88
	v_fmac_f32_e32 v43, v37, v99
	v_fma_f32 v3, v26, v84, -v3
	v_add_f32_e32 v46, v42, v43
	ds_read2_b64 v[42:45], v1 offset0:113 offset1:114
	v_add_f32_e32 v2, v2, v3
	v_mul_f32_e32 v3, v29, v92
	s_waitcnt vmcnt(30) lgkmcnt(1)
	v_mul_f32_e32 v47, v38, v102
	v_fma_f32 v3, v28, v91, -v3
	v_fmac_f32_e32 v47, v39, v101
	v_add_f32_e32 v2, v2, v3
	v_mul_f32_e32 v3, v31, v93
	v_add_f32_e32 v46, v46, v47
	s_waitcnt vmcnt(28)
	v_mul_f32_e32 v47, v40, v104
	v_fma_f32 v3, v30, v98, -v3
	v_fmac_f32_e32 v47, v41, v103
	v_add_f32_e32 v2, v2, v3
	v_mul_f32_e32 v3, v33, v95
	v_add_f32_e32 v46, v46, v47
	s_waitcnt vmcnt(26) lgkmcnt(0)
	v_mul_f32_e32 v47, v42, v106
	v_fma_f32 v3, v32, v94, -v3
	v_fmac_f32_e32 v47, v43, v105
	v_add_f32_e32 v2, v2, v3
	v_mul_f32_e32 v3, v35, v97
	v_add_f32_e32 v50, v46, v47
	ds_read2_b64 v[46:49], v1 offset0:115 offset1:116
	v_fma_f32 v3, v34, v96, -v3
	v_add_f32_e32 v2, v2, v3
	v_mul_f32_e32 v3, v37, v100
	s_waitcnt vmcnt(24)
	v_mul_f32_e32 v51, v44, v108
	v_fma_f32 v3, v36, v99, -v3
	v_fmac_f32_e32 v51, v45, v107
	v_add_f32_e32 v2, v2, v3
	v_mul_f32_e32 v3, v39, v102
	v_add_f32_e32 v54, v50, v51
	ds_read2_b64 v[50:53], v1 offset0:117 offset1:118
	v_fma_f32 v3, v38, v101, -v3
	s_waitcnt vmcnt(22) lgkmcnt(1)
	v_mul_f32_e32 v55, v46, v110
	v_add_f32_e32 v2, v2, v3
	v_mul_f32_e32 v3, v41, v104
	v_fmac_f32_e32 v55, v47, v109
	v_fma_f32 v3, v40, v103, -v3
	v_add_f32_e32 v54, v54, v55
	s_waitcnt vmcnt(20)
	v_mul_f32_e32 v55, v48, v112
	v_add_f32_e32 v2, v2, v3
	v_mul_f32_e32 v3, v43, v106
	v_fmac_f32_e32 v55, v49, v111
	v_fma_f32 v3, v42, v105, -v3
	v_add_f32_e32 v54, v54, v55
	s_waitcnt vmcnt(18) lgkmcnt(0)
	v_mul_f32_e32 v55, v50, v114
	v_add_f32_e32 v2, v2, v3
	v_mul_f32_e32 v3, v45, v108
	v_fmac_f32_e32 v55, v51, v113
	v_fma_f32 v3, v44, v107, -v3
	v_add_f32_e32 v58, v54, v55
	ds_read2_b64 v[54:57], v1 offset0:119 offset1:120
	v_add_f32_e32 v2, v2, v3
	v_mul_f32_e32 v3, v47, v110
	v_fma_f32 v3, v46, v109, -v3
	s_waitcnt vmcnt(16)
	v_mul_f32_e32 v59, v52, v116
	v_add_f32_e32 v2, v2, v3
	v_mul_f32_e32 v3, v49, v112
	v_fmac_f32_e32 v59, v53, v115
	v_fma_f32 v3, v48, v111, -v3
	v_add_f32_e32 v62, v58, v59
	ds_read2_b64 v[58:61], v1 offset0:121 offset1:122
	v_add_f32_e32 v2, v2, v3
	v_mul_f32_e32 v3, v51, v114
	s_waitcnt vmcnt(14) lgkmcnt(1)
	v_mul_f32_e32 v63, v54, v118
	v_fma_f32 v3, v50, v113, -v3
	v_fmac_f32_e32 v63, v55, v117
	v_add_f32_e32 v2, v2, v3
	v_mul_f32_e32 v3, v53, v116
	v_add_f32_e32 v62, v62, v63
	s_waitcnt vmcnt(12)
	v_mul_f32_e32 v63, v56, v122
	v_fma_f32 v3, v52, v115, -v3
	v_fmac_f32_e32 v63, v57, v119
	v_add_f32_e32 v2, v2, v3
	v_mul_f32_e32 v3, v55, v118
	v_add_f32_e32 v62, v62, v63
	s_waitcnt vmcnt(10) lgkmcnt(0)
	v_mul_f32_e32 v63, v58, v124
	v_fma_f32 v3, v54, v117, -v3
	v_fmac_f32_e32 v63, v59, v123
	v_add_f32_e32 v2, v2, v3
	v_mul_f32_e32 v3, v57, v122
	v_add_f32_e32 v66, v62, v63
	ds_read2_b64 v[62:65], v1 offset0:123 offset1:124
	v_fma_f32 v3, v56, v119, -v3
	v_add_f32_e32 v2, v2, v3
	v_mul_f32_e32 v3, v59, v124
	s_waitcnt vmcnt(8)
	v_mul_f32_e32 v67, v60, v126
	v_fma_f32 v3, v58, v123, -v3
	v_fmac_f32_e32 v67, v61, v125
	v_add_f32_e32 v2, v2, v3
	v_mul_f32_e32 v3, v61, v126
	v_add_f32_e32 v135, v66, v67
	ds_read2_b64 v[66:69], v1 offset0:125 offset1:126
	v_fma_f32 v3, v60, v125, -v3
	v_add_f32_e32 v2, v2, v3
	s_waitcnt vmcnt(6) lgkmcnt(1)
	v_mul_f32_e32 v3, v63, v128
	v_mul_f32_e32 v1, v62, v128
	v_fma_f32 v3, v62, v127, -v3
	v_fmac_f32_e32 v1, v63, v127
	v_add_f32_e32 v2, v2, v3
	s_waitcnt vmcnt(5)
	v_mul_f32_e32 v3, v65, v129
	v_add_f32_e32 v1, v135, v1
	v_mul_f32_e32 v135, v64, v129
	s_waitcnt vmcnt(2)
	v_fma_f32 v3, v64, v132, -v3
	v_fmac_f32_e32 v135, v65, v132
	v_add_f32_e32 v2, v2, v3
	s_waitcnt lgkmcnt(0)
	v_mul_f32_e32 v3, v67, v131
	v_add_f32_e32 v1, v1, v135
	v_mul_f32_e32 v135, v66, v131
	v_fma_f32 v3, v66, v130, -v3
	v_fmac_f32_e32 v135, v67, v130
	v_add_f32_e32 v2, v2, v3
	s_waitcnt vmcnt(0)
	v_mul_f32_e32 v3, v69, v134
	v_add_f32_e32 v1, v1, v135
	v_mul_f32_e32 v135, v68, v134
	v_fma_f32 v3, v68, v133, -v3
	v_fmac_f32_e32 v135, v69, v133
	v_add_f32_e32 v2, v2, v3
	v_add_f32_e32 v1, v1, v135
	v_sub_f32_e32 v2, v89, v2
	v_sub_f32_e32 v1, v90, v1
	buffer_store_dword v2, off, s[0:3], 0 offset:240
	buffer_store_dword v1, off, s[0:3], 0 offset:244
	s_and_saveexec_b64 s[4:5], vcc
	s_cbranch_execz .LBB126_333
; %bb.332:
	buffer_load_dword v1, off, s[0:3], 0 offset:232
	buffer_load_dword v2, off, s[0:3], 0 offset:236
	v_mov_b32_e32 v3, 0
	buffer_store_dword v3, off, s[0:3], 0 offset:232
	buffer_store_dword v3, off, s[0:3], 0 offset:236
	s_waitcnt vmcnt(2)
	ds_write_b64 v25, v[1:2]
.LBB126_333:
	s_or_b64 exec, exec, s[4:5]
	s_waitcnt lgkmcnt(0)
	; wave barrier
	buffer_load_dword v24, off, s[0:3], 0 offset:300
	buffer_load_dword v70, off, s[0:3], 0 offset:244
	;; [unrolled: 1-line block ×58, first 2 shown]
	v_mov_b32_e32 v1, 0
	ds_read_b128 v[2:5], v1 offset:752
	ds_read_b128 v[6:9], v1 offset:768
	;; [unrolled: 1-line block ×5, first 2 shown]
	buffer_load_dword v129, off, s[0:3], 0 offset:464
	buffer_load_dword v130, off, s[0:3], 0 offset:468
	;; [unrolled: 1-line block ×6, first 2 shown]
	v_cmp_lt_u32_e32 vcc, 28, v0
	s_waitcnt vmcnt(62) lgkmcnt(1)
	v_mul_f32_e32 v31, v16, v24
	v_mul_f32_e32 v22, v2, v70
	s_waitcnt vmcnt(61)
	v_mul_f32_e32 v23, v4, v71
	s_waitcnt vmcnt(60)
	;; [unrolled: 2-line block ×3, first 2 shown]
	v_fmac_f32_e32 v26, v7, v73
	s_waitcnt vmcnt(58)
	v_fmac_f32_e32 v23, v5, v74
	s_waitcnt vmcnt(57)
	v_fmac_f32_e32 v22, v3, v75
	v_add_f32_e32 v22, 0, v22
	s_waitcnt vmcnt(56)
	v_mul_f32_e32 v27, v8, v76
	v_add_f32_e32 v22, v22, v23
	s_waitcnt vmcnt(55)
	v_mul_f32_e32 v28, v10, v77
	;; [unrolled: 3-line block ×3, first 2 shown]
	s_waitcnt vmcnt(50)
	v_fmac_f32_e32 v28, v11, v82
	s_waitcnt vmcnt(49)
	v_fmac_f32_e32 v27, v9, v83
	v_add_f32_e32 v22, v22, v27
	v_fmac_f32_e32 v29, v13, v81
	v_add_f32_e32 v22, v22, v28
	v_add_f32_e32 v22, v22, v29
	ds_read_b128 v[26:29], v1 offset:832
	buffer_load_dword v135, off, s[0:3], 0 offset:492
	buffer_load_dword v136, off, s[0:3], 0 offset:496
	;; [unrolled: 1-line block ×4, first 2 shown]
	v_mul_f32_e32 v3, v3, v70
	v_fma_f32 v2, v2, v75, -v3
	v_mul_f32_e32 v3, v5, v71
	v_add_f32_e32 v2, 0, v2
	v_fma_f32 v3, v4, v74, -v3
	v_add_f32_e32 v2, v2, v3
	v_mul_f32_e32 v3, v7, v72
	v_fma_f32 v3, v6, v73, -v3
	v_add_f32_e32 v2, v2, v3
	v_mul_f32_e32 v3, v9, v76
	;; [unrolled: 3-line block ×5, first 2 shown]
	v_mul_f32_e32 v30, v14, v79
	v_fma_f32 v3, v14, v80, -v3
	v_fmac_f32_e32 v30, v15, v80
	v_add_f32_e32 v2, v2, v3
	v_mul_f32_e32 v3, v17, v24
	s_waitcnt vmcnt(48)
	v_fmac_f32_e32 v31, v17, v88
	v_add_f32_e32 v22, v22, v30
	s_waitcnt vmcnt(47) lgkmcnt(1)
	v_mul_f32_e32 v23, v18, v89
	v_fma_f32 v3, v16, v88, -v3
	v_add_f32_e32 v22, v22, v31
	v_fmac_f32_e32 v23, v19, v87
	v_add_f32_e32 v2, v2, v3
	v_mul_f32_e32 v3, v19, v89
	v_add_f32_e32 v22, v22, v23
	s_waitcnt vmcnt(46)
	v_mul_f32_e32 v23, v20, v90
	v_fma_f32 v3, v18, v87, -v3
	v_fmac_f32_e32 v23, v21, v86
	ds_read_b128 v[30:33], v1 offset:848
	ds_read_b128 v[34:37], v1 offset:864
	v_add_f32_e32 v2, v2, v3
	v_mul_f32_e32 v3, v21, v90
	v_add_f32_e32 v22, v22, v23
	s_waitcnt lgkmcnt(2)
	v_mul_f32_e32 v23, v26, v85
	v_fma_f32 v3, v20, v86, -v3
	v_fmac_f32_e32 v23, v27, v84
	v_add_f32_e32 v2, v2, v3
	v_mul_f32_e32 v3, v27, v85
	v_add_f32_e32 v22, v22, v23
	s_waitcnt vmcnt(42)
	v_mul_f32_e32 v23, v28, v94
	v_fma_f32 v3, v26, v84, -v3
	v_fmac_f32_e32 v23, v29, v93
	v_add_f32_e32 v2, v2, v3
	v_mul_f32_e32 v3, v29, v94
	v_add_f32_e32 v22, v22, v23
	s_waitcnt vmcnt(40) lgkmcnt(1)
	v_mul_f32_e32 v23, v30, v96
	v_fma_f32 v3, v28, v93, -v3
	v_fmac_f32_e32 v23, v31, v95
	v_add_f32_e32 v2, v2, v3
	v_mul_f32_e32 v3, v31, v96
	v_add_f32_e32 v22, v22, v23
	s_waitcnt vmcnt(38)
	v_mul_f32_e32 v23, v32, v98
	v_fma_f32 v3, v30, v95, -v3
	v_fmac_f32_e32 v23, v33, v97
	ds_read_b128 v[38:41], v1 offset:880
	ds_read_b128 v[42:45], v1 offset:896
	v_add_f32_e32 v2, v2, v3
	v_mul_f32_e32 v3, v33, v98
	v_add_f32_e32 v22, v22, v23
	s_waitcnt vmcnt(36) lgkmcnt(2)
	v_mul_f32_e32 v23, v34, v100
	v_fma_f32 v3, v32, v97, -v3
	v_fmac_f32_e32 v23, v35, v99
	v_add_f32_e32 v2, v2, v3
	v_mul_f32_e32 v3, v35, v100
	v_add_f32_e32 v22, v22, v23
	s_waitcnt vmcnt(34)
	v_mul_f32_e32 v23, v36, v102
	v_fma_f32 v3, v34, v99, -v3
	v_fmac_f32_e32 v23, v37, v101
	v_add_f32_e32 v2, v2, v3
	v_mul_f32_e32 v3, v37, v102
	v_add_f32_e32 v22, v22, v23
	s_waitcnt vmcnt(32) lgkmcnt(1)
	v_mul_f32_e32 v23, v38, v104
	v_fma_f32 v3, v36, v101, -v3
	v_fmac_f32_e32 v23, v39, v103
	v_add_f32_e32 v2, v2, v3
	v_mul_f32_e32 v3, v39, v104
	v_add_f32_e32 v22, v22, v23
	s_waitcnt vmcnt(30)
	v_mul_f32_e32 v23, v40, v106
	v_fma_f32 v3, v38, v103, -v3
	v_fmac_f32_e32 v23, v41, v105
	ds_read_b128 v[46:49], v1 offset:912
	ds_read_b128 v[50:53], v1 offset:928
	v_add_f32_e32 v2, v2, v3
	v_mul_f32_e32 v3, v41, v106
	v_add_f32_e32 v22, v22, v23
	s_waitcnt vmcnt(28) lgkmcnt(2)
	;; [unrolled: 30-line block ×4, first 2 shown]
	v_mul_f32_e32 v23, v58, v126
	v_fma_f32 v3, v56, v123, -v3
	v_fmac_f32_e32 v23, v59, v125
	v_add_f32_e32 v2, v2, v3
	v_mul_f32_e32 v3, v59, v126
	v_add_f32_e32 v22, v22, v23
	s_waitcnt vmcnt(10)
	v_mul_f32_e32 v23, v60, v128
	v_fma_f32 v3, v58, v125, -v3
	v_fmac_f32_e32 v23, v61, v127
	v_add_f32_e32 v2, v2, v3
	v_mul_f32_e32 v3, v61, v128
	v_add_f32_e32 v22, v22, v23
	s_waitcnt vmcnt(8) lgkmcnt(1)
	v_mul_f32_e32 v23, v62, v130
	v_fma_f32 v3, v60, v127, -v3
	v_fmac_f32_e32 v23, v63, v129
	v_add_f32_e32 v2, v2, v3
	v_mul_f32_e32 v3, v63, v130
	v_add_f32_e32 v22, v22, v23
	s_waitcnt vmcnt(7)
	v_mul_f32_e32 v23, v64, v131
	v_fma_f32 v3, v62, v129, -v3
	s_waitcnt vmcnt(4)
	v_fmac_f32_e32 v23, v65, v134
	v_add_f32_e32 v2, v2, v3
	v_mul_f32_e32 v3, v65, v131
	v_add_f32_e32 v139, v22, v23
	ds_read_b64 v[22:23], v1 offset:1008
	v_fma_f32 v3, v64, v134, -v3
	v_add_f32_e32 v2, v2, v3
	s_waitcnt lgkmcnt(1)
	v_mul_f32_e32 v3, v67, v133
	v_mul_f32_e32 v140, v66, v133
	v_fma_f32 v3, v66, v132, -v3
	v_fmac_f32_e32 v140, v67, v132
	v_add_f32_e32 v2, v2, v3
	s_waitcnt vmcnt(3)
	v_mul_f32_e32 v3, v69, v135
	v_add_f32_e32 v139, v139, v140
	v_mul_f32_e32 v140, v68, v135
	s_waitcnt vmcnt(0)
	v_fma_f32 v3, v68, v138, -v3
	v_fmac_f32_e32 v140, v69, v138
	v_add_f32_e32 v2, v2, v3
	s_waitcnt lgkmcnt(0)
	v_mul_f32_e32 v3, v23, v137
	v_add_f32_e32 v139, v139, v140
	v_mul_f32_e32 v140, v22, v137
	v_fma_f32 v3, v22, v136, -v3
	v_fmac_f32_e32 v140, v23, v136
	v_add_f32_e32 v2, v2, v3
	v_add_f32_e32 v139, v139, v140
	v_sub_f32_e32 v2, v91, v2
	v_sub_f32_e32 v3, v92, v139
	buffer_store_dword v2, off, s[0:3], 0 offset:232
	buffer_store_dword v3, off, s[0:3], 0 offset:236
	s_and_saveexec_b64 s[4:5], vcc
	s_cbranch_execz .LBB126_335
; %bb.334:
	buffer_load_dword v2, off, s[0:3], 0 offset:224
	buffer_load_dword v3, off, s[0:3], 0 offset:228
	s_waitcnt vmcnt(0)
	ds_write_b64 v25, v[2:3]
	buffer_store_dword v1, off, s[0:3], 0 offset:224
	buffer_store_dword v1, off, s[0:3], 0 offset:228
.LBB126_335:
	s_or_b64 exec, exec, s[4:5]
	s_waitcnt lgkmcnt(0)
	; wave barrier
	buffer_load_dword v22, off, s[0:3], 0 offset:236
	buffer_load_dword v23, off, s[0:3], 0 offset:244
	;; [unrolled: 1-line block ×32, first 2 shown]
	ds_read2_b64 v[2:5], v1 offset0:93 offset1:94
	ds_read2_b64 v[6:9], v1 offset0:95 offset1:96
	;; [unrolled: 1-line block ×6, first 2 shown]
	buffer_load_dword v103, off, s[0:3], 0 offset:352
	buffer_load_dword v104, off, s[0:3], 0 offset:356
	;; [unrolled: 1-line block ×38, first 2 shown]
	v_cmp_lt_u32_e32 vcc, 27, v0
	s_waitcnt vmcnt(62) lgkmcnt(5)
	v_mul_f32_e32 v30, v2, v22
	v_mul_f32_e32 v31, v4, v23
	s_waitcnt lgkmcnt(4)
	v_mul_f32_e32 v32, v6, v24
	v_mul_f32_e32 v33, v8, v74
	s_waitcnt lgkmcnt(3)
	;; [unrolled: 3-line block ×3, first 2 shown]
	v_mul_f32_e32 v36, v14, v77
	v_mul_f32_e32 v37, v16, v78
	s_waitcnt vmcnt(61)
	v_fmac_f32_e32 v32, v7, v79
	s_waitcnt vmcnt(60)
	v_fmac_f32_e32 v31, v5, v80
	;; [unrolled: 2-line block ×3, first 2 shown]
	v_add_f32_e32 v30, 0, v30
	v_add_f32_e32 v30, v30, v31
	;; [unrolled: 1-line block ×3, first 2 shown]
	s_waitcnt vmcnt(55)
	v_fmac_f32_e32 v33, v9, v85
	v_fmac_f32_e32 v34, v11, v84
	v_add_f32_e32 v30, v30, v33
	v_fmac_f32_e32 v35, v13, v83
	v_add_f32_e32 v30, v30, v34
	;; [unrolled: 2-line block ×3, first 2 shown]
	s_waitcnt vmcnt(51)
	v_fmac_f32_e32 v37, v17, v89
	v_add_f32_e32 v30, v30, v36
	s_waitcnt vmcnt(50) lgkmcnt(1)
	v_mul_f32_e32 v31, v18, v90
	v_add_f32_e32 v30, v30, v37
	v_fmac_f32_e32 v31, v19, v88
	v_mul_f32_e32 v3, v3, v22
	v_add_f32_e32 v30, v30, v31
	s_waitcnt vmcnt(49)
	v_mul_f32_e32 v31, v20, v91
	v_fma_f32 v2, v2, v81, -v3
	v_mul_f32_e32 v3, v5, v23
	v_fmac_f32_e32 v31, v21, v87
	v_add_f32_e32 v2, 0, v2
	v_fma_f32 v3, v4, v80, -v3
	v_add_f32_e32 v30, v30, v31
	s_waitcnt vmcnt(48) lgkmcnt(0)
	v_mul_f32_e32 v31, v26, v92
	v_add_f32_e32 v2, v2, v3
	v_mul_f32_e32 v3, v7, v24
	v_fmac_f32_e32 v31, v27, v86
	v_fma_f32 v3, v6, v79, -v3
	v_add_f32_e32 v34, v30, v31
	ds_read2_b64 v[30:33], v1 offset0:105 offset1:106
	v_add_f32_e32 v2, v2, v3
	v_mul_f32_e32 v3, v9, v74
	v_fma_f32 v3, v8, v85, -v3
	s_waitcnt vmcnt(45)
	v_mul_f32_e32 v35, v28, v95
	v_add_f32_e32 v2, v2, v3
	v_mul_f32_e32 v3, v11, v75
	s_waitcnt vmcnt(38)
	v_fmac_f32_e32 v35, v29, v102
	v_fma_f32 v3, v10, v84, -v3
	v_add_f32_e32 v38, v34, v35
	ds_read2_b64 v[34:37], v1 offset0:107 offset1:108
	v_add_f32_e32 v2, v2, v3
	v_mul_f32_e32 v3, v13, v76
	s_waitcnt lgkmcnt(1)
	v_mul_f32_e32 v39, v30, v97
	v_fma_f32 v3, v12, v83, -v3
	v_fmac_f32_e32 v39, v31, v96
	v_add_f32_e32 v2, v2, v3
	v_mul_f32_e32 v3, v15, v77
	v_add_f32_e32 v38, v38, v39
	v_mul_f32_e32 v39, v32, v99
	v_fma_f32 v3, v14, v82, -v3
	v_fmac_f32_e32 v39, v33, v98
	v_add_f32_e32 v2, v2, v3
	v_mul_f32_e32 v3, v17, v78
	v_add_f32_e32 v38, v38, v39
	s_waitcnt lgkmcnt(0)
	v_mul_f32_e32 v39, v34, v101
	v_fma_f32 v3, v16, v89, -v3
	v_fmac_f32_e32 v39, v35, v100
	v_add_f32_e32 v2, v2, v3
	v_mul_f32_e32 v3, v19, v90
	v_add_f32_e32 v42, v38, v39
	ds_read2_b64 v[38:41], v1 offset0:109 offset1:110
	v_fma_f32 v3, v18, v88, -v3
	v_add_f32_e32 v2, v2, v3
	v_mul_f32_e32 v3, v21, v91
	s_waitcnt vmcnt(36)
	v_mul_f32_e32 v43, v36, v104
	v_fma_f32 v3, v20, v87, -v3
	v_fmac_f32_e32 v43, v37, v103
	v_add_f32_e32 v2, v2, v3
	v_mul_f32_e32 v3, v27, v92
	v_add_f32_e32 v46, v42, v43
	ds_read2_b64 v[42:45], v1 offset0:111 offset1:112
	v_fma_f32 v3, v26, v86, -v3
	s_waitcnt vmcnt(34) lgkmcnt(1)
	v_mul_f32_e32 v47, v38, v106
	v_add_f32_e32 v2, v2, v3
	v_mul_f32_e32 v3, v29, v95
	v_fmac_f32_e32 v47, v39, v105
	v_fma_f32 v3, v28, v102, -v3
	v_add_f32_e32 v46, v46, v47
	s_waitcnt vmcnt(32)
	v_mul_f32_e32 v47, v40, v108
	v_add_f32_e32 v2, v2, v3
	v_mul_f32_e32 v3, v31, v97
	v_fmac_f32_e32 v47, v41, v107
	v_fma_f32 v3, v30, v96, -v3
	v_add_f32_e32 v46, v46, v47
	s_waitcnt vmcnt(30) lgkmcnt(0)
	v_mul_f32_e32 v47, v42, v110
	v_add_f32_e32 v2, v2, v3
	v_mul_f32_e32 v3, v33, v99
	v_fmac_f32_e32 v47, v43, v109
	v_fma_f32 v3, v32, v98, -v3
	v_add_f32_e32 v50, v46, v47
	ds_read2_b64 v[46:49], v1 offset0:113 offset1:114
	v_add_f32_e32 v2, v2, v3
	v_mul_f32_e32 v3, v35, v101
	v_fma_f32 v3, v34, v100, -v3
	s_waitcnt vmcnt(28)
	v_mul_f32_e32 v51, v44, v112
	v_add_f32_e32 v2, v2, v3
	v_mul_f32_e32 v3, v37, v104
	v_fmac_f32_e32 v51, v45, v111
	v_fma_f32 v3, v36, v103, -v3
	v_add_f32_e32 v54, v50, v51
	ds_read2_b64 v[50:53], v1 offset0:115 offset1:116
	v_add_f32_e32 v2, v2, v3
	v_mul_f32_e32 v3, v39, v106
	s_waitcnt vmcnt(26) lgkmcnt(1)
	v_mul_f32_e32 v55, v46, v114
	v_fma_f32 v3, v38, v105, -v3
	v_fmac_f32_e32 v55, v47, v113
	v_add_f32_e32 v2, v2, v3
	v_mul_f32_e32 v3, v41, v108
	v_add_f32_e32 v54, v54, v55
	s_waitcnt vmcnt(24)
	v_mul_f32_e32 v55, v48, v116
	v_fma_f32 v3, v40, v107, -v3
	v_fmac_f32_e32 v55, v49, v115
	v_add_f32_e32 v2, v2, v3
	v_mul_f32_e32 v3, v43, v110
	v_add_f32_e32 v54, v54, v55
	s_waitcnt vmcnt(22) lgkmcnt(0)
	v_mul_f32_e32 v55, v50, v118
	v_fma_f32 v3, v42, v109, -v3
	v_fmac_f32_e32 v55, v51, v117
	v_add_f32_e32 v2, v2, v3
	v_mul_f32_e32 v3, v45, v112
	v_add_f32_e32 v58, v54, v55
	ds_read2_b64 v[54:57], v1 offset0:117 offset1:118
	v_fma_f32 v3, v44, v111, -v3
	v_add_f32_e32 v2, v2, v3
	v_mul_f32_e32 v3, v47, v114
	s_waitcnt vmcnt(20)
	v_mul_f32_e32 v59, v52, v122
	v_fma_f32 v3, v46, v113, -v3
	v_fmac_f32_e32 v59, v53, v119
	v_add_f32_e32 v2, v2, v3
	v_mul_f32_e32 v3, v49, v116
	v_add_f32_e32 v62, v58, v59
	ds_read2_b64 v[58:61], v1 offset0:119 offset1:120
	v_fma_f32 v3, v48, v115, -v3
	s_waitcnt vmcnt(18) lgkmcnt(1)
	v_mul_f32_e32 v63, v54, v124
	v_add_f32_e32 v2, v2, v3
	v_mul_f32_e32 v3, v51, v118
	v_fmac_f32_e32 v63, v55, v123
	v_fma_f32 v3, v50, v117, -v3
	v_add_f32_e32 v62, v62, v63
	s_waitcnt vmcnt(16)
	v_mul_f32_e32 v63, v56, v126
	v_add_f32_e32 v2, v2, v3
	v_mul_f32_e32 v3, v53, v122
	v_fmac_f32_e32 v63, v57, v125
	v_fma_f32 v3, v52, v119, -v3
	v_add_f32_e32 v62, v62, v63
	s_waitcnt vmcnt(14) lgkmcnt(0)
	v_mul_f32_e32 v63, v58, v128
	v_add_f32_e32 v2, v2, v3
	v_mul_f32_e32 v3, v55, v124
	v_fmac_f32_e32 v63, v59, v127
	v_fma_f32 v3, v54, v123, -v3
	v_add_f32_e32 v66, v62, v63
	ds_read2_b64 v[62:65], v1 offset0:121 offset1:122
	v_add_f32_e32 v2, v2, v3
	v_mul_f32_e32 v3, v57, v126
	v_fma_f32 v3, v56, v125, -v3
	v_add_f32_e32 v2, v2, v3
	v_mul_f32_e32 v3, v59, v128
	s_waitcnt vmcnt(12)
	v_mul_f32_e32 v67, v60, v130
	v_fma_f32 v3, v58, v127, -v3
	v_fmac_f32_e32 v67, v61, v129
	v_add_f32_e32 v2, v2, v3
	v_mul_f32_e32 v3, v61, v130
	v_add_f32_e32 v70, v66, v67
	ds_read2_b64 v[66:69], v1 offset0:123 offset1:124
	s_waitcnt vmcnt(10) lgkmcnt(1)
	v_mul_f32_e32 v71, v62, v132
	v_fma_f32 v3, v60, v129, -v3
	v_fmac_f32_e32 v71, v63, v131
	v_add_f32_e32 v2, v2, v3
	v_mul_f32_e32 v3, v63, v132
	v_add_f32_e32 v70, v70, v71
	s_waitcnt vmcnt(9)
	v_mul_f32_e32 v71, v64, v133
	v_fma_f32 v3, v62, v131, -v3
	s_waitcnt vmcnt(6)
	v_fmac_f32_e32 v71, v65, v136
	v_add_f32_e32 v2, v2, v3
	v_mul_f32_e32 v3, v65, v133
	v_add_f32_e32 v143, v70, v71
	ds_read2_b64 v[70:73], v1 offset0:125 offset1:126
	v_fma_f32 v3, v64, v136, -v3
	v_add_f32_e32 v2, v2, v3
	s_waitcnt lgkmcnt(1)
	v_mul_f32_e32 v3, v67, v135
	v_mul_f32_e32 v144, v66, v135
	v_fma_f32 v3, v66, v134, -v3
	v_fmac_f32_e32 v144, v67, v134
	v_add_f32_e32 v2, v2, v3
	s_waitcnt vmcnt(4)
	v_mul_f32_e32 v3, v69, v138
	v_add_f32_e32 v1, v143, v144
	v_mul_f32_e32 v143, v68, v138
	v_fma_f32 v3, v68, v137, -v3
	v_fmac_f32_e32 v143, v69, v137
	v_add_f32_e32 v2, v2, v3
	s_waitcnt vmcnt(3) lgkmcnt(0)
	v_mul_f32_e32 v3, v71, v139
	v_add_f32_e32 v1, v1, v143
	v_mul_f32_e32 v143, v70, v139
	s_waitcnt vmcnt(0)
	v_fma_f32 v3, v70, v142, -v3
	v_fmac_f32_e32 v143, v71, v142
	v_add_f32_e32 v2, v2, v3
	v_mul_f32_e32 v3, v73, v141
	v_add_f32_e32 v1, v1, v143
	v_mul_f32_e32 v143, v72, v141
	v_fma_f32 v3, v72, v140, -v3
	v_fmac_f32_e32 v143, v73, v140
	v_add_f32_e32 v2, v2, v3
	v_add_f32_e32 v1, v1, v143
	v_sub_f32_e32 v2, v93, v2
	v_sub_f32_e32 v1, v94, v1
	buffer_store_dword v2, off, s[0:3], 0 offset:224
	buffer_store_dword v1, off, s[0:3], 0 offset:228
	s_and_saveexec_b64 s[4:5], vcc
	s_cbranch_execz .LBB126_337
; %bb.336:
	buffer_load_dword v1, off, s[0:3], 0 offset:216
	buffer_load_dword v2, off, s[0:3], 0 offset:220
	v_mov_b32_e32 v3, 0
	buffer_store_dword v3, off, s[0:3], 0 offset:216
	buffer_store_dword v3, off, s[0:3], 0 offset:220
	s_waitcnt vmcnt(2)
	ds_write_b64 v25, v[1:2]
.LBB126_337:
	s_or_b64 exec, exec, s[4:5]
	s_waitcnt lgkmcnt(0)
	; wave barrier
	buffer_load_dword v24, off, s[0:3], 0 offset:228
	buffer_load_dword v74, off, s[0:3], 0 offset:236
	;; [unrolled: 1-line block ×56, first 2 shown]
	v_mov_b32_e32 v1, 0
	ds_read_b128 v[2:5], v1 offset:736
	ds_read_b128 v[6:9], v1 offset:752
	;; [unrolled: 1-line block ×6, first 2 shown]
	buffer_load_dword v131, off, s[0:3], 0 offset:440
	buffer_load_dword v132, off, s[0:3], 0 offset:444
	;; [unrolled: 1-line block ×16, first 2 shown]
	ds_read_b128 v[38:41], v1 offset:864
	ds_read_b128 v[42:45], v1 offset:880
	;; [unrolled: 1-line block ×9, first 2 shown]
	v_cmp_lt_u32_e32 vcc, 26, v0
	s_waitcnt vmcnt(62) lgkmcnt(14)
	v_mul_f32_e32 v22, v2, v24
	v_mul_f32_e32 v23, v4, v74
	s_waitcnt lgkmcnt(13)
	v_mul_f32_e32 v30, v6, v75
	v_mul_f32_e32 v31, v8, v76
	s_waitcnt lgkmcnt(12)
	;; [unrolled: 3-line block ×4, first 2 shown]
	v_mul_f32_e32 v36, v18, v81
	v_fmac_f32_e32 v30, v7, v82
	s_waitcnt vmcnt(61)
	v_fmac_f32_e32 v23, v5, v83
	s_waitcnt vmcnt(60)
	v_fmac_f32_e32 v22, v3, v84
	v_mul_f32_e32 v3, v3, v24
	v_fma_f32 v2, v2, v84, -v3
	v_mul_f32_e32 v3, v5, v74
	v_add_f32_e32 v2, 0, v2
	v_fma_f32 v3, v4, v83, -v3
	v_add_f32_e32 v2, v2, v3
	v_mul_f32_e32 v3, v7, v75
	v_fma_f32 v3, v6, v82, -v3
	v_add_f32_e32 v2, v2, v3
	v_mul_f32_e32 v3, v9, v76
	s_waitcnt vmcnt(56)
	v_fma_f32 v3, v8, v88, -v3
	v_add_f32_e32 v2, v2, v3
	v_mul_f32_e32 v3, v11, v77
	v_fma_f32 v3, v10, v87, -v3
	v_add_f32_e32 v22, 0, v22
	v_add_f32_e32 v2, v2, v3
	v_mul_f32_e32 v3, v13, v78
	v_add_f32_e32 v22, v22, v23
	v_fma_f32 v3, v12, v86, -v3
	v_fmac_f32_e32 v31, v9, v88
	v_add_f32_e32 v22, v22, v30
	v_add_f32_e32 v2, v2, v3
	v_mul_f32_e32 v3, v15, v79
	v_fmac_f32_e32 v32, v11, v87
	v_add_f32_e32 v22, v22, v31
	v_fma_f32 v3, v14, v85, -v3
	v_fmac_f32_e32 v33, v13, v86
	v_add_f32_e32 v22, v22, v32
	v_add_f32_e32 v2, v2, v3
	v_mul_f32_e32 v3, v17, v80
	v_fmac_f32_e32 v34, v15, v85
	v_add_f32_e32 v22, v22, v33
	s_waitcnt vmcnt(52)
	v_fma_f32 v3, v16, v92, -v3
	v_fmac_f32_e32 v35, v17, v92
	v_add_f32_e32 v22, v22, v34
	v_add_f32_e32 v2, v2, v3
	v_mul_f32_e32 v3, v19, v81
	v_add_f32_e32 v22, v22, v35
	v_fmac_f32_e32 v36, v19, v91
	s_waitcnt vmcnt(51)
	v_mul_f32_e32 v23, v20, v93
	v_fma_f32 v3, v18, v91, -v3
	v_add_f32_e32 v22, v22, v36
	v_fmac_f32_e32 v23, v21, v90
	ds_read_b128 v[30:33], v1 offset:832
	ds_read_b128 v[34:37], v1 offset:848
	v_add_f32_e32 v2, v2, v3
	v_mul_f32_e32 v3, v21, v93
	v_add_f32_e32 v22, v22, v23
	s_waitcnt vmcnt(50) lgkmcnt(11)
	v_mul_f32_e32 v23, v26, v94
	v_fma_f32 v3, v20, v90, -v3
	v_fmac_f32_e32 v23, v27, v89
	v_add_f32_e32 v2, v2, v3
	v_mul_f32_e32 v3, v27, v94
	v_add_f32_e32 v22, v22, v23
	s_waitcnt vmcnt(46)
	v_mul_f32_e32 v23, v28, v98
	v_fma_f32 v3, v26, v89, -v3
	v_fmac_f32_e32 v23, v29, v97
	v_add_f32_e32 v2, v2, v3
	v_mul_f32_e32 v3, v29, v98
	v_add_f32_e32 v22, v22, v23
	s_waitcnt vmcnt(44) lgkmcnt(1)
	v_mul_f32_e32 v23, v30, v100
	v_fma_f32 v3, v28, v97, -v3
	v_fmac_f32_e32 v23, v31, v99
	v_add_f32_e32 v2, v2, v3
	v_mul_f32_e32 v3, v31, v100
	v_add_f32_e32 v22, v22, v23
	s_waitcnt vmcnt(42)
	v_mul_f32_e32 v23, v32, v102
	v_fma_f32 v3, v30, v99, -v3
	v_fmac_f32_e32 v23, v33, v101
	;; [unrolled: 14-line block ×3, first 2 shown]
	v_add_f32_e32 v2, v2, v3
	v_mul_f32_e32 v3, v37, v106
	v_add_f32_e32 v22, v22, v23
	s_waitcnt vmcnt(36)
	v_mul_f32_e32 v23, v38, v108
	v_fma_f32 v3, v36, v105, -v3
	v_fmac_f32_e32 v23, v39, v107
	v_add_f32_e32 v2, v2, v3
	v_mul_f32_e32 v3, v39, v108
	v_add_f32_e32 v22, v22, v23
	s_waitcnt vmcnt(34)
	v_mul_f32_e32 v23, v40, v110
	v_fma_f32 v3, v38, v107, -v3
	v_fmac_f32_e32 v23, v41, v109
	;; [unrolled: 7-line block ×13, first 2 shown]
	v_add_f32_e32 v2, v2, v3
	v_mul_f32_e32 v3, v63, v134
	v_add_f32_e32 v22, v22, v23
	s_waitcnt vmcnt(11)
	v_mul_f32_e32 v23, v64, v135
	v_fma_f32 v3, v62, v133, -v3
	s_waitcnt vmcnt(8)
	v_fmac_f32_e32 v23, v65, v138
	v_add_f32_e32 v2, v2, v3
	v_mul_f32_e32 v3, v65, v135
	v_add_f32_e32 v22, v22, v23
	v_mul_f32_e32 v23, v66, v137
	v_fma_f32 v3, v64, v138, -v3
	v_fmac_f32_e32 v23, v67, v136
	v_add_f32_e32 v2, v2, v3
	v_mul_f32_e32 v3, v67, v137
	v_add_f32_e32 v22, v22, v23
	s_waitcnt vmcnt(6)
	v_mul_f32_e32 v23, v68, v140
	v_fma_f32 v3, v66, v136, -v3
	v_fmac_f32_e32 v23, v69, v139
	v_add_f32_e32 v2, v2, v3
	v_mul_f32_e32 v3, v69, v140
	v_add_f32_e32 v147, v22, v23
	ds_read_b64 v[22:23], v1 offset:1008
	v_fma_f32 v3, v68, v139, -v3
	v_add_f32_e32 v2, v2, v3
	s_waitcnt vmcnt(4)
	v_mul_f32_e32 v3, v71, v142
	v_mul_f32_e32 v148, v70, v142
	v_fma_f32 v3, v70, v141, -v3
	v_fmac_f32_e32 v148, v71, v141
	v_add_f32_e32 v2, v2, v3
	s_waitcnt vmcnt(3)
	v_mul_f32_e32 v3, v73, v143
	v_add_f32_e32 v147, v147, v148
	v_mul_f32_e32 v148, v72, v143
	s_waitcnt vmcnt(0)
	v_fma_f32 v3, v72, v146, -v3
	v_fmac_f32_e32 v148, v73, v146
	v_add_f32_e32 v2, v2, v3
	s_waitcnt lgkmcnt(0)
	v_mul_f32_e32 v3, v23, v145
	v_add_f32_e32 v147, v147, v148
	v_mul_f32_e32 v148, v22, v145
	v_fma_f32 v3, v22, v144, -v3
	v_fmac_f32_e32 v148, v23, v144
	v_add_f32_e32 v2, v2, v3
	v_add_f32_e32 v147, v147, v148
	v_sub_f32_e32 v2, v95, v2
	v_sub_f32_e32 v3, v96, v147
	buffer_store_dword v2, off, s[0:3], 0 offset:216
	buffer_store_dword v3, off, s[0:3], 0 offset:220
	s_and_saveexec_b64 s[4:5], vcc
	s_cbranch_execz .LBB126_339
; %bb.338:
	buffer_load_dword v2, off, s[0:3], 0 offset:208
	buffer_load_dword v3, off, s[0:3], 0 offset:212
	s_waitcnt vmcnt(0)
	ds_write_b64 v25, v[2:3]
	buffer_store_dword v1, off, s[0:3], 0 offset:208
	buffer_store_dword v1, off, s[0:3], 0 offset:212
.LBB126_339:
	s_or_b64 exec, exec, s[4:5]
	s_waitcnt lgkmcnt(0)
	; wave barrier
	buffer_load_dword v22, off, s[0:3], 0 offset:220
	buffer_load_dword v23, off, s[0:3], 0 offset:228
	;; [unrolled: 1-line block ×26, first 2 shown]
	ds_read2_b64 v[2:5], v1 offset0:91 offset1:92
	ds_read2_b64 v[6:9], v1 offset0:93 offset1:94
	;; [unrolled: 1-line block ×6, first 2 shown]
	buffer_load_dword v101, off, s[0:3], 0 offset:312
	buffer_load_dword v102, off, s[0:3], 0 offset:316
	;; [unrolled: 1-line block ×46, first 2 shown]
	v_cmp_lt_u32_e32 vcc, 25, v0
	s_waitcnt vmcnt(62) lgkmcnt(5)
	v_mul_f32_e32 v30, v2, v22
	v_mul_f32_e32 v31, v4, v23
	s_waitcnt lgkmcnt(4)
	v_mul_f32_e32 v32, v6, v24
	v_mul_f32_e32 v33, v8, v78
	s_waitcnt lgkmcnt(3)
	;; [unrolled: 3-line block ×4, first 2 shown]
	v_mul_f32_e32 v38, v18, v83
	v_fmac_f32_e32 v32, v7, v84
	s_waitcnt vmcnt(61)
	v_fmac_f32_e32 v31, v5, v85
	s_waitcnt vmcnt(60)
	v_fmac_f32_e32 v30, v3, v86
	v_add_f32_e32 v30, 0, v30
	v_add_f32_e32 v30, v30, v31
	;; [unrolled: 1-line block ×3, first 2 shown]
	s_waitcnt vmcnt(56)
	v_fmac_f32_e32 v33, v9, v90
	v_fmac_f32_e32 v34, v11, v89
	v_add_f32_e32 v30, v30, v33
	v_fmac_f32_e32 v35, v13, v88
	v_add_f32_e32 v30, v30, v34
	;; [unrolled: 2-line block ×3, first 2 shown]
	s_waitcnt vmcnt(52)
	v_fmac_f32_e32 v37, v17, v94
	v_add_f32_e32 v30, v30, v36
	v_fmac_f32_e32 v38, v19, v93
	v_add_f32_e32 v30, v30, v37
	s_waitcnt vmcnt(51)
	v_mul_f32_e32 v31, v20, v95
	v_add_f32_e32 v30, v30, v38
	v_fmac_f32_e32 v31, v21, v92
	v_add_f32_e32 v30, v30, v31
	s_waitcnt vmcnt(50) lgkmcnt(0)
	v_mul_f32_e32 v31, v26, v96
	v_fmac_f32_e32 v31, v27, v91
	s_waitcnt vmcnt(46)
	v_mul_f32_e32 v35, v28, v100
	v_add_f32_e32 v34, v30, v31
	v_fmac_f32_e32 v35, v29, v99
	ds_read2_b64 v[30:33], v1 offset0:103 offset1:104
	v_add_f32_e32 v38, v34, v35
	ds_read2_b64 v[34:37], v1 offset0:105 offset1:106
	buffer_load_dword v149, off, s[0:3], 0 offset:496
	buffer_load_dword v150, off, s[0:3], 0 offset:500
	v_mul_f32_e32 v3, v3, v22
	v_fma_f32 v2, v2, v86, -v3
	v_mul_f32_e32 v3, v5, v23
	v_add_f32_e32 v2, 0, v2
	v_fma_f32 v3, v4, v85, -v3
	v_add_f32_e32 v2, v2, v3
	v_mul_f32_e32 v3, v7, v24
	v_fma_f32 v3, v6, v84, -v3
	v_add_f32_e32 v2, v2, v3
	v_mul_f32_e32 v3, v9, v78
	;; [unrolled: 3-line block ×3, first 2 shown]
	s_waitcnt vmcnt(46) lgkmcnt(1)
	v_mul_f32_e32 v39, v30, v102
	v_fma_f32 v3, v10, v89, -v3
	v_fmac_f32_e32 v39, v31, v101
	v_add_f32_e32 v2, v2, v3
	v_mul_f32_e32 v3, v13, v80
	v_add_f32_e32 v38, v38, v39
	s_waitcnt vmcnt(44)
	v_mul_f32_e32 v39, v32, v104
	v_fma_f32 v3, v12, v88, -v3
	v_fmac_f32_e32 v39, v33, v103
	v_add_f32_e32 v2, v2, v3
	v_mul_f32_e32 v3, v15, v81
	v_add_f32_e32 v38, v38, v39
	s_waitcnt vmcnt(42) lgkmcnt(0)
	v_mul_f32_e32 v39, v34, v106
	v_fma_f32 v3, v14, v87, -v3
	v_fmac_f32_e32 v39, v35, v105
	v_add_f32_e32 v2, v2, v3
	v_mul_f32_e32 v3, v17, v82
	v_add_f32_e32 v42, v38, v39
	ds_read2_b64 v[38:41], v1 offset0:107 offset1:108
	v_fma_f32 v3, v16, v94, -v3
	v_add_f32_e32 v2, v2, v3
	v_mul_f32_e32 v3, v19, v83
	s_waitcnt vmcnt(40)
	v_mul_f32_e32 v43, v36, v108
	v_fma_f32 v3, v18, v93, -v3
	v_fmac_f32_e32 v43, v37, v107
	v_add_f32_e32 v2, v2, v3
	v_mul_f32_e32 v3, v21, v95
	v_add_f32_e32 v46, v42, v43
	ds_read2_b64 v[42:45], v1 offset0:109 offset1:110
	v_fma_f32 v3, v20, v92, -v3
	s_waitcnt vmcnt(38) lgkmcnt(1)
	v_mul_f32_e32 v47, v38, v110
	v_add_f32_e32 v2, v2, v3
	v_mul_f32_e32 v3, v27, v96
	v_fmac_f32_e32 v47, v39, v109
	v_fma_f32 v3, v26, v91, -v3
	v_add_f32_e32 v46, v46, v47
	s_waitcnt vmcnt(36)
	v_mul_f32_e32 v47, v40, v112
	v_add_f32_e32 v2, v2, v3
	v_mul_f32_e32 v3, v29, v100
	v_fmac_f32_e32 v47, v41, v111
	v_fma_f32 v3, v28, v99, -v3
	v_add_f32_e32 v46, v46, v47
	s_waitcnt vmcnt(34) lgkmcnt(0)
	v_mul_f32_e32 v47, v42, v114
	v_add_f32_e32 v2, v2, v3
	v_mul_f32_e32 v3, v31, v102
	v_fmac_f32_e32 v47, v43, v113
	v_fma_f32 v3, v30, v101, -v3
	v_add_f32_e32 v50, v46, v47
	ds_read2_b64 v[46:49], v1 offset0:111 offset1:112
	v_add_f32_e32 v2, v2, v3
	v_mul_f32_e32 v3, v33, v104
	v_fma_f32 v3, v32, v103, -v3
	s_waitcnt vmcnt(32)
	v_mul_f32_e32 v51, v44, v116
	v_add_f32_e32 v2, v2, v3
	v_mul_f32_e32 v3, v35, v106
	v_fmac_f32_e32 v51, v45, v115
	v_fma_f32 v3, v34, v105, -v3
	v_add_f32_e32 v54, v50, v51
	ds_read2_b64 v[50:53], v1 offset0:113 offset1:114
	v_add_f32_e32 v2, v2, v3
	v_mul_f32_e32 v3, v37, v108
	s_waitcnt vmcnt(30) lgkmcnt(1)
	v_mul_f32_e32 v55, v46, v118
	v_fma_f32 v3, v36, v107, -v3
	v_fmac_f32_e32 v55, v47, v117
	v_add_f32_e32 v2, v2, v3
	v_mul_f32_e32 v3, v39, v110
	v_add_f32_e32 v54, v54, v55
	s_waitcnt vmcnt(28)
	v_mul_f32_e32 v55, v48, v122
	v_fma_f32 v3, v38, v109, -v3
	v_fmac_f32_e32 v55, v49, v119
	v_add_f32_e32 v2, v2, v3
	v_mul_f32_e32 v3, v41, v112
	v_add_f32_e32 v54, v54, v55
	s_waitcnt vmcnt(26) lgkmcnt(0)
	v_mul_f32_e32 v55, v50, v124
	v_fma_f32 v3, v40, v111, -v3
	v_fmac_f32_e32 v55, v51, v123
	v_add_f32_e32 v2, v2, v3
	v_mul_f32_e32 v3, v43, v114
	v_add_f32_e32 v58, v54, v55
	ds_read2_b64 v[54:57], v1 offset0:115 offset1:116
	v_fma_f32 v3, v42, v113, -v3
	v_add_f32_e32 v2, v2, v3
	v_mul_f32_e32 v3, v45, v116
	s_waitcnt vmcnt(24)
	v_mul_f32_e32 v59, v52, v126
	v_fma_f32 v3, v44, v115, -v3
	v_fmac_f32_e32 v59, v53, v125
	v_add_f32_e32 v2, v2, v3
	v_mul_f32_e32 v3, v47, v118
	v_add_f32_e32 v62, v58, v59
	ds_read2_b64 v[58:61], v1 offset0:117 offset1:118
	v_fma_f32 v3, v46, v117, -v3
	s_waitcnt vmcnt(22) lgkmcnt(1)
	v_mul_f32_e32 v63, v54, v128
	v_add_f32_e32 v2, v2, v3
	v_mul_f32_e32 v3, v49, v122
	v_fmac_f32_e32 v63, v55, v127
	v_fma_f32 v3, v48, v119, -v3
	v_add_f32_e32 v62, v62, v63
	s_waitcnt vmcnt(20)
	v_mul_f32_e32 v63, v56, v130
	v_add_f32_e32 v2, v2, v3
	v_mul_f32_e32 v3, v51, v124
	v_fmac_f32_e32 v63, v57, v129
	v_fma_f32 v3, v50, v123, -v3
	v_add_f32_e32 v62, v62, v63
	s_waitcnt vmcnt(18) lgkmcnt(0)
	v_mul_f32_e32 v63, v58, v132
	v_add_f32_e32 v2, v2, v3
	v_mul_f32_e32 v3, v53, v126
	v_fmac_f32_e32 v63, v59, v131
	v_fma_f32 v3, v52, v125, -v3
	v_add_f32_e32 v66, v62, v63
	ds_read2_b64 v[62:65], v1 offset0:119 offset1:120
	v_add_f32_e32 v2, v2, v3
	v_mul_f32_e32 v3, v55, v128
	v_fma_f32 v3, v54, v127, -v3
	s_waitcnt vmcnt(16)
	v_mul_f32_e32 v67, v60, v134
	v_add_f32_e32 v2, v2, v3
	v_mul_f32_e32 v3, v57, v130
	v_fmac_f32_e32 v67, v61, v133
	v_fma_f32 v3, v56, v129, -v3
	v_add_f32_e32 v70, v66, v67
	ds_read2_b64 v[66:69], v1 offset0:121 offset1:122
	v_add_f32_e32 v2, v2, v3
	v_mul_f32_e32 v3, v59, v132
	s_waitcnt vmcnt(14) lgkmcnt(1)
	v_mul_f32_e32 v71, v62, v136
	v_fma_f32 v3, v58, v131, -v3
	v_fmac_f32_e32 v71, v63, v135
	v_add_f32_e32 v2, v2, v3
	v_mul_f32_e32 v3, v61, v134
	v_add_f32_e32 v70, v70, v71
	s_waitcnt vmcnt(13)
	v_mul_f32_e32 v71, v64, v137
	v_fma_f32 v3, v60, v133, -v3
	s_waitcnt vmcnt(10)
	v_fmac_f32_e32 v71, v65, v140
	v_add_f32_e32 v2, v2, v3
	v_mul_f32_e32 v3, v63, v136
	v_add_f32_e32 v70, v70, v71
	s_waitcnt lgkmcnt(0)
	v_mul_f32_e32 v71, v66, v139
	v_fma_f32 v3, v62, v135, -v3
	v_fmac_f32_e32 v71, v67, v138
	v_add_f32_e32 v2, v2, v3
	v_mul_f32_e32 v3, v65, v137
	v_add_f32_e32 v74, v70, v71
	ds_read2_b64 v[70:73], v1 offset0:123 offset1:124
	v_fma_f32 v3, v64, v140, -v3
	v_add_f32_e32 v2, v2, v3
	v_mul_f32_e32 v3, v67, v139
	s_waitcnt vmcnt(8)
	v_mul_f32_e32 v75, v68, v142
	v_fma_f32 v3, v66, v138, -v3
	v_fmac_f32_e32 v75, v69, v141
	v_add_f32_e32 v2, v2, v3
	v_mul_f32_e32 v3, v69, v142
	v_add_f32_e32 v151, v74, v75
	ds_read2_b64 v[74:77], v1 offset0:125 offset1:126
	v_fma_f32 v3, v68, v141, -v3
	v_add_f32_e32 v2, v2, v3
	s_waitcnt vmcnt(6) lgkmcnt(1)
	v_mul_f32_e32 v3, v71, v144
	v_mul_f32_e32 v1, v70, v144
	v_fma_f32 v3, v70, v143, -v3
	v_fmac_f32_e32 v1, v71, v143
	v_add_f32_e32 v2, v2, v3
	s_waitcnt vmcnt(5)
	v_mul_f32_e32 v3, v73, v145
	v_add_f32_e32 v1, v151, v1
	v_mul_f32_e32 v151, v72, v145
	s_waitcnt vmcnt(2)
	v_fma_f32 v3, v72, v148, -v3
	v_fmac_f32_e32 v151, v73, v148
	v_add_f32_e32 v2, v2, v3
	s_waitcnt lgkmcnt(0)
	v_mul_f32_e32 v3, v75, v147
	v_add_f32_e32 v1, v1, v151
	v_mul_f32_e32 v151, v74, v147
	v_fma_f32 v3, v74, v146, -v3
	v_fmac_f32_e32 v151, v75, v146
	v_add_f32_e32 v2, v2, v3
	s_waitcnt vmcnt(0)
	v_mul_f32_e32 v3, v77, v150
	v_add_f32_e32 v1, v1, v151
	v_mul_f32_e32 v151, v76, v150
	v_fma_f32 v3, v76, v149, -v3
	v_fmac_f32_e32 v151, v77, v149
	v_add_f32_e32 v2, v2, v3
	v_add_f32_e32 v1, v1, v151
	v_sub_f32_e32 v2, v97, v2
	v_sub_f32_e32 v1, v98, v1
	buffer_store_dword v2, off, s[0:3], 0 offset:208
	buffer_store_dword v1, off, s[0:3], 0 offset:212
	s_and_saveexec_b64 s[4:5], vcc
	s_cbranch_execz .LBB126_341
; %bb.340:
	buffer_load_dword v1, off, s[0:3], 0 offset:200
	buffer_load_dword v2, off, s[0:3], 0 offset:204
	v_mov_b32_e32 v3, 0
	buffer_store_dword v3, off, s[0:3], 0 offset:200
	buffer_store_dword v3, off, s[0:3], 0 offset:204
	s_waitcnt vmcnt(2)
	ds_write_b64 v25, v[1:2]
.LBB126_341:
	s_or_b64 exec, exec, s[4:5]
	s_waitcnt lgkmcnt(0)
	; wave barrier
	buffer_load_dword v24, off, s[0:3], 0 offset:212
	buffer_load_dword v78, off, s[0:3], 0 offset:220
	;; [unrolled: 1-line block ×50, first 2 shown]
	v_mov_b32_e32 v1, 0
	ds_read_b128 v[2:5], v1 offset:720
	ds_read_b128 v[6:9], v1 offset:736
	;; [unrolled: 1-line block ×6, first 2 shown]
	buffer_load_dword v129, off, s[0:3], 0 offset:400
	buffer_load_dword v130, off, s[0:3], 0 offset:404
	;; [unrolled: 1-line block ×16, first 2 shown]
	v_cmp_lt_u32_e32 vcc, 24, v0
	s_waitcnt vmcnt(62) lgkmcnt(5)
	v_mul_f32_e32 v22, v2, v24
	v_mul_f32_e32 v23, v4, v78
	s_waitcnt lgkmcnt(4)
	v_mul_f32_e32 v30, v6, v79
	v_mul_f32_e32 v31, v8, v80
	s_waitcnt vmcnt(61) lgkmcnt(3)
	v_mul_f32_e32 v32, v10, v81
	s_waitcnt vmcnt(60)
	v_mul_f32_e32 v33, v12, v82
	s_waitcnt vmcnt(59) lgkmcnt(2)
	v_mul_f32_e32 v34, v14, v83
	s_waitcnt vmcnt(58)
	;; [unrolled: 4-line block ×3, first 2 shown]
	v_fmac_f32_e32 v30, v7, v86
	s_waitcnt vmcnt(55)
	v_fmac_f32_e32 v23, v5, v87
	s_waitcnt vmcnt(54)
	v_fmac_f32_e32 v22, v3, v88
	v_add_f32_e32 v22, 0, v22
	v_add_f32_e32 v22, v22, v23
	v_add_f32_e32 v22, v22, v30
	s_waitcnt vmcnt(50)
	v_fmac_f32_e32 v31, v9, v92
	v_fmac_f32_e32 v32, v11, v91
	v_add_f32_e32 v22, v22, v31
	v_fmac_f32_e32 v33, v13, v90
	v_add_f32_e32 v22, v22, v32
	v_add_f32_e32 v22, v22, v33
	ds_read_b128 v[30:33], v1 offset:816
	buffer_load_dword v145, off, s[0:3], 0 offset:464
	buffer_load_dword v146, off, s[0:3], 0 offset:468
	buffer_load_dword v147, off, s[0:3], 0 offset:476
	buffer_load_dword v148, off, s[0:3], 0 offset:480
	buffer_load_dword v149, off, s[0:3], 0 offset:484
	buffer_load_dword v150, off, s[0:3], 0 offset:472
	v_fmac_f32_e32 v34, v15, v89
	s_waitcnt vmcnt(52)
	v_fmac_f32_e32 v35, v17, v96
	v_add_f32_e32 v22, v22, v34
	v_fmac_f32_e32 v36, v19, v95
	v_add_f32_e32 v22, v22, v35
	v_add_f32_e32 v22, v22, v36
	ds_read_b128 v[34:37], v1 offset:832
	buffer_load_dword v151, off, s[0:3], 0 offset:492
	buffer_load_dword v152, off, s[0:3], 0 offset:496
	;; [unrolled: 1-line block ×4, first 2 shown]
	v_mul_f32_e32 v3, v3, v24
	v_fma_f32 v2, v2, v88, -v3
	v_mul_f32_e32 v3, v5, v78
	v_add_f32_e32 v2, 0, v2
	v_fma_f32 v3, v4, v87, -v3
	v_add_f32_e32 v2, v2, v3
	v_mul_f32_e32 v3, v7, v79
	v_fma_f32 v3, v6, v86, -v3
	v_add_f32_e32 v2, v2, v3
	v_mul_f32_e32 v3, v9, v80
	;; [unrolled: 3-line block ×7, first 2 shown]
	s_waitcnt vmcnt(55)
	v_mul_f32_e32 v23, v20, v97
	v_fma_f32 v3, v18, v95, -v3
	v_fmac_f32_e32 v23, v21, v94
	v_add_f32_e32 v2, v2, v3
	v_mul_f32_e32 v3, v21, v97
	v_add_f32_e32 v22, v22, v23
	s_waitcnt vmcnt(54) lgkmcnt(2)
	v_mul_f32_e32 v23, v26, v98
	v_fma_f32 v3, v20, v94, -v3
	v_fmac_f32_e32 v23, v27, v93
	v_add_f32_e32 v2, v2, v3
	v_mul_f32_e32 v3, v27, v98
	v_add_f32_e32 v22, v22, v23
	s_waitcnt vmcnt(53)
	v_mul_f32_e32 v23, v28, v99
	v_fma_f32 v3, v26, v93, -v3
	s_waitcnt vmcnt(46)
	v_fmac_f32_e32 v23, v29, v106
	v_add_f32_e32 v2, v2, v3
	v_mul_f32_e32 v3, v29, v99
	v_add_f32_e32 v22, v22, v23
	s_waitcnt lgkmcnt(1)
	v_mul_f32_e32 v23, v30, v101
	v_fma_f32 v3, v28, v106, -v3
	v_fmac_f32_e32 v23, v31, v100
	v_add_f32_e32 v2, v2, v3
	v_mul_f32_e32 v3, v31, v101
	v_add_f32_e32 v22, v22, v23
	v_mul_f32_e32 v23, v32, v103
	v_fma_f32 v3, v30, v100, -v3
	v_fmac_f32_e32 v23, v33, v102
	ds_read_b128 v[38:41], v1 offset:848
	ds_read_b128 v[42:45], v1 offset:864
	v_add_f32_e32 v2, v2, v3
	v_mul_f32_e32 v3, v33, v103
	v_add_f32_e32 v22, v22, v23
	s_waitcnt lgkmcnt(2)
	v_mul_f32_e32 v23, v34, v105
	v_fma_f32 v3, v32, v102, -v3
	v_fmac_f32_e32 v23, v35, v104
	v_add_f32_e32 v2, v2, v3
	v_mul_f32_e32 v3, v35, v105
	v_add_f32_e32 v22, v22, v23
	s_waitcnt vmcnt(42)
	v_mul_f32_e32 v23, v36, v110
	v_fma_f32 v3, v34, v104, -v3
	v_fmac_f32_e32 v23, v37, v109
	v_add_f32_e32 v2, v2, v3
	v_mul_f32_e32 v3, v37, v110
	v_add_f32_e32 v22, v22, v23
	s_waitcnt vmcnt(40) lgkmcnt(1)
	v_mul_f32_e32 v23, v38, v112
	v_fma_f32 v3, v36, v109, -v3
	v_fmac_f32_e32 v23, v39, v111
	v_add_f32_e32 v2, v2, v3
	v_mul_f32_e32 v3, v39, v112
	v_add_f32_e32 v22, v22, v23
	s_waitcnt vmcnt(38)
	v_mul_f32_e32 v23, v40, v114
	v_fma_f32 v3, v38, v111, -v3
	v_fmac_f32_e32 v23, v41, v113
	ds_read_b128 v[46:49], v1 offset:880
	ds_read_b128 v[50:53], v1 offset:896
	v_add_f32_e32 v2, v2, v3
	v_mul_f32_e32 v3, v41, v114
	v_add_f32_e32 v22, v22, v23
	s_waitcnt vmcnt(36) lgkmcnt(2)
	v_mul_f32_e32 v23, v42, v116
	v_fma_f32 v3, v40, v113, -v3
	v_fmac_f32_e32 v23, v43, v115
	v_add_f32_e32 v2, v2, v3
	v_mul_f32_e32 v3, v43, v116
	v_add_f32_e32 v22, v22, v23
	s_waitcnt vmcnt(34)
	v_mul_f32_e32 v23, v44, v118
	v_fma_f32 v3, v42, v115, -v3
	v_fmac_f32_e32 v23, v45, v117
	v_add_f32_e32 v2, v2, v3
	v_mul_f32_e32 v3, v45, v118
	v_add_f32_e32 v22, v22, v23
	s_waitcnt vmcnt(32) lgkmcnt(1)
	v_mul_f32_e32 v23, v46, v122
	v_fma_f32 v3, v44, v117, -v3
	v_fmac_f32_e32 v23, v47, v119
	v_add_f32_e32 v2, v2, v3
	v_mul_f32_e32 v3, v47, v122
	v_add_f32_e32 v22, v22, v23
	s_waitcnt vmcnt(30)
	v_mul_f32_e32 v23, v48, v124
	v_fma_f32 v3, v46, v119, -v3
	v_fmac_f32_e32 v23, v49, v123
	ds_read_b128 v[54:57], v1 offset:912
	ds_read_b128 v[58:61], v1 offset:928
	v_add_f32_e32 v2, v2, v3
	v_mul_f32_e32 v3, v49, v124
	v_add_f32_e32 v22, v22, v23
	s_waitcnt vmcnt(28) lgkmcnt(2)
	v_mul_f32_e32 v23, v50, v126
	v_fma_f32 v3, v48, v123, -v3
	v_fmac_f32_e32 v23, v51, v125
	v_add_f32_e32 v2, v2, v3
	v_mul_f32_e32 v3, v51, v126
	v_add_f32_e32 v22, v22, v23
	s_waitcnt vmcnt(26)
	v_mul_f32_e32 v23, v52, v128
	v_fma_f32 v3, v50, v125, -v3
	v_fmac_f32_e32 v23, v53, v127
	v_add_f32_e32 v2, v2, v3
	v_mul_f32_e32 v3, v53, v128
	v_add_f32_e32 v22, v22, v23
	s_waitcnt vmcnt(24) lgkmcnt(1)
	v_mul_f32_e32 v23, v54, v130
	v_fma_f32 v3, v52, v127, -v3
	v_fmac_f32_e32 v23, v55, v129
	v_add_f32_e32 v2, v2, v3
	v_mul_f32_e32 v3, v55, v130
	v_add_f32_e32 v22, v22, v23
	s_waitcnt vmcnt(23)
	v_mul_f32_e32 v23, v56, v131
	v_fma_f32 v3, v54, v129, -v3
	s_waitcnt vmcnt(20)
	v_fmac_f32_e32 v23, v57, v134
	ds_read_b128 v[62:65], v1 offset:944
	ds_read_b128 v[66:69], v1 offset:960
	v_add_f32_e32 v2, v2, v3
	v_mul_f32_e32 v3, v57, v131
	v_add_f32_e32 v22, v22, v23
	s_waitcnt lgkmcnt(2)
	v_mul_f32_e32 v23, v58, v133
	v_fma_f32 v3, v56, v134, -v3
	v_fmac_f32_e32 v23, v59, v132
	v_add_f32_e32 v2, v2, v3
	v_mul_f32_e32 v3, v59, v133
	v_add_f32_e32 v22, v22, v23
	s_waitcnt vmcnt(18)
	v_mul_f32_e32 v23, v60, v136
	v_fma_f32 v3, v58, v132, -v3
	v_fmac_f32_e32 v23, v61, v135
	v_add_f32_e32 v2, v2, v3
	v_mul_f32_e32 v3, v61, v136
	v_add_f32_e32 v22, v22, v23
	s_waitcnt vmcnt(16) lgkmcnt(1)
	v_mul_f32_e32 v23, v62, v138
	v_fma_f32 v3, v60, v135, -v3
	v_fmac_f32_e32 v23, v63, v137
	v_add_f32_e32 v2, v2, v3
	v_mul_f32_e32 v3, v63, v138
	v_add_f32_e32 v22, v22, v23
	s_waitcnt vmcnt(15)
	v_mul_f32_e32 v23, v64, v139
	v_fma_f32 v3, v62, v137, -v3
	s_waitcnt vmcnt(12)
	v_fmac_f32_e32 v23, v65, v142
	ds_read_b128 v[70:73], v1 offset:976
	ds_read_b128 v[74:77], v1 offset:992
	v_add_f32_e32 v2, v2, v3
	v_mul_f32_e32 v3, v65, v139
	v_add_f32_e32 v22, v22, v23
	s_waitcnt lgkmcnt(2)
	v_mul_f32_e32 v23, v66, v141
	v_fma_f32 v3, v64, v142, -v3
	v_fmac_f32_e32 v23, v67, v140
	v_add_f32_e32 v2, v2, v3
	v_mul_f32_e32 v3, v67, v141
	v_add_f32_e32 v22, v22, v23
	s_waitcnt vmcnt(10)
	v_mul_f32_e32 v23, v68, v144
	v_fma_f32 v3, v66, v140, -v3
	v_fmac_f32_e32 v23, v69, v143
	v_add_f32_e32 v2, v2, v3
	v_mul_f32_e32 v3, v69, v144
	v_add_f32_e32 v22, v22, v23
	s_waitcnt vmcnt(8) lgkmcnt(1)
	v_mul_f32_e32 v23, v70, v146
	v_fma_f32 v3, v68, v143, -v3
	v_fmac_f32_e32 v23, v71, v145
	v_add_f32_e32 v2, v2, v3
	v_mul_f32_e32 v3, v71, v146
	v_add_f32_e32 v22, v22, v23
	s_waitcnt vmcnt(7)
	v_mul_f32_e32 v23, v72, v147
	v_fma_f32 v3, v70, v145, -v3
	s_waitcnt vmcnt(4)
	v_fmac_f32_e32 v23, v73, v150
	v_add_f32_e32 v2, v2, v3
	v_mul_f32_e32 v3, v73, v147
	v_add_f32_e32 v155, v22, v23
	ds_read_b64 v[22:23], v1 offset:1008
	v_fma_f32 v3, v72, v150, -v3
	v_add_f32_e32 v2, v2, v3
	s_waitcnt lgkmcnt(1)
	v_mul_f32_e32 v3, v75, v149
	v_mul_f32_e32 v156, v74, v149
	v_fma_f32 v3, v74, v148, -v3
	v_fmac_f32_e32 v156, v75, v148
	v_add_f32_e32 v2, v2, v3
	s_waitcnt vmcnt(3)
	v_mul_f32_e32 v3, v77, v151
	v_add_f32_e32 v155, v155, v156
	v_mul_f32_e32 v156, v76, v151
	s_waitcnt vmcnt(0)
	v_fma_f32 v3, v76, v154, -v3
	v_fmac_f32_e32 v156, v77, v154
	v_add_f32_e32 v2, v2, v3
	s_waitcnt lgkmcnt(0)
	v_mul_f32_e32 v3, v23, v153
	v_add_f32_e32 v155, v155, v156
	v_mul_f32_e32 v156, v22, v153
	v_fma_f32 v3, v22, v152, -v3
	v_fmac_f32_e32 v156, v23, v152
	v_add_f32_e32 v2, v2, v3
	v_add_f32_e32 v155, v155, v156
	v_sub_f32_e32 v2, v107, v2
	v_sub_f32_e32 v3, v108, v155
	buffer_store_dword v2, off, s[0:3], 0 offset:200
	buffer_store_dword v3, off, s[0:3], 0 offset:204
	s_and_saveexec_b64 s[4:5], vcc
	s_cbranch_execz .LBB126_343
; %bb.342:
	buffer_load_dword v2, off, s[0:3], 0 offset:192
	buffer_load_dword v3, off, s[0:3], 0 offset:196
	s_waitcnt vmcnt(0)
	ds_write_b64 v25, v[2:3]
	buffer_store_dword v1, off, s[0:3], 0 offset:192
	buffer_store_dword v1, off, s[0:3], 0 offset:196
.LBB126_343:
	s_or_b64 exec, exec, s[4:5]
	s_waitcnt lgkmcnt(0)
	; wave barrier
	buffer_load_dword v22, off, s[0:3], 0 offset:204
	buffer_load_dword v23, off, s[0:3], 0 offset:212
	;; [unrolled: 1-line block ×32, first 2 shown]
	ds_read2_b64 v[2:5], v1 offset0:89 offset1:90
	ds_read2_b64 v[6:9], v1 offset0:91 offset1:92
	;; [unrolled: 1-line block ×6, first 2 shown]
	buffer_load_dword v111, off, s[0:3], 0 offset:320
	buffer_load_dword v112, off, s[0:3], 0 offset:324
	;; [unrolled: 1-line block ×32, first 2 shown]
	v_cmp_lt_u32_e32 vcc, 23, v0
	s_waitcnt vmcnt(62) lgkmcnt(5)
	v_mul_f32_e32 v30, v2, v22
	v_mul_f32_e32 v31, v4, v23
	s_waitcnt vmcnt(61) lgkmcnt(4)
	v_mul_f32_e32 v32, v6, v24
	s_waitcnt vmcnt(60)
	v_mul_f32_e32 v33, v8, v82
	s_waitcnt vmcnt(59) lgkmcnt(3)
	v_mul_f32_e32 v34, v10, v83
	s_waitcnt vmcnt(58)
	;; [unrolled: 4-line block ×4, first 2 shown]
	v_mul_f32_e32 v39, v20, v88
	s_waitcnt vmcnt(53)
	v_fmac_f32_e32 v32, v7, v89
	s_waitcnt vmcnt(52)
	v_fmac_f32_e32 v31, v5, v90
	;; [unrolled: 2-line block ×3, first 2 shown]
	v_add_f32_e32 v30, 0, v30
	v_add_f32_e32 v30, v30, v31
	;; [unrolled: 1-line block ×3, first 2 shown]
	s_waitcnt vmcnt(47)
	v_fmac_f32_e32 v33, v9, v95
	v_fmac_f32_e32 v34, v11, v94
	v_add_f32_e32 v30, v30, v33
	v_fmac_f32_e32 v35, v13, v93
	v_add_f32_e32 v30, v30, v34
	;; [unrolled: 2-line block ×3, first 2 shown]
	s_waitcnt vmcnt(43)
	v_fmac_f32_e32 v37, v17, v99
	v_add_f32_e32 v30, v30, v36
	v_fmac_f32_e32 v38, v19, v98
	v_add_f32_e32 v30, v30, v37
	;; [unrolled: 2-line block ×3, first 2 shown]
	s_waitcnt vmcnt(42) lgkmcnt(0)
	v_mul_f32_e32 v31, v26, v100
	v_add_f32_e32 v30, v30, v39
	v_fmac_f32_e32 v31, v27, v96
	v_add_f32_e32 v34, v30, v31
	ds_read2_b64 v[30:33], v1 offset0:101 offset1:102
	buffer_load_dword v145, off, s[0:3], 0 offset:448
	buffer_load_dword v146, off, s[0:3], 0 offset:452
	s_waitcnt vmcnt(43)
	v_mul_f32_e32 v35, v28, v101
	s_waitcnt vmcnt(37)
	v_fmac_f32_e32 v35, v29, v107
	v_add_f32_e32 v38, v34, v35
	ds_read2_b64 v[34:37], v1 offset0:103 offset1:104
	buffer_load_dword v147, off, s[0:3], 0 offset:456
	buffer_load_dword v148, off, s[0:3], 0 offset:460
	;; [unrolled: 1-line block ×12, first 2 shown]
	v_mul_f32_e32 v3, v3, v22
	v_fma_f32 v2, v2, v91, -v3
	v_mul_f32_e32 v3, v5, v23
	v_add_f32_e32 v2, 0, v2
	v_fma_f32 v3, v4, v90, -v3
	v_add_f32_e32 v2, v2, v3
	v_mul_f32_e32 v3, v7, v24
	v_fma_f32 v3, v6, v89, -v3
	v_add_f32_e32 v2, v2, v3
	v_mul_f32_e32 v3, v9, v82
	v_fma_f32 v3, v8, v95, -v3
	s_waitcnt vmcnt(48) lgkmcnt(1)
	v_mul_f32_e32 v39, v30, v108
	v_add_f32_e32 v2, v2, v3
	v_mul_f32_e32 v3, v11, v83
	v_fmac_f32_e32 v39, v31, v106
	v_fma_f32 v3, v10, v94, -v3
	v_add_f32_e32 v38, v38, v39
	v_mul_f32_e32 v39, v32, v103
	v_add_f32_e32 v2, v2, v3
	v_mul_f32_e32 v3, v13, v84
	v_fmac_f32_e32 v39, v33, v102
	v_fma_f32 v3, v12, v93, -v3
	v_add_f32_e32 v38, v38, v39
	s_waitcnt lgkmcnt(0)
	v_mul_f32_e32 v39, v34, v105
	v_add_f32_e32 v2, v2, v3
	v_mul_f32_e32 v3, v15, v85
	v_fmac_f32_e32 v39, v35, v104
	v_fma_f32 v3, v14, v92, -v3
	v_add_f32_e32 v42, v38, v39
	ds_read2_b64 v[38:41], v1 offset0:105 offset1:106
	v_add_f32_e32 v2, v2, v3
	v_mul_f32_e32 v3, v17, v86
	v_fma_f32 v3, v16, v99, -v3
	s_waitcnt vmcnt(44)
	v_mul_f32_e32 v43, v36, v112
	v_add_f32_e32 v2, v2, v3
	v_mul_f32_e32 v3, v19, v87
	v_fmac_f32_e32 v43, v37, v111
	v_fma_f32 v3, v18, v98, -v3
	v_add_f32_e32 v46, v42, v43
	ds_read2_b64 v[42:45], v1 offset0:107 offset1:108
	v_add_f32_e32 v2, v2, v3
	v_mul_f32_e32 v3, v21, v88
	s_waitcnt vmcnt(42) lgkmcnt(1)
	v_mul_f32_e32 v47, v38, v114
	v_fma_f32 v3, v20, v97, -v3
	v_fmac_f32_e32 v47, v39, v113
	v_add_f32_e32 v2, v2, v3
	v_mul_f32_e32 v3, v27, v100
	v_add_f32_e32 v46, v46, v47
	s_waitcnt vmcnt(40)
	v_mul_f32_e32 v47, v40, v116
	v_fma_f32 v3, v26, v96, -v3
	v_fmac_f32_e32 v47, v41, v115
	v_add_f32_e32 v2, v2, v3
	v_mul_f32_e32 v3, v29, v101
	v_add_f32_e32 v46, v46, v47
	s_waitcnt vmcnt(38) lgkmcnt(0)
	v_mul_f32_e32 v47, v42, v118
	v_fma_f32 v3, v28, v107, -v3
	v_fmac_f32_e32 v47, v43, v117
	v_add_f32_e32 v2, v2, v3
	v_mul_f32_e32 v3, v31, v108
	v_add_f32_e32 v50, v46, v47
	ds_read2_b64 v[46:49], v1 offset0:109 offset1:110
	v_fma_f32 v3, v30, v106, -v3
	v_add_f32_e32 v2, v2, v3
	v_mul_f32_e32 v3, v33, v103
	s_waitcnt vmcnt(36)
	v_mul_f32_e32 v51, v44, v122
	v_fma_f32 v3, v32, v102, -v3
	v_fmac_f32_e32 v51, v45, v119
	v_add_f32_e32 v2, v2, v3
	v_mul_f32_e32 v3, v35, v105
	v_add_f32_e32 v54, v50, v51
	ds_read2_b64 v[50:53], v1 offset0:111 offset1:112
	v_fma_f32 v3, v34, v104, -v3
	s_waitcnt vmcnt(34) lgkmcnt(1)
	v_mul_f32_e32 v55, v46, v124
	v_add_f32_e32 v2, v2, v3
	v_mul_f32_e32 v3, v37, v112
	v_fmac_f32_e32 v55, v47, v123
	v_fma_f32 v3, v36, v111, -v3
	v_add_f32_e32 v54, v54, v55
	s_waitcnt vmcnt(32)
	v_mul_f32_e32 v55, v48, v126
	v_add_f32_e32 v2, v2, v3
	v_mul_f32_e32 v3, v39, v114
	v_fmac_f32_e32 v55, v49, v125
	v_fma_f32 v3, v38, v113, -v3
	v_add_f32_e32 v54, v54, v55
	s_waitcnt vmcnt(30) lgkmcnt(0)
	v_mul_f32_e32 v55, v50, v128
	v_add_f32_e32 v2, v2, v3
	v_mul_f32_e32 v3, v41, v116
	v_fmac_f32_e32 v55, v51, v127
	v_fma_f32 v3, v40, v115, -v3
	v_add_f32_e32 v58, v54, v55
	ds_read2_b64 v[54:57], v1 offset0:113 offset1:114
	v_add_f32_e32 v2, v2, v3
	v_mul_f32_e32 v3, v43, v118
	v_fma_f32 v3, v42, v117, -v3
	s_waitcnt vmcnt(28)
	v_mul_f32_e32 v59, v52, v130
	v_add_f32_e32 v2, v2, v3
	v_mul_f32_e32 v3, v45, v122
	v_fmac_f32_e32 v59, v53, v129
	v_fma_f32 v3, v44, v119, -v3
	v_add_f32_e32 v62, v58, v59
	ds_read2_b64 v[58:61], v1 offset0:115 offset1:116
	v_add_f32_e32 v2, v2, v3
	v_mul_f32_e32 v3, v47, v124
	s_waitcnt vmcnt(26) lgkmcnt(1)
	v_mul_f32_e32 v63, v54, v132
	v_fma_f32 v3, v46, v123, -v3
	v_fmac_f32_e32 v63, v55, v131
	v_add_f32_e32 v2, v2, v3
	v_mul_f32_e32 v3, v49, v126
	v_add_f32_e32 v62, v62, v63
	s_waitcnt vmcnt(25)
	v_mul_f32_e32 v63, v56, v133
	v_fma_f32 v3, v48, v125, -v3
	s_waitcnt vmcnt(22)
	v_fmac_f32_e32 v63, v57, v136
	v_add_f32_e32 v2, v2, v3
	v_mul_f32_e32 v3, v51, v128
	v_add_f32_e32 v62, v62, v63
	s_waitcnt lgkmcnt(0)
	v_mul_f32_e32 v63, v58, v135
	v_fma_f32 v3, v50, v127, -v3
	v_fmac_f32_e32 v63, v59, v134
	v_add_f32_e32 v2, v2, v3
	v_mul_f32_e32 v3, v53, v130
	v_add_f32_e32 v66, v62, v63
	ds_read2_b64 v[62:65], v1 offset0:117 offset1:118
	v_fma_f32 v3, v52, v129, -v3
	v_add_f32_e32 v2, v2, v3
	v_mul_f32_e32 v3, v55, v132
	s_waitcnt vmcnt(20)
	v_mul_f32_e32 v67, v60, v138
	v_fma_f32 v3, v54, v131, -v3
	v_fmac_f32_e32 v67, v61, v137
	v_add_f32_e32 v2, v2, v3
	v_mul_f32_e32 v3, v57, v133
	v_add_f32_e32 v70, v66, v67
	ds_read2_b64 v[66:69], v1 offset0:119 offset1:120
	v_fma_f32 v3, v56, v136, -v3
	s_waitcnt vmcnt(18) lgkmcnt(1)
	v_mul_f32_e32 v71, v62, v140
	v_add_f32_e32 v2, v2, v3
	v_mul_f32_e32 v3, v59, v135
	v_fmac_f32_e32 v71, v63, v139
	v_fma_f32 v3, v58, v134, -v3
	v_add_f32_e32 v70, v70, v71
	s_waitcnt vmcnt(17)
	v_mul_f32_e32 v71, v64, v141
	v_add_f32_e32 v2, v2, v3
	v_mul_f32_e32 v3, v61, v138
	s_waitcnt vmcnt(14)
	v_fmac_f32_e32 v71, v65, v144
	v_fma_f32 v3, v60, v137, -v3
	v_add_f32_e32 v70, v70, v71
	s_waitcnt lgkmcnt(0)
	v_mul_f32_e32 v71, v66, v143
	v_add_f32_e32 v2, v2, v3
	v_mul_f32_e32 v3, v63, v140
	v_fmac_f32_e32 v71, v67, v142
	v_fma_f32 v3, v62, v139, -v3
	v_add_f32_e32 v74, v70, v71
	ds_read2_b64 v[70:73], v1 offset0:121 offset1:122
	v_add_f32_e32 v2, v2, v3
	v_mul_f32_e32 v3, v65, v141
	v_fma_f32 v3, v64, v144, -v3
	v_add_f32_e32 v2, v2, v3
	v_mul_f32_e32 v3, v67, v143
	s_waitcnt vmcnt(12)
	v_mul_f32_e32 v75, v68, v146
	v_fma_f32 v3, v66, v142, -v3
	v_fmac_f32_e32 v75, v69, v145
	v_add_f32_e32 v2, v2, v3
	v_mul_f32_e32 v3, v69, v146
	v_add_f32_e32 v78, v74, v75
	ds_read2_b64 v[74:77], v1 offset0:123 offset1:124
	s_waitcnt vmcnt(10) lgkmcnt(1)
	v_mul_f32_e32 v79, v70, v148
	v_fma_f32 v3, v68, v145, -v3
	v_fmac_f32_e32 v79, v71, v147
	v_add_f32_e32 v2, v2, v3
	v_mul_f32_e32 v3, v71, v148
	v_add_f32_e32 v78, v78, v79
	s_waitcnt vmcnt(9)
	v_mul_f32_e32 v79, v72, v149
	v_fma_f32 v3, v70, v147, -v3
	s_waitcnt vmcnt(6)
	v_fmac_f32_e32 v79, v73, v152
	v_add_f32_e32 v2, v2, v3
	v_mul_f32_e32 v3, v73, v149
	v_add_f32_e32 v159, v78, v79
	ds_read2_b64 v[78:81], v1 offset0:125 offset1:126
	v_fma_f32 v3, v72, v152, -v3
	v_add_f32_e32 v2, v2, v3
	s_waitcnt lgkmcnt(1)
	v_mul_f32_e32 v3, v75, v151
	v_mul_f32_e32 v160, v74, v151
	v_fma_f32 v3, v74, v150, -v3
	v_fmac_f32_e32 v160, v75, v150
	v_add_f32_e32 v2, v2, v3
	s_waitcnt vmcnt(4)
	v_mul_f32_e32 v3, v77, v154
	v_add_f32_e32 v1, v159, v160
	v_mul_f32_e32 v159, v76, v154
	v_fma_f32 v3, v76, v153, -v3
	v_fmac_f32_e32 v159, v77, v153
	v_add_f32_e32 v2, v2, v3
	s_waitcnt vmcnt(3) lgkmcnt(0)
	v_mul_f32_e32 v3, v79, v155
	v_add_f32_e32 v1, v1, v159
	v_mul_f32_e32 v159, v78, v155
	s_waitcnt vmcnt(0)
	v_fma_f32 v3, v78, v158, -v3
	v_fmac_f32_e32 v159, v79, v158
	v_add_f32_e32 v2, v2, v3
	v_mul_f32_e32 v3, v81, v157
	v_add_f32_e32 v1, v1, v159
	v_mul_f32_e32 v159, v80, v157
	v_fma_f32 v3, v80, v156, -v3
	v_fmac_f32_e32 v159, v81, v156
	v_add_f32_e32 v2, v2, v3
	v_add_f32_e32 v1, v1, v159
	v_sub_f32_e32 v2, v109, v2
	v_sub_f32_e32 v1, v110, v1
	buffer_store_dword v2, off, s[0:3], 0 offset:192
	buffer_store_dword v1, off, s[0:3], 0 offset:196
	s_and_saveexec_b64 s[4:5], vcc
	s_cbranch_execz .LBB126_345
; %bb.344:
	buffer_load_dword v1, off, s[0:3], 0 offset:184
	buffer_load_dword v2, off, s[0:3], 0 offset:188
	v_mov_b32_e32 v3, 0
	buffer_store_dword v3, off, s[0:3], 0 offset:184
	buffer_store_dword v3, off, s[0:3], 0 offset:188
	s_waitcnt vmcnt(2)
	ds_write_b64 v25, v[1:2]
.LBB126_345:
	s_or_b64 exec, exec, s[4:5]
	s_waitcnt lgkmcnt(0)
	; wave barrier
	buffer_load_dword v24, off, s[0:3], 0 offset:196
	buffer_load_dword v82, off, s[0:3], 0 offset:204
	;; [unrolled: 1-line block ×50, first 2 shown]
	v_mov_b32_e32 v1, 0
	ds_read_b128 v[2:5], v1 offset:704
	ds_read_b128 v[6:9], v1 offset:720
	;; [unrolled: 1-line block ×6, first 2 shown]
	buffer_load_dword v133, off, s[0:3], 0 offset:384
	buffer_load_dword v134, off, s[0:3], 0 offset:388
	;; [unrolled: 1-line block ×8, first 2 shown]
	v_cmp_lt_u32_e32 vcc, 22, v0
	s_waitcnt vmcnt(57) lgkmcnt(5)
	v_mul_f32_e32 v22, v2, v24
	s_waitcnt vmcnt(56)
	v_mul_f32_e32 v23, v4, v82
	s_waitcnt vmcnt(55) lgkmcnt(4)
	v_mul_f32_e32 v30, v6, v83
	s_waitcnt vmcnt(54)
	v_mul_f32_e32 v31, v8, v84
	;; [unrolled: 4-line block ×5, first 2 shown]
	s_waitcnt vmcnt(47) lgkmcnt(0)
	v_mul_f32_e32 v38, v26, v91
	s_waitcnt vmcnt(46)
	v_fmac_f32_e32 v30, v7, v92
	s_waitcnt vmcnt(45)
	v_fmac_f32_e32 v23, v5, v93
	;; [unrolled: 2-line block ×3, first 2 shown]
	v_add_f32_e32 v22, 0, v22
	v_add_f32_e32 v22, v22, v23
	;; [unrolled: 1-line block ×3, first 2 shown]
	s_waitcnt vmcnt(40)
	v_fmac_f32_e32 v31, v9, v98
	v_fmac_f32_e32 v32, v11, v97
	v_add_f32_e32 v22, v22, v31
	v_fmac_f32_e32 v33, v13, v96
	v_add_f32_e32 v22, v22, v32
	;; [unrolled: 2-line block ×3, first 2 shown]
	s_waitcnt vmcnt(36)
	v_fmac_f32_e32 v35, v17, v102
	v_add_f32_e32 v22, v22, v34
	ds_read_b128 v[30:33], v1 offset:800
	buffer_load_dword v141, off, s[0:3], 0 offset:416
	buffer_load_dword v142, off, s[0:3], 0 offset:420
	;; [unrolled: 1-line block ×6, first 2 shown]
	v_fmac_f32_e32 v36, v19, v101
	v_add_f32_e32 v22, v22, v35
	v_fmac_f32_e32 v37, v21, v100
	v_add_f32_e32 v22, v22, v36
	v_add_f32_e32 v22, v22, v37
	ds_read_b128 v[34:37], v1 offset:816
	buffer_load_dword v147, off, s[0:3], 0 offset:440
	buffer_load_dword v148, off, s[0:3], 0 offset:444
	;; [unrolled: 1-line block ×16, first 2 shown]
	v_mul_f32_e32 v3, v3, v24
	v_fma_f32 v2, v2, v94, -v3
	v_mul_f32_e32 v3, v5, v82
	v_add_f32_e32 v2, 0, v2
	v_fma_f32 v3, v4, v93, -v3
	v_add_f32_e32 v2, v2, v3
	v_mul_f32_e32 v3, v7, v83
	v_fma_f32 v3, v6, v92, -v3
	v_add_f32_e32 v2, v2, v3
	v_mul_f32_e32 v3, v9, v84
	;; [unrolled: 3-line block ×9, first 2 shown]
	v_fmac_f32_e32 v38, v27, v99
	s_waitcnt vmcnt(57)
	v_mul_f32_e32 v23, v28, v103
	v_fma_f32 v3, v26, v99, -v3
	v_add_f32_e32 v22, v22, v38
	s_waitcnt vmcnt(50)
	v_fmac_f32_e32 v23, v29, v110
	v_add_f32_e32 v2, v2, v3
	v_mul_f32_e32 v3, v29, v103
	v_add_f32_e32 v22, v22, v23
	s_waitcnt lgkmcnt(1)
	v_mul_f32_e32 v23, v30, v105
	v_fma_f32 v3, v28, v110, -v3
	v_fmac_f32_e32 v23, v31, v104
	v_add_f32_e32 v2, v2, v3
	v_mul_f32_e32 v3, v31, v105
	v_add_f32_e32 v22, v22, v23
	v_mul_f32_e32 v23, v32, v107
	v_fma_f32 v3, v30, v104, -v3
	v_fmac_f32_e32 v23, v33, v106
	ds_read_b128 v[38:41], v1 offset:832
	ds_read_b128 v[42:45], v1 offset:848
	v_add_f32_e32 v2, v2, v3
	v_mul_f32_e32 v3, v33, v107
	v_add_f32_e32 v22, v22, v23
	s_waitcnt lgkmcnt(2)
	v_mul_f32_e32 v23, v34, v109
	v_fma_f32 v3, v32, v106, -v3
	v_fmac_f32_e32 v23, v35, v108
	v_add_f32_e32 v2, v2, v3
	v_mul_f32_e32 v3, v35, v109
	v_add_f32_e32 v22, v22, v23
	s_waitcnt vmcnt(46)
	v_mul_f32_e32 v23, v36, v114
	v_fma_f32 v3, v34, v108, -v3
	v_fmac_f32_e32 v23, v37, v113
	v_add_f32_e32 v2, v2, v3
	v_mul_f32_e32 v3, v37, v114
	v_add_f32_e32 v22, v22, v23
	s_waitcnt vmcnt(44) lgkmcnt(1)
	v_mul_f32_e32 v23, v38, v116
	v_fma_f32 v3, v36, v113, -v3
	v_fmac_f32_e32 v23, v39, v115
	v_add_f32_e32 v2, v2, v3
	v_mul_f32_e32 v3, v39, v116
	v_add_f32_e32 v22, v22, v23
	s_waitcnt vmcnt(42)
	v_mul_f32_e32 v23, v40, v118
	v_fma_f32 v3, v38, v115, -v3
	v_fmac_f32_e32 v23, v41, v117
	ds_read_b128 v[46:49], v1 offset:864
	ds_read_b128 v[50:53], v1 offset:880
	v_add_f32_e32 v2, v2, v3
	v_mul_f32_e32 v3, v41, v118
	v_add_f32_e32 v22, v22, v23
	s_waitcnt vmcnt(40) lgkmcnt(2)
	v_mul_f32_e32 v23, v42, v122
	v_fma_f32 v3, v40, v117, -v3
	v_fmac_f32_e32 v23, v43, v119
	v_add_f32_e32 v2, v2, v3
	v_mul_f32_e32 v3, v43, v122
	v_add_f32_e32 v22, v22, v23
	s_waitcnt vmcnt(38)
	v_mul_f32_e32 v23, v44, v124
	v_fma_f32 v3, v42, v119, -v3
	v_fmac_f32_e32 v23, v45, v123
	v_add_f32_e32 v2, v2, v3
	v_mul_f32_e32 v3, v45, v124
	v_add_f32_e32 v22, v22, v23
	s_waitcnt vmcnt(36) lgkmcnt(1)
	v_mul_f32_e32 v23, v46, v126
	v_fma_f32 v3, v44, v123, -v3
	v_fmac_f32_e32 v23, v47, v125
	v_add_f32_e32 v2, v2, v3
	v_mul_f32_e32 v3, v47, v126
	v_add_f32_e32 v22, v22, v23
	s_waitcnt vmcnt(34)
	v_mul_f32_e32 v23, v48, v128
	v_fma_f32 v3, v46, v125, -v3
	v_fmac_f32_e32 v23, v49, v127
	ds_read_b128 v[54:57], v1 offset:896
	ds_read_b128 v[58:61], v1 offset:912
	v_add_f32_e32 v2, v2, v3
	v_mul_f32_e32 v3, v49, v128
	v_add_f32_e32 v22, v22, v23
	s_waitcnt vmcnt(32) lgkmcnt(2)
	v_mul_f32_e32 v23, v50, v130
	v_fma_f32 v3, v48, v127, -v3
	v_fmac_f32_e32 v23, v51, v129
	v_add_f32_e32 v2, v2, v3
	v_mul_f32_e32 v3, v51, v130
	v_add_f32_e32 v22, v22, v23
	s_waitcnt vmcnt(30)
	v_mul_f32_e32 v23, v52, v132
	v_fma_f32 v3, v50, v129, -v3
	v_fmac_f32_e32 v23, v53, v131
	v_add_f32_e32 v2, v2, v3
	v_mul_f32_e32 v3, v53, v132
	v_add_f32_e32 v22, v22, v23
	s_waitcnt vmcnt(28) lgkmcnt(1)
	v_mul_f32_e32 v23, v54, v134
	v_fma_f32 v3, v52, v131, -v3
	v_fmac_f32_e32 v23, v55, v133
	v_add_f32_e32 v2, v2, v3
	v_mul_f32_e32 v3, v55, v134
	v_add_f32_e32 v22, v22, v23
	s_waitcnt vmcnt(27)
	v_mul_f32_e32 v23, v56, v135
	v_fma_f32 v3, v54, v133, -v3
	s_waitcnt vmcnt(24)
	v_fmac_f32_e32 v23, v57, v138
	ds_read_b128 v[62:65], v1 offset:928
	ds_read_b128 v[66:69], v1 offset:944
	v_add_f32_e32 v2, v2, v3
	v_mul_f32_e32 v3, v57, v135
	v_add_f32_e32 v22, v22, v23
	s_waitcnt lgkmcnt(2)
	v_mul_f32_e32 v23, v58, v137
	v_fma_f32 v3, v56, v138, -v3
	v_fmac_f32_e32 v23, v59, v136
	v_add_f32_e32 v2, v2, v3
	v_mul_f32_e32 v3, v59, v137
	v_add_f32_e32 v22, v22, v23
	s_waitcnt vmcnt(22)
	v_mul_f32_e32 v23, v60, v140
	v_fma_f32 v3, v58, v136, -v3
	v_fmac_f32_e32 v23, v61, v139
	v_add_f32_e32 v2, v2, v3
	v_mul_f32_e32 v3, v61, v140
	v_add_f32_e32 v22, v22, v23
	s_waitcnt vmcnt(20) lgkmcnt(1)
	v_mul_f32_e32 v23, v62, v142
	v_fma_f32 v3, v60, v139, -v3
	v_fmac_f32_e32 v23, v63, v141
	v_add_f32_e32 v2, v2, v3
	v_mul_f32_e32 v3, v63, v142
	v_add_f32_e32 v22, v22, v23
	s_waitcnt vmcnt(19)
	v_mul_f32_e32 v23, v64, v143
	v_fma_f32 v3, v62, v141, -v3
	s_waitcnt vmcnt(16)
	v_fmac_f32_e32 v23, v65, v146
	ds_read_b128 v[70:73], v1 offset:960
	ds_read_b128 v[74:77], v1 offset:976
	v_add_f32_e32 v2, v2, v3
	v_mul_f32_e32 v3, v65, v143
	v_add_f32_e32 v22, v22, v23
	s_waitcnt lgkmcnt(2)
	v_mul_f32_e32 v23, v66, v145
	v_fma_f32 v3, v64, v146, -v3
	v_fmac_f32_e32 v23, v67, v144
	v_add_f32_e32 v2, v2, v3
	v_mul_f32_e32 v3, v67, v145
	v_add_f32_e32 v22, v22, v23
	s_waitcnt vmcnt(14)
	v_mul_f32_e32 v23, v68, v148
	v_fma_f32 v3, v66, v144, -v3
	v_fmac_f32_e32 v23, v69, v147
	v_add_f32_e32 v2, v2, v3
	v_mul_f32_e32 v3, v69, v148
	v_add_f32_e32 v22, v22, v23
	s_waitcnt vmcnt(12) lgkmcnt(1)
	v_mul_f32_e32 v23, v70, v150
	v_fma_f32 v3, v68, v147, -v3
	v_fmac_f32_e32 v23, v71, v149
	v_add_f32_e32 v2, v2, v3
	v_mul_f32_e32 v3, v71, v150
	v_add_f32_e32 v22, v22, v23
	s_waitcnt vmcnt(11)
	v_mul_f32_e32 v23, v72, v151
	v_fma_f32 v3, v70, v149, -v3
	s_waitcnt vmcnt(8)
	v_fmac_f32_e32 v23, v73, v154
	v_add_f32_e32 v2, v2, v3
	v_mul_f32_e32 v3, v73, v151
	v_add_f32_e32 v22, v22, v23
	s_waitcnt lgkmcnt(0)
	v_mul_f32_e32 v23, v74, v153
	ds_read_b128 v[78:81], v1 offset:992
	v_fma_f32 v3, v72, v154, -v3
	v_fmac_f32_e32 v23, v75, v152
	v_add_f32_e32 v2, v2, v3
	v_mul_f32_e32 v3, v75, v153
	v_add_f32_e32 v22, v22, v23
	s_waitcnt vmcnt(6)
	v_mul_f32_e32 v23, v76, v156
	v_fma_f32 v3, v74, v152, -v3
	v_fmac_f32_e32 v23, v77, v155
	v_add_f32_e32 v2, v2, v3
	v_mul_f32_e32 v3, v77, v156
	v_add_f32_e32 v163, v22, v23
	ds_read_b64 v[22:23], v1 offset:1008
	v_fma_f32 v3, v76, v155, -v3
	v_add_f32_e32 v2, v2, v3
	s_waitcnt vmcnt(4) lgkmcnt(1)
	v_mul_f32_e32 v3, v79, v158
	v_mul_f32_e32 v164, v78, v158
	v_fma_f32 v3, v78, v157, -v3
	v_fmac_f32_e32 v164, v79, v157
	v_add_f32_e32 v2, v2, v3
	s_waitcnt vmcnt(3)
	v_mul_f32_e32 v3, v81, v159
	v_add_f32_e32 v163, v163, v164
	v_mul_f32_e32 v164, v80, v159
	s_waitcnt vmcnt(0)
	v_fma_f32 v3, v80, v162, -v3
	v_fmac_f32_e32 v164, v81, v162
	v_add_f32_e32 v2, v2, v3
	s_waitcnt lgkmcnt(0)
	v_mul_f32_e32 v3, v23, v161
	v_add_f32_e32 v163, v163, v164
	v_mul_f32_e32 v164, v22, v161
	v_fma_f32 v3, v22, v160, -v3
	v_fmac_f32_e32 v164, v23, v160
	v_add_f32_e32 v2, v2, v3
	v_add_f32_e32 v163, v163, v164
	v_sub_f32_e32 v2, v111, v2
	v_sub_f32_e32 v3, v112, v163
	buffer_store_dword v2, off, s[0:3], 0 offset:184
	buffer_store_dword v3, off, s[0:3], 0 offset:188
	s_and_saveexec_b64 s[4:5], vcc
	s_cbranch_execz .LBB126_347
; %bb.346:
	buffer_load_dword v2, off, s[0:3], 0 offset:176
	buffer_load_dword v3, off, s[0:3], 0 offset:180
	s_waitcnt vmcnt(0)
	ds_write_b64 v25, v[2:3]
	buffer_store_dword v1, off, s[0:3], 0 offset:176
	buffer_store_dword v1, off, s[0:3], 0 offset:180
.LBB126_347:
	s_or_b64 exec, exec, s[4:5]
	s_waitcnt lgkmcnt(0)
	; wave barrier
	buffer_load_dword v22, off, s[0:3], 0 offset:188
	buffer_load_dword v23, off, s[0:3], 0 offset:196
	;; [unrolled: 1-line block ×32, first 2 shown]
	ds_read2_b64 v[2:5], v1 offset0:87 offset1:88
	ds_read2_b64 v[6:9], v1 offset0:89 offset1:90
	;; [unrolled: 1-line block ×6, first 2 shown]
	buffer_load_dword v115, off, s[0:3], 0 offset:304
	buffer_load_dword v116, off, s[0:3], 0 offset:308
	;; [unrolled: 1-line block ×26, first 2 shown]
	v_cmp_lt_u32_e32 vcc, 21, v0
	s_waitcnt vmcnt(57) lgkmcnt(5)
	v_mul_f32_e32 v30, v2, v22
	s_waitcnt vmcnt(56)
	v_mul_f32_e32 v31, v4, v23
	s_waitcnt vmcnt(55) lgkmcnt(4)
	v_mul_f32_e32 v32, v6, v24
	s_waitcnt vmcnt(54)
	v_mul_f32_e32 v33, v8, v86
	;; [unrolled: 4-line block ×5, first 2 shown]
	s_waitcnt vmcnt(47) lgkmcnt(0)
	v_mul_f32_e32 v40, v26, v93
	s_waitcnt vmcnt(46)
	v_fmac_f32_e32 v32, v7, v94
	s_waitcnt vmcnt(45)
	v_fmac_f32_e32 v31, v5, v95
	;; [unrolled: 2-line block ×3, first 2 shown]
	v_add_f32_e32 v30, 0, v30
	v_add_f32_e32 v30, v30, v31
	;; [unrolled: 1-line block ×3, first 2 shown]
	s_waitcnt vmcnt(40)
	v_fmac_f32_e32 v33, v9, v100
	v_fmac_f32_e32 v34, v11, v99
	v_add_f32_e32 v30, v30, v33
	v_fmac_f32_e32 v35, v13, v98
	v_add_f32_e32 v30, v30, v34
	;; [unrolled: 2-line block ×3, first 2 shown]
	s_waitcnt vmcnt(36)
	v_fmac_f32_e32 v37, v17, v104
	v_add_f32_e32 v30, v30, v36
	v_fmac_f32_e32 v38, v19, v103
	v_add_f32_e32 v30, v30, v37
	;; [unrolled: 2-line block ×4, first 2 shown]
	v_add_f32_e32 v34, v30, v40
	ds_read2_b64 v[30:33], v1 offset0:99 offset1:100
	buffer_load_dword v143, off, s[0:3], 0 offset:408
	buffer_load_dword v144, off, s[0:3], 0 offset:412
	;; [unrolled: 1-line block ×6, first 2 shown]
	s_waitcnt vmcnt(41)
	v_mul_f32_e32 v35, v28, v105
	s_waitcnt vmcnt(35)
	v_fmac_f32_e32 v35, v29, v111
	v_add_f32_e32 v38, v34, v35
	ds_read2_b64 v[34:37], v1 offset0:101 offset1:102
	buffer_load_dword v149, off, s[0:3], 0 offset:432
	buffer_load_dword v150, off, s[0:3], 0 offset:436
	;; [unrolled: 1-line block ×10, first 2 shown]
	s_waitcnt vmcnt(44) lgkmcnt(1)
	v_mul_f32_e32 v39, v30, v112
	v_fmac_f32_e32 v39, v31, v110
	v_add_f32_e32 v38, v38, v39
	v_mul_f32_e32 v39, v32, v107
	v_fmac_f32_e32 v39, v33, v106
	v_add_f32_e32 v38, v38, v39
	s_waitcnt lgkmcnt(0)
	v_mul_f32_e32 v39, v34, v109
	buffer_load_dword v159, off, s[0:3], 0 offset:472
	buffer_load_dword v160, off, s[0:3], 0 offset:476
	;; [unrolled: 1-line block ×6, first 2 shown]
	v_fmac_f32_e32 v39, v35, v108
	s_waitcnt vmcnt(46)
	v_mul_f32_e32 v43, v36, v116
	v_add_f32_e32 v42, v38, v39
	v_fmac_f32_e32 v43, v37, v115
	ds_read2_b64 v[38:41], v1 offset0:103 offset1:104
	v_add_f32_e32 v46, v42, v43
	ds_read2_b64 v[42:45], v1 offset0:105 offset1:106
	buffer_load_dword v165, off, s[0:3], 0 offset:496
	buffer_load_dword v166, off, s[0:3], 0 offset:500
	v_mul_f32_e32 v3, v3, v22
	v_fma_f32 v2, v2, v96, -v3
	v_mul_f32_e32 v3, v5, v23
	v_add_f32_e32 v2, 0, v2
	v_fma_f32 v3, v4, v95, -v3
	v_add_f32_e32 v2, v2, v3
	v_mul_f32_e32 v3, v7, v24
	v_fma_f32 v3, v6, v94, -v3
	v_add_f32_e32 v2, v2, v3
	v_mul_f32_e32 v3, v9, v86
	;; [unrolled: 3-line block ×7, first 2 shown]
	s_waitcnt vmcnt(46) lgkmcnt(1)
	v_mul_f32_e32 v47, v38, v118
	v_fma_f32 v3, v18, v103, -v3
	v_fmac_f32_e32 v47, v39, v117
	v_add_f32_e32 v2, v2, v3
	v_mul_f32_e32 v3, v21, v92
	v_add_f32_e32 v46, v46, v47
	s_waitcnt vmcnt(44)
	v_mul_f32_e32 v47, v40, v122
	v_fma_f32 v3, v20, v102, -v3
	v_fmac_f32_e32 v47, v41, v119
	v_add_f32_e32 v2, v2, v3
	v_mul_f32_e32 v3, v27, v93
	v_add_f32_e32 v46, v46, v47
	s_waitcnt vmcnt(42) lgkmcnt(0)
	v_mul_f32_e32 v47, v42, v124
	v_fma_f32 v3, v26, v101, -v3
	v_fmac_f32_e32 v47, v43, v123
	v_add_f32_e32 v2, v2, v3
	v_mul_f32_e32 v3, v29, v105
	v_add_f32_e32 v50, v46, v47
	ds_read2_b64 v[46:49], v1 offset0:107 offset1:108
	v_fma_f32 v3, v28, v111, -v3
	v_add_f32_e32 v2, v2, v3
	v_mul_f32_e32 v3, v31, v112
	s_waitcnt vmcnt(40)
	v_mul_f32_e32 v51, v44, v126
	v_fma_f32 v3, v30, v110, -v3
	v_fmac_f32_e32 v51, v45, v125
	v_add_f32_e32 v2, v2, v3
	v_mul_f32_e32 v3, v33, v107
	v_add_f32_e32 v54, v50, v51
	ds_read2_b64 v[50:53], v1 offset0:109 offset1:110
	v_fma_f32 v3, v32, v106, -v3
	s_waitcnt vmcnt(38) lgkmcnt(1)
	v_mul_f32_e32 v55, v46, v128
	v_add_f32_e32 v2, v2, v3
	v_mul_f32_e32 v3, v35, v109
	v_fmac_f32_e32 v55, v47, v127
	v_fma_f32 v3, v34, v108, -v3
	v_add_f32_e32 v54, v54, v55
	s_waitcnt vmcnt(36)
	v_mul_f32_e32 v55, v48, v130
	v_add_f32_e32 v2, v2, v3
	v_mul_f32_e32 v3, v37, v116
	v_fmac_f32_e32 v55, v49, v129
	v_fma_f32 v3, v36, v115, -v3
	v_add_f32_e32 v54, v54, v55
	s_waitcnt vmcnt(34) lgkmcnt(0)
	v_mul_f32_e32 v55, v50, v132
	v_add_f32_e32 v2, v2, v3
	v_mul_f32_e32 v3, v39, v118
	v_fmac_f32_e32 v55, v51, v131
	v_fma_f32 v3, v38, v117, -v3
	v_add_f32_e32 v58, v54, v55
	ds_read2_b64 v[54:57], v1 offset0:111 offset1:112
	v_add_f32_e32 v2, v2, v3
	v_mul_f32_e32 v3, v41, v122
	v_fma_f32 v3, v40, v119, -v3
	s_waitcnt vmcnt(32)
	v_mul_f32_e32 v59, v52, v134
	v_add_f32_e32 v2, v2, v3
	v_mul_f32_e32 v3, v43, v124
	v_fmac_f32_e32 v59, v53, v133
	v_fma_f32 v3, v42, v123, -v3
	v_add_f32_e32 v62, v58, v59
	ds_read2_b64 v[58:61], v1 offset0:113 offset1:114
	v_add_f32_e32 v2, v2, v3
	v_mul_f32_e32 v3, v45, v126
	s_waitcnt vmcnt(30) lgkmcnt(1)
	v_mul_f32_e32 v63, v54, v136
	v_fma_f32 v3, v44, v125, -v3
	v_fmac_f32_e32 v63, v55, v135
	v_add_f32_e32 v2, v2, v3
	v_mul_f32_e32 v3, v47, v128
	v_add_f32_e32 v62, v62, v63
	s_waitcnt vmcnt(29)
	v_mul_f32_e32 v63, v56, v137
	v_fma_f32 v3, v46, v127, -v3
	s_waitcnt vmcnt(26)
	v_fmac_f32_e32 v63, v57, v140
	v_add_f32_e32 v2, v2, v3
	v_mul_f32_e32 v3, v49, v130
	v_add_f32_e32 v62, v62, v63
	s_waitcnt lgkmcnt(0)
	v_mul_f32_e32 v63, v58, v139
	v_fma_f32 v3, v48, v129, -v3
	v_fmac_f32_e32 v63, v59, v138
	v_add_f32_e32 v2, v2, v3
	v_mul_f32_e32 v3, v51, v132
	v_add_f32_e32 v66, v62, v63
	ds_read2_b64 v[62:65], v1 offset0:115 offset1:116
	v_fma_f32 v3, v50, v131, -v3
	v_add_f32_e32 v2, v2, v3
	v_mul_f32_e32 v3, v53, v134
	s_waitcnt vmcnt(24)
	v_mul_f32_e32 v67, v60, v142
	v_fma_f32 v3, v52, v133, -v3
	v_fmac_f32_e32 v67, v61, v141
	v_add_f32_e32 v2, v2, v3
	v_mul_f32_e32 v3, v55, v136
	v_add_f32_e32 v70, v66, v67
	ds_read2_b64 v[66:69], v1 offset0:117 offset1:118
	v_fma_f32 v3, v54, v135, -v3
	s_waitcnt vmcnt(22) lgkmcnt(1)
	v_mul_f32_e32 v71, v62, v144
	v_add_f32_e32 v2, v2, v3
	v_mul_f32_e32 v3, v57, v137
	v_fmac_f32_e32 v71, v63, v143
	v_fma_f32 v3, v56, v140, -v3
	v_add_f32_e32 v70, v70, v71
	s_waitcnt vmcnt(21)
	v_mul_f32_e32 v71, v64, v145
	v_add_f32_e32 v2, v2, v3
	v_mul_f32_e32 v3, v59, v139
	s_waitcnt vmcnt(18)
	v_fmac_f32_e32 v71, v65, v148
	v_fma_f32 v3, v58, v138, -v3
	v_add_f32_e32 v70, v70, v71
	s_waitcnt lgkmcnt(0)
	v_mul_f32_e32 v71, v66, v147
	v_add_f32_e32 v2, v2, v3
	v_mul_f32_e32 v3, v61, v142
	v_fmac_f32_e32 v71, v67, v146
	v_fma_f32 v3, v60, v141, -v3
	v_add_f32_e32 v74, v70, v71
	ds_read2_b64 v[70:73], v1 offset0:119 offset1:120
	v_add_f32_e32 v2, v2, v3
	v_mul_f32_e32 v3, v63, v144
	v_fma_f32 v3, v62, v143, -v3
	s_waitcnt vmcnt(16)
	v_mul_f32_e32 v75, v68, v150
	v_add_f32_e32 v2, v2, v3
	v_mul_f32_e32 v3, v65, v145
	v_fmac_f32_e32 v75, v69, v149
	v_fma_f32 v3, v64, v148, -v3
	v_add_f32_e32 v78, v74, v75
	ds_read2_b64 v[74:77], v1 offset0:121 offset1:122
	v_add_f32_e32 v2, v2, v3
	v_mul_f32_e32 v3, v67, v147
	s_waitcnt vmcnt(14) lgkmcnt(1)
	v_mul_f32_e32 v79, v70, v152
	v_fma_f32 v3, v66, v146, -v3
	v_fmac_f32_e32 v79, v71, v151
	v_add_f32_e32 v2, v2, v3
	v_mul_f32_e32 v3, v69, v150
	v_add_f32_e32 v78, v78, v79
	s_waitcnt vmcnt(13)
	v_mul_f32_e32 v79, v72, v153
	v_fma_f32 v3, v68, v149, -v3
	s_waitcnt vmcnt(10)
	v_fmac_f32_e32 v79, v73, v156
	v_add_f32_e32 v2, v2, v3
	v_mul_f32_e32 v3, v71, v152
	v_add_f32_e32 v78, v78, v79
	s_waitcnt lgkmcnt(0)
	v_mul_f32_e32 v79, v74, v155
	v_fma_f32 v3, v70, v151, -v3
	v_fmac_f32_e32 v79, v75, v154
	v_add_f32_e32 v2, v2, v3
	v_mul_f32_e32 v3, v73, v153
	v_add_f32_e32 v82, v78, v79
	ds_read2_b64 v[78:81], v1 offset0:123 offset1:124
	v_fma_f32 v3, v72, v156, -v3
	v_add_f32_e32 v2, v2, v3
	v_mul_f32_e32 v3, v75, v155
	s_waitcnt vmcnt(8)
	v_mul_f32_e32 v83, v76, v158
	v_fma_f32 v3, v74, v154, -v3
	v_fmac_f32_e32 v83, v77, v157
	v_add_f32_e32 v2, v2, v3
	v_mul_f32_e32 v3, v77, v158
	v_add_f32_e32 v167, v82, v83
	ds_read2_b64 v[82:85], v1 offset0:125 offset1:126
	v_fma_f32 v3, v76, v157, -v3
	v_add_f32_e32 v2, v2, v3
	s_waitcnt vmcnt(6) lgkmcnt(1)
	v_mul_f32_e32 v3, v79, v160
	v_mul_f32_e32 v1, v78, v160
	v_fma_f32 v3, v78, v159, -v3
	v_fmac_f32_e32 v1, v79, v159
	v_add_f32_e32 v2, v2, v3
	s_waitcnt vmcnt(5)
	v_mul_f32_e32 v3, v81, v161
	v_add_f32_e32 v1, v167, v1
	v_mul_f32_e32 v167, v80, v161
	s_waitcnt vmcnt(2)
	v_fma_f32 v3, v80, v164, -v3
	v_fmac_f32_e32 v167, v81, v164
	v_add_f32_e32 v2, v2, v3
	s_waitcnt lgkmcnt(0)
	v_mul_f32_e32 v3, v83, v163
	v_add_f32_e32 v1, v1, v167
	v_mul_f32_e32 v167, v82, v163
	v_fma_f32 v3, v82, v162, -v3
	v_fmac_f32_e32 v167, v83, v162
	v_add_f32_e32 v2, v2, v3
	s_waitcnt vmcnt(0)
	v_mul_f32_e32 v3, v85, v166
	v_add_f32_e32 v1, v1, v167
	v_mul_f32_e32 v167, v84, v166
	v_fma_f32 v3, v84, v165, -v3
	v_fmac_f32_e32 v167, v85, v165
	v_add_f32_e32 v2, v2, v3
	v_add_f32_e32 v1, v1, v167
	v_sub_f32_e32 v2, v113, v2
	v_sub_f32_e32 v1, v114, v1
	buffer_store_dword v2, off, s[0:3], 0 offset:176
	buffer_store_dword v1, off, s[0:3], 0 offset:180
	s_and_saveexec_b64 s[4:5], vcc
	s_cbranch_execz .LBB126_349
; %bb.348:
	buffer_load_dword v1, off, s[0:3], 0 offset:168
	buffer_load_dword v2, off, s[0:3], 0 offset:172
	v_mov_b32_e32 v3, 0
	buffer_store_dword v3, off, s[0:3], 0 offset:168
	buffer_store_dword v3, off, s[0:3], 0 offset:172
	s_waitcnt vmcnt(2)
	ds_write_b64 v25, v[1:2]
.LBB126_349:
	s_or_b64 exec, exec, s[4:5]
	s_waitcnt lgkmcnt(0)
	; wave barrier
	buffer_load_dword v10, off, s[0:3], 0 offset:180
	buffer_load_dword v9, off, s[0:3], 0 offset:188
	;; [unrolled: 1-line block ×32, first 2 shown]
	v_mov_b32_e32 v1, 0
	buffer_load_dword v117, off, s[0:3], 0 offset:296
	buffer_load_dword v118, off, s[0:3], 0 offset:300
	buffer_load_dword v119, off, s[0:3], 0 offset:304
	buffer_load_dword v122, off, s[0:3], 0 offset:308
	buffer_load_dword v123, off, s[0:3], 0 offset:312
	buffer_load_dword v124, off, s[0:3], 0 offset:316
	buffer_load_dword v125, off, s[0:3], 0 offset:320
	buffer_load_dword v126, off, s[0:3], 0 offset:324
	buffer_load_dword v127, off, s[0:3], 0 offset:328
	buffer_load_dword v128, off, s[0:3], 0 offset:332
	buffer_load_dword v129, off, s[0:3], 0 offset:336
	buffer_load_dword v130, off, s[0:3], 0 offset:340
	buffer_load_dword v131, off, s[0:3], 0 offset:344
	buffer_load_dword v132, off, s[0:3], 0 offset:348
	buffer_load_dword v133, off, s[0:3], 0 offset:352
	buffer_load_dword v134, off, s[0:3], 0 offset:356
	buffer_load_dword v135, off, s[0:3], 0 offset:360
	buffer_load_dword v136, off, s[0:3], 0 offset:364
	ds_read_b128 v[11:14], v1 offset:688
	ds_read_b128 v[15:18], v1 offset:704
	;; [unrolled: 1-line block ×6, first 2 shown]
	buffer_load_dword v137, off, s[0:3], 0 offset:368
	buffer_load_dword v138, off, s[0:3], 0 offset:372
	;; [unrolled: 1-line block ×6, first 2 shown]
	v_cmp_lt_u32_e32 vcc, 20, v0
	s_waitcnt vmcnt(55) lgkmcnt(5)
	v_mul_f32_e32 v23, v11, v10
	s_waitcnt vmcnt(54)
	v_mul_f32_e32 v24, v13, v9
	s_waitcnt vmcnt(53) lgkmcnt(4)
	v_mul_f32_e32 v38, v15, v8
	s_waitcnt vmcnt(52)
	v_mul_f32_e32 v39, v17, v7
	;; [unrolled: 4-line block ×5, first 2 shown]
	s_waitcnt vmcnt(45) lgkmcnt(0)
	v_mul_f32_e32 v46, v34, v97
	s_waitcnt vmcnt(44)
	v_fmac_f32_e32 v38, v16, v98
	s_waitcnt vmcnt(43)
	v_fmac_f32_e32 v24, v14, v99
	s_waitcnt vmcnt(42)
	v_fmac_f32_e32 v23, v12, v100
	v_add_f32_e32 v23, 0, v23
	v_add_f32_e32 v23, v23, v24
	;; [unrolled: 1-line block ×3, first 2 shown]
	s_waitcnt vmcnt(38)
	v_fmac_f32_e32 v39, v18, v104
	v_fmac_f32_e32 v40, v20, v103
	v_add_f32_e32 v23, v23, v39
	v_fmac_f32_e32 v41, v22, v102
	v_add_f32_e32 v23, v23, v40
	v_add_f32_e32 v23, v23, v41
	ds_read_b128 v[38:41], v1 offset:784
	buffer_load_dword v143, off, s[0:3], 0 offset:392
	buffer_load_dword v144, off, s[0:3], 0 offset:396
	v_fmac_f32_e32 v42, v27, v101
	s_waitcnt vmcnt(36)
	v_fmac_f32_e32 v43, v29, v108
	v_add_f32_e32 v23, v23, v42
	v_fmac_f32_e32 v44, v31, v107
	v_add_f32_e32 v23, v23, v43
	;; [unrolled: 2-line block ×3, first 2 shown]
	v_add_f32_e32 v23, v23, v45
	ds_read_b128 v[42:45], v1 offset:800
	buffer_load_dword v145, off, s[0:3], 0 offset:400
	buffer_load_dword v146, off, s[0:3], 0 offset:404
	;; [unrolled: 1-line block ×16, first 2 shown]
	v_fmac_f32_e32 v46, v35, v105
	v_add_f32_e32 v23, v23, v46
	ds_read_b128 v[46:49], v1 offset:816
	buffer_load_dword v161, off, s[0:3], 0 offset:464
	buffer_load_dword v162, off, s[0:3], 0 offset:468
	;; [unrolled: 1-line block ×6, first 2 shown]
	ds_read_b128 v[50:53], v1 offset:832
	buffer_load_dword v167, off, s[0:3], 0 offset:492
	buffer_load_dword v168, off, s[0:3], 0 offset:496
	;; [unrolled: 1-line block ×4, first 2 shown]
	v_mul_f32_e32 v10, v12, v10
	v_fma_f32 v10, v11, v100, -v10
	v_mul_f32_e32 v9, v14, v9
	v_add_f32_e32 v10, 0, v10
	v_fma_f32 v9, v13, v99, -v9
	v_mul_f32_e32 v8, v16, v8
	v_add_f32_e32 v9, v10, v9
	;; [unrolled: 3-line block ×6, first 2 shown]
	v_fma_f32 v4, v26, v101, -v4
	v_add_f32_e32 v4, v5, v4
	v_mul_f32_e32 v5, v29, v94
	v_fma_f32 v5, v28, v108, -v5
	v_add_f32_e32 v4, v4, v5
	v_mul_f32_e32 v5, v31, v95
	v_fma_f32 v5, v30, v107, -v5
	v_add_f32_e32 v4, v4, v5
	v_mul_f32_e32 v5, v33, v96
	v_fma_f32 v5, v32, v106, -v5
	v_add_f32_e32 v4, v4, v5
	v_mul_f32_e32 v5, v35, v97
	s_waitcnt vmcnt(61)
	v_mul_f32_e32 v24, v36, v109
	v_fma_f32 v5, v34, v105, -v5
	s_waitcnt vmcnt(55)
	v_fmac_f32_e32 v24, v37, v115
	v_add_f32_e32 v4, v4, v5
	v_mul_f32_e32 v5, v37, v109
	v_add_f32_e32 v23, v23, v24
	s_waitcnt vmcnt(54) lgkmcnt(3)
	v_mul_f32_e32 v24, v38, v116
	v_fma_f32 v5, v36, v115, -v5
	v_fmac_f32_e32 v24, v39, v114
	v_add_f32_e32 v4, v4, v5
	v_mul_f32_e32 v5, v39, v116
	v_add_f32_e32 v23, v23, v24
	v_mul_f32_e32 v24, v40, v111
	v_fma_f32 v5, v38, v114, -v5
	v_fmac_f32_e32 v24, v41, v110
	v_add_f32_e32 v4, v4, v5
	v_mul_f32_e32 v5, v41, v111
	v_add_f32_e32 v23, v23, v24
	s_waitcnt lgkmcnt(2)
	v_mul_f32_e32 v24, v42, v113
	v_fma_f32 v5, v40, v110, -v5
	v_fmac_f32_e32 v24, v43, v112
	v_add_f32_e32 v4, v4, v5
	v_mul_f32_e32 v5, v43, v113
	v_add_f32_e32 v23, v23, v24
	s_waitcnt vmcnt(50)
	v_mul_f32_e32 v24, v44, v118
	v_fma_f32 v5, v42, v112, -v5
	v_fmac_f32_e32 v24, v45, v117
	v_add_f32_e32 v4, v4, v5
	v_mul_f32_e32 v5, v45, v118
	v_add_f32_e32 v23, v23, v24
	s_waitcnt vmcnt(48) lgkmcnt(1)
	v_mul_f32_e32 v24, v46, v122
	v_fma_f32 v5, v44, v117, -v5
	v_fmac_f32_e32 v24, v47, v119
	v_add_f32_e32 v4, v4, v5
	v_mul_f32_e32 v5, v47, v122
	v_add_f32_e32 v23, v23, v24
	s_waitcnt vmcnt(46)
	v_mul_f32_e32 v24, v48, v124
	v_fma_f32 v5, v46, v119, -v5
	v_fmac_f32_e32 v24, v49, v123
	ds_read_b128 v[54:57], v1 offset:848
	ds_read_b128 v[58:61], v1 offset:864
	v_add_f32_e32 v4, v4, v5
	v_mul_f32_e32 v5, v49, v124
	v_add_f32_e32 v23, v23, v24
	s_waitcnt vmcnt(44) lgkmcnt(2)
	v_mul_f32_e32 v24, v50, v126
	v_fma_f32 v5, v48, v123, -v5
	v_fmac_f32_e32 v24, v51, v125
	v_add_f32_e32 v4, v4, v5
	v_mul_f32_e32 v5, v51, v126
	v_add_f32_e32 v23, v23, v24
	s_waitcnt vmcnt(42)
	v_mul_f32_e32 v24, v52, v128
	v_fma_f32 v5, v50, v125, -v5
	v_fmac_f32_e32 v24, v53, v127
	v_add_f32_e32 v4, v4, v5
	v_mul_f32_e32 v5, v53, v128
	v_add_f32_e32 v23, v23, v24
	s_waitcnt vmcnt(40) lgkmcnt(1)
	v_mul_f32_e32 v24, v54, v130
	v_fma_f32 v5, v52, v127, -v5
	v_fmac_f32_e32 v24, v55, v129
	v_add_f32_e32 v4, v4, v5
	v_mul_f32_e32 v5, v55, v130
	v_add_f32_e32 v23, v23, v24
	s_waitcnt vmcnt(38)
	v_mul_f32_e32 v24, v56, v132
	v_fma_f32 v5, v54, v129, -v5
	v_fmac_f32_e32 v24, v57, v131
	ds_read_b128 v[62:65], v1 offset:880
	ds_read_b128 v[66:69], v1 offset:896
	v_add_f32_e32 v4, v4, v5
	v_mul_f32_e32 v5, v57, v132
	v_add_f32_e32 v23, v23, v24
	s_waitcnt vmcnt(36) lgkmcnt(2)
	v_mul_f32_e32 v24, v58, v134
	v_fma_f32 v5, v56, v131, -v5
	v_fmac_f32_e32 v24, v59, v133
	v_add_f32_e32 v4, v4, v5
	v_mul_f32_e32 v5, v59, v134
	v_add_f32_e32 v23, v23, v24
	s_waitcnt vmcnt(34)
	v_mul_f32_e32 v24, v60, v136
	v_fma_f32 v5, v58, v133, -v5
	v_fmac_f32_e32 v24, v61, v135
	v_add_f32_e32 v4, v4, v5
	v_mul_f32_e32 v5, v61, v136
	v_add_f32_e32 v23, v23, v24
	s_waitcnt vmcnt(32) lgkmcnt(1)
	v_mul_f32_e32 v24, v62, v138
	v_fma_f32 v5, v60, v135, -v5
	v_fmac_f32_e32 v24, v63, v137
	v_add_f32_e32 v4, v4, v5
	v_mul_f32_e32 v5, v63, v138
	v_add_f32_e32 v23, v23, v24
	s_waitcnt vmcnt(31)
	v_mul_f32_e32 v24, v64, v139
	v_fma_f32 v5, v62, v137, -v5
	s_waitcnt vmcnt(28)
	v_fmac_f32_e32 v24, v65, v142
	ds_read_b128 v[70:73], v1 offset:912
	ds_read_b128 v[74:77], v1 offset:928
	v_add_f32_e32 v4, v4, v5
	v_mul_f32_e32 v5, v65, v139
	v_add_f32_e32 v23, v23, v24
	s_waitcnt lgkmcnt(2)
	v_mul_f32_e32 v24, v66, v141
	v_fma_f32 v5, v64, v142, -v5
	v_fmac_f32_e32 v24, v67, v140
	v_add_f32_e32 v4, v4, v5
	v_mul_f32_e32 v5, v67, v141
	v_add_f32_e32 v23, v23, v24
	s_waitcnt vmcnt(26)
	v_mul_f32_e32 v24, v68, v144
	v_fma_f32 v5, v66, v140, -v5
	v_fmac_f32_e32 v24, v69, v143
	v_add_f32_e32 v4, v4, v5
	v_mul_f32_e32 v5, v69, v144
	v_add_f32_e32 v23, v23, v24
	s_waitcnt vmcnt(24) lgkmcnt(1)
	v_mul_f32_e32 v24, v70, v146
	v_fma_f32 v5, v68, v143, -v5
	v_fmac_f32_e32 v24, v71, v145
	v_add_f32_e32 v4, v4, v5
	v_mul_f32_e32 v5, v71, v146
	v_add_f32_e32 v23, v23, v24
	s_waitcnt vmcnt(23)
	v_mul_f32_e32 v24, v72, v147
	v_fma_f32 v5, v70, v145, -v5
	s_waitcnt vmcnt(20)
	v_fmac_f32_e32 v24, v73, v150
	ds_read_b128 v[78:81], v1 offset:944
	ds_read_b128 v[82:85], v1 offset:960
	v_add_f32_e32 v4, v4, v5
	v_mul_f32_e32 v5, v73, v147
	v_add_f32_e32 v23, v23, v24
	s_waitcnt lgkmcnt(2)
	;; [unrolled: 31-line block ×3, first 2 shown]
	v_mul_f32_e32 v24, v82, v157
	v_fma_f32 v5, v80, v158, -v5
	v_fmac_f32_e32 v24, v83, v156
	v_add_f32_e32 v4, v4, v5
	v_mul_f32_e32 v5, v83, v157
	v_add_f32_e32 v23, v23, v24
	s_waitcnt vmcnt(10)
	v_mul_f32_e32 v24, v84, v160
	v_fma_f32 v5, v82, v156, -v5
	v_fmac_f32_e32 v24, v85, v159
	v_add_f32_e32 v4, v4, v5
	v_mul_f32_e32 v5, v85, v160
	v_add_f32_e32 v23, v23, v24
	s_waitcnt vmcnt(8) lgkmcnt(1)
	v_mul_f32_e32 v24, v86, v162
	v_fma_f32 v5, v84, v159, -v5
	v_fmac_f32_e32 v24, v87, v161
	v_add_f32_e32 v4, v4, v5
	v_mul_f32_e32 v5, v87, v162
	v_add_f32_e32 v23, v23, v24
	s_waitcnt vmcnt(7)
	v_mul_f32_e32 v24, v88, v163
	v_fma_f32 v5, v86, v161, -v5
	s_waitcnt vmcnt(4)
	v_fmac_f32_e32 v24, v89, v166
	v_add_f32_e32 v4, v4, v5
	v_mul_f32_e32 v5, v89, v163
	v_add_f32_e32 v171, v23, v24
	ds_read_b64 v[23:24], v1 offset:1008
	v_fma_f32 v5, v88, v166, -v5
	v_add_f32_e32 v4, v4, v5
	s_waitcnt lgkmcnt(1)
	v_mul_f32_e32 v5, v91, v165
	v_mul_f32_e32 v172, v90, v165
	v_fma_f32 v5, v90, v164, -v5
	v_fmac_f32_e32 v172, v91, v164
	v_add_f32_e32 v4, v4, v5
	s_waitcnt vmcnt(3)
	v_mul_f32_e32 v5, v93, v167
	v_add_f32_e32 v171, v171, v172
	v_mul_f32_e32 v172, v92, v167
	s_waitcnt vmcnt(0)
	v_fma_f32 v5, v92, v170, -v5
	v_fmac_f32_e32 v172, v93, v170
	v_add_f32_e32 v4, v4, v5
	s_waitcnt lgkmcnt(0)
	v_mul_f32_e32 v5, v24, v169
	v_add_f32_e32 v171, v171, v172
	v_mul_f32_e32 v172, v23, v169
	v_fma_f32 v5, v23, v168, -v5
	v_fmac_f32_e32 v172, v24, v168
	v_add_f32_e32 v4, v4, v5
	v_add_f32_e32 v171, v171, v172
	v_sub_f32_e32 v2, v2, v4
	v_sub_f32_e32 v3, v3, v171
	buffer_store_dword v2, off, s[0:3], 0 offset:168
	buffer_store_dword v3, off, s[0:3], 0 offset:172
	s_and_saveexec_b64 s[4:5], vcc
	s_cbranch_execz .LBB126_351
; %bb.350:
	buffer_load_dword v2, off, s[0:3], 0 offset:160
	buffer_load_dword v3, off, s[0:3], 0 offset:164
	s_waitcnt vmcnt(0)
	ds_write_b64 v25, v[2:3]
	buffer_store_dword v1, off, s[0:3], 0 offset:160
	buffer_store_dword v1, off, s[0:3], 0 offset:164
.LBB126_351:
	s_or_b64 exec, exec, s[4:5]
	s_waitcnt lgkmcnt(0)
	; wave barrier
	buffer_load_dword v22, off, s[0:3], 0 offset:172
	buffer_load_dword v23, off, s[0:3], 0 offset:180
	;; [unrolled: 1-line block ×32, first 2 shown]
	ds_read2_b64 v[2:5], v1 offset0:85 offset1:86
	ds_read2_b64 v[6:9], v1 offset0:87 offset1:88
	;; [unrolled: 1-line block ×6, first 2 shown]
	buffer_load_dword v119, off, s[0:3], 0 offset:288
	buffer_load_dword v122, off, s[0:3], 0 offset:292
	;; [unrolled: 1-line block ×18, first 2 shown]
	v_cmp_lt_u32_e32 vcc, 19, v0
	s_waitcnt vmcnt(49) lgkmcnt(5)
	v_mul_f32_e32 v30, v2, v22
	s_waitcnt vmcnt(48)
	v_mul_f32_e32 v31, v4, v23
	s_waitcnt vmcnt(47) lgkmcnt(4)
	v_mul_f32_e32 v32, v6, v24
	s_waitcnt vmcnt(46)
	v_mul_f32_e32 v33, v8, v90
	;; [unrolled: 4-line block ×6, first 2 shown]
	s_waitcnt vmcnt(37)
	v_fmac_f32_e32 v32, v7, v99
	s_waitcnt vmcnt(36)
	v_fmac_f32_e32 v31, v5, v100
	;; [unrolled: 2-line block ×3, first 2 shown]
	v_add_f32_e32 v30, 0, v30
	v_add_f32_e32 v30, v30, v31
	;; [unrolled: 1-line block ×3, first 2 shown]
	s_waitcnt vmcnt(31)
	v_fmac_f32_e32 v33, v9, v105
	v_fmac_f32_e32 v34, v11, v104
	v_add_f32_e32 v30, v30, v33
	v_fmac_f32_e32 v35, v13, v103
	v_add_f32_e32 v30, v30, v34
	v_fmac_f32_e32 v36, v15, v102
	v_add_f32_e32 v30, v30, v35
	s_waitcnt vmcnt(27)
	v_fmac_f32_e32 v37, v17, v109
	v_add_f32_e32 v30, v30, v36
	v_fmac_f32_e32 v38, v19, v108
	v_add_f32_e32 v30, v30, v37
	;; [unrolled: 2-line block ×3, first 2 shown]
	v_add_f32_e32 v34, v30, v39
	ds_read2_b64 v[30:33], v1 offset0:97 offset1:98
	buffer_load_dword v139, off, s[0:3], 0 offset:360
	buffer_load_dword v140, off, s[0:3], 0 offset:364
	;; [unrolled: 1-line block ×6, first 2 shown]
	v_fmac_f32_e32 v40, v27, v106
	s_waitcnt vmcnt(27)
	v_fmac_f32_e32 v41, v29, v115
	v_add_f32_e32 v34, v34, v40
	v_add_f32_e32 v38, v34, v41
	ds_read2_b64 v[34:37], v1 offset0:99 offset1:100
	buffer_load_dword v145, off, s[0:3], 0 offset:384
	buffer_load_dword v146, off, s[0:3], 0 offset:388
	;; [unrolled: 1-line block ×10, first 2 shown]
	s_waitcnt vmcnt(36) lgkmcnt(1)
	v_mul_f32_e32 v39, v30, v116
	buffer_load_dword v155, off, s[0:3], 0 offset:424
	buffer_load_dword v156, off, s[0:3], 0 offset:428
	;; [unrolled: 1-line block ×6, first 2 shown]
	v_fmac_f32_e32 v39, v31, v114
	v_add_f32_e32 v38, v38, v39
	v_mul_f32_e32 v39, v32, v111
	v_fmac_f32_e32 v39, v33, v110
	v_add_f32_e32 v38, v38, v39
	s_waitcnt lgkmcnt(0)
	v_mul_f32_e32 v39, v34, v113
	v_fmac_f32_e32 v39, v35, v112
	v_add_f32_e32 v42, v38, v39
	ds_read2_b64 v[38:41], v1 offset0:101 offset1:102
	buffer_load_dword v161, off, s[0:3], 0 offset:448
	buffer_load_dword v162, off, s[0:3], 0 offset:452
	s_waitcnt vmcnt(40)
	v_mul_f32_e32 v43, v36, v122
	v_fmac_f32_e32 v43, v37, v119
	v_add_f32_e32 v46, v42, v43
	ds_read2_b64 v[42:45], v1 offset0:103 offset1:104
	buffer_load_dword v163, off, s[0:3], 0 offset:456
	buffer_load_dword v164, off, s[0:3], 0 offset:460
	;; [unrolled: 1-line block ×12, first 2 shown]
	v_mul_f32_e32 v3, v3, v22
	v_fma_f32 v2, v2, v101, -v3
	v_mul_f32_e32 v3, v5, v23
	v_add_f32_e32 v2, 0, v2
	v_fma_f32 v3, v4, v100, -v3
	v_add_f32_e32 v2, v2, v3
	v_mul_f32_e32 v3, v7, v24
	v_fma_f32 v3, v6, v99, -v3
	v_add_f32_e32 v2, v2, v3
	v_mul_f32_e32 v3, v9, v90
	;; [unrolled: 3-line block ×6, first 2 shown]
	v_fma_f32 v3, v16, v109, -v3
	s_waitcnt vmcnt(50) lgkmcnt(1)
	v_mul_f32_e32 v47, v38, v124
	v_add_f32_e32 v2, v2, v3
	v_mul_f32_e32 v3, v19, v95
	v_fmac_f32_e32 v47, v39, v123
	v_fma_f32 v3, v18, v108, -v3
	v_add_f32_e32 v46, v46, v47
	s_waitcnt vmcnt(48)
	v_mul_f32_e32 v47, v40, v126
	v_add_f32_e32 v2, v2, v3
	v_mul_f32_e32 v3, v21, v96
	v_fmac_f32_e32 v47, v41, v125
	v_fma_f32 v3, v20, v107, -v3
	v_add_f32_e32 v46, v46, v47
	s_waitcnt vmcnt(46) lgkmcnt(0)
	v_mul_f32_e32 v47, v42, v128
	v_add_f32_e32 v2, v2, v3
	v_mul_f32_e32 v3, v27, v97
	v_fmac_f32_e32 v47, v43, v127
	v_fma_f32 v3, v26, v106, -v3
	v_add_f32_e32 v50, v46, v47
	ds_read2_b64 v[46:49], v1 offset0:105 offset1:106
	v_add_f32_e32 v2, v2, v3
	v_mul_f32_e32 v3, v29, v98
	v_fma_f32 v3, v28, v115, -v3
	s_waitcnt vmcnt(44)
	v_mul_f32_e32 v51, v44, v130
	v_add_f32_e32 v2, v2, v3
	v_mul_f32_e32 v3, v31, v116
	v_fmac_f32_e32 v51, v45, v129
	v_fma_f32 v3, v30, v114, -v3
	v_add_f32_e32 v54, v50, v51
	ds_read2_b64 v[50:53], v1 offset0:107 offset1:108
	v_add_f32_e32 v2, v2, v3
	v_mul_f32_e32 v3, v33, v111
	s_waitcnt vmcnt(42) lgkmcnt(1)
	v_mul_f32_e32 v55, v46, v132
	v_fma_f32 v3, v32, v110, -v3
	v_fmac_f32_e32 v55, v47, v131
	v_add_f32_e32 v2, v2, v3
	v_mul_f32_e32 v3, v35, v113
	v_add_f32_e32 v54, v54, v55
	s_waitcnt vmcnt(40)
	v_mul_f32_e32 v55, v48, v134
	v_fma_f32 v3, v34, v112, -v3
	v_fmac_f32_e32 v55, v49, v133
	v_add_f32_e32 v2, v2, v3
	v_mul_f32_e32 v3, v37, v122
	v_add_f32_e32 v54, v54, v55
	s_waitcnt vmcnt(38) lgkmcnt(0)
	v_mul_f32_e32 v55, v50, v136
	v_fma_f32 v3, v36, v119, -v3
	v_fmac_f32_e32 v55, v51, v135
	v_add_f32_e32 v2, v2, v3
	v_mul_f32_e32 v3, v39, v124
	v_add_f32_e32 v58, v54, v55
	ds_read2_b64 v[54:57], v1 offset0:109 offset1:110
	v_fma_f32 v3, v38, v123, -v3
	v_add_f32_e32 v2, v2, v3
	v_mul_f32_e32 v3, v41, v126
	s_waitcnt vmcnt(36)
	v_mul_f32_e32 v59, v52, v138
	v_fma_f32 v3, v40, v125, -v3
	v_fmac_f32_e32 v59, v53, v137
	v_add_f32_e32 v2, v2, v3
	v_mul_f32_e32 v3, v43, v128
	v_add_f32_e32 v62, v58, v59
	ds_read2_b64 v[58:61], v1 offset0:111 offset1:112
	v_fma_f32 v3, v42, v127, -v3
	s_waitcnt vmcnt(34) lgkmcnt(1)
	v_mul_f32_e32 v63, v54, v140
	v_add_f32_e32 v2, v2, v3
	v_mul_f32_e32 v3, v45, v130
	v_fmac_f32_e32 v63, v55, v139
	v_fma_f32 v3, v44, v129, -v3
	v_add_f32_e32 v62, v62, v63
	s_waitcnt vmcnt(33)
	v_mul_f32_e32 v63, v56, v141
	v_add_f32_e32 v2, v2, v3
	v_mul_f32_e32 v3, v47, v132
	s_waitcnt vmcnt(30)
	v_fmac_f32_e32 v63, v57, v144
	v_fma_f32 v3, v46, v131, -v3
	v_add_f32_e32 v62, v62, v63
	s_waitcnt lgkmcnt(0)
	v_mul_f32_e32 v63, v58, v143
	v_add_f32_e32 v2, v2, v3
	v_mul_f32_e32 v3, v49, v134
	v_fmac_f32_e32 v63, v59, v142
	v_fma_f32 v3, v48, v133, -v3
	v_add_f32_e32 v66, v62, v63
	ds_read2_b64 v[62:65], v1 offset0:113 offset1:114
	v_add_f32_e32 v2, v2, v3
	v_mul_f32_e32 v3, v51, v136
	v_fma_f32 v3, v50, v135, -v3
	s_waitcnt vmcnt(28)
	v_mul_f32_e32 v67, v60, v146
	v_add_f32_e32 v2, v2, v3
	v_mul_f32_e32 v3, v53, v138
	v_fmac_f32_e32 v67, v61, v145
	v_fma_f32 v3, v52, v137, -v3
	v_add_f32_e32 v70, v66, v67
	ds_read2_b64 v[66:69], v1 offset0:115 offset1:116
	v_add_f32_e32 v2, v2, v3
	v_mul_f32_e32 v3, v55, v140
	s_waitcnt vmcnt(26) lgkmcnt(1)
	v_mul_f32_e32 v71, v62, v148
	v_fma_f32 v3, v54, v139, -v3
	v_fmac_f32_e32 v71, v63, v147
	v_add_f32_e32 v2, v2, v3
	v_mul_f32_e32 v3, v57, v141
	v_add_f32_e32 v70, v70, v71
	s_waitcnt vmcnt(25)
	v_mul_f32_e32 v71, v64, v149
	v_fma_f32 v3, v56, v144, -v3
	s_waitcnt vmcnt(22)
	v_fmac_f32_e32 v71, v65, v152
	v_add_f32_e32 v2, v2, v3
	v_mul_f32_e32 v3, v59, v143
	v_add_f32_e32 v70, v70, v71
	s_waitcnt lgkmcnt(0)
	v_mul_f32_e32 v71, v66, v151
	v_fma_f32 v3, v58, v142, -v3
	v_fmac_f32_e32 v71, v67, v150
	v_add_f32_e32 v2, v2, v3
	v_mul_f32_e32 v3, v61, v146
	v_add_f32_e32 v74, v70, v71
	ds_read2_b64 v[70:73], v1 offset0:117 offset1:118
	v_fma_f32 v3, v60, v145, -v3
	v_add_f32_e32 v2, v2, v3
	v_mul_f32_e32 v3, v63, v148
	s_waitcnt vmcnt(20)
	v_mul_f32_e32 v75, v68, v154
	v_fma_f32 v3, v62, v147, -v3
	v_fmac_f32_e32 v75, v69, v153
	v_add_f32_e32 v2, v2, v3
	v_mul_f32_e32 v3, v65, v149
	v_add_f32_e32 v78, v74, v75
	ds_read2_b64 v[74:77], v1 offset0:119 offset1:120
	v_fma_f32 v3, v64, v152, -v3
	s_waitcnt vmcnt(18) lgkmcnt(1)
	v_mul_f32_e32 v79, v70, v156
	v_add_f32_e32 v2, v2, v3
	v_mul_f32_e32 v3, v67, v151
	v_fmac_f32_e32 v79, v71, v155
	v_fma_f32 v3, v66, v150, -v3
	v_add_f32_e32 v78, v78, v79
	s_waitcnt vmcnt(17)
	v_mul_f32_e32 v79, v72, v157
	v_add_f32_e32 v2, v2, v3
	v_mul_f32_e32 v3, v69, v154
	s_waitcnt vmcnt(14)
	v_fmac_f32_e32 v79, v73, v160
	v_fma_f32 v3, v68, v153, -v3
	v_add_f32_e32 v78, v78, v79
	s_waitcnt lgkmcnt(0)
	v_mul_f32_e32 v79, v74, v159
	v_add_f32_e32 v2, v2, v3
	v_mul_f32_e32 v3, v71, v156
	v_fmac_f32_e32 v79, v75, v158
	v_fma_f32 v3, v70, v155, -v3
	v_add_f32_e32 v82, v78, v79
	ds_read2_b64 v[78:81], v1 offset0:121 offset1:122
	v_add_f32_e32 v2, v2, v3
	v_mul_f32_e32 v3, v73, v157
	v_fma_f32 v3, v72, v160, -v3
	v_add_f32_e32 v2, v2, v3
	v_mul_f32_e32 v3, v75, v159
	s_waitcnt vmcnt(12)
	v_mul_f32_e32 v83, v76, v162
	v_fma_f32 v3, v74, v158, -v3
	v_fmac_f32_e32 v83, v77, v161
	v_add_f32_e32 v2, v2, v3
	v_mul_f32_e32 v3, v77, v162
	v_add_f32_e32 v86, v82, v83
	ds_read2_b64 v[82:85], v1 offset0:123 offset1:124
	s_waitcnt vmcnt(10) lgkmcnt(1)
	v_mul_f32_e32 v87, v78, v164
	v_fma_f32 v3, v76, v161, -v3
	v_fmac_f32_e32 v87, v79, v163
	v_add_f32_e32 v2, v2, v3
	v_mul_f32_e32 v3, v79, v164
	v_add_f32_e32 v86, v86, v87
	s_waitcnt vmcnt(9)
	v_mul_f32_e32 v87, v80, v165
	v_fma_f32 v3, v78, v163, -v3
	s_waitcnt vmcnt(6)
	v_fmac_f32_e32 v87, v81, v168
	v_add_f32_e32 v2, v2, v3
	v_mul_f32_e32 v3, v81, v165
	v_add_f32_e32 v175, v86, v87
	ds_read2_b64 v[86:89], v1 offset0:125 offset1:126
	v_fma_f32 v3, v80, v168, -v3
	v_add_f32_e32 v2, v2, v3
	s_waitcnt lgkmcnt(1)
	v_mul_f32_e32 v3, v83, v167
	v_mul_f32_e32 v176, v82, v167
	v_fma_f32 v3, v82, v166, -v3
	v_fmac_f32_e32 v176, v83, v166
	v_add_f32_e32 v2, v2, v3
	s_waitcnt vmcnt(4)
	v_mul_f32_e32 v3, v85, v170
	v_add_f32_e32 v1, v175, v176
	v_mul_f32_e32 v175, v84, v170
	v_fma_f32 v3, v84, v169, -v3
	v_fmac_f32_e32 v175, v85, v169
	v_add_f32_e32 v2, v2, v3
	s_waitcnt vmcnt(3) lgkmcnt(0)
	v_mul_f32_e32 v3, v87, v171
	v_add_f32_e32 v1, v1, v175
	v_mul_f32_e32 v175, v86, v171
	s_waitcnt vmcnt(0)
	v_fma_f32 v3, v86, v174, -v3
	v_fmac_f32_e32 v175, v87, v174
	v_add_f32_e32 v2, v2, v3
	v_mul_f32_e32 v3, v89, v173
	v_add_f32_e32 v1, v1, v175
	v_mul_f32_e32 v175, v88, v173
	v_fma_f32 v3, v88, v172, -v3
	v_fmac_f32_e32 v175, v89, v172
	v_add_f32_e32 v2, v2, v3
	v_add_f32_e32 v1, v1, v175
	v_sub_f32_e32 v2, v117, v2
	v_sub_f32_e32 v1, v118, v1
	buffer_store_dword v2, off, s[0:3], 0 offset:160
	buffer_store_dword v1, off, s[0:3], 0 offset:164
	s_and_saveexec_b64 s[4:5], vcc
	s_cbranch_execz .LBB126_353
; %bb.352:
	buffer_load_dword v1, off, s[0:3], 0 offset:152
	buffer_load_dword v2, off, s[0:3], 0 offset:156
	v_mov_b32_e32 v3, 0
	buffer_store_dword v3, off, s[0:3], 0 offset:152
	buffer_store_dword v3, off, s[0:3], 0 offset:156
	s_waitcnt vmcnt(2)
	ds_write_b64 v25, v[1:2]
.LBB126_353:
	s_or_b64 exec, exec, s[4:5]
	s_waitcnt lgkmcnt(0)
	; wave barrier
	buffer_load_dword v10, off, s[0:3], 0 offset:164
	buffer_load_dword v9, off, s[0:3], 0 offset:172
	;; [unrolled: 1-line block ×48, first 2 shown]
	v_mov_b32_e32 v1, 0
	ds_read_b128 v[16:19], v1 offset:672
	ds_read_b128 v[20:23], v1 offset:688
	;; [unrolled: 1-line block ×6, first 2 shown]
	buffer_load_dword v139, off, s[0:3], 0 offset:344
	buffer_load_dword v140, off, s[0:3], 0 offset:348
	v_cmp_lt_u32_e32 vcc, 18, v0
	s_waitcnt vmcnt(49) lgkmcnt(5)
	v_mul_f32_e32 v42, v16, v10
	s_waitcnt vmcnt(48)
	v_mul_f32_e32 v43, v18, v9
	s_waitcnt vmcnt(47) lgkmcnt(4)
	v_mul_f32_e32 v44, v20, v8
	s_waitcnt vmcnt(46)
	v_mul_f32_e32 v45, v22, v7
	;; [unrolled: 4-line block ×6, first 2 shown]
	s_waitcnt vmcnt(37)
	v_fmac_f32_e32 v44, v21, v24
	s_waitcnt vmcnt(36)
	v_fmac_f32_e32 v43, v19, v104
	;; [unrolled: 2-line block ×3, first 2 shown]
	v_add_f32_e32 v42, 0, v42
	v_add_f32_e32 v42, v42, v43
	;; [unrolled: 1-line block ×3, first 2 shown]
	s_waitcnt vmcnt(31)
	v_fmac_f32_e32 v45, v23, v109
	v_fmac_f32_e32 v46, v27, v108
	v_add_f32_e32 v42, v42, v45
	v_fmac_f32_e32 v47, v29, v107
	v_add_f32_e32 v42, v42, v46
	;; [unrolled: 2-line block ×3, first 2 shown]
	s_waitcnt vmcnt(27)
	v_fmac_f32_e32 v49, v33, v113
	v_add_f32_e32 v42, v42, v48
	v_fmac_f32_e32 v50, v35, v112
	v_add_f32_e32 v42, v42, v49
	;; [unrolled: 2-line block ×4, first 2 shown]
	v_add_f32_e32 v46, v42, v52
	ds_read_b128 v[42:45], v1 offset:768
	buffer_load_dword v141, off, s[0:3], 0 offset:352
	buffer_load_dword v142, off, s[0:3], 0 offset:356
	;; [unrolled: 1-line block ×6, first 2 shown]
	s_waitcnt vmcnt(28)
	v_fmac_f32_e32 v53, v41, v118
	v_add_f32_e32 v50, v46, v53
	ds_read_b128 v[46:49], v1 offset:784
	buffer_load_dword v147, off, s[0:3], 0 offset:376
	buffer_load_dword v148, off, s[0:3], 0 offset:380
	;; [unrolled: 1-line block ×8, first 2 shown]
	s_waitcnt vmcnt(35) lgkmcnt(1)
	v_mul_f32_e32 v51, v42, v119
	buffer_load_dword v155, off, s[0:3], 0 offset:408
	buffer_load_dword v156, off, s[0:3], 0 offset:412
	v_fmac_f32_e32 v51, v43, v117
	v_add_f32_e32 v50, v50, v51
	s_waitcnt vmcnt(36)
	v_mul_f32_e32 v51, v44, v122
	v_fmac_f32_e32 v51, v45, v116
	v_add_f32_e32 v50, v50, v51
	s_waitcnt lgkmcnt(0)
	v_mul_f32_e32 v51, v46, v115
	v_fmac_f32_e32 v51, v47, v114
	v_add_f32_e32 v54, v50, v51
	ds_read_b128 v[50:53], v1 offset:800
	buffer_load_dword v157, off, s[0:3], 0 offset:416
	buffer_load_dword v158, off, s[0:3], 0 offset:420
	;; [unrolled: 1-line block ×6, first 2 shown]
	s_waitcnt vmcnt(38)
	v_mul_f32_e32 v55, v48, v124
	v_fmac_f32_e32 v55, v49, v123
	v_add_f32_e32 v58, v54, v55
	ds_read_b128 v[54:57], v1 offset:816
	buffer_load_dword v163, off, s[0:3], 0 offset:440
	buffer_load_dword v164, off, s[0:3], 0 offset:444
	;; [unrolled: 1-line block ×16, first 2 shown]
	v_mul_f32_e32 v10, v17, v10
	v_fma_f32 v10, v16, v105, -v10
	v_mul_f32_e32 v9, v19, v9
	v_add_f32_e32 v10, 0, v10
	v_fma_f32 v9, v18, v104, -v9
	v_mul_f32_e32 v8, v21, v8
	v_add_f32_e32 v9, v10, v9
	;; [unrolled: 3-line block ×6, first 2 shown]
	v_fma_f32 v4, v30, v106, -v4
	s_waitcnt vmcnt(52) lgkmcnt(1)
	v_mul_f32_e32 v59, v50, v126
	v_add_f32_e32 v4, v5, v4
	v_mul_f32_e32 v5, v33, v11
	v_fmac_f32_e32 v59, v51, v125
	v_fma_f32 v5, v32, v113, -v5
	v_add_f32_e32 v58, v58, v59
	s_waitcnt vmcnt(50)
	v_mul_f32_e32 v59, v52, v128
	v_add_f32_e32 v4, v4, v5
	v_mul_f32_e32 v5, v35, v12
	v_fmac_f32_e32 v59, v53, v127
	v_fma_f32 v5, v34, v112, -v5
	v_add_f32_e32 v58, v58, v59
	s_waitcnt vmcnt(48) lgkmcnt(0)
	v_mul_f32_e32 v59, v54, v130
	v_add_f32_e32 v4, v4, v5
	v_mul_f32_e32 v5, v37, v13
	v_fmac_f32_e32 v59, v55, v129
	v_fma_f32 v5, v36, v111, -v5
	v_add_f32_e32 v62, v58, v59
	ds_read_b128 v[58:61], v1 offset:832
	v_add_f32_e32 v4, v4, v5
	v_mul_f32_e32 v5, v39, v14
	v_fma_f32 v5, v38, v110, -v5
	s_waitcnt vmcnt(46)
	v_mul_f32_e32 v63, v56, v132
	v_add_f32_e32 v4, v4, v5
	v_mul_f32_e32 v5, v41, v15
	v_fmac_f32_e32 v63, v57, v131
	v_fma_f32 v5, v40, v118, -v5
	v_add_f32_e32 v66, v62, v63
	ds_read_b128 v[62:65], v1 offset:848
	v_add_f32_e32 v4, v4, v5
	v_mul_f32_e32 v5, v43, v119
	s_waitcnt vmcnt(44) lgkmcnt(1)
	v_mul_f32_e32 v67, v58, v134
	v_fma_f32 v5, v42, v117, -v5
	v_fmac_f32_e32 v67, v59, v133
	v_add_f32_e32 v4, v4, v5
	v_mul_f32_e32 v5, v45, v122
	v_add_f32_e32 v66, v66, v67
	s_waitcnt vmcnt(42)
	v_mul_f32_e32 v67, v60, v136
	v_fma_f32 v5, v44, v116, -v5
	v_fmac_f32_e32 v67, v61, v135
	v_add_f32_e32 v4, v4, v5
	v_mul_f32_e32 v5, v47, v115
	v_add_f32_e32 v66, v66, v67
	s_waitcnt vmcnt(40) lgkmcnt(0)
	v_mul_f32_e32 v67, v62, v138
	v_fma_f32 v5, v46, v114, -v5
	v_fmac_f32_e32 v67, v63, v137
	v_add_f32_e32 v4, v4, v5
	v_mul_f32_e32 v5, v49, v124
	v_add_f32_e32 v70, v66, v67
	ds_read_b128 v[66:69], v1 offset:864
	v_fma_f32 v5, v48, v123, -v5
	v_add_f32_e32 v4, v4, v5
	v_mul_f32_e32 v5, v51, v126
	s_waitcnt vmcnt(38)
	v_mul_f32_e32 v71, v64, v140
	v_fma_f32 v5, v50, v125, -v5
	v_fmac_f32_e32 v71, v65, v139
	v_add_f32_e32 v4, v4, v5
	v_mul_f32_e32 v5, v53, v128
	v_add_f32_e32 v74, v70, v71
	ds_read_b128 v[70:73], v1 offset:880
	v_fma_f32 v5, v52, v127, -v5
	s_waitcnt vmcnt(36) lgkmcnt(1)
	v_mul_f32_e32 v75, v66, v142
	v_add_f32_e32 v4, v4, v5
	v_mul_f32_e32 v5, v55, v130
	v_fmac_f32_e32 v75, v67, v141
	v_fma_f32 v5, v54, v129, -v5
	v_add_f32_e32 v74, v74, v75
	s_waitcnt vmcnt(35)
	v_mul_f32_e32 v75, v68, v143
	v_add_f32_e32 v4, v4, v5
	v_mul_f32_e32 v5, v57, v132
	s_waitcnt vmcnt(32)
	v_fmac_f32_e32 v75, v69, v146
	v_fma_f32 v5, v56, v131, -v5
	v_add_f32_e32 v74, v74, v75
	s_waitcnt lgkmcnt(0)
	v_mul_f32_e32 v75, v70, v145
	v_add_f32_e32 v4, v4, v5
	v_mul_f32_e32 v5, v59, v134
	v_fmac_f32_e32 v75, v71, v144
	v_fma_f32 v5, v58, v133, -v5
	v_add_f32_e32 v78, v74, v75
	ds_read_b128 v[74:77], v1 offset:896
	v_add_f32_e32 v4, v4, v5
	v_mul_f32_e32 v5, v61, v136
	v_fma_f32 v5, v60, v135, -v5
	s_waitcnt vmcnt(30)
	v_mul_f32_e32 v79, v72, v148
	v_add_f32_e32 v4, v4, v5
	v_mul_f32_e32 v5, v63, v138
	v_fmac_f32_e32 v79, v73, v147
	v_fma_f32 v5, v62, v137, -v5
	v_add_f32_e32 v82, v78, v79
	ds_read_b128 v[78:81], v1 offset:912
	v_add_f32_e32 v4, v4, v5
	v_mul_f32_e32 v5, v65, v140
	s_waitcnt vmcnt(28) lgkmcnt(1)
	v_mul_f32_e32 v83, v74, v150
	v_fma_f32 v5, v64, v139, -v5
	v_fmac_f32_e32 v83, v75, v149
	v_add_f32_e32 v4, v4, v5
	v_mul_f32_e32 v5, v67, v142
	v_add_f32_e32 v82, v82, v83
	s_waitcnt vmcnt(27)
	v_mul_f32_e32 v83, v76, v151
	v_fma_f32 v5, v66, v141, -v5
	s_waitcnt vmcnt(24)
	v_fmac_f32_e32 v83, v77, v154
	v_add_f32_e32 v4, v4, v5
	v_mul_f32_e32 v5, v69, v143
	v_add_f32_e32 v82, v82, v83
	s_waitcnt lgkmcnt(0)
	v_mul_f32_e32 v83, v78, v153
	v_fma_f32 v5, v68, v146, -v5
	v_fmac_f32_e32 v83, v79, v152
	v_add_f32_e32 v4, v4, v5
	v_mul_f32_e32 v5, v71, v145
	v_add_f32_e32 v86, v82, v83
	ds_read_b128 v[82:85], v1 offset:928
	v_fma_f32 v5, v70, v144, -v5
	v_add_f32_e32 v4, v4, v5
	v_mul_f32_e32 v5, v73, v148
	s_waitcnt vmcnt(22)
	v_mul_f32_e32 v87, v80, v156
	v_fma_f32 v5, v72, v147, -v5
	v_fmac_f32_e32 v87, v81, v155
	v_add_f32_e32 v4, v4, v5
	v_mul_f32_e32 v5, v75, v150
	v_add_f32_e32 v90, v86, v87
	ds_read_b128 v[86:89], v1 offset:944
	v_fma_f32 v5, v74, v149, -v5
	s_waitcnt vmcnt(20) lgkmcnt(1)
	v_mul_f32_e32 v91, v82, v158
	v_add_f32_e32 v4, v4, v5
	v_mul_f32_e32 v5, v77, v151
	v_fmac_f32_e32 v91, v83, v157
	v_fma_f32 v5, v76, v154, -v5
	v_add_f32_e32 v90, v90, v91
	s_waitcnt vmcnt(19)
	v_mul_f32_e32 v91, v84, v159
	v_add_f32_e32 v4, v4, v5
	v_mul_f32_e32 v5, v79, v153
	s_waitcnt vmcnt(16)
	v_fmac_f32_e32 v91, v85, v162
	v_fma_f32 v5, v78, v152, -v5
	v_add_f32_e32 v90, v90, v91
	s_waitcnt lgkmcnt(0)
	v_mul_f32_e32 v91, v86, v161
	v_add_f32_e32 v4, v4, v5
	v_mul_f32_e32 v5, v81, v156
	v_fmac_f32_e32 v91, v87, v160
	v_fma_f32 v5, v80, v155, -v5
	v_add_f32_e32 v94, v90, v91
	ds_read_b128 v[90:93], v1 offset:960
	v_add_f32_e32 v4, v4, v5
	v_mul_f32_e32 v5, v83, v158
	v_fma_f32 v5, v82, v157, -v5
	s_waitcnt vmcnt(14)
	v_mul_f32_e32 v95, v88, v164
	v_add_f32_e32 v4, v4, v5
	v_mul_f32_e32 v5, v85, v159
	v_fmac_f32_e32 v95, v89, v163
	v_fma_f32 v5, v84, v162, -v5
	v_add_f32_e32 v98, v94, v95
	ds_read_b128 v[94:97], v1 offset:976
	v_add_f32_e32 v4, v4, v5
	v_mul_f32_e32 v5, v87, v161
	s_waitcnt vmcnt(12) lgkmcnt(1)
	v_mul_f32_e32 v99, v90, v166
	v_fma_f32 v5, v86, v160, -v5
	v_fmac_f32_e32 v99, v91, v165
	v_add_f32_e32 v4, v4, v5
	v_mul_f32_e32 v5, v89, v164
	v_add_f32_e32 v98, v98, v99
	s_waitcnt vmcnt(11)
	v_mul_f32_e32 v99, v92, v167
	v_fma_f32 v5, v88, v163, -v5
	s_waitcnt vmcnt(8)
	v_fmac_f32_e32 v99, v93, v170
	v_add_f32_e32 v4, v4, v5
	v_mul_f32_e32 v5, v91, v166
	v_add_f32_e32 v98, v98, v99
	s_waitcnt lgkmcnt(0)
	v_mul_f32_e32 v99, v94, v169
	v_fma_f32 v5, v90, v165, -v5
	v_fmac_f32_e32 v99, v95, v168
	v_add_f32_e32 v4, v4, v5
	v_mul_f32_e32 v5, v93, v167
	v_add_f32_e32 v102, v98, v99
	ds_read_b128 v[98:101], v1 offset:992
	v_fma_f32 v5, v92, v170, -v5
	v_add_f32_e32 v4, v4, v5
	v_mul_f32_e32 v5, v95, v169
	s_waitcnt vmcnt(6)
	v_mul_f32_e32 v103, v96, v172
	v_fma_f32 v5, v94, v168, -v5
	v_fmac_f32_e32 v103, v97, v171
	v_add_f32_e32 v4, v4, v5
	v_mul_f32_e32 v5, v97, v172
	v_add_f32_e32 v179, v102, v103
	ds_read_b64 v[102:103], v1 offset:1008
	v_fma_f32 v5, v96, v171, -v5
	v_add_f32_e32 v4, v4, v5
	s_waitcnt vmcnt(4) lgkmcnt(1)
	v_mul_f32_e32 v5, v99, v174
	v_mul_f32_e32 v180, v98, v174
	v_fma_f32 v5, v98, v173, -v5
	v_fmac_f32_e32 v180, v99, v173
	v_add_f32_e32 v4, v4, v5
	s_waitcnt vmcnt(3)
	v_mul_f32_e32 v5, v101, v175
	v_add_f32_e32 v179, v179, v180
	v_mul_f32_e32 v180, v100, v175
	s_waitcnt vmcnt(0)
	v_fma_f32 v5, v100, v178, -v5
	v_fmac_f32_e32 v180, v101, v178
	v_add_f32_e32 v4, v4, v5
	s_waitcnt lgkmcnt(0)
	v_mul_f32_e32 v5, v103, v177
	v_add_f32_e32 v179, v179, v180
	v_mul_f32_e32 v180, v102, v177
	v_fma_f32 v5, v102, v176, -v5
	v_fmac_f32_e32 v180, v103, v176
	v_add_f32_e32 v4, v4, v5
	v_add_f32_e32 v179, v179, v180
	v_sub_f32_e32 v2, v2, v4
	v_sub_f32_e32 v3, v3, v179
	buffer_store_dword v2, off, s[0:3], 0 offset:152
	buffer_store_dword v3, off, s[0:3], 0 offset:156
	s_and_saveexec_b64 s[4:5], vcc
	s_cbranch_execz .LBB126_355
; %bb.354:
	buffer_load_dword v2, off, s[0:3], 0 offset:144
	buffer_load_dword v3, off, s[0:3], 0 offset:148
	s_waitcnt vmcnt(0)
	ds_write_b64 v25, v[2:3]
	buffer_store_dword v1, off, s[0:3], 0 offset:144
	buffer_store_dword v1, off, s[0:3], 0 offset:148
.LBB126_355:
	s_or_b64 exec, exec, s[4:5]
	s_waitcnt lgkmcnt(0)
	; wave barrier
	buffer_load_dword v10, off, s[0:3], 0 offset:156
	buffer_load_dword v9, off, s[0:3], 0 offset:164
	;; [unrolled: 1-line block ×32, first 2 shown]
	ds_read2_b64 v[16:19], v1 offset0:83 offset1:84
	ds_read2_b64 v[20:23], v1 offset0:85 offset1:86
	;; [unrolled: 1-line block ×4, first 2 shown]
	buffer_load_dword v125, off, s[0:3], 0 offset:272
	buffer_load_dword v126, off, s[0:3], 0 offset:276
	ds_read2_b64 v[34:37], v1 offset0:91 offset1:92
	ds_read2_b64 v[38:41], v1 offset0:93 offset1:94
	;; [unrolled: 1-line block ×3, first 2 shown]
	buffer_load_dword v127, off, s[0:3], 0 offset:280
	buffer_load_dword v128, off, s[0:3], 0 offset:284
	;; [unrolled: 1-line block ×16, first 2 shown]
	v_cmp_lt_u32_e32 vcc, 17, v0
	s_waitcnt vmcnt(49) lgkmcnt(6)
	v_mul_f32_e32 v46, v16, v10
	s_waitcnt vmcnt(48)
	v_mul_f32_e32 v47, v18, v9
	s_waitcnt vmcnt(47) lgkmcnt(5)
	v_mul_f32_e32 v48, v20, v8
	s_waitcnt vmcnt(46)
	v_mul_f32_e32 v49, v22, v7
	;; [unrolled: 4-line block ×6, first 2 shown]
	s_waitcnt vmcnt(37)
	v_fmac_f32_e32 v48, v21, v24
	s_waitcnt vmcnt(36)
	v_fmac_f32_e32 v47, v19, v106
	;; [unrolled: 2-line block ×3, first 2 shown]
	v_add_f32_e32 v46, 0, v46
	v_add_f32_e32 v46, v46, v47
	;; [unrolled: 1-line block ×3, first 2 shown]
	s_waitcnt vmcnt(31)
	v_fmac_f32_e32 v49, v23, v111
	v_fmac_f32_e32 v50, v27, v110
	v_add_f32_e32 v46, v46, v49
	v_fmac_f32_e32 v51, v29, v109
	v_add_f32_e32 v46, v46, v50
	;; [unrolled: 2-line block ×3, first 2 shown]
	s_waitcnt vmcnt(27)
	v_fmac_f32_e32 v53, v33, v115
	v_add_f32_e32 v46, v46, v52
	v_fmac_f32_e32 v54, v35, v114
	v_add_f32_e32 v46, v46, v53
	;; [unrolled: 2-line block ×4, first 2 shown]
	s_waitcnt vmcnt(23)
	v_fmac_f32_e32 v57, v41, v119
	v_add_f32_e32 v46, v46, v56
	v_add_f32_e32 v50, v46, v57
	ds_read2_b64 v[46:49], v1 offset0:97 offset1:98
	buffer_load_dword v143, off, s[0:3], 0 offset:344
	buffer_load_dword v144, off, s[0:3], 0 offset:348
	;; [unrolled: 1-line block ×14, first 2 shown]
	s_waitcnt vmcnt(36) lgkmcnt(1)
	v_mul_f32_e32 v51, v42, v122
	buffer_load_dword v157, off, s[0:3], 0 offset:400
	buffer_load_dword v158, off, s[0:3], 0 offset:404
	v_fmac_f32_e32 v51, v43, v118
	v_add_f32_e32 v50, v50, v51
	s_waitcnt vmcnt(37)
	v_mul_f32_e32 v51, v44, v123
	v_fmac_f32_e32 v51, v45, v117
	v_add_f32_e32 v50, v50, v51
	s_waitcnt vmcnt(36) lgkmcnt(0)
	v_mul_f32_e32 v51, v46, v124
	v_fmac_f32_e32 v51, v47, v116
	v_add_f32_e32 v54, v50, v51
	ds_read2_b64 v[50:53], v1 offset0:99 offset1:100
	buffer_load_dword v159, off, s[0:3], 0 offset:408
	buffer_load_dword v160, off, s[0:3], 0 offset:412
	;; [unrolled: 1-line block ×6, first 2 shown]
	s_waitcnt vmcnt(38)
	v_mul_f32_e32 v55, v48, v126
	v_fmac_f32_e32 v55, v49, v125
	v_add_f32_e32 v58, v54, v55
	ds_read2_b64 v[54:57], v1 offset0:101 offset1:102
	buffer_load_dword v165, off, s[0:3], 0 offset:432
	buffer_load_dword v166, off, s[0:3], 0 offset:436
	buffer_load_dword v167, off, s[0:3], 0 offset:440
	buffer_load_dword v168, off, s[0:3], 0 offset:444
	buffer_load_dword v169, off, s[0:3], 0 offset:452
	buffer_load_dword v170, off, s[0:3], 0 offset:456
	buffer_load_dword v171, off, s[0:3], 0 offset:460
	buffer_load_dword v172, off, s[0:3], 0 offset:448
	buffer_load_dword v173, off, s[0:3], 0 offset:464
	buffer_load_dword v174, off, s[0:3], 0 offset:468
	s_waitcnt vmcnt(46) lgkmcnt(1)
	v_mul_f32_e32 v59, v50, v128
	v_fmac_f32_e32 v59, v51, v127
	v_add_f32_e32 v58, v58, v59
	s_waitcnt vmcnt(44)
	v_mul_f32_e32 v59, v52, v130
	v_fmac_f32_e32 v59, v53, v129
	v_add_f32_e32 v58, v58, v59
	s_waitcnt vmcnt(42) lgkmcnt(0)
	v_mul_f32_e32 v59, v54, v132
	buffer_load_dword v175, off, s[0:3], 0 offset:472
	buffer_load_dword v176, off, s[0:3], 0 offset:476
	;; [unrolled: 1-line block ×6, first 2 shown]
	v_fmac_f32_e32 v59, v55, v131
	s_waitcnt vmcnt(46)
	v_mul_f32_e32 v63, v56, v134
	v_add_f32_e32 v62, v58, v59
	v_fmac_f32_e32 v63, v57, v133
	ds_read2_b64 v[58:61], v1 offset0:103 offset1:104
	v_add_f32_e32 v66, v62, v63
	ds_read2_b64 v[62:65], v1 offset0:105 offset1:106
	buffer_load_dword v181, off, s[0:3], 0 offset:496
	buffer_load_dword v182, off, s[0:3], 0 offset:500
	v_mul_f32_e32 v10, v17, v10
	v_fma_f32 v10, v16, v107, -v10
	v_mul_f32_e32 v9, v19, v9
	v_add_f32_e32 v10, 0, v10
	v_fma_f32 v9, v18, v106, -v9
	v_mul_f32_e32 v8, v21, v8
	v_add_f32_e32 v9, v10, v9
	;; [unrolled: 3-line block ×6, first 2 shown]
	v_fma_f32 v4, v30, v108, -v4
	v_add_f32_e32 v4, v5, v4
	v_mul_f32_e32 v5, v33, v11
	v_fma_f32 v5, v32, v115, -v5
	v_add_f32_e32 v4, v4, v5
	v_mul_f32_e32 v5, v35, v12
	;; [unrolled: 3-line block ×6, first 2 shown]
	s_waitcnt vmcnt(46) lgkmcnt(1)
	v_mul_f32_e32 v67, v58, v136
	v_fma_f32 v5, v42, v118, -v5
	v_fmac_f32_e32 v67, v59, v135
	v_add_f32_e32 v4, v4, v5
	v_mul_f32_e32 v5, v45, v123
	v_add_f32_e32 v66, v66, v67
	s_waitcnt vmcnt(44)
	v_mul_f32_e32 v67, v60, v138
	v_fma_f32 v5, v44, v117, -v5
	v_fmac_f32_e32 v67, v61, v137
	v_add_f32_e32 v4, v4, v5
	v_mul_f32_e32 v5, v47, v124
	v_add_f32_e32 v66, v66, v67
	s_waitcnt vmcnt(42) lgkmcnt(0)
	v_mul_f32_e32 v67, v62, v140
	v_fma_f32 v5, v46, v116, -v5
	v_fmac_f32_e32 v67, v63, v139
	v_add_f32_e32 v4, v4, v5
	v_mul_f32_e32 v5, v49, v126
	v_add_f32_e32 v70, v66, v67
	ds_read2_b64 v[66:69], v1 offset0:107 offset1:108
	v_fma_f32 v5, v48, v125, -v5
	v_add_f32_e32 v4, v4, v5
	v_mul_f32_e32 v5, v51, v128
	s_waitcnt vmcnt(40)
	v_mul_f32_e32 v71, v64, v142
	v_fma_f32 v5, v50, v127, -v5
	v_fmac_f32_e32 v71, v65, v141
	v_add_f32_e32 v4, v4, v5
	v_mul_f32_e32 v5, v53, v130
	v_add_f32_e32 v74, v70, v71
	ds_read2_b64 v[70:73], v1 offset0:109 offset1:110
	v_fma_f32 v5, v52, v129, -v5
	s_waitcnt vmcnt(38) lgkmcnt(1)
	v_mul_f32_e32 v75, v66, v144
	v_add_f32_e32 v4, v4, v5
	v_mul_f32_e32 v5, v55, v132
	v_fmac_f32_e32 v75, v67, v143
	v_fma_f32 v5, v54, v131, -v5
	v_add_f32_e32 v74, v74, v75
	s_waitcnt vmcnt(37)
	v_mul_f32_e32 v75, v68, v145
	v_add_f32_e32 v4, v4, v5
	v_mul_f32_e32 v5, v57, v134
	s_waitcnt vmcnt(34)
	v_fmac_f32_e32 v75, v69, v148
	v_fma_f32 v5, v56, v133, -v5
	v_add_f32_e32 v74, v74, v75
	s_waitcnt lgkmcnt(0)
	v_mul_f32_e32 v75, v70, v147
	v_add_f32_e32 v4, v4, v5
	v_mul_f32_e32 v5, v59, v136
	v_fmac_f32_e32 v75, v71, v146
	v_fma_f32 v5, v58, v135, -v5
	v_add_f32_e32 v78, v74, v75
	ds_read2_b64 v[74:77], v1 offset0:111 offset1:112
	v_add_f32_e32 v4, v4, v5
	v_mul_f32_e32 v5, v61, v138
	v_fma_f32 v5, v60, v137, -v5
	s_waitcnt vmcnt(32)
	v_mul_f32_e32 v79, v72, v150
	v_add_f32_e32 v4, v4, v5
	v_mul_f32_e32 v5, v63, v140
	v_fmac_f32_e32 v79, v73, v149
	v_fma_f32 v5, v62, v139, -v5
	v_add_f32_e32 v82, v78, v79
	ds_read2_b64 v[78:81], v1 offset0:113 offset1:114
	v_add_f32_e32 v4, v4, v5
	v_mul_f32_e32 v5, v65, v142
	s_waitcnt vmcnt(30) lgkmcnt(1)
	v_mul_f32_e32 v83, v74, v152
	v_fma_f32 v5, v64, v141, -v5
	v_fmac_f32_e32 v83, v75, v151
	v_add_f32_e32 v4, v4, v5
	v_mul_f32_e32 v5, v67, v144
	v_add_f32_e32 v82, v82, v83
	s_waitcnt vmcnt(29)
	v_mul_f32_e32 v83, v76, v153
	v_fma_f32 v5, v66, v143, -v5
	s_waitcnt vmcnt(26)
	v_fmac_f32_e32 v83, v77, v156
	v_add_f32_e32 v4, v4, v5
	v_mul_f32_e32 v5, v69, v145
	v_add_f32_e32 v82, v82, v83
	s_waitcnt lgkmcnt(0)
	v_mul_f32_e32 v83, v78, v155
	v_fma_f32 v5, v68, v148, -v5
	v_fmac_f32_e32 v83, v79, v154
	v_add_f32_e32 v4, v4, v5
	v_mul_f32_e32 v5, v71, v147
	v_add_f32_e32 v86, v82, v83
	ds_read2_b64 v[82:85], v1 offset0:115 offset1:116
	v_fma_f32 v5, v70, v146, -v5
	v_add_f32_e32 v4, v4, v5
	v_mul_f32_e32 v5, v73, v150
	s_waitcnt vmcnt(24)
	v_mul_f32_e32 v87, v80, v158
	v_fma_f32 v5, v72, v149, -v5
	v_fmac_f32_e32 v87, v81, v157
	v_add_f32_e32 v4, v4, v5
	v_mul_f32_e32 v5, v75, v152
	v_add_f32_e32 v90, v86, v87
	ds_read2_b64 v[86:89], v1 offset0:117 offset1:118
	v_fma_f32 v5, v74, v151, -v5
	s_waitcnt vmcnt(22) lgkmcnt(1)
	v_mul_f32_e32 v91, v82, v160
	v_add_f32_e32 v4, v4, v5
	v_mul_f32_e32 v5, v77, v153
	v_fmac_f32_e32 v91, v83, v159
	v_fma_f32 v5, v76, v156, -v5
	v_add_f32_e32 v90, v90, v91
	s_waitcnt vmcnt(21)
	v_mul_f32_e32 v91, v84, v161
	v_add_f32_e32 v4, v4, v5
	v_mul_f32_e32 v5, v79, v155
	s_waitcnt vmcnt(18)
	v_fmac_f32_e32 v91, v85, v164
	v_fma_f32 v5, v78, v154, -v5
	v_add_f32_e32 v90, v90, v91
	s_waitcnt lgkmcnt(0)
	v_mul_f32_e32 v91, v86, v163
	v_add_f32_e32 v4, v4, v5
	v_mul_f32_e32 v5, v81, v158
	v_fmac_f32_e32 v91, v87, v162
	v_fma_f32 v5, v80, v157, -v5
	v_add_f32_e32 v94, v90, v91
	ds_read2_b64 v[90:93], v1 offset0:119 offset1:120
	v_add_f32_e32 v4, v4, v5
	v_mul_f32_e32 v5, v83, v160
	v_fma_f32 v5, v82, v159, -v5
	s_waitcnt vmcnt(16)
	v_mul_f32_e32 v95, v88, v166
	v_add_f32_e32 v4, v4, v5
	v_mul_f32_e32 v5, v85, v161
	v_fmac_f32_e32 v95, v89, v165
	v_fma_f32 v5, v84, v164, -v5
	v_add_f32_e32 v98, v94, v95
	ds_read2_b64 v[94:97], v1 offset0:121 offset1:122
	v_add_f32_e32 v4, v4, v5
	v_mul_f32_e32 v5, v87, v163
	s_waitcnt vmcnt(14) lgkmcnt(1)
	v_mul_f32_e32 v99, v90, v168
	v_fma_f32 v5, v86, v162, -v5
	v_fmac_f32_e32 v99, v91, v167
	v_add_f32_e32 v4, v4, v5
	v_mul_f32_e32 v5, v89, v166
	v_add_f32_e32 v98, v98, v99
	s_waitcnt vmcnt(13)
	v_mul_f32_e32 v99, v92, v169
	v_fma_f32 v5, v88, v165, -v5
	s_waitcnt vmcnt(10)
	v_fmac_f32_e32 v99, v93, v172
	v_add_f32_e32 v4, v4, v5
	v_mul_f32_e32 v5, v91, v168
	v_add_f32_e32 v98, v98, v99
	s_waitcnt lgkmcnt(0)
	v_mul_f32_e32 v99, v94, v171
	v_fma_f32 v5, v90, v167, -v5
	v_fmac_f32_e32 v99, v95, v170
	v_add_f32_e32 v4, v4, v5
	v_mul_f32_e32 v5, v93, v169
	v_add_f32_e32 v102, v98, v99
	ds_read2_b64 v[98:101], v1 offset0:123 offset1:124
	v_fma_f32 v5, v92, v172, -v5
	v_add_f32_e32 v4, v4, v5
	v_mul_f32_e32 v5, v95, v171
	s_waitcnt vmcnt(8)
	v_mul_f32_e32 v103, v96, v174
	v_fma_f32 v5, v94, v170, -v5
	v_fmac_f32_e32 v103, v97, v173
	v_add_f32_e32 v4, v4, v5
	v_mul_f32_e32 v5, v97, v174
	v_add_f32_e32 v183, v102, v103
	ds_read2_b64 v[102:105], v1 offset0:125 offset1:126
	v_fma_f32 v5, v96, v173, -v5
	v_add_f32_e32 v4, v4, v5
	s_waitcnt vmcnt(6) lgkmcnt(1)
	v_mul_f32_e32 v5, v99, v176
	v_mul_f32_e32 v1, v98, v176
	v_fma_f32 v5, v98, v175, -v5
	v_fmac_f32_e32 v1, v99, v175
	v_add_f32_e32 v4, v4, v5
	s_waitcnt vmcnt(5)
	v_mul_f32_e32 v5, v101, v177
	v_add_f32_e32 v1, v183, v1
	v_mul_f32_e32 v183, v100, v177
	s_waitcnt vmcnt(2)
	v_fma_f32 v5, v100, v180, -v5
	v_fmac_f32_e32 v183, v101, v180
	v_add_f32_e32 v4, v4, v5
	s_waitcnt lgkmcnt(0)
	v_mul_f32_e32 v5, v103, v179
	v_add_f32_e32 v1, v1, v183
	v_mul_f32_e32 v183, v102, v179
	v_fma_f32 v5, v102, v178, -v5
	v_fmac_f32_e32 v183, v103, v178
	v_add_f32_e32 v4, v4, v5
	s_waitcnt vmcnt(0)
	v_mul_f32_e32 v5, v105, v182
	v_add_f32_e32 v1, v1, v183
	v_mul_f32_e32 v183, v104, v182
	v_fma_f32 v5, v104, v181, -v5
	v_fmac_f32_e32 v183, v105, v181
	v_add_f32_e32 v4, v4, v5
	v_add_f32_e32 v1, v1, v183
	v_sub_f32_e32 v2, v2, v4
	v_sub_f32_e32 v1, v3, v1
	buffer_store_dword v2, off, s[0:3], 0 offset:144
	buffer_store_dword v1, off, s[0:3], 0 offset:148
	s_and_saveexec_b64 s[4:5], vcc
	s_cbranch_execz .LBB126_357
; %bb.356:
	buffer_load_dword v1, off, s[0:3], 0 offset:136
	buffer_load_dword v2, off, s[0:3], 0 offset:140
	v_mov_b32_e32 v3, 0
	buffer_store_dword v3, off, s[0:3], 0 offset:136
	buffer_store_dword v3, off, s[0:3], 0 offset:140
	s_waitcnt vmcnt(2)
	ds_write_b64 v25, v[1:2]
.LBB126_357:
	s_or_b64 exec, exec, s[4:5]
	s_waitcnt lgkmcnt(0)
	; wave barrier
	buffer_load_dword v24, off, s[0:3], 0 offset:148
	buffer_load_dword v96, off, s[0:3], 0 offset:156
	buffer_load_dword v97, off, s[0:3], 0 offset:164
	buffer_load_dword v98, off, s[0:3], 0 offset:172
	buffer_load_dword v99, off, s[0:3], 0 offset:180
	buffer_load_dword v100, off, s[0:3], 0 offset:188
	buffer_load_dword v101, off, s[0:3], 0 offset:196
	buffer_load_dword v102, off, s[0:3], 0 offset:204
	buffer_load_dword v103, off, s[0:3], 0 offset:212
	buffer_load_dword v104, off, s[0:3], 0 offset:220
	buffer_load_dword v105, off, s[0:3], 0 offset:228
	buffer_load_dword v106, off, s[0:3], 0 offset:236
	buffer_load_dword v107, off, s[0:3], 0 offset:160
	buffer_load_dword v108, off, s[0:3], 0 offset:152
	buffer_load_dword v109, off, s[0:3], 0 offset:144
	buffer_load_dword v110, off, s[0:3], 0 offset:192
	buffer_load_dword v111, off, s[0:3], 0 offset:184
	buffer_load_dword v112, off, s[0:3], 0 offset:176
	buffer_load_dword v113, off, s[0:3], 0 offset:168
	buffer_load_dword v114, off, s[0:3], 0 offset:224
	buffer_load_dword v115, off, s[0:3], 0 offset:216
	buffer_load_dword v116, off, s[0:3], 0 offset:208
	buffer_load_dword v117, off, s[0:3], 0 offset:200
	buffer_load_dword v118, off, s[0:3], 0 offset:256
	buffer_load_dword v119, off, s[0:3], 0 offset:248
	buffer_load_dword v122, off, s[0:3], 0 offset:240
	buffer_load_dword v123, off, s[0:3], 0 offset:232
	buffer_load_dword v124, off, s[0:3], 0 offset:244
	buffer_load_dword v125, off, s[0:3], 0 offset:252
	buffer_load_dword v126, off, s[0:3], 0 offset:260
	buffer_load_dword v2, off, s[0:3], 0 offset:136
	buffer_load_dword v3, off, s[0:3], 0 offset:140
	buffer_load_dword v127, off, s[0:3], 0 offset:264
	buffer_load_dword v128, off, s[0:3], 0 offset:268
	buffer_load_dword v129, off, s[0:3], 0 offset:272
	buffer_load_dword v130, off, s[0:3], 0 offset:276
	buffer_load_dword v131, off, s[0:3], 0 offset:280
	buffer_load_dword v132, off, s[0:3], 0 offset:284
	buffer_load_dword v133, off, s[0:3], 0 offset:288
	buffer_load_dword v134, off, s[0:3], 0 offset:292
	buffer_load_dword v135, off, s[0:3], 0 offset:296
	buffer_load_dword v136, off, s[0:3], 0 offset:300
	buffer_load_dword v137, off, s[0:3], 0 offset:304
	buffer_load_dword v138, off, s[0:3], 0 offset:308
	buffer_load_dword v139, off, s[0:3], 0 offset:312
	buffer_load_dword v140, off, s[0:3], 0 offset:316
	buffer_load_dword v141, off, s[0:3], 0 offset:320
	buffer_load_dword v142, off, s[0:3], 0 offset:324
	v_mov_b32_e32 v1, 0
	ds_read_b128 v[4:7], v1 offset:656
	ds_read_b128 v[8:11], v1 offset:672
	;; [unrolled: 1-line block ×7, first 2 shown]
	v_cmp_lt_u32_e32 vcc, 16, v0
	s_waitcnt vmcnt(47) lgkmcnt(6)
	v_mul_f32_e32 v34, v4, v24
	s_waitcnt vmcnt(46)
	v_mul_f32_e32 v35, v6, v96
	s_waitcnt vmcnt(45) lgkmcnt(5)
	v_mul_f32_e32 v36, v8, v97
	s_waitcnt vmcnt(44)
	v_mul_f32_e32 v37, v10, v98
	;; [unrolled: 4-line block ×6, first 2 shown]
	s_waitcnt vmcnt(35)
	v_fmac_f32_e32 v36, v9, v107
	s_waitcnt vmcnt(34)
	v_fmac_f32_e32 v35, v7, v108
	;; [unrolled: 2-line block ×3, first 2 shown]
	v_add_f32_e32 v34, 0, v34
	v_add_f32_e32 v34, v34, v35
	;; [unrolled: 1-line block ×3, first 2 shown]
	s_waitcnt vmcnt(29)
	v_fmac_f32_e32 v37, v11, v113
	v_fmac_f32_e32 v38, v13, v112
	v_add_f32_e32 v34, v34, v37
	v_fmac_f32_e32 v39, v15, v111
	v_add_f32_e32 v34, v34, v38
	;; [unrolled: 2-line block ×3, first 2 shown]
	s_waitcnt vmcnt(25)
	v_fmac_f32_e32 v41, v19, v117
	v_add_f32_e32 v34, v34, v40
	v_fmac_f32_e32 v42, v21, v116
	v_add_f32_e32 v34, v34, v41
	;; [unrolled: 2-line block ×4, first 2 shown]
	s_waitcnt vmcnt(21)
	v_fmac_f32_e32 v45, v29, v123
	v_add_f32_e32 v34, v34, v44
	v_add_f32_e32 v38, v34, v45
	ds_read_b128 v[34:37], v1 offset:768
	buffer_load_dword v143, off, s[0:3], 0 offset:328
	buffer_load_dword v144, off, s[0:3], 0 offset:332
	;; [unrolled: 1-line block ×10, first 2 shown]
	s_waitcnt vmcnt(30) lgkmcnt(1)
	v_mul_f32_e32 v39, v30, v124
	v_fmac_f32_e32 v39, v31, v122
	buffer_load_dword v153, off, s[0:3], 0 offset:368
	buffer_load_dword v154, off, s[0:3], 0 offset:372
	;; [unrolled: 1-line block ×6, first 2 shown]
	v_add_f32_e32 v38, v38, v39
	s_waitcnt vmcnt(35)
	v_mul_f32_e32 v39, v32, v125
	v_fmac_f32_e32 v39, v33, v119
	v_add_f32_e32 v38, v38, v39
	s_waitcnt vmcnt(34) lgkmcnt(0)
	v_mul_f32_e32 v39, v34, v126
	v_fmac_f32_e32 v39, v35, v118
	v_add_f32_e32 v42, v38, v39
	ds_read_b128 v[38:41], v1 offset:784
	buffer_load_dword v159, off, s[0:3], 0 offset:392
	buffer_load_dword v160, off, s[0:3], 0 offset:396
	s_waitcnt vmcnt(32)
	v_mul_f32_e32 v43, v36, v128
	v_fmac_f32_e32 v43, v37, v127
	v_add_f32_e32 v46, v42, v43
	ds_read_b128 v[42:45], v1 offset:800
	buffer_load_dword v161, off, s[0:3], 0 offset:400
	buffer_load_dword v162, off, s[0:3], 0 offset:404
	;; [unrolled: 1-line block ×14, first 2 shown]
	s_waitcnt vmcnt(44) lgkmcnt(1)
	v_mul_f32_e32 v47, v38, v130
	v_fmac_f32_e32 v47, v39, v129
	buffer_load_dword v175, off, s[0:3], 0 offset:456
	buffer_load_dword v176, off, s[0:3], 0 offset:460
	v_add_f32_e32 v46, v46, v47
	s_waitcnt vmcnt(44)
	v_mul_f32_e32 v47, v40, v132
	v_fmac_f32_e32 v47, v41, v131
	v_add_f32_e32 v46, v46, v47
	s_waitcnt vmcnt(42) lgkmcnt(0)
	v_mul_f32_e32 v47, v42, v134
	v_fmac_f32_e32 v47, v43, v133
	v_mul_f32_e32 v5, v5, v24
	v_add_f32_e32 v50, v46, v47
	ds_read_b128 v[46:49], v1 offset:816
	buffer_load_dword v177, off, s[0:3], 0 offset:464
	buffer_load_dword v178, off, s[0:3], 0 offset:468
	buffer_load_dword v179, off, s[0:3], 0 offset:476
	buffer_load_dword v180, off, s[0:3], 0 offset:480
	buffer_load_dword v181, off, s[0:3], 0 offset:484
	buffer_load_dword v182, off, s[0:3], 0 offset:472
	v_fma_f32 v4, v4, v109, -v5
	v_mul_f32_e32 v5, v7, v96
	v_add_f32_e32 v4, 0, v4
	v_fma_f32 v5, v6, v108, -v5
	v_add_f32_e32 v4, v4, v5
	v_mul_f32_e32 v5, v9, v97
	s_waitcnt vmcnt(46)
	v_mul_f32_e32 v51, v44, v136
	v_fma_f32 v5, v8, v107, -v5
	v_fmac_f32_e32 v51, v45, v135
	v_add_f32_e32 v4, v4, v5
	v_mul_f32_e32 v5, v11, v98
	v_add_f32_e32 v54, v50, v51
	ds_read_b128 v[50:53], v1 offset:832
	buffer_load_dword v183, off, s[0:3], 0 offset:492
	buffer_load_dword v184, off, s[0:3], 0 offset:496
	;; [unrolled: 1-line block ×4, first 2 shown]
	v_fma_f32 v5, v10, v113, -v5
	v_add_f32_e32 v4, v4, v5
	v_mul_f32_e32 v5, v13, v99
	v_fma_f32 v5, v12, v112, -v5
	v_add_f32_e32 v4, v4, v5
	v_mul_f32_e32 v5, v15, v100
	;; [unrolled: 3-line block ×8, first 2 shown]
	v_fma_f32 v5, v28, v123, -v5
	s_waitcnt vmcnt(48) lgkmcnt(1)
	v_mul_f32_e32 v55, v46, v138
	v_add_f32_e32 v4, v4, v5
	v_mul_f32_e32 v5, v31, v124
	v_fmac_f32_e32 v55, v47, v137
	v_fma_f32 v5, v30, v122, -v5
	v_add_f32_e32 v54, v54, v55
	s_waitcnt vmcnt(46)
	v_mul_f32_e32 v55, v48, v140
	v_add_f32_e32 v4, v4, v5
	v_mul_f32_e32 v5, v33, v125
	v_fmac_f32_e32 v55, v49, v139
	v_fma_f32 v5, v32, v119, -v5
	v_add_f32_e32 v54, v54, v55
	s_waitcnt vmcnt(44) lgkmcnt(0)
	v_mul_f32_e32 v55, v50, v142
	v_add_f32_e32 v4, v4, v5
	v_mul_f32_e32 v5, v35, v126
	v_fmac_f32_e32 v55, v51, v141
	v_fma_f32 v5, v34, v118, -v5
	v_add_f32_e32 v58, v54, v55
	ds_read_b128 v[54:57], v1 offset:848
	v_add_f32_e32 v4, v4, v5
	v_mul_f32_e32 v5, v37, v128
	v_fma_f32 v5, v36, v127, -v5
	s_waitcnt vmcnt(42)
	v_mul_f32_e32 v59, v52, v144
	v_add_f32_e32 v4, v4, v5
	v_mul_f32_e32 v5, v39, v130
	v_fmac_f32_e32 v59, v53, v143
	v_fma_f32 v5, v38, v129, -v5
	v_add_f32_e32 v62, v58, v59
	ds_read_b128 v[58:61], v1 offset:864
	v_add_f32_e32 v4, v4, v5
	v_mul_f32_e32 v5, v41, v132
	s_waitcnt vmcnt(40) lgkmcnt(1)
	v_mul_f32_e32 v63, v54, v146
	v_fma_f32 v5, v40, v131, -v5
	v_fmac_f32_e32 v63, v55, v145
	v_add_f32_e32 v4, v4, v5
	v_mul_f32_e32 v5, v43, v134
	v_add_f32_e32 v62, v62, v63
	s_waitcnt vmcnt(39)
	v_mul_f32_e32 v63, v56, v147
	v_fma_f32 v5, v42, v133, -v5
	s_waitcnt vmcnt(36)
	v_fmac_f32_e32 v63, v57, v150
	v_add_f32_e32 v4, v4, v5
	v_mul_f32_e32 v5, v45, v136
	v_add_f32_e32 v62, v62, v63
	s_waitcnt lgkmcnt(0)
	v_mul_f32_e32 v63, v58, v149
	v_fma_f32 v5, v44, v135, -v5
	v_fmac_f32_e32 v63, v59, v148
	v_add_f32_e32 v4, v4, v5
	v_mul_f32_e32 v5, v47, v138
	v_add_f32_e32 v66, v62, v63
	ds_read_b128 v[62:65], v1 offset:880
	v_fma_f32 v5, v46, v137, -v5
	v_add_f32_e32 v4, v4, v5
	v_mul_f32_e32 v5, v49, v140
	s_waitcnt vmcnt(34)
	v_mul_f32_e32 v67, v60, v152
	v_fma_f32 v5, v48, v139, -v5
	v_fmac_f32_e32 v67, v61, v151
	v_add_f32_e32 v4, v4, v5
	v_mul_f32_e32 v5, v51, v142
	v_add_f32_e32 v70, v66, v67
	ds_read_b128 v[66:69], v1 offset:896
	v_fma_f32 v5, v50, v141, -v5
	s_waitcnt vmcnt(32) lgkmcnt(1)
	v_mul_f32_e32 v71, v62, v154
	v_add_f32_e32 v4, v4, v5
	v_mul_f32_e32 v5, v53, v144
	v_fmac_f32_e32 v71, v63, v153
	v_fma_f32 v5, v52, v143, -v5
	v_add_f32_e32 v70, v70, v71
	s_waitcnt vmcnt(31)
	v_mul_f32_e32 v71, v64, v155
	v_add_f32_e32 v4, v4, v5
	v_mul_f32_e32 v5, v55, v146
	s_waitcnt vmcnt(28)
	v_fmac_f32_e32 v71, v65, v158
	v_fma_f32 v5, v54, v145, -v5
	v_add_f32_e32 v70, v70, v71
	s_waitcnt lgkmcnt(0)
	v_mul_f32_e32 v71, v66, v157
	v_add_f32_e32 v4, v4, v5
	v_mul_f32_e32 v5, v57, v147
	v_fmac_f32_e32 v71, v67, v156
	v_fma_f32 v5, v56, v150, -v5
	v_add_f32_e32 v74, v70, v71
	ds_read_b128 v[70:73], v1 offset:912
	v_add_f32_e32 v4, v4, v5
	v_mul_f32_e32 v5, v59, v149
	v_fma_f32 v5, v58, v148, -v5
	s_waitcnt vmcnt(26)
	v_mul_f32_e32 v75, v68, v160
	v_add_f32_e32 v4, v4, v5
	v_mul_f32_e32 v5, v61, v152
	v_fmac_f32_e32 v75, v69, v159
	v_fma_f32 v5, v60, v151, -v5
	v_add_f32_e32 v78, v74, v75
	ds_read_b128 v[74:77], v1 offset:928
	v_add_f32_e32 v4, v4, v5
	v_mul_f32_e32 v5, v63, v154
	s_waitcnt vmcnt(24) lgkmcnt(1)
	v_mul_f32_e32 v79, v70, v162
	v_fma_f32 v5, v62, v153, -v5
	v_fmac_f32_e32 v79, v71, v161
	v_add_f32_e32 v4, v4, v5
	v_mul_f32_e32 v5, v65, v155
	v_add_f32_e32 v78, v78, v79
	s_waitcnt vmcnt(23)
	v_mul_f32_e32 v79, v72, v163
	v_fma_f32 v5, v64, v158, -v5
	s_waitcnt vmcnt(20)
	v_fmac_f32_e32 v79, v73, v166
	v_add_f32_e32 v4, v4, v5
	v_mul_f32_e32 v5, v67, v157
	v_add_f32_e32 v78, v78, v79
	s_waitcnt lgkmcnt(0)
	v_mul_f32_e32 v79, v74, v165
	v_fma_f32 v5, v66, v156, -v5
	v_fmac_f32_e32 v79, v75, v164
	v_add_f32_e32 v4, v4, v5
	v_mul_f32_e32 v5, v69, v160
	v_add_f32_e32 v82, v78, v79
	ds_read_b128 v[78:81], v1 offset:944
	v_fma_f32 v5, v68, v159, -v5
	v_add_f32_e32 v4, v4, v5
	v_mul_f32_e32 v5, v71, v162
	s_waitcnt vmcnt(18)
	v_mul_f32_e32 v83, v76, v168
	v_fma_f32 v5, v70, v161, -v5
	v_fmac_f32_e32 v83, v77, v167
	v_add_f32_e32 v4, v4, v5
	v_mul_f32_e32 v5, v73, v163
	v_add_f32_e32 v86, v82, v83
	ds_read_b128 v[82:85], v1 offset:960
	v_fma_f32 v5, v72, v166, -v5
	s_waitcnt vmcnt(16) lgkmcnt(1)
	v_mul_f32_e32 v87, v78, v170
	v_add_f32_e32 v4, v4, v5
	v_mul_f32_e32 v5, v75, v165
	v_fmac_f32_e32 v87, v79, v169
	v_fma_f32 v5, v74, v164, -v5
	v_add_f32_e32 v86, v86, v87
	s_waitcnt vmcnt(15)
	v_mul_f32_e32 v87, v80, v171
	v_add_f32_e32 v4, v4, v5
	v_mul_f32_e32 v5, v77, v168
	s_waitcnt vmcnt(12)
	v_fmac_f32_e32 v87, v81, v174
	v_fma_f32 v5, v76, v167, -v5
	v_add_f32_e32 v86, v86, v87
	s_waitcnt lgkmcnt(0)
	v_mul_f32_e32 v87, v82, v173
	v_add_f32_e32 v4, v4, v5
	v_mul_f32_e32 v5, v79, v170
	v_fmac_f32_e32 v87, v83, v172
	v_fma_f32 v5, v78, v169, -v5
	v_add_f32_e32 v90, v86, v87
	ds_read_b128 v[86:89], v1 offset:976
	v_add_f32_e32 v4, v4, v5
	v_mul_f32_e32 v5, v81, v171
	v_fma_f32 v5, v80, v174, -v5
	v_add_f32_e32 v4, v4, v5
	v_mul_f32_e32 v5, v83, v173
	s_waitcnt vmcnt(10)
	v_mul_f32_e32 v91, v84, v176
	v_fma_f32 v5, v82, v172, -v5
	v_fmac_f32_e32 v91, v85, v175
	v_add_f32_e32 v4, v4, v5
	v_mul_f32_e32 v5, v85, v176
	v_add_f32_e32 v94, v90, v91
	ds_read_b128 v[90:93], v1 offset:992
	s_waitcnt vmcnt(8) lgkmcnt(1)
	v_mul_f32_e32 v95, v86, v178
	v_fma_f32 v5, v84, v175, -v5
	v_fmac_f32_e32 v95, v87, v177
	v_add_f32_e32 v4, v4, v5
	v_mul_f32_e32 v5, v87, v178
	v_add_f32_e32 v94, v94, v95
	s_waitcnt vmcnt(7)
	v_mul_f32_e32 v95, v88, v179
	v_fma_f32 v5, v86, v177, -v5
	s_waitcnt vmcnt(4)
	v_fmac_f32_e32 v95, v89, v182
	v_add_f32_e32 v4, v4, v5
	v_mul_f32_e32 v5, v89, v179
	v_add_f32_e32 v187, v94, v95
	ds_read_b64 v[94:95], v1 offset:1008
	v_fma_f32 v5, v88, v182, -v5
	v_add_f32_e32 v4, v4, v5
	s_waitcnt lgkmcnt(1)
	v_mul_f32_e32 v5, v91, v181
	v_mul_f32_e32 v188, v90, v181
	v_fma_f32 v5, v90, v180, -v5
	v_fmac_f32_e32 v188, v91, v180
	v_add_f32_e32 v4, v4, v5
	s_waitcnt vmcnt(3)
	v_mul_f32_e32 v5, v93, v183
	v_add_f32_e32 v187, v187, v188
	v_mul_f32_e32 v188, v92, v183
	s_waitcnt vmcnt(0)
	v_fma_f32 v5, v92, v186, -v5
	v_fmac_f32_e32 v188, v93, v186
	v_add_f32_e32 v4, v4, v5
	s_waitcnt lgkmcnt(0)
	v_mul_f32_e32 v5, v95, v185
	v_add_f32_e32 v187, v187, v188
	v_mul_f32_e32 v188, v94, v185
	v_fma_f32 v5, v94, v184, -v5
	v_fmac_f32_e32 v188, v95, v184
	v_add_f32_e32 v4, v4, v5
	v_add_f32_e32 v187, v187, v188
	v_sub_f32_e32 v2, v2, v4
	v_sub_f32_e32 v3, v3, v187
	buffer_store_dword v2, off, s[0:3], 0 offset:136
	buffer_store_dword v3, off, s[0:3], 0 offset:140
	s_and_saveexec_b64 s[4:5], vcc
	s_cbranch_execz .LBB126_359
; %bb.358:
	buffer_load_dword v2, off, s[0:3], 0 offset:128
	buffer_load_dword v3, off, s[0:3], 0 offset:132
	s_waitcnt vmcnt(0)
	ds_write_b64 v25, v[2:3]
	buffer_store_dword v1, off, s[0:3], 0 offset:128
	buffer_store_dword v1, off, s[0:3], 0 offset:132
.LBB126_359:
	s_or_b64 exec, exec, s[4:5]
	s_waitcnt lgkmcnt(0)
	; wave barrier
	buffer_load_dword v10, off, s[0:3], 0 offset:140
	buffer_load_dword v9, off, s[0:3], 0 offset:148
	;; [unrolled: 1-line block ×33, first 2 shown]
	ds_read2_b64 v[11:14], v1 offset0:81 offset1:82
	ds_read2_b64 v[15:18], v1 offset0:83 offset1:84
	;; [unrolled: 1-line block ×6, first 2 shown]
	buffer_load_dword v130, off, s[0:3], 0 offset:256
	buffer_load_dword v131, off, s[0:3], 0 offset:268
	;; [unrolled: 1-line block ×7, first 2 shown]
	ds_read2_b64 v[38:41], v1 offset0:93 offset1:94
	ds_read2_b64 v[42:45], v1 offset0:95 offset1:96
	buffer_load_dword v137, off, s[0:3], 0 offset:288
	buffer_load_dword v138, off, s[0:3], 0 offset:292
	;; [unrolled: 1-line block ×18, first 2 shown]
	v_cmp_lt_u32_e32 vcc, 15, v0
	s_waitcnt vmcnt(57) lgkmcnt(7)
	v_mul_f32_e32 v46, v11, v10
	s_waitcnt vmcnt(56)
	v_mul_f32_e32 v47, v13, v9
	s_waitcnt vmcnt(55) lgkmcnt(6)
	v_mul_f32_e32 v48, v15, v8
	s_waitcnt vmcnt(54)
	v_mul_f32_e32 v49, v17, v7
	;; [unrolled: 4-line block ×6, first 2 shown]
	s_waitcnt vmcnt(45)
	v_fmac_f32_e32 v48, v16, v109
	s_waitcnt vmcnt(44)
	v_fmac_f32_e32 v47, v14, v110
	;; [unrolled: 2-line block ×3, first 2 shown]
	v_add_f32_e32 v46, 0, v46
	v_add_f32_e32 v46, v46, v47
	;; [unrolled: 1-line block ×3, first 2 shown]
	s_waitcnt vmcnt(39)
	v_fmac_f32_e32 v49, v18, v115
	v_fmac_f32_e32 v50, v20, v114
	v_add_f32_e32 v46, v46, v49
	v_fmac_f32_e32 v51, v22, v113
	v_add_f32_e32 v46, v46, v50
	v_fmac_f32_e32 v52, v27, v112
	v_add_f32_e32 v46, v46, v51
	s_waitcnt vmcnt(35)
	v_fmac_f32_e32 v53, v29, v119
	v_add_f32_e32 v46, v46, v52
	v_fmac_f32_e32 v54, v31, v118
	v_add_f32_e32 v46, v46, v53
	;; [unrolled: 2-line block ×4, first 2 shown]
	s_waitcnt vmcnt(31)
	v_fmac_f32_e32 v57, v37, v125
	v_add_f32_e32 v46, v46, v56
	s_waitcnt vmcnt(30) lgkmcnt(1)
	v_mul_f32_e32 v47, v38, v126
	v_add_f32_e32 v46, v46, v57
	v_fmac_f32_e32 v47, v39, v124
	v_add_f32_e32 v46, v46, v47
	s_waitcnt vmcnt(29)
	v_mul_f32_e32 v47, v40, v127
	v_fmac_f32_e32 v47, v41, v123
	v_add_f32_e32 v46, v46, v47
	s_waitcnt vmcnt(28) lgkmcnt(0)
	v_mul_f32_e32 v47, v42, v128
	v_fmac_f32_e32 v47, v43, v122
	v_add_f32_e32 v50, v46, v47
	ds_read2_b64 v[46:49], v1 offset0:97 offset1:98
	buffer_load_dword v155, off, s[0:3], 0 offset:360
	buffer_load_dword v156, off, s[0:3], 0 offset:364
	;; [unrolled: 1-line block ×6, first 2 shown]
	s_waitcnt vmcnt(33)
	v_mul_f32_e32 v51, v44, v129
	s_waitcnt vmcnt(30)
	v_fmac_f32_e32 v51, v45, v130
	v_add_f32_e32 v54, v50, v51
	ds_read2_b64 v[50:53], v1 offset0:99 offset1:100
	buffer_load_dword v161, off, s[0:3], 0 offset:384
	buffer_load_dword v162, off, s[0:3], 0 offset:388
	;; [unrolled: 1-line block ×10, first 2 shown]
	s_waitcnt vmcnt(39) lgkmcnt(1)
	v_mul_f32_e32 v55, v46, v131
	buffer_load_dword v171, off, s[0:3], 0 offset:424
	buffer_load_dword v172, off, s[0:3], 0 offset:428
	buffer_load_dword v173, off, s[0:3], 0 offset:436
	buffer_load_dword v174, off, s[0:3], 0 offset:440
	buffer_load_dword v175, off, s[0:3], 0 offset:444
	buffer_load_dword v176, off, s[0:3], 0 offset:432
	s_waitcnt vmcnt(40)
	v_fmac_f32_e32 v55, v47, v136
	v_add_f32_e32 v54, v54, v55
	v_mul_f32_e32 v55, v48, v133
	v_fmac_f32_e32 v55, v49, v132
	v_add_f32_e32 v54, v54, v55
	s_waitcnt lgkmcnt(0)
	v_mul_f32_e32 v55, v50, v135
	v_fmac_f32_e32 v55, v51, v134
	v_add_f32_e32 v58, v54, v55
	ds_read2_b64 v[54:57], v1 offset0:101 offset1:102
	buffer_load_dword v177, off, s[0:3], 0 offset:448
	buffer_load_dword v178, off, s[0:3], 0 offset:452
	s_waitcnt vmcnt(40)
	v_mul_f32_e32 v59, v52, v138
	v_fmac_f32_e32 v59, v53, v137
	v_add_f32_e32 v62, v58, v59
	ds_read2_b64 v[58:61], v1 offset0:103 offset1:104
	buffer_load_dword v179, off, s[0:3], 0 offset:456
	buffer_load_dword v180, off, s[0:3], 0 offset:460
	;; [unrolled: 1-line block ×6, first 2 shown]
	v_mul_f32_e32 v10, v12, v10
	v_fma_f32 v10, v11, v111, -v10
	v_mul_f32_e32 v9, v14, v9
	v_add_f32_e32 v10, 0, v10
	v_fma_f32 v9, v13, v110, -v9
	v_mul_f32_e32 v8, v16, v8
	buffer_load_dword v185, off, s[0:3], 0 offset:480
	buffer_load_dword v186, off, s[0:3], 0 offset:484
	;; [unrolled: 1-line block ×6, first 2 shown]
	v_add_f32_e32 v9, v10, v9
	v_fma_f32 v8, v15, v109, -v8
	v_mul_f32_e32 v7, v18, v7
	v_add_f32_e32 v8, v9, v8
	v_fma_f32 v7, v17, v115, -v7
	v_mul_f32_e32 v6, v20, v6
	;; [unrolled: 3-line block ×4, first 2 shown]
	v_add_f32_e32 v5, v6, v5
	v_fma_f32 v4, v26, v112, -v4
	v_add_f32_e32 v4, v5, v4
	v_mul_f32_e32 v5, v29, v23
	v_fma_f32 v5, v28, v119, -v5
	v_add_f32_e32 v4, v4, v5
	v_mul_f32_e32 v5, v31, v24
	;; [unrolled: 3-line block ×5, first 2 shown]
	v_fma_f32 v5, v36, v125, -v5
	s_waitcnt vmcnt(50) lgkmcnt(1)
	v_mul_f32_e32 v63, v54, v140
	v_add_f32_e32 v4, v4, v5
	v_mul_f32_e32 v5, v39, v126
	v_fmac_f32_e32 v63, v55, v139
	v_fma_f32 v5, v38, v124, -v5
	v_add_f32_e32 v62, v62, v63
	s_waitcnt vmcnt(48)
	v_mul_f32_e32 v63, v56, v142
	v_add_f32_e32 v4, v4, v5
	v_mul_f32_e32 v5, v41, v127
	v_fmac_f32_e32 v63, v57, v141
	v_fma_f32 v5, v40, v123, -v5
	v_add_f32_e32 v62, v62, v63
	s_waitcnt vmcnt(46) lgkmcnt(0)
	v_mul_f32_e32 v63, v58, v144
	v_add_f32_e32 v4, v4, v5
	v_mul_f32_e32 v5, v43, v128
	v_fmac_f32_e32 v63, v59, v143
	v_fma_f32 v5, v42, v122, -v5
	v_add_f32_e32 v66, v62, v63
	ds_read2_b64 v[62:65], v1 offset0:105 offset1:106
	v_add_f32_e32 v4, v4, v5
	v_mul_f32_e32 v5, v45, v129
	v_fma_f32 v5, v44, v130, -v5
	s_waitcnt vmcnt(44)
	v_mul_f32_e32 v67, v60, v146
	v_add_f32_e32 v4, v4, v5
	v_mul_f32_e32 v5, v47, v131
	v_fmac_f32_e32 v67, v61, v145
	v_fma_f32 v5, v46, v136, -v5
	v_add_f32_e32 v70, v66, v67
	ds_read2_b64 v[66:69], v1 offset0:107 offset1:108
	v_add_f32_e32 v4, v4, v5
	v_mul_f32_e32 v5, v49, v133
	s_waitcnt vmcnt(42) lgkmcnt(1)
	v_mul_f32_e32 v71, v62, v148
	v_fma_f32 v5, v48, v132, -v5
	v_fmac_f32_e32 v71, v63, v147
	v_add_f32_e32 v4, v4, v5
	v_mul_f32_e32 v5, v51, v135
	v_add_f32_e32 v70, v70, v71
	s_waitcnt vmcnt(41)
	v_mul_f32_e32 v71, v64, v149
	v_fma_f32 v5, v50, v134, -v5
	s_waitcnt vmcnt(38)
	v_fmac_f32_e32 v71, v65, v152
	v_add_f32_e32 v4, v4, v5
	v_mul_f32_e32 v5, v53, v138
	v_add_f32_e32 v70, v70, v71
	s_waitcnt lgkmcnt(0)
	v_mul_f32_e32 v71, v66, v151
	v_fma_f32 v5, v52, v137, -v5
	v_fmac_f32_e32 v71, v67, v150
	v_add_f32_e32 v4, v4, v5
	v_mul_f32_e32 v5, v55, v140
	v_add_f32_e32 v74, v70, v71
	ds_read2_b64 v[70:73], v1 offset0:109 offset1:110
	v_fma_f32 v5, v54, v139, -v5
	v_add_f32_e32 v4, v4, v5
	v_mul_f32_e32 v5, v57, v142
	s_waitcnt vmcnt(36)
	v_mul_f32_e32 v75, v68, v154
	v_fma_f32 v5, v56, v141, -v5
	v_fmac_f32_e32 v75, v69, v153
	v_add_f32_e32 v4, v4, v5
	v_mul_f32_e32 v5, v59, v144
	v_add_f32_e32 v78, v74, v75
	ds_read2_b64 v[74:77], v1 offset0:111 offset1:112
	v_fma_f32 v5, v58, v143, -v5
	s_waitcnt vmcnt(34) lgkmcnt(1)
	v_mul_f32_e32 v79, v70, v156
	v_add_f32_e32 v4, v4, v5
	v_mul_f32_e32 v5, v61, v146
	v_fmac_f32_e32 v79, v71, v155
	v_fma_f32 v5, v60, v145, -v5
	v_add_f32_e32 v78, v78, v79
	s_waitcnt vmcnt(33)
	v_mul_f32_e32 v79, v72, v157
	v_add_f32_e32 v4, v4, v5
	v_mul_f32_e32 v5, v63, v148
	s_waitcnt vmcnt(30)
	v_fmac_f32_e32 v79, v73, v160
	v_fma_f32 v5, v62, v147, -v5
	v_add_f32_e32 v78, v78, v79
	s_waitcnt lgkmcnt(0)
	v_mul_f32_e32 v79, v74, v159
	v_add_f32_e32 v4, v4, v5
	v_mul_f32_e32 v5, v65, v149
	v_fmac_f32_e32 v79, v75, v158
	v_fma_f32 v5, v64, v152, -v5
	v_add_f32_e32 v82, v78, v79
	ds_read2_b64 v[78:81], v1 offset0:113 offset1:114
	v_add_f32_e32 v4, v4, v5
	v_mul_f32_e32 v5, v67, v151
	v_fma_f32 v5, v66, v150, -v5
	s_waitcnt vmcnt(28)
	v_mul_f32_e32 v83, v76, v162
	v_add_f32_e32 v4, v4, v5
	v_mul_f32_e32 v5, v69, v154
	v_fmac_f32_e32 v83, v77, v161
	v_fma_f32 v5, v68, v153, -v5
	v_add_f32_e32 v86, v82, v83
	ds_read2_b64 v[82:85], v1 offset0:115 offset1:116
	v_add_f32_e32 v4, v4, v5
	v_mul_f32_e32 v5, v71, v156
	s_waitcnt vmcnt(26) lgkmcnt(1)
	v_mul_f32_e32 v87, v78, v164
	v_fma_f32 v5, v70, v155, -v5
	v_fmac_f32_e32 v87, v79, v163
	v_add_f32_e32 v4, v4, v5
	v_mul_f32_e32 v5, v73, v157
	v_add_f32_e32 v86, v86, v87
	s_waitcnt vmcnt(25)
	v_mul_f32_e32 v87, v80, v165
	v_fma_f32 v5, v72, v160, -v5
	s_waitcnt vmcnt(22)
	v_fmac_f32_e32 v87, v81, v168
	v_add_f32_e32 v4, v4, v5
	v_mul_f32_e32 v5, v75, v159
	v_add_f32_e32 v86, v86, v87
	s_waitcnt lgkmcnt(0)
	v_mul_f32_e32 v87, v82, v167
	v_fma_f32 v5, v74, v158, -v5
	v_fmac_f32_e32 v87, v83, v166
	v_add_f32_e32 v4, v4, v5
	v_mul_f32_e32 v5, v77, v162
	v_add_f32_e32 v90, v86, v87
	ds_read2_b64 v[86:89], v1 offset0:117 offset1:118
	v_fma_f32 v5, v76, v161, -v5
	v_add_f32_e32 v4, v4, v5
	v_mul_f32_e32 v5, v79, v164
	s_waitcnt vmcnt(20)
	v_mul_f32_e32 v91, v84, v170
	v_fma_f32 v5, v78, v163, -v5
	v_fmac_f32_e32 v91, v85, v169
	v_add_f32_e32 v4, v4, v5
	v_mul_f32_e32 v5, v81, v165
	v_add_f32_e32 v94, v90, v91
	ds_read2_b64 v[90:93], v1 offset0:119 offset1:120
	v_fma_f32 v5, v80, v168, -v5
	s_waitcnt vmcnt(18) lgkmcnt(1)
	v_mul_f32_e32 v95, v86, v172
	v_add_f32_e32 v4, v4, v5
	v_mul_f32_e32 v5, v83, v167
	v_fmac_f32_e32 v95, v87, v171
	v_fma_f32 v5, v82, v166, -v5
	v_add_f32_e32 v94, v94, v95
	s_waitcnt vmcnt(17)
	v_mul_f32_e32 v95, v88, v173
	v_add_f32_e32 v4, v4, v5
	v_mul_f32_e32 v5, v85, v170
	s_waitcnt vmcnt(14)
	v_fmac_f32_e32 v95, v89, v176
	v_fma_f32 v5, v84, v169, -v5
	v_add_f32_e32 v94, v94, v95
	s_waitcnt lgkmcnt(0)
	v_mul_f32_e32 v95, v90, v175
	v_add_f32_e32 v4, v4, v5
	v_mul_f32_e32 v5, v87, v172
	v_fmac_f32_e32 v95, v91, v174
	v_fma_f32 v5, v86, v171, -v5
	v_add_f32_e32 v98, v94, v95
	ds_read2_b64 v[94:97], v1 offset0:121 offset1:122
	v_add_f32_e32 v4, v4, v5
	v_mul_f32_e32 v5, v89, v173
	v_fma_f32 v5, v88, v176, -v5
	v_add_f32_e32 v4, v4, v5
	v_mul_f32_e32 v5, v91, v175
	s_waitcnt vmcnt(12)
	v_mul_f32_e32 v99, v92, v178
	v_fma_f32 v5, v90, v174, -v5
	v_fmac_f32_e32 v99, v93, v177
	v_add_f32_e32 v4, v4, v5
	v_mul_f32_e32 v5, v93, v178
	v_add_f32_e32 v102, v98, v99
	ds_read2_b64 v[98:101], v1 offset0:123 offset1:124
	s_waitcnt vmcnt(10) lgkmcnt(1)
	v_mul_f32_e32 v103, v94, v180
	v_fma_f32 v5, v92, v177, -v5
	v_fmac_f32_e32 v103, v95, v179
	v_add_f32_e32 v4, v4, v5
	v_mul_f32_e32 v5, v95, v180
	v_add_f32_e32 v102, v102, v103
	s_waitcnt vmcnt(9)
	v_mul_f32_e32 v103, v96, v181
	v_fma_f32 v5, v94, v179, -v5
	s_waitcnt vmcnt(6)
	v_fmac_f32_e32 v103, v97, v184
	v_add_f32_e32 v4, v4, v5
	v_mul_f32_e32 v5, v97, v181
	v_add_f32_e32 v191, v102, v103
	ds_read2_b64 v[102:105], v1 offset0:125 offset1:126
	v_fma_f32 v5, v96, v184, -v5
	v_add_f32_e32 v4, v4, v5
	s_waitcnt lgkmcnt(1)
	v_mul_f32_e32 v5, v99, v183
	v_mul_f32_e32 v192, v98, v183
	v_fma_f32 v5, v98, v182, -v5
	v_fmac_f32_e32 v192, v99, v182
	v_add_f32_e32 v4, v4, v5
	s_waitcnt vmcnt(4)
	v_mul_f32_e32 v5, v101, v186
	v_add_f32_e32 v1, v191, v192
	v_mul_f32_e32 v191, v100, v186
	v_fma_f32 v5, v100, v185, -v5
	v_fmac_f32_e32 v191, v101, v185
	v_add_f32_e32 v4, v4, v5
	s_waitcnt vmcnt(3) lgkmcnt(0)
	v_mul_f32_e32 v5, v103, v187
	v_add_f32_e32 v1, v1, v191
	v_mul_f32_e32 v191, v102, v187
	s_waitcnt vmcnt(0)
	v_fma_f32 v5, v102, v190, -v5
	v_fmac_f32_e32 v191, v103, v190
	v_add_f32_e32 v4, v4, v5
	v_mul_f32_e32 v5, v105, v189
	v_add_f32_e32 v1, v1, v191
	v_mul_f32_e32 v191, v104, v189
	v_fma_f32 v5, v104, v188, -v5
	v_fmac_f32_e32 v191, v105, v188
	v_add_f32_e32 v4, v4, v5
	v_add_f32_e32 v1, v1, v191
	v_sub_f32_e32 v2, v2, v4
	v_sub_f32_e32 v1, v3, v1
	buffer_store_dword v2, off, s[0:3], 0 offset:128
	buffer_store_dword v1, off, s[0:3], 0 offset:132
	s_and_saveexec_b64 s[4:5], vcc
	s_cbranch_execz .LBB126_361
; %bb.360:
	buffer_load_dword v1, off, s[0:3], 0 offset:120
	buffer_load_dword v2, off, s[0:3], 0 offset:124
	v_mov_b32_e32 v3, 0
	buffer_store_dword v3, off, s[0:3], 0 offset:120
	buffer_store_dword v3, off, s[0:3], 0 offset:124
	s_waitcnt vmcnt(2)
	ds_write_b64 v25, v[1:2]
.LBB126_361:
	s_or_b64 exec, exec, s[4:5]
	s_waitcnt lgkmcnt(0)
	; wave barrier
	buffer_load_dword v8, off, s[0:3], 0 offset:132
	buffer_load_dword v7, off, s[0:3], 0 offset:140
	;; [unrolled: 1-line block ×40, first 2 shown]
	v_mov_b32_e32 v1, 0
	buffer_load_dword v139, off, s[0:3], 0 offset:280
	buffer_load_dword v140, off, s[0:3], 0 offset:284
	;; [unrolled: 1-line block ×8, first 2 shown]
	ds_read_b128 v[11:14], v1 offset:640
	ds_read_b128 v[15:18], v1 offset:656
	;; [unrolled: 1-line block ×7, first 2 shown]
	v_cmp_lt_u32_e32 vcc, 14, v0
	s_waitcnt vmcnt(47) lgkmcnt(6)
	v_mul_f32_e32 v23, v11, v8
	s_waitcnt vmcnt(46)
	v_mul_f32_e32 v24, v13, v7
	s_waitcnt vmcnt(45) lgkmcnt(5)
	v_mul_f32_e32 v42, v15, v6
	s_waitcnt vmcnt(44)
	v_mul_f32_e32 v43, v17, v5
	;; [unrolled: 4-line block ×6, first 2 shown]
	s_waitcnt vmcnt(35)
	v_fmac_f32_e32 v42, v16, v111
	s_waitcnt vmcnt(34)
	v_fmac_f32_e32 v24, v14, v112
	;; [unrolled: 2-line block ×3, first 2 shown]
	v_add_f32_e32 v23, 0, v23
	v_add_f32_e32 v23, v23, v24
	;; [unrolled: 1-line block ×3, first 2 shown]
	s_waitcnt vmcnt(29)
	v_fmac_f32_e32 v43, v18, v117
	v_fmac_f32_e32 v44, v20, v116
	v_add_f32_e32 v23, v23, v43
	v_fmac_f32_e32 v45, v22, v115
	v_add_f32_e32 v23, v23, v44
	v_add_f32_e32 v23, v23, v45
	ds_read_b128 v[42:45], v1 offset:752
	buffer_load_dword v147, off, s[0:3], 0 offset:312
	buffer_load_dword v148, off, s[0:3], 0 offset:316
	;; [unrolled: 1-line block ×10, first 2 shown]
	v_fmac_f32_e32 v46, v27, v114
	s_waitcnt vmcnt(35)
	v_fmac_f32_e32 v47, v29, v123
	v_add_f32_e32 v23, v23, v46
	v_fmac_f32_e32 v48, v31, v122
	v_add_f32_e32 v23, v23, v47
	v_fmac_f32_e32 v49, v33, v119
	v_add_f32_e32 v23, v23, v48
	v_add_f32_e32 v23, v23, v49
	ds_read_b128 v[46:49], v1 offset:768
	buffer_load_dword v157, off, s[0:3], 0 offset:352
	buffer_load_dword v158, off, s[0:3], 0 offset:356
	buffer_load_dword v159, off, s[0:3], 0 offset:364
	buffer_load_dword v160, off, s[0:3], 0 offset:368
	buffer_load_dword v161, off, s[0:3], 0 offset:372
	buffer_load_dword v162, off, s[0:3], 0 offset:360
	v_fmac_f32_e32 v50, v35, v118
	s_waitcnt vmcnt(37)
	v_fmac_f32_e32 v51, v37, v127
	v_add_f32_e32 v23, v23, v50
	v_add_f32_e32 v23, v23, v51
	ds_read_b128 v[50:53], v1 offset:784
	buffer_load_dword v163, off, s[0:3], 0 offset:376
	buffer_load_dword v164, off, s[0:3], 0 offset:380
	;; [unrolled: 1-line block ×10, first 2 shown]
	ds_read_b128 v[54:57], v1 offset:800
	buffer_load_dword v173, off, s[0:3], 0 offset:416
	buffer_load_dword v174, off, s[0:3], 0 offset:420
	;; [unrolled: 1-line block ×6, first 2 shown]
	ds_read_b128 v[58:61], v1 offset:816
	buffer_load_dword v179, off, s[0:3], 0 offset:440
	buffer_load_dword v180, off, s[0:3], 0 offset:444
	buffer_load_dword v181, off, s[0:3], 0 offset:448
	buffer_load_dword v182, off, s[0:3], 0 offset:452
	buffer_load_dword v183, off, s[0:3], 0 offset:460
	buffer_load_dword v184, off, s[0:3], 0 offset:464
	buffer_load_dword v185, off, s[0:3], 0 offset:468
	buffer_load_dword v186, off, s[0:3], 0 offset:456
	buffer_load_dword v187, off, s[0:3], 0 offset:472
	buffer_load_dword v188, off, s[0:3], 0 offset:476
	v_mul_f32_e32 v8, v12, v8
	v_fma_f32 v8, v11, v113, -v8
	v_mul_f32_e32 v7, v14, v7
	v_add_f32_e32 v8, 0, v8
	v_fma_f32 v7, v13, v112, -v7
	v_mul_f32_e32 v6, v16, v6
	v_add_f32_e32 v7, v8, v7
	;; [unrolled: 3-line block ×3, first 2 shown]
	v_fma_f32 v5, v17, v117, -v5
	v_mul_f32_e32 v4, v20, v4
	buffer_load_dword v189, off, s[0:3], 0 offset:480
	buffer_load_dword v190, off, s[0:3], 0 offset:484
	;; [unrolled: 1-line block ×6, first 2 shown]
	v_add_f32_e32 v5, v6, v5
	v_fma_f32 v4, v19, v116, -v4
	v_mul_f32_e32 v3, v22, v3
	v_add_f32_e32 v4, v5, v4
	v_fma_f32 v3, v21, v115, -v3
	v_mul_f32_e32 v2, v27, v2
	v_add_f32_e32 v3, v4, v3
	v_fma_f32 v2, v26, v114, -v2
	v_add_f32_e32 v2, v3, v2
	v_mul_f32_e32 v3, v29, v106
	v_fma_f32 v3, v28, v123, -v3
	v_add_f32_e32 v2, v2, v3
	v_mul_f32_e32 v3, v31, v107
	;; [unrolled: 3-line block ×5, first 2 shown]
	s_waitcnt vmcnt(62) lgkmcnt(5)
	v_mul_f32_e32 v24, v38, v128
	v_fma_f32 v3, v36, v127, -v3
	v_fmac_f32_e32 v24, v39, v126
	v_add_f32_e32 v2, v2, v3
	v_mul_f32_e32 v3, v39, v128
	v_add_f32_e32 v23, v23, v24
	v_mul_f32_e32 v24, v40, v129
	v_fma_f32 v3, v38, v126, -v3
	v_fmac_f32_e32 v24, v41, v125
	v_add_f32_e32 v2, v2, v3
	v_mul_f32_e32 v3, v41, v129
	v_add_f32_e32 v23, v23, v24
	s_waitcnt lgkmcnt(4)
	v_mul_f32_e32 v24, v42, v130
	v_fma_f32 v3, v40, v125, -v3
	v_fmac_f32_e32 v24, v43, v124
	v_add_f32_e32 v2, v2, v3
	v_mul_f32_e32 v3, v43, v130
	v_add_f32_e32 v23, v23, v24
	v_mul_f32_e32 v24, v44, v131
	v_fma_f32 v3, v42, v124, -v3
	s_waitcnt vmcnt(58)
	v_fmac_f32_e32 v24, v45, v138
	v_add_f32_e32 v2, v2, v3
	v_mul_f32_e32 v3, v45, v131
	v_add_f32_e32 v23, v23, v24
	s_waitcnt lgkmcnt(3)
	v_mul_f32_e32 v24, v46, v133
	v_fma_f32 v3, v44, v138, -v3
	v_fmac_f32_e32 v24, v47, v132
	v_add_f32_e32 v2, v2, v3
	v_mul_f32_e32 v3, v47, v133
	v_add_f32_e32 v23, v23, v24
	v_mul_f32_e32 v24, v48, v135
	v_fma_f32 v3, v46, v132, -v3
	v_fmac_f32_e32 v24, v49, v134
	v_add_f32_e32 v2, v2, v3
	v_mul_f32_e32 v3, v49, v135
	v_add_f32_e32 v23, v23, v24
	s_waitcnt lgkmcnt(2)
	v_mul_f32_e32 v24, v50, v137
	v_fma_f32 v3, v48, v134, -v3
	v_fmac_f32_e32 v24, v51, v136
	v_add_f32_e32 v2, v2, v3
	v_mul_f32_e32 v3, v51, v137
	v_add_f32_e32 v23, v23, v24
	s_waitcnt vmcnt(54)
	v_mul_f32_e32 v24, v52, v140
	v_fma_f32 v3, v50, v136, -v3
	v_fmac_f32_e32 v24, v53, v139
	v_add_f32_e32 v2, v2, v3
	v_mul_f32_e32 v3, v53, v140
	v_add_f32_e32 v23, v23, v24
	s_waitcnt vmcnt(52) lgkmcnt(1)
	v_mul_f32_e32 v24, v54, v142
	v_fma_f32 v3, v52, v139, -v3
	v_fmac_f32_e32 v24, v55, v141
	v_add_f32_e32 v2, v2, v3
	v_mul_f32_e32 v3, v55, v142
	v_add_f32_e32 v23, v23, v24
	s_waitcnt vmcnt(50)
	v_mul_f32_e32 v24, v56, v144
	v_fma_f32 v3, v54, v141, -v3
	v_fmac_f32_e32 v24, v57, v143
	ds_read_b128 v[62:65], v1 offset:832
	ds_read_b128 v[66:69], v1 offset:848
	v_add_f32_e32 v2, v2, v3
	v_mul_f32_e32 v3, v57, v144
	v_add_f32_e32 v23, v23, v24
	s_waitcnt vmcnt(48) lgkmcnt(2)
	v_mul_f32_e32 v24, v58, v146
	v_fma_f32 v3, v56, v143, -v3
	v_fmac_f32_e32 v24, v59, v145
	v_add_f32_e32 v2, v2, v3
	v_mul_f32_e32 v3, v59, v146
	v_add_f32_e32 v23, v23, v24
	s_waitcnt vmcnt(46)
	v_mul_f32_e32 v24, v60, v148
	v_fma_f32 v3, v58, v145, -v3
	v_fmac_f32_e32 v24, v61, v147
	v_add_f32_e32 v2, v2, v3
	v_mul_f32_e32 v3, v61, v148
	v_add_f32_e32 v23, v23, v24
	s_waitcnt vmcnt(44) lgkmcnt(1)
	v_mul_f32_e32 v24, v62, v150
	v_fma_f32 v3, v60, v147, -v3
	v_fmac_f32_e32 v24, v63, v149
	v_add_f32_e32 v2, v2, v3
	v_mul_f32_e32 v3, v63, v150
	v_add_f32_e32 v23, v23, v24
	s_waitcnt vmcnt(43)
	v_mul_f32_e32 v24, v64, v151
	v_fma_f32 v3, v62, v149, -v3
	s_waitcnt vmcnt(40)
	v_fmac_f32_e32 v24, v65, v154
	ds_read_b128 v[70:73], v1 offset:864
	ds_read_b128 v[74:77], v1 offset:880
	v_add_f32_e32 v2, v2, v3
	v_mul_f32_e32 v3, v65, v151
	v_add_f32_e32 v23, v23, v24
	s_waitcnt lgkmcnt(2)
	v_mul_f32_e32 v24, v66, v153
	v_fma_f32 v3, v64, v154, -v3
	v_fmac_f32_e32 v24, v67, v152
	v_add_f32_e32 v2, v2, v3
	v_mul_f32_e32 v3, v67, v153
	v_add_f32_e32 v23, v23, v24
	s_waitcnt vmcnt(38)
	v_mul_f32_e32 v24, v68, v156
	v_fma_f32 v3, v66, v152, -v3
	v_fmac_f32_e32 v24, v69, v155
	v_add_f32_e32 v2, v2, v3
	v_mul_f32_e32 v3, v69, v156
	v_add_f32_e32 v23, v23, v24
	s_waitcnt vmcnt(36) lgkmcnt(1)
	v_mul_f32_e32 v24, v70, v158
	v_fma_f32 v3, v68, v155, -v3
	v_fmac_f32_e32 v24, v71, v157
	v_add_f32_e32 v2, v2, v3
	v_mul_f32_e32 v3, v71, v158
	v_add_f32_e32 v23, v23, v24
	s_waitcnt vmcnt(35)
	v_mul_f32_e32 v24, v72, v159
	v_fma_f32 v3, v70, v157, -v3
	s_waitcnt vmcnt(32)
	v_fmac_f32_e32 v24, v73, v162
	ds_read_b128 v[78:81], v1 offset:896
	ds_read_b128 v[82:85], v1 offset:912
	v_add_f32_e32 v2, v2, v3
	v_mul_f32_e32 v3, v73, v159
	v_add_f32_e32 v23, v23, v24
	s_waitcnt lgkmcnt(2)
	;; [unrolled: 31-line block ×4, first 2 shown]
	v_mul_f32_e32 v24, v90, v177
	v_fma_f32 v3, v88, v178, -v3
	v_fmac_f32_e32 v24, v91, v176
	v_add_f32_e32 v2, v2, v3
	v_mul_f32_e32 v3, v91, v177
	v_add_f32_e32 v23, v23, v24
	s_waitcnt vmcnt(14)
	v_mul_f32_e32 v24, v92, v180
	v_fma_f32 v3, v90, v176, -v3
	v_fmac_f32_e32 v24, v93, v179
	v_add_f32_e32 v2, v2, v3
	v_mul_f32_e32 v3, v93, v180
	v_add_f32_e32 v23, v23, v24
	s_waitcnt vmcnt(12) lgkmcnt(1)
	v_mul_f32_e32 v24, v94, v182
	v_fma_f32 v3, v92, v179, -v3
	v_fmac_f32_e32 v24, v95, v181
	v_add_f32_e32 v2, v2, v3
	v_mul_f32_e32 v3, v95, v182
	v_add_f32_e32 v23, v23, v24
	s_waitcnt vmcnt(11)
	v_mul_f32_e32 v24, v96, v183
	v_fma_f32 v3, v94, v181, -v3
	s_waitcnt vmcnt(8)
	v_fmac_f32_e32 v24, v97, v186
	v_add_f32_e32 v2, v2, v3
	v_mul_f32_e32 v3, v97, v183
	v_add_f32_e32 v23, v23, v24
	s_waitcnt lgkmcnt(0)
	v_mul_f32_e32 v24, v98, v185
	ds_read_b128 v[102:105], v1 offset:992
	v_fma_f32 v3, v96, v186, -v3
	v_fmac_f32_e32 v24, v99, v184
	v_add_f32_e32 v2, v2, v3
	v_mul_f32_e32 v3, v99, v185
	v_add_f32_e32 v23, v23, v24
	s_waitcnt vmcnt(6)
	v_mul_f32_e32 v24, v100, v188
	v_fma_f32 v3, v98, v184, -v3
	v_fmac_f32_e32 v24, v101, v187
	v_add_f32_e32 v2, v2, v3
	v_mul_f32_e32 v3, v101, v188
	v_add_f32_e32 v195, v23, v24
	ds_read_b64 v[23:24], v1 offset:1008
	v_fma_f32 v3, v100, v187, -v3
	v_add_f32_e32 v2, v2, v3
	s_waitcnt vmcnt(4) lgkmcnt(1)
	v_mul_f32_e32 v3, v103, v190
	v_mul_f32_e32 v196, v102, v190
	v_fma_f32 v3, v102, v189, -v3
	v_fmac_f32_e32 v196, v103, v189
	v_add_f32_e32 v2, v2, v3
	s_waitcnt vmcnt(3)
	v_mul_f32_e32 v3, v105, v191
	v_add_f32_e32 v195, v195, v196
	v_mul_f32_e32 v196, v104, v191
	s_waitcnt vmcnt(0)
	v_fma_f32 v3, v104, v194, -v3
	v_fmac_f32_e32 v196, v105, v194
	v_add_f32_e32 v2, v2, v3
	s_waitcnt lgkmcnt(0)
	v_mul_f32_e32 v3, v24, v193
	v_add_f32_e32 v195, v195, v196
	v_mul_f32_e32 v196, v23, v193
	v_fma_f32 v3, v23, v192, -v3
	v_fmac_f32_e32 v196, v24, v192
	v_add_f32_e32 v2, v2, v3
	v_add_f32_e32 v195, v195, v196
	v_sub_f32_e32 v2, v9, v2
	v_sub_f32_e32 v3, v10, v195
	buffer_store_dword v2, off, s[0:3], 0 offset:120
	buffer_store_dword v3, off, s[0:3], 0 offset:124
	s_and_saveexec_b64 s[4:5], vcc
	s_cbranch_execz .LBB126_363
; %bb.362:
	buffer_load_dword v2, off, s[0:3], 0 offset:112
	buffer_load_dword v3, off, s[0:3], 0 offset:116
	s_waitcnt vmcnt(0)
	ds_write_b64 v25, v[2:3]
	buffer_store_dword v1, off, s[0:3], 0 offset:112
	buffer_store_dword v1, off, s[0:3], 0 offset:116
.LBB126_363:
	s_or_b64 exec, exec, s[4:5]
	s_waitcnt lgkmcnt(0)
	; wave barrier
	buffer_load_dword v8, off, s[0:3], 0 offset:124
	buffer_load_dword v7, off, s[0:3], 0 offset:132
	;; [unrolled: 1-line block ×40, first 2 shown]
	ds_read2_b64 v[40:43], v1 offset0:79 offset1:80
	ds_read2_b64 v[44:47], v1 offset0:81 offset1:82
	;; [unrolled: 1-line block ×7, first 2 shown]
	buffer_load_dword v141, off, s[0:3], 0 offset:272
	buffer_load_dword v142, off, s[0:3], 0 offset:276
	;; [unrolled: 1-line block ×10, first 2 shown]
	v_cmp_lt_u32_e32 vcc, 13, v0
	s_waitcnt vmcnt(49) lgkmcnt(6)
	v_mul_f32_e32 v68, v40, v8
	s_waitcnt vmcnt(48)
	v_mul_f32_e32 v69, v42, v7
	s_waitcnt vmcnt(47) lgkmcnt(5)
	v_mul_f32_e32 v70, v44, v6
	s_waitcnt vmcnt(46)
	v_mul_f32_e32 v71, v46, v5
	;; [unrolled: 4-line block ×6, first 2 shown]
	s_waitcnt vmcnt(37)
	v_fmac_f32_e32 v70, v45, v21
	s_waitcnt vmcnt(36)
	v_fmac_f32_e32 v69, v43, v24
	;; [unrolled: 2-line block ×3, first 2 shown]
	v_add_f32_e32 v68, 0, v68
	v_add_f32_e32 v68, v68, v69
	;; [unrolled: 1-line block ×3, first 2 shown]
	s_waitcnt vmcnt(31)
	v_fmac_f32_e32 v71, v47, v27
	v_fmac_f32_e32 v72, v49, v23
	v_add_f32_e32 v68, v68, v71
	v_fmac_f32_e32 v73, v51, v20
	v_add_f32_e32 v68, v68, v72
	;; [unrolled: 2-line block ×3, first 2 shown]
	s_waitcnt vmcnt(27)
	v_fmac_f32_e32 v75, v55, v22
	v_add_f32_e32 v68, v68, v74
	v_fmac_f32_e32 v76, v57, v19
	v_add_f32_e32 v68, v68, v75
	;; [unrolled: 2-line block ×4, first 2 shown]
	s_waitcnt vmcnt(23)
	v_fmac_f32_e32 v79, v63, v35
	v_add_f32_e32 v68, v68, v78
	v_add_f32_e32 v72, v68, v79
	ds_read2_b64 v[68:71], v1 offset0:93 offset1:94
	s_waitcnt vmcnt(22) lgkmcnt(1)
	v_mul_f32_e32 v73, v64, v34
	v_fmac_f32_e32 v73, v65, v31
	buffer_load_dword v151, off, s[0:3], 0 offset:312
	buffer_load_dword v152, off, s[0:3], 0 offset:316
	;; [unrolled: 1-line block ×6, first 2 shown]
	v_add_f32_e32 v72, v72, v73
	s_waitcnt vmcnt(27)
	v_mul_f32_e32 v73, v66, v32
	v_fmac_f32_e32 v73, v67, v29
	v_add_f32_e32 v72, v72, v73
	s_waitcnt vmcnt(26) lgkmcnt(0)
	v_mul_f32_e32 v73, v68, v30
	v_fmac_f32_e32 v73, v69, v26
	v_add_f32_e32 v76, v72, v73
	ds_read2_b64 v[72:75], v1 offset0:95 offset1:96
	buffer_load_dword v157, off, s[0:3], 0 offset:336
	buffer_load_dword v158, off, s[0:3], 0 offset:340
	s_waitcnt vmcnt(27)
	v_mul_f32_e32 v77, v70, v33
	s_waitcnt vmcnt(20)
	v_fmac_f32_e32 v77, v71, v140
	v_add_f32_e32 v80, v76, v77
	ds_read2_b64 v[76:79], v1 offset0:97 offset1:98
	buffer_load_dword v159, off, s[0:3], 0 offset:344
	buffer_load_dword v160, off, s[0:3], 0 offset:348
	;; [unrolled: 1-line block ×14, first 2 shown]
	s_waitcnt lgkmcnt(1)
	v_mul_f32_e32 v81, v72, v37
	buffer_load_dword v173, off, s[0:3], 0 offset:400
	buffer_load_dword v174, off, s[0:3], 0 offset:404
	v_fmac_f32_e32 v81, v73, v36
	v_add_f32_e32 v80, v80, v81
	v_mul_f32_e32 v81, v74, v39
	v_fmac_f32_e32 v81, v75, v38
	v_add_f32_e32 v80, v80, v81
	s_waitcnt lgkmcnt(0)
	v_mul_f32_e32 v81, v76, v139
	v_fmac_f32_e32 v81, v77, v138
	v_add_f32_e32 v84, v80, v81
	ds_read2_b64 v[80:83], v1 offset0:99 offset1:100
	buffer_load_dword v175, off, s[0:3], 0 offset:408
	buffer_load_dword v176, off, s[0:3], 0 offset:412
	;; [unrolled: 1-line block ×6, first 2 shown]
	s_waitcnt vmcnt(38)
	v_mul_f32_e32 v85, v78, v142
	v_fmac_f32_e32 v85, v79, v141
	v_add_f32_e32 v88, v84, v85
	ds_read2_b64 v[84:87], v1 offset0:101 offset1:102
	buffer_load_dword v181, off, s[0:3], 0 offset:432
	buffer_load_dword v182, off, s[0:3], 0 offset:436
	;; [unrolled: 1-line block ×10, first 2 shown]
	v_mul_f32_e32 v8, v41, v8
	s_waitcnt vmcnt(46) lgkmcnt(1)
	v_mul_f32_e32 v89, v80, v144
	v_fma_f32 v8, v40, v28, -v8
	v_mul_f32_e32 v7, v43, v7
	v_fmac_f32_e32 v89, v81, v143
	v_add_f32_e32 v8, 0, v8
	v_fma_f32 v7, v42, v24, -v7
	v_mul_f32_e32 v6, v45, v6
	v_add_f32_e32 v88, v88, v89
	s_waitcnt vmcnt(44)
	v_mul_f32_e32 v89, v82, v146
	v_add_f32_e32 v7, v8, v7
	v_fma_f32 v6, v44, v21, -v6
	v_mul_f32_e32 v5, v47, v5
	v_fmac_f32_e32 v89, v83, v145
	v_add_f32_e32 v6, v7, v6
	v_fma_f32 v5, v46, v27, -v5
	v_mul_f32_e32 v4, v49, v4
	v_add_f32_e32 v88, v88, v89
	s_waitcnt vmcnt(42) lgkmcnt(0)
	v_mul_f32_e32 v89, v84, v148
	buffer_load_dword v191, off, s[0:3], 0 offset:472
	buffer_load_dword v192, off, s[0:3], 0 offset:476
	;; [unrolled: 1-line block ×6, first 2 shown]
	v_add_f32_e32 v5, v6, v5
	v_fma_f32 v4, v48, v23, -v4
	v_mul_f32_e32 v3, v51, v3
	v_fmac_f32_e32 v89, v85, v147
	s_waitcnt vmcnt(46)
	v_mul_f32_e32 v93, v86, v150
	v_add_f32_e32 v4, v5, v4
	v_fma_f32 v3, v50, v20, -v3
	v_mul_f32_e32 v2, v53, v2
	v_add_f32_e32 v92, v88, v89
	v_fmac_f32_e32 v93, v87, v149
	v_add_f32_e32 v3, v4, v3
	v_fma_f32 v2, v52, v18, -v2
	ds_read2_b64 v[88:91], v1 offset0:103 offset1:104
	v_add_f32_e32 v96, v92, v93
	ds_read2_b64 v[92:95], v1 offset0:105 offset1:106
	buffer_load_dword v197, off, s[0:3], 0 offset:496
	buffer_load_dword v198, off, s[0:3], 0 offset:500
	v_add_f32_e32 v2, v3, v2
	v_mul_f32_e32 v3, v55, v11
	v_fma_f32 v3, v54, v22, -v3
	v_add_f32_e32 v2, v2, v3
	v_mul_f32_e32 v3, v57, v12
	v_fma_f32 v3, v56, v19, -v3
	;; [unrolled: 3-line block ×9, first 2 shown]
	v_add_f32_e32 v2, v2, v3
	v_mul_f32_e32 v3, v73, v37
	s_waitcnt vmcnt(46) lgkmcnt(1)
	v_mul_f32_e32 v97, v88, v152
	v_fma_f32 v3, v72, v36, -v3
	v_fmac_f32_e32 v97, v89, v151
	v_add_f32_e32 v2, v2, v3
	v_mul_f32_e32 v3, v75, v39
	v_add_f32_e32 v96, v96, v97
	s_waitcnt vmcnt(45)
	v_mul_f32_e32 v97, v90, v153
	v_fma_f32 v3, v74, v38, -v3
	s_waitcnt vmcnt(42)
	v_fmac_f32_e32 v97, v91, v156
	v_add_f32_e32 v2, v2, v3
	v_mul_f32_e32 v3, v77, v139
	v_add_f32_e32 v96, v96, v97
	s_waitcnt lgkmcnt(0)
	v_mul_f32_e32 v97, v92, v155
	v_fma_f32 v3, v76, v138, -v3
	v_fmac_f32_e32 v97, v93, v154
	v_add_f32_e32 v2, v2, v3
	v_mul_f32_e32 v3, v79, v142
	v_add_f32_e32 v100, v96, v97
	ds_read2_b64 v[96:99], v1 offset0:107 offset1:108
	v_fma_f32 v3, v78, v141, -v3
	v_add_f32_e32 v2, v2, v3
	v_mul_f32_e32 v3, v81, v144
	s_waitcnt vmcnt(40)
	v_mul_f32_e32 v101, v94, v158
	v_fma_f32 v3, v80, v143, -v3
	v_fmac_f32_e32 v101, v95, v157
	v_add_f32_e32 v2, v2, v3
	v_mul_f32_e32 v3, v83, v146
	v_add_f32_e32 v104, v100, v101
	ds_read2_b64 v[100:103], v1 offset0:109 offset1:110
	v_fma_f32 v3, v82, v145, -v3
	s_waitcnt vmcnt(38) lgkmcnt(1)
	v_mul_f32_e32 v105, v96, v160
	v_add_f32_e32 v2, v2, v3
	v_mul_f32_e32 v3, v85, v148
	v_fmac_f32_e32 v105, v97, v159
	v_fma_f32 v3, v84, v147, -v3
	v_add_f32_e32 v104, v104, v105
	s_waitcnt vmcnt(37)
	v_mul_f32_e32 v105, v98, v161
	v_add_f32_e32 v2, v2, v3
	v_mul_f32_e32 v3, v87, v150
	s_waitcnt vmcnt(34)
	v_fmac_f32_e32 v105, v99, v164
	v_fma_f32 v3, v86, v149, -v3
	v_add_f32_e32 v104, v104, v105
	s_waitcnt lgkmcnt(0)
	v_mul_f32_e32 v105, v100, v163
	v_add_f32_e32 v2, v2, v3
	v_mul_f32_e32 v3, v89, v152
	v_fmac_f32_e32 v105, v101, v162
	v_fma_f32 v3, v88, v151, -v3
	v_add_f32_e32 v108, v104, v105
	ds_read2_b64 v[104:107], v1 offset0:111 offset1:112
	v_add_f32_e32 v2, v2, v3
	v_mul_f32_e32 v3, v91, v153
	v_fma_f32 v3, v90, v156, -v3
	s_waitcnt vmcnt(32)
	v_mul_f32_e32 v109, v102, v166
	v_add_f32_e32 v2, v2, v3
	v_mul_f32_e32 v3, v93, v155
	v_fmac_f32_e32 v109, v103, v165
	v_fma_f32 v3, v92, v154, -v3
	v_add_f32_e32 v112, v108, v109
	ds_read2_b64 v[108:111], v1 offset0:113 offset1:114
	v_add_f32_e32 v2, v2, v3
	v_mul_f32_e32 v3, v95, v158
	s_waitcnt vmcnt(30) lgkmcnt(1)
	v_mul_f32_e32 v113, v104, v168
	v_fma_f32 v3, v94, v157, -v3
	v_fmac_f32_e32 v113, v105, v167
	v_add_f32_e32 v2, v2, v3
	v_mul_f32_e32 v3, v97, v160
	v_add_f32_e32 v112, v112, v113
	s_waitcnt vmcnt(29)
	v_mul_f32_e32 v113, v106, v169
	v_fma_f32 v3, v96, v159, -v3
	s_waitcnt vmcnt(26)
	v_fmac_f32_e32 v113, v107, v172
	v_add_f32_e32 v2, v2, v3
	v_mul_f32_e32 v3, v99, v161
	v_add_f32_e32 v112, v112, v113
	s_waitcnt lgkmcnt(0)
	v_mul_f32_e32 v113, v108, v171
	v_fma_f32 v3, v98, v164, -v3
	v_fmac_f32_e32 v113, v109, v170
	v_add_f32_e32 v2, v2, v3
	v_mul_f32_e32 v3, v101, v163
	v_add_f32_e32 v116, v112, v113
	ds_read2_b64 v[112:115], v1 offset0:115 offset1:116
	v_fma_f32 v3, v100, v162, -v3
	v_add_f32_e32 v2, v2, v3
	v_mul_f32_e32 v3, v103, v166
	s_waitcnt vmcnt(24)
	v_mul_f32_e32 v117, v110, v174
	v_fma_f32 v3, v102, v165, -v3
	v_fmac_f32_e32 v117, v111, v173
	v_add_f32_e32 v2, v2, v3
	v_mul_f32_e32 v3, v105, v168
	v_add_f32_e32 v122, v116, v117
	ds_read2_b64 v[116:119], v1 offset0:117 offset1:118
	v_fma_f32 v3, v104, v167, -v3
	s_waitcnt vmcnt(22) lgkmcnt(1)
	v_mul_f32_e32 v123, v112, v176
	v_add_f32_e32 v2, v2, v3
	v_mul_f32_e32 v3, v107, v169
	v_fmac_f32_e32 v123, v113, v175
	v_fma_f32 v3, v106, v172, -v3
	v_add_f32_e32 v122, v122, v123
	s_waitcnt vmcnt(21)
	v_mul_f32_e32 v123, v114, v177
	v_add_f32_e32 v2, v2, v3
	v_mul_f32_e32 v3, v109, v171
	s_waitcnt vmcnt(18)
	v_fmac_f32_e32 v123, v115, v180
	v_fma_f32 v3, v108, v170, -v3
	v_add_f32_e32 v122, v122, v123
	s_waitcnt lgkmcnt(0)
	v_mul_f32_e32 v123, v116, v179
	v_add_f32_e32 v2, v2, v3
	v_mul_f32_e32 v3, v111, v174
	v_fmac_f32_e32 v123, v117, v178
	v_fma_f32 v3, v110, v173, -v3
	v_add_f32_e32 v126, v122, v123
	ds_read2_b64 v[122:125], v1 offset0:119 offset1:120
	v_add_f32_e32 v2, v2, v3
	v_mul_f32_e32 v3, v113, v176
	v_fma_f32 v3, v112, v175, -v3
	s_waitcnt vmcnt(16)
	v_mul_f32_e32 v127, v118, v182
	v_add_f32_e32 v2, v2, v3
	v_mul_f32_e32 v3, v115, v177
	v_fmac_f32_e32 v127, v119, v181
	v_fma_f32 v3, v114, v180, -v3
	v_add_f32_e32 v130, v126, v127
	ds_read2_b64 v[126:129], v1 offset0:121 offset1:122
	v_add_f32_e32 v2, v2, v3
	v_mul_f32_e32 v3, v117, v179
	s_waitcnt vmcnt(14) lgkmcnt(1)
	v_mul_f32_e32 v131, v122, v184
	v_fma_f32 v3, v116, v178, -v3
	v_fmac_f32_e32 v131, v123, v183
	v_add_f32_e32 v2, v2, v3
	v_mul_f32_e32 v3, v119, v182
	v_add_f32_e32 v130, v130, v131
	s_waitcnt vmcnt(13)
	v_mul_f32_e32 v131, v124, v185
	v_fma_f32 v3, v118, v181, -v3
	s_waitcnt vmcnt(10)
	v_fmac_f32_e32 v131, v125, v188
	v_add_f32_e32 v2, v2, v3
	v_mul_f32_e32 v3, v123, v184
	v_add_f32_e32 v130, v130, v131
	s_waitcnt lgkmcnt(0)
	v_mul_f32_e32 v131, v126, v187
	v_fma_f32 v3, v122, v183, -v3
	v_fmac_f32_e32 v131, v127, v186
	v_add_f32_e32 v2, v2, v3
	v_mul_f32_e32 v3, v125, v185
	v_add_f32_e32 v134, v130, v131
	ds_read2_b64 v[130:133], v1 offset0:123 offset1:124
	v_fma_f32 v3, v124, v188, -v3
	v_add_f32_e32 v2, v2, v3
	v_mul_f32_e32 v3, v127, v187
	s_waitcnt vmcnt(8)
	v_mul_f32_e32 v135, v128, v190
	v_fma_f32 v3, v126, v186, -v3
	v_fmac_f32_e32 v135, v129, v189
	v_add_f32_e32 v2, v2, v3
	v_mul_f32_e32 v3, v129, v190
	v_add_f32_e32 v199, v134, v135
	ds_read2_b64 v[134:137], v1 offset0:125 offset1:126
	v_fma_f32 v3, v128, v189, -v3
	v_add_f32_e32 v2, v2, v3
	s_waitcnt vmcnt(6) lgkmcnt(1)
	v_mul_f32_e32 v3, v131, v192
	v_mul_f32_e32 v1, v130, v192
	v_fma_f32 v3, v130, v191, -v3
	v_fmac_f32_e32 v1, v131, v191
	v_add_f32_e32 v2, v2, v3
	s_waitcnt vmcnt(5)
	v_mul_f32_e32 v3, v133, v193
	v_add_f32_e32 v1, v199, v1
	v_mul_f32_e32 v199, v132, v193
	s_waitcnt vmcnt(2)
	v_fma_f32 v3, v132, v196, -v3
	v_fmac_f32_e32 v199, v133, v196
	v_add_f32_e32 v2, v2, v3
	s_waitcnt lgkmcnt(0)
	v_mul_f32_e32 v3, v135, v195
	v_add_f32_e32 v1, v1, v199
	v_mul_f32_e32 v199, v134, v195
	v_fma_f32 v3, v134, v194, -v3
	v_fmac_f32_e32 v199, v135, v194
	v_add_f32_e32 v2, v2, v3
	s_waitcnt vmcnt(0)
	v_mul_f32_e32 v3, v137, v198
	v_add_f32_e32 v1, v1, v199
	v_mul_f32_e32 v199, v136, v198
	v_fma_f32 v3, v136, v197, -v3
	v_fmac_f32_e32 v199, v137, v197
	v_add_f32_e32 v2, v2, v3
	v_add_f32_e32 v1, v1, v199
	v_sub_f32_e32 v2, v9, v2
	v_sub_f32_e32 v1, v10, v1
	buffer_store_dword v2, off, s[0:3], 0 offset:112
	buffer_store_dword v1, off, s[0:3], 0 offset:116
	s_and_saveexec_b64 s[4:5], vcc
	s_cbranch_execz .LBB126_365
; %bb.364:
	buffer_load_dword v1, off, s[0:3], 0 offset:104
	buffer_load_dword v2, off, s[0:3], 0 offset:108
	v_mov_b32_e32 v3, 0
	buffer_store_dword v3, off, s[0:3], 0 offset:104
	buffer_store_dword v3, off, s[0:3], 0 offset:108
	s_waitcnt vmcnt(2)
	ds_write_b64 v25, v[1:2]
.LBB126_365:
	s_or_b64 exec, exec, s[4:5]
	s_waitcnt lgkmcnt(0)
	; wave barrier
	buffer_load_dword v8, off, s[0:3], 0 offset:116
	buffer_load_dword v7, off, s[0:3], 0 offset:124
	;; [unrolled: 1-line block ×40, first 2 shown]
	v_mov_b32_e32 v1, 0
	buffer_load_dword v143, off, s[0:3], 0 offset:264
	buffer_load_dword v144, off, s[0:3], 0 offset:268
	;; [unrolled: 1-line block ×10, first 2 shown]
	ds_read_b128 v[15:18], v1 offset:624
	ds_read_b128 v[19:22], v1 offset:640
	;; [unrolled: 1-line block ×7, first 2 shown]
	v_cmp_lt_u32_e32 vcc, 12, v0
	s_waitcnt vmcnt(49) lgkmcnt(6)
	v_mul_f32_e32 v23, v15, v8
	s_waitcnt vmcnt(48)
	v_mul_f32_e32 v24, v17, v7
	s_waitcnt vmcnt(47) lgkmcnt(5)
	v_mul_f32_e32 v46, v19, v6
	s_waitcnt vmcnt(46)
	v_mul_f32_e32 v47, v21, v5
	;; [unrolled: 4-line block ×5, first 2 shown]
	s_waitcnt vmcnt(39) lgkmcnt(1)
	v_mul_f32_e32 v54, v38, v14
	s_waitcnt vmcnt(38)
	v_fmac_f32_e32 v46, v20, v114
	s_waitcnt vmcnt(37)
	v_fmac_f32_e32 v24, v18, v115
	;; [unrolled: 2-line block ×3, first 2 shown]
	v_add_f32_e32 v23, 0, v23
	v_add_f32_e32 v23, v23, v24
	;; [unrolled: 1-line block ×3, first 2 shown]
	s_waitcnt vmcnt(32)
	v_fmac_f32_e32 v47, v22, v122
	v_fmac_f32_e32 v48, v27, v119
	v_add_f32_e32 v23, v23, v47
	v_fmac_f32_e32 v49, v29, v118
	v_add_f32_e32 v23, v23, v48
	;; [unrolled: 2-line block ×3, first 2 shown]
	s_waitcnt vmcnt(28)
	v_fmac_f32_e32 v51, v33, v126
	v_add_f32_e32 v23, v23, v50
	ds_read_b128 v[46:49], v1 offset:736
	buffer_load_dword v153, off, s[0:3], 0 offset:304
	buffer_load_dword v154, off, s[0:3], 0 offset:308
	v_fmac_f32_e32 v52, v35, v125
	v_add_f32_e32 v23, v23, v51
	v_fmac_f32_e32 v53, v37, v124
	v_add_f32_e32 v23, v23, v52
	v_add_f32_e32 v23, v23, v53
	ds_read_b128 v[50:53], v1 offset:752
	buffer_load_dword v155, off, s[0:3], 0 offset:316
	buffer_load_dword v156, off, s[0:3], 0 offset:320
	;; [unrolled: 1-line block ×4, first 2 shown]
	v_fmac_f32_e32 v54, v39, v123
	v_add_f32_e32 v23, v23, v54
	ds_read_b128 v[54:57], v1 offset:768
	buffer_load_dword v159, off, s[0:3], 0 offset:328
	buffer_load_dword v160, off, s[0:3], 0 offset:332
	;; [unrolled: 1-line block ×16, first 2 shown]
	ds_read_b128 v[58:61], v1 offset:784
	buffer_load_dword v175, off, s[0:3], 0 offset:392
	buffer_load_dword v176, off, s[0:3], 0 offset:396
	ds_read_b128 v[62:65], v1 offset:800
	buffer_load_dword v177, off, s[0:3], 0 offset:400
	buffer_load_dword v178, off, s[0:3], 0 offset:404
	;; [unrolled: 1-line block ×16, first 2 shown]
	v_mul_f32_e32 v8, v16, v8
	v_fma_f32 v8, v15, v116, -v8
	v_mul_f32_e32 v7, v18, v7
	v_add_f32_e32 v8, 0, v8
	v_fma_f32 v7, v17, v115, -v7
	v_mul_f32_e32 v6, v20, v6
	v_add_f32_e32 v7, v8, v7
	v_fma_f32 v6, v19, v114, -v6
	v_mul_f32_e32 v5, v22, v5
	ds_read_b128 v[66:69], v1 offset:816
	buffer_load_dword v193, off, s[0:3], 0 offset:464
	buffer_load_dword v194, off, s[0:3], 0 offset:468
	;; [unrolled: 1-line block ×6, first 2 shown]
	v_add_f32_e32 v6, v7, v6
	v_fma_f32 v5, v21, v122, -v5
	v_mul_f32_e32 v4, v27, v4
	v_add_f32_e32 v5, v6, v5
	v_fma_f32 v4, v26, v119, -v4
	v_mul_f32_e32 v3, v29, v3
	;; [unrolled: 3-line block ×3, first 2 shown]
	v_add_f32_e32 v3, v4, v3
	v_fma_f32 v2, v30, v117, -v2
	v_add_f32_e32 v2, v3, v2
	v_mul_f32_e32 v3, v33, v11
	ds_read_b128 v[70:73], v1 offset:832
	buffer_load_dword v199, off, s[0:3], 0 offset:492
	buffer_load_dword v200, off, s[0:3], 0 offset:496
	;; [unrolled: 1-line block ×4, first 2 shown]
	v_fma_f32 v3, v32, v126, -v3
	v_add_f32_e32 v2, v2, v3
	v_mul_f32_e32 v3, v35, v12
	v_fma_f32 v3, v34, v125, -v3
	v_add_f32_e32 v2, v2, v3
	v_mul_f32_e32 v3, v37, v13
	;; [unrolled: 3-line block ×3, first 2 shown]
	s_waitcnt vmcnt(62)
	v_mul_f32_e32 v24, v40, v127
	v_fma_f32 v3, v38, v123, -v3
	v_fmac_f32_e32 v24, v41, v131
	v_add_f32_e32 v2, v2, v3
	v_mul_f32_e32 v3, v41, v127
	v_add_f32_e32 v23, v23, v24
	s_waitcnt lgkmcnt(7)
	v_mul_f32_e32 v24, v42, v132
	v_fma_f32 v3, v40, v131, -v3
	v_fmac_f32_e32 v24, v43, v130
	v_add_f32_e32 v2, v2, v3
	v_mul_f32_e32 v3, v43, v132
	v_add_f32_e32 v23, v23, v24
	v_mul_f32_e32 v24, v44, v133
	v_fma_f32 v3, v42, v130, -v3
	v_fmac_f32_e32 v24, v45, v129
	v_add_f32_e32 v2, v2, v3
	v_mul_f32_e32 v3, v45, v133
	v_add_f32_e32 v23, v23, v24
	s_waitcnt lgkmcnt(6)
	v_mul_f32_e32 v24, v46, v134
	v_fma_f32 v3, v44, v129, -v3
	v_fmac_f32_e32 v24, v47, v128
	v_add_f32_e32 v2, v2, v3
	v_mul_f32_e32 v3, v47, v134
	v_add_f32_e32 v23, v23, v24
	;; [unrolled: 13-line block ×4, first 2 shown]
	s_waitcnt vmcnt(58)
	v_mul_f32_e32 v24, v56, v144
	v_fma_f32 v3, v54, v138, -v3
	v_fmac_f32_e32 v24, v57, v143
	v_add_f32_e32 v2, v2, v3
	v_mul_f32_e32 v3, v57, v144
	v_add_f32_e32 v23, v23, v24
	s_waitcnt vmcnt(56) lgkmcnt(3)
	v_mul_f32_e32 v24, v58, v146
	v_fma_f32 v3, v56, v143, -v3
	v_fmac_f32_e32 v24, v59, v145
	v_add_f32_e32 v2, v2, v3
	v_mul_f32_e32 v3, v59, v146
	v_add_f32_e32 v23, v23, v24
	s_waitcnt vmcnt(54)
	v_mul_f32_e32 v24, v60, v148
	v_fma_f32 v3, v58, v145, -v3
	v_fmac_f32_e32 v24, v61, v147
	v_add_f32_e32 v2, v2, v3
	v_mul_f32_e32 v3, v61, v148
	v_add_f32_e32 v23, v23, v24
	s_waitcnt vmcnt(52) lgkmcnt(2)
	v_mul_f32_e32 v24, v62, v150
	v_fma_f32 v3, v60, v147, -v3
	v_fmac_f32_e32 v24, v63, v149
	v_add_f32_e32 v2, v2, v3
	v_mul_f32_e32 v3, v63, v150
	v_add_f32_e32 v23, v23, v24
	s_waitcnt vmcnt(50)
	v_mul_f32_e32 v24, v64, v152
	v_fma_f32 v3, v62, v149, -v3
	v_fmac_f32_e32 v24, v65, v151
	v_add_f32_e32 v2, v2, v3
	v_mul_f32_e32 v3, v65, v152
	v_add_f32_e32 v23, v23, v24
	s_waitcnt vmcnt(48) lgkmcnt(1)
	v_mul_f32_e32 v24, v66, v154
	v_fma_f32 v3, v64, v151, -v3
	v_fmac_f32_e32 v24, v67, v153
	v_add_f32_e32 v2, v2, v3
	v_mul_f32_e32 v3, v67, v154
	v_add_f32_e32 v23, v23, v24
	s_waitcnt vmcnt(47)
	v_mul_f32_e32 v24, v68, v155
	v_fma_f32 v3, v66, v153, -v3
	s_waitcnt vmcnt(44)
	v_fmac_f32_e32 v24, v69, v158
	ds_read_b128 v[74:77], v1 offset:848
	ds_read_b128 v[78:81], v1 offset:864
	v_add_f32_e32 v2, v2, v3
	v_mul_f32_e32 v3, v69, v155
	v_add_f32_e32 v23, v23, v24
	s_waitcnt lgkmcnt(2)
	v_mul_f32_e32 v24, v70, v157
	v_fma_f32 v3, v68, v158, -v3
	v_fmac_f32_e32 v24, v71, v156
	v_add_f32_e32 v2, v2, v3
	v_mul_f32_e32 v3, v71, v157
	v_add_f32_e32 v23, v23, v24
	s_waitcnt vmcnt(42)
	v_mul_f32_e32 v24, v72, v160
	v_fma_f32 v3, v70, v156, -v3
	v_fmac_f32_e32 v24, v73, v159
	v_add_f32_e32 v2, v2, v3
	v_mul_f32_e32 v3, v73, v160
	v_add_f32_e32 v23, v23, v24
	s_waitcnt vmcnt(40) lgkmcnt(1)
	v_mul_f32_e32 v24, v74, v162
	v_fma_f32 v3, v72, v159, -v3
	v_fmac_f32_e32 v24, v75, v161
	v_add_f32_e32 v2, v2, v3
	v_mul_f32_e32 v3, v75, v162
	v_add_f32_e32 v23, v23, v24
	s_waitcnt vmcnt(39)
	v_mul_f32_e32 v24, v76, v163
	v_fma_f32 v3, v74, v161, -v3
	s_waitcnt vmcnt(36)
	v_fmac_f32_e32 v24, v77, v166
	ds_read_b128 v[82:85], v1 offset:880
	ds_read_b128 v[86:89], v1 offset:896
	v_add_f32_e32 v2, v2, v3
	v_mul_f32_e32 v3, v77, v163
	v_add_f32_e32 v23, v23, v24
	s_waitcnt lgkmcnt(2)
	v_mul_f32_e32 v24, v78, v165
	v_fma_f32 v3, v76, v166, -v3
	v_fmac_f32_e32 v24, v79, v164
	v_add_f32_e32 v2, v2, v3
	v_mul_f32_e32 v3, v79, v165
	v_add_f32_e32 v23, v23, v24
	s_waitcnt vmcnt(34)
	v_mul_f32_e32 v24, v80, v168
	v_fma_f32 v3, v78, v164, -v3
	v_fmac_f32_e32 v24, v81, v167
	v_add_f32_e32 v2, v2, v3
	v_mul_f32_e32 v3, v81, v168
	v_add_f32_e32 v23, v23, v24
	s_waitcnt vmcnt(32) lgkmcnt(1)
	v_mul_f32_e32 v24, v82, v170
	v_fma_f32 v3, v80, v167, -v3
	v_fmac_f32_e32 v24, v83, v169
	v_add_f32_e32 v2, v2, v3
	v_mul_f32_e32 v3, v83, v170
	v_add_f32_e32 v23, v23, v24
	s_waitcnt vmcnt(31)
	v_mul_f32_e32 v24, v84, v171
	v_fma_f32 v3, v82, v169, -v3
	s_waitcnt vmcnt(28)
	v_fmac_f32_e32 v24, v85, v174
	ds_read_b128 v[90:93], v1 offset:912
	ds_read_b128 v[94:97], v1 offset:928
	v_add_f32_e32 v2, v2, v3
	v_mul_f32_e32 v3, v85, v171
	v_add_f32_e32 v23, v23, v24
	s_waitcnt lgkmcnt(2)
	v_mul_f32_e32 v24, v86, v173
	v_fma_f32 v3, v84, v174, -v3
	v_fmac_f32_e32 v24, v87, v172
	v_add_f32_e32 v2, v2, v3
	v_mul_f32_e32 v3, v87, v173
	v_add_f32_e32 v23, v23, v24
	s_waitcnt vmcnt(26)
	v_mul_f32_e32 v24, v88, v176
	v_fma_f32 v3, v86, v172, -v3
	v_fmac_f32_e32 v24, v89, v175
	v_add_f32_e32 v2, v2, v3
	v_mul_f32_e32 v3, v89, v176
	v_add_f32_e32 v23, v23, v24
	s_waitcnt vmcnt(24) lgkmcnt(1)
	v_mul_f32_e32 v24, v90, v178
	v_fma_f32 v3, v88, v175, -v3
	v_fmac_f32_e32 v24, v91, v177
	v_add_f32_e32 v2, v2, v3
	v_mul_f32_e32 v3, v91, v178
	v_add_f32_e32 v23, v23, v24
	s_waitcnt vmcnt(23)
	v_mul_f32_e32 v24, v92, v179
	v_fma_f32 v3, v90, v177, -v3
	s_waitcnt vmcnt(20)
	v_fmac_f32_e32 v24, v93, v182
	ds_read_b128 v[98:101], v1 offset:944
	ds_read_b128 v[102:105], v1 offset:960
	v_add_f32_e32 v2, v2, v3
	v_mul_f32_e32 v3, v93, v179
	v_add_f32_e32 v23, v23, v24
	s_waitcnt lgkmcnt(2)
	v_mul_f32_e32 v24, v94, v181
	v_fma_f32 v3, v92, v182, -v3
	v_fmac_f32_e32 v24, v95, v180
	v_add_f32_e32 v2, v2, v3
	v_mul_f32_e32 v3, v95, v181
	v_add_f32_e32 v23, v23, v24
	s_waitcnt vmcnt(18)
	v_mul_f32_e32 v24, v96, v184
	v_fma_f32 v3, v94, v180, -v3
	v_fmac_f32_e32 v24, v97, v183
	v_add_f32_e32 v2, v2, v3
	v_mul_f32_e32 v3, v97, v184
	v_add_f32_e32 v23, v23, v24
	s_waitcnt vmcnt(16) lgkmcnt(1)
	v_mul_f32_e32 v24, v98, v186
	v_fma_f32 v3, v96, v183, -v3
	v_fmac_f32_e32 v24, v99, v185
	v_add_f32_e32 v2, v2, v3
	v_mul_f32_e32 v3, v99, v186
	v_add_f32_e32 v23, v23, v24
	s_waitcnt vmcnt(15)
	v_mul_f32_e32 v24, v100, v187
	v_fma_f32 v3, v98, v185, -v3
	s_waitcnt vmcnt(12)
	v_fmac_f32_e32 v24, v101, v190
	ds_read_b128 v[106:109], v1 offset:976
	ds_read_b128 v[110:113], v1 offset:992
	v_add_f32_e32 v2, v2, v3
	v_mul_f32_e32 v3, v101, v187
	v_add_f32_e32 v23, v23, v24
	s_waitcnt lgkmcnt(2)
	v_mul_f32_e32 v24, v102, v189
	v_fma_f32 v3, v100, v190, -v3
	v_fmac_f32_e32 v24, v103, v188
	v_add_f32_e32 v2, v2, v3
	v_mul_f32_e32 v3, v103, v189
	v_add_f32_e32 v23, v23, v24
	s_waitcnt vmcnt(10)
	v_mul_f32_e32 v24, v104, v192
	v_fma_f32 v3, v102, v188, -v3
	v_fmac_f32_e32 v24, v105, v191
	v_add_f32_e32 v2, v2, v3
	v_mul_f32_e32 v3, v105, v192
	v_add_f32_e32 v23, v23, v24
	s_waitcnt vmcnt(8) lgkmcnt(1)
	v_mul_f32_e32 v24, v106, v194
	v_fma_f32 v3, v104, v191, -v3
	v_fmac_f32_e32 v24, v107, v193
	v_add_f32_e32 v2, v2, v3
	v_mul_f32_e32 v3, v107, v194
	v_add_f32_e32 v23, v23, v24
	s_waitcnt vmcnt(7)
	v_mul_f32_e32 v24, v108, v195
	v_fma_f32 v3, v106, v193, -v3
	s_waitcnt vmcnt(4)
	v_fmac_f32_e32 v24, v109, v198
	v_add_f32_e32 v2, v2, v3
	v_mul_f32_e32 v3, v109, v195
	v_add_f32_e32 v203, v23, v24
	ds_read_b64 v[23:24], v1 offset:1008
	v_fma_f32 v3, v108, v198, -v3
	v_add_f32_e32 v2, v2, v3
	s_waitcnt lgkmcnt(1)
	v_mul_f32_e32 v3, v111, v197
	v_mul_f32_e32 v204, v110, v197
	v_fma_f32 v3, v110, v196, -v3
	v_fmac_f32_e32 v204, v111, v196
	v_add_f32_e32 v2, v2, v3
	s_waitcnt vmcnt(3)
	v_mul_f32_e32 v3, v113, v199
	v_add_f32_e32 v203, v203, v204
	v_mul_f32_e32 v204, v112, v199
	s_waitcnt vmcnt(0)
	v_fma_f32 v3, v112, v202, -v3
	v_fmac_f32_e32 v204, v113, v202
	v_add_f32_e32 v2, v2, v3
	s_waitcnt lgkmcnt(0)
	v_mul_f32_e32 v3, v24, v201
	v_add_f32_e32 v203, v203, v204
	v_mul_f32_e32 v204, v23, v201
	v_fma_f32 v3, v23, v200, -v3
	v_fmac_f32_e32 v204, v24, v200
	v_add_f32_e32 v2, v2, v3
	v_add_f32_e32 v203, v203, v204
	v_sub_f32_e32 v2, v9, v2
	v_sub_f32_e32 v3, v10, v203
	buffer_store_dword v2, off, s[0:3], 0 offset:104
	buffer_store_dword v3, off, s[0:3], 0 offset:108
	s_and_saveexec_b64 s[4:5], vcc
	s_cbranch_execz .LBB126_367
; %bb.366:
	buffer_load_dword v2, off, s[0:3], 0 offset:96
	buffer_load_dword v3, off, s[0:3], 0 offset:100
	s_waitcnt vmcnt(0)
	ds_write_b64 v25, v[2:3]
	buffer_store_dword v1, off, s[0:3], 0 offset:96
	buffer_store_dword v1, off, s[0:3], 0 offset:100
.LBB126_367:
	s_or_b64 exec, exec, s[4:5]
	s_waitcnt lgkmcnt(0)
	; wave barrier
	buffer_load_dword v8, off, s[0:3], 0 offset:108
	buffer_load_dword v7, off, s[0:3], 0 offset:116
	;; [unrolled: 1-line block ×40, first 2 shown]
	ds_read2_b64 v[16:19], v1 offset0:77 offset1:78
	ds_read2_b64 v[20:23], v1 offset0:79 offset1:80
	;; [unrolled: 1-line block ×7, first 2 shown]
	buffer_load_dword v145, off, s[0:3], 0 offset:256
	buffer_load_dword v146, off, s[0:3], 0 offset:260
	;; [unrolled: 1-line block ×11, first 2 shown]
	v_cmp_lt_u32_e32 vcc, 11, v0
	s_waitcnt vmcnt(50) lgkmcnt(6)
	v_mul_f32_e32 v46, v16, v8
	s_waitcnt vmcnt(49)
	v_mul_f32_e32 v47, v18, v7
	s_waitcnt vmcnt(48) lgkmcnt(5)
	v_mul_f32_e32 v48, v20, v6
	s_waitcnt vmcnt(47)
	v_mul_f32_e32 v49, v22, v5
	;; [unrolled: 4-line block ×6, first 2 shown]
	s_waitcnt vmcnt(38)
	v_fmac_f32_e32 v48, v21, v24
	s_waitcnt vmcnt(37)
	v_fmac_f32_e32 v47, v19, v118
	;; [unrolled: 2-line block ×3, first 2 shown]
	v_add_f32_e32 v46, 0, v46
	v_add_f32_e32 v46, v46, v47
	;; [unrolled: 1-line block ×3, first 2 shown]
	s_waitcnt vmcnt(32)
	v_fmac_f32_e32 v49, v23, v125
	v_fmac_f32_e32 v50, v27, v124
	v_add_f32_e32 v46, v46, v49
	v_fmac_f32_e32 v51, v29, v123
	v_add_f32_e32 v46, v46, v50
	;; [unrolled: 2-line block ×3, first 2 shown]
	s_waitcnt vmcnt(28)
	v_fmac_f32_e32 v53, v33, v129
	v_add_f32_e32 v46, v46, v52
	v_fmac_f32_e32 v54, v35, v128
	v_add_f32_e32 v46, v46, v53
	;; [unrolled: 2-line block ×4, first 2 shown]
	v_add_f32_e32 v46, v46, v56
	s_waitcnt vmcnt(24)
	v_fmac_f32_e32 v57, v41, v133
	v_add_f32_e32 v50, v46, v57
	ds_read2_b64 v[46:49], v1 offset0:91 offset1:92
	s_waitcnt vmcnt(23) lgkmcnt(1)
	v_mul_f32_e32 v51, v42, v134
	v_fmac_f32_e32 v51, v43, v132
	v_add_f32_e32 v50, v50, v51
	s_waitcnt vmcnt(22)
	v_mul_f32_e32 v51, v44, v135
	v_fmac_f32_e32 v51, v45, v131
	v_add_f32_e32 v50, v50, v51
	s_waitcnt vmcnt(21) lgkmcnt(0)
	v_mul_f32_e32 v51, v46, v136
	buffer_load_dword v156, off, s[0:3], 0 offset:296
	buffer_load_dword v157, off, s[0:3], 0 offset:304
	;; [unrolled: 1-line block ×3, first 2 shown]
	v_fmac_f32_e32 v51, v47, v130
	v_add_f32_e32 v54, v50, v51
	ds_read2_b64 v[50:53], v1 offset0:93 offset1:94
	buffer_load_dword v159, off, s[0:3], 0 offset:312
	buffer_load_dword v160, off, s[0:3], 0 offset:316
	s_waitcnt vmcnt(25)
	v_mul_f32_e32 v55, v48, v137
	s_waitcnt vmcnt(19)
	v_fmac_f32_e32 v55, v49, v143
	v_add_f32_e32 v58, v54, v55
	ds_read2_b64 v[54:57], v1 offset0:95 offset1:96
	buffer_load_dword v161, off, s[0:3], 0 offset:320
	buffer_load_dword v162, off, s[0:3], 0 offset:324
	;; [unrolled: 1-line block ×8, first 2 shown]
	s_waitcnt vmcnt(26) lgkmcnt(1)
	v_mul_f32_e32 v59, v50, v144
	buffer_load_dword v169, off, s[0:3], 0 offset:352
	buffer_load_dword v170, off, s[0:3], 0 offset:356
	v_fmac_f32_e32 v59, v51, v142
	v_add_f32_e32 v58, v58, v59
	v_mul_f32_e32 v59, v52, v139
	v_fmac_f32_e32 v59, v53, v138
	v_add_f32_e32 v58, v58, v59
	s_waitcnt lgkmcnt(0)
	v_mul_f32_e32 v59, v54, v141
	v_fmac_f32_e32 v59, v55, v140
	v_add_f32_e32 v62, v58, v59
	ds_read2_b64 v[58:61], v1 offset0:97 offset1:98
	buffer_load_dword v171, off, s[0:3], 0 offset:360
	buffer_load_dword v172, off, s[0:3], 0 offset:364
	;; [unrolled: 1-line block ×6, first 2 shown]
	s_waitcnt vmcnt(30)
	v_mul_f32_e32 v63, v56, v146
	v_fmac_f32_e32 v63, v57, v145
	v_add_f32_e32 v66, v62, v63
	ds_read2_b64 v[62:65], v1 offset0:99 offset1:100
	buffer_load_dword v177, off, s[0:3], 0 offset:384
	buffer_load_dword v178, off, s[0:3], 0 offset:388
	;; [unrolled: 1-line block ×10, first 2 shown]
	s_waitcnt vmcnt(38) lgkmcnt(1)
	v_mul_f32_e32 v67, v58, v148
	buffer_load_dword v187, off, s[0:3], 0 offset:424
	buffer_load_dword v188, off, s[0:3], 0 offset:428
	;; [unrolled: 1-line block ×6, first 2 shown]
	v_fmac_f32_e32 v67, v59, v147
	v_add_f32_e32 v66, v66, v67
	s_waitcnt vmcnt(42)
	v_mul_f32_e32 v67, v60, v150
	v_fmac_f32_e32 v67, v61, v149
	v_add_f32_e32 v66, v66, v67
	s_waitcnt vmcnt(40) lgkmcnt(0)
	v_mul_f32_e32 v67, v62, v152
	v_fmac_f32_e32 v67, v63, v151
	v_add_f32_e32 v70, v66, v67
	ds_read2_b64 v[66:69], v1 offset0:101 offset1:102
	buffer_load_dword v193, off, s[0:3], 0 offset:448
	buffer_load_dword v194, off, s[0:3], 0 offset:452
	v_mul_f32_e32 v8, v17, v8
	v_fma_f32 v8, v16, v119, -v8
	v_mul_f32_e32 v7, v19, v7
	s_waitcnt vmcnt(40)
	v_mul_f32_e32 v71, v64, v154
	v_add_f32_e32 v8, 0, v8
	v_fma_f32 v7, v18, v118, -v7
	v_mul_f32_e32 v6, v21, v6
	v_fmac_f32_e32 v71, v65, v153
	v_add_f32_e32 v7, v8, v7
	v_fma_f32 v6, v20, v24, -v6
	v_mul_f32_e32 v5, v23, v5
	v_add_f32_e32 v74, v70, v71
	ds_read2_b64 v[70:73], v1 offset0:103 offset1:104
	buffer_load_dword v195, off, s[0:3], 0 offset:456
	buffer_load_dword v196, off, s[0:3], 0 offset:460
	;; [unrolled: 1-line block ×6, first 2 shown]
	v_add_f32_e32 v6, v7, v6
	v_fma_f32 v5, v22, v125, -v5
	v_mul_f32_e32 v4, v27, v4
	v_add_f32_e32 v5, v6, v5
	v_fma_f32 v4, v26, v124, -v4
	v_mul_f32_e32 v3, v29, v3
	;; [unrolled: 3-line block ×3, first 2 shown]
	v_add_f32_e32 v3, v4, v3
	v_fma_f32 v2, v30, v122, -v2
	v_add_f32_e32 v2, v3, v2
	v_mul_f32_e32 v3, v33, v11
	v_fma_f32 v3, v32, v129, -v3
	v_add_f32_e32 v2, v2, v3
	v_mul_f32_e32 v3, v35, v12
	buffer_load_dword v201, off, s[0:3], 0 offset:480
	buffer_load_dword v202, off, s[0:3], 0 offset:484
	;; [unrolled: 1-line block ×6, first 2 shown]
	v_fma_f32 v3, v34, v128, -v3
	v_add_f32_e32 v2, v2, v3
	v_mul_f32_e32 v3, v37, v13
	v_fma_f32 v3, v36, v127, -v3
	v_add_f32_e32 v2, v2, v3
	v_mul_f32_e32 v3, v39, v14
	;; [unrolled: 3-line block ×7, first 2 shown]
	v_fma_f32 v3, v48, v143, -v3
	s_waitcnt vmcnt(51) lgkmcnt(1)
	v_mul_f32_e32 v75, v66, v155
	v_add_f32_e32 v2, v2, v3
	v_mul_f32_e32 v3, v51, v144
	s_waitcnt vmcnt(50)
	v_fmac_f32_e32 v75, v67, v156
	v_fma_f32 v3, v50, v142, -v3
	v_add_f32_e32 v74, v74, v75
	s_waitcnt vmcnt(48)
	v_mul_f32_e32 v75, v68, v158
	v_add_f32_e32 v2, v2, v3
	v_mul_f32_e32 v3, v53, v139
	v_fmac_f32_e32 v75, v69, v157
	v_fma_f32 v3, v52, v138, -v3
	v_add_f32_e32 v74, v74, v75
	s_waitcnt vmcnt(46) lgkmcnt(0)
	v_mul_f32_e32 v75, v70, v160
	v_add_f32_e32 v2, v2, v3
	v_mul_f32_e32 v3, v55, v141
	v_fmac_f32_e32 v75, v71, v159
	v_fma_f32 v3, v54, v140, -v3
	v_add_f32_e32 v78, v74, v75
	ds_read2_b64 v[74:77], v1 offset0:105 offset1:106
	v_add_f32_e32 v2, v2, v3
	v_mul_f32_e32 v3, v57, v146
	v_fma_f32 v3, v56, v145, -v3
	s_waitcnt vmcnt(44)
	v_mul_f32_e32 v79, v72, v162
	v_add_f32_e32 v2, v2, v3
	v_mul_f32_e32 v3, v59, v148
	v_fmac_f32_e32 v79, v73, v161
	v_fma_f32 v3, v58, v147, -v3
	v_add_f32_e32 v82, v78, v79
	ds_read2_b64 v[78:81], v1 offset0:107 offset1:108
	v_add_f32_e32 v2, v2, v3
	v_mul_f32_e32 v3, v61, v150
	s_waitcnt vmcnt(42) lgkmcnt(1)
	v_mul_f32_e32 v83, v74, v164
	v_fma_f32 v3, v60, v149, -v3
	v_fmac_f32_e32 v83, v75, v163
	v_add_f32_e32 v2, v2, v3
	v_mul_f32_e32 v3, v63, v152
	v_add_f32_e32 v82, v82, v83
	s_waitcnt vmcnt(41)
	v_mul_f32_e32 v83, v76, v165
	v_fma_f32 v3, v62, v151, -v3
	s_waitcnt vmcnt(38)
	v_fmac_f32_e32 v83, v77, v168
	v_add_f32_e32 v2, v2, v3
	v_mul_f32_e32 v3, v65, v154
	v_add_f32_e32 v82, v82, v83
	s_waitcnt lgkmcnt(0)
	v_mul_f32_e32 v83, v78, v167
	v_fma_f32 v3, v64, v153, -v3
	v_fmac_f32_e32 v83, v79, v166
	v_add_f32_e32 v2, v2, v3
	v_mul_f32_e32 v3, v67, v155
	v_add_f32_e32 v86, v82, v83
	ds_read2_b64 v[82:85], v1 offset0:109 offset1:110
	v_fma_f32 v3, v66, v156, -v3
	v_add_f32_e32 v2, v2, v3
	v_mul_f32_e32 v3, v69, v158
	s_waitcnt vmcnt(36)
	v_mul_f32_e32 v87, v80, v170
	v_fma_f32 v3, v68, v157, -v3
	v_fmac_f32_e32 v87, v81, v169
	v_add_f32_e32 v2, v2, v3
	v_mul_f32_e32 v3, v71, v160
	v_add_f32_e32 v90, v86, v87
	ds_read2_b64 v[86:89], v1 offset0:111 offset1:112
	v_fma_f32 v3, v70, v159, -v3
	s_waitcnt vmcnt(34) lgkmcnt(1)
	v_mul_f32_e32 v91, v82, v172
	v_add_f32_e32 v2, v2, v3
	v_mul_f32_e32 v3, v73, v162
	v_fmac_f32_e32 v91, v83, v171
	v_fma_f32 v3, v72, v161, -v3
	v_add_f32_e32 v90, v90, v91
	s_waitcnt vmcnt(33)
	v_mul_f32_e32 v91, v84, v173
	v_add_f32_e32 v2, v2, v3
	v_mul_f32_e32 v3, v75, v164
	s_waitcnt vmcnt(30)
	v_fmac_f32_e32 v91, v85, v176
	v_fma_f32 v3, v74, v163, -v3
	v_add_f32_e32 v90, v90, v91
	s_waitcnt lgkmcnt(0)
	v_mul_f32_e32 v91, v86, v175
	v_add_f32_e32 v2, v2, v3
	v_mul_f32_e32 v3, v77, v165
	v_fmac_f32_e32 v91, v87, v174
	v_fma_f32 v3, v76, v168, -v3
	v_add_f32_e32 v94, v90, v91
	ds_read2_b64 v[90:93], v1 offset0:113 offset1:114
	v_add_f32_e32 v2, v2, v3
	v_mul_f32_e32 v3, v79, v167
	v_fma_f32 v3, v78, v166, -v3
	s_waitcnt vmcnt(28)
	v_mul_f32_e32 v95, v88, v178
	v_add_f32_e32 v2, v2, v3
	v_mul_f32_e32 v3, v81, v170
	v_fmac_f32_e32 v95, v89, v177
	v_fma_f32 v3, v80, v169, -v3
	v_add_f32_e32 v98, v94, v95
	ds_read2_b64 v[94:97], v1 offset0:115 offset1:116
	v_add_f32_e32 v2, v2, v3
	v_mul_f32_e32 v3, v83, v172
	s_waitcnt vmcnt(26) lgkmcnt(1)
	v_mul_f32_e32 v99, v90, v180
	v_fma_f32 v3, v82, v171, -v3
	v_fmac_f32_e32 v99, v91, v179
	v_add_f32_e32 v2, v2, v3
	v_mul_f32_e32 v3, v85, v173
	v_add_f32_e32 v98, v98, v99
	s_waitcnt vmcnt(25)
	v_mul_f32_e32 v99, v92, v181
	v_fma_f32 v3, v84, v176, -v3
	s_waitcnt vmcnt(22)
	v_fmac_f32_e32 v99, v93, v184
	v_add_f32_e32 v2, v2, v3
	v_mul_f32_e32 v3, v87, v175
	v_add_f32_e32 v98, v98, v99
	s_waitcnt lgkmcnt(0)
	v_mul_f32_e32 v99, v94, v183
	v_fma_f32 v3, v86, v174, -v3
	v_fmac_f32_e32 v99, v95, v182
	v_add_f32_e32 v2, v2, v3
	v_mul_f32_e32 v3, v89, v178
	v_add_f32_e32 v102, v98, v99
	ds_read2_b64 v[98:101], v1 offset0:117 offset1:118
	v_fma_f32 v3, v88, v177, -v3
	v_add_f32_e32 v2, v2, v3
	v_mul_f32_e32 v3, v91, v180
	s_waitcnt vmcnt(20)
	v_mul_f32_e32 v103, v96, v186
	v_fma_f32 v3, v90, v179, -v3
	v_fmac_f32_e32 v103, v97, v185
	v_add_f32_e32 v2, v2, v3
	v_mul_f32_e32 v3, v93, v181
	v_add_f32_e32 v106, v102, v103
	ds_read2_b64 v[102:105], v1 offset0:119 offset1:120
	v_fma_f32 v3, v92, v184, -v3
	s_waitcnt vmcnt(18) lgkmcnt(1)
	v_mul_f32_e32 v107, v98, v188
	v_add_f32_e32 v2, v2, v3
	v_mul_f32_e32 v3, v95, v183
	v_fmac_f32_e32 v107, v99, v187
	v_fma_f32 v3, v94, v182, -v3
	v_add_f32_e32 v106, v106, v107
	s_waitcnt vmcnt(17)
	v_mul_f32_e32 v107, v100, v189
	v_add_f32_e32 v2, v2, v3
	v_mul_f32_e32 v3, v97, v186
	s_waitcnt vmcnt(14)
	v_fmac_f32_e32 v107, v101, v192
	v_fma_f32 v3, v96, v185, -v3
	v_add_f32_e32 v106, v106, v107
	s_waitcnt lgkmcnt(0)
	v_mul_f32_e32 v107, v102, v191
	v_add_f32_e32 v2, v2, v3
	v_mul_f32_e32 v3, v99, v188
	v_fmac_f32_e32 v107, v103, v190
	v_fma_f32 v3, v98, v187, -v3
	v_add_f32_e32 v110, v106, v107
	ds_read2_b64 v[106:109], v1 offset0:121 offset1:122
	v_add_f32_e32 v2, v2, v3
	v_mul_f32_e32 v3, v101, v189
	v_fma_f32 v3, v100, v192, -v3
	v_add_f32_e32 v2, v2, v3
	v_mul_f32_e32 v3, v103, v191
	s_waitcnt vmcnt(12)
	v_mul_f32_e32 v111, v104, v194
	v_fma_f32 v3, v102, v190, -v3
	v_fmac_f32_e32 v111, v105, v193
	v_add_f32_e32 v2, v2, v3
	v_mul_f32_e32 v3, v105, v194
	v_add_f32_e32 v114, v110, v111
	ds_read2_b64 v[110:113], v1 offset0:123 offset1:124
	s_waitcnt vmcnt(10) lgkmcnt(1)
	v_mul_f32_e32 v115, v106, v196
	v_fma_f32 v3, v104, v193, -v3
	v_fmac_f32_e32 v115, v107, v195
	v_add_f32_e32 v2, v2, v3
	v_mul_f32_e32 v3, v107, v196
	v_add_f32_e32 v114, v114, v115
	s_waitcnt vmcnt(9)
	v_mul_f32_e32 v115, v108, v197
	v_fma_f32 v3, v106, v195, -v3
	s_waitcnt vmcnt(6)
	v_fmac_f32_e32 v115, v109, v200
	v_add_f32_e32 v2, v2, v3
	v_mul_f32_e32 v3, v109, v197
	v_add_f32_e32 v207, v114, v115
	ds_read2_b64 v[114:117], v1 offset0:125 offset1:126
	v_fma_f32 v3, v108, v200, -v3
	v_add_f32_e32 v2, v2, v3
	s_waitcnt lgkmcnt(1)
	v_mul_f32_e32 v3, v111, v199
	v_mul_f32_e32 v208, v110, v199
	v_fma_f32 v3, v110, v198, -v3
	v_fmac_f32_e32 v208, v111, v198
	v_add_f32_e32 v2, v2, v3
	s_waitcnt vmcnt(4)
	v_mul_f32_e32 v3, v113, v202
	v_add_f32_e32 v1, v207, v208
	v_mul_f32_e32 v207, v112, v202
	v_fma_f32 v3, v112, v201, -v3
	v_fmac_f32_e32 v207, v113, v201
	v_add_f32_e32 v2, v2, v3
	s_waitcnt vmcnt(3) lgkmcnt(0)
	v_mul_f32_e32 v3, v115, v203
	v_add_f32_e32 v1, v1, v207
	v_mul_f32_e32 v207, v114, v203
	s_waitcnt vmcnt(0)
	v_fma_f32 v3, v114, v206, -v3
	v_fmac_f32_e32 v207, v115, v206
	v_add_f32_e32 v2, v2, v3
	v_mul_f32_e32 v3, v117, v205
	v_add_f32_e32 v1, v1, v207
	v_mul_f32_e32 v207, v116, v205
	v_fma_f32 v3, v116, v204, -v3
	v_fmac_f32_e32 v207, v117, v204
	v_add_f32_e32 v2, v2, v3
	v_add_f32_e32 v1, v1, v207
	v_sub_f32_e32 v2, v9, v2
	v_sub_f32_e32 v1, v10, v1
	buffer_store_dword v2, off, s[0:3], 0 offset:96
	buffer_store_dword v1, off, s[0:3], 0 offset:100
	s_and_saveexec_b64 s[4:5], vcc
	s_cbranch_execz .LBB126_369
; %bb.368:
	buffer_load_dword v1, off, s[0:3], 0 offset:88
	buffer_load_dword v2, off, s[0:3], 0 offset:92
	v_mov_b32_e32 v3, 0
	buffer_store_dword v3, off, s[0:3], 0 offset:88
	buffer_store_dword v3, off, s[0:3], 0 offset:92
	s_waitcnt vmcnt(2)
	ds_write_b64 v25, v[1:2]
.LBB126_369:
	s_or_b64 exec, exec, s[4:5]
	s_waitcnt lgkmcnt(0)
	; wave barrier
	buffer_load_dword v10, off, s[0:3], 0 offset:100
	buffer_load_dword v9, off, s[0:3], 0 offset:108
	;; [unrolled: 1-line block ×50, first 2 shown]
	v_mov_b32_e32 v1, 0
	ds_read_b128 v[17:20], v1 offset:608
	ds_read_b128 v[21:24], v1 offset:624
	;; [unrolled: 1-line block ×6, first 2 shown]
	v_cmp_lt_u32_e32 vcc, 10, v0
	s_waitcnt vmcnt(49) lgkmcnt(5)
	v_mul_f32_e32 v42, v17, v10
	s_waitcnt vmcnt(48)
	v_mul_f32_e32 v43, v19, v9
	s_waitcnt vmcnt(47) lgkmcnt(4)
	v_mul_f32_e32 v44, v21, v6
	s_waitcnt vmcnt(46)
	v_mul_f32_e32 v45, v23, v5
	;; [unrolled: 4-line block ×6, first 2 shown]
	s_waitcnt vmcnt(37)
	v_fmac_f32_e32 v44, v22, v122
	s_waitcnt vmcnt(36)
	v_fmac_f32_e32 v43, v20, v123
	;; [unrolled: 2-line block ×3, first 2 shown]
	v_add_f32_e32 v42, 0, v42
	v_add_f32_e32 v42, v42, v43
	v_add_f32_e32 v42, v42, v44
	s_waitcnt vmcnt(31)
	v_fmac_f32_e32 v45, v24, v128
	v_fmac_f32_e32 v46, v27, v127
	v_add_f32_e32 v42, v42, v45
	v_fmac_f32_e32 v47, v29, v126
	v_add_f32_e32 v42, v42, v46
	v_fmac_f32_e32 v48, v31, v125
	v_add_f32_e32 v42, v42, v47
	s_waitcnt vmcnt(27)
	v_fmac_f32_e32 v49, v33, v131
	v_add_f32_e32 v42, v42, v48
	v_fmac_f32_e32 v50, v35, v130
	v_add_f32_e32 v42, v42, v49
	;; [unrolled: 2-line block ×4, first 2 shown]
	v_add_f32_e32 v46, v42, v52
	ds_read_b128 v[42:45], v1 offset:704
	s_waitcnt vmcnt(23)
	v_fmac_f32_e32 v53, v41, v135
	v_add_f32_e32 v50, v46, v53
	buffer_load_dword v157, off, s[0:3], 0 offset:288
	buffer_load_dword v158, off, s[0:3], 0 offset:292
	ds_read_b128 v[46:49], v1 offset:720
	s_waitcnt vmcnt(24) lgkmcnt(1)
	v_mul_f32_e32 v51, v42, v136
	v_fmac_f32_e32 v51, v43, v134
	v_add_f32_e32 v50, v50, v51
	s_waitcnt vmcnt(23)
	v_mul_f32_e32 v51, v44, v137
	v_fmac_f32_e32 v51, v45, v133
	buffer_load_dword v159, off, s[0:3], 0 offset:300
	buffer_load_dword v160, off, s[0:3], 0 offset:296
	buffer_load_dword v161, off, s[0:3], 0 offset:304
	buffer_load_dword v162, off, s[0:3], 0 offset:308
	v_add_f32_e32 v50, v50, v51
	s_waitcnt vmcnt(26) lgkmcnt(0)
	v_mul_f32_e32 v51, v46, v138
	v_fmac_f32_e32 v51, v47, v132
	s_waitcnt vmcnt(25)
	v_mul_f32_e32 v55, v48, v139
	v_add_f32_e32 v54, v50, v51
	s_waitcnt vmcnt(18)
	v_fmac_f32_e32 v55, v49, v146
	ds_read_b128 v[50:53], v1 offset:736
	v_add_f32_e32 v58, v54, v55
	ds_read_b128 v[54:57], v1 offset:752
	buffer_load_dword v163, off, s[0:3], 0 offset:312
	buffer_load_dword v164, off, s[0:3], 0 offset:316
	;; [unrolled: 1-line block ×8, first 2 shown]
	s_waitcnt lgkmcnt(1)
	v_mul_f32_e32 v59, v50, v141
	buffer_load_dword v171, off, s[0:3], 0 offset:344
	buffer_load_dword v172, off, s[0:3], 0 offset:348
	v_fmac_f32_e32 v59, v51, v140
	v_add_f32_e32 v58, v58, v59
	v_mul_f32_e32 v59, v52, v143
	v_fmac_f32_e32 v59, v53, v142
	v_add_f32_e32 v58, v58, v59
	s_waitcnt lgkmcnt(0)
	v_mul_f32_e32 v59, v54, v145
	v_fmac_f32_e32 v59, v55, v144
	v_add_f32_e32 v62, v58, v59
	ds_read_b128 v[58:61], v1 offset:768
	buffer_load_dword v173, off, s[0:3], 0 offset:352
	buffer_load_dword v174, off, s[0:3], 0 offset:356
	;; [unrolled: 1-line block ×6, first 2 shown]
	s_waitcnt vmcnt(30)
	v_mul_f32_e32 v63, v56, v148
	v_fmac_f32_e32 v63, v57, v147
	v_add_f32_e32 v66, v62, v63
	ds_read_b128 v[62:65], v1 offset:784
	buffer_load_dword v179, off, s[0:3], 0 offset:376
	buffer_load_dword v180, off, s[0:3], 0 offset:380
	;; [unrolled: 1-line block ×8, first 2 shown]
	s_waitcnt vmcnt(36) lgkmcnt(1)
	v_mul_f32_e32 v67, v58, v150
	buffer_load_dword v187, off, s[0:3], 0 offset:408
	buffer_load_dword v188, off, s[0:3], 0 offset:412
	v_fmac_f32_e32 v67, v59, v149
	v_add_f32_e32 v66, v66, v67
	s_waitcnt vmcnt(36)
	v_mul_f32_e32 v67, v60, v152
	v_fmac_f32_e32 v67, v61, v151
	v_add_f32_e32 v66, v66, v67
	s_waitcnt vmcnt(34) lgkmcnt(0)
	v_mul_f32_e32 v67, v62, v154
	v_fmac_f32_e32 v67, v63, v153
	v_add_f32_e32 v70, v66, v67
	ds_read_b128 v[66:69], v1 offset:800
	buffer_load_dword v189, off, s[0:3], 0 offset:416
	buffer_load_dword v190, off, s[0:3], 0 offset:420
	;; [unrolled: 1-line block ×6, first 2 shown]
	s_waitcnt vmcnt(38)
	v_mul_f32_e32 v71, v64, v156
	v_fmac_f32_e32 v71, v65, v155
	v_add_f32_e32 v74, v70, v71
	ds_read_b128 v[70:73], v1 offset:816
	buffer_load_dword v195, off, s[0:3], 0 offset:440
	buffer_load_dword v196, off, s[0:3], 0 offset:444
	v_mul_f32_e32 v10, v18, v10
	v_fma_f32 v10, v17, v124, -v10
	v_mul_f32_e32 v9, v20, v9
	buffer_load_dword v197, off, s[0:3], 0 offset:448
	buffer_load_dword v198, off, s[0:3], 0 offset:452
	;; [unrolled: 1-line block ×6, first 2 shown]
	v_add_f32_e32 v10, 0, v10
	v_fma_f32 v9, v19, v123, -v9
	v_mul_f32_e32 v6, v22, v6
	v_add_f32_e32 v9, v10, v9
	v_fma_f32 v6, v21, v122, -v6
	v_mul_f32_e32 v5, v24, v5
	;; [unrolled: 3-line block ×5, first 2 shown]
	buffer_load_dword v203, off, s[0:3], 0 offset:472
	buffer_load_dword v204, off, s[0:3], 0 offset:476
	v_add_f32_e32 v3, v4, v3
	v_fma_f32 v2, v30, v125, -v2
	v_add_f32_e32 v2, v3, v2
	v_mul_f32_e32 v3, v33, v11
	v_fma_f32 v3, v32, v131, -v3
	v_add_f32_e32 v2, v2, v3
	v_mul_f32_e32 v3, v35, v12
	;; [unrolled: 3-line block ×3, first 2 shown]
	buffer_load_dword v205, off, s[0:3], 0 offset:480
	buffer_load_dword v206, off, s[0:3], 0 offset:484
	;; [unrolled: 1-line block ×6, first 2 shown]
	v_fma_f32 v3, v36, v129, -v3
	v_add_f32_e32 v2, v2, v3
	v_mul_f32_e32 v3, v39, v14
	v_fma_f32 v3, v38, v16, -v3
	v_add_f32_e32 v2, v2, v3
	v_mul_f32_e32 v3, v41, v15
	v_fma_f32 v3, v40, v135, -v3
	v_add_f32_e32 v2, v2, v3
	v_mul_f32_e32 v3, v43, v136
	v_fma_f32 v3, v42, v134, -v3
	v_add_f32_e32 v2, v2, v3
	v_mul_f32_e32 v3, v45, v137
	v_fma_f32 v3, v44, v133, -v3
	v_add_f32_e32 v2, v2, v3
	v_mul_f32_e32 v3, v47, v138
	v_fma_f32 v3, v46, v132, -v3
	s_waitcnt vmcnt(52) lgkmcnt(1)
	v_mul_f32_e32 v75, v66, v158
	v_add_f32_e32 v2, v2, v3
	v_mul_f32_e32 v3, v49, v139
	v_fmac_f32_e32 v75, v67, v157
	v_fma_f32 v3, v48, v146, -v3
	v_add_f32_e32 v74, v74, v75
	s_waitcnt vmcnt(51)
	v_mul_f32_e32 v75, v68, v159
	v_add_f32_e32 v2, v2, v3
	v_mul_f32_e32 v3, v51, v141
	s_waitcnt vmcnt(50)
	v_fmac_f32_e32 v75, v69, v160
	v_fma_f32 v3, v50, v140, -v3
	v_add_f32_e32 v74, v74, v75
	s_waitcnt vmcnt(48) lgkmcnt(0)
	v_mul_f32_e32 v75, v70, v162
	v_add_f32_e32 v2, v2, v3
	v_mul_f32_e32 v3, v53, v143
	v_fmac_f32_e32 v75, v71, v161
	v_fma_f32 v3, v52, v142, -v3
	v_add_f32_e32 v78, v74, v75
	ds_read_b128 v[74:77], v1 offset:832
	v_add_f32_e32 v2, v2, v3
	v_mul_f32_e32 v3, v55, v145
	v_fma_f32 v3, v54, v144, -v3
	s_waitcnt vmcnt(46)
	v_mul_f32_e32 v79, v72, v164
	v_add_f32_e32 v2, v2, v3
	v_mul_f32_e32 v3, v57, v148
	v_fmac_f32_e32 v79, v73, v163
	v_fma_f32 v3, v56, v147, -v3
	v_add_f32_e32 v82, v78, v79
	ds_read_b128 v[78:81], v1 offset:848
	v_add_f32_e32 v2, v2, v3
	v_mul_f32_e32 v3, v59, v150
	s_waitcnt vmcnt(44) lgkmcnt(1)
	v_mul_f32_e32 v83, v74, v166
	v_fma_f32 v3, v58, v149, -v3
	v_fmac_f32_e32 v83, v75, v165
	v_add_f32_e32 v2, v2, v3
	v_mul_f32_e32 v3, v61, v152
	v_add_f32_e32 v82, v82, v83
	s_waitcnt vmcnt(43)
	v_mul_f32_e32 v83, v76, v167
	v_fma_f32 v3, v60, v151, -v3
	s_waitcnt vmcnt(40)
	v_fmac_f32_e32 v83, v77, v170
	v_add_f32_e32 v2, v2, v3
	v_mul_f32_e32 v3, v63, v154
	v_add_f32_e32 v82, v82, v83
	s_waitcnt lgkmcnt(0)
	v_mul_f32_e32 v83, v78, v169
	v_fma_f32 v3, v62, v153, -v3
	v_fmac_f32_e32 v83, v79, v168
	v_add_f32_e32 v2, v2, v3
	v_mul_f32_e32 v3, v65, v156
	v_add_f32_e32 v86, v82, v83
	ds_read_b128 v[82:85], v1 offset:864
	v_fma_f32 v3, v64, v155, -v3
	v_add_f32_e32 v2, v2, v3
	v_mul_f32_e32 v3, v67, v158
	s_waitcnt vmcnt(38)
	v_mul_f32_e32 v87, v80, v172
	v_fma_f32 v3, v66, v157, -v3
	v_fmac_f32_e32 v87, v81, v171
	v_add_f32_e32 v2, v2, v3
	v_mul_f32_e32 v3, v69, v159
	v_add_f32_e32 v90, v86, v87
	ds_read_b128 v[86:89], v1 offset:880
	v_fma_f32 v3, v68, v160, -v3
	s_waitcnt vmcnt(36) lgkmcnt(1)
	v_mul_f32_e32 v91, v82, v174
	v_add_f32_e32 v2, v2, v3
	v_mul_f32_e32 v3, v71, v162
	v_fmac_f32_e32 v91, v83, v173
	v_fma_f32 v3, v70, v161, -v3
	v_add_f32_e32 v90, v90, v91
	s_waitcnt vmcnt(35)
	v_mul_f32_e32 v91, v84, v175
	v_add_f32_e32 v2, v2, v3
	v_mul_f32_e32 v3, v73, v164
	s_waitcnt vmcnt(32)
	v_fmac_f32_e32 v91, v85, v178
	v_fma_f32 v3, v72, v163, -v3
	v_add_f32_e32 v90, v90, v91
	s_waitcnt lgkmcnt(0)
	v_mul_f32_e32 v91, v86, v177
	v_add_f32_e32 v2, v2, v3
	v_mul_f32_e32 v3, v75, v166
	v_fmac_f32_e32 v91, v87, v176
	v_fma_f32 v3, v74, v165, -v3
	v_add_f32_e32 v94, v90, v91
	ds_read_b128 v[90:93], v1 offset:896
	v_add_f32_e32 v2, v2, v3
	v_mul_f32_e32 v3, v77, v167
	v_fma_f32 v3, v76, v170, -v3
	s_waitcnt vmcnt(30)
	v_mul_f32_e32 v95, v88, v180
	v_add_f32_e32 v2, v2, v3
	v_mul_f32_e32 v3, v79, v169
	v_fmac_f32_e32 v95, v89, v179
	v_fma_f32 v3, v78, v168, -v3
	v_add_f32_e32 v98, v94, v95
	ds_read_b128 v[94:97], v1 offset:912
	v_add_f32_e32 v2, v2, v3
	v_mul_f32_e32 v3, v81, v172
	s_waitcnt vmcnt(28) lgkmcnt(1)
	v_mul_f32_e32 v99, v90, v182
	v_fma_f32 v3, v80, v171, -v3
	v_fmac_f32_e32 v99, v91, v181
	v_add_f32_e32 v2, v2, v3
	v_mul_f32_e32 v3, v83, v174
	v_add_f32_e32 v98, v98, v99
	s_waitcnt vmcnt(27)
	v_mul_f32_e32 v99, v92, v183
	v_fma_f32 v3, v82, v173, -v3
	s_waitcnt vmcnt(24)
	v_fmac_f32_e32 v99, v93, v186
	v_add_f32_e32 v2, v2, v3
	v_mul_f32_e32 v3, v85, v175
	v_add_f32_e32 v98, v98, v99
	s_waitcnt lgkmcnt(0)
	v_mul_f32_e32 v99, v94, v185
	v_fma_f32 v3, v84, v178, -v3
	v_fmac_f32_e32 v99, v95, v184
	v_add_f32_e32 v2, v2, v3
	v_mul_f32_e32 v3, v87, v177
	v_add_f32_e32 v102, v98, v99
	ds_read_b128 v[98:101], v1 offset:928
	v_fma_f32 v3, v86, v176, -v3
	v_add_f32_e32 v2, v2, v3
	v_mul_f32_e32 v3, v89, v180
	s_waitcnt vmcnt(22)
	v_mul_f32_e32 v103, v96, v188
	v_fma_f32 v3, v88, v179, -v3
	v_fmac_f32_e32 v103, v97, v187
	v_add_f32_e32 v2, v2, v3
	v_mul_f32_e32 v3, v91, v182
	v_add_f32_e32 v106, v102, v103
	ds_read_b128 v[102:105], v1 offset:944
	v_fma_f32 v3, v90, v181, -v3
	s_waitcnt vmcnt(20) lgkmcnt(1)
	v_mul_f32_e32 v107, v98, v190
	v_add_f32_e32 v2, v2, v3
	v_mul_f32_e32 v3, v93, v183
	v_fmac_f32_e32 v107, v99, v189
	v_fma_f32 v3, v92, v186, -v3
	v_add_f32_e32 v106, v106, v107
	s_waitcnt vmcnt(19)
	v_mul_f32_e32 v107, v100, v191
	v_add_f32_e32 v2, v2, v3
	v_mul_f32_e32 v3, v95, v185
	s_waitcnt vmcnt(16)
	v_fmac_f32_e32 v107, v101, v194
	v_fma_f32 v3, v94, v184, -v3
	v_add_f32_e32 v106, v106, v107
	s_waitcnt lgkmcnt(0)
	v_mul_f32_e32 v107, v102, v193
	v_add_f32_e32 v2, v2, v3
	v_mul_f32_e32 v3, v97, v188
	v_fmac_f32_e32 v107, v103, v192
	v_fma_f32 v3, v96, v187, -v3
	v_add_f32_e32 v110, v106, v107
	ds_read_b128 v[106:109], v1 offset:960
	v_add_f32_e32 v2, v2, v3
	v_mul_f32_e32 v3, v99, v190
	v_fma_f32 v3, v98, v189, -v3
	s_waitcnt vmcnt(14)
	v_mul_f32_e32 v111, v104, v196
	v_add_f32_e32 v2, v2, v3
	v_mul_f32_e32 v3, v101, v191
	v_fmac_f32_e32 v111, v105, v195
	v_fma_f32 v3, v100, v194, -v3
	v_add_f32_e32 v114, v110, v111
	ds_read_b128 v[110:113], v1 offset:976
	v_add_f32_e32 v2, v2, v3
	v_mul_f32_e32 v3, v103, v193
	s_waitcnt vmcnt(12) lgkmcnt(1)
	v_mul_f32_e32 v115, v106, v198
	v_fma_f32 v3, v102, v192, -v3
	v_fmac_f32_e32 v115, v107, v197
	v_add_f32_e32 v2, v2, v3
	v_mul_f32_e32 v3, v105, v196
	v_add_f32_e32 v114, v114, v115
	s_waitcnt vmcnt(11)
	v_mul_f32_e32 v115, v108, v199
	v_fma_f32 v3, v104, v195, -v3
	s_waitcnt vmcnt(8)
	v_fmac_f32_e32 v115, v109, v202
	v_add_f32_e32 v2, v2, v3
	v_mul_f32_e32 v3, v107, v198
	v_add_f32_e32 v114, v114, v115
	s_waitcnt lgkmcnt(0)
	v_mul_f32_e32 v115, v110, v201
	v_fma_f32 v3, v106, v197, -v3
	v_fmac_f32_e32 v115, v111, v200
	v_add_f32_e32 v2, v2, v3
	v_mul_f32_e32 v3, v109, v199
	v_add_f32_e32 v118, v114, v115
	ds_read_b128 v[114:117], v1 offset:992
	v_fma_f32 v3, v108, v202, -v3
	v_add_f32_e32 v2, v2, v3
	v_mul_f32_e32 v3, v111, v201
	s_waitcnt vmcnt(6)
	v_mul_f32_e32 v119, v112, v204
	v_fma_f32 v3, v110, v200, -v3
	v_fmac_f32_e32 v119, v113, v203
	v_add_f32_e32 v2, v2, v3
	v_mul_f32_e32 v3, v113, v204
	v_add_f32_e32 v211, v118, v119
	ds_read_b64 v[118:119], v1 offset:1008
	v_fma_f32 v3, v112, v203, -v3
	v_add_f32_e32 v2, v2, v3
	s_waitcnt vmcnt(4) lgkmcnt(1)
	v_mul_f32_e32 v3, v115, v206
	v_mul_f32_e32 v212, v114, v206
	v_fma_f32 v3, v114, v205, -v3
	v_fmac_f32_e32 v212, v115, v205
	v_add_f32_e32 v2, v2, v3
	s_waitcnt vmcnt(3)
	v_mul_f32_e32 v3, v117, v207
	v_add_f32_e32 v211, v211, v212
	v_mul_f32_e32 v212, v116, v207
	s_waitcnt vmcnt(0)
	v_fma_f32 v3, v116, v210, -v3
	v_fmac_f32_e32 v212, v117, v210
	v_add_f32_e32 v2, v2, v3
	s_waitcnt lgkmcnt(0)
	v_mul_f32_e32 v3, v119, v209
	v_add_f32_e32 v211, v211, v212
	v_mul_f32_e32 v212, v118, v209
	v_fma_f32 v3, v118, v208, -v3
	v_fmac_f32_e32 v212, v119, v208
	v_add_f32_e32 v2, v2, v3
	v_add_f32_e32 v211, v211, v212
	v_sub_f32_e32 v2, v7, v2
	v_sub_f32_e32 v3, v8, v211
	buffer_store_dword v2, off, s[0:3], 0 offset:88
	buffer_store_dword v3, off, s[0:3], 0 offset:92
	s_and_saveexec_b64 s[4:5], vcc
	s_cbranch_execz .LBB126_371
; %bb.370:
	buffer_load_dword v2, off, s[0:3], 0 offset:80
	buffer_load_dword v3, off, s[0:3], 0 offset:84
	s_waitcnt vmcnt(0)
	ds_write_b64 v25, v[2:3]
	buffer_store_dword v1, off, s[0:3], 0 offset:80
	buffer_store_dword v1, off, s[0:3], 0 offset:84
.LBB126_371:
	s_or_b64 exec, exec, s[4:5]
	s_waitcnt lgkmcnt(0)
	; wave barrier
	buffer_load_dword v10, off, s[0:3], 0 offset:92
	buffer_load_dword v7, off, s[0:3], 0 offset:100
	;; [unrolled: 1-line block ×40, first 2 shown]
	ds_read2_b64 v[26:29], v1 offset0:75 offset1:76
	ds_read2_b64 v[30:33], v1 offset0:77 offset1:78
	;; [unrolled: 1-line block ×6, first 2 shown]
	buffer_load_dword v149, off, s[0:3], 0 offset:240
	buffer_load_dword v150, off, s[0:3], 0 offset:244
	;; [unrolled: 1-line block ×12, first 2 shown]
	v_cmp_lt_u32_e32 vcc, 9, v0
	s_waitcnt vmcnt(51) lgkmcnt(5)
	v_mul_f32_e32 v50, v26, v10
	s_waitcnt vmcnt(50)
	v_mul_f32_e32 v51, v28, v7
	s_waitcnt vmcnt(49) lgkmcnt(4)
	v_mul_f32_e32 v52, v30, v6
	s_waitcnt vmcnt(48)
	v_mul_f32_e32 v53, v32, v5
	;; [unrolled: 4-line block ×5, first 2 shown]
	s_waitcnt vmcnt(41) lgkmcnt(0)
	v_mul_f32_e32 v60, v46, v14
	s_waitcnt vmcnt(40)
	v_fmac_f32_e32 v52, v31, v21
	s_waitcnt vmcnt(39)
	v_fmac_f32_e32 v51, v29, v24
	;; [unrolled: 2-line block ×3, first 2 shown]
	v_add_f32_e32 v50, 0, v50
	v_add_f32_e32 v50, v50, v51
	;; [unrolled: 1-line block ×3, first 2 shown]
	s_waitcnt vmcnt(34)
	v_fmac_f32_e32 v53, v33, v119
	v_fmac_f32_e32 v54, v35, v23
	v_add_f32_e32 v50, v50, v53
	v_fmac_f32_e32 v55, v37, v20
	v_add_f32_e32 v50, v50, v54
	;; [unrolled: 2-line block ×3, first 2 shown]
	s_waitcnt vmcnt(30)
	v_fmac_f32_e32 v57, v41, v22
	v_add_f32_e32 v50, v50, v56
	v_fmac_f32_e32 v58, v43, v19
	v_add_f32_e32 v50, v50, v57
	;; [unrolled: 2-line block ×4, first 2 shown]
	v_add_f32_e32 v54, v50, v60
	ds_read2_b64 v[50:53], v1 offset0:87 offset1:88
	s_waitcnt vmcnt(29)
	v_mul_f32_e32 v55, v48, v18
	s_waitcnt vmcnt(25)
	v_fmac_f32_e32 v55, v49, v137
	v_add_f32_e32 v58, v54, v55
	ds_read2_b64 v[54:57], v1 offset0:89 offset1:90
	s_waitcnt vmcnt(24) lgkmcnt(1)
	v_mul_f32_e32 v59, v50, v138
	v_fmac_f32_e32 v59, v51, v136
	v_add_f32_e32 v58, v58, v59
	s_waitcnt vmcnt(23)
	v_mul_f32_e32 v59, v52, v139
	buffer_load_dword v161, off, s[0:3], 0 offset:288
	buffer_load_dword v162, off, s[0:3], 0 offset:292
	v_fmac_f32_e32 v59, v53, v135
	v_add_f32_e32 v58, v58, v59
	s_waitcnt vmcnt(24) lgkmcnt(0)
	v_mul_f32_e32 v59, v54, v140
	buffer_load_dword v163, off, s[0:3], 0 offset:296
	buffer_load_dword v164, off, s[0:3], 0 offset:300
	v_fmac_f32_e32 v59, v55, v134
	v_add_f32_e32 v62, v58, v59
	ds_read2_b64 v[58:61], v1 offset0:91 offset1:92
	buffer_load_dword v165, off, s[0:3], 0 offset:304
	buffer_load_dword v166, off, s[0:3], 0 offset:308
	s_waitcnt vmcnt(27)
	v_mul_f32_e32 v63, v56, v141
	s_waitcnt vmcnt(21)
	v_fmac_f32_e32 v63, v57, v147
	v_add_f32_e32 v66, v62, v63
	ds_read2_b64 v[62:65], v1 offset0:93 offset1:94
	s_waitcnt vmcnt(20) lgkmcnt(1)
	v_mul_f32_e32 v67, v58, v148
	v_fmac_f32_e32 v67, v59, v146
	buffer_load_dword v167, off, s[0:3], 0 offset:312
	buffer_load_dword v168, off, s[0:3], 0 offset:316
	;; [unrolled: 1-line block ×6, first 2 shown]
	v_add_f32_e32 v66, v66, v67
	v_mul_f32_e32 v67, v60, v143
	v_fmac_f32_e32 v67, v61, v142
	v_add_f32_e32 v66, v66, v67
	s_waitcnt lgkmcnt(0)
	v_mul_f32_e32 v67, v62, v145
	v_fmac_f32_e32 v67, v63, v144
	v_add_f32_e32 v70, v66, v67
	ds_read2_b64 v[66:69], v1 offset0:95 offset1:96
	buffer_load_dword v173, off, s[0:3], 0 offset:336
	buffer_load_dword v174, off, s[0:3], 0 offset:340
	s_waitcnt vmcnt(24)
	v_mul_f32_e32 v71, v64, v150
	v_fmac_f32_e32 v71, v65, v149
	v_add_f32_e32 v74, v70, v71
	ds_read2_b64 v[70:73], v1 offset0:97 offset1:98
	buffer_load_dword v175, off, s[0:3], 0 offset:344
	buffer_load_dword v176, off, s[0:3], 0 offset:348
	;; [unrolled: 1-line block ×14, first 2 shown]
	s_waitcnt vmcnt(36) lgkmcnt(1)
	v_mul_f32_e32 v75, v66, v152
	buffer_load_dword v189, off, s[0:3], 0 offset:400
	buffer_load_dword v190, off, s[0:3], 0 offset:404
	v_fmac_f32_e32 v75, v67, v151
	v_add_f32_e32 v74, v74, v75
	s_waitcnt vmcnt(36)
	v_mul_f32_e32 v75, v68, v154
	v_fmac_f32_e32 v75, v69, v153
	v_add_f32_e32 v74, v74, v75
	s_waitcnt vmcnt(34) lgkmcnt(0)
	v_mul_f32_e32 v75, v70, v156
	v_fmac_f32_e32 v75, v71, v155
	v_add_f32_e32 v78, v74, v75
	ds_read2_b64 v[74:77], v1 offset0:99 offset1:100
	buffer_load_dword v191, off, s[0:3], 0 offset:408
	buffer_load_dword v192, off, s[0:3], 0 offset:412
	;; [unrolled: 1-line block ×6, first 2 shown]
	s_waitcnt vmcnt(38)
	v_mul_f32_e32 v79, v72, v158
	v_fmac_f32_e32 v79, v73, v157
	v_add_f32_e32 v82, v78, v79
	ds_read2_b64 v[78:81], v1 offset0:101 offset1:102
	buffer_load_dword v197, off, s[0:3], 0 offset:432
	buffer_load_dword v198, off, s[0:3], 0 offset:436
	v_mul_f32_e32 v10, v27, v10
	v_fma_f32 v10, v26, v118, -v10
	v_mul_f32_e32 v7, v29, v7
	buffer_load_dword v199, off, s[0:3], 0 offset:440
	buffer_load_dword v200, off, s[0:3], 0 offset:444
	;; [unrolled: 1-line block ×6, first 2 shown]
	v_add_f32_e32 v10, 0, v10
	v_fma_f32 v7, v28, v24, -v7
	v_mul_f32_e32 v6, v31, v6
	v_add_f32_e32 v7, v10, v7
	v_fma_f32 v6, v30, v21, -v6
	v_mul_f32_e32 v5, v33, v5
	;; [unrolled: 3-line block ×5, first 2 shown]
	buffer_load_dword v205, off, s[0:3], 0 offset:464
	buffer_load_dword v206, off, s[0:3], 0 offset:468
	v_add_f32_e32 v3, v4, v3
	v_fma_f32 v2, v38, v17, -v2
	v_add_f32_e32 v2, v3, v2
	v_mul_f32_e32 v3, v41, v11
	s_waitcnt vmcnt(46) lgkmcnt(1)
	v_mul_f32_e32 v83, v74, v160
	v_fma_f32 v3, v40, v22, -v3
	v_fmac_f32_e32 v83, v75, v159
	v_add_f32_e32 v2, v2, v3
	v_mul_f32_e32 v3, v43, v12
	v_add_f32_e32 v82, v82, v83
	v_fma_f32 v3, v42, v19, -v3
	s_waitcnt vmcnt(44)
	v_mul_f32_e32 v83, v76, v162
	v_fmac_f32_e32 v83, v77, v161
	v_add_f32_e32 v2, v2, v3
	v_mul_f32_e32 v3, v45, v13
	v_add_f32_e32 v82, v82, v83
	s_waitcnt vmcnt(42) lgkmcnt(0)
	v_mul_f32_e32 v83, v78, v164
	buffer_load_dword v207, off, s[0:3], 0 offset:472
	buffer_load_dword v208, off, s[0:3], 0 offset:476
	;; [unrolled: 1-line block ×6, first 2 shown]
	v_fma_f32 v3, v44, v16, -v3
	v_fmac_f32_e32 v83, v79, v163
	s_waitcnt vmcnt(46)
	v_mul_f32_e32 v87, v80, v166
	v_add_f32_e32 v2, v2, v3
	v_mul_f32_e32 v3, v47, v14
	v_add_f32_e32 v86, v82, v83
	v_fmac_f32_e32 v87, v81, v165
	v_fma_f32 v3, v46, v15, -v3
	ds_read2_b64 v[82:85], v1 offset0:103 offset1:104
	v_add_f32_e32 v90, v86, v87
	ds_read2_b64 v[86:89], v1 offset0:105 offset1:106
	buffer_load_dword v213, off, s[0:3], 0 offset:496
	buffer_load_dword v214, off, s[0:3], 0 offset:500
	v_add_f32_e32 v2, v2, v3
	v_mul_f32_e32 v3, v49, v18
	v_fma_f32 v3, v48, v137, -v3
	v_add_f32_e32 v2, v2, v3
	v_mul_f32_e32 v3, v51, v138
	v_fma_f32 v3, v50, v136, -v3
	;; [unrolled: 3-line block ×9, first 2 shown]
	v_add_f32_e32 v2, v2, v3
	v_mul_f32_e32 v3, v67, v152
	s_waitcnt vmcnt(46) lgkmcnt(1)
	v_mul_f32_e32 v91, v82, v168
	v_fma_f32 v3, v66, v151, -v3
	v_fmac_f32_e32 v91, v83, v167
	v_add_f32_e32 v2, v2, v3
	v_mul_f32_e32 v3, v69, v154
	v_add_f32_e32 v90, v90, v91
	s_waitcnt vmcnt(45)
	v_mul_f32_e32 v91, v84, v169
	v_fma_f32 v3, v68, v153, -v3
	s_waitcnt vmcnt(42)
	v_fmac_f32_e32 v91, v85, v172
	v_add_f32_e32 v2, v2, v3
	v_mul_f32_e32 v3, v71, v156
	v_add_f32_e32 v90, v90, v91
	s_waitcnt lgkmcnt(0)
	v_mul_f32_e32 v91, v86, v171
	v_fma_f32 v3, v70, v155, -v3
	v_fmac_f32_e32 v91, v87, v170
	v_add_f32_e32 v2, v2, v3
	v_mul_f32_e32 v3, v73, v158
	v_add_f32_e32 v94, v90, v91
	ds_read2_b64 v[90:93], v1 offset0:107 offset1:108
	v_fma_f32 v3, v72, v157, -v3
	v_add_f32_e32 v2, v2, v3
	v_mul_f32_e32 v3, v75, v160
	s_waitcnt vmcnt(40)
	v_mul_f32_e32 v95, v88, v174
	v_fma_f32 v3, v74, v159, -v3
	v_fmac_f32_e32 v95, v89, v173
	v_add_f32_e32 v2, v2, v3
	v_mul_f32_e32 v3, v77, v162
	v_add_f32_e32 v98, v94, v95
	ds_read2_b64 v[94:97], v1 offset0:109 offset1:110
	v_fma_f32 v3, v76, v161, -v3
	s_waitcnt vmcnt(38) lgkmcnt(1)
	v_mul_f32_e32 v99, v90, v176
	v_add_f32_e32 v2, v2, v3
	v_mul_f32_e32 v3, v79, v164
	v_fmac_f32_e32 v99, v91, v175
	v_fma_f32 v3, v78, v163, -v3
	v_add_f32_e32 v98, v98, v99
	s_waitcnt vmcnt(37)
	v_mul_f32_e32 v99, v92, v177
	v_add_f32_e32 v2, v2, v3
	v_mul_f32_e32 v3, v81, v166
	s_waitcnt vmcnt(34)
	v_fmac_f32_e32 v99, v93, v180
	v_fma_f32 v3, v80, v165, -v3
	v_add_f32_e32 v98, v98, v99
	s_waitcnt lgkmcnt(0)
	v_mul_f32_e32 v99, v94, v179
	v_add_f32_e32 v2, v2, v3
	v_mul_f32_e32 v3, v83, v168
	v_fmac_f32_e32 v99, v95, v178
	v_fma_f32 v3, v82, v167, -v3
	v_add_f32_e32 v102, v98, v99
	ds_read2_b64 v[98:101], v1 offset0:111 offset1:112
	v_add_f32_e32 v2, v2, v3
	v_mul_f32_e32 v3, v85, v169
	v_fma_f32 v3, v84, v172, -v3
	s_waitcnt vmcnt(32)
	v_mul_f32_e32 v103, v96, v182
	v_add_f32_e32 v2, v2, v3
	v_mul_f32_e32 v3, v87, v171
	v_fmac_f32_e32 v103, v97, v181
	v_fma_f32 v3, v86, v170, -v3
	v_add_f32_e32 v106, v102, v103
	ds_read2_b64 v[102:105], v1 offset0:113 offset1:114
	v_add_f32_e32 v2, v2, v3
	v_mul_f32_e32 v3, v89, v174
	s_waitcnt vmcnt(30) lgkmcnt(1)
	v_mul_f32_e32 v107, v98, v184
	v_fma_f32 v3, v88, v173, -v3
	v_fmac_f32_e32 v107, v99, v183
	v_add_f32_e32 v2, v2, v3
	v_mul_f32_e32 v3, v91, v176
	v_add_f32_e32 v106, v106, v107
	s_waitcnt vmcnt(29)
	v_mul_f32_e32 v107, v100, v185
	v_fma_f32 v3, v90, v175, -v3
	s_waitcnt vmcnt(26)
	v_fmac_f32_e32 v107, v101, v188
	v_add_f32_e32 v2, v2, v3
	v_mul_f32_e32 v3, v93, v177
	v_add_f32_e32 v106, v106, v107
	s_waitcnt lgkmcnt(0)
	v_mul_f32_e32 v107, v102, v187
	v_fma_f32 v3, v92, v180, -v3
	v_fmac_f32_e32 v107, v103, v186
	v_add_f32_e32 v2, v2, v3
	v_mul_f32_e32 v3, v95, v179
	v_add_f32_e32 v110, v106, v107
	ds_read2_b64 v[106:109], v1 offset0:115 offset1:116
	v_fma_f32 v3, v94, v178, -v3
	v_add_f32_e32 v2, v2, v3
	v_mul_f32_e32 v3, v97, v182
	s_waitcnt vmcnt(24)
	v_mul_f32_e32 v111, v104, v190
	v_fma_f32 v3, v96, v181, -v3
	v_fmac_f32_e32 v111, v105, v189
	v_add_f32_e32 v2, v2, v3
	v_mul_f32_e32 v3, v99, v184
	v_add_f32_e32 v114, v110, v111
	ds_read2_b64 v[110:113], v1 offset0:117 offset1:118
	v_fma_f32 v3, v98, v183, -v3
	s_waitcnt vmcnt(22) lgkmcnt(1)
	v_mul_f32_e32 v115, v106, v192
	v_add_f32_e32 v2, v2, v3
	v_mul_f32_e32 v3, v101, v185
	v_fmac_f32_e32 v115, v107, v191
	v_fma_f32 v3, v100, v188, -v3
	v_add_f32_e32 v114, v114, v115
	s_waitcnt vmcnt(21)
	v_mul_f32_e32 v115, v108, v193
	v_add_f32_e32 v2, v2, v3
	v_mul_f32_e32 v3, v103, v187
	s_waitcnt vmcnt(18)
	v_fmac_f32_e32 v115, v109, v196
	v_fma_f32 v3, v102, v186, -v3
	v_add_f32_e32 v114, v114, v115
	s_waitcnt lgkmcnt(0)
	v_mul_f32_e32 v115, v110, v195
	v_add_f32_e32 v2, v2, v3
	v_mul_f32_e32 v3, v105, v190
	v_fmac_f32_e32 v115, v111, v194
	v_fma_f32 v3, v104, v189, -v3
	v_add_f32_e32 v122, v114, v115
	ds_read2_b64 v[114:117], v1 offset0:119 offset1:120
	v_add_f32_e32 v2, v2, v3
	v_mul_f32_e32 v3, v107, v192
	v_fma_f32 v3, v106, v191, -v3
	s_waitcnt vmcnt(16)
	v_mul_f32_e32 v123, v112, v198
	v_add_f32_e32 v2, v2, v3
	v_mul_f32_e32 v3, v109, v193
	v_fmac_f32_e32 v123, v113, v197
	v_fma_f32 v3, v108, v196, -v3
	v_add_f32_e32 v126, v122, v123
	ds_read2_b64 v[122:125], v1 offset0:121 offset1:122
	v_add_f32_e32 v2, v2, v3
	v_mul_f32_e32 v3, v111, v195
	s_waitcnt vmcnt(14) lgkmcnt(1)
	v_mul_f32_e32 v127, v114, v200
	v_fma_f32 v3, v110, v194, -v3
	v_fmac_f32_e32 v127, v115, v199
	v_add_f32_e32 v2, v2, v3
	v_mul_f32_e32 v3, v113, v198
	v_add_f32_e32 v126, v126, v127
	s_waitcnt vmcnt(13)
	v_mul_f32_e32 v127, v116, v201
	v_fma_f32 v3, v112, v197, -v3
	s_waitcnt vmcnt(10)
	v_fmac_f32_e32 v127, v117, v204
	v_add_f32_e32 v2, v2, v3
	v_mul_f32_e32 v3, v115, v200
	v_add_f32_e32 v126, v126, v127
	s_waitcnt lgkmcnt(0)
	v_mul_f32_e32 v127, v122, v203
	v_fma_f32 v3, v114, v199, -v3
	v_fmac_f32_e32 v127, v123, v202
	v_add_f32_e32 v2, v2, v3
	v_mul_f32_e32 v3, v117, v201
	v_add_f32_e32 v130, v126, v127
	ds_read2_b64 v[126:129], v1 offset0:123 offset1:124
	v_fma_f32 v3, v116, v204, -v3
	v_add_f32_e32 v2, v2, v3
	v_mul_f32_e32 v3, v123, v203
	s_waitcnt vmcnt(8)
	v_mul_f32_e32 v131, v124, v206
	v_fma_f32 v3, v122, v202, -v3
	v_fmac_f32_e32 v131, v125, v205
	v_add_f32_e32 v2, v2, v3
	v_mul_f32_e32 v3, v125, v206
	v_add_f32_e32 v215, v130, v131
	ds_read2_b64 v[130:133], v1 offset0:125 offset1:126
	v_fma_f32 v3, v124, v205, -v3
	v_add_f32_e32 v2, v2, v3
	s_waitcnt vmcnt(6) lgkmcnt(1)
	v_mul_f32_e32 v3, v127, v208
	v_mul_f32_e32 v1, v126, v208
	v_fma_f32 v3, v126, v207, -v3
	v_fmac_f32_e32 v1, v127, v207
	v_add_f32_e32 v2, v2, v3
	s_waitcnt vmcnt(5)
	v_mul_f32_e32 v3, v129, v209
	v_add_f32_e32 v1, v215, v1
	v_mul_f32_e32 v215, v128, v209
	s_waitcnt vmcnt(2)
	v_fma_f32 v3, v128, v212, -v3
	v_fmac_f32_e32 v215, v129, v212
	v_add_f32_e32 v2, v2, v3
	s_waitcnt lgkmcnt(0)
	v_mul_f32_e32 v3, v131, v211
	v_add_f32_e32 v1, v1, v215
	v_mul_f32_e32 v215, v130, v211
	v_fma_f32 v3, v130, v210, -v3
	v_fmac_f32_e32 v215, v131, v210
	v_add_f32_e32 v2, v2, v3
	s_waitcnt vmcnt(0)
	v_mul_f32_e32 v3, v133, v214
	v_add_f32_e32 v1, v1, v215
	v_mul_f32_e32 v215, v132, v214
	v_fma_f32 v3, v132, v213, -v3
	v_fmac_f32_e32 v215, v133, v213
	v_add_f32_e32 v2, v2, v3
	v_add_f32_e32 v1, v1, v215
	v_sub_f32_e32 v2, v8, v2
	v_sub_f32_e32 v1, v9, v1
	buffer_store_dword v2, off, s[0:3], 0 offset:80
	buffer_store_dword v1, off, s[0:3], 0 offset:84
	s_and_saveexec_b64 s[4:5], vcc
	s_cbranch_execz .LBB126_373
; %bb.372:
	buffer_load_dword v1, off, s[0:3], 0 offset:72
	buffer_load_dword v2, off, s[0:3], 0 offset:76
	v_mov_b32_e32 v3, 0
	buffer_store_dword v3, off, s[0:3], 0 offset:72
	buffer_store_dword v3, off, s[0:3], 0 offset:76
	s_waitcnt vmcnt(2)
	ds_write_b64 v25, v[1:2]
.LBB126_373:
	s_or_b64 exec, exec, s[4:5]
	s_waitcnt lgkmcnt(0)
	; wave barrier
	buffer_load_dword v10, off, s[0:3], 0 offset:84
	buffer_load_dword v9, off, s[0:3], 0 offset:92
	;; [unrolled: 1-line block ×51, first 2 shown]
	v_mov_b32_e32 v1, 0
	ds_read_b128 v[39:42], v1 offset:592
	ds_read_b128 v[43:46], v1 offset:608
	;; [unrolled: 1-line block ×6, first 2 shown]
	v_cmp_lt_u32_e32 vcc, 8, v0
	s_waitcnt vmcnt(50) lgkmcnt(5)
	v_mul_f32_e32 v63, v39, v10
	s_waitcnt vmcnt(49)
	v_mul_f32_e32 v64, v41, v9
	s_waitcnt vmcnt(48) lgkmcnt(4)
	v_mul_f32_e32 v65, v43, v8
	s_waitcnt vmcnt(47)
	v_mul_f32_e32 v66, v45, v7
	;; [unrolled: 4-line block ×5, first 2 shown]
	s_waitcnt vmcnt(40) lgkmcnt(0)
	v_mul_f32_e32 v73, v59, v14
	s_waitcnt vmcnt(39)
	v_fmac_f32_e32 v65, v44, v21
	s_waitcnt vmcnt(38)
	v_fmac_f32_e32 v64, v42, v24
	;; [unrolled: 2-line block ×3, first 2 shown]
	v_add_f32_e32 v63, 0, v63
	v_add_f32_e32 v63, v63, v64
	;; [unrolled: 1-line block ×3, first 2 shown]
	s_waitcnt vmcnt(33)
	v_fmac_f32_e32 v66, v46, v26
	v_fmac_f32_e32 v67, v48, v23
	v_add_f32_e32 v63, v63, v66
	v_fmac_f32_e32 v68, v50, v20
	v_add_f32_e32 v63, v63, v67
	;; [unrolled: 2-line block ×3, first 2 shown]
	s_waitcnt vmcnt(29)
	v_fmac_f32_e32 v70, v54, v22
	v_add_f32_e32 v63, v63, v69
	v_fmac_f32_e32 v71, v56, v19
	v_add_f32_e32 v63, v63, v70
	;; [unrolled: 2-line block ×4, first 2 shown]
	s_waitcnt vmcnt(28)
	v_mul_f32_e32 v64, v61, v18
	v_add_f32_e32 v63, v63, v73
	s_waitcnt vmcnt(24)
	v_fmac_f32_e32 v64, v62, v34
	v_add_f32_e32 v71, v63, v64
	ds_read_b128 v[63:66], v1 offset:688
	ds_read_b128 v[67:70], v1 offset:704
	buffer_load_dword v162, off, s[0:3], 0 offset:272
	buffer_load_dword v163, off, s[0:3], 0 offset:280
	;; [unrolled: 1-line block ×5, first 2 shown]
	v_mul_f32_e32 v10, v40, v10
	s_waitcnt vmcnt(28) lgkmcnt(1)
	v_mul_f32_e32 v72, v63, v33
	v_fmac_f32_e32 v72, v64, v31
	v_add_f32_e32 v71, v71, v72
	s_waitcnt vmcnt(27)
	v_mul_f32_e32 v72, v65, v32
	v_fmac_f32_e32 v72, v66, v29
	v_add_f32_e32 v71, v71, v72
	s_waitcnt vmcnt(26) lgkmcnt(0)
	v_mul_f32_e32 v72, v67, v30
	v_fmac_f32_e32 v72, v68, v28
	v_add_f32_e32 v75, v71, v72
	ds_read_b128 v[71:74], v1 offset:720
	buffer_load_dword v167, off, s[0:3], 0 offset:296
	buffer_load_dword v168, off, s[0:3], 0 offset:300
	s_waitcnt vmcnt(27)
	v_mul_f32_e32 v76, v69, v35
	s_waitcnt vmcnt(20)
	v_fmac_f32_e32 v76, v70, v150
	v_add_f32_e32 v79, v75, v76
	ds_read_b128 v[75:78], v1 offset:736
	s_waitcnt lgkmcnt(1)
	v_mul_f32_e32 v80, v71, v37
	v_fmac_f32_e32 v80, v72, v36
	v_add_f32_e32 v79, v79, v80
	v_mul_f32_e32 v80, v73, v119
	buffer_load_dword v169, off, s[0:3], 0 offset:304
	buffer_load_dword v170, off, s[0:3], 0 offset:308
	v_fmac_f32_e32 v80, v74, v38
	v_add_f32_e32 v79, v79, v80
	s_waitcnt lgkmcnt(0)
	v_mul_f32_e32 v80, v75, v149
	v_fmac_f32_e32 v80, v76, v148
	v_add_f32_e32 v83, v79, v80
	ds_read_b128 v[79:82], v1 offset:752
	buffer_load_dword v171, off, s[0:3], 0 offset:316
	buffer_load_dword v172, off, s[0:3], 0 offset:320
	;; [unrolled: 1-line block ×4, first 2 shown]
	s_waitcnt vmcnt(22)
	v_mul_f32_e32 v84, v77, v152
	v_fmac_f32_e32 v84, v78, v151
	v_add_f32_e32 v87, v83, v84
	ds_read_b128 v[83:86], v1 offset:768
	buffer_load_dword v175, off, s[0:3], 0 offset:328
	buffer_load_dword v176, off, s[0:3], 0 offset:332
	;; [unrolled: 1-line block ×10, first 2 shown]
	s_waitcnt vmcnt(30) lgkmcnt(1)
	v_mul_f32_e32 v88, v79, v154
	v_fmac_f32_e32 v88, v80, v153
	buffer_load_dword v185, off, s[0:3], 0 offset:368
	buffer_load_dword v186, off, s[0:3], 0 offset:372
	;; [unrolled: 1-line block ×6, first 2 shown]
	v_add_f32_e32 v87, v87, v88
	s_waitcnt vmcnt(34)
	v_mul_f32_e32 v88, v81, v156
	v_fmac_f32_e32 v88, v82, v155
	v_add_f32_e32 v87, v87, v88
	s_waitcnt vmcnt(32) lgkmcnt(0)
	v_mul_f32_e32 v88, v83, v158
	v_fmac_f32_e32 v88, v84, v157
	v_add_f32_e32 v91, v87, v88
	ds_read_b128 v[87:90], v1 offset:784
	buffer_load_dword v191, off, s[0:3], 0 offset:392
	buffer_load_dword v192, off, s[0:3], 0 offset:396
	s_waitcnt vmcnt(32)
	v_mul_f32_e32 v92, v85, v160
	v_fmac_f32_e32 v92, v86, v159
	v_add_f32_e32 v95, v91, v92
	ds_read_b128 v[91:94], v1 offset:800
	buffer_load_dword v193, off, s[0:3], 0 offset:400
	buffer_load_dword v194, off, s[0:3], 0 offset:404
	;; [unrolled: 1-line block ×14, first 2 shown]
	v_fma_f32 v10, v39, v27, -v10
	v_mul_f32_e32 v9, v42, v9
	v_add_f32_e32 v10, 0, v10
	v_fma_f32 v9, v41, v24, -v9
	v_mul_f32_e32 v8, v44, v8
	v_add_f32_e32 v9, v10, v9
	;; [unrolled: 3-line block ×4, first 2 shown]
	v_fma_f32 v6, v47, v23, -v6
	v_mul_f32_e32 v5, v50, v5
	s_waitcnt vmcnt(45) lgkmcnt(1)
	v_mul_f32_e32 v96, v87, v161
	v_add_f32_e32 v6, v7, v6
	v_fma_f32 v5, v49, v20, -v5
	v_mul_f32_e32 v4, v52, v4
	buffer_load_dword v207, off, s[0:3], 0 offset:456
	buffer_load_dword v208, off, s[0:3], 0 offset:460
	v_add_f32_e32 v5, v6, v5
	v_fma_f32 v4, v51, v17, -v4
	v_add_f32_e32 v4, v5, v4
	s_waitcnt vmcnt(46)
	v_fmac_f32_e32 v96, v88, v162
	v_add_f32_e32 v95, v95, v96
	s_waitcnt vmcnt(44)
	v_mul_f32_e32 v96, v89, v164
	v_mul_f32_e32 v5, v54, v11
	v_fmac_f32_e32 v96, v90, v163
	v_fma_f32 v5, v53, v22, -v5
	v_add_f32_e32 v95, v95, v96
	s_waitcnt vmcnt(42) lgkmcnt(0)
	v_mul_f32_e32 v96, v91, v166
	v_add_f32_e32 v4, v4, v5
	v_mul_f32_e32 v5, v56, v12
	v_fmac_f32_e32 v96, v92, v165
	v_fma_f32 v5, v55, v19, -v5
	v_add_f32_e32 v99, v95, v96
	ds_read_b128 v[95:98], v1 offset:816
	buffer_load_dword v209, off, s[0:3], 0 offset:464
	buffer_load_dword v210, off, s[0:3], 0 offset:468
	;; [unrolled: 1-line block ×6, first 2 shown]
	v_add_f32_e32 v4, v4, v5
	v_mul_f32_e32 v5, v58, v13
	v_fma_f32 v5, v57, v16, -v5
	v_add_f32_e32 v4, v4, v5
	v_mul_f32_e32 v5, v60, v14
	s_waitcnt vmcnt(46)
	v_mul_f32_e32 v100, v93, v168
	v_fma_f32 v5, v59, v15, -v5
	v_fmac_f32_e32 v100, v94, v167
	v_add_f32_e32 v4, v4, v5
	v_mul_f32_e32 v5, v62, v18
	v_add_f32_e32 v103, v99, v100
	ds_read_b128 v[99:102], v1 offset:832
	buffer_load_dword v215, off, s[0:3], 0 offset:492
	buffer_load_dword v216, off, s[0:3], 0 offset:496
	;; [unrolled: 1-line block ×4, first 2 shown]
	v_fma_f32 v5, v61, v34, -v5
	v_add_f32_e32 v4, v4, v5
	v_mul_f32_e32 v5, v64, v33
	v_fma_f32 v5, v63, v31, -v5
	v_add_f32_e32 v4, v4, v5
	v_mul_f32_e32 v5, v66, v32
	;; [unrolled: 3-line block ×8, first 2 shown]
	v_fma_f32 v5, v77, v151, -v5
	s_waitcnt vmcnt(48) lgkmcnt(1)
	v_mul_f32_e32 v104, v95, v170
	v_add_f32_e32 v4, v4, v5
	v_mul_f32_e32 v5, v80, v154
	v_fmac_f32_e32 v104, v96, v169
	v_fma_f32 v5, v79, v153, -v5
	v_add_f32_e32 v103, v103, v104
	s_waitcnt vmcnt(47)
	v_mul_f32_e32 v104, v97, v171
	v_add_f32_e32 v4, v4, v5
	v_mul_f32_e32 v5, v82, v156
	s_waitcnt vmcnt(44)
	v_fmac_f32_e32 v104, v98, v174
	v_fma_f32 v5, v81, v155, -v5
	v_add_f32_e32 v103, v103, v104
	s_waitcnt lgkmcnt(0)
	v_mul_f32_e32 v104, v99, v173
	v_add_f32_e32 v4, v4, v5
	v_mul_f32_e32 v5, v84, v158
	v_fmac_f32_e32 v104, v100, v172
	v_fma_f32 v5, v83, v157, -v5
	v_add_f32_e32 v107, v103, v104
	ds_read_b128 v[103:106], v1 offset:848
	v_add_f32_e32 v4, v4, v5
	v_mul_f32_e32 v5, v86, v160
	v_fma_f32 v5, v85, v159, -v5
	s_waitcnt vmcnt(42)
	v_mul_f32_e32 v108, v101, v176
	v_add_f32_e32 v4, v4, v5
	v_mul_f32_e32 v5, v88, v161
	v_fmac_f32_e32 v108, v102, v175
	v_fma_f32 v5, v87, v162, -v5
	v_add_f32_e32 v111, v107, v108
	ds_read_b128 v[107:110], v1 offset:864
	v_add_f32_e32 v4, v4, v5
	v_mul_f32_e32 v5, v90, v164
	s_waitcnt vmcnt(40) lgkmcnt(1)
	v_mul_f32_e32 v112, v103, v178
	v_fma_f32 v5, v89, v163, -v5
	v_fmac_f32_e32 v112, v104, v177
	v_add_f32_e32 v4, v4, v5
	v_mul_f32_e32 v5, v92, v166
	v_add_f32_e32 v111, v111, v112
	s_waitcnt vmcnt(39)
	v_mul_f32_e32 v112, v105, v179
	v_fma_f32 v5, v91, v165, -v5
	s_waitcnt vmcnt(36)
	v_fmac_f32_e32 v112, v106, v182
	v_add_f32_e32 v4, v4, v5
	v_mul_f32_e32 v5, v94, v168
	v_add_f32_e32 v111, v111, v112
	s_waitcnt lgkmcnt(0)
	v_mul_f32_e32 v112, v107, v181
	v_fma_f32 v5, v93, v167, -v5
	v_fmac_f32_e32 v112, v108, v180
	v_add_f32_e32 v4, v4, v5
	v_mul_f32_e32 v5, v96, v170
	v_add_f32_e32 v115, v111, v112
	ds_read_b128 v[111:114], v1 offset:880
	v_fma_f32 v5, v95, v169, -v5
	v_add_f32_e32 v4, v4, v5
	v_mul_f32_e32 v5, v98, v171
	s_waitcnt vmcnt(34)
	v_mul_f32_e32 v116, v109, v184
	v_fma_f32 v5, v97, v174, -v5
	v_fmac_f32_e32 v116, v110, v183
	v_add_f32_e32 v4, v4, v5
	v_mul_f32_e32 v5, v100, v173
	v_add_f32_e32 v122, v115, v116
	ds_read_b128 v[115:118], v1 offset:896
	v_fma_f32 v5, v99, v172, -v5
	s_waitcnt vmcnt(32) lgkmcnt(1)
	v_mul_f32_e32 v123, v111, v186
	v_add_f32_e32 v4, v4, v5
	v_mul_f32_e32 v5, v102, v176
	v_fmac_f32_e32 v123, v112, v185
	v_fma_f32 v5, v101, v175, -v5
	v_add_f32_e32 v122, v122, v123
	s_waitcnt vmcnt(31)
	v_mul_f32_e32 v123, v113, v187
	v_add_f32_e32 v4, v4, v5
	v_mul_f32_e32 v5, v104, v178
	s_waitcnt vmcnt(28)
	v_fmac_f32_e32 v123, v114, v190
	v_fma_f32 v5, v103, v177, -v5
	v_add_f32_e32 v122, v122, v123
	s_waitcnt lgkmcnt(0)
	v_mul_f32_e32 v123, v115, v189
	v_add_f32_e32 v4, v4, v5
	v_mul_f32_e32 v5, v106, v179
	v_fmac_f32_e32 v123, v116, v188
	v_fma_f32 v5, v105, v182, -v5
	v_add_f32_e32 v126, v122, v123
	ds_read_b128 v[122:125], v1 offset:912
	v_add_f32_e32 v4, v4, v5
	v_mul_f32_e32 v5, v108, v181
	v_fma_f32 v5, v107, v180, -v5
	s_waitcnt vmcnt(26)
	v_mul_f32_e32 v127, v117, v192
	v_add_f32_e32 v4, v4, v5
	v_mul_f32_e32 v5, v110, v184
	v_fmac_f32_e32 v127, v118, v191
	v_fma_f32 v5, v109, v183, -v5
	v_add_f32_e32 v130, v126, v127
	ds_read_b128 v[126:129], v1 offset:928
	v_add_f32_e32 v4, v4, v5
	v_mul_f32_e32 v5, v112, v186
	s_waitcnt vmcnt(24) lgkmcnt(1)
	v_mul_f32_e32 v131, v122, v194
	v_fma_f32 v5, v111, v185, -v5
	v_fmac_f32_e32 v131, v123, v193
	v_add_f32_e32 v4, v4, v5
	v_mul_f32_e32 v5, v114, v187
	v_add_f32_e32 v130, v130, v131
	s_waitcnt vmcnt(23)
	v_mul_f32_e32 v131, v124, v195
	v_fma_f32 v5, v113, v190, -v5
	s_waitcnt vmcnt(20)
	v_fmac_f32_e32 v131, v125, v198
	v_add_f32_e32 v4, v4, v5
	v_mul_f32_e32 v5, v116, v189
	v_add_f32_e32 v130, v130, v131
	s_waitcnt lgkmcnt(0)
	v_mul_f32_e32 v131, v126, v197
	v_fma_f32 v5, v115, v188, -v5
	v_fmac_f32_e32 v131, v127, v196
	v_add_f32_e32 v4, v4, v5
	v_mul_f32_e32 v5, v118, v192
	v_add_f32_e32 v134, v130, v131
	ds_read_b128 v[130:133], v1 offset:944
	v_fma_f32 v5, v117, v191, -v5
	v_add_f32_e32 v4, v4, v5
	v_mul_f32_e32 v5, v123, v194
	s_waitcnt vmcnt(18)
	v_mul_f32_e32 v135, v128, v200
	v_fma_f32 v5, v122, v193, -v5
	v_fmac_f32_e32 v135, v129, v199
	v_add_f32_e32 v4, v4, v5
	v_mul_f32_e32 v5, v125, v195
	v_add_f32_e32 v138, v134, v135
	ds_read_b128 v[134:137], v1 offset:960
	v_fma_f32 v5, v124, v198, -v5
	s_waitcnt vmcnt(16) lgkmcnt(1)
	v_mul_f32_e32 v139, v130, v202
	v_add_f32_e32 v4, v4, v5
	v_mul_f32_e32 v5, v127, v197
	v_fmac_f32_e32 v139, v131, v201
	v_fma_f32 v5, v126, v196, -v5
	v_add_f32_e32 v138, v138, v139
	s_waitcnt vmcnt(15)
	v_mul_f32_e32 v139, v132, v203
	v_add_f32_e32 v4, v4, v5
	v_mul_f32_e32 v5, v129, v200
	s_waitcnt vmcnt(12)
	v_fmac_f32_e32 v139, v133, v206
	v_fma_f32 v5, v128, v199, -v5
	v_add_f32_e32 v138, v138, v139
	s_waitcnt lgkmcnt(0)
	v_mul_f32_e32 v139, v134, v205
	v_add_f32_e32 v4, v4, v5
	v_mul_f32_e32 v5, v131, v202
	v_fmac_f32_e32 v139, v135, v204
	v_fma_f32 v5, v130, v201, -v5
	v_add_f32_e32 v142, v138, v139
	ds_read_b128 v[138:141], v1 offset:976
	v_add_f32_e32 v4, v4, v5
	v_mul_f32_e32 v5, v133, v203
	v_fma_f32 v5, v132, v206, -v5
	v_add_f32_e32 v4, v4, v5
	v_mul_f32_e32 v5, v135, v205
	s_waitcnt vmcnt(10)
	v_mul_f32_e32 v143, v136, v208
	v_fma_f32 v5, v134, v204, -v5
	v_fmac_f32_e32 v143, v137, v207
	v_add_f32_e32 v4, v4, v5
	v_mul_f32_e32 v5, v137, v208
	v_add_f32_e32 v146, v142, v143
	ds_read_b128 v[142:145], v1 offset:992
	s_waitcnt vmcnt(8) lgkmcnt(1)
	v_mul_f32_e32 v147, v138, v210
	v_fma_f32 v5, v136, v207, -v5
	v_fmac_f32_e32 v147, v139, v209
	v_add_f32_e32 v4, v4, v5
	v_mul_f32_e32 v5, v139, v210
	v_add_f32_e32 v146, v146, v147
	s_waitcnt vmcnt(7)
	v_mul_f32_e32 v147, v140, v211
	v_fma_f32 v5, v138, v209, -v5
	s_waitcnt vmcnt(4)
	v_fmac_f32_e32 v147, v141, v214
	v_add_f32_e32 v4, v4, v5
	v_mul_f32_e32 v5, v141, v211
	v_add_f32_e32 v219, v146, v147
	ds_read_b64 v[146:147], v1 offset:1008
	v_fma_f32 v5, v140, v214, -v5
	v_add_f32_e32 v4, v4, v5
	s_waitcnt lgkmcnt(1)
	v_mul_f32_e32 v5, v143, v213
	v_mul_f32_e32 v220, v142, v213
	v_fma_f32 v5, v142, v212, -v5
	v_fmac_f32_e32 v220, v143, v212
	v_add_f32_e32 v4, v4, v5
	s_waitcnt vmcnt(3)
	v_mul_f32_e32 v5, v145, v215
	v_add_f32_e32 v219, v219, v220
	v_mul_f32_e32 v220, v144, v215
	s_waitcnt vmcnt(0)
	v_fma_f32 v5, v144, v218, -v5
	v_fmac_f32_e32 v220, v145, v218
	v_add_f32_e32 v4, v4, v5
	s_waitcnt lgkmcnt(0)
	v_mul_f32_e32 v5, v147, v217
	v_add_f32_e32 v219, v219, v220
	v_mul_f32_e32 v220, v146, v217
	v_fma_f32 v5, v146, v216, -v5
	v_fmac_f32_e32 v220, v147, v216
	v_add_f32_e32 v4, v4, v5
	v_add_f32_e32 v219, v219, v220
	v_sub_f32_e32 v2, v2, v4
	v_sub_f32_e32 v3, v3, v219
	buffer_store_dword v2, off, s[0:3], 0 offset:72
	buffer_store_dword v3, off, s[0:3], 0 offset:76
	s_and_saveexec_b64 s[4:5], vcc
	s_cbranch_execz .LBB126_375
; %bb.374:
	buffer_load_dword v2, off, s[0:3], 0 offset:64
	buffer_load_dword v3, off, s[0:3], 0 offset:68
	s_waitcnt vmcnt(0)
	ds_write_b64 v25, v[2:3]
	buffer_store_dword v1, off, s[0:3], 0 offset:64
	buffer_store_dword v1, off, s[0:3], 0 offset:68
.LBB126_375:
	s_or_b64 exec, exec, s[4:5]
	s_waitcnt lgkmcnt(0)
	; wave barrier
	buffer_load_dword v10, off, s[0:3], 0 offset:76
	buffer_load_dword v9, off, s[0:3], 0 offset:84
	;; [unrolled: 1-line block ×40, first 2 shown]
	ds_read2_b64 v[36:39], v1 offset0:73 offset1:74
	ds_read2_b64 v[40:43], v1 offset0:75 offset1:76
	;; [unrolled: 1-line block ×6, first 2 shown]
	buffer_load_dword v153, off, s[0:3], 0 offset:224
	buffer_load_dword v154, off, s[0:3], 0 offset:228
	;; [unrolled: 1-line block ×12, first 2 shown]
	v_cmp_lt_u32_e32 vcc, 7, v0
	s_waitcnt vmcnt(51) lgkmcnt(5)
	v_mul_f32_e32 v60, v36, v10
	s_waitcnt vmcnt(50)
	v_mul_f32_e32 v61, v38, v9
	s_waitcnt vmcnt(49) lgkmcnt(4)
	v_mul_f32_e32 v62, v40, v8
	s_waitcnt vmcnt(48)
	v_mul_f32_e32 v63, v42, v7
	;; [unrolled: 4-line block ×5, first 2 shown]
	s_waitcnt vmcnt(41) lgkmcnt(0)
	v_mul_f32_e32 v70, v56, v14
	s_waitcnt vmcnt(40)
	v_fmac_f32_e32 v62, v41, v21
	s_waitcnt vmcnt(39)
	v_fmac_f32_e32 v61, v39, v24
	;; [unrolled: 2-line block ×3, first 2 shown]
	v_add_f32_e32 v60, 0, v60
	v_add_f32_e32 v60, v60, v61
	;; [unrolled: 1-line block ×3, first 2 shown]
	s_waitcnt vmcnt(34)
	v_fmac_f32_e32 v63, v43, v26
	v_fmac_f32_e32 v64, v45, v23
	v_add_f32_e32 v60, v60, v63
	v_fmac_f32_e32 v65, v47, v20
	v_add_f32_e32 v60, v60, v64
	;; [unrolled: 2-line block ×3, first 2 shown]
	s_waitcnt vmcnt(30)
	v_fmac_f32_e32 v67, v51, v22
	v_add_f32_e32 v60, v60, v66
	v_fmac_f32_e32 v68, v53, v19
	v_add_f32_e32 v60, v60, v67
	;; [unrolled: 2-line block ×4, first 2 shown]
	s_waitcnt vmcnt(29)
	v_mul_f32_e32 v65, v58, v18
	v_add_f32_e32 v64, v60, v70
	s_waitcnt vmcnt(25)
	v_fmac_f32_e32 v65, v59, v34
	ds_read2_b64 v[60:63], v1 offset0:85 offset1:86
	v_add_f32_e32 v68, v64, v65
	ds_read2_b64 v[64:67], v1 offset0:87 offset1:88
	buffer_load_dword v165, off, s[0:3], 0 offset:276
	buffer_load_dword v166, off, s[0:3], 0 offset:272
	buffer_load_dword v167, off, s[0:3], 0 offset:280
	buffer_load_dword v168, off, s[0:3], 0 offset:284
	buffer_load_dword v169, off, s[0:3], 0 offset:288
	buffer_load_dword v170, off, s[0:3], 0 offset:292
	s_waitcnt vmcnt(30) lgkmcnt(1)
	v_mul_f32_e32 v69, v60, v33
	v_fmac_f32_e32 v69, v61, v31
	v_add_f32_e32 v68, v68, v69
	s_waitcnt vmcnt(29)
	v_mul_f32_e32 v69, v62, v32
	v_fmac_f32_e32 v69, v63, v29
	v_add_f32_e32 v68, v68, v69
	s_waitcnt vmcnt(28) lgkmcnt(0)
	v_mul_f32_e32 v69, v64, v30
	v_fmac_f32_e32 v69, v65, v28
	v_add_f32_e32 v72, v68, v69
	ds_read2_b64 v[68:71], v1 offset0:89 offset1:90
	s_waitcnt vmcnt(27)
	v_mul_f32_e32 v73, v66, v35
	s_waitcnt vmcnt(21)
	v_fmac_f32_e32 v73, v67, v151
	v_add_f32_e32 v76, v72, v73
	ds_read2_b64 v[72:75], v1 offset0:91 offset1:92
	s_waitcnt vmcnt(20) lgkmcnt(1)
	v_mul_f32_e32 v77, v68, v152
	v_fmac_f32_e32 v77, v69, v150
	buffer_load_dword v171, off, s[0:3], 0 offset:300
	v_add_f32_e32 v76, v76, v77
	v_mul_f32_e32 v77, v70, v147
	v_fmac_f32_e32 v77, v71, v146
	v_add_f32_e32 v76, v76, v77
	s_waitcnt lgkmcnt(0)
	v_mul_f32_e32 v77, v72, v149
	buffer_load_dword v172, off, s[0:3], 0 offset:296
	buffer_load_dword v173, off, s[0:3], 0 offset:304
	;; [unrolled: 1-line block ×3, first 2 shown]
	v_fmac_f32_e32 v77, v73, v148
	v_add_f32_e32 v80, v76, v77
	ds_read2_b64 v[76:79], v1 offset0:93 offset1:94
	buffer_load_dword v175, off, s[0:3], 0 offset:312
	buffer_load_dword v176, off, s[0:3], 0 offset:316
	s_waitcnt vmcnt(22)
	v_mul_f32_e32 v81, v74, v154
	v_fmac_f32_e32 v81, v75, v153
	v_add_f32_e32 v84, v80, v81
	ds_read2_b64 v[80:83], v1 offset0:95 offset1:96
	buffer_load_dword v177, off, s[0:3], 0 offset:320
	buffer_load_dword v178, off, s[0:3], 0 offset:324
	;; [unrolled: 1-line block ×8, first 2 shown]
	s_waitcnt vmcnt(28) lgkmcnt(1)
	v_mul_f32_e32 v85, v76, v156
	buffer_load_dword v185, off, s[0:3], 0 offset:352
	buffer_load_dword v186, off, s[0:3], 0 offset:356
	v_fmac_f32_e32 v85, v77, v155
	v_add_f32_e32 v84, v84, v85
	s_waitcnt vmcnt(28)
	v_mul_f32_e32 v85, v78, v158
	v_fmac_f32_e32 v85, v79, v157
	v_add_f32_e32 v84, v84, v85
	s_waitcnt vmcnt(26) lgkmcnt(0)
	v_mul_f32_e32 v85, v80, v160
	v_fmac_f32_e32 v85, v81, v159
	v_add_f32_e32 v88, v84, v85
	ds_read2_b64 v[84:87], v1 offset0:97 offset1:98
	buffer_load_dword v187, off, s[0:3], 0 offset:360
	buffer_load_dword v188, off, s[0:3], 0 offset:364
	buffer_load_dword v189, off, s[0:3], 0 offset:372
	buffer_load_dword v190, off, s[0:3], 0 offset:376
	buffer_load_dword v191, off, s[0:3], 0 offset:380
	buffer_load_dword v192, off, s[0:3], 0 offset:368
	s_waitcnt vmcnt(30)
	v_mul_f32_e32 v89, v82, v162
	v_fmac_f32_e32 v89, v83, v161
	v_add_f32_e32 v92, v88, v89
	ds_read2_b64 v[88:91], v1 offset0:99 offset1:100
	buffer_load_dword v193, off, s[0:3], 0 offset:384
	buffer_load_dword v194, off, s[0:3], 0 offset:388
	;; [unrolled: 1-line block ×10, first 2 shown]
	v_mul_f32_e32 v10, v37, v10
	s_waitcnt vmcnt(38) lgkmcnt(1)
	v_mul_f32_e32 v93, v84, v164
	buffer_load_dword v203, off, s[0:3], 0 offset:424
	buffer_load_dword v204, off, s[0:3], 0 offset:428
	;; [unrolled: 1-line block ×6, first 2 shown]
	v_fma_f32 v10, v36, v27, -v10
	v_mul_f32_e32 v9, v39, v9
	v_fmac_f32_e32 v93, v85, v163
	v_add_f32_e32 v10, 0, v10
	v_fma_f32 v9, v38, v24, -v9
	v_mul_f32_e32 v8, v41, v8
	v_add_f32_e32 v92, v92, v93
	v_add_f32_e32 v9, v10, v9
	v_fma_f32 v8, v40, v21, -v8
	v_mul_f32_e32 v7, v43, v7
	v_add_f32_e32 v8, v9, v8
	v_fma_f32 v7, v42, v26, -v7
	v_mul_f32_e32 v6, v45, v6
	;; [unrolled: 3-line block ×4, first 2 shown]
	v_add_f32_e32 v3, v6, v3
	s_waitcnt vmcnt(43)
	v_mul_f32_e32 v93, v86, v165
	s_waitcnt vmcnt(42)
	v_fmac_f32_e32 v93, v87, v166
	v_add_f32_e32 v92, v92, v93
	s_waitcnt vmcnt(40) lgkmcnt(0)
	v_mul_f32_e32 v93, v88, v168
	v_fmac_f32_e32 v93, v89, v167
	v_add_f32_e32 v96, v92, v93
	ds_read2_b64 v[92:95], v1 offset0:101 offset1:102
	buffer_load_dword v209, off, s[0:3], 0 offset:448
	buffer_load_dword v210, off, s[0:3], 0 offset:452
	v_fma_f32 v2, v48, v17, -v2
	v_add_f32_e32 v2, v3, v2
	v_mul_f32_e32 v3, v51, v11
	v_fma_f32 v3, v50, v22, -v3
	s_waitcnt vmcnt(40)
	v_mul_f32_e32 v97, v90, v170
	v_add_f32_e32 v2, v2, v3
	v_mul_f32_e32 v3, v53, v12
	v_fmac_f32_e32 v97, v91, v169
	v_fma_f32 v3, v52, v19, -v3
	v_add_f32_e32 v100, v96, v97
	ds_read2_b64 v[96:99], v1 offset0:103 offset1:104
	buffer_load_dword v211, off, s[0:3], 0 offset:456
	buffer_load_dword v212, off, s[0:3], 0 offset:460
	;; [unrolled: 1-line block ×6, first 2 shown]
	v_add_f32_e32 v2, v2, v3
	v_mul_f32_e32 v3, v55, v13
	v_fma_f32 v3, v54, v16, -v3
	v_add_f32_e32 v2, v2, v3
	v_mul_f32_e32 v3, v57, v14
	v_fma_f32 v3, v56, v15, -v3
	;; [unrolled: 3-line block ×3, first 2 shown]
	v_add_f32_e32 v2, v2, v3
	v_mul_f32_e32 v3, v61, v33
	buffer_load_dword v217, off, s[0:3], 0 offset:480
	buffer_load_dword v218, off, s[0:3], 0 offset:484
	;; [unrolled: 1-line block ×6, first 2 shown]
	v_fma_f32 v3, v60, v31, -v3
	v_add_f32_e32 v2, v2, v3
	v_mul_f32_e32 v3, v63, v32
	v_fma_f32 v3, v62, v29, -v3
	v_add_f32_e32 v2, v2, v3
	v_mul_f32_e32 v3, v65, v30
	;; [unrolled: 3-line block ×7, first 2 shown]
	v_fma_f32 v3, v74, v153, -v3
	s_waitcnt vmcnt(51) lgkmcnt(1)
	v_mul_f32_e32 v101, v92, v171
	v_add_f32_e32 v2, v2, v3
	v_mul_f32_e32 v3, v77, v156
	s_waitcnt vmcnt(50)
	v_fmac_f32_e32 v101, v93, v172
	v_fma_f32 v3, v76, v155, -v3
	v_add_f32_e32 v100, v100, v101
	s_waitcnt vmcnt(48)
	v_mul_f32_e32 v101, v94, v174
	v_add_f32_e32 v2, v2, v3
	v_mul_f32_e32 v3, v79, v158
	v_fmac_f32_e32 v101, v95, v173
	v_fma_f32 v3, v78, v157, -v3
	v_add_f32_e32 v100, v100, v101
	s_waitcnt vmcnt(46) lgkmcnt(0)
	v_mul_f32_e32 v101, v96, v176
	v_add_f32_e32 v2, v2, v3
	v_mul_f32_e32 v3, v81, v160
	v_fmac_f32_e32 v101, v97, v175
	v_fma_f32 v3, v80, v159, -v3
	v_add_f32_e32 v104, v100, v101
	ds_read2_b64 v[100:103], v1 offset0:105 offset1:106
	v_add_f32_e32 v2, v2, v3
	v_mul_f32_e32 v3, v83, v162
	v_fma_f32 v3, v82, v161, -v3
	s_waitcnt vmcnt(44)
	v_mul_f32_e32 v105, v98, v178
	v_add_f32_e32 v2, v2, v3
	v_mul_f32_e32 v3, v85, v164
	v_fmac_f32_e32 v105, v99, v177
	v_fma_f32 v3, v84, v163, -v3
	v_add_f32_e32 v108, v104, v105
	ds_read2_b64 v[104:107], v1 offset0:107 offset1:108
	v_add_f32_e32 v2, v2, v3
	v_mul_f32_e32 v3, v87, v165
	s_waitcnt vmcnt(42) lgkmcnt(1)
	v_mul_f32_e32 v109, v100, v180
	v_fma_f32 v3, v86, v166, -v3
	v_fmac_f32_e32 v109, v101, v179
	v_add_f32_e32 v2, v2, v3
	v_mul_f32_e32 v3, v89, v168
	v_add_f32_e32 v108, v108, v109
	s_waitcnt vmcnt(41)
	v_mul_f32_e32 v109, v102, v181
	v_fma_f32 v3, v88, v167, -v3
	s_waitcnt vmcnt(38)
	v_fmac_f32_e32 v109, v103, v184
	v_add_f32_e32 v2, v2, v3
	v_mul_f32_e32 v3, v91, v170
	v_add_f32_e32 v108, v108, v109
	s_waitcnt lgkmcnt(0)
	v_mul_f32_e32 v109, v104, v183
	v_fma_f32 v3, v90, v169, -v3
	v_fmac_f32_e32 v109, v105, v182
	v_add_f32_e32 v2, v2, v3
	v_mul_f32_e32 v3, v93, v171
	v_add_f32_e32 v112, v108, v109
	ds_read2_b64 v[108:111], v1 offset0:109 offset1:110
	v_fma_f32 v3, v92, v172, -v3
	v_add_f32_e32 v2, v2, v3
	v_mul_f32_e32 v3, v95, v174
	s_waitcnt vmcnt(36)
	v_mul_f32_e32 v113, v106, v186
	v_fma_f32 v3, v94, v173, -v3
	v_fmac_f32_e32 v113, v107, v185
	v_add_f32_e32 v2, v2, v3
	v_mul_f32_e32 v3, v97, v176
	v_add_f32_e32 v116, v112, v113
	ds_read2_b64 v[112:115], v1 offset0:111 offset1:112
	v_fma_f32 v3, v96, v175, -v3
	s_waitcnt vmcnt(34) lgkmcnt(1)
	v_mul_f32_e32 v117, v108, v188
	v_add_f32_e32 v2, v2, v3
	v_mul_f32_e32 v3, v99, v178
	v_fmac_f32_e32 v117, v109, v187
	v_fma_f32 v3, v98, v177, -v3
	v_add_f32_e32 v116, v116, v117
	s_waitcnt vmcnt(33)
	v_mul_f32_e32 v117, v110, v189
	v_add_f32_e32 v2, v2, v3
	v_mul_f32_e32 v3, v101, v180
	s_waitcnt vmcnt(30)
	v_fmac_f32_e32 v117, v111, v192
	v_fma_f32 v3, v100, v179, -v3
	v_add_f32_e32 v116, v116, v117
	s_waitcnt lgkmcnt(0)
	v_mul_f32_e32 v117, v112, v191
	v_add_f32_e32 v2, v2, v3
	v_mul_f32_e32 v3, v103, v181
	v_fmac_f32_e32 v117, v113, v190
	v_fma_f32 v3, v102, v184, -v3
	v_add_f32_e32 v122, v116, v117
	ds_read2_b64 v[116:119], v1 offset0:113 offset1:114
	v_add_f32_e32 v2, v2, v3
	v_mul_f32_e32 v3, v105, v183
	v_fma_f32 v3, v104, v182, -v3
	s_waitcnt vmcnt(28)
	v_mul_f32_e32 v123, v114, v194
	v_add_f32_e32 v2, v2, v3
	v_mul_f32_e32 v3, v107, v186
	v_fmac_f32_e32 v123, v115, v193
	v_fma_f32 v3, v106, v185, -v3
	v_add_f32_e32 v126, v122, v123
	ds_read2_b64 v[122:125], v1 offset0:115 offset1:116
	v_add_f32_e32 v2, v2, v3
	v_mul_f32_e32 v3, v109, v188
	s_waitcnt vmcnt(26) lgkmcnt(1)
	v_mul_f32_e32 v127, v116, v196
	v_fma_f32 v3, v108, v187, -v3
	v_fmac_f32_e32 v127, v117, v195
	v_add_f32_e32 v2, v2, v3
	v_mul_f32_e32 v3, v111, v189
	v_add_f32_e32 v126, v126, v127
	s_waitcnt vmcnt(25)
	v_mul_f32_e32 v127, v118, v197
	v_fma_f32 v3, v110, v192, -v3
	s_waitcnt vmcnt(22)
	v_fmac_f32_e32 v127, v119, v200
	v_add_f32_e32 v2, v2, v3
	v_mul_f32_e32 v3, v113, v191
	v_add_f32_e32 v126, v126, v127
	s_waitcnt lgkmcnt(0)
	v_mul_f32_e32 v127, v122, v199
	v_fma_f32 v3, v112, v190, -v3
	v_fmac_f32_e32 v127, v123, v198
	v_add_f32_e32 v2, v2, v3
	v_mul_f32_e32 v3, v115, v194
	v_add_f32_e32 v130, v126, v127
	ds_read2_b64 v[126:129], v1 offset0:117 offset1:118
	v_fma_f32 v3, v114, v193, -v3
	v_add_f32_e32 v2, v2, v3
	v_mul_f32_e32 v3, v117, v196
	s_waitcnt vmcnt(20)
	v_mul_f32_e32 v131, v124, v202
	v_fma_f32 v3, v116, v195, -v3
	v_fmac_f32_e32 v131, v125, v201
	v_add_f32_e32 v2, v2, v3
	v_mul_f32_e32 v3, v119, v197
	v_add_f32_e32 v134, v130, v131
	ds_read2_b64 v[130:133], v1 offset0:119 offset1:120
	v_fma_f32 v3, v118, v200, -v3
	s_waitcnt vmcnt(18) lgkmcnt(1)
	v_mul_f32_e32 v135, v126, v204
	v_add_f32_e32 v2, v2, v3
	v_mul_f32_e32 v3, v123, v199
	v_fmac_f32_e32 v135, v127, v203
	v_fma_f32 v3, v122, v198, -v3
	v_add_f32_e32 v134, v134, v135
	s_waitcnt vmcnt(17)
	v_mul_f32_e32 v135, v128, v205
	v_add_f32_e32 v2, v2, v3
	v_mul_f32_e32 v3, v125, v202
	s_waitcnt vmcnt(14)
	v_fmac_f32_e32 v135, v129, v208
	v_fma_f32 v3, v124, v201, -v3
	v_add_f32_e32 v134, v134, v135
	s_waitcnt lgkmcnt(0)
	v_mul_f32_e32 v135, v130, v207
	v_add_f32_e32 v2, v2, v3
	v_mul_f32_e32 v3, v127, v204
	v_fmac_f32_e32 v135, v131, v206
	v_fma_f32 v3, v126, v203, -v3
	v_add_f32_e32 v138, v134, v135
	ds_read2_b64 v[134:137], v1 offset0:121 offset1:122
	v_add_f32_e32 v2, v2, v3
	v_mul_f32_e32 v3, v129, v205
	v_fma_f32 v3, v128, v208, -v3
	v_add_f32_e32 v2, v2, v3
	v_mul_f32_e32 v3, v131, v207
	s_waitcnt vmcnt(12)
	v_mul_f32_e32 v139, v132, v210
	v_fma_f32 v3, v130, v206, -v3
	v_fmac_f32_e32 v139, v133, v209
	v_add_f32_e32 v2, v2, v3
	v_mul_f32_e32 v3, v133, v210
	v_add_f32_e32 v142, v138, v139
	ds_read2_b64 v[138:141], v1 offset0:123 offset1:124
	s_waitcnt vmcnt(10) lgkmcnt(1)
	v_mul_f32_e32 v143, v134, v212
	v_fma_f32 v3, v132, v209, -v3
	v_fmac_f32_e32 v143, v135, v211
	v_add_f32_e32 v2, v2, v3
	v_mul_f32_e32 v3, v135, v212
	v_add_f32_e32 v142, v142, v143
	s_waitcnt vmcnt(9)
	v_mul_f32_e32 v143, v136, v213
	v_fma_f32 v3, v134, v211, -v3
	s_waitcnt vmcnt(6)
	v_fmac_f32_e32 v143, v137, v216
	v_add_f32_e32 v2, v2, v3
	v_mul_f32_e32 v3, v137, v213
	v_add_f32_e32 v223, v142, v143
	ds_read2_b64 v[142:145], v1 offset0:125 offset1:126
	v_fma_f32 v3, v136, v216, -v3
	v_add_f32_e32 v2, v2, v3
	s_waitcnt lgkmcnt(1)
	v_mul_f32_e32 v3, v139, v215
	v_mul_f32_e32 v224, v138, v215
	v_fma_f32 v3, v138, v214, -v3
	v_fmac_f32_e32 v224, v139, v214
	v_add_f32_e32 v2, v2, v3
	s_waitcnt vmcnt(4)
	v_mul_f32_e32 v3, v141, v218
	v_add_f32_e32 v1, v223, v224
	v_mul_f32_e32 v223, v140, v218
	v_fma_f32 v3, v140, v217, -v3
	v_fmac_f32_e32 v223, v141, v217
	v_add_f32_e32 v2, v2, v3
	s_waitcnt vmcnt(3) lgkmcnt(0)
	v_mul_f32_e32 v3, v143, v219
	v_add_f32_e32 v1, v1, v223
	v_mul_f32_e32 v223, v142, v219
	s_waitcnt vmcnt(0)
	v_fma_f32 v3, v142, v222, -v3
	v_fmac_f32_e32 v223, v143, v222
	v_add_f32_e32 v2, v2, v3
	v_mul_f32_e32 v3, v145, v221
	v_add_f32_e32 v1, v1, v223
	v_mul_f32_e32 v223, v144, v221
	v_fma_f32 v3, v144, v220, -v3
	v_fmac_f32_e32 v223, v145, v220
	v_add_f32_e32 v2, v2, v3
	v_add_f32_e32 v1, v1, v223
	v_sub_f32_e32 v2, v4, v2
	v_sub_f32_e32 v1, v5, v1
	buffer_store_dword v2, off, s[0:3], 0 offset:64
	buffer_store_dword v1, off, s[0:3], 0 offset:68
	s_and_saveexec_b64 s[4:5], vcc
	s_cbranch_execz .LBB126_377
; %bb.376:
	buffer_load_dword v1, off, s[0:3], 0 offset:56
	buffer_load_dword v2, off, s[0:3], 0 offset:60
	v_mov_b32_e32 v3, 0
	buffer_store_dword v3, off, s[0:3], 0 offset:56
	buffer_store_dword v3, off, s[0:3], 0 offset:60
	s_waitcnt vmcnt(2)
	ds_write_b64 v25, v[1:2]
.LBB126_377:
	s_or_b64 exec, exec, s[4:5]
	s_waitcnt lgkmcnt(0)
	; wave barrier
	buffer_load_dword v10, off, s[0:3], 0 offset:68
	buffer_load_dword v9, off, s[0:3], 0 offset:76
	;; [unrolled: 1-line block ×52, first 2 shown]
	v_mov_b32_e32 v1, 0
	ds_read_b128 v[42:45], v1 offset:576
	ds_read_b128 v[46:49], v1 offset:592
	;; [unrolled: 1-line block ×6, first 2 shown]
	buffer_load_dword v167, off, s[0:3], 0 offset:264
	buffer_load_dword v168, off, s[0:3], 0 offset:268
	v_cmp_lt_u32_e32 vcc, 6, v0
	s_waitcnt vmcnt(53) lgkmcnt(5)
	v_mul_f32_e32 v66, v42, v10
	s_waitcnt vmcnt(52)
	v_mul_f32_e32 v67, v44, v9
	s_waitcnt vmcnt(51) lgkmcnt(4)
	v_mul_f32_e32 v68, v46, v8
	s_waitcnt vmcnt(50)
	v_mul_f32_e32 v69, v48, v7
	s_waitcnt vmcnt(49) lgkmcnt(3)
	v_mul_f32_e32 v70, v50, v6
	s_waitcnt vmcnt(48)
	v_mul_f32_e32 v71, v52, v5
	s_waitcnt vmcnt(47) lgkmcnt(2)
	v_mul_f32_e32 v72, v54, v4
	s_waitcnt vmcnt(46)
	v_mul_f32_e32 v73, v56, v11
	s_waitcnt vmcnt(45) lgkmcnt(1)
	v_mul_f32_e32 v74, v58, v12
	s_waitcnt vmcnt(44)
	v_mul_f32_e32 v75, v60, v13
	s_waitcnt vmcnt(43) lgkmcnt(0)
	v_mul_f32_e32 v76, v62, v14
	s_waitcnt vmcnt(42)
	v_fmac_f32_e32 v68, v47, v21
	s_waitcnt vmcnt(41)
	v_fmac_f32_e32 v67, v45, v24
	;; [unrolled: 2-line block ×3, first 2 shown]
	v_add_f32_e32 v66, 0, v66
	v_add_f32_e32 v66, v66, v67
	;; [unrolled: 1-line block ×3, first 2 shown]
	s_waitcnt vmcnt(36)
	v_fmac_f32_e32 v69, v49, v26
	v_fmac_f32_e32 v70, v51, v23
	v_add_f32_e32 v66, v66, v69
	v_fmac_f32_e32 v71, v53, v20
	v_add_f32_e32 v66, v66, v70
	;; [unrolled: 2-line block ×3, first 2 shown]
	s_waitcnt vmcnt(32)
	v_fmac_f32_e32 v73, v57, v22
	v_add_f32_e32 v66, v66, v72
	v_fmac_f32_e32 v74, v59, v19
	v_add_f32_e32 v66, v66, v73
	;; [unrolled: 2-line block ×3, first 2 shown]
	v_add_f32_e32 v66, v66, v75
	v_fmac_f32_e32 v76, v63, v15
	v_add_f32_e32 v70, v66, v76
	ds_read_b128 v[66:69], v1 offset:672
	buffer_load_dword v169, off, s[0:3], 0 offset:272
	buffer_load_dword v170, off, s[0:3], 0 offset:276
	s_waitcnt vmcnt(33)
	v_mul_f32_e32 v71, v64, v18
	s_waitcnt vmcnt(28)
	v_fmac_f32_e32 v71, v65, v35
	v_add_f32_e32 v74, v70, v71
	ds_read_b128 v[70:73], v1 offset:688
	buffer_load_dword v171, off, s[0:3], 0 offset:280
	buffer_load_dword v172, off, s[0:3], 0 offset:284
	s_waitcnt vmcnt(29) lgkmcnt(1)
	v_mul_f32_e32 v75, v66, v33
	v_fmac_f32_e32 v75, v67, v31
	v_add_f32_e32 v74, v74, v75
	s_waitcnt vmcnt(28)
	v_mul_f32_e32 v75, v68, v32
	v_fmac_f32_e32 v75, v69, v30
	v_add_f32_e32 v74, v74, v75
	s_waitcnt lgkmcnt(0)
	v_mul_f32_e32 v75, v70, v29
	v_fmac_f32_e32 v75, v71, v28
	v_add_f32_e32 v78, v74, v75
	ds_read_b128 v[74:77], v1 offset:704
	s_waitcnt vmcnt(27)
	v_mul_f32_e32 v79, v72, v34
	s_waitcnt vmcnt(20)
	v_fmac_f32_e32 v79, v73, v154
	v_add_f32_e32 v82, v78, v79
	buffer_load_dword v173, off, s[0:3], 0 offset:288
	buffer_load_dword v174, off, s[0:3], 0 offset:292
	ds_read_b128 v[78:81], v1 offset:720
	s_waitcnt lgkmcnt(1)
	v_mul_f32_e32 v83, v74, v37
	v_fmac_f32_e32 v83, v75, v36
	v_add_f32_e32 v82, v82, v83
	v_mul_f32_e32 v83, v76, v39
	v_fmac_f32_e32 v83, v77, v38
	buffer_load_dword v175, off, s[0:3], 0 offset:300
	buffer_load_dword v176, off, s[0:3], 0 offset:296
	;; [unrolled: 1-line block ×4, first 2 shown]
	v_add_f32_e32 v82, v82, v83
	s_waitcnt lgkmcnt(0)
	v_mul_f32_e32 v83, v78, v41
	v_fmac_f32_e32 v83, v79, v40
	s_waitcnt vmcnt(22)
	v_mul_f32_e32 v87, v80, v156
	v_add_f32_e32 v86, v82, v83
	v_fmac_f32_e32 v87, v81, v155
	ds_read_b128 v[82:85], v1 offset:736
	v_add_f32_e32 v90, v86, v87
	ds_read_b128 v[86:89], v1 offset:752
	buffer_load_dword v179, off, s[0:3], 0 offset:312
	buffer_load_dword v180, off, s[0:3], 0 offset:316
	;; [unrolled: 1-line block ×8, first 2 shown]
	s_waitcnt vmcnt(28) lgkmcnt(1)
	v_mul_f32_e32 v91, v82, v158
	v_fmac_f32_e32 v91, v83, v157
	buffer_load_dword v187, off, s[0:3], 0 offset:344
	buffer_load_dword v188, off, s[0:3], 0 offset:348
	v_add_f32_e32 v90, v90, v91
	s_waitcnt vmcnt(28)
	v_mul_f32_e32 v91, v84, v160
	v_fmac_f32_e32 v91, v85, v159
	v_add_f32_e32 v90, v90, v91
	s_waitcnt vmcnt(26) lgkmcnt(0)
	v_mul_f32_e32 v91, v86, v162
	v_fmac_f32_e32 v91, v87, v161
	v_add_f32_e32 v94, v90, v91
	ds_read_b128 v[90:93], v1 offset:768
	buffer_load_dword v189, off, s[0:3], 0 offset:352
	buffer_load_dword v190, off, s[0:3], 0 offset:356
	buffer_load_dword v191, off, s[0:3], 0 offset:364
	buffer_load_dword v192, off, s[0:3], 0 offset:368
	buffer_load_dword v193, off, s[0:3], 0 offset:372
	buffer_load_dword v194, off, s[0:3], 0 offset:360
	s_waitcnt vmcnt(30)
	v_mul_f32_e32 v95, v88, v164
	v_fmac_f32_e32 v95, v89, v163
	v_add_f32_e32 v98, v94, v95
	ds_read_b128 v[94:97], v1 offset:784
	buffer_load_dword v195, off, s[0:3], 0 offset:376
	buffer_load_dword v196, off, s[0:3], 0 offset:380
	;; [unrolled: 1-line block ×8, first 2 shown]
	s_waitcnt vmcnt(36) lgkmcnt(1)
	v_mul_f32_e32 v99, v90, v166
	v_fmac_f32_e32 v99, v91, v165
	buffer_load_dword v203, off, s[0:3], 0 offset:408
	buffer_load_dword v204, off, s[0:3], 0 offset:412
	v_add_f32_e32 v98, v98, v99
	s_waitcnt vmcnt(36)
	v_mul_f32_e32 v99, v92, v168
	v_mul_f32_e32 v10, v43, v10
	v_fmac_f32_e32 v99, v93, v167
	v_fma_f32 v10, v42, v27, -v10
	v_mul_f32_e32 v9, v45, v9
	v_add_f32_e32 v98, v98, v99
	v_add_f32_e32 v10, 0, v10
	v_fma_f32 v9, v44, v24, -v9
	v_mul_f32_e32 v8, v47, v8
	v_add_f32_e32 v9, v10, v9
	v_fma_f32 v8, v46, v21, -v8
	v_mul_f32_e32 v7, v49, v7
	;; [unrolled: 3-line block ×4, first 2 shown]
	v_add_f32_e32 v6, v7, v6
	v_fma_f32 v5, v52, v20, -v5
	s_waitcnt vmcnt(34) lgkmcnt(0)
	v_mul_f32_e32 v99, v94, v170
	v_fmac_f32_e32 v99, v95, v169
	v_add_f32_e32 v102, v98, v99
	ds_read_b128 v[98:101], v1 offset:800
	buffer_load_dword v205, off, s[0:3], 0 offset:416
	buffer_load_dword v206, off, s[0:3], 0 offset:420
	;; [unrolled: 1-line block ×6, first 2 shown]
	s_waitcnt vmcnt(38)
	v_mul_f32_e32 v103, v96, v172
	v_fmac_f32_e32 v103, v97, v171
	v_mul_f32_e32 v4, v55, v4
	v_add_f32_e32 v106, v102, v103
	ds_read_b128 v[102:105], v1 offset:816
	buffer_load_dword v211, off, s[0:3], 0 offset:440
	buffer_load_dword v212, off, s[0:3], 0 offset:444
	v_add_f32_e32 v5, v6, v5
	v_fma_f32 v4, v54, v17, -v4
	v_add_f32_e32 v4, v5, v4
	v_mul_f32_e32 v5, v57, v11
	v_fma_f32 v5, v56, v22, -v5
	v_add_f32_e32 v4, v4, v5
	v_mul_f32_e32 v5, v59, v12
	v_fma_f32 v5, v58, v19, -v5
	buffer_load_dword v213, off, s[0:3], 0 offset:448
	buffer_load_dword v214, off, s[0:3], 0 offset:452
	;; [unrolled: 1-line block ×6, first 2 shown]
	v_add_f32_e32 v4, v4, v5
	v_mul_f32_e32 v5, v61, v13
	v_fma_f32 v5, v60, v16, -v5
	v_add_f32_e32 v4, v4, v5
	v_mul_f32_e32 v5, v63, v14
	buffer_load_dword v219, off, s[0:3], 0 offset:472
	buffer_load_dword v220, off, s[0:3], 0 offset:476
	v_fma_f32 v5, v62, v15, -v5
	v_add_f32_e32 v4, v4, v5
	v_mul_f32_e32 v5, v65, v18
	v_fma_f32 v5, v64, v35, -v5
	v_add_f32_e32 v4, v4, v5
	v_mul_f32_e32 v5, v67, v33
	;; [unrolled: 3-line block ×3, first 2 shown]
	buffer_load_dword v221, off, s[0:3], 0 offset:480
	buffer_load_dword v222, off, s[0:3], 0 offset:484
	;; [unrolled: 1-line block ×6, first 2 shown]
	v_fma_f32 v5, v68, v30, -v5
	v_add_f32_e32 v4, v4, v5
	v_mul_f32_e32 v5, v71, v29
	v_fma_f32 v5, v70, v28, -v5
	v_add_f32_e32 v4, v4, v5
	v_mul_f32_e32 v5, v73, v34
	;; [unrolled: 3-line block ×11, first 2 shown]
	s_waitcnt vmcnt(52) lgkmcnt(1)
	v_mul_f32_e32 v107, v98, v174
	v_fma_f32 v5, v90, v165, -v5
	v_fmac_f32_e32 v107, v99, v173
	v_add_f32_e32 v4, v4, v5
	v_mul_f32_e32 v5, v93, v168
	v_add_f32_e32 v106, v106, v107
	s_waitcnt vmcnt(51)
	v_mul_f32_e32 v107, v100, v175
	v_fma_f32 v5, v92, v167, -v5
	s_waitcnt vmcnt(50)
	v_fmac_f32_e32 v107, v101, v176
	v_add_f32_e32 v4, v4, v5
	v_mul_f32_e32 v5, v95, v170
	v_add_f32_e32 v106, v106, v107
	s_waitcnt vmcnt(48) lgkmcnt(0)
	v_mul_f32_e32 v107, v102, v178
	v_fma_f32 v5, v94, v169, -v5
	v_fmac_f32_e32 v107, v103, v177
	v_add_f32_e32 v4, v4, v5
	v_mul_f32_e32 v5, v97, v172
	v_add_f32_e32 v110, v106, v107
	ds_read_b128 v[106:109], v1 offset:832
	v_fma_f32 v5, v96, v171, -v5
	v_add_f32_e32 v4, v4, v5
	v_mul_f32_e32 v5, v99, v174
	s_waitcnt vmcnt(46)
	v_mul_f32_e32 v111, v104, v180
	v_fma_f32 v5, v98, v173, -v5
	v_fmac_f32_e32 v111, v105, v179
	v_add_f32_e32 v4, v4, v5
	v_mul_f32_e32 v5, v101, v175
	v_add_f32_e32 v114, v110, v111
	ds_read_b128 v[110:113], v1 offset:848
	v_fma_f32 v5, v100, v176, -v5
	s_waitcnt vmcnt(44) lgkmcnt(1)
	v_mul_f32_e32 v115, v106, v182
	v_add_f32_e32 v4, v4, v5
	v_mul_f32_e32 v5, v103, v178
	v_fmac_f32_e32 v115, v107, v181
	v_fma_f32 v5, v102, v177, -v5
	v_add_f32_e32 v114, v114, v115
	s_waitcnt vmcnt(43)
	v_mul_f32_e32 v115, v108, v183
	v_add_f32_e32 v4, v4, v5
	v_mul_f32_e32 v5, v105, v180
	s_waitcnt vmcnt(40)
	v_fmac_f32_e32 v115, v109, v186
	v_fma_f32 v5, v104, v179, -v5
	v_add_f32_e32 v114, v114, v115
	s_waitcnt lgkmcnt(0)
	v_mul_f32_e32 v115, v110, v185
	v_add_f32_e32 v4, v4, v5
	v_mul_f32_e32 v5, v107, v182
	v_fmac_f32_e32 v115, v111, v184
	v_fma_f32 v5, v106, v181, -v5
	v_add_f32_e32 v118, v114, v115
	ds_read_b128 v[114:117], v1 offset:864
	ds_read_b128 v[122:125], v1 offset:880
	v_add_f32_e32 v4, v4, v5
	v_mul_f32_e32 v5, v109, v183
	v_fma_f32 v5, v108, v186, -v5
	v_add_f32_e32 v4, v4, v5
	v_mul_f32_e32 v5, v111, v185
	s_waitcnt vmcnt(38)
	v_mul_f32_e32 v119, v112, v188
	v_fma_f32 v5, v110, v184, -v5
	v_fmac_f32_e32 v119, v113, v187
	v_add_f32_e32 v4, v4, v5
	v_mul_f32_e32 v5, v113, v188
	v_add_f32_e32 v118, v118, v119
	s_waitcnt vmcnt(36) lgkmcnt(1)
	v_mul_f32_e32 v119, v114, v190
	v_fma_f32 v5, v112, v187, -v5
	v_fmac_f32_e32 v119, v115, v189
	v_add_f32_e32 v4, v4, v5
	v_mul_f32_e32 v5, v115, v190
	v_add_f32_e32 v118, v118, v119
	s_waitcnt vmcnt(35)
	v_mul_f32_e32 v119, v116, v191
	v_fma_f32 v5, v114, v189, -v5
	s_waitcnt vmcnt(32)
	v_fmac_f32_e32 v119, v117, v194
	ds_read_b128 v[126:129], v1 offset:896
	ds_read_b128 v[130:133], v1 offset:912
	v_add_f32_e32 v4, v4, v5
	v_mul_f32_e32 v5, v117, v191
	v_add_f32_e32 v118, v118, v119
	s_waitcnt lgkmcnt(2)
	v_mul_f32_e32 v119, v122, v193
	v_fma_f32 v5, v116, v194, -v5
	v_fmac_f32_e32 v119, v123, v192
	v_add_f32_e32 v4, v4, v5
	v_mul_f32_e32 v5, v123, v193
	v_add_f32_e32 v118, v118, v119
	s_waitcnt vmcnt(30)
	v_mul_f32_e32 v119, v124, v196
	v_fma_f32 v5, v122, v192, -v5
	v_fmac_f32_e32 v119, v125, v195
	v_add_f32_e32 v4, v4, v5
	v_mul_f32_e32 v5, v125, v196
	v_add_f32_e32 v118, v118, v119
	s_waitcnt vmcnt(28) lgkmcnt(1)
	v_mul_f32_e32 v119, v126, v198
	v_fma_f32 v5, v124, v195, -v5
	v_fmac_f32_e32 v119, v127, v197
	v_add_f32_e32 v4, v4, v5
	v_mul_f32_e32 v5, v127, v198
	v_add_f32_e32 v118, v118, v119
	s_waitcnt vmcnt(27)
	v_mul_f32_e32 v119, v128, v199
	v_fma_f32 v5, v126, v197, -v5
	s_waitcnt vmcnt(24)
	v_fmac_f32_e32 v119, v129, v202
	ds_read_b128 v[134:137], v1 offset:928
	ds_read_b128 v[138:141], v1 offset:944
	v_add_f32_e32 v4, v4, v5
	v_mul_f32_e32 v5, v129, v199
	v_add_f32_e32 v118, v118, v119
	s_waitcnt lgkmcnt(2)
	v_mul_f32_e32 v119, v130, v201
	v_fma_f32 v5, v128, v202, -v5
	v_fmac_f32_e32 v119, v131, v200
	v_add_f32_e32 v4, v4, v5
	v_mul_f32_e32 v5, v131, v201
	v_add_f32_e32 v118, v118, v119
	;; [unrolled: 31-line block ×3, first 2 shown]
	s_waitcnt vmcnt(14)
	v_mul_f32_e32 v119, v140, v212
	v_fma_f32 v5, v138, v208, -v5
	v_fmac_f32_e32 v119, v141, v211
	v_add_f32_e32 v4, v4, v5
	v_mul_f32_e32 v5, v141, v212
	v_add_f32_e32 v118, v118, v119
	s_waitcnt vmcnt(12) lgkmcnt(1)
	v_mul_f32_e32 v119, v142, v214
	v_fma_f32 v5, v140, v211, -v5
	v_fmac_f32_e32 v119, v143, v213
	v_add_f32_e32 v4, v4, v5
	v_mul_f32_e32 v5, v143, v214
	v_add_f32_e32 v118, v118, v119
	s_waitcnt vmcnt(11)
	v_mul_f32_e32 v119, v144, v215
	v_fma_f32 v5, v142, v213, -v5
	s_waitcnt vmcnt(8)
	v_fmac_f32_e32 v119, v145, v218
	v_add_f32_e32 v4, v4, v5
	v_mul_f32_e32 v5, v145, v215
	v_add_f32_e32 v118, v118, v119
	s_waitcnt lgkmcnt(0)
	v_mul_f32_e32 v119, v146, v217
	ds_read_b128 v[150:153], v1 offset:992
	v_fma_f32 v5, v144, v218, -v5
	v_fmac_f32_e32 v119, v147, v216
	v_add_f32_e32 v4, v4, v5
	v_mul_f32_e32 v5, v147, v217
	v_add_f32_e32 v118, v118, v119
	s_waitcnt vmcnt(6)
	v_mul_f32_e32 v119, v148, v220
	v_fma_f32 v5, v146, v216, -v5
	v_fmac_f32_e32 v119, v149, v219
	v_add_f32_e32 v4, v4, v5
	v_mul_f32_e32 v5, v149, v220
	v_add_f32_e32 v227, v118, v119
	ds_read_b64 v[118:119], v1 offset:1008
	v_fma_f32 v5, v148, v219, -v5
	v_add_f32_e32 v4, v4, v5
	s_waitcnt vmcnt(4) lgkmcnt(1)
	v_mul_f32_e32 v5, v151, v222
	v_mul_f32_e32 v228, v150, v222
	v_fma_f32 v5, v150, v221, -v5
	v_fmac_f32_e32 v228, v151, v221
	v_add_f32_e32 v4, v4, v5
	s_waitcnt vmcnt(3)
	v_mul_f32_e32 v5, v153, v223
	v_add_f32_e32 v227, v227, v228
	v_mul_f32_e32 v228, v152, v223
	s_waitcnt vmcnt(0)
	v_fma_f32 v5, v152, v226, -v5
	v_fmac_f32_e32 v228, v153, v226
	v_add_f32_e32 v4, v4, v5
	s_waitcnt lgkmcnt(0)
	v_mul_f32_e32 v5, v119, v225
	v_add_f32_e32 v227, v227, v228
	v_mul_f32_e32 v228, v118, v225
	v_fma_f32 v5, v118, v224, -v5
	v_fmac_f32_e32 v228, v119, v224
	v_add_f32_e32 v4, v4, v5
	v_add_f32_e32 v227, v227, v228
	v_sub_f32_e32 v2, v2, v4
	v_sub_f32_e32 v3, v3, v227
	buffer_store_dword v2, off, s[0:3], 0 offset:56
	buffer_store_dword v3, off, s[0:3], 0 offset:60
	s_and_saveexec_b64 s[4:5], vcc
	s_cbranch_execz .LBB126_379
; %bb.378:
	buffer_load_dword v2, off, s[0:3], 0 offset:48
	buffer_load_dword v3, off, s[0:3], 0 offset:52
	s_waitcnt vmcnt(0)
	ds_write_b64 v25, v[2:3]
	buffer_store_dword v1, off, s[0:3], 0 offset:48
	buffer_store_dword v1, off, s[0:3], 0 offset:52
.LBB126_379:
	s_or_b64 exec, exec, s[4:5]
	s_waitcnt lgkmcnt(0)
	; wave barrier
	buffer_load_dword v10, off, s[0:3], 0 offset:60
	buffer_load_dword v9, off, s[0:3], 0 offset:68
	;; [unrolled: 1-line block ×40, first 2 shown]
	ds_read2_b64 v[42:45], v1 offset0:71 offset1:72
	ds_read2_b64 v[46:49], v1 offset0:73 offset1:74
	;; [unrolled: 1-line block ×6, first 2 shown]
	buffer_load_dword v119, off, s[0:3], 0 offset:208
	buffer_load_dword v158, off, s[0:3], 0 offset:212
	;; [unrolled: 1-line block ×16, first 2 shown]
	v_cmp_lt_u32_e32 vcc, 5, v0
	s_waitcnt vmcnt(55) lgkmcnt(5)
	v_mul_f32_e32 v66, v42, v10
	s_waitcnt vmcnt(54)
	v_mul_f32_e32 v67, v44, v9
	s_waitcnt vmcnt(53) lgkmcnt(4)
	v_mul_f32_e32 v68, v46, v8
	s_waitcnt vmcnt(52)
	v_mul_f32_e32 v69, v48, v7
	;; [unrolled: 4-line block ×5, first 2 shown]
	s_waitcnt vmcnt(45)
	v_fmac_f32_e32 v68, v47, v17
	s_waitcnt vmcnt(44)
	v_fmac_f32_e32 v67, v45, v21
	;; [unrolled: 2-line block ×3, first 2 shown]
	v_add_f32_e32 v66, 0, v66
	v_add_f32_e32 v66, v66, v67
	;; [unrolled: 1-line block ×3, first 2 shown]
	s_waitcnt vmcnt(39)
	v_fmac_f32_e32 v69, v49, v24
	v_fmac_f32_e32 v70, v51, v20
	v_add_f32_e32 v66, v66, v69
	v_fmac_f32_e32 v71, v53, v16
	v_add_f32_e32 v66, v66, v70
	;; [unrolled: 2-line block ×3, first 2 shown]
	s_waitcnt vmcnt(35)
	v_fmac_f32_e32 v73, v57, v27
	v_add_f32_e32 v66, v66, v72
	v_fmac_f32_e32 v74, v59, v22
	v_add_f32_e32 v66, v66, v73
	;; [unrolled: 2-line block ×3, first 2 shown]
	s_waitcnt vmcnt(34) lgkmcnt(0)
	v_mul_f32_e32 v67, v62, v19
	v_add_f32_e32 v66, v66, v75
	v_fmac_f32_e32 v67, v63, v15
	v_add_f32_e32 v70, v66, v67
	ds_read2_b64 v[66:69], v1 offset0:83 offset1:84
	s_waitcnt vmcnt(33)
	v_mul_f32_e32 v71, v64, v23
	s_waitcnt vmcnt(29)
	v_fmac_f32_e32 v71, v65, v34
	v_add_f32_e32 v74, v70, v71
	ds_read2_b64 v[70:73], v1 offset0:85 offset1:86
	buffer_load_dword v173, off, s[0:3], 0 offset:272
	buffer_load_dword v174, off, s[0:3], 0 offset:276
	s_waitcnt vmcnt(30) lgkmcnt(1)
	v_mul_f32_e32 v75, v66, v33
	v_fmac_f32_e32 v75, v67, v31
	v_add_f32_e32 v74, v74, v75
	s_waitcnt vmcnt(29)
	v_mul_f32_e32 v75, v68, v32
	v_fmac_f32_e32 v75, v69, v29
	v_add_f32_e32 v74, v74, v75
	s_waitcnt vmcnt(28) lgkmcnt(0)
	v_mul_f32_e32 v75, v70, v30
	v_fmac_f32_e32 v75, v71, v28
	v_add_f32_e32 v78, v74, v75
	buffer_load_dword v175, off, s[0:3], 0 offset:280
	buffer_load_dword v176, off, s[0:3], 0 offset:284
	ds_read2_b64 v[74:77], v1 offset0:87 offset1:88
	s_waitcnt vmcnt(29)
	v_mul_f32_e32 v79, v72, v35
	s_waitcnt vmcnt(22)
	v_fmac_f32_e32 v79, v73, v118
	v_add_f32_e32 v82, v78, v79
	ds_read2_b64 v[78:81], v1 offset0:89 offset1:90
	s_waitcnt lgkmcnt(1)
	v_mul_f32_e32 v83, v74, v37
	v_fmac_f32_e32 v83, v75, v36
	v_add_f32_e32 v82, v82, v83
	v_mul_f32_e32 v83, v76, v39
	buffer_load_dword v177, off, s[0:3], 0 offset:288
	buffer_load_dword v178, off, s[0:3], 0 offset:292
	v_fmac_f32_e32 v83, v77, v38
	v_add_f32_e32 v82, v82, v83
	s_waitcnt lgkmcnt(0)
	v_mul_f32_e32 v83, v78, v41
	buffer_load_dword v179, off, s[0:3], 0 offset:296
	buffer_load_dword v180, off, s[0:3], 0 offset:300
	v_fmac_f32_e32 v83, v79, v40
	v_add_f32_e32 v86, v82, v83
	ds_read2_b64 v[82:85], v1 offset0:91 offset1:92
	buffer_load_dword v181, off, s[0:3], 0 offset:304
	buffer_load_dword v182, off, s[0:3], 0 offset:308
	s_waitcnt vmcnt(24)
	v_mul_f32_e32 v87, v80, v158
	v_fmac_f32_e32 v87, v81, v119
	v_add_f32_e32 v90, v86, v87
	ds_read2_b64 v[86:89], v1 offset0:93 offset1:94
	s_waitcnt vmcnt(22) lgkmcnt(1)
	v_mul_f32_e32 v91, v82, v160
	v_fmac_f32_e32 v91, v83, v159
	buffer_load_dword v183, off, s[0:3], 0 offset:312
	buffer_load_dword v184, off, s[0:3], 0 offset:316
	;; [unrolled: 1-line block ×6, first 2 shown]
	v_add_f32_e32 v90, v90, v91
	s_waitcnt vmcnt(26)
	v_mul_f32_e32 v91, v84, v162
	v_fmac_f32_e32 v91, v85, v161
	v_add_f32_e32 v90, v90, v91
	s_waitcnt vmcnt(24) lgkmcnt(0)
	v_mul_f32_e32 v91, v86, v164
	v_fmac_f32_e32 v91, v87, v163
	v_add_f32_e32 v94, v90, v91
	ds_read2_b64 v[90:93], v1 offset0:95 offset1:96
	buffer_load_dword v189, off, s[0:3], 0 offset:336
	buffer_load_dword v190, off, s[0:3], 0 offset:340
	s_waitcnt vmcnt(24)
	v_mul_f32_e32 v95, v88, v166
	v_fmac_f32_e32 v95, v89, v165
	v_add_f32_e32 v98, v94, v95
	ds_read2_b64 v[94:97], v1 offset0:97 offset1:98
	buffer_load_dword v191, off, s[0:3], 0 offset:344
	buffer_load_dword v192, off, s[0:3], 0 offset:348
	;; [unrolled: 1-line block ×14, first 2 shown]
	s_waitcnt vmcnt(36) lgkmcnt(1)
	v_mul_f32_e32 v99, v90, v168
	buffer_load_dword v205, off, s[0:3], 0 offset:400
	buffer_load_dword v206, off, s[0:3], 0 offset:404
	v_fmac_f32_e32 v99, v91, v167
	v_add_f32_e32 v98, v98, v99
	s_waitcnt vmcnt(36)
	v_mul_f32_e32 v99, v92, v170
	v_fmac_f32_e32 v99, v93, v169
	v_add_f32_e32 v98, v98, v99
	s_waitcnt vmcnt(34) lgkmcnt(0)
	v_mul_f32_e32 v99, v94, v172
	v_fmac_f32_e32 v99, v95, v171
	v_add_f32_e32 v102, v98, v99
	ds_read2_b64 v[98:101], v1 offset0:99 offset1:100
	buffer_load_dword v207, off, s[0:3], 0 offset:408
	buffer_load_dword v208, off, s[0:3], 0 offset:412
	;; [unrolled: 1-line block ×6, first 2 shown]
	v_mul_f32_e32 v10, v43, v10
	v_fma_f32 v10, v42, v26, -v10
	v_mul_f32_e32 v9, v45, v9
	v_add_f32_e32 v10, 0, v10
	v_fma_f32 v9, v44, v21, -v9
	v_mul_f32_e32 v8, v47, v8
	v_add_f32_e32 v9, v10, v9
	;; [unrolled: 3-line block ×5, first 2 shown]
	s_waitcnt vmcnt(38)
	v_mul_f32_e32 v103, v96, v174
	v_fmac_f32_e32 v103, v97, v173
	v_add_f32_e32 v106, v102, v103
	ds_read2_b64 v[102:105], v1 offset0:101 offset1:102
	buffer_load_dword v213, off, s[0:3], 0 offset:432
	buffer_load_dword v214, off, s[0:3], 0 offset:436
	v_fma_f32 v5, v52, v16, -v5
	v_mul_f32_e32 v4, v55, v4
	v_add_f32_e32 v5, v6, v5
	v_fma_f32 v4, v54, v14, -v4
	v_add_f32_e32 v4, v5, v4
	v_mul_f32_e32 v5, v57, v11
	v_fma_f32 v5, v56, v27, -v5
	buffer_load_dword v215, off, s[0:3], 0 offset:440
	buffer_load_dword v216, off, s[0:3], 0 offset:444
	;; [unrolled: 1-line block ×6, first 2 shown]
	v_add_f32_e32 v4, v4, v5
	v_mul_f32_e32 v5, v59, v12
	v_fma_f32 v5, v58, v22, -v5
	v_add_f32_e32 v4, v4, v5
	v_mul_f32_e32 v5, v61, v13
	v_fma_f32 v5, v60, v18, -v5
	v_add_f32_e32 v4, v4, v5
	v_mul_f32_e32 v5, v63, v19
	buffer_load_dword v221, off, s[0:3], 0 offset:464
	buffer_load_dword v222, off, s[0:3], 0 offset:468
	v_fma_f32 v5, v62, v15, -v5
	v_add_f32_e32 v4, v4, v5
	v_mul_f32_e32 v5, v65, v23
	s_waitcnt vmcnt(46) lgkmcnt(1)
	v_mul_f32_e32 v107, v98, v176
	v_fma_f32 v5, v64, v34, -v5
	v_fmac_f32_e32 v107, v99, v175
	v_add_f32_e32 v4, v4, v5
	v_mul_f32_e32 v5, v67, v33
	v_add_f32_e32 v106, v106, v107
	s_waitcnt vmcnt(44)
	v_mul_f32_e32 v107, v100, v178
	v_fma_f32 v5, v66, v31, -v5
	v_fmac_f32_e32 v107, v101, v177
	v_add_f32_e32 v4, v4, v5
	v_mul_f32_e32 v5, v69, v32
	v_add_f32_e32 v106, v106, v107
	s_waitcnt vmcnt(42) lgkmcnt(0)
	v_mul_f32_e32 v107, v102, v180
	buffer_load_dword v223, off, s[0:3], 0 offset:472
	buffer_load_dword v224, off, s[0:3], 0 offset:476
	;; [unrolled: 1-line block ×6, first 2 shown]
	v_fma_f32 v5, v68, v29, -v5
	v_fmac_f32_e32 v107, v103, v179
	s_waitcnt vmcnt(46)
	v_mul_f32_e32 v111, v104, v182
	v_add_f32_e32 v4, v4, v5
	v_mul_f32_e32 v5, v71, v30
	v_add_f32_e32 v110, v106, v107
	v_fmac_f32_e32 v111, v105, v181
	v_fma_f32 v5, v70, v28, -v5
	ds_read2_b64 v[106:109], v1 offset0:103 offset1:104
	v_add_f32_e32 v114, v110, v111
	ds_read2_b64 v[110:113], v1 offset0:105 offset1:106
	buffer_load_dword v229, off, s[0:3], 0 offset:496
	buffer_load_dword v230, off, s[0:3], 0 offset:500
	v_add_f32_e32 v4, v4, v5
	v_mul_f32_e32 v5, v73, v35
	v_fma_f32 v5, v72, v118, -v5
	v_add_f32_e32 v4, v4, v5
	v_mul_f32_e32 v5, v75, v37
	v_fma_f32 v5, v74, v36, -v5
	;; [unrolled: 3-line block ×9, first 2 shown]
	v_add_f32_e32 v4, v4, v5
	v_mul_f32_e32 v5, v91, v168
	s_waitcnt vmcnt(46) lgkmcnt(1)
	v_mul_f32_e32 v115, v106, v184
	v_fma_f32 v5, v90, v167, -v5
	v_fmac_f32_e32 v115, v107, v183
	v_add_f32_e32 v4, v4, v5
	v_mul_f32_e32 v5, v93, v170
	v_add_f32_e32 v114, v114, v115
	s_waitcnt vmcnt(45)
	v_mul_f32_e32 v115, v108, v185
	v_fma_f32 v5, v92, v169, -v5
	s_waitcnt vmcnt(42)
	v_fmac_f32_e32 v115, v109, v188
	v_add_f32_e32 v4, v4, v5
	v_mul_f32_e32 v5, v95, v172
	v_add_f32_e32 v114, v114, v115
	s_waitcnt lgkmcnt(0)
	v_mul_f32_e32 v115, v110, v187
	v_fma_f32 v5, v94, v171, -v5
	v_fmac_f32_e32 v115, v111, v186
	v_add_f32_e32 v4, v4, v5
	v_mul_f32_e32 v5, v97, v174
	v_add_f32_e32 v122, v114, v115
	ds_read2_b64 v[114:117], v1 offset0:107 offset1:108
	v_fma_f32 v5, v96, v173, -v5
	v_add_f32_e32 v4, v4, v5
	v_mul_f32_e32 v5, v99, v176
	s_waitcnt vmcnt(40)
	v_mul_f32_e32 v123, v112, v190
	v_fma_f32 v5, v98, v175, -v5
	v_fmac_f32_e32 v123, v113, v189
	v_add_f32_e32 v4, v4, v5
	v_mul_f32_e32 v5, v101, v178
	v_add_f32_e32 v126, v122, v123
	ds_read2_b64 v[122:125], v1 offset0:109 offset1:110
	v_fma_f32 v5, v100, v177, -v5
	s_waitcnt vmcnt(38) lgkmcnt(1)
	v_mul_f32_e32 v127, v114, v192
	v_add_f32_e32 v4, v4, v5
	v_mul_f32_e32 v5, v103, v180
	v_fmac_f32_e32 v127, v115, v191
	v_fma_f32 v5, v102, v179, -v5
	v_add_f32_e32 v126, v126, v127
	s_waitcnt vmcnt(37)
	v_mul_f32_e32 v127, v116, v193
	v_add_f32_e32 v4, v4, v5
	v_mul_f32_e32 v5, v105, v182
	s_waitcnt vmcnt(34)
	v_fmac_f32_e32 v127, v117, v196
	v_fma_f32 v5, v104, v181, -v5
	v_add_f32_e32 v126, v126, v127
	s_waitcnt lgkmcnt(0)
	v_mul_f32_e32 v127, v122, v195
	v_add_f32_e32 v4, v4, v5
	v_mul_f32_e32 v5, v107, v184
	v_fmac_f32_e32 v127, v123, v194
	v_fma_f32 v5, v106, v183, -v5
	v_add_f32_e32 v130, v126, v127
	ds_read2_b64 v[126:129], v1 offset0:111 offset1:112
	v_add_f32_e32 v4, v4, v5
	v_mul_f32_e32 v5, v109, v185
	v_fma_f32 v5, v108, v188, -v5
	s_waitcnt vmcnt(32)
	v_mul_f32_e32 v131, v124, v198
	v_add_f32_e32 v4, v4, v5
	v_mul_f32_e32 v5, v111, v187
	v_fmac_f32_e32 v131, v125, v197
	v_fma_f32 v5, v110, v186, -v5
	v_add_f32_e32 v134, v130, v131
	ds_read2_b64 v[130:133], v1 offset0:113 offset1:114
	v_add_f32_e32 v4, v4, v5
	v_mul_f32_e32 v5, v113, v190
	s_waitcnt vmcnt(30) lgkmcnt(1)
	v_mul_f32_e32 v135, v126, v200
	v_fma_f32 v5, v112, v189, -v5
	v_fmac_f32_e32 v135, v127, v199
	v_add_f32_e32 v4, v4, v5
	v_mul_f32_e32 v5, v115, v192
	v_add_f32_e32 v134, v134, v135
	s_waitcnt vmcnt(29)
	v_mul_f32_e32 v135, v128, v201
	v_fma_f32 v5, v114, v191, -v5
	s_waitcnt vmcnt(26)
	v_fmac_f32_e32 v135, v129, v204
	v_add_f32_e32 v4, v4, v5
	v_mul_f32_e32 v5, v117, v193
	v_add_f32_e32 v134, v134, v135
	s_waitcnt lgkmcnt(0)
	v_mul_f32_e32 v135, v130, v203
	v_fma_f32 v5, v116, v196, -v5
	v_fmac_f32_e32 v135, v131, v202
	v_add_f32_e32 v4, v4, v5
	v_mul_f32_e32 v5, v123, v195
	v_add_f32_e32 v138, v134, v135
	ds_read2_b64 v[134:137], v1 offset0:115 offset1:116
	v_fma_f32 v5, v122, v194, -v5
	v_add_f32_e32 v4, v4, v5
	v_mul_f32_e32 v5, v125, v198
	s_waitcnt vmcnt(24)
	v_mul_f32_e32 v139, v132, v206
	v_fma_f32 v5, v124, v197, -v5
	v_fmac_f32_e32 v139, v133, v205
	v_add_f32_e32 v4, v4, v5
	v_mul_f32_e32 v5, v127, v200
	v_add_f32_e32 v142, v138, v139
	ds_read2_b64 v[138:141], v1 offset0:117 offset1:118
	v_fma_f32 v5, v126, v199, -v5
	s_waitcnt vmcnt(22) lgkmcnt(1)
	v_mul_f32_e32 v143, v134, v208
	v_add_f32_e32 v4, v4, v5
	v_mul_f32_e32 v5, v129, v201
	v_fmac_f32_e32 v143, v135, v207
	v_fma_f32 v5, v128, v204, -v5
	v_add_f32_e32 v142, v142, v143
	s_waitcnt vmcnt(21)
	v_mul_f32_e32 v143, v136, v209
	v_add_f32_e32 v4, v4, v5
	v_mul_f32_e32 v5, v131, v203
	s_waitcnt vmcnt(18)
	v_fmac_f32_e32 v143, v137, v212
	v_fma_f32 v5, v130, v202, -v5
	v_add_f32_e32 v142, v142, v143
	s_waitcnt lgkmcnt(0)
	v_mul_f32_e32 v143, v138, v211
	v_add_f32_e32 v4, v4, v5
	v_mul_f32_e32 v5, v133, v206
	v_fmac_f32_e32 v143, v139, v210
	v_fma_f32 v5, v132, v205, -v5
	v_add_f32_e32 v146, v142, v143
	ds_read2_b64 v[142:145], v1 offset0:119 offset1:120
	v_add_f32_e32 v4, v4, v5
	v_mul_f32_e32 v5, v135, v208
	v_fma_f32 v5, v134, v207, -v5
	s_waitcnt vmcnt(16)
	v_mul_f32_e32 v147, v140, v214
	v_add_f32_e32 v4, v4, v5
	v_mul_f32_e32 v5, v137, v209
	v_fmac_f32_e32 v147, v141, v213
	v_fma_f32 v5, v136, v212, -v5
	v_add_f32_e32 v150, v146, v147
	ds_read2_b64 v[146:149], v1 offset0:121 offset1:122
	v_add_f32_e32 v4, v4, v5
	v_mul_f32_e32 v5, v139, v211
	s_waitcnt vmcnt(14) lgkmcnt(1)
	v_mul_f32_e32 v151, v142, v216
	v_fma_f32 v5, v138, v210, -v5
	v_fmac_f32_e32 v151, v143, v215
	v_add_f32_e32 v4, v4, v5
	v_mul_f32_e32 v5, v141, v214
	v_add_f32_e32 v150, v150, v151
	s_waitcnt vmcnt(13)
	v_mul_f32_e32 v151, v144, v217
	v_fma_f32 v5, v140, v213, -v5
	s_waitcnt vmcnt(10)
	v_fmac_f32_e32 v151, v145, v220
	v_add_f32_e32 v4, v4, v5
	v_mul_f32_e32 v5, v143, v216
	v_add_f32_e32 v150, v150, v151
	s_waitcnt lgkmcnt(0)
	v_mul_f32_e32 v151, v146, v219
	v_fma_f32 v5, v142, v215, -v5
	v_fmac_f32_e32 v151, v147, v218
	v_add_f32_e32 v4, v4, v5
	v_mul_f32_e32 v5, v145, v217
	v_add_f32_e32 v154, v150, v151
	ds_read2_b64 v[150:153], v1 offset0:123 offset1:124
	v_fma_f32 v5, v144, v220, -v5
	v_add_f32_e32 v4, v4, v5
	v_mul_f32_e32 v5, v147, v219
	s_waitcnt vmcnt(8)
	v_mul_f32_e32 v155, v148, v222
	v_fma_f32 v5, v146, v218, -v5
	v_fmac_f32_e32 v155, v149, v221
	v_add_f32_e32 v4, v4, v5
	v_mul_f32_e32 v5, v149, v222
	v_add_f32_e32 v231, v154, v155
	ds_read2_b64 v[154:157], v1 offset0:125 offset1:126
	v_fma_f32 v5, v148, v221, -v5
	v_add_f32_e32 v4, v4, v5
	s_waitcnt vmcnt(6) lgkmcnt(1)
	v_mul_f32_e32 v5, v151, v224
	v_mul_f32_e32 v1, v150, v224
	v_fma_f32 v5, v150, v223, -v5
	v_fmac_f32_e32 v1, v151, v223
	v_add_f32_e32 v4, v4, v5
	s_waitcnt vmcnt(5)
	v_mul_f32_e32 v5, v153, v225
	v_add_f32_e32 v1, v231, v1
	v_mul_f32_e32 v231, v152, v225
	s_waitcnt vmcnt(2)
	v_fma_f32 v5, v152, v228, -v5
	v_fmac_f32_e32 v231, v153, v228
	v_add_f32_e32 v4, v4, v5
	s_waitcnt lgkmcnt(0)
	v_mul_f32_e32 v5, v155, v227
	v_add_f32_e32 v1, v1, v231
	v_mul_f32_e32 v231, v154, v227
	v_fma_f32 v5, v154, v226, -v5
	v_fmac_f32_e32 v231, v155, v226
	v_add_f32_e32 v4, v4, v5
	s_waitcnt vmcnt(0)
	v_mul_f32_e32 v5, v157, v230
	v_add_f32_e32 v1, v1, v231
	v_mul_f32_e32 v231, v156, v230
	v_fma_f32 v5, v156, v229, -v5
	v_fmac_f32_e32 v231, v157, v229
	v_add_f32_e32 v4, v4, v5
	v_add_f32_e32 v1, v1, v231
	v_sub_f32_e32 v2, v2, v4
	v_sub_f32_e32 v1, v3, v1
	buffer_store_dword v2, off, s[0:3], 0 offset:48
	buffer_store_dword v1, off, s[0:3], 0 offset:52
	s_and_saveexec_b64 s[4:5], vcc
	s_cbranch_execz .LBB126_381
; %bb.380:
	buffer_load_dword v1, off, s[0:3], 0 offset:40
	buffer_load_dword v2, off, s[0:3], 0 offset:44
	v_mov_b32_e32 v3, 0
	buffer_store_dword v3, off, s[0:3], 0 offset:40
	buffer_store_dword v3, off, s[0:3], 0 offset:44
	s_waitcnt vmcnt(2)
	ds_write_b64 v25, v[1:2]
.LBB126_381:
	s_or_b64 exec, exec, s[4:5]
	s_waitcnt lgkmcnt(0)
	; wave barrier
	buffer_load_dword v9, off, s[0:3], 0 offset:52
	buffer_load_dword v8, off, s[0:3], 0 offset:60
	;; [unrolled: 1-line block ×52, first 2 shown]
	v_mov_b32_e32 v26, 0
	ds_read_b128 v[55:58], v26 offset:560
	ds_read_b128 v[59:62], v26 offset:576
	ds_read_b128 v[63:66], v26 offset:592
	ds_read_b128 v[67:70], v26 offset:608
	ds_read_b128 v[71:74], v26 offset:624
	ds_read_b128 v[75:78], v26 offset:640
	buffer_load_dword v119, off, s[0:3], 0 offset:252
	buffer_load_dword v172, off, s[0:3], 0 offset:248
	;; [unrolled: 1-line block ×4, first 2 shown]
	v_cmp_lt_u32_e32 vcc, 4, v0
	s_waitcnt vmcnt(55) lgkmcnt(5)
	v_mul_f32_e32 v79, v55, v9
	s_waitcnt vmcnt(54)
	v_mul_f32_e32 v80, v57, v8
	s_waitcnt vmcnt(53) lgkmcnt(4)
	v_mul_f32_e32 v81, v59, v7
	s_waitcnt vmcnt(52)
	v_mul_f32_e32 v82, v61, v6
	;; [unrolled: 4-line block ×3, first 2 shown]
	s_waitcnt vmcnt(49) lgkmcnt(2)
	v_mul_f32_e32 v85, v67, v3
	s_waitcnt vmcnt(48)
	v_fmac_f32_e32 v81, v60, v14
	s_waitcnt vmcnt(47)
	v_fmac_f32_e32 v80, v58, v16
	;; [unrolled: 2-line block ×3, first 2 shown]
	v_add_f32_e32 v79, 0, v79
	v_add_f32_e32 v79, v79, v80
	;; [unrolled: 1-line block ×3, first 2 shown]
	s_waitcnt vmcnt(45)
	v_mul_f32_e32 v86, v69, v12
	s_waitcnt vmcnt(41)
	v_fmac_f32_e32 v85, v68, v20
	s_waitcnt vmcnt(40)
	v_fmac_f32_e32 v84, v66, v22
	;; [unrolled: 2-line block ×4, first 2 shown]
	v_add_f32_e32 v79, v79, v82
	v_add_f32_e32 v79, v79, v83
	;; [unrolled: 1-line block ×3, first 2 shown]
	s_waitcnt lgkmcnt(1)
	v_mul_f32_e32 v87, v71, v11
	s_waitcnt vmcnt(34)
	v_fmac_f32_e32 v86, v70, v23
	v_add_f32_e32 v79, v79, v85
	v_mul_f32_e32 v88, v73, v10
	v_fmac_f32_e32 v87, v72, v21
	v_add_f32_e32 v79, v79, v86
	s_waitcnt lgkmcnt(0)
	v_mul_f32_e32 v89, v75, v13
	v_fmac_f32_e32 v88, v74, v17
	v_add_f32_e32 v79, v79, v87
	v_add_f32_e32 v79, v79, v88
	v_fmac_f32_e32 v89, v76, v15
	v_add_f32_e32 v83, v79, v89
	ds_read_b128 v[79:82], v26 offset:656
	buffer_load_dword v175, off, s[0:3], 0 offset:264
	buffer_load_dword v176, off, s[0:3], 0 offset:268
	s_waitcnt vmcnt(35)
	v_mul_f32_e32 v84, v77, v18
	s_waitcnt vmcnt(31)
	v_fmac_f32_e32 v84, v78, v34
	v_add_f32_e32 v87, v83, v84
	ds_read_b128 v[83:86], v26 offset:672
	s_waitcnt vmcnt(30) lgkmcnt(1)
	v_mul_f32_e32 v88, v79, v33
	v_fmac_f32_e32 v88, v80, v31
	v_add_f32_e32 v87, v87, v88
	s_waitcnt vmcnt(29)
	v_mul_f32_e32 v88, v81, v32
	v_fmac_f32_e32 v88, v82, v29
	v_add_f32_e32 v87, v87, v88
	s_waitcnt vmcnt(28) lgkmcnt(0)
	v_mul_f32_e32 v88, v83, v30
	v_fmac_f32_e32 v88, v84, v28
	v_add_f32_e32 v87, v87, v88
	s_waitcnt vmcnt(25)
	v_mul_f32_e32 v88, v85, v36
	s_waitcnt vmcnt(24)
	v_fmac_f32_e32 v88, v86, v35
	buffer_load_dword v177, off, s[0:3], 0 offset:276
	v_add_f32_e32 v95, v87, v88
	ds_read_b128 v[87:90], v26 offset:688
	ds_read_b128 v[91:94], v26 offset:704
	buffer_load_dword v178, off, s[0:3], 0 offset:272
	buffer_load_dword v179, off, s[0:3], 0 offset:280
	;; [unrolled: 1-line block ×5, first 2 shown]
	v_mul_f32_e32 v9, v56, v9
	s_waitcnt vmcnt(28) lgkmcnt(1)
	v_mul_f32_e32 v96, v87, v38
	v_fmac_f32_e32 v96, v88, v37
	v_add_f32_e32 v95, v95, v96
	s_waitcnt vmcnt(26)
	v_mul_f32_e32 v96, v89, v40
	v_fmac_f32_e32 v96, v90, v39
	v_add_f32_e32 v95, v95, v96
	s_waitcnt vmcnt(24) lgkmcnt(0)
	v_mul_f32_e32 v96, v91, v42
	v_fmac_f32_e32 v96, v92, v41
	v_add_f32_e32 v99, v95, v96
	ds_read_b128 v[95:98], v26 offset:720
	buffer_load_dword v183, off, s[0:3], 0 offset:296
	buffer_load_dword v184, off, s[0:3], 0 offset:300
	s_waitcnt vmcnt(24)
	v_mul_f32_e32 v100, v93, v44
	v_fmac_f32_e32 v100, v94, v43
	v_add_f32_e32 v103, v99, v100
	ds_read_b128 v[99:102], v26 offset:736
	s_waitcnt vmcnt(22) lgkmcnt(1)
	v_mul_f32_e32 v104, v95, v46
	v_fmac_f32_e32 v104, v96, v45
	v_add_f32_e32 v103, v103, v104
	s_waitcnt vmcnt(20)
	v_mul_f32_e32 v104, v97, v48
	buffer_load_dword v185, off, s[0:3], 0 offset:304
	buffer_load_dword v186, off, s[0:3], 0 offset:308
	v_fmac_f32_e32 v104, v98, v47
	v_add_f32_e32 v103, v103, v104
	s_waitcnt vmcnt(20) lgkmcnt(0)
	v_mul_f32_e32 v104, v99, v50
	v_fmac_f32_e32 v104, v100, v49
	v_add_f32_e32 v107, v103, v104
	ds_read_b128 v[103:106], v26 offset:752
	buffer_load_dword v187, off, s[0:3], 0 offset:316
	buffer_load_dword v188, off, s[0:3], 0 offset:320
	;; [unrolled: 1-line block ×4, first 2 shown]
	s_waitcnt vmcnt(22)
	v_mul_f32_e32 v108, v101, v52
	v_fmac_f32_e32 v108, v102, v51
	v_add_f32_e32 v111, v107, v108
	ds_read_b128 v[107:110], v26 offset:768
	buffer_load_dword v191, off, s[0:3], 0 offset:328
	buffer_load_dword v192, off, s[0:3], 0 offset:332
	buffer_load_dword v193, off, s[0:3], 0 offset:336
	buffer_load_dword v194, off, s[0:3], 0 offset:340
	buffer_load_dword v195, off, s[0:3], 0 offset:348
	buffer_load_dword v196, off, s[0:3], 0 offset:352
	buffer_load_dword v197, off, s[0:3], 0 offset:356
	buffer_load_dword v198, off, s[0:3], 0 offset:344
	buffer_load_dword v199, off, s[0:3], 0 offset:360
	buffer_load_dword v200, off, s[0:3], 0 offset:364
	s_waitcnt vmcnt(30) lgkmcnt(1)
	v_mul_f32_e32 v112, v103, v54
	v_fmac_f32_e32 v112, v104, v53
	buffer_load_dword v201, off, s[0:3], 0 offset:368
	buffer_load_dword v202, off, s[0:3], 0 offset:372
	;; [unrolled: 1-line block ×6, first 2 shown]
	v_add_f32_e32 v111, v111, v112
	s_waitcnt vmcnt(35)
	v_mul_f32_e32 v112, v105, v119
	s_waitcnt vmcnt(34)
	v_fmac_f32_e32 v112, v106, v172
	v_add_f32_e32 v111, v111, v112
	s_waitcnt vmcnt(32) lgkmcnt(0)
	v_mul_f32_e32 v112, v107, v174
	v_fmac_f32_e32 v112, v108, v173
	v_add_f32_e32 v115, v111, v112
	ds_read_b128 v[111:114], v26 offset:784
	buffer_load_dword v207, off, s[0:3], 0 offset:392
	buffer_load_dword v208, off, s[0:3], 0 offset:396
	v_fma_f32 v9, v55, v19, -v9
	v_mul_f32_e32 v8, v58, v8
	v_add_f32_e32 v9, 0, v9
	v_fma_f32 v8, v57, v16, -v8
	v_mul_f32_e32 v7, v60, v7
	v_add_f32_e32 v8, v9, v8
	v_fma_f32 v7, v59, v14, -v7
	v_mul_f32_e32 v6, v62, v6
	v_add_f32_e32 v7, v8, v7
	v_fma_f32 v6, v61, v27, -v6
	v_mul_f32_e32 v5, v64, v5
	v_add_f32_e32 v6, v7, v6
	s_waitcnt vmcnt(32)
	v_mul_f32_e32 v116, v109, v176
	v_fmac_f32_e32 v116, v110, v175
	v_add_f32_e32 v122, v115, v116
	ds_read_b128 v[115:118], v26 offset:800
	buffer_load_dword v209, off, s[0:3], 0 offset:400
	buffer_load_dword v210, off, s[0:3], 0 offset:404
	;; [unrolled: 1-line block ×8, first 2 shown]
	v_fma_f32 v5, v63, v24, -v5
	v_mul_f32_e32 v4, v66, v4
	v_add_f32_e32 v5, v6, v5
	v_fma_f32 v4, v65, v22, -v4
	v_mul_f32_e32 v3, v68, v3
	v_add_f32_e32 v4, v5, v4
	v_fma_f32 v3, v67, v20, -v3
	v_add_f32_e32 v3, v4, v3
	v_mul_f32_e32 v4, v70, v12
	buffer_load_dword v217, off, s[0:3], 0 offset:432
	buffer_load_dword v218, off, s[0:3], 0 offset:436
	;; [unrolled: 1-line block ×6, first 2 shown]
	v_fma_f32 v4, v69, v23, -v4
	v_add_f32_e32 v3, v3, v4
	v_mul_f32_e32 v4, v72, v11
	v_fma_f32 v4, v71, v21, -v4
	v_add_f32_e32 v3, v3, v4
	v_mul_f32_e32 v4, v74, v10
	v_fma_f32 v4, v73, v17, -v4
	s_waitcnt vmcnt(45) lgkmcnt(1)
	v_mul_f32_e32 v123, v111, v177
	v_add_f32_e32 v3, v3, v4
	v_mul_f32_e32 v4, v76, v13
	s_waitcnt vmcnt(44)
	v_fmac_f32_e32 v123, v112, v178
	buffer_load_dword v223, off, s[0:3], 0 offset:456
	buffer_load_dword v224, off, s[0:3], 0 offset:460
	v_fma_f32 v4, v75, v15, -v4
	v_add_f32_e32 v122, v122, v123
	s_waitcnt vmcnt(44)
	v_mul_f32_e32 v123, v113, v180
	v_add_f32_e32 v3, v3, v4
	v_mul_f32_e32 v4, v78, v18
	v_fmac_f32_e32 v123, v114, v179
	v_fma_f32 v4, v77, v34, -v4
	v_add_f32_e32 v122, v122, v123
	s_waitcnt vmcnt(42) lgkmcnt(0)
	v_mul_f32_e32 v123, v115, v182
	v_add_f32_e32 v3, v3, v4
	v_mul_f32_e32 v4, v80, v33
	v_fmac_f32_e32 v123, v116, v181
	v_fma_f32 v4, v79, v31, -v4
	v_add_f32_e32 v126, v122, v123
	ds_read_b128 v[122:125], v26 offset:816
	buffer_load_dword v225, off, s[0:3], 0 offset:464
	buffer_load_dword v226, off, s[0:3], 0 offset:468
	buffer_load_dword v227, off, s[0:3], 0 offset:476
	buffer_load_dword v228, off, s[0:3], 0 offset:480
	buffer_load_dword v229, off, s[0:3], 0 offset:484
	buffer_load_dword v230, off, s[0:3], 0 offset:472
	v_add_f32_e32 v3, v3, v4
	v_mul_f32_e32 v4, v82, v32
	v_fma_f32 v4, v81, v29, -v4
	v_add_f32_e32 v3, v3, v4
	v_mul_f32_e32 v4, v84, v30
	s_waitcnt vmcnt(46)
	v_mul_f32_e32 v127, v117, v184
	v_fma_f32 v4, v83, v28, -v4
	v_fmac_f32_e32 v127, v118, v183
	v_add_f32_e32 v3, v3, v4
	v_mul_f32_e32 v4, v86, v36
	v_add_f32_e32 v130, v126, v127
	ds_read_b128 v[126:129], v26 offset:832
	buffer_load_dword v231, off, s[0:3], 0 offset:492
	buffer_load_dword v232, off, s[0:3], 0 offset:496
	;; [unrolled: 1-line block ×4, first 2 shown]
	v_fma_f32 v4, v85, v35, -v4
	v_add_f32_e32 v3, v3, v4
	v_mul_f32_e32 v4, v88, v38
	v_fma_f32 v4, v87, v37, -v4
	v_add_f32_e32 v3, v3, v4
	v_mul_f32_e32 v4, v90, v40
	;; [unrolled: 3-line block ×8, first 2 shown]
	v_fma_f32 v4, v101, v51, -v4
	s_waitcnt vmcnt(48) lgkmcnt(1)
	v_mul_f32_e32 v131, v122, v186
	v_add_f32_e32 v3, v3, v4
	v_mul_f32_e32 v4, v104, v54
	v_fmac_f32_e32 v131, v123, v185
	v_fma_f32 v4, v103, v53, -v4
	v_add_f32_e32 v130, v130, v131
	s_waitcnt vmcnt(47)
	v_mul_f32_e32 v131, v124, v187
	v_add_f32_e32 v3, v3, v4
	v_mul_f32_e32 v4, v106, v119
	s_waitcnt vmcnt(44)
	v_fmac_f32_e32 v131, v125, v190
	v_fma_f32 v4, v105, v172, -v4
	v_add_f32_e32 v130, v130, v131
	s_waitcnt lgkmcnt(0)
	v_mul_f32_e32 v131, v126, v189
	v_add_f32_e32 v3, v3, v4
	v_mul_f32_e32 v4, v108, v174
	v_fmac_f32_e32 v131, v127, v188
	v_fma_f32 v4, v107, v173, -v4
	v_add_f32_e32 v134, v130, v131
	ds_read_b128 v[130:133], v26 offset:848
	v_add_f32_e32 v3, v3, v4
	v_mul_f32_e32 v4, v110, v176
	v_fma_f32 v4, v109, v175, -v4
	s_waitcnt vmcnt(42)
	v_mul_f32_e32 v135, v128, v192
	v_add_f32_e32 v3, v3, v4
	v_mul_f32_e32 v4, v112, v177
	v_fmac_f32_e32 v135, v129, v191
	v_fma_f32 v4, v111, v178, -v4
	v_add_f32_e32 v138, v134, v135
	ds_read_b128 v[134:137], v26 offset:864
	v_add_f32_e32 v3, v3, v4
	v_mul_f32_e32 v4, v114, v180
	s_waitcnt vmcnt(40) lgkmcnt(1)
	v_mul_f32_e32 v139, v130, v194
	v_fma_f32 v4, v113, v179, -v4
	v_fmac_f32_e32 v139, v131, v193
	v_add_f32_e32 v3, v3, v4
	v_mul_f32_e32 v4, v116, v182
	v_add_f32_e32 v138, v138, v139
	s_waitcnt vmcnt(39)
	v_mul_f32_e32 v139, v132, v195
	v_fma_f32 v4, v115, v181, -v4
	s_waitcnt vmcnt(36)
	v_fmac_f32_e32 v139, v133, v198
	v_add_f32_e32 v3, v3, v4
	v_mul_f32_e32 v4, v118, v184
	v_add_f32_e32 v138, v138, v139
	s_waitcnt lgkmcnt(0)
	v_mul_f32_e32 v139, v134, v197
	v_fma_f32 v4, v117, v183, -v4
	v_fmac_f32_e32 v139, v135, v196
	v_add_f32_e32 v3, v3, v4
	v_mul_f32_e32 v4, v123, v186
	v_add_f32_e32 v142, v138, v139
	ds_read_b128 v[138:141], v26 offset:880
	v_fma_f32 v4, v122, v185, -v4
	v_add_f32_e32 v3, v3, v4
	v_mul_f32_e32 v4, v125, v187
	s_waitcnt vmcnt(34)
	v_mul_f32_e32 v143, v136, v200
	v_fma_f32 v4, v124, v190, -v4
	v_fmac_f32_e32 v143, v137, v199
	v_add_f32_e32 v3, v3, v4
	v_mul_f32_e32 v4, v127, v189
	v_add_f32_e32 v146, v142, v143
	ds_read_b128 v[142:145], v26 offset:896
	v_fma_f32 v4, v126, v188, -v4
	s_waitcnt vmcnt(32) lgkmcnt(1)
	v_mul_f32_e32 v147, v138, v202
	v_add_f32_e32 v3, v3, v4
	v_mul_f32_e32 v4, v129, v192
	v_fmac_f32_e32 v147, v139, v201
	v_fma_f32 v4, v128, v191, -v4
	v_add_f32_e32 v146, v146, v147
	s_waitcnt vmcnt(31)
	v_mul_f32_e32 v147, v140, v203
	v_add_f32_e32 v3, v3, v4
	v_mul_f32_e32 v4, v131, v194
	s_waitcnt vmcnt(28)
	v_fmac_f32_e32 v147, v141, v206
	v_fma_f32 v4, v130, v193, -v4
	v_add_f32_e32 v146, v146, v147
	s_waitcnt lgkmcnt(0)
	v_mul_f32_e32 v147, v142, v205
	v_add_f32_e32 v3, v3, v4
	v_mul_f32_e32 v4, v133, v195
	v_fmac_f32_e32 v147, v143, v204
	v_fma_f32 v4, v132, v198, -v4
	v_add_f32_e32 v150, v146, v147
	ds_read_b128 v[146:149], v26 offset:912
	v_add_f32_e32 v3, v3, v4
	v_mul_f32_e32 v4, v135, v197
	v_fma_f32 v4, v134, v196, -v4
	s_waitcnt vmcnt(26)
	v_mul_f32_e32 v151, v144, v208
	v_add_f32_e32 v3, v3, v4
	v_mul_f32_e32 v4, v137, v200
	v_fmac_f32_e32 v151, v145, v207
	v_fma_f32 v4, v136, v199, -v4
	v_add_f32_e32 v154, v150, v151
	ds_read_b128 v[150:153], v26 offset:928
	v_add_f32_e32 v3, v3, v4
	v_mul_f32_e32 v4, v139, v202
	s_waitcnt vmcnt(24) lgkmcnt(1)
	v_mul_f32_e32 v155, v146, v210
	v_fma_f32 v4, v138, v201, -v4
	v_fmac_f32_e32 v155, v147, v209
	v_add_f32_e32 v3, v3, v4
	v_mul_f32_e32 v4, v141, v203
	v_add_f32_e32 v154, v154, v155
	s_waitcnt vmcnt(23)
	v_mul_f32_e32 v155, v148, v211
	v_fma_f32 v4, v140, v206, -v4
	s_waitcnt vmcnt(20)
	v_fmac_f32_e32 v155, v149, v214
	v_add_f32_e32 v3, v3, v4
	v_mul_f32_e32 v4, v143, v205
	v_add_f32_e32 v154, v154, v155
	s_waitcnt lgkmcnt(0)
	v_mul_f32_e32 v155, v150, v213
	v_fma_f32 v4, v142, v204, -v4
	v_fmac_f32_e32 v155, v151, v212
	v_add_f32_e32 v3, v3, v4
	v_mul_f32_e32 v4, v145, v208
	v_add_f32_e32 v158, v154, v155
	ds_read_b128 v[154:157], v26 offset:944
	v_fma_f32 v4, v144, v207, -v4
	v_add_f32_e32 v3, v3, v4
	v_mul_f32_e32 v4, v147, v210
	s_waitcnt vmcnt(18)
	v_mul_f32_e32 v159, v152, v216
	v_fma_f32 v4, v146, v209, -v4
	v_fmac_f32_e32 v159, v153, v215
	v_add_f32_e32 v3, v3, v4
	v_mul_f32_e32 v4, v149, v211
	v_add_f32_e32 v162, v158, v159
	ds_read_b128 v[158:161], v26 offset:960
	v_fma_f32 v4, v148, v214, -v4
	s_waitcnt vmcnt(16) lgkmcnt(1)
	v_mul_f32_e32 v163, v154, v218
	v_add_f32_e32 v3, v3, v4
	v_mul_f32_e32 v4, v151, v213
	v_fmac_f32_e32 v163, v155, v217
	v_fma_f32 v4, v150, v212, -v4
	v_add_f32_e32 v162, v162, v163
	s_waitcnt vmcnt(15)
	v_mul_f32_e32 v163, v156, v219
	v_add_f32_e32 v3, v3, v4
	v_mul_f32_e32 v4, v153, v216
	s_waitcnt vmcnt(12)
	v_fmac_f32_e32 v163, v157, v222
	v_fma_f32 v4, v152, v215, -v4
	v_add_f32_e32 v162, v162, v163
	s_waitcnt lgkmcnt(0)
	v_mul_f32_e32 v163, v158, v221
	v_add_f32_e32 v3, v3, v4
	v_mul_f32_e32 v4, v155, v218
	v_fmac_f32_e32 v163, v159, v220
	v_fma_f32 v4, v154, v217, -v4
	v_add_f32_e32 v166, v162, v163
	ds_read_b128 v[162:165], v26 offset:976
	v_add_f32_e32 v3, v3, v4
	v_mul_f32_e32 v4, v157, v219
	v_fma_f32 v4, v156, v222, -v4
	v_add_f32_e32 v3, v3, v4
	v_mul_f32_e32 v4, v159, v221
	s_waitcnt vmcnt(10)
	v_mul_f32_e32 v167, v160, v224
	v_fma_f32 v4, v158, v220, -v4
	v_fmac_f32_e32 v167, v161, v223
	v_add_f32_e32 v3, v3, v4
	v_mul_f32_e32 v4, v161, v224
	v_add_f32_e32 v170, v166, v167
	ds_read_b128 v[166:169], v26 offset:992
	s_waitcnt vmcnt(8) lgkmcnt(1)
	v_mul_f32_e32 v171, v162, v226
	v_fma_f32 v4, v160, v223, -v4
	v_fmac_f32_e32 v171, v163, v225
	v_add_f32_e32 v3, v3, v4
	v_mul_f32_e32 v4, v163, v226
	v_add_f32_e32 v170, v170, v171
	s_waitcnt vmcnt(7)
	v_mul_f32_e32 v171, v164, v227
	v_fma_f32 v4, v162, v225, -v4
	s_waitcnt vmcnt(4)
	v_fmac_f32_e32 v171, v165, v230
	v_add_f32_e32 v3, v3, v4
	v_mul_f32_e32 v4, v165, v227
	v_add_f32_e32 v235, v170, v171
	ds_read_b64 v[170:171], v26 offset:1008
	v_fma_f32 v4, v164, v230, -v4
	v_add_f32_e32 v3, v3, v4
	s_waitcnt lgkmcnt(1)
	v_mul_f32_e32 v4, v167, v229
	v_mul_f32_e32 v246, v166, v229
	v_fma_f32 v4, v166, v228, -v4
	v_fmac_f32_e32 v246, v167, v228
	v_add_f32_e32 v3, v3, v4
	s_waitcnt vmcnt(3)
	v_mul_f32_e32 v4, v169, v231
	v_add_f32_e32 v235, v235, v246
	v_mul_f32_e32 v246, v168, v231
	s_waitcnt vmcnt(0)
	v_fma_f32 v4, v168, v234, -v4
	v_fmac_f32_e32 v246, v169, v234
	v_add_f32_e32 v3, v3, v4
	s_waitcnt lgkmcnt(0)
	v_mul_f32_e32 v4, v171, v233
	v_add_f32_e32 v235, v235, v246
	v_mul_f32_e32 v246, v170, v233
	v_fma_f32 v4, v170, v232, -v4
	v_fmac_f32_e32 v246, v171, v232
	v_add_f32_e32 v3, v3, v4
	v_add_f32_e32 v235, v235, v246
	v_sub_f32_e32 v1, v1, v3
	v_sub_f32_e32 v2, v2, v235
	buffer_store_dword v1, off, s[0:3], 0 offset:40
	buffer_store_dword v2, off, s[0:3], 0 offset:44
	s_and_saveexec_b64 s[4:5], vcc
	s_cbranch_execz .LBB126_383
; %bb.382:
	buffer_load_dword v1, off, s[0:3], 0 offset:32
	buffer_load_dword v2, off, s[0:3], 0 offset:36
	s_waitcnt vmcnt(0)
	ds_write_b64 v25, v[1:2]
	buffer_store_dword v26, off, s[0:3], 0 offset:32
	buffer_store_dword v26, off, s[0:3], 0 offset:36
.LBB126_383:
	s_or_b64 exec, exec, s[4:5]
	s_waitcnt lgkmcnt(0)
	; wave barrier
	buffer_load_dword v35, off, s[0:3], 0 offset:44
	buffer_load_dword v34, off, s[0:3], 0 offset:52
	buffer_load_dword v33, off, s[0:3], 0 offset:60
	buffer_load_dword v32, off, s[0:3], 0 offset:68
	buffer_load_dword v31, off, s[0:3], 0 offset:76
	buffer_load_dword v30, off, s[0:3], 0 offset:84
	buffer_load_dword v29, off, s[0:3], 0 offset:92
	buffer_load_dword v36, off, s[0:3], 0 offset:100
	buffer_load_dword v37, off, s[0:3], 0 offset:108
	buffer_load_dword v40, off, s[0:3], 0 offset:56
	buffer_load_dword v43, off, s[0:3], 0 offset:48
	buffer_load_dword v46, off, s[0:3], 0 offset:40
	buffer_load_dword v38, off, s[0:3], 0 offset:88
	buffer_load_dword v39, off, s[0:3], 0 offset:80
	buffer_load_dword v41, off, s[0:3], 0 offset:72
	buffer_load_dword v44, off, s[0:3], 0 offset:64
	buffer_load_dword v42, off, s[0:3], 0 offset:120
	buffer_load_dword v45, off, s[0:3], 0 offset:112
	buffer_load_dword v48, off, s[0:3], 0 offset:104
	buffer_load_dword v51, off, s[0:3], 0 offset:96
	buffer_load_dword v49, off, s[0:3], 0 offset:116
	buffer_load_dword v47, off, s[0:3], 0 offset:124
	buffer_load_dword v50, off, s[0:3], 0 offset:132
	buffer_load_dword v52, off, s[0:3], 0 offset:152
	buffer_load_dword v53, off, s[0:3], 0 offset:144
	buffer_load_dword v55, off, s[0:3], 0 offset:136
	buffer_load_dword v58, off, s[0:3], 0 offset:128
	buffer_load_dword v57, off, s[0:3], 0 offset:140
	buffer_load_dword v56, off, s[0:3], 0 offset:148
	buffer_load_dword v54, off, s[0:3], 0 offset:156
	buffer_load_dword v27, off, s[0:3], 0 offset:32
	buffer_load_dword v28, off, s[0:3], 0 offset:36
	buffer_load_dword v59, off, s[0:3], 0 offset:160
	buffer_load_dword v60, off, s[0:3], 0 offset:164
	ds_read2_b64 v[17:20], v26 offset0:69 offset1:70
	ds_read2_b64 v[9:12], v26 offset0:71 offset1:72
	;; [unrolled: 1-line block ×4, first 2 shown]
	buffer_load_dword v61, off, s[0:3], 0 offset:172
	buffer_load_dword v62, off, s[0:3], 0 offset:176
	;; [unrolled: 1-line block ×6, first 2 shown]
	ds_read2_b64 v[21:24], v26 offset0:77 offset1:78
	ds_read2_b64 v[13:16], v26 offset0:79 offset1:80
	buffer_load_dword v66, off, s[0:3], 0 offset:192
	buffer_load_dword v68, off, s[0:3], 0 offset:196
	;; [unrolled: 1-line block ×16, first 2 shown]
	v_cmp_lt_u32_e32 vcc, 3, v0
	s_waitcnt vmcnt(55) lgkmcnt(5)
	v_mul_f32_e32 v80, v17, v35
	s_waitcnt vmcnt(54)
	v_mul_f32_e32 v81, v19, v34
	s_waitcnt vmcnt(53) lgkmcnt(4)
	v_mul_f32_e32 v82, v9, v33
	s_waitcnt vmcnt(52)
	v_mul_f32_e32 v83, v11, v32
	;; [unrolled: 4-line block ×4, first 2 shown]
	s_waitcnt vmcnt(47) lgkmcnt(1)
	v_mul_f32_e32 v88, v21, v37
	s_waitcnt vmcnt(46)
	v_fmac_f32_e32 v82, v10, v40
	s_waitcnt vmcnt(45)
	v_fmac_f32_e32 v81, v20, v43
	;; [unrolled: 2-line block ×3, first 2 shown]
	v_add_f32_e32 v80, 0, v80
	v_add_f32_e32 v80, v80, v81
	;; [unrolled: 1-line block ×3, first 2 shown]
	s_waitcnt vmcnt(40)
	v_fmac_f32_e32 v83, v12, v44
	v_fmac_f32_e32 v84, v6, v41
	v_add_f32_e32 v80, v80, v83
	v_fmac_f32_e32 v85, v8, v39
	v_add_f32_e32 v80, v80, v84
	v_fmac_f32_e32 v86, v2, v38
	v_add_f32_e32 v80, v80, v85
	s_waitcnt vmcnt(36)
	v_fmac_f32_e32 v87, v4, v51
	v_add_f32_e32 v80, v80, v86
	v_fmac_f32_e32 v88, v22, v48
	v_add_f32_e32 v80, v80, v87
	s_waitcnt vmcnt(35)
	v_mul_f32_e32 v81, v23, v49
	v_add_f32_e32 v80, v80, v88
	v_fmac_f32_e32 v81, v24, v45
	v_add_f32_e32 v80, v80, v81
	s_waitcnt vmcnt(34) lgkmcnt(0)
	v_mul_f32_e32 v81, v13, v47
	v_fmac_f32_e32 v81, v14, v42
	v_add_f32_e32 v84, v80, v81
	ds_read2_b64 v[80:83], v26 offset0:81 offset1:82
	buffer_load_dword v177, off, s[0:3], 0 offset:256
	buffer_load_dword v178, off, s[0:3], 0 offset:260
	s_waitcnt vmcnt(35)
	v_mul_f32_e32 v85, v15, v50
	s_waitcnt vmcnt(31)
	v_fmac_f32_e32 v85, v16, v58
	v_add_f32_e32 v88, v84, v85
	ds_read2_b64 v[84:87], v26 offset0:83 offset1:84
	s_waitcnt vmcnt(30) lgkmcnt(1)
	v_mul_f32_e32 v89, v80, v57
	v_fmac_f32_e32 v89, v81, v55
	v_add_f32_e32 v88, v88, v89
	s_waitcnt vmcnt(29)
	v_mul_f32_e32 v89, v82, v56
	v_fmac_f32_e32 v89, v83, v53
	buffer_load_dword v179, off, s[0:3], 0 offset:264
	buffer_load_dword v180, off, s[0:3], 0 offset:268
	v_add_f32_e32 v88, v88, v89
	s_waitcnt vmcnt(30) lgkmcnt(0)
	v_mul_f32_e32 v89, v84, v54
	v_fmac_f32_e32 v89, v85, v52
	s_waitcnt vmcnt(26)
	v_mul_f32_e32 v93, v86, v60
	v_add_f32_e32 v92, v88, v89
	v_fmac_f32_e32 v93, v87, v59
	ds_read2_b64 v[88:91], v26 offset0:85 offset1:86
	v_add_f32_e32 v96, v92, v93
	ds_read2_b64 v[92:95], v26 offset0:87 offset1:88
	buffer_load_dword v181, off, s[0:3], 0 offset:276
	buffer_load_dword v182, off, s[0:3], 0 offset:272
	;; [unrolled: 1-line block ×6, first 2 shown]
	s_waitcnt vmcnt(31) lgkmcnt(1)
	v_mul_f32_e32 v97, v88, v61
	s_waitcnt vmcnt(26)
	v_fmac_f32_e32 v97, v89, v67
	v_add_f32_e32 v96, v96, v97
	v_mul_f32_e32 v97, v90, v63
	v_fmac_f32_e32 v97, v91, v62
	v_add_f32_e32 v96, v96, v97
	s_waitcnt lgkmcnt(0)
	v_mul_f32_e32 v97, v92, v65
	v_fmac_f32_e32 v97, v93, v64
	v_add_f32_e32 v100, v96, v97
	ds_read2_b64 v[96:99], v26 offset0:89 offset1:90
	s_waitcnt vmcnt(24)
	v_mul_f32_e32 v101, v94, v68
	v_fmac_f32_e32 v101, v95, v66
	v_add_f32_e32 v104, v100, v101
	ds_read2_b64 v[100:103], v26 offset0:91 offset1:92
	s_waitcnt vmcnt(22) lgkmcnt(1)
	v_mul_f32_e32 v105, v96, v70
	v_fmac_f32_e32 v105, v97, v69
	buffer_load_dword v187, off, s[0:3], 0 offset:300
	v_add_f32_e32 v104, v104, v105
	s_waitcnt vmcnt(21)
	v_mul_f32_e32 v105, v98, v72
	v_fmac_f32_e32 v105, v99, v71
	v_add_f32_e32 v104, v104, v105
	s_waitcnt vmcnt(19) lgkmcnt(0)
	v_mul_f32_e32 v105, v100, v74
	buffer_load_dword v188, off, s[0:3], 0 offset:296
	buffer_load_dword v189, off, s[0:3], 0 offset:304
	;; [unrolled: 1-line block ×3, first 2 shown]
	v_fmac_f32_e32 v105, v101, v73
	v_add_f32_e32 v108, v104, v105
	ds_read2_b64 v[104:107], v26 offset0:93 offset1:94
	buffer_load_dword v191, off, s[0:3], 0 offset:312
	buffer_load_dword v192, off, s[0:3], 0 offset:316
	s_waitcnt vmcnt(22)
	v_mul_f32_e32 v109, v102, v76
	v_fmac_f32_e32 v109, v103, v75
	v_add_f32_e32 v112, v108, v109
	ds_read2_b64 v[108:111], v26 offset0:95 offset1:96
	buffer_load_dword v193, off, s[0:3], 0 offset:320
	buffer_load_dword v194, off, s[0:3], 0 offset:324
	;; [unrolled: 1-line block ×8, first 2 shown]
	s_waitcnt vmcnt(28) lgkmcnt(1)
	v_mul_f32_e32 v113, v104, v78
	buffer_load_dword v201, off, s[0:3], 0 offset:352
	buffer_load_dword v202, off, s[0:3], 0 offset:356
	v_fmac_f32_e32 v113, v105, v77
	v_add_f32_e32 v112, v112, v113
	s_waitcnt vmcnt(28)
	v_mul_f32_e32 v113, v106, v174
	v_fmac_f32_e32 v113, v107, v79
	v_add_f32_e32 v112, v112, v113
	s_waitcnt vmcnt(26) lgkmcnt(0)
	v_mul_f32_e32 v113, v108, v176
	v_fmac_f32_e32 v113, v109, v175
	v_add_f32_e32 v116, v112, v113
	ds_read2_b64 v[112:115], v26 offset0:97 offset1:98
	buffer_load_dword v203, off, s[0:3], 0 offset:360
	buffer_load_dword v204, off, s[0:3], 0 offset:364
	;; [unrolled: 1-line block ×6, first 2 shown]
	v_mul_f32_e32 v18, v18, v35
	v_fma_f32 v17, v17, v46, -v18
	v_mul_f32_e32 v18, v20, v34
	v_add_f32_e32 v17, 0, v17
	v_fma_f32 v18, v19, v43, -v18
	v_mul_f32_e32 v10, v10, v33
	v_add_f32_e32 v17, v17, v18
	;; [unrolled: 3-line block ×4, first 2 shown]
	s_waitcnt vmcnt(30)
	v_mul_f32_e32 v117, v110, v178
	v_fmac_f32_e32 v117, v111, v177
	v_add_f32_e32 v122, v116, v117
	ds_read2_b64 v[116:119], v26 offset0:99 offset1:100
	buffer_load_dword v209, off, s[0:3], 0 offset:384
	buffer_load_dword v210, off, s[0:3], 0 offset:388
	;; [unrolled: 1-line block ×10, first 2 shown]
	v_fma_f32 v5, v5, v41, -v6
	v_mul_f32_e32 v6, v8, v30
	v_add_f32_e32 v5, v9, v5
	v_fma_f32 v6, v7, v39, -v6
	v_mul_f32_e32 v2, v2, v29
	v_add_f32_e32 v5, v5, v6
	v_fma_f32 v1, v1, v38, -v2
	v_mul_f32_e32 v2, v4, v36
	s_waitcnt vmcnt(38) lgkmcnt(1)
	v_mul_f32_e32 v123, v112, v180
	buffer_load_dword v219, off, s[0:3], 0 offset:424
	buffer_load_dword v220, off, s[0:3], 0 offset:428
	;; [unrolled: 1-line block ×6, first 2 shown]
	v_add_f32_e32 v1, v5, v1
	v_fma_f32 v2, v3, v51, -v2
	v_fmac_f32_e32 v123, v113, v179
	v_add_f32_e32 v1, v1, v2
	v_mul_f32_e32 v2, v22, v37
	v_add_f32_e32 v122, v122, v123
	s_waitcnt vmcnt(43)
	v_mul_f32_e32 v123, v114, v181
	v_fma_f32 v2, v21, v48, -v2
	s_waitcnt vmcnt(42)
	v_fmac_f32_e32 v123, v115, v182
	v_add_f32_e32 v1, v1, v2
	v_mul_f32_e32 v2, v24, v49
	v_add_f32_e32 v122, v122, v123
	s_waitcnt vmcnt(40) lgkmcnt(0)
	v_mul_f32_e32 v123, v116, v184
	v_fma_f32 v2, v23, v45, -v2
	v_fmac_f32_e32 v123, v117, v183
	v_add_f32_e32 v1, v1, v2
	v_mul_f32_e32 v2, v14, v47
	v_add_f32_e32 v126, v122, v123
	ds_read2_b64 v[122:125], v26 offset0:101 offset1:102
	buffer_load_dword v225, off, s[0:3], 0 offset:448
	buffer_load_dword v226, off, s[0:3], 0 offset:452
	v_fma_f32 v2, v13, v42, -v2
	v_add_f32_e32 v1, v1, v2
	v_mul_f32_e32 v2, v16, v50
	v_fma_f32 v2, v15, v58, -v2
	s_waitcnt vmcnt(40)
	v_mul_f32_e32 v127, v118, v186
	v_add_f32_e32 v1, v1, v2
	v_mul_f32_e32 v2, v81, v57
	v_fmac_f32_e32 v127, v119, v185
	v_fma_f32 v2, v80, v55, -v2
	v_add_f32_e32 v130, v126, v127
	ds_read2_b64 v[126:129], v26 offset0:103 offset1:104
	buffer_load_dword v227, off, s[0:3], 0 offset:456
	buffer_load_dword v228, off, s[0:3], 0 offset:460
	buffer_load_dword v229, off, s[0:3], 0 offset:468
	buffer_load_dword v230, off, s[0:3], 0 offset:472
	buffer_load_dword v231, off, s[0:3], 0 offset:476
	buffer_load_dword v232, off, s[0:3], 0 offset:464
	v_add_f32_e32 v1, v1, v2
	v_mul_f32_e32 v2, v83, v56
	v_fma_f32 v2, v82, v53, -v2
	v_add_f32_e32 v1, v1, v2
	v_mul_f32_e32 v2, v85, v54
	v_fma_f32 v2, v84, v52, -v2
	;; [unrolled: 3-line block ×3, first 2 shown]
	v_add_f32_e32 v1, v1, v2
	v_mul_f32_e32 v2, v89, v61
	buffer_load_dword v233, off, s[0:3], 0 offset:480
	buffer_load_dword v234, off, s[0:3], 0 offset:484
	;; [unrolled: 1-line block ×6, first 2 shown]
	v_fma_f32 v2, v88, v67, -v2
	v_add_f32_e32 v1, v1, v2
	v_mul_f32_e32 v2, v91, v63
	v_fma_f32 v2, v90, v62, -v2
	v_add_f32_e32 v1, v1, v2
	v_mul_f32_e32 v2, v93, v65
	;; [unrolled: 3-line block ×7, first 2 shown]
	v_fma_f32 v2, v102, v75, -v2
	s_waitcnt vmcnt(51) lgkmcnt(1)
	v_mul_f32_e32 v131, v122, v187
	v_add_f32_e32 v1, v1, v2
	v_mul_f32_e32 v2, v105, v78
	s_waitcnt vmcnt(50)
	v_fmac_f32_e32 v131, v123, v188
	v_fma_f32 v2, v104, v77, -v2
	v_add_f32_e32 v130, v130, v131
	s_waitcnt vmcnt(48)
	v_mul_f32_e32 v131, v124, v190
	v_add_f32_e32 v1, v1, v2
	v_mul_f32_e32 v2, v107, v174
	v_fmac_f32_e32 v131, v125, v189
	v_fma_f32 v2, v106, v79, -v2
	v_add_f32_e32 v130, v130, v131
	s_waitcnt vmcnt(46) lgkmcnt(0)
	v_mul_f32_e32 v131, v126, v192
	v_add_f32_e32 v1, v1, v2
	v_mul_f32_e32 v2, v109, v176
	v_fmac_f32_e32 v131, v127, v191
	v_fma_f32 v2, v108, v175, -v2
	v_add_f32_e32 v134, v130, v131
	ds_read2_b64 v[130:133], v26 offset0:105 offset1:106
	v_add_f32_e32 v1, v1, v2
	v_mul_f32_e32 v2, v111, v178
	v_fma_f32 v2, v110, v177, -v2
	s_waitcnt vmcnt(44)
	v_mul_f32_e32 v135, v128, v194
	v_add_f32_e32 v1, v1, v2
	v_mul_f32_e32 v2, v113, v180
	v_fmac_f32_e32 v135, v129, v193
	v_fma_f32 v2, v112, v179, -v2
	v_add_f32_e32 v138, v134, v135
	ds_read2_b64 v[134:137], v26 offset0:107 offset1:108
	v_add_f32_e32 v1, v1, v2
	v_mul_f32_e32 v2, v115, v181
	s_waitcnt vmcnt(42) lgkmcnt(1)
	v_mul_f32_e32 v139, v130, v196
	v_fma_f32 v2, v114, v182, -v2
	v_fmac_f32_e32 v139, v131, v195
	v_add_f32_e32 v1, v1, v2
	v_mul_f32_e32 v2, v117, v184
	v_add_f32_e32 v138, v138, v139
	s_waitcnt vmcnt(41)
	v_mul_f32_e32 v139, v132, v197
	v_fma_f32 v2, v116, v183, -v2
	s_waitcnt vmcnt(38)
	v_fmac_f32_e32 v139, v133, v200
	v_add_f32_e32 v1, v1, v2
	v_mul_f32_e32 v2, v119, v186
	v_add_f32_e32 v138, v138, v139
	s_waitcnt lgkmcnt(0)
	v_mul_f32_e32 v139, v134, v199
	v_fma_f32 v2, v118, v185, -v2
	v_fmac_f32_e32 v139, v135, v198
	v_add_f32_e32 v1, v1, v2
	v_mul_f32_e32 v2, v123, v187
	v_add_f32_e32 v142, v138, v139
	ds_read2_b64 v[138:141], v26 offset0:109 offset1:110
	v_fma_f32 v2, v122, v188, -v2
	v_add_f32_e32 v1, v1, v2
	v_mul_f32_e32 v2, v125, v190
	s_waitcnt vmcnt(36)
	v_mul_f32_e32 v143, v136, v202
	v_fma_f32 v2, v124, v189, -v2
	v_fmac_f32_e32 v143, v137, v201
	v_add_f32_e32 v1, v1, v2
	v_mul_f32_e32 v2, v127, v192
	v_add_f32_e32 v146, v142, v143
	ds_read2_b64 v[142:145], v26 offset0:111 offset1:112
	v_fma_f32 v2, v126, v191, -v2
	s_waitcnt vmcnt(34) lgkmcnt(1)
	v_mul_f32_e32 v147, v138, v204
	v_add_f32_e32 v1, v1, v2
	v_mul_f32_e32 v2, v129, v194
	v_fmac_f32_e32 v147, v139, v203
	v_fma_f32 v2, v128, v193, -v2
	v_add_f32_e32 v146, v146, v147
	s_waitcnt vmcnt(33)
	v_mul_f32_e32 v147, v140, v205
	v_add_f32_e32 v1, v1, v2
	v_mul_f32_e32 v2, v131, v196
	s_waitcnt vmcnt(30)
	v_fmac_f32_e32 v147, v141, v208
	v_fma_f32 v2, v130, v195, -v2
	v_add_f32_e32 v146, v146, v147
	s_waitcnt lgkmcnt(0)
	v_mul_f32_e32 v147, v142, v207
	v_add_f32_e32 v1, v1, v2
	v_mul_f32_e32 v2, v133, v197
	v_fmac_f32_e32 v147, v143, v206
	v_fma_f32 v2, v132, v200, -v2
	v_add_f32_e32 v150, v146, v147
	ds_read2_b64 v[146:149], v26 offset0:113 offset1:114
	v_add_f32_e32 v1, v1, v2
	v_mul_f32_e32 v2, v135, v199
	v_fma_f32 v2, v134, v198, -v2
	s_waitcnt vmcnt(28)
	v_mul_f32_e32 v151, v144, v210
	v_add_f32_e32 v1, v1, v2
	v_mul_f32_e32 v2, v137, v202
	v_fmac_f32_e32 v151, v145, v209
	v_fma_f32 v2, v136, v201, -v2
	v_add_f32_e32 v154, v150, v151
	ds_read2_b64 v[150:153], v26 offset0:115 offset1:116
	v_add_f32_e32 v1, v1, v2
	v_mul_f32_e32 v2, v139, v204
	s_waitcnt vmcnt(26) lgkmcnt(1)
	v_mul_f32_e32 v155, v146, v212
	v_fma_f32 v2, v138, v203, -v2
	v_fmac_f32_e32 v155, v147, v211
	v_add_f32_e32 v1, v1, v2
	v_mul_f32_e32 v2, v141, v205
	v_add_f32_e32 v154, v154, v155
	s_waitcnt vmcnt(25)
	v_mul_f32_e32 v155, v148, v213
	v_fma_f32 v2, v140, v208, -v2
	s_waitcnt vmcnt(22)
	v_fmac_f32_e32 v155, v149, v216
	v_add_f32_e32 v1, v1, v2
	v_mul_f32_e32 v2, v143, v207
	v_add_f32_e32 v154, v154, v155
	s_waitcnt lgkmcnt(0)
	v_mul_f32_e32 v155, v150, v215
	v_fma_f32 v2, v142, v206, -v2
	v_fmac_f32_e32 v155, v151, v214
	v_add_f32_e32 v1, v1, v2
	v_mul_f32_e32 v2, v145, v210
	v_add_f32_e32 v158, v154, v155
	ds_read2_b64 v[154:157], v26 offset0:117 offset1:118
	v_fma_f32 v2, v144, v209, -v2
	v_add_f32_e32 v1, v1, v2
	v_mul_f32_e32 v2, v147, v212
	s_waitcnt vmcnt(20)
	v_mul_f32_e32 v159, v152, v218
	v_fma_f32 v2, v146, v211, -v2
	v_fmac_f32_e32 v159, v153, v217
	v_add_f32_e32 v1, v1, v2
	v_mul_f32_e32 v2, v149, v213
	v_add_f32_e32 v162, v158, v159
	ds_read2_b64 v[158:161], v26 offset0:119 offset1:120
	v_fma_f32 v2, v148, v216, -v2
	s_waitcnt vmcnt(18) lgkmcnt(1)
	v_mul_f32_e32 v163, v154, v220
	v_add_f32_e32 v1, v1, v2
	v_mul_f32_e32 v2, v151, v215
	v_fmac_f32_e32 v163, v155, v219
	v_fma_f32 v2, v150, v214, -v2
	v_add_f32_e32 v162, v162, v163
	s_waitcnt vmcnt(17)
	v_mul_f32_e32 v163, v156, v221
	v_add_f32_e32 v1, v1, v2
	v_mul_f32_e32 v2, v153, v218
	s_waitcnt vmcnt(14)
	v_fmac_f32_e32 v163, v157, v224
	v_fma_f32 v2, v152, v217, -v2
	v_add_f32_e32 v162, v162, v163
	s_waitcnt lgkmcnt(0)
	v_mul_f32_e32 v163, v158, v223
	v_add_f32_e32 v1, v1, v2
	v_mul_f32_e32 v2, v155, v220
	v_fmac_f32_e32 v163, v159, v222
	v_fma_f32 v2, v154, v219, -v2
	v_add_f32_e32 v166, v162, v163
	ds_read2_b64 v[162:165], v26 offset0:121 offset1:122
	v_add_f32_e32 v1, v1, v2
	v_mul_f32_e32 v2, v157, v221
	v_fma_f32 v2, v156, v224, -v2
	v_add_f32_e32 v1, v1, v2
	v_mul_f32_e32 v2, v159, v223
	s_waitcnt vmcnt(12)
	v_mul_f32_e32 v167, v160, v226
	v_fma_f32 v2, v158, v222, -v2
	v_fmac_f32_e32 v167, v161, v225
	v_add_f32_e32 v1, v1, v2
	v_mul_f32_e32 v2, v161, v226
	v_add_f32_e32 v170, v166, v167
	ds_read2_b64 v[166:169], v26 offset0:123 offset1:124
	s_waitcnt vmcnt(10) lgkmcnt(1)
	v_mul_f32_e32 v171, v162, v228
	v_fma_f32 v2, v160, v225, -v2
	v_fmac_f32_e32 v171, v163, v227
	v_add_f32_e32 v1, v1, v2
	v_mul_f32_e32 v2, v163, v228
	v_add_f32_e32 v170, v170, v171
	s_waitcnt vmcnt(9)
	v_mul_f32_e32 v171, v164, v229
	v_fma_f32 v2, v162, v227, -v2
	s_waitcnt vmcnt(6)
	v_fmac_f32_e32 v171, v165, v232
	v_add_f32_e32 v1, v1, v2
	v_mul_f32_e32 v2, v165, v229
	v_add_f32_e32 v249, v170, v171
	ds_read2_b64 v[170:173], v26 offset0:125 offset1:126
	v_fma_f32 v2, v164, v232, -v2
	v_add_f32_e32 v1, v1, v2
	s_waitcnt lgkmcnt(1)
	v_mul_f32_e32 v2, v167, v231
	v_mul_f32_e32 v250, v166, v231
	v_fma_f32 v2, v166, v230, -v2
	v_fmac_f32_e32 v250, v167, v230
	v_add_f32_e32 v1, v1, v2
	s_waitcnt vmcnt(4)
	v_mul_f32_e32 v2, v169, v234
	v_add_f32_e32 v26, v249, v250
	v_mul_f32_e32 v249, v168, v234
	v_fma_f32 v2, v168, v233, -v2
	v_fmac_f32_e32 v249, v169, v233
	v_add_f32_e32 v1, v1, v2
	s_waitcnt vmcnt(3) lgkmcnt(0)
	v_mul_f32_e32 v2, v171, v235
	v_add_f32_e32 v26, v26, v249
	v_mul_f32_e32 v249, v170, v235
	s_waitcnt vmcnt(0)
	v_fma_f32 v2, v170, v248, -v2
	v_fmac_f32_e32 v249, v171, v248
	v_add_f32_e32 v1, v1, v2
	v_mul_f32_e32 v2, v173, v247
	v_add_f32_e32 v26, v26, v249
	v_mul_f32_e32 v249, v172, v247
	v_fma_f32 v2, v172, v246, -v2
	v_fmac_f32_e32 v249, v173, v246
	v_add_f32_e32 v1, v1, v2
	v_add_f32_e32 v26, v26, v249
	v_sub_f32_e32 v1, v27, v1
	v_sub_f32_e32 v2, v28, v26
	buffer_store_dword v1, off, s[0:3], 0 offset:32
	buffer_store_dword v2, off, s[0:3], 0 offset:36
	s_and_saveexec_b64 s[4:5], vcc
	s_cbranch_execz .LBB126_385
; %bb.384:
	buffer_load_dword v1, off, s[0:3], 0 offset:24
	buffer_load_dword v2, off, s[0:3], 0 offset:28
	v_mov_b32_e32 v3, 0
	buffer_store_dword v3, off, s[0:3], 0 offset:24
	buffer_store_dword v3, off, s[0:3], 0 offset:28
	s_waitcnt vmcnt(2)
	ds_write_b64 v25, v[1:2]
.LBB126_385:
	s_or_b64 exec, exec, s[4:5]
	s_waitcnt lgkmcnt(0)
	; wave barrier
	buffer_load_dword v9, off, s[0:3], 0 offset:36
	buffer_load_dword v8, off, s[0:3], 0 offset:44
	;; [unrolled: 1-line block ×56, first 2 shown]
	v_mov_b32_e32 v26, 0
	ds_read_b128 v[59:62], v26 offset:544
	ds_read_b128 v[63:66], v26 offset:560
	;; [unrolled: 1-line block ×6, first 2 shown]
	buffer_load_dword v119, off, s[0:3], 0 offset:248
	buffer_load_dword v180, off, s[0:3], 0 offset:252
	v_cmp_lt_u32_e32 vcc, 2, v0
	s_waitcnt vmcnt(57) lgkmcnt(5)
	v_mul_f32_e32 v83, v59, v9
	s_waitcnt vmcnt(56)
	v_mul_f32_e32 v84, v61, v8
	s_waitcnt vmcnt(55) lgkmcnt(4)
	v_mul_f32_e32 v85, v63, v7
	s_waitcnt vmcnt(54)
	v_mul_f32_e32 v86, v65, v6
	;; [unrolled: 4-line block ×4, first 2 shown]
	s_waitcnt vmcnt(49) lgkmcnt(1)
	v_mul_f32_e32 v91, v75, v11
	s_waitcnt vmcnt(48)
	v_fmac_f32_e32 v85, v64, v14
	s_waitcnt vmcnt(47)
	v_fmac_f32_e32 v84, v62, v17
	s_waitcnt vmcnt(46)
	v_fmac_f32_e32 v83, v60, v20
	v_add_f32_e32 v83, 0, v83
	v_add_f32_e32 v83, v83, v84
	;; [unrolled: 1-line block ×3, first 2 shown]
	s_waitcnt vmcnt(42)
	v_fmac_f32_e32 v86, v66, v18
	v_fmac_f32_e32 v87, v68, v15
	v_add_f32_e32 v83, v83, v86
	v_fmac_f32_e32 v88, v70, v13
	v_add_f32_e32 v83, v83, v87
	;; [unrolled: 2-line block ×3, first 2 shown]
	s_waitcnt vmcnt(38)
	v_fmac_f32_e32 v90, v74, v27
	v_add_f32_e32 v83, v83, v89
	v_add_f32_e32 v83, v83, v90
	v_fmac_f32_e32 v91, v76, v22
	s_waitcnt vmcnt(37)
	v_mul_f32_e32 v84, v77, v23
	v_add_f32_e32 v83, v83, v91
	v_fmac_f32_e32 v84, v78, v19
	v_add_f32_e32 v83, v83, v84
	s_waitcnt vmcnt(36) lgkmcnt(0)
	v_mul_f32_e32 v84, v79, v21
	v_fmac_f32_e32 v84, v80, v16
	v_add_f32_e32 v87, v83, v84
	ds_read_b128 v[83:86], v26 offset:640
	s_waitcnt vmcnt(35)
	v_mul_f32_e32 v88, v81, v24
	s_waitcnt vmcnt(30)
	v_fmac_f32_e32 v88, v82, v35
	v_add_f32_e32 v91, v87, v88
	ds_read_b128 v[87:90], v26 offset:656
	s_waitcnt vmcnt(29) lgkmcnt(1)
	v_mul_f32_e32 v92, v83, v34
	v_fmac_f32_e32 v92, v84, v31
	buffer_load_dword v181, off, s[0:3], 0 offset:256
	buffer_load_dword v182, off, s[0:3], 0 offset:260
	v_add_f32_e32 v91, v91, v92
	s_waitcnt vmcnt(30)
	v_mul_f32_e32 v92, v85, v32
	v_fmac_f32_e32 v92, v86, v30
	v_add_f32_e32 v91, v91, v92
	s_waitcnt lgkmcnt(0)
	v_mul_f32_e32 v92, v87, v29
	buffer_load_dword v183, off, s[0:3], 0 offset:264
	buffer_load_dword v184, off, s[0:3], 0 offset:268
	v_fmac_f32_e32 v92, v88, v28
	v_add_f32_e32 v95, v91, v92
	ds_read_b128 v[91:94], v26 offset:672
	buffer_load_dword v185, off, s[0:3], 0 offset:272
	buffer_load_dword v186, off, s[0:3], 0 offset:276
	s_waitcnt vmcnt(30)
	v_mul_f32_e32 v96, v89, v36
	v_fmac_f32_e32 v96, v90, v33
	v_add_f32_e32 v99, v95, v96
	ds_read_b128 v[95:98], v26 offset:688
	buffer_load_dword v187, off, s[0:3], 0 offset:280
	buffer_load_dword v188, off, s[0:3], 0 offset:284
	s_waitcnt vmcnt(30) lgkmcnt(1)
	v_mul_f32_e32 v100, v91, v38
	v_fmac_f32_e32 v100, v92, v37
	v_add_f32_e32 v99, v99, v100
	s_waitcnt vmcnt(28)
	v_mul_f32_e32 v100, v93, v40
	v_fmac_f32_e32 v100, v94, v39
	v_add_f32_e32 v99, v99, v100
	s_waitcnt vmcnt(26) lgkmcnt(0)
	v_mul_f32_e32 v100, v95, v42
	v_fmac_f32_e32 v100, v96, v41
	v_add_f32_e32 v103, v99, v100
	ds_read_b128 v[99:102], v26 offset:704
	s_waitcnt vmcnt(24)
	v_mul_f32_e32 v104, v97, v44
	v_fmac_f32_e32 v104, v98, v43
	v_add_f32_e32 v107, v103, v104
	buffer_load_dword v189, off, s[0:3], 0 offset:288
	buffer_load_dword v190, off, s[0:3], 0 offset:292
	ds_read_b128 v[103:106], v26 offset:720
	s_waitcnt vmcnt(24) lgkmcnt(1)
	v_mul_f32_e32 v108, v99, v46
	v_fmac_f32_e32 v108, v100, v45
	v_add_f32_e32 v107, v107, v108
	s_waitcnt vmcnt(22)
	v_mul_f32_e32 v108, v101, v48
	v_fmac_f32_e32 v108, v102, v47
	buffer_load_dword v191, off, s[0:3], 0 offset:300
	buffer_load_dword v192, off, s[0:3], 0 offset:296
	;; [unrolled: 1-line block ×4, first 2 shown]
	v_add_f32_e32 v107, v107, v108
	s_waitcnt vmcnt(24) lgkmcnt(0)
	v_mul_f32_e32 v108, v103, v50
	v_fmac_f32_e32 v108, v104, v49
	s_waitcnt vmcnt(22)
	v_mul_f32_e32 v112, v105, v52
	v_add_f32_e32 v111, v107, v108
	v_fmac_f32_e32 v112, v106, v51
	ds_read_b128 v[107:110], v26 offset:736
	v_add_f32_e32 v115, v111, v112
	ds_read_b128 v[111:114], v26 offset:752
	buffer_load_dword v195, off, s[0:3], 0 offset:312
	buffer_load_dword v196, off, s[0:3], 0 offset:316
	;; [unrolled: 1-line block ×8, first 2 shown]
	s_waitcnt vmcnt(28) lgkmcnt(1)
	v_mul_f32_e32 v116, v107, v54
	buffer_load_dword v203, off, s[0:3], 0 offset:344
	buffer_load_dword v204, off, s[0:3], 0 offset:348
	v_fmac_f32_e32 v116, v108, v53
	v_add_f32_e32 v115, v115, v116
	s_waitcnt vmcnt(28)
	v_mul_f32_e32 v116, v109, v56
	v_fmac_f32_e32 v116, v110, v55
	v_add_f32_e32 v115, v115, v116
	s_waitcnt vmcnt(26) lgkmcnt(0)
	v_mul_f32_e32 v116, v111, v58
	v_fmac_f32_e32 v116, v112, v57
	v_add_f32_e32 v122, v115, v116
	ds_read_b128 v[115:118], v26 offset:768
	buffer_load_dword v205, off, s[0:3], 0 offset:352
	buffer_load_dword v206, off, s[0:3], 0 offset:356
	;; [unrolled: 1-line block ×6, first 2 shown]
	s_waitcnt vmcnt(30)
	v_mul_f32_e32 v123, v113, v180
	v_fmac_f32_e32 v123, v114, v119
	v_add_f32_e32 v126, v122, v123
	ds_read_b128 v[122:125], v26 offset:784
	buffer_load_dword v211, off, s[0:3], 0 offset:376
	buffer_load_dword v212, off, s[0:3], 0 offset:380
	buffer_load_dword v213, off, s[0:3], 0 offset:384
	buffer_load_dword v214, off, s[0:3], 0 offset:388
	buffer_load_dword v215, off, s[0:3], 0 offset:396
	buffer_load_dword v216, off, s[0:3], 0 offset:400
	buffer_load_dword v217, off, s[0:3], 0 offset:404
	buffer_load_dword v218, off, s[0:3], 0 offset:392
	v_mul_f32_e32 v9, v60, v9
	buffer_load_dword v219, off, s[0:3], 0 offset:408
	buffer_load_dword v220, off, s[0:3], 0 offset:412
	v_fma_f32 v9, v59, v20, -v9
	v_mul_f32_e32 v8, v62, v8
	v_add_f32_e32 v9, 0, v9
	v_fma_f32 v8, v61, v17, -v8
	v_mul_f32_e32 v7, v64, v7
	v_add_f32_e32 v8, v9, v8
	;; [unrolled: 3-line block ×4, first 2 shown]
	s_waitcnt vmcnt(38) lgkmcnt(1)
	v_mul_f32_e32 v127, v115, v182
	v_fmac_f32_e32 v127, v116, v181
	v_add_f32_e32 v126, v126, v127
	v_fma_f32 v5, v67, v15, -v5
	v_mul_f32_e32 v4, v70, v4
	v_add_f32_e32 v5, v6, v5
	s_waitcnt vmcnt(36)
	v_mul_f32_e32 v127, v117, v184
	v_fmac_f32_e32 v127, v118, v183
	v_add_f32_e32 v126, v126, v127
	v_fma_f32 v4, v69, v13, -v4
	s_waitcnt vmcnt(34) lgkmcnt(0)
	v_mul_f32_e32 v127, v122, v186
	v_fmac_f32_e32 v127, v123, v185
	v_mul_f32_e32 v3, v72, v3
	v_add_f32_e32 v130, v126, v127
	ds_read_b128 v[126:129], v26 offset:800
	buffer_load_dword v221, off, s[0:3], 0 offset:416
	buffer_load_dword v222, off, s[0:3], 0 offset:420
	buffer_load_dword v223, off, s[0:3], 0 offset:428
	buffer_load_dword v224, off, s[0:3], 0 offset:432
	buffer_load_dword v225, off, s[0:3], 0 offset:436
	buffer_load_dword v226, off, s[0:3], 0 offset:424
	v_add_f32_e32 v4, v5, v4
	v_fma_f32 v3, v71, v12, -v3
	v_add_f32_e32 v3, v4, v3
	v_mul_f32_e32 v4, v74, v10
	v_fma_f32 v4, v73, v27, -v4
	s_waitcnt vmcnt(38)
	v_mul_f32_e32 v131, v124, v188
	v_add_f32_e32 v3, v3, v4
	v_mul_f32_e32 v4, v76, v11
	v_fmac_f32_e32 v131, v125, v187
	v_fma_f32 v4, v75, v22, -v4
	v_add_f32_e32 v134, v130, v131
	ds_read_b128 v[130:133], v26 offset:816
	buffer_load_dword v227, off, s[0:3], 0 offset:440
	buffer_load_dword v228, off, s[0:3], 0 offset:444
	v_add_f32_e32 v3, v3, v4
	v_mul_f32_e32 v4, v78, v23
	v_fma_f32 v4, v77, v19, -v4
	v_add_f32_e32 v3, v3, v4
	v_mul_f32_e32 v4, v80, v21
	v_fma_f32 v4, v79, v16, -v4
	;; [unrolled: 3-line block ×3, first 2 shown]
	buffer_load_dword v229, off, s[0:3], 0 offset:448
	buffer_load_dword v230, off, s[0:3], 0 offset:452
	;; [unrolled: 1-line block ×6, first 2 shown]
	v_add_f32_e32 v3, v3, v4
	v_mul_f32_e32 v4, v84, v34
	v_fma_f32 v4, v83, v31, -v4
	v_add_f32_e32 v3, v3, v4
	v_mul_f32_e32 v4, v86, v32
	v_fma_f32 v4, v85, v30, -v4
	v_add_f32_e32 v3, v3, v4
	v_mul_f32_e32 v4, v88, v29
	buffer_load_dword v235, off, s[0:3], 0 offset:472
	buffer_load_dword v246, off, s[0:3], 0 offset:476
	v_fma_f32 v4, v87, v28, -v4
	v_add_f32_e32 v3, v3, v4
	v_mul_f32_e32 v4, v90, v36
	v_fma_f32 v4, v89, v33, -v4
	v_add_f32_e32 v3, v3, v4
	v_mul_f32_e32 v4, v92, v38
	;; [unrolled: 3-line block ×3, first 2 shown]
	buffer_load_dword v247, off, s[0:3], 0 offset:480
	buffer_load_dword v248, off, s[0:3], 0 offset:484
	buffer_load_dword v249, off, s[0:3], 0 offset:492
	buffer_load_dword v250, off, s[0:3], 0 offset:496
	buffer_load_dword v251, off, s[0:3], 0 offset:500
	buffer_load_dword v252, off, s[0:3], 0 offset:488
	v_fma_f32 v4, v93, v39, -v4
	v_add_f32_e32 v3, v3, v4
	v_mul_f32_e32 v4, v96, v42
	v_fma_f32 v4, v95, v41, -v4
	v_add_f32_e32 v3, v3, v4
	v_mul_f32_e32 v4, v98, v44
	;; [unrolled: 3-line block ×5, first 2 shown]
	v_fma_f32 v4, v103, v49, -v4
	s_waitcnt vmcnt(52) lgkmcnt(1)
	v_mul_f32_e32 v135, v126, v190
	v_add_f32_e32 v3, v3, v4
	v_mul_f32_e32 v4, v106, v52
	v_fmac_f32_e32 v135, v127, v189
	v_fma_f32 v4, v105, v51, -v4
	v_add_f32_e32 v134, v134, v135
	s_waitcnt vmcnt(51)
	v_mul_f32_e32 v135, v128, v191
	v_add_f32_e32 v3, v3, v4
	v_mul_f32_e32 v4, v108, v54
	s_waitcnt vmcnt(50)
	v_fmac_f32_e32 v135, v129, v192
	v_fma_f32 v4, v107, v53, -v4
	v_add_f32_e32 v134, v134, v135
	s_waitcnt vmcnt(48) lgkmcnt(0)
	v_mul_f32_e32 v135, v130, v194
	v_add_f32_e32 v3, v3, v4
	v_mul_f32_e32 v4, v110, v56
	v_fmac_f32_e32 v135, v131, v193
	v_fma_f32 v4, v109, v55, -v4
	v_add_f32_e32 v138, v134, v135
	ds_read_b128 v[134:137], v26 offset:832
	v_add_f32_e32 v3, v3, v4
	v_mul_f32_e32 v4, v112, v58
	v_fma_f32 v4, v111, v57, -v4
	s_waitcnt vmcnt(46)
	v_mul_f32_e32 v139, v132, v196
	v_add_f32_e32 v3, v3, v4
	v_mul_f32_e32 v4, v114, v180
	v_fmac_f32_e32 v139, v133, v195
	v_fma_f32 v4, v113, v119, -v4
	v_add_f32_e32 v142, v138, v139
	ds_read_b128 v[138:141], v26 offset:848
	v_add_f32_e32 v3, v3, v4
	v_mul_f32_e32 v4, v116, v182
	s_waitcnt vmcnt(44) lgkmcnt(1)
	v_mul_f32_e32 v143, v134, v198
	v_fma_f32 v4, v115, v181, -v4
	v_fmac_f32_e32 v143, v135, v197
	v_add_f32_e32 v3, v3, v4
	v_mul_f32_e32 v4, v118, v184
	v_add_f32_e32 v142, v142, v143
	s_waitcnt vmcnt(43)
	v_mul_f32_e32 v143, v136, v199
	v_fma_f32 v4, v117, v183, -v4
	s_waitcnt vmcnt(40)
	v_fmac_f32_e32 v143, v137, v202
	v_add_f32_e32 v3, v3, v4
	v_mul_f32_e32 v4, v123, v186
	v_add_f32_e32 v142, v142, v143
	s_waitcnt lgkmcnt(0)
	v_mul_f32_e32 v143, v138, v201
	v_fma_f32 v4, v122, v185, -v4
	v_fmac_f32_e32 v143, v139, v200
	v_add_f32_e32 v3, v3, v4
	v_mul_f32_e32 v4, v125, v188
	v_add_f32_e32 v146, v142, v143
	ds_read_b128 v[142:145], v26 offset:864
	v_fma_f32 v4, v124, v187, -v4
	v_add_f32_e32 v3, v3, v4
	v_mul_f32_e32 v4, v127, v190
	s_waitcnt vmcnt(38)
	v_mul_f32_e32 v147, v140, v204
	v_fma_f32 v4, v126, v189, -v4
	v_fmac_f32_e32 v147, v141, v203
	v_add_f32_e32 v3, v3, v4
	v_mul_f32_e32 v4, v129, v191
	v_add_f32_e32 v150, v146, v147
	ds_read_b128 v[146:149], v26 offset:880
	v_fma_f32 v4, v128, v192, -v4
	s_waitcnt vmcnt(36) lgkmcnt(1)
	v_mul_f32_e32 v151, v142, v206
	v_add_f32_e32 v3, v3, v4
	v_mul_f32_e32 v4, v131, v194
	v_fmac_f32_e32 v151, v143, v205
	v_fma_f32 v4, v130, v193, -v4
	v_add_f32_e32 v150, v150, v151
	s_waitcnt vmcnt(35)
	v_mul_f32_e32 v151, v144, v207
	v_add_f32_e32 v3, v3, v4
	v_mul_f32_e32 v4, v133, v196
	s_waitcnt vmcnt(32)
	v_fmac_f32_e32 v151, v145, v210
	v_fma_f32 v4, v132, v195, -v4
	v_add_f32_e32 v150, v150, v151
	s_waitcnt lgkmcnt(0)
	v_mul_f32_e32 v151, v146, v209
	v_add_f32_e32 v3, v3, v4
	v_mul_f32_e32 v4, v135, v198
	v_fmac_f32_e32 v151, v147, v208
	v_fma_f32 v4, v134, v197, -v4
	v_add_f32_e32 v154, v150, v151
	ds_read_b128 v[150:153], v26 offset:896
	v_add_f32_e32 v3, v3, v4
	v_mul_f32_e32 v4, v137, v199
	v_fma_f32 v4, v136, v202, -v4
	s_waitcnt vmcnt(30)
	v_mul_f32_e32 v155, v148, v212
	v_add_f32_e32 v3, v3, v4
	v_mul_f32_e32 v4, v139, v201
	v_fmac_f32_e32 v155, v149, v211
	v_fma_f32 v4, v138, v200, -v4
	v_add_f32_e32 v158, v154, v155
	ds_read_b128 v[154:157], v26 offset:912
	v_add_f32_e32 v3, v3, v4
	v_mul_f32_e32 v4, v141, v204
	s_waitcnt vmcnt(28) lgkmcnt(1)
	v_mul_f32_e32 v159, v150, v214
	v_fma_f32 v4, v140, v203, -v4
	v_fmac_f32_e32 v159, v151, v213
	v_add_f32_e32 v3, v3, v4
	v_mul_f32_e32 v4, v143, v206
	v_add_f32_e32 v158, v158, v159
	s_waitcnt vmcnt(27)
	v_mul_f32_e32 v159, v152, v215
	v_fma_f32 v4, v142, v205, -v4
	s_waitcnt vmcnt(24)
	v_fmac_f32_e32 v159, v153, v218
	v_add_f32_e32 v3, v3, v4
	v_mul_f32_e32 v4, v145, v207
	v_add_f32_e32 v158, v158, v159
	s_waitcnt lgkmcnt(0)
	v_mul_f32_e32 v159, v154, v217
	v_fma_f32 v4, v144, v210, -v4
	v_fmac_f32_e32 v159, v155, v216
	v_add_f32_e32 v3, v3, v4
	v_mul_f32_e32 v4, v147, v209
	v_add_f32_e32 v162, v158, v159
	ds_read_b128 v[158:161], v26 offset:928
	v_fma_f32 v4, v146, v208, -v4
	v_add_f32_e32 v3, v3, v4
	v_mul_f32_e32 v4, v149, v212
	s_waitcnt vmcnt(22)
	v_mul_f32_e32 v163, v156, v220
	v_fma_f32 v4, v148, v211, -v4
	v_fmac_f32_e32 v163, v157, v219
	v_add_f32_e32 v3, v3, v4
	v_mul_f32_e32 v4, v151, v214
	v_add_f32_e32 v166, v162, v163
	ds_read_b128 v[162:165], v26 offset:944
	v_fma_f32 v4, v150, v213, -v4
	s_waitcnt vmcnt(20) lgkmcnt(1)
	v_mul_f32_e32 v167, v158, v222
	v_add_f32_e32 v3, v3, v4
	v_mul_f32_e32 v4, v153, v215
	v_fmac_f32_e32 v167, v159, v221
	v_fma_f32 v4, v152, v218, -v4
	v_add_f32_e32 v166, v166, v167
	s_waitcnt vmcnt(19)
	v_mul_f32_e32 v167, v160, v223
	v_add_f32_e32 v3, v3, v4
	v_mul_f32_e32 v4, v155, v217
	s_waitcnt vmcnt(16)
	v_fmac_f32_e32 v167, v161, v226
	v_fma_f32 v4, v154, v216, -v4
	v_add_f32_e32 v166, v166, v167
	s_waitcnt lgkmcnt(0)
	v_mul_f32_e32 v167, v162, v225
	v_add_f32_e32 v3, v3, v4
	v_mul_f32_e32 v4, v157, v220
	v_fmac_f32_e32 v167, v163, v224
	v_fma_f32 v4, v156, v219, -v4
	v_add_f32_e32 v170, v166, v167
	ds_read_b128 v[166:169], v26 offset:960
	v_add_f32_e32 v3, v3, v4
	v_mul_f32_e32 v4, v159, v222
	v_fma_f32 v4, v158, v221, -v4
	s_waitcnt vmcnt(14)
	v_mul_f32_e32 v171, v164, v228
	v_add_f32_e32 v3, v3, v4
	v_mul_f32_e32 v4, v161, v223
	v_fmac_f32_e32 v171, v165, v227
	v_fma_f32 v4, v160, v226, -v4
	v_add_f32_e32 v174, v170, v171
	ds_read_b128 v[170:173], v26 offset:976
	v_add_f32_e32 v3, v3, v4
	v_mul_f32_e32 v4, v163, v225
	s_waitcnt vmcnt(12) lgkmcnt(1)
	v_mul_f32_e32 v175, v166, v230
	v_fma_f32 v4, v162, v224, -v4
	v_fmac_f32_e32 v175, v167, v229
	v_add_f32_e32 v3, v3, v4
	v_mul_f32_e32 v4, v165, v228
	v_add_f32_e32 v174, v174, v175
	s_waitcnt vmcnt(11)
	v_mul_f32_e32 v175, v168, v231
	v_fma_f32 v4, v164, v227, -v4
	s_waitcnt vmcnt(8)
	v_fmac_f32_e32 v175, v169, v234
	v_add_f32_e32 v3, v3, v4
	v_mul_f32_e32 v4, v167, v230
	v_add_f32_e32 v174, v174, v175
	s_waitcnt lgkmcnt(0)
	v_mul_f32_e32 v175, v170, v233
	v_fma_f32 v4, v166, v229, -v4
	v_fmac_f32_e32 v175, v171, v232
	v_add_f32_e32 v3, v3, v4
	v_mul_f32_e32 v4, v169, v231
	v_add_f32_e32 v178, v174, v175
	ds_read_b128 v[174:177], v26 offset:992
	v_fma_f32 v4, v168, v234, -v4
	v_add_f32_e32 v3, v3, v4
	v_mul_f32_e32 v4, v171, v233
	s_waitcnt vmcnt(6)
	v_mul_f32_e32 v179, v172, v246
	v_fma_f32 v4, v170, v232, -v4
	v_fmac_f32_e32 v179, v173, v235
	v_add_f32_e32 v3, v3, v4
	v_mul_f32_e32 v4, v173, v246
	v_add_f32_e32 v253, v178, v179
	ds_read_b64 v[178:179], v26 offset:1008
	v_fma_f32 v4, v172, v235, -v4
	v_add_f32_e32 v3, v3, v4
	s_waitcnt vmcnt(4) lgkmcnt(1)
	v_mul_f32_e32 v4, v175, v248
	v_mul_f32_e32 v254, v174, v248
	v_fma_f32 v4, v174, v247, -v4
	v_fmac_f32_e32 v254, v175, v247
	v_add_f32_e32 v3, v3, v4
	s_waitcnt vmcnt(3)
	v_mul_f32_e32 v4, v177, v249
	v_add_f32_e32 v253, v253, v254
	v_mul_f32_e32 v254, v176, v249
	s_waitcnt vmcnt(0)
	v_fma_f32 v4, v176, v252, -v4
	v_fmac_f32_e32 v254, v177, v252
	v_add_f32_e32 v3, v3, v4
	s_waitcnt lgkmcnt(0)
	v_mul_f32_e32 v4, v179, v251
	v_add_f32_e32 v253, v253, v254
	v_mul_f32_e32 v254, v178, v251
	v_fma_f32 v4, v178, v250, -v4
	v_fmac_f32_e32 v254, v179, v250
	v_add_f32_e32 v3, v3, v4
	v_add_f32_e32 v253, v253, v254
	v_sub_f32_e32 v1, v1, v3
	v_sub_f32_e32 v2, v2, v253
	buffer_store_dword v1, off, s[0:3], 0 offset:24
	buffer_store_dword v2, off, s[0:3], 0 offset:28
	s_and_saveexec_b64 s[4:5], vcc
	s_cbranch_execz .LBB126_387
; %bb.386:
	buffer_load_dword v1, off, s[0:3], 0 offset:16
	buffer_load_dword v2, off, s[0:3], 0 offset:20
	s_waitcnt vmcnt(0)
	ds_write_b64 v25, v[1:2]
	buffer_store_dword v26, off, s[0:3], 0 offset:16
	buffer_store_dword v26, off, s[0:3], 0 offset:20
.LBB126_387:
	s_or_b64 exec, exec, s[4:5]
	s_waitcnt lgkmcnt(0)
	; wave barrier
	buffer_load_dword v35, off, s[0:3], 0 offset:28
	buffer_load_dword v34, off, s[0:3], 0 offset:36
	;; [unrolled: 1-line block ×40, first 2 shown]
	ds_read2_b64 v[21:24], v26 offset0:67 offset1:68
	ds_read2_b64 v[17:20], v26 offset0:69 offset1:70
	;; [unrolled: 1-line block ×6, first 2 shown]
	buffer_load_dword v66, off, s[0:3], 0 offset:176
	buffer_load_dword v68, off, s[0:3], 0 offset:180
	;; [unrolled: 1-line block ×19, first 2 shown]
	v_cmp_lt_u32_e32 vcc, 1, v0
	s_waitcnt vmcnt(58) lgkmcnt(5)
	v_mul_f32_e32 v83, v21, v35
	s_waitcnt vmcnt(57)
	v_mul_f32_e32 v84, v23, v34
	s_waitcnt vmcnt(56) lgkmcnt(4)
	v_mul_f32_e32 v85, v17, v33
	s_waitcnt vmcnt(55)
	v_mul_f32_e32 v86, v19, v32
	;; [unrolled: 4-line block ×4, first 2 shown]
	s_waitcnt vmcnt(50) lgkmcnt(1)
	v_mul_f32_e32 v91, v5, v37
	s_waitcnt vmcnt(49)
	v_fmac_f32_e32 v85, v18, v40
	s_waitcnt vmcnt(48)
	v_fmac_f32_e32 v84, v24, v43
	;; [unrolled: 2-line block ×3, first 2 shown]
	v_add_f32_e32 v83, 0, v83
	v_add_f32_e32 v83, v83, v84
	;; [unrolled: 1-line block ×3, first 2 shown]
	s_waitcnt vmcnt(43)
	v_fmac_f32_e32 v86, v20, v44
	v_fmac_f32_e32 v87, v14, v41
	v_add_f32_e32 v83, v83, v86
	v_fmac_f32_e32 v88, v16, v39
	v_add_f32_e32 v83, v83, v87
	;; [unrolled: 2-line block ×3, first 2 shown]
	s_waitcnt vmcnt(39)
	v_fmac_f32_e32 v90, v12, v51
	v_add_f32_e32 v83, v83, v89
	v_fmac_f32_e32 v91, v6, v48
	v_add_f32_e32 v83, v83, v90
	s_waitcnt vmcnt(38)
	v_mul_f32_e32 v84, v7, v49
	v_add_f32_e32 v83, v83, v91
	v_fmac_f32_e32 v84, v8, v45
	v_add_f32_e32 v83, v83, v84
	s_waitcnt vmcnt(37) lgkmcnt(0)
	v_mul_f32_e32 v84, v1, v47
	v_fmac_f32_e32 v84, v2, v42
	v_add_f32_e32 v87, v83, v84
	ds_read2_b64 v[83:86], v26 offset0:79 offset1:80
	s_waitcnt vmcnt(36)
	v_mul_f32_e32 v88, v3, v50
	s_waitcnt vmcnt(30)
	v_fmac_f32_e32 v88, v4, v58
	v_add_f32_e32 v91, v87, v88
	ds_read2_b64 v[87:90], v26 offset0:81 offset1:82
	s_waitcnt vmcnt(29) lgkmcnt(1)
	v_mul_f32_e32 v92, v83, v57
	v_fmac_f32_e32 v92, v84, v56
	buffer_load_dword v184, off, s[0:3], 0 offset:248
	buffer_load_dword v185, off, s[0:3], 0 offset:256
	;; [unrolled: 1-line block ×3, first 2 shown]
	v_add_f32_e32 v91, v91, v92
	v_mul_f32_e32 v92, v85, v53
	v_fmac_f32_e32 v92, v86, v52
	buffer_load_dword v187, off, s[0:3], 0 offset:264
	buffer_load_dword v188, off, s[0:3], 0 offset:268
	v_add_f32_e32 v91, v91, v92
	s_waitcnt lgkmcnt(0)
	v_mul_f32_e32 v92, v87, v55
	v_fmac_f32_e32 v92, v88, v54
	v_add_f32_e32 v95, v91, v92
	ds_read2_b64 v[91:94], v26 offset0:83 offset1:84
	s_waitcnt vmcnt(31)
	v_mul_f32_e32 v96, v89, v59
	s_waitcnt vmcnt(24)
	v_fmac_f32_e32 v96, v90, v67
	v_add_f32_e32 v99, v95, v96
	ds_read2_b64 v[95:98], v26 offset0:85 offset1:86
	buffer_load_dword v189, off, s[0:3], 0 offset:272
	buffer_load_dword v190, off, s[0:3], 0 offset:276
	s_waitcnt lgkmcnt(1)
	v_mul_f32_e32 v100, v91, v61
	v_fmac_f32_e32 v100, v92, v60
	v_add_f32_e32 v99, v99, v100
	v_mul_f32_e32 v100, v93, v63
	v_fmac_f32_e32 v100, v94, v62
	v_add_f32_e32 v99, v99, v100
	s_waitcnt lgkmcnt(0)
	v_mul_f32_e32 v100, v95, v65
	v_fmac_f32_e32 v100, v96, v64
	v_add_f32_e32 v103, v99, v100
	buffer_load_dword v191, off, s[0:3], 0 offset:280
	buffer_load_dword v192, off, s[0:3], 0 offset:284
	ds_read2_b64 v[99:102], v26 offset0:87 offset1:88
	s_waitcnt vmcnt(26)
	v_mul_f32_e32 v104, v97, v68
	v_fmac_f32_e32 v104, v98, v66
	v_add_f32_e32 v107, v103, v104
	ds_read2_b64 v[103:106], v26 offset0:89 offset1:90
	s_waitcnt vmcnt(24) lgkmcnt(1)
	v_mul_f32_e32 v108, v99, v70
	v_fmac_f32_e32 v108, v100, v69
	v_add_f32_e32 v107, v107, v108
	s_waitcnt vmcnt(22)
	v_mul_f32_e32 v108, v101, v72
	buffer_load_dword v193, off, s[0:3], 0 offset:288
	buffer_load_dword v194, off, s[0:3], 0 offset:292
	v_fmac_f32_e32 v108, v102, v71
	v_add_f32_e32 v107, v107, v108
	s_waitcnt vmcnt(22) lgkmcnt(0)
	v_mul_f32_e32 v108, v103, v74
	buffer_load_dword v195, off, s[0:3], 0 offset:296
	buffer_load_dword v196, off, s[0:3], 0 offset:300
	v_fmac_f32_e32 v108, v104, v73
	v_add_f32_e32 v111, v107, v108
	ds_read2_b64 v[107:110], v26 offset0:91 offset1:92
	buffer_load_dword v197, off, s[0:3], 0 offset:304
	buffer_load_dword v198, off, s[0:3], 0 offset:308
	s_waitcnt vmcnt(24)
	v_mul_f32_e32 v112, v105, v76
	v_fmac_f32_e32 v112, v106, v75
	v_add_f32_e32 v115, v111, v112
	ds_read2_b64 v[111:114], v26 offset0:93 offset1:94
	s_waitcnt vmcnt(22) lgkmcnt(1)
	v_mul_f32_e32 v116, v107, v78
	v_fmac_f32_e32 v116, v108, v77
	buffer_load_dword v199, off, s[0:3], 0 offset:312
	buffer_load_dword v200, off, s[0:3], 0 offset:316
	buffer_load_dword v201, off, s[0:3], 0 offset:324
	buffer_load_dword v202, off, s[0:3], 0 offset:328
	buffer_load_dword v203, off, s[0:3], 0 offset:332
	buffer_load_dword v204, off, s[0:3], 0 offset:320
	v_add_f32_e32 v115, v115, v116
	s_waitcnt vmcnt(26)
	v_mul_f32_e32 v116, v109, v80
	v_fmac_f32_e32 v116, v110, v79
	v_add_f32_e32 v115, v115, v116
	s_waitcnt vmcnt(24) lgkmcnt(0)
	v_mul_f32_e32 v116, v111, v82
	v_fmac_f32_e32 v116, v112, v81
	v_add_f32_e32 v122, v115, v116
	ds_read2_b64 v[115:118], v26 offset0:95 offset1:96
	buffer_load_dword v205, off, s[0:3], 0 offset:336
	buffer_load_dword v206, off, s[0:3], 0 offset:340
	s_waitcnt vmcnt(24)
	v_mul_f32_e32 v123, v113, v182
	v_fmac_f32_e32 v123, v114, v119
	v_add_f32_e32 v126, v122, v123
	ds_read2_b64 v[122:125], v26 offset0:97 offset1:98
	buffer_load_dword v207, off, s[0:3], 0 offset:344
	buffer_load_dword v208, off, s[0:3], 0 offset:348
	;; [unrolled: 1-line block ×14, first 2 shown]
	s_waitcnt vmcnt(37) lgkmcnt(1)
	v_mul_f32_e32 v127, v115, v183
	buffer_load_dword v221, off, s[0:3], 0 offset:400
	buffer_load_dword v222, off, s[0:3], 0 offset:404
	v_mul_f32_e32 v22, v22, v35
	v_fma_f32 v21, v21, v46, -v22
	v_mul_f32_e32 v22, v24, v34
	v_add_f32_e32 v21, 0, v21
	v_fma_f32 v22, v23, v43, -v22
	v_mul_f32_e32 v18, v18, v33
	v_add_f32_e32 v21, v21, v22
	;; [unrolled: 3-line block ×3, first 2 shown]
	s_waitcnt vmcnt(38)
	v_fmac_f32_e32 v127, v116, v184
	v_add_f32_e32 v126, v126, v127
	s_waitcnt vmcnt(36)
	v_mul_f32_e32 v127, v117, v186
	v_fmac_f32_e32 v127, v118, v185
	v_add_f32_e32 v126, v126, v127
	v_fma_f32 v18, v19, v44, -v18
	s_waitcnt vmcnt(34) lgkmcnt(0)
	v_mul_f32_e32 v127, v122, v188
	v_fmac_f32_e32 v127, v123, v187
	v_add_f32_e32 v130, v126, v127
	ds_read2_b64 v[126:129], v26 offset0:99 offset1:100
	buffer_load_dword v223, off, s[0:3], 0 offset:408
	buffer_load_dword v224, off, s[0:3], 0 offset:412
	;; [unrolled: 1-line block ×6, first 2 shown]
	v_mul_f32_e32 v14, v14, v31
	v_add_f32_e32 v17, v17, v18
	v_fma_f32 v13, v13, v41, -v14
	v_mul_f32_e32 v14, v16, v30
	v_add_f32_e32 v13, v17, v13
	s_waitcnt vmcnt(38)
	v_mul_f32_e32 v131, v124, v190
	v_fmac_f32_e32 v131, v125, v189
	v_fma_f32 v14, v15, v39, -v14
	v_mul_f32_e32 v10, v10, v29
	v_add_f32_e32 v134, v130, v131
	ds_read2_b64 v[130:133], v26 offset0:101 offset1:102
	buffer_load_dword v229, off, s[0:3], 0 offset:432
	buffer_load_dword v230, off, s[0:3], 0 offset:436
	v_add_f32_e32 v13, v13, v14
	v_fma_f32 v9, v9, v38, -v10
	v_mul_f32_e32 v10, v12, v36
	v_add_f32_e32 v9, v13, v9
	v_fma_f32 v10, v11, v51, -v10
	v_mul_f32_e32 v6, v6, v37
	;; [unrolled: 3-line block ×5, first 2 shown]
	v_add_f32_e32 v1, v5, v1
	v_fma_f32 v2, v3, v58, -v2
	buffer_load_dword v231, off, s[0:3], 0 offset:440
	buffer_load_dword v232, off, s[0:3], 0 offset:444
	;; [unrolled: 1-line block ×6, first 2 shown]
	v_add_f32_e32 v1, v1, v2
	v_mul_f32_e32 v2, v84, v57
	v_fma_f32 v2, v83, v56, -v2
	v_add_f32_e32 v1, v1, v2
	v_mul_f32_e32 v2, v86, v53
	v_fma_f32 v2, v85, v52, -v2
	v_add_f32_e32 v1, v1, v2
	v_mul_f32_e32 v2, v88, v55
	buffer_load_dword v247, off, s[0:3], 0 offset:464
	buffer_load_dword v248, off, s[0:3], 0 offset:468
	v_fma_f32 v2, v87, v54, -v2
	v_add_f32_e32 v1, v1, v2
	v_mul_f32_e32 v2, v90, v59
	s_waitcnt vmcnt(46) lgkmcnt(1)
	v_mul_f32_e32 v135, v126, v192
	v_fma_f32 v2, v89, v67, -v2
	v_fmac_f32_e32 v135, v127, v191
	v_add_f32_e32 v1, v1, v2
	v_mul_f32_e32 v2, v92, v61
	v_add_f32_e32 v134, v134, v135
	s_waitcnt vmcnt(44)
	v_mul_f32_e32 v135, v128, v194
	v_fma_f32 v2, v91, v60, -v2
	v_fmac_f32_e32 v135, v129, v193
	v_add_f32_e32 v1, v1, v2
	v_mul_f32_e32 v2, v94, v63
	v_add_f32_e32 v134, v134, v135
	s_waitcnt vmcnt(42) lgkmcnt(0)
	v_mul_f32_e32 v135, v130, v196
	buffer_load_dword v249, off, s[0:3], 0 offset:472
	buffer_load_dword v250, off, s[0:3], 0 offset:476
	;; [unrolled: 1-line block ×6, first 2 shown]
	v_fma_f32 v2, v93, v62, -v2
	v_fmac_f32_e32 v135, v131, v195
	s_waitcnt vmcnt(46)
	v_mul_f32_e32 v139, v132, v198
	v_add_f32_e32 v1, v1, v2
	v_mul_f32_e32 v2, v96, v65
	v_add_f32_e32 v138, v134, v135
	v_fmac_f32_e32 v139, v133, v197
	v_fma_f32 v2, v95, v64, -v2
	ds_read2_b64 v[134:137], v26 offset0:103 offset1:104
	v_add_f32_e32 v142, v138, v139
	ds_read2_b64 v[138:141], v26 offset0:105 offset1:106
	buffer_load_dword v255, off, s[0:3], 0 offset:496
	buffer_load_dword v236, off, s[0:3], 0 offset:500
	v_add_f32_e32 v1, v1, v2
	v_mul_f32_e32 v2, v98, v68
	v_fma_f32 v2, v97, v66, -v2
	v_add_f32_e32 v1, v1, v2
	v_mul_f32_e32 v2, v100, v70
	v_fma_f32 v2, v99, v69, -v2
	;; [unrolled: 3-line block ×9, first 2 shown]
	v_add_f32_e32 v1, v1, v2
	v_mul_f32_e32 v2, v116, v183
	s_waitcnt vmcnt(46) lgkmcnt(1)
	v_mul_f32_e32 v143, v134, v200
	v_fma_f32 v2, v115, v184, -v2
	v_fmac_f32_e32 v143, v135, v199
	v_add_f32_e32 v1, v1, v2
	v_mul_f32_e32 v2, v118, v186
	v_add_f32_e32 v142, v142, v143
	s_waitcnt vmcnt(45)
	v_mul_f32_e32 v143, v136, v201
	v_fma_f32 v2, v117, v185, -v2
	s_waitcnt vmcnt(42)
	v_fmac_f32_e32 v143, v137, v204
	v_add_f32_e32 v1, v1, v2
	v_mul_f32_e32 v2, v123, v188
	v_add_f32_e32 v142, v142, v143
	s_waitcnt lgkmcnt(0)
	v_mul_f32_e32 v143, v138, v203
	v_fma_f32 v2, v122, v187, -v2
	v_fmac_f32_e32 v143, v139, v202
	v_add_f32_e32 v1, v1, v2
	v_mul_f32_e32 v2, v125, v190
	v_add_f32_e32 v146, v142, v143
	ds_read2_b64 v[142:145], v26 offset0:107 offset1:108
	v_fma_f32 v2, v124, v189, -v2
	v_add_f32_e32 v1, v1, v2
	v_mul_f32_e32 v2, v127, v192
	s_waitcnt vmcnt(40)
	v_mul_f32_e32 v147, v140, v206
	v_fma_f32 v2, v126, v191, -v2
	v_fmac_f32_e32 v147, v141, v205
	v_add_f32_e32 v1, v1, v2
	v_mul_f32_e32 v2, v129, v194
	v_add_f32_e32 v150, v146, v147
	ds_read2_b64 v[146:149], v26 offset0:109 offset1:110
	v_fma_f32 v2, v128, v193, -v2
	s_waitcnt vmcnt(38) lgkmcnt(1)
	v_mul_f32_e32 v151, v142, v208
	v_add_f32_e32 v1, v1, v2
	v_mul_f32_e32 v2, v131, v196
	v_fmac_f32_e32 v151, v143, v207
	v_fma_f32 v2, v130, v195, -v2
	v_add_f32_e32 v150, v150, v151
	s_waitcnt vmcnt(37)
	v_mul_f32_e32 v151, v144, v209
	v_add_f32_e32 v1, v1, v2
	v_mul_f32_e32 v2, v133, v198
	s_waitcnt vmcnt(34)
	v_fmac_f32_e32 v151, v145, v212
	v_fma_f32 v2, v132, v197, -v2
	v_add_f32_e32 v150, v150, v151
	s_waitcnt lgkmcnt(0)
	v_mul_f32_e32 v151, v146, v211
	v_add_f32_e32 v1, v1, v2
	v_mul_f32_e32 v2, v135, v200
	v_fmac_f32_e32 v151, v147, v210
	v_fma_f32 v2, v134, v199, -v2
	v_add_f32_e32 v154, v150, v151
	ds_read2_b64 v[150:153], v26 offset0:111 offset1:112
	v_add_f32_e32 v1, v1, v2
	v_mul_f32_e32 v2, v137, v201
	v_fma_f32 v2, v136, v204, -v2
	s_waitcnt vmcnt(32)
	v_mul_f32_e32 v155, v148, v214
	v_add_f32_e32 v1, v1, v2
	v_mul_f32_e32 v2, v139, v203
	v_fmac_f32_e32 v155, v149, v213
	v_fma_f32 v2, v138, v202, -v2
	v_add_f32_e32 v158, v154, v155
	ds_read2_b64 v[154:157], v26 offset0:113 offset1:114
	v_add_f32_e32 v1, v1, v2
	v_mul_f32_e32 v2, v141, v206
	s_waitcnt vmcnt(30) lgkmcnt(1)
	v_mul_f32_e32 v159, v150, v216
	v_fma_f32 v2, v140, v205, -v2
	v_fmac_f32_e32 v159, v151, v215
	v_add_f32_e32 v1, v1, v2
	v_mul_f32_e32 v2, v143, v208
	v_add_f32_e32 v158, v158, v159
	s_waitcnt vmcnt(29)
	v_mul_f32_e32 v159, v152, v217
	v_fma_f32 v2, v142, v207, -v2
	s_waitcnt vmcnt(26)
	v_fmac_f32_e32 v159, v153, v220
	v_add_f32_e32 v1, v1, v2
	v_mul_f32_e32 v2, v145, v209
	v_add_f32_e32 v158, v158, v159
	s_waitcnt lgkmcnt(0)
	v_mul_f32_e32 v159, v154, v219
	v_fma_f32 v2, v144, v212, -v2
	v_fmac_f32_e32 v159, v155, v218
	v_add_f32_e32 v1, v1, v2
	v_mul_f32_e32 v2, v147, v211
	v_add_f32_e32 v162, v158, v159
	ds_read2_b64 v[158:161], v26 offset0:115 offset1:116
	v_fma_f32 v2, v146, v210, -v2
	v_add_f32_e32 v1, v1, v2
	v_mul_f32_e32 v2, v149, v214
	s_waitcnt vmcnt(24)
	v_mul_f32_e32 v163, v156, v222
	v_fma_f32 v2, v148, v213, -v2
	v_fmac_f32_e32 v163, v157, v221
	v_add_f32_e32 v1, v1, v2
	v_mul_f32_e32 v2, v151, v216
	v_add_f32_e32 v166, v162, v163
	ds_read2_b64 v[162:165], v26 offset0:117 offset1:118
	v_fma_f32 v2, v150, v215, -v2
	s_waitcnt vmcnt(22) lgkmcnt(1)
	v_mul_f32_e32 v167, v158, v224
	v_add_f32_e32 v1, v1, v2
	v_mul_f32_e32 v2, v153, v217
	v_fmac_f32_e32 v167, v159, v223
	v_fma_f32 v2, v152, v220, -v2
	v_add_f32_e32 v166, v166, v167
	s_waitcnt vmcnt(21)
	v_mul_f32_e32 v167, v160, v225
	v_add_f32_e32 v1, v1, v2
	v_mul_f32_e32 v2, v155, v219
	s_waitcnt vmcnt(18)
	v_fmac_f32_e32 v167, v161, v228
	v_fma_f32 v2, v154, v218, -v2
	v_add_f32_e32 v166, v166, v167
	s_waitcnt lgkmcnt(0)
	v_mul_f32_e32 v167, v162, v227
	v_add_f32_e32 v1, v1, v2
	v_mul_f32_e32 v2, v157, v222
	v_fmac_f32_e32 v167, v163, v226
	v_fma_f32 v2, v156, v221, -v2
	v_add_f32_e32 v170, v166, v167
	ds_read2_b64 v[166:169], v26 offset0:119 offset1:120
	v_add_f32_e32 v1, v1, v2
	v_mul_f32_e32 v2, v159, v224
	v_fma_f32 v2, v158, v223, -v2
	s_waitcnt vmcnt(16)
	v_mul_f32_e32 v171, v164, v230
	v_add_f32_e32 v1, v1, v2
	v_mul_f32_e32 v2, v161, v225
	v_fmac_f32_e32 v171, v165, v229
	v_fma_f32 v2, v160, v228, -v2
	v_add_f32_e32 v174, v170, v171
	ds_read2_b64 v[170:173], v26 offset0:121 offset1:122
	v_add_f32_e32 v1, v1, v2
	v_mul_f32_e32 v2, v163, v227
	s_waitcnt vmcnt(14) lgkmcnt(1)
	v_mul_f32_e32 v175, v166, v232
	v_fma_f32 v2, v162, v226, -v2
	v_fmac_f32_e32 v175, v167, v231
	v_add_f32_e32 v1, v1, v2
	v_mul_f32_e32 v2, v165, v230
	v_add_f32_e32 v174, v174, v175
	s_waitcnt vmcnt(13)
	v_mul_f32_e32 v175, v168, v233
	v_fma_f32 v2, v164, v229, -v2
	s_waitcnt vmcnt(10)
	v_fmac_f32_e32 v175, v169, v246
	v_add_f32_e32 v1, v1, v2
	v_mul_f32_e32 v2, v167, v232
	v_add_f32_e32 v174, v174, v175
	s_waitcnt lgkmcnt(0)
	v_mul_f32_e32 v175, v170, v235
	v_fma_f32 v2, v166, v231, -v2
	v_fmac_f32_e32 v175, v171, v234
	v_add_f32_e32 v1, v1, v2
	v_mul_f32_e32 v2, v169, v233
	v_add_f32_e32 v178, v174, v175
	ds_read2_b64 v[174:177], v26 offset0:123 offset1:124
	v_fma_f32 v2, v168, v246, -v2
	v_add_f32_e32 v1, v1, v2
	v_mul_f32_e32 v2, v171, v235
	s_waitcnt vmcnt(8)
	v_mul_f32_e32 v179, v172, v248
	v_fma_f32 v2, v170, v234, -v2
	v_fmac_f32_e32 v179, v173, v247
	v_add_f32_e32 v1, v1, v2
	v_mul_f32_e32 v2, v173, v248
	v_add_f32_e32 v237, v178, v179
	ds_read2_b64 v[178:181], v26 offset0:125 offset1:126
	v_fma_f32 v2, v172, v247, -v2
	v_add_f32_e32 v1, v1, v2
	s_waitcnt vmcnt(6) lgkmcnt(1)
	v_mul_f32_e32 v2, v175, v250
	v_mul_f32_e32 v26, v174, v250
	v_fma_f32 v2, v174, v249, -v2
	v_fmac_f32_e32 v26, v175, v249
	v_add_f32_e32 v1, v1, v2
	s_waitcnt vmcnt(5)
	v_mul_f32_e32 v2, v177, v251
	v_add_f32_e32 v26, v237, v26
	v_mul_f32_e32 v237, v176, v251
	s_waitcnt vmcnt(2)
	v_fma_f32 v2, v176, v254, -v2
	v_fmac_f32_e32 v237, v177, v254
	v_add_f32_e32 v1, v1, v2
	s_waitcnt lgkmcnt(0)
	v_mul_f32_e32 v2, v179, v253
	v_add_f32_e32 v26, v26, v237
	v_mul_f32_e32 v237, v178, v253
	v_fma_f32 v2, v178, v252, -v2
	v_fmac_f32_e32 v237, v179, v252
	v_add_f32_e32 v1, v1, v2
	s_waitcnt vmcnt(0)
	v_mul_f32_e32 v2, v181, v236
	v_add_f32_e32 v26, v26, v237
	v_mul_f32_e32 v237, v180, v236
	v_fma_f32 v2, v180, v255, -v2
	v_fmac_f32_e32 v237, v181, v255
	v_add_f32_e32 v1, v1, v2
	v_add_f32_e32 v26, v26, v237
	v_sub_f32_e32 v1, v27, v1
	v_sub_f32_e32 v2, v28, v26
	buffer_store_dword v1, off, s[0:3], 0 offset:16
	buffer_store_dword v2, off, s[0:3], 0 offset:20
	s_and_saveexec_b64 s[4:5], vcc
	s_cbranch_execz .LBB126_389
; %bb.388:
	buffer_load_dword v1, off, s[0:3], 0 offset:8
	buffer_load_dword v2, off, s[0:3], 0 offset:12
	v_mov_b32_e32 v3, 0
	buffer_store_dword v3, off, s[0:3], 0 offset:8
	buffer_store_dword v3, off, s[0:3], 0 offset:12
	s_waitcnt vmcnt(2)
	ds_write_b64 v25, v[1:2]
.LBB126_389:
	s_or_b64 exec, exec, s[4:5]
	s_waitcnt lgkmcnt(0)
	; wave barrier
	buffer_load_dword v21, off, s[0:3], 0 offset:20
	buffer_load_dword v20, off, s[0:3], 0 offset:28
	buffer_load_dword v19, off, s[0:3], 0 offset:36
	buffer_load_dword v18, off, s[0:3], 0 offset:44
	buffer_load_dword v17, off, s[0:3], 0 offset:52
	buffer_load_dword v16, off, s[0:3], 0 offset:60
	buffer_load_dword v15, off, s[0:3], 0 offset:68
	buffer_load_dword v22, off, s[0:3], 0 offset:76
	buffer_load_dword v23, off, s[0:3], 0 offset:84
	buffer_load_dword v27, off, s[0:3], 0 offset:32
	buffer_load_dword v40, off, s[0:3], 0 offset:24
	buffer_load_dword v43, off, s[0:3], 0 offset:16
	buffer_load_dword v24, off, s[0:3], 0 offset:64
	buffer_load_dword v26, off, s[0:3], 0 offset:56
	buffer_load_dword v28, off, s[0:3], 0 offset:48
	buffer_load_dword v30, off, s[0:3], 0 offset:40
	buffer_load_dword v29, off, s[0:3], 0 offset:96
	buffer_load_dword v31, off, s[0:3], 0 offset:88
	buffer_load_dword v33, off, s[0:3], 0 offset:80
	buffer_load_dword v36, off, s[0:3], 0 offset:72
	buffer_load_dword v34, off, s[0:3], 0 offset:92
	buffer_load_dword v32, off, s[0:3], 0 offset:100
	buffer_load_dword v35, off, s[0:3], 0 offset:108
	buffer_load_dword v37, off, s[0:3], 0 offset:112
	buffer_load_dword v38, off, s[0:3], 0 offset:116
	buffer_load_dword v39, off, s[0:3], 0 offset:120
	buffer_load_dword v41, off, s[0:3], 0 offset:124
	buffer_load_dword v42, off, s[0:3], 0 offset:128
	buffer_load_dword v44, off, s[0:3], 0 offset:132
	buffer_load_dword v47, off, s[0:3], 0 offset:104
	buffer_load_dword v13, off, s[0:3], 0 offset:8
	buffer_load_dword v14, off, s[0:3], 0 offset:12
	buffer_load_dword v45, off, s[0:3], 0 offset:136
	buffer_load_dword v46, off, s[0:3], 0 offset:140
	buffer_load_dword v48, off, s[0:3], 0 offset:144
	buffer_load_dword v49, off, s[0:3], 0 offset:148
	buffer_load_dword v50, off, s[0:3], 0 offset:152
	buffer_load_dword v51, off, s[0:3], 0 offset:156
	buffer_load_dword v52, off, s[0:3], 0 offset:160
	buffer_load_dword v53, off, s[0:3], 0 offset:164
	buffer_load_dword v54, off, s[0:3], 0 offset:168
	buffer_load_dword v55, off, s[0:3], 0 offset:172
	buffer_load_dword v56, off, s[0:3], 0 offset:176
	buffer_load_dword v57, off, s[0:3], 0 offset:180
	buffer_load_dword v58, off, s[0:3], 0 offset:184
	buffer_load_dword v59, off, s[0:3], 0 offset:188
	buffer_load_dword v60, off, s[0:3], 0 offset:192
	buffer_load_dword v61, off, s[0:3], 0 offset:196
	buffer_load_dword v62, off, s[0:3], 0 offset:200
	buffer_load_dword v63, off, s[0:3], 0 offset:204
	buffer_load_dword v64, off, s[0:3], 0 offset:208
	buffer_load_dword v65, off, s[0:3], 0 offset:212
	buffer_load_dword v66, off, s[0:3], 0 offset:220
	buffer_load_dword v67, off, s[0:3], 0 offset:224
	buffer_load_dword v68, off, s[0:3], 0 offset:228
	buffer_load_dword v69, off, s[0:3], 0 offset:216
	v_mov_b32_e32 v116, 0
	ds_read_b128 v[74:77], v116 offset:528
	ds_read_b128 v[78:81], v116 offset:544
	;; [unrolled: 1-line block ×6, first 2 shown]
	v_cmp_ne_u32_e32 vcc, 0, v0
	s_waitcnt vmcnt(55) lgkmcnt(5)
	v_mul_f32_e32 v70, v74, v21
	s_waitcnt vmcnt(54)
	v_mul_f32_e32 v71, v76, v20
	s_waitcnt vmcnt(53) lgkmcnt(4)
	v_mul_f32_e32 v72, v78, v19
	s_waitcnt vmcnt(52)
	v_mul_f32_e32 v73, v80, v18
	;; [unrolled: 4-line block ×4, first 2 shown]
	s_waitcnt vmcnt(47) lgkmcnt(1)
	v_mul_f32_e32 v90, v5, v23
	s_waitcnt vmcnt(46)
	v_fmac_f32_e32 v72, v79, v27
	s_waitcnt vmcnt(45)
	v_fmac_f32_e32 v71, v77, v40
	;; [unrolled: 2-line block ×3, first 2 shown]
	v_add_f32_e32 v70, 0, v70
	v_add_f32_e32 v70, v70, v71
	;; [unrolled: 1-line block ×3, first 2 shown]
	s_waitcnt vmcnt(40)
	v_fmac_f32_e32 v73, v81, v30
	v_fmac_f32_e32 v86, v83, v28
	v_add_f32_e32 v70, v70, v73
	v_fmac_f32_e32 v87, v85, v26
	v_add_f32_e32 v70, v70, v86
	;; [unrolled: 2-line block ×3, first 2 shown]
	s_waitcnt vmcnt(36)
	v_fmac_f32_e32 v89, v12, v36
	v_add_f32_e32 v70, v70, v88
	v_fmac_f32_e32 v90, v6, v33
	v_add_f32_e32 v70, v70, v89
	v_add_f32_e32 v72, v70, v90
	buffer_load_dword v70, off, s[0:3], 0 offset:232
	buffer_load_dword v71, off, s[0:3], 0 offset:236
	s_waitcnt vmcnt(37)
	v_mul_f32_e32 v73, v7, v34
	v_fmac_f32_e32 v73, v8, v31
	ds_read_b128 v[86:89], v116 offset:624
	v_add_f32_e32 v72, v72, v73
	s_waitcnt vmcnt(36) lgkmcnt(1)
	v_mul_f32_e32 v73, v1, v32
	v_fmac_f32_e32 v73, v2, v29
	s_waitcnt vmcnt(35)
	v_mul_f32_e32 v91, v3, v35
	v_add_f32_e32 v90, v72, v73
	buffer_load_dword v72, off, s[0:3], 0 offset:240
	buffer_load_dword v73, off, s[0:3], 0 offset:244
	s_waitcnt vmcnt(30)
	v_fmac_f32_e32 v91, v4, v47
	v_add_f32_e32 v94, v90, v91
	ds_read_b128 v[90:93], v116 offset:640
	s_waitcnt lgkmcnt(1)
	v_mul_f32_e32 v95, v86, v38
	v_fmac_f32_e32 v95, v87, v37
	v_add_f32_e32 v94, v94, v95
	v_mul_f32_e32 v95, v88, v41
	buffer_load_dword v114, off, s[0:3], 0 offset:252
	buffer_load_dword v115, off, s[0:3], 0 offset:248
	;; [unrolled: 1-line block ×4, first 2 shown]
	v_fmac_f32_e32 v95, v89, v39
	v_add_f32_e32 v94, v94, v95
	s_waitcnt lgkmcnt(0)
	v_mul_f32_e32 v95, v90, v44
	v_fmac_f32_e32 v95, v91, v42
	v_add_f32_e32 v98, v94, v95
	ds_read_b128 v[94:97], v116 offset:656
	s_waitcnt vmcnt(30)
	v_mul_f32_e32 v99, v92, v46
	buffer_load_dword v119, off, s[0:3], 0 offset:264
	buffer_load_dword v186, off, s[0:3], 0 offset:268
	v_fmac_f32_e32 v99, v93, v45
	v_add_f32_e32 v102, v98, v99
	ds_read_b128 v[98:101], v116 offset:672
	s_waitcnt vmcnt(30) lgkmcnt(1)
	v_mul_f32_e32 v103, v94, v49
	v_fmac_f32_e32 v103, v95, v48
	v_add_f32_e32 v102, v102, v103
	s_waitcnt vmcnt(28)
	v_mul_f32_e32 v103, v96, v51
	v_fmac_f32_e32 v103, v97, v50
	v_add_f32_e32 v102, v102, v103
	s_waitcnt vmcnt(26) lgkmcnt(0)
	v_mul_f32_e32 v103, v98, v53
	v_fmac_f32_e32 v103, v99, v52
	v_add_f32_e32 v102, v102, v103
	s_waitcnt vmcnt(24)
	v_mul_f32_e32 v103, v100, v55
	v_fmac_f32_e32 v103, v101, v54
	buffer_load_dword v187, off, s[0:3], 0 offset:276
	v_add_f32_e32 v110, v102, v103
	ds_read_b128 v[102:105], v116 offset:688
	ds_read_b128 v[106:109], v116 offset:704
	buffer_load_dword v188, off, s[0:3], 0 offset:272
	buffer_load_dword v189, off, s[0:3], 0 offset:280
	;; [unrolled: 1-line block ×5, first 2 shown]
	v_mul_f32_e32 v21, v75, v21
	s_waitcnt vmcnt(28) lgkmcnt(1)
	v_mul_f32_e32 v111, v102, v57
	v_fmac_f32_e32 v111, v103, v56
	v_add_f32_e32 v110, v110, v111
	s_waitcnt vmcnt(26)
	v_mul_f32_e32 v111, v104, v59
	v_fmac_f32_e32 v111, v105, v58
	v_add_f32_e32 v110, v110, v111
	s_waitcnt vmcnt(24) lgkmcnt(0)
	v_mul_f32_e32 v111, v106, v61
	v_fmac_f32_e32 v111, v107, v60
	v_add_f32_e32 v122, v110, v111
	ds_read_b128 v[110:113], v116 offset:720
	buffer_load_dword v193, off, s[0:3], 0 offset:296
	buffer_load_dword v194, off, s[0:3], 0 offset:300
	s_waitcnt vmcnt(24)
	v_mul_f32_e32 v123, v108, v63
	v_fmac_f32_e32 v123, v109, v62
	v_add_f32_e32 v126, v122, v123
	ds_read_b128 v[122:125], v116 offset:736
	s_waitcnt vmcnt(22) lgkmcnt(1)
	v_mul_f32_e32 v127, v110, v65
	v_fmac_f32_e32 v127, v111, v64
	v_add_f32_e32 v126, v126, v127
	s_waitcnt vmcnt(21)
	v_mul_f32_e32 v127, v112, v66
	buffer_load_dword v195, off, s[0:3], 0 offset:304
	buffer_load_dword v196, off, s[0:3], 0 offset:308
	s_waitcnt vmcnt(20)
	v_fmac_f32_e32 v127, v113, v69
	v_add_f32_e32 v126, v126, v127
	s_waitcnt lgkmcnt(0)
	v_mul_f32_e32 v127, v122, v68
	v_fmac_f32_e32 v127, v123, v67
	buffer_load_dword v197, off, s[0:3], 0 offset:316
	v_add_f32_e32 v130, v126, v127
	ds_read_b128 v[126:129], v116 offset:752
	buffer_load_dword v198, off, s[0:3], 0 offset:320
	buffer_load_dword v199, off, s[0:3], 0 offset:324
	;; [unrolled: 1-line block ×3, first 2 shown]
	v_fma_f32 v43, v74, v43, -v21
	v_mul_f32_e32 v20, v77, v20
	v_fma_f32 v40, v76, v40, -v20
	v_add_f32_e32 v43, 0, v43
	v_mul_f32_e32 v19, v79, v19
	v_add_f32_e32 v40, v43, v40
	s_waitcnt vmcnt(22)
	v_mul_f32_e32 v131, v124, v71
	v_fmac_f32_e32 v131, v125, v70
	v_add_f32_e32 v134, v130, v131
	ds_read_b128 v[130:133], v116 offset:768
	buffer_load_dword v201, off, s[0:3], 0 offset:328
	buffer_load_dword v202, off, s[0:3], 0 offset:332
	;; [unrolled: 1-line block ×16, first 2 shown]
	v_fma_f32 v19, v78, v27, -v19
	s_waitcnt vmcnt(36) lgkmcnt(1)
	v_mul_f32_e32 v135, v126, v73
	v_fmac_f32_e32 v135, v127, v72
	v_add_f32_e32 v134, v134, v135
	v_mul_f32_e32 v18, v81, v18
	v_add_f32_e32 v19, v40, v19
	s_waitcnt vmcnt(35)
	v_mul_f32_e32 v135, v128, v114
	s_waitcnt vmcnt(34)
	v_fmac_f32_e32 v135, v129, v115
	v_add_f32_e32 v134, v134, v135
	s_waitcnt vmcnt(32) lgkmcnt(0)
	v_mul_f32_e32 v135, v130, v118
	v_fmac_f32_e32 v135, v131, v117
	v_add_f32_e32 v138, v134, v135
	ds_read_b128 v[134:137], v116 offset:784
	buffer_load_dword v217, off, s[0:3], 0 offset:392
	buffer_load_dword v218, off, s[0:3], 0 offset:396
	v_fma_f32 v18, v80, v30, -v18
	v_mul_f32_e32 v17, v83, v17
	v_add_f32_e32 v18, v19, v18
	s_waitcnt vmcnt(32)
	v_mul_f32_e32 v139, v132, v186
	v_fmac_f32_e32 v139, v133, v119
	v_add_f32_e32 v142, v138, v139
	ds_read_b128 v[138:141], v116 offset:800
	buffer_load_dword v219, off, s[0:3], 0 offset:400
	buffer_load_dword v220, off, s[0:3], 0 offset:404
	;; [unrolled: 1-line block ×6, first 2 shown]
	v_fma_f32 v17, v82, v28, -v17
	v_mul_f32_e32 v16, v85, v16
	v_add_f32_e32 v17, v18, v17
	v_fma_f32 v16, v84, v26, -v16
	v_mul_f32_e32 v10, v10, v15
	buffer_load_dword v225, off, s[0:3], 0 offset:424
	buffer_load_dword v226, off, s[0:3], 0 offset:428
	v_add_f32_e32 v16, v17, v16
	v_fma_f32 v9, v9, v24, -v10
	v_mul_f32_e32 v10, v12, v22
	v_add_f32_e32 v9, v16, v9
	v_fma_f32 v10, v11, v36, -v10
	v_mul_f32_e32 v6, v6, v23
	;; [unrolled: 3-line block ×5, first 2 shown]
	v_add_f32_e32 v1, v5, v1
	v_fma_f32 v2, v3, v47, -v2
	s_waitcnt vmcnt(39) lgkmcnt(1)
	v_mul_f32_e32 v143, v134, v187
	buffer_load_dword v227, off, s[0:3], 0 offset:432
	buffer_load_dword v228, off, s[0:3], 0 offset:436
	;; [unrolled: 1-line block ×6, first 2 shown]
	v_add_f32_e32 v1, v1, v2
	v_mul_f32_e32 v2, v87, v38
	s_waitcnt vmcnt(44)
	v_fmac_f32_e32 v143, v135, v188
	v_fma_f32 v2, v86, v37, -v2
	v_add_f32_e32 v142, v142, v143
	s_waitcnt vmcnt(42)
	v_mul_f32_e32 v143, v136, v190
	v_add_f32_e32 v1, v1, v2
	v_mul_f32_e32 v2, v89, v41
	v_fmac_f32_e32 v143, v137, v189
	v_fma_f32 v2, v88, v39, -v2
	v_add_f32_e32 v142, v142, v143
	s_waitcnt vmcnt(40) lgkmcnt(0)
	v_mul_f32_e32 v143, v138, v192
	v_add_f32_e32 v1, v1, v2
	v_mul_f32_e32 v2, v91, v44
	v_fmac_f32_e32 v143, v139, v191
	v_fma_f32 v2, v90, v42, -v2
	v_add_f32_e32 v146, v142, v143
	ds_read_b128 v[142:145], v116 offset:816
	buffer_load_dword v233, off, s[0:3], 0 offset:456
	buffer_load_dword v234, off, s[0:3], 0 offset:460
	v_add_f32_e32 v1, v1, v2
	v_mul_f32_e32 v2, v93, v46
	v_fma_f32 v2, v92, v45, -v2
	s_waitcnt vmcnt(40)
	v_mul_f32_e32 v147, v140, v194
	v_add_f32_e32 v1, v1, v2
	v_mul_f32_e32 v2, v95, v49
	v_fmac_f32_e32 v147, v141, v193
	v_fma_f32 v2, v94, v48, -v2
	v_add_f32_e32 v150, v146, v147
	ds_read_b128 v[146:149], v116 offset:832
	buffer_load_dword v235, off, s[0:3], 0 offset:464
	buffer_load_dword v236, off, s[0:3], 0 offset:468
	;; [unrolled: 1-line block ×6, first 2 shown]
	v_add_f32_e32 v1, v1, v2
	v_mul_f32_e32 v2, v97, v51
	v_fma_f32 v2, v96, v50, -v2
	v_add_f32_e32 v1, v1, v2
	v_mul_f32_e32 v2, v99, v53
	v_fma_f32 v2, v98, v52, -v2
	v_add_f32_e32 v1, v1, v2
	v_mul_f32_e32 v2, v101, v55
	buffer_load_dword v249, off, s[0:3], 0 offset:492
	buffer_load_dword v250, off, s[0:3], 0 offset:496
	;; [unrolled: 1-line block ×4, first 2 shown]
	v_fma_f32 v2, v100, v54, -v2
	v_add_f32_e32 v1, v1, v2
	v_mul_f32_e32 v2, v103, v57
	v_fma_f32 v2, v102, v56, -v2
	v_add_f32_e32 v1, v1, v2
	v_mul_f32_e32 v2, v105, v59
	;; [unrolled: 3-line block ×9, first 2 shown]
	s_waitcnt vmcnt(48) lgkmcnt(1)
	v_mul_f32_e32 v151, v142, v196
	v_fma_f32 v2, v126, v72, -v2
	v_fmac_f32_e32 v151, v143, v195
	v_add_f32_e32 v1, v1, v2
	v_mul_f32_e32 v2, v129, v114
	v_add_f32_e32 v150, v150, v151
	s_waitcnt vmcnt(47)
	v_mul_f32_e32 v151, v144, v197
	v_fma_f32 v2, v128, v115, -v2
	s_waitcnt vmcnt(44)
	v_fmac_f32_e32 v151, v145, v200
	v_add_f32_e32 v1, v1, v2
	v_mul_f32_e32 v2, v131, v118
	v_add_f32_e32 v150, v150, v151
	s_waitcnt lgkmcnt(0)
	v_mul_f32_e32 v151, v146, v199
	v_fma_f32 v2, v130, v117, -v2
	v_fmac_f32_e32 v151, v147, v198
	v_add_f32_e32 v1, v1, v2
	v_mul_f32_e32 v2, v133, v186
	v_add_f32_e32 v154, v150, v151
	ds_read_b128 v[150:153], v116 offset:848
	v_fma_f32 v2, v132, v119, -v2
	v_add_f32_e32 v1, v1, v2
	v_mul_f32_e32 v2, v135, v187
	s_waitcnt vmcnt(42)
	v_mul_f32_e32 v155, v148, v202
	v_fma_f32 v2, v134, v188, -v2
	v_fmac_f32_e32 v155, v149, v201
	v_add_f32_e32 v1, v1, v2
	v_mul_f32_e32 v2, v137, v190
	v_add_f32_e32 v158, v154, v155
	ds_read_b128 v[154:157], v116 offset:864
	v_fma_f32 v2, v136, v189, -v2
	s_waitcnt vmcnt(40) lgkmcnt(1)
	v_mul_f32_e32 v159, v150, v204
	v_add_f32_e32 v1, v1, v2
	v_mul_f32_e32 v2, v139, v192
	v_fmac_f32_e32 v159, v151, v203
	v_fma_f32 v2, v138, v191, -v2
	v_add_f32_e32 v158, v158, v159
	s_waitcnt vmcnt(39)
	v_mul_f32_e32 v159, v152, v205
	v_add_f32_e32 v1, v1, v2
	v_mul_f32_e32 v2, v141, v194
	s_waitcnt vmcnt(36)
	v_fmac_f32_e32 v159, v153, v208
	v_fma_f32 v2, v140, v193, -v2
	v_add_f32_e32 v158, v158, v159
	s_waitcnt lgkmcnt(0)
	v_mul_f32_e32 v159, v154, v207
	v_add_f32_e32 v1, v1, v2
	v_mul_f32_e32 v2, v143, v196
	v_fmac_f32_e32 v159, v155, v206
	v_fma_f32 v2, v142, v195, -v2
	v_add_f32_e32 v162, v158, v159
	ds_read_b128 v[158:161], v116 offset:880
	v_add_f32_e32 v1, v1, v2
	v_mul_f32_e32 v2, v145, v197
	v_fma_f32 v2, v144, v200, -v2
	s_waitcnt vmcnt(34)
	v_mul_f32_e32 v163, v156, v210
	v_add_f32_e32 v1, v1, v2
	v_mul_f32_e32 v2, v147, v199
	v_fmac_f32_e32 v163, v157, v209
	v_fma_f32 v2, v146, v198, -v2
	v_add_f32_e32 v166, v162, v163
	ds_read_b128 v[162:165], v116 offset:896
	v_add_f32_e32 v1, v1, v2
	v_mul_f32_e32 v2, v149, v202
	s_waitcnt vmcnt(32) lgkmcnt(1)
	v_mul_f32_e32 v167, v158, v212
	v_fma_f32 v2, v148, v201, -v2
	v_fmac_f32_e32 v167, v159, v211
	v_add_f32_e32 v1, v1, v2
	v_mul_f32_e32 v2, v151, v204
	v_add_f32_e32 v166, v166, v167
	s_waitcnt vmcnt(31)
	v_mul_f32_e32 v167, v160, v213
	v_fma_f32 v2, v150, v203, -v2
	s_waitcnt vmcnt(28)
	v_fmac_f32_e32 v167, v161, v216
	v_add_f32_e32 v1, v1, v2
	v_mul_f32_e32 v2, v153, v205
	v_add_f32_e32 v166, v166, v167
	s_waitcnt lgkmcnt(0)
	v_mul_f32_e32 v167, v162, v215
	v_fma_f32 v2, v152, v208, -v2
	v_fmac_f32_e32 v167, v163, v214
	v_add_f32_e32 v1, v1, v2
	v_mul_f32_e32 v2, v155, v207
	v_add_f32_e32 v170, v166, v167
	ds_read_b128 v[166:169], v116 offset:912
	v_fma_f32 v2, v154, v206, -v2
	v_add_f32_e32 v1, v1, v2
	v_mul_f32_e32 v2, v157, v210
	s_waitcnt vmcnt(26)
	v_mul_f32_e32 v171, v164, v218
	v_fma_f32 v2, v156, v209, -v2
	v_fmac_f32_e32 v171, v165, v217
	v_add_f32_e32 v1, v1, v2
	v_mul_f32_e32 v2, v159, v212
	v_add_f32_e32 v174, v170, v171
	ds_read_b128 v[170:173], v116 offset:928
	v_fma_f32 v2, v158, v211, -v2
	s_waitcnt vmcnt(24) lgkmcnt(1)
	v_mul_f32_e32 v175, v166, v220
	v_add_f32_e32 v1, v1, v2
	v_mul_f32_e32 v2, v161, v213
	v_fmac_f32_e32 v175, v167, v219
	v_fma_f32 v2, v160, v216, -v2
	v_add_f32_e32 v174, v174, v175
	s_waitcnt vmcnt(23)
	v_mul_f32_e32 v175, v168, v221
	v_add_f32_e32 v1, v1, v2
	v_mul_f32_e32 v2, v163, v215
	s_waitcnt vmcnt(20)
	v_fmac_f32_e32 v175, v169, v224
	v_fma_f32 v2, v162, v214, -v2
	v_add_f32_e32 v174, v174, v175
	s_waitcnt lgkmcnt(0)
	v_mul_f32_e32 v175, v170, v223
	v_add_f32_e32 v1, v1, v2
	v_mul_f32_e32 v2, v165, v218
	v_fmac_f32_e32 v175, v171, v222
	v_fma_f32 v2, v164, v217, -v2
	v_add_f32_e32 v178, v174, v175
	ds_read_b128 v[174:177], v116 offset:944
	v_add_f32_e32 v1, v1, v2
	v_mul_f32_e32 v2, v167, v220
	v_fma_f32 v2, v166, v219, -v2
	s_waitcnt vmcnt(18)
	v_mul_f32_e32 v179, v172, v226
	v_add_f32_e32 v1, v1, v2
	v_mul_f32_e32 v2, v169, v221
	v_fmac_f32_e32 v179, v173, v225
	v_fma_f32 v2, v168, v224, -v2
	v_add_f32_e32 v182, v178, v179
	ds_read_b128 v[178:181], v116 offset:960
	v_add_f32_e32 v1, v1, v2
	v_mul_f32_e32 v2, v171, v223
	s_waitcnt vmcnt(16) lgkmcnt(1)
	v_mul_f32_e32 v183, v174, v228
	v_fma_f32 v2, v170, v222, -v2
	v_fmac_f32_e32 v183, v175, v227
	v_add_f32_e32 v1, v1, v2
	v_mul_f32_e32 v2, v173, v226
	v_add_f32_e32 v182, v182, v183
	s_waitcnt vmcnt(15)
	v_mul_f32_e32 v183, v176, v229
	v_fma_f32 v2, v172, v225, -v2
	s_waitcnt vmcnt(12)
	v_fmac_f32_e32 v183, v177, v232
	v_add_f32_e32 v1, v1, v2
	v_mul_f32_e32 v2, v175, v228
	v_add_f32_e32 v182, v182, v183
	s_waitcnt lgkmcnt(0)
	v_mul_f32_e32 v183, v178, v231
	v_fma_f32 v2, v174, v227, -v2
	v_fmac_f32_e32 v183, v179, v230
	v_add_f32_e32 v1, v1, v2
	v_mul_f32_e32 v2, v177, v229
	v_add_f32_e32 v253, v182, v183
	ds_read_b128 v[182:185], v116 offset:976
	ds_read_b128 v[74:77], v116 offset:992
	v_fma_f32 v2, v176, v232, -v2
	v_add_f32_e32 v1, v1, v2
	v_mul_f32_e32 v2, v179, v231
	v_fma_f32 v2, v178, v230, -v2
	v_add_f32_e32 v1, v1, v2
	s_waitcnt vmcnt(10)
	v_mul_f32_e32 v2, v181, v234
	v_mul_f32_e32 v254, v180, v234
	v_fma_f32 v2, v180, v233, -v2
	v_fmac_f32_e32 v254, v181, v233
	s_waitcnt vmcnt(8) lgkmcnt(1)
	v_mul_f32_e32 v20, v182, v236
	v_add_f32_e32 v1, v1, v2
	v_mul_f32_e32 v2, v183, v236
	v_add_f32_e32 v253, v253, v254
	v_fmac_f32_e32 v20, v183, v235
	s_waitcnt vmcnt(7)
	v_mul_f32_e32 v21, v184, v237
	v_fma_f32 v2, v182, v235, -v2
	v_add_f32_e32 v20, v253, v20
	s_waitcnt vmcnt(4)
	v_fmac_f32_e32 v21, v185, v248
	v_add_f32_e32 v1, v1, v2
	v_mul_f32_e32 v2, v185, v237
	v_add_f32_e32 v253, v20, v21
	ds_read_b64 v[20:21], v116 offset:1008
	v_fma_f32 v2, v184, v248, -v2
	v_add_f32_e32 v1, v1, v2
	s_waitcnt lgkmcnt(1)
	v_mul_f32_e32 v2, v75, v247
	v_mul_f32_e32 v254, v74, v247
	v_fma_f32 v2, v74, v246, -v2
	v_fmac_f32_e32 v254, v75, v246
	v_add_f32_e32 v1, v1, v2
	s_waitcnt vmcnt(3)
	v_mul_f32_e32 v2, v77, v249
	v_add_f32_e32 v253, v253, v254
	v_mul_f32_e32 v254, v76, v249
	s_waitcnt vmcnt(0)
	v_fma_f32 v2, v76, v252, -v2
	v_fmac_f32_e32 v254, v77, v252
	v_add_f32_e32 v1, v1, v2
	s_waitcnt lgkmcnt(0)
	v_mul_f32_e32 v2, v21, v251
	v_add_f32_e32 v253, v253, v254
	v_mul_f32_e32 v254, v20, v251
	v_fma_f32 v2, v20, v250, -v2
	v_fmac_f32_e32 v254, v21, v250
	v_add_f32_e32 v1, v1, v2
	v_add_f32_e32 v253, v253, v254
	v_sub_f32_e32 v1, v13, v1
	v_sub_f32_e32 v2, v14, v253
	buffer_store_dword v1, off, s[0:3], 0 offset:8
	buffer_store_dword v2, off, s[0:3], 0 offset:12
	s_and_saveexec_b64 s[4:5], vcc
	s_cbranch_execz .LBB126_391
; %bb.390:
	buffer_load_dword v0, off, s[0:3], 0
	buffer_load_dword v1, off, s[0:3], 0 offset:4
	s_waitcnt vmcnt(0)
	ds_write_b64 v25, v[0:1]
	buffer_store_dword v116, off, s[0:3], 0
	buffer_store_dword v116, off, s[0:3], 0 offset:4
.LBB126_391:
	s_or_b64 exec, exec, s[4:5]
	s_waitcnt lgkmcnt(0)
	; wave barrier
	buffer_load_dword v117, off, s[0:3], 0 offset:12
	buffer_load_dword v118, off, s[0:3], 0 offset:20
	;; [unrolled: 1-line block ×24, first 2 shown]
	buffer_load_dword v246, off, s[0:3], 0
	buffer_load_dword v134, off, s[0:3], 0 offset:108
	buffer_load_dword v133, off, s[0:3], 0 offset:104
	ds_read2_b64 v[112:115], v116 offset0:65 offset1:66
	ds_read2_b64 v[0:3], v116 offset0:67 offset1:68
	buffer_load_dword v135, off, s[0:3], 0 offset:112
	buffer_load_dword v136, off, s[0:3], 0 offset:116
	;; [unrolled: 1-line block ×4, first 2 shown]
	ds_read2_b64 v[16:19], v116 offset0:69 offset1:70
	ds_read2_b64 v[12:15], v116 offset0:71 offset1:72
	ds_read2_b64 v[8:11], v116 offset0:73 offset1:74
	ds_read2_b64 v[4:7], v116 offset0:75 offset1:76
	buffer_load_dword v139, off, s[0:3], 0 offset:128
	buffer_load_dword v140, off, s[0:3], 0 offset:132
	;; [unrolled: 1-line block ×28, first 2 shown]
	s_and_b64 vcc, exec, s[14:15]
	s_waitcnt vmcnt(58) lgkmcnt(5)
	v_mul_f32_e32 v20, v112, v117
	s_waitcnt vmcnt(57)
	v_mul_f32_e32 v21, v114, v118
	s_waitcnt vmcnt(56) lgkmcnt(4)
	v_mul_f32_e32 v22, v0, v251
	s_waitcnt vmcnt(55)
	v_mul_f32_e32 v23, v2, v250
	;; [unrolled: 4-line block ×5, first 2 shown]
	s_waitcnt vmcnt(48)
	v_fmac_f32_e32 v20, v113, v119
	s_waitcnt vmcnt(47)
	v_fmac_f32_e32 v21, v115, v233
	v_add_f32_e32 v20, 0, v20
	s_waitcnt vmcnt(46)
	v_fmac_f32_e32 v22, v1, v129
	v_add_f32_e32 v20, v20, v21
	s_waitcnt vmcnt(45)
	v_fmac_f32_e32 v23, v3, v128
	v_add_f32_e32 v20, v20, v22
	s_waitcnt vmcnt(44)
	v_fmac_f32_e32 v24, v17, v126
	v_add_f32_e32 v20, v20, v23
	s_waitcnt vmcnt(43)
	v_fmac_f32_e32 v25, v19, v124
	v_add_f32_e32 v20, v20, v24
	s_waitcnt vmcnt(42)
	v_fmac_f32_e32 v26, v13, v127
	v_add_f32_e32 v20, v20, v25
	s_waitcnt vmcnt(41)
	v_fmac_f32_e32 v27, v15, v125
	v_add_f32_e32 v20, v20, v26
	s_waitcnt vmcnt(40)
	v_fmac_f32_e32 v28, v9, v123
	v_add_f32_e32 v20, v20, v27
	v_add_f32_e32 v20, v20, v28
	s_waitcnt vmcnt(39)
	v_fmac_f32_e32 v29, v11, v122
	s_waitcnt vmcnt(38) lgkmcnt(0)
	v_mul_f32_e32 v21, v4, v255
	ds_read2_b64 v[24:27], v116 offset0:77 offset1:78
	v_add_f32_e32 v20, v20, v29
	s_waitcnt vmcnt(37)
	v_fmac_f32_e32 v21, v5, v130
	v_add_f32_e32 v20, v20, v21
	s_waitcnt vmcnt(36)
	v_mul_f32_e32 v21, v6, v132
	s_waitcnt vmcnt(35)
	v_fmac_f32_e32 v21, v7, v131
	v_add_f32_e32 v28, v20, v21
	ds_read2_b64 v[20:23], v116 offset0:79 offset1:80
	s_waitcnt vmcnt(33) lgkmcnt(1)
	v_mul_f32_e32 v29, v24, v134
	s_waitcnt vmcnt(32)
	v_fmac_f32_e32 v29, v25, v133
	buffer_load_dword v167, off, s[0:3], 0 offset:240
	buffer_load_dword v168, off, s[0:3], 0 offset:244
	v_add_f32_e32 v28, v28, v29
	s_waitcnt vmcnt(32)
	v_mul_f32_e32 v29, v26, v136
	v_fmac_f32_e32 v29, v27, v135
	buffer_load_dword v169, off, s[0:3], 0 offset:248
	buffer_load_dword v170, off, s[0:3], 0 offset:252
	v_add_f32_e32 v28, v28, v29
	s_waitcnt vmcnt(32) lgkmcnt(0)
	v_mul_f32_e32 v29, v20, v138
	v_fmac_f32_e32 v29, v21, v137
	v_add_f32_e32 v32, v28, v29
	ds_read2_b64 v[28:31], v116 offset0:81 offset1:82
	buffer_load_dword v171, off, s[0:3], 0 offset:256
	buffer_load_dword v172, off, s[0:3], 0 offset:260
	s_waitcnt vmcnt(32)
	v_mul_f32_e32 v33, v22, v140
	v_fmac_f32_e32 v33, v23, v139
	v_add_f32_e32 v36, v32, v33
	ds_read2_b64 v[32:35], v116 offset0:83 offset1:84
	s_waitcnt vmcnt(30) lgkmcnt(1)
	v_mul_f32_e32 v37, v28, v142
	v_fmac_f32_e32 v37, v29, v141
	v_add_f32_e32 v36, v36, v37
	s_waitcnt vmcnt(28)
	v_mul_f32_e32 v37, v30, v144
	v_fmac_f32_e32 v37, v31, v143
	v_add_f32_e32 v36, v36, v37
	s_waitcnt vmcnt(26) lgkmcnt(0)
	v_mul_f32_e32 v37, v32, v146
	v_fmac_f32_e32 v37, v33, v145
	buffer_load_dword v173, off, s[0:3], 0 offset:264
	buffer_load_dword v174, off, s[0:3], 0 offset:268
	v_add_f32_e32 v40, v36, v37
	ds_read2_b64 v[36:39], v116 offset0:85 offset1:86
	s_waitcnt vmcnt(26)
	v_mul_f32_e32 v41, v34, v148
	buffer_load_dword v175, off, s[0:3], 0 offset:272
	buffer_load_dword v176, off, s[0:3], 0 offset:276
	v_fmac_f32_e32 v41, v35, v147
	v_add_f32_e32 v44, v40, v41
	ds_read2_b64 v[40:43], v116 offset0:87 offset1:88
	s_waitcnt vmcnt(26) lgkmcnt(1)
	v_mul_f32_e32 v45, v36, v150
	buffer_load_dword v177, off, s[0:3], 0 offset:280
	buffer_load_dword v178, off, s[0:3], 0 offset:284
	v_fmac_f32_e32 v45, v37, v149
	v_add_f32_e32 v44, v44, v45
	s_waitcnt vmcnt(26)
	v_mul_f32_e32 v45, v38, v152
	buffer_load_dword v179, off, s[0:3], 0 offset:288
	buffer_load_dword v180, off, s[0:3], 0 offset:292
	v_fmac_f32_e32 v45, v39, v151
	v_add_f32_e32 v44, v44, v45
	s_waitcnt vmcnt(26) lgkmcnt(0)
	v_mul_f32_e32 v45, v40, v154
	ds_read2_b64 v[48:51], v116 offset0:89 offset1:90
	v_fmac_f32_e32 v45, v41, v153
	v_add_f32_e32 v44, v44, v45
	s_waitcnt vmcnt(24)
	v_mul_f32_e32 v45, v42, v156
	v_fmac_f32_e32 v45, v43, v155
	v_add_f32_e32 v52, v44, v45
	ds_read2_b64 v[44:47], v116 offset0:91 offset1:92
	s_waitcnt vmcnt(22) lgkmcnt(1)
	v_mul_f32_e32 v53, v48, v158
	v_fmac_f32_e32 v53, v49, v157
	buffer_load_dword v181, off, s[0:3], 0 offset:296
	buffer_load_dword v182, off, s[0:3], 0 offset:300
	v_add_f32_e32 v52, v52, v53
	s_waitcnt vmcnt(22)
	v_mul_f32_e32 v53, v50, v160
	v_fmac_f32_e32 v53, v51, v159
	v_add_f32_e32 v52, v52, v53
	s_waitcnt vmcnt(20) lgkmcnt(0)
	v_mul_f32_e32 v53, v44, v162
	buffer_load_dword v183, off, s[0:3], 0 offset:304
	buffer_load_dword v184, off, s[0:3], 0 offset:308
	v_fmac_f32_e32 v53, v45, v161
	v_add_f32_e32 v52, v52, v53
	s_waitcnt vmcnt(20)
	v_mul_f32_e32 v53, v46, v164
	ds_read2_b64 v[56:59], v116 offset0:93 offset1:94
	buffer_load_dword v185, off, s[0:3], 0 offset:312
	buffer_load_dword v186, off, s[0:3], 0 offset:316
	v_fmac_f32_e32 v53, v47, v163
	v_add_f32_e32 v60, v52, v53
	ds_read2_b64 v[52:55], v116 offset0:95 offset1:96
	buffer_load_dword v187, off, s[0:3], 0 offset:320
	buffer_load_dword v190, off, s[0:3], 0 offset:324
	;; [unrolled: 1-line block ×10, first 2 shown]
	s_waitcnt vmcnt(30) lgkmcnt(1)
	v_mul_f32_e32 v61, v56, v166
	v_fmac_f32_e32 v61, v57, v165
	v_add_f32_e32 v60, v60, v61
	buffer_load_dword v196, off, s[0:3], 0 offset:360
	buffer_load_dword v200, off, s[0:3], 0 offset:364
	ds_read2_b64 v[64:67], v116 offset0:97 offset1:98
	buffer_load_dword v202, off, s[0:3], 0 offset:372
	buffer_load_dword v201, off, s[0:3], 0 offset:368
	buffer_load_dword v197, off, s[0:3], 0 offset:376
	buffer_load_dword v203, off, s[0:3], 0 offset:380
	v_mul_f32_e32 v113, v113, v117
	v_mul_f32_e32 v1, v1, v251
	v_fma_f32 v0, v0, v129, -v1
	v_mul_f32_e32 v1, v3, v250
	v_fma_f32 v1, v2, v128, -v1
	s_waitcnt vmcnt(34)
	v_mul_f32_e32 v61, v58, v168
	v_fmac_f32_e32 v61, v59, v167
	v_add_f32_e32 v60, v60, v61
	s_waitcnt vmcnt(32) lgkmcnt(1)
	v_mul_f32_e32 v61, v52, v170
	v_fmac_f32_e32 v61, v53, v169
	v_add_f32_e32 v60, v60, v61
	s_waitcnt vmcnt(30)
	v_mul_f32_e32 v61, v54, v172
	v_fmac_f32_e32 v61, v55, v171
	v_add_f32_e32 v68, v60, v61
	ds_read2_b64 v[60:63], v116 offset0:99 offset1:100
	buffer_load_dword v199, off, s[0:3], 0 offset:384
	buffer_load_dword v206, off, s[0:3], 0 offset:388
	;; [unrolled: 1-line block ×16, first 2 shown]
	ds_read2_b64 v[72:75], v116 offset0:101 offset1:102
	buffer_load_dword v215, off, s[0:3], 0 offset:448
	buffer_load_dword v222, off, s[0:3], 0 offset:452
	s_waitcnt vmcnt(46) lgkmcnt(2)
	v_mul_f32_e32 v69, v64, v174
	v_fmac_f32_e32 v69, v65, v173
	v_add_f32_e32 v68, v68, v69
	s_waitcnt vmcnt(44)
	v_mul_f32_e32 v69, v66, v176
	v_fmac_f32_e32 v69, v67, v175
	v_add_f32_e32 v68, v68, v69
	s_waitcnt vmcnt(42) lgkmcnt(1)
	v_mul_f32_e32 v69, v60, v178
	v_fmac_f32_e32 v69, v61, v177
	v_add_f32_e32 v68, v68, v69
	s_waitcnt vmcnt(40)
	v_mul_f32_e32 v69, v62, v180
	v_fmac_f32_e32 v69, v63, v179
	v_add_f32_e32 v76, v68, v69
	ds_read2_b64 v[68:71], v116 offset0:103 offset1:104
	buffer_load_dword v220, off, s[0:3], 0 offset:456
	buffer_load_dword v225, off, s[0:3], 0 offset:460
	;; [unrolled: 1-line block ×12, first 2 shown]
	ds_read2_b64 v[80:83], v116 offset0:105 offset1:106
	ds_read2_b64 v[88:91], v116 offset0:109 offset1:110
	;; [unrolled: 1-line block ×4, first 2 shown]
	s_waitcnt vmcnt(50) lgkmcnt(5)
	v_mul_f32_e32 v77, v72, v182
	v_fmac_f32_e32 v77, v73, v181
	v_add_f32_e32 v76, v76, v77
	s_waitcnt vmcnt(48)
	v_mul_f32_e32 v77, v74, v184
	v_fmac_f32_e32 v77, v75, v183
	v_add_f32_e32 v76, v76, v77
	s_waitcnt vmcnt(46) lgkmcnt(4)
	v_mul_f32_e32 v77, v68, v186
	v_fmac_f32_e32 v77, v69, v185
	v_add_f32_e32 v76, v76, v77
	s_waitcnt vmcnt(44)
	v_mul_f32_e32 v77, v70, v190
	v_fmac_f32_e32 v77, v71, v187
	v_add_f32_e32 v84, v76, v77
	ds_read2_b64 v[76:79], v116 offset0:107 offset1:108
	s_waitcnt vmcnt(42) lgkmcnt(4)
	v_mul_f32_e32 v85, v80, v192
	v_fmac_f32_e32 v85, v81, v188
	v_add_f32_e32 v84, v84, v85
	s_waitcnt vmcnt(41)
	v_mul_f32_e32 v85, v82, v194
	s_waitcnt vmcnt(40)
	v_fmac_f32_e32 v85, v83, v193
	v_add_f32_e32 v84, v84, v85
	s_waitcnt vmcnt(38) lgkmcnt(0)
	v_mul_f32_e32 v85, v76, v195
	v_fmac_f32_e32 v85, v77, v189
	v_add_f32_e32 v84, v84, v85
	s_waitcnt vmcnt(36)
	v_mul_f32_e32 v85, v78, v198
	v_fmac_f32_e32 v85, v79, v191
	v_add_f32_e32 v92, v84, v85
	ds_read2_b64 v[84:87], v116 offset0:111 offset1:112
	s_waitcnt vmcnt(34)
	v_mul_f32_e32 v93, v88, v200
	v_fmac_f32_e32 v93, v89, v196
	v_add_f32_e32 v92, v92, v93
	s_waitcnt vmcnt(33)
	v_mul_f32_e32 v93, v90, v202
	s_waitcnt vmcnt(32)
	v_fmac_f32_e32 v93, v91, v201
	v_add_f32_e32 v92, v92, v93
	s_waitcnt vmcnt(30) lgkmcnt(0)
	v_mul_f32_e32 v93, v84, v203
	v_fmac_f32_e32 v93, v85, v197
	v_add_f32_e32 v92, v92, v93
	s_waitcnt vmcnt(28)
	v_mul_f32_e32 v93, v86, v206
	v_fmac_f32_e32 v93, v87, v199
	v_add_f32_e32 v100, v92, v93
	ds_read2_b64 v[92:95], v116 offset0:115 offset1:116
	s_waitcnt vmcnt(26)
	;; [unrolled: 18-line block ×3, first 2 shown]
	v_mul_f32_e32 v109, v104, v216
	v_fmac_f32_e32 v109, v105, v212
	v_add_f32_e32 v108, v108, v109
	s_waitcnt vmcnt(17)
	v_mul_f32_e32 v109, v106, v218
	s_waitcnt vmcnt(16)
	v_fmac_f32_e32 v109, v107, v217
	v_add_f32_e32 v108, v108, v109
	s_waitcnt vmcnt(14) lgkmcnt(0)
	v_mul_f32_e32 v109, v100, v219
	v_fmac_f32_e32 v109, v101, v213
	s_waitcnt vmcnt(12)
	v_mul_f32_e32 v235, v102, v222
	v_add_f32_e32 v234, v108, v109
	v_fmac_f32_e32 v235, v103, v215
	v_add_f32_e32 v236, v234, v235
	v_fma_f32 v234, v112, v119, -v113
	v_mul_f32_e32 v112, v115, v118
	v_fma_f32 v235, v114, v233, -v112
	v_add_f32_e32 v234, 0, v234
	v_add_f32_e32 v234, v234, v235
	;; [unrolled: 1-line block ×4, first 2 shown]
	v_mul_f32_e32 v1, v17, v249
	v_fma_f32 v1, v16, v126, -v1
	v_add_f32_e32 v0, v0, v1
	v_mul_f32_e32 v1, v19, v248
	v_fma_f32 v1, v18, v124, -v1
	v_add_f32_e32 v0, v0, v1
	;; [unrolled: 3-line block ×10, first 2 shown]
	v_mul_f32_e32 v1, v21, v138
	ds_read2_b64 v[108:111], v116 offset0:121 offset1:122
	ds_read2_b64 v[112:115], v116 offset0:123 offset1:124
	v_fma_f32 v1, v20, v137, -v1
	v_add_f32_e32 v0, v0, v1
	v_mul_f32_e32 v1, v23, v140
	v_fma_f32 v1, v22, v139, -v1
	v_add_f32_e32 v0, v0, v1
	v_mul_f32_e32 v1, v29, v142
	v_fma_f32 v1, v28, v141, -v1
	s_waitcnt vmcnt(10) lgkmcnt(1)
	v_mul_f32_e32 v117, v108, v225
	v_add_f32_e32 v0, v0, v1
	v_mul_f32_e32 v1, v31, v144
	v_fmac_f32_e32 v117, v109, v220
	s_waitcnt vmcnt(9)
	v_mul_f32_e32 v118, v110, v227
	v_fma_f32 v1, v30, v143, -v1
	v_add_f32_e32 v117, v236, v117
	s_waitcnt vmcnt(8)
	v_fmac_f32_e32 v118, v111, v226
	v_add_f32_e32 v0, v0, v1
	v_mul_f32_e32 v1, v33, v146
	v_add_f32_e32 v233, v117, v118
	ds_read2_b64 v[116:119], v116 offset0:125 offset1:126
	v_fma_f32 v1, v32, v145, -v1
	s_waitcnt vmcnt(6) lgkmcnt(1)
	v_mul_f32_e32 v236, v112, v228
	v_add_f32_e32 v0, v0, v1
	v_mul_f32_e32 v1, v35, v148
	v_fmac_f32_e32 v236, v113, v221
	v_fma_f32 v1, v34, v147, -v1
	v_add_f32_e32 v233, v233, v236
	s_waitcnt vmcnt(4)
	v_mul_f32_e32 v236, v114, v229
	v_add_f32_e32 v0, v0, v1
	v_mul_f32_e32 v1, v37, v150
	v_fmac_f32_e32 v236, v115, v223
	v_fma_f32 v1, v36, v149, -v1
	v_add_f32_e32 v233, v233, v236
	s_waitcnt vmcnt(3) lgkmcnt(0)
	v_mul_f32_e32 v236, v116, v231
	v_add_f32_e32 v0, v0, v1
	v_mul_f32_e32 v1, v39, v152
	s_waitcnt vmcnt(2)
	v_fmac_f32_e32 v236, v117, v230
	v_fma_f32 v1, v38, v151, -v1
	v_add_f32_e32 v233, v233, v236
	s_waitcnt vmcnt(0)
	v_mul_f32_e32 v236, v118, v232
	v_add_f32_e32 v0, v0, v1
	v_mul_f32_e32 v1, v41, v154
	v_fmac_f32_e32 v236, v119, v224
	v_fma_f32 v1, v40, v153, -v1
	v_add_f32_e32 v233, v233, v236
	buffer_load_dword v236, off, s[0:3], 0 offset:4
	v_add_f32_e32 v0, v0, v1
	v_mul_f32_e32 v1, v43, v156
	v_fma_f32 v1, v42, v155, -v1
	v_add_f32_e32 v0, v0, v1
	v_mul_f32_e32 v1, v49, v158
	v_fma_f32 v1, v48, v157, -v1
	;; [unrolled: 3-line block ×39, first 2 shown]
	v_add_f32_e32 v0, v0, v1
	v_sub_f32_e32 v0, v246, v0
	s_waitcnt vmcnt(0)
	v_sub_f32_e32 v1, v236, v233
	buffer_store_dword v0, off, s[0:3], 0
	buffer_store_dword v1, off, s[0:3], 0 offset:4
	s_cbranch_vccz .LBB126_516
; %bb.392:
	v_mov_b32_e32 v0, 0
	global_load_dword v1, v0, s[12:13] offset:244
	s_waitcnt vmcnt(0)
	v_add_u32_e32 v1, -1, v1
	v_cmp_ne_u32_e32 vcc, 61, v1
	s_cbranch_vccz .LBB126_394
; %bb.393:
	v_lshlrev_b32_e32 v1, 3, v1
	buffer_load_dword v2, v1, s[0:3], 0 offen
	buffer_load_dword v3, v1, s[0:3], 0 offen offset:4
	buffer_load_dword v4, off, s[0:3], 0 offset:488
	buffer_load_dword v5, off, s[0:3], 0 offset:492
	s_waitcnt vmcnt(3)
	buffer_store_dword v2, off, s[0:3], 0 offset:488
	s_waitcnt vmcnt(3)
	buffer_store_dword v3, off, s[0:3], 0 offset:492
	s_waitcnt vmcnt(3)
	buffer_store_dword v4, v1, s[0:3], 0 offen
	s_waitcnt vmcnt(3)
	buffer_store_dword v5, v1, s[0:3], 0 offen offset:4
.LBB126_394:
	global_load_dword v0, v0, s[12:13] offset:240
	s_waitcnt vmcnt(0)
	v_add_u32_e32 v0, -1, v0
	v_cmp_eq_u32_e32 vcc, 60, v0
	s_cbranch_vccnz .LBB126_396
; %bb.395:
	v_lshlrev_b32_e32 v0, 3, v0
	buffer_load_dword v1, v0, s[0:3], 0 offen
	buffer_load_dword v2, v0, s[0:3], 0 offen offset:4
	buffer_load_dword v3, off, s[0:3], 0 offset:484
	buffer_load_dword v4, off, s[0:3], 0 offset:480
	s_waitcnt vmcnt(3)
	buffer_store_dword v1, off, s[0:3], 0 offset:480
	s_waitcnt vmcnt(3)
	buffer_store_dword v2, off, s[0:3], 0 offset:484
	s_waitcnt vmcnt(3)
	buffer_store_dword v3, v0, s[0:3], 0 offen offset:4
	s_waitcnt vmcnt(3)
	buffer_store_dword v4, v0, s[0:3], 0 offen
.LBB126_396:
	v_mov_b32_e32 v0, 0
	global_load_dword v1, v0, s[12:13] offset:236
	s_waitcnt vmcnt(0)
	v_add_u32_e32 v1, -1, v1
	v_cmp_eq_u32_e32 vcc, 59, v1
	s_cbranch_vccnz .LBB126_398
; %bb.397:
	v_lshlrev_b32_e32 v1, 3, v1
	buffer_load_dword v2, v1, s[0:3], 0 offen
	buffer_load_dword v3, v1, s[0:3], 0 offen offset:4
	buffer_load_dword v4, off, s[0:3], 0 offset:472
	buffer_load_dword v5, off, s[0:3], 0 offset:476
	s_waitcnt vmcnt(3)
	buffer_store_dword v2, off, s[0:3], 0 offset:472
	s_waitcnt vmcnt(3)
	buffer_store_dword v3, off, s[0:3], 0 offset:476
	s_waitcnt vmcnt(3)
	buffer_store_dword v4, v1, s[0:3], 0 offen
	s_waitcnt vmcnt(3)
	buffer_store_dword v5, v1, s[0:3], 0 offen offset:4
.LBB126_398:
	global_load_dword v0, v0, s[12:13] offset:232
	s_waitcnt vmcnt(0)
	v_add_u32_e32 v0, -1, v0
	v_cmp_eq_u32_e32 vcc, 58, v0
	s_cbranch_vccnz .LBB126_400
; %bb.399:
	v_lshlrev_b32_e32 v0, 3, v0
	buffer_load_dword v1, v0, s[0:3], 0 offen
	buffer_load_dword v2, v0, s[0:3], 0 offen offset:4
	buffer_load_dword v3, off, s[0:3], 0 offset:468
	buffer_load_dword v4, off, s[0:3], 0 offset:464
	s_waitcnt vmcnt(3)
	buffer_store_dword v1, off, s[0:3], 0 offset:464
	s_waitcnt vmcnt(3)
	buffer_store_dword v2, off, s[0:3], 0 offset:468
	s_waitcnt vmcnt(3)
	buffer_store_dword v3, v0, s[0:3], 0 offen offset:4
	s_waitcnt vmcnt(3)
	buffer_store_dword v4, v0, s[0:3], 0 offen
.LBB126_400:
	v_mov_b32_e32 v0, 0
	global_load_dword v1, v0, s[12:13] offset:228
	s_waitcnt vmcnt(0)
	v_add_u32_e32 v1, -1, v1
	v_cmp_eq_u32_e32 vcc, 57, v1
	s_cbranch_vccnz .LBB126_402
; %bb.401:
	v_lshlrev_b32_e32 v1, 3, v1
	buffer_load_dword v2, v1, s[0:3], 0 offen
	buffer_load_dword v3, v1, s[0:3], 0 offen offset:4
	buffer_load_dword v4, off, s[0:3], 0 offset:456
	buffer_load_dword v5, off, s[0:3], 0 offset:460
	s_waitcnt vmcnt(3)
	buffer_store_dword v2, off, s[0:3], 0 offset:456
	s_waitcnt vmcnt(3)
	buffer_store_dword v3, off, s[0:3], 0 offset:460
	s_waitcnt vmcnt(3)
	buffer_store_dword v4, v1, s[0:3], 0 offen
	s_waitcnt vmcnt(3)
	buffer_store_dword v5, v1, s[0:3], 0 offen offset:4
.LBB126_402:
	global_load_dword v0, v0, s[12:13] offset:224
	s_waitcnt vmcnt(0)
	v_add_u32_e32 v0, -1, v0
	v_cmp_eq_u32_e32 vcc, 56, v0
	s_cbranch_vccnz .LBB126_404
; %bb.403:
	v_lshlrev_b32_e32 v0, 3, v0
	buffer_load_dword v1, v0, s[0:3], 0 offen
	buffer_load_dword v2, v0, s[0:3], 0 offen offset:4
	buffer_load_dword v3, off, s[0:3], 0 offset:452
	buffer_load_dword v4, off, s[0:3], 0 offset:448
	s_waitcnt vmcnt(3)
	buffer_store_dword v1, off, s[0:3], 0 offset:448
	s_waitcnt vmcnt(3)
	buffer_store_dword v2, off, s[0:3], 0 offset:452
	s_waitcnt vmcnt(3)
	buffer_store_dword v3, v0, s[0:3], 0 offen offset:4
	s_waitcnt vmcnt(3)
	buffer_store_dword v4, v0, s[0:3], 0 offen
.LBB126_404:
	v_mov_b32_e32 v0, 0
	global_load_dword v1, v0, s[12:13] offset:220
	s_waitcnt vmcnt(0)
	v_add_u32_e32 v1, -1, v1
	v_cmp_eq_u32_e32 vcc, 55, v1
	s_cbranch_vccnz .LBB126_406
; %bb.405:
	v_lshlrev_b32_e32 v1, 3, v1
	buffer_load_dword v2, v1, s[0:3], 0 offen
	buffer_load_dword v3, v1, s[0:3], 0 offen offset:4
	buffer_load_dword v4, off, s[0:3], 0 offset:440
	buffer_load_dword v5, off, s[0:3], 0 offset:444
	s_waitcnt vmcnt(3)
	buffer_store_dword v2, off, s[0:3], 0 offset:440
	s_waitcnt vmcnt(3)
	buffer_store_dword v3, off, s[0:3], 0 offset:444
	s_waitcnt vmcnt(3)
	buffer_store_dword v4, v1, s[0:3], 0 offen
	s_waitcnt vmcnt(3)
	buffer_store_dword v5, v1, s[0:3], 0 offen offset:4
.LBB126_406:
	global_load_dword v0, v0, s[12:13] offset:216
	s_waitcnt vmcnt(0)
	v_add_u32_e32 v0, -1, v0
	v_cmp_eq_u32_e32 vcc, 54, v0
	s_cbranch_vccnz .LBB126_408
; %bb.407:
	v_lshlrev_b32_e32 v0, 3, v0
	buffer_load_dword v1, v0, s[0:3], 0 offen
	buffer_load_dword v2, v0, s[0:3], 0 offen offset:4
	buffer_load_dword v3, off, s[0:3], 0 offset:436
	buffer_load_dword v4, off, s[0:3], 0 offset:432
	s_waitcnt vmcnt(3)
	buffer_store_dword v1, off, s[0:3], 0 offset:432
	s_waitcnt vmcnt(3)
	buffer_store_dword v2, off, s[0:3], 0 offset:436
	s_waitcnt vmcnt(3)
	buffer_store_dword v3, v0, s[0:3], 0 offen offset:4
	s_waitcnt vmcnt(3)
	buffer_store_dword v4, v0, s[0:3], 0 offen
.LBB126_408:
	v_mov_b32_e32 v0, 0
	global_load_dword v1, v0, s[12:13] offset:212
	s_waitcnt vmcnt(0)
	v_add_u32_e32 v1, -1, v1
	v_cmp_eq_u32_e32 vcc, 53, v1
	s_cbranch_vccnz .LBB126_410
; %bb.409:
	v_lshlrev_b32_e32 v1, 3, v1
	buffer_load_dword v2, v1, s[0:3], 0 offen
	buffer_load_dword v3, v1, s[0:3], 0 offen offset:4
	buffer_load_dword v4, off, s[0:3], 0 offset:424
	buffer_load_dword v5, off, s[0:3], 0 offset:428
	s_waitcnt vmcnt(3)
	buffer_store_dword v2, off, s[0:3], 0 offset:424
	s_waitcnt vmcnt(3)
	buffer_store_dword v3, off, s[0:3], 0 offset:428
	s_waitcnt vmcnt(3)
	buffer_store_dword v4, v1, s[0:3], 0 offen
	s_waitcnt vmcnt(3)
	buffer_store_dword v5, v1, s[0:3], 0 offen offset:4
.LBB126_410:
	global_load_dword v0, v0, s[12:13] offset:208
	s_waitcnt vmcnt(0)
	v_add_u32_e32 v0, -1, v0
	v_cmp_eq_u32_e32 vcc, 52, v0
	s_cbranch_vccnz .LBB126_412
; %bb.411:
	v_lshlrev_b32_e32 v0, 3, v0
	buffer_load_dword v1, v0, s[0:3], 0 offen
	buffer_load_dword v2, v0, s[0:3], 0 offen offset:4
	buffer_load_dword v3, off, s[0:3], 0 offset:420
	buffer_load_dword v4, off, s[0:3], 0 offset:416
	s_waitcnt vmcnt(3)
	buffer_store_dword v1, off, s[0:3], 0 offset:416
	s_waitcnt vmcnt(3)
	buffer_store_dword v2, off, s[0:3], 0 offset:420
	s_waitcnt vmcnt(3)
	buffer_store_dword v3, v0, s[0:3], 0 offen offset:4
	s_waitcnt vmcnt(3)
	buffer_store_dword v4, v0, s[0:3], 0 offen
.LBB126_412:
	v_mov_b32_e32 v0, 0
	global_load_dword v1, v0, s[12:13] offset:204
	s_waitcnt vmcnt(0)
	v_add_u32_e32 v1, -1, v1
	v_cmp_eq_u32_e32 vcc, 51, v1
	s_cbranch_vccnz .LBB126_414
; %bb.413:
	v_lshlrev_b32_e32 v1, 3, v1
	buffer_load_dword v2, v1, s[0:3], 0 offen
	buffer_load_dword v3, v1, s[0:3], 0 offen offset:4
	buffer_load_dword v4, off, s[0:3], 0 offset:408
	buffer_load_dword v5, off, s[0:3], 0 offset:412
	s_waitcnt vmcnt(3)
	buffer_store_dword v2, off, s[0:3], 0 offset:408
	s_waitcnt vmcnt(3)
	buffer_store_dword v3, off, s[0:3], 0 offset:412
	s_waitcnt vmcnt(3)
	buffer_store_dword v4, v1, s[0:3], 0 offen
	s_waitcnt vmcnt(3)
	buffer_store_dword v5, v1, s[0:3], 0 offen offset:4
.LBB126_414:
	global_load_dword v0, v0, s[12:13] offset:200
	s_waitcnt vmcnt(0)
	v_add_u32_e32 v0, -1, v0
	v_cmp_eq_u32_e32 vcc, 50, v0
	s_cbranch_vccnz .LBB126_416
; %bb.415:
	v_lshlrev_b32_e32 v0, 3, v0
	buffer_load_dword v1, v0, s[0:3], 0 offen
	buffer_load_dword v2, v0, s[0:3], 0 offen offset:4
	buffer_load_dword v3, off, s[0:3], 0 offset:404
	buffer_load_dword v4, off, s[0:3], 0 offset:400
	s_waitcnt vmcnt(3)
	buffer_store_dword v1, off, s[0:3], 0 offset:400
	s_waitcnt vmcnt(3)
	buffer_store_dword v2, off, s[0:3], 0 offset:404
	s_waitcnt vmcnt(3)
	buffer_store_dword v3, v0, s[0:3], 0 offen offset:4
	s_waitcnt vmcnt(3)
	buffer_store_dword v4, v0, s[0:3], 0 offen
.LBB126_416:
	v_mov_b32_e32 v0, 0
	global_load_dword v1, v0, s[12:13] offset:196
	s_waitcnt vmcnt(0)
	v_add_u32_e32 v1, -1, v1
	v_cmp_eq_u32_e32 vcc, 49, v1
	s_cbranch_vccnz .LBB126_418
; %bb.417:
	v_lshlrev_b32_e32 v1, 3, v1
	buffer_load_dword v2, v1, s[0:3], 0 offen
	buffer_load_dword v3, v1, s[0:3], 0 offen offset:4
	buffer_load_dword v4, off, s[0:3], 0 offset:392
	buffer_load_dword v5, off, s[0:3], 0 offset:396
	s_waitcnt vmcnt(3)
	buffer_store_dword v2, off, s[0:3], 0 offset:392
	s_waitcnt vmcnt(3)
	buffer_store_dword v3, off, s[0:3], 0 offset:396
	s_waitcnt vmcnt(3)
	buffer_store_dword v4, v1, s[0:3], 0 offen
	s_waitcnt vmcnt(3)
	buffer_store_dword v5, v1, s[0:3], 0 offen offset:4
.LBB126_418:
	global_load_dword v0, v0, s[12:13] offset:192
	s_waitcnt vmcnt(0)
	v_add_u32_e32 v0, -1, v0
	v_cmp_eq_u32_e32 vcc, 48, v0
	s_cbranch_vccnz .LBB126_420
; %bb.419:
	v_lshlrev_b32_e32 v0, 3, v0
	buffer_load_dword v1, v0, s[0:3], 0 offen
	buffer_load_dword v2, v0, s[0:3], 0 offen offset:4
	buffer_load_dword v3, off, s[0:3], 0 offset:388
	buffer_load_dword v4, off, s[0:3], 0 offset:384
	s_waitcnt vmcnt(3)
	buffer_store_dword v1, off, s[0:3], 0 offset:384
	s_waitcnt vmcnt(3)
	buffer_store_dword v2, off, s[0:3], 0 offset:388
	s_waitcnt vmcnt(3)
	buffer_store_dword v3, v0, s[0:3], 0 offen offset:4
	s_waitcnt vmcnt(3)
	buffer_store_dword v4, v0, s[0:3], 0 offen
.LBB126_420:
	v_mov_b32_e32 v0, 0
	global_load_dword v1, v0, s[12:13] offset:188
	s_waitcnt vmcnt(0)
	v_add_u32_e32 v1, -1, v1
	v_cmp_eq_u32_e32 vcc, 47, v1
	s_cbranch_vccnz .LBB126_422
; %bb.421:
	v_lshlrev_b32_e32 v1, 3, v1
	buffer_load_dword v2, v1, s[0:3], 0 offen
	buffer_load_dword v3, v1, s[0:3], 0 offen offset:4
	buffer_load_dword v4, off, s[0:3], 0 offset:376
	buffer_load_dword v5, off, s[0:3], 0 offset:380
	s_waitcnt vmcnt(3)
	buffer_store_dword v2, off, s[0:3], 0 offset:376
	s_waitcnt vmcnt(3)
	buffer_store_dword v3, off, s[0:3], 0 offset:380
	s_waitcnt vmcnt(3)
	buffer_store_dword v4, v1, s[0:3], 0 offen
	s_waitcnt vmcnt(3)
	buffer_store_dword v5, v1, s[0:3], 0 offen offset:4
.LBB126_422:
	global_load_dword v0, v0, s[12:13] offset:184
	s_waitcnt vmcnt(0)
	v_add_u32_e32 v0, -1, v0
	v_cmp_eq_u32_e32 vcc, 46, v0
	s_cbranch_vccnz .LBB126_424
; %bb.423:
	v_lshlrev_b32_e32 v0, 3, v0
	buffer_load_dword v1, v0, s[0:3], 0 offen
	buffer_load_dword v2, v0, s[0:3], 0 offen offset:4
	buffer_load_dword v3, off, s[0:3], 0 offset:372
	buffer_load_dword v4, off, s[0:3], 0 offset:368
	s_waitcnt vmcnt(3)
	buffer_store_dword v1, off, s[0:3], 0 offset:368
	s_waitcnt vmcnt(3)
	buffer_store_dword v2, off, s[0:3], 0 offset:372
	s_waitcnt vmcnt(3)
	buffer_store_dword v3, v0, s[0:3], 0 offen offset:4
	s_waitcnt vmcnt(3)
	buffer_store_dword v4, v0, s[0:3], 0 offen
.LBB126_424:
	v_mov_b32_e32 v0, 0
	global_load_dword v1, v0, s[12:13] offset:180
	s_waitcnt vmcnt(0)
	v_add_u32_e32 v1, -1, v1
	v_cmp_eq_u32_e32 vcc, 45, v1
	s_cbranch_vccnz .LBB126_426
; %bb.425:
	v_lshlrev_b32_e32 v1, 3, v1
	buffer_load_dword v2, v1, s[0:3], 0 offen
	buffer_load_dword v3, v1, s[0:3], 0 offen offset:4
	buffer_load_dword v4, off, s[0:3], 0 offset:360
	buffer_load_dword v5, off, s[0:3], 0 offset:364
	s_waitcnt vmcnt(3)
	buffer_store_dword v2, off, s[0:3], 0 offset:360
	s_waitcnt vmcnt(3)
	buffer_store_dword v3, off, s[0:3], 0 offset:364
	s_waitcnt vmcnt(3)
	buffer_store_dword v4, v1, s[0:3], 0 offen
	s_waitcnt vmcnt(3)
	buffer_store_dword v5, v1, s[0:3], 0 offen offset:4
.LBB126_426:
	global_load_dword v0, v0, s[12:13] offset:176
	s_waitcnt vmcnt(0)
	v_add_u32_e32 v0, -1, v0
	v_cmp_eq_u32_e32 vcc, 44, v0
	s_cbranch_vccnz .LBB126_428
; %bb.427:
	v_lshlrev_b32_e32 v0, 3, v0
	buffer_load_dword v1, v0, s[0:3], 0 offen
	buffer_load_dword v2, v0, s[0:3], 0 offen offset:4
	buffer_load_dword v3, off, s[0:3], 0 offset:356
	buffer_load_dword v4, off, s[0:3], 0 offset:352
	s_waitcnt vmcnt(3)
	buffer_store_dword v1, off, s[0:3], 0 offset:352
	s_waitcnt vmcnt(3)
	buffer_store_dword v2, off, s[0:3], 0 offset:356
	s_waitcnt vmcnt(3)
	buffer_store_dword v3, v0, s[0:3], 0 offen offset:4
	s_waitcnt vmcnt(3)
	buffer_store_dword v4, v0, s[0:3], 0 offen
.LBB126_428:
	v_mov_b32_e32 v0, 0
	global_load_dword v1, v0, s[12:13] offset:172
	s_waitcnt vmcnt(0)
	v_add_u32_e32 v1, -1, v1
	v_cmp_eq_u32_e32 vcc, 43, v1
	s_cbranch_vccnz .LBB126_430
; %bb.429:
	v_lshlrev_b32_e32 v1, 3, v1
	buffer_load_dword v2, v1, s[0:3], 0 offen
	buffer_load_dword v3, v1, s[0:3], 0 offen offset:4
	buffer_load_dword v4, off, s[0:3], 0 offset:344
	buffer_load_dword v5, off, s[0:3], 0 offset:348
	s_waitcnt vmcnt(3)
	buffer_store_dword v2, off, s[0:3], 0 offset:344
	s_waitcnt vmcnt(3)
	buffer_store_dword v3, off, s[0:3], 0 offset:348
	s_waitcnt vmcnt(3)
	buffer_store_dword v4, v1, s[0:3], 0 offen
	s_waitcnt vmcnt(3)
	buffer_store_dword v5, v1, s[0:3], 0 offen offset:4
.LBB126_430:
	global_load_dword v0, v0, s[12:13] offset:168
	s_waitcnt vmcnt(0)
	v_add_u32_e32 v0, -1, v0
	v_cmp_eq_u32_e32 vcc, 42, v0
	s_cbranch_vccnz .LBB126_432
; %bb.431:
	v_lshlrev_b32_e32 v0, 3, v0
	buffer_load_dword v1, v0, s[0:3], 0 offen
	buffer_load_dword v2, v0, s[0:3], 0 offen offset:4
	buffer_load_dword v3, off, s[0:3], 0 offset:340
	buffer_load_dword v4, off, s[0:3], 0 offset:336
	s_waitcnt vmcnt(3)
	buffer_store_dword v1, off, s[0:3], 0 offset:336
	s_waitcnt vmcnt(3)
	buffer_store_dword v2, off, s[0:3], 0 offset:340
	s_waitcnt vmcnt(3)
	buffer_store_dword v3, v0, s[0:3], 0 offen offset:4
	s_waitcnt vmcnt(3)
	buffer_store_dword v4, v0, s[0:3], 0 offen
.LBB126_432:
	v_mov_b32_e32 v0, 0
	global_load_dword v1, v0, s[12:13] offset:164
	s_waitcnt vmcnt(0)
	v_add_u32_e32 v1, -1, v1
	v_cmp_eq_u32_e32 vcc, 41, v1
	s_cbranch_vccnz .LBB126_434
; %bb.433:
	v_lshlrev_b32_e32 v1, 3, v1
	buffer_load_dword v2, v1, s[0:3], 0 offen
	buffer_load_dword v3, v1, s[0:3], 0 offen offset:4
	buffer_load_dword v4, off, s[0:3], 0 offset:328
	buffer_load_dword v5, off, s[0:3], 0 offset:332
	s_waitcnt vmcnt(3)
	buffer_store_dword v2, off, s[0:3], 0 offset:328
	s_waitcnt vmcnt(3)
	buffer_store_dword v3, off, s[0:3], 0 offset:332
	s_waitcnt vmcnt(3)
	buffer_store_dword v4, v1, s[0:3], 0 offen
	s_waitcnt vmcnt(3)
	buffer_store_dword v5, v1, s[0:3], 0 offen offset:4
.LBB126_434:
	global_load_dword v0, v0, s[12:13] offset:160
	s_waitcnt vmcnt(0)
	v_add_u32_e32 v0, -1, v0
	v_cmp_eq_u32_e32 vcc, 40, v0
	s_cbranch_vccnz .LBB126_436
; %bb.435:
	v_lshlrev_b32_e32 v0, 3, v0
	buffer_load_dword v1, v0, s[0:3], 0 offen
	buffer_load_dword v2, v0, s[0:3], 0 offen offset:4
	buffer_load_dword v3, off, s[0:3], 0 offset:324
	buffer_load_dword v4, off, s[0:3], 0 offset:320
	s_waitcnt vmcnt(3)
	buffer_store_dword v1, off, s[0:3], 0 offset:320
	s_waitcnt vmcnt(3)
	buffer_store_dword v2, off, s[0:3], 0 offset:324
	s_waitcnt vmcnt(3)
	buffer_store_dword v3, v0, s[0:3], 0 offen offset:4
	s_waitcnt vmcnt(3)
	buffer_store_dword v4, v0, s[0:3], 0 offen
.LBB126_436:
	v_mov_b32_e32 v0, 0
	global_load_dword v1, v0, s[12:13] offset:156
	s_waitcnt vmcnt(0)
	v_add_u32_e32 v1, -1, v1
	v_cmp_eq_u32_e32 vcc, 39, v1
	s_cbranch_vccnz .LBB126_438
; %bb.437:
	v_lshlrev_b32_e32 v1, 3, v1
	buffer_load_dword v2, v1, s[0:3], 0 offen
	buffer_load_dword v3, v1, s[0:3], 0 offen offset:4
	buffer_load_dword v4, off, s[0:3], 0 offset:312
	buffer_load_dword v5, off, s[0:3], 0 offset:316
	s_waitcnt vmcnt(3)
	buffer_store_dword v2, off, s[0:3], 0 offset:312
	s_waitcnt vmcnt(3)
	buffer_store_dword v3, off, s[0:3], 0 offset:316
	s_waitcnt vmcnt(3)
	buffer_store_dword v4, v1, s[0:3], 0 offen
	s_waitcnt vmcnt(3)
	buffer_store_dword v5, v1, s[0:3], 0 offen offset:4
.LBB126_438:
	global_load_dword v0, v0, s[12:13] offset:152
	s_waitcnt vmcnt(0)
	v_add_u32_e32 v0, -1, v0
	v_cmp_eq_u32_e32 vcc, 38, v0
	s_cbranch_vccnz .LBB126_440
; %bb.439:
	v_lshlrev_b32_e32 v0, 3, v0
	buffer_load_dword v1, v0, s[0:3], 0 offen
	buffer_load_dword v2, v0, s[0:3], 0 offen offset:4
	buffer_load_dword v3, off, s[0:3], 0 offset:308
	buffer_load_dword v4, off, s[0:3], 0 offset:304
	s_waitcnt vmcnt(3)
	buffer_store_dword v1, off, s[0:3], 0 offset:304
	s_waitcnt vmcnt(3)
	buffer_store_dword v2, off, s[0:3], 0 offset:308
	s_waitcnt vmcnt(3)
	buffer_store_dword v3, v0, s[0:3], 0 offen offset:4
	s_waitcnt vmcnt(3)
	buffer_store_dword v4, v0, s[0:3], 0 offen
.LBB126_440:
	v_mov_b32_e32 v0, 0
	global_load_dword v1, v0, s[12:13] offset:148
	s_waitcnt vmcnt(0)
	v_add_u32_e32 v1, -1, v1
	v_cmp_eq_u32_e32 vcc, 37, v1
	s_cbranch_vccnz .LBB126_442
; %bb.441:
	v_lshlrev_b32_e32 v1, 3, v1
	buffer_load_dword v2, v1, s[0:3], 0 offen
	buffer_load_dword v3, v1, s[0:3], 0 offen offset:4
	buffer_load_dword v4, off, s[0:3], 0 offset:296
	buffer_load_dword v5, off, s[0:3], 0 offset:300
	s_waitcnt vmcnt(3)
	buffer_store_dword v2, off, s[0:3], 0 offset:296
	s_waitcnt vmcnt(3)
	buffer_store_dword v3, off, s[0:3], 0 offset:300
	s_waitcnt vmcnt(3)
	buffer_store_dword v4, v1, s[0:3], 0 offen
	s_waitcnt vmcnt(3)
	buffer_store_dword v5, v1, s[0:3], 0 offen offset:4
.LBB126_442:
	global_load_dword v0, v0, s[12:13] offset:144
	s_waitcnt vmcnt(0)
	v_add_u32_e32 v0, -1, v0
	v_cmp_eq_u32_e32 vcc, 36, v0
	s_cbranch_vccnz .LBB126_444
; %bb.443:
	v_lshlrev_b32_e32 v0, 3, v0
	buffer_load_dword v1, v0, s[0:3], 0 offen
	buffer_load_dword v2, v0, s[0:3], 0 offen offset:4
	buffer_load_dword v3, off, s[0:3], 0 offset:292
	buffer_load_dword v4, off, s[0:3], 0 offset:288
	s_waitcnt vmcnt(3)
	buffer_store_dword v1, off, s[0:3], 0 offset:288
	s_waitcnt vmcnt(3)
	buffer_store_dword v2, off, s[0:3], 0 offset:292
	s_waitcnt vmcnt(3)
	buffer_store_dword v3, v0, s[0:3], 0 offen offset:4
	s_waitcnt vmcnt(3)
	buffer_store_dword v4, v0, s[0:3], 0 offen
.LBB126_444:
	v_mov_b32_e32 v0, 0
	global_load_dword v1, v0, s[12:13] offset:140
	s_waitcnt vmcnt(0)
	v_add_u32_e32 v1, -1, v1
	v_cmp_eq_u32_e32 vcc, 35, v1
	s_cbranch_vccnz .LBB126_446
; %bb.445:
	v_lshlrev_b32_e32 v1, 3, v1
	buffer_load_dword v2, v1, s[0:3], 0 offen
	buffer_load_dword v3, v1, s[0:3], 0 offen offset:4
	buffer_load_dword v4, off, s[0:3], 0 offset:280
	buffer_load_dword v5, off, s[0:3], 0 offset:284
	s_waitcnt vmcnt(3)
	buffer_store_dword v2, off, s[0:3], 0 offset:280
	s_waitcnt vmcnt(3)
	buffer_store_dword v3, off, s[0:3], 0 offset:284
	s_waitcnt vmcnt(3)
	buffer_store_dword v4, v1, s[0:3], 0 offen
	s_waitcnt vmcnt(3)
	buffer_store_dword v5, v1, s[0:3], 0 offen offset:4
.LBB126_446:
	global_load_dword v0, v0, s[12:13] offset:136
	s_waitcnt vmcnt(0)
	v_add_u32_e32 v0, -1, v0
	v_cmp_eq_u32_e32 vcc, 34, v0
	s_cbranch_vccnz .LBB126_448
; %bb.447:
	v_lshlrev_b32_e32 v0, 3, v0
	buffer_load_dword v1, v0, s[0:3], 0 offen
	buffer_load_dword v2, v0, s[0:3], 0 offen offset:4
	buffer_load_dword v3, off, s[0:3], 0 offset:276
	buffer_load_dword v4, off, s[0:3], 0 offset:272
	s_waitcnt vmcnt(3)
	buffer_store_dword v1, off, s[0:3], 0 offset:272
	s_waitcnt vmcnt(3)
	buffer_store_dword v2, off, s[0:3], 0 offset:276
	s_waitcnt vmcnt(3)
	buffer_store_dword v3, v0, s[0:3], 0 offen offset:4
	s_waitcnt vmcnt(3)
	buffer_store_dword v4, v0, s[0:3], 0 offen
.LBB126_448:
	v_mov_b32_e32 v0, 0
	global_load_dword v1, v0, s[12:13] offset:132
	s_waitcnt vmcnt(0)
	v_add_u32_e32 v1, -1, v1
	v_cmp_eq_u32_e32 vcc, 33, v1
	s_cbranch_vccnz .LBB126_450
; %bb.449:
	v_lshlrev_b32_e32 v1, 3, v1
	buffer_load_dword v2, v1, s[0:3], 0 offen
	buffer_load_dword v3, v1, s[0:3], 0 offen offset:4
	buffer_load_dword v4, off, s[0:3], 0 offset:264
	buffer_load_dword v5, off, s[0:3], 0 offset:268
	s_waitcnt vmcnt(3)
	buffer_store_dword v2, off, s[0:3], 0 offset:264
	s_waitcnt vmcnt(3)
	buffer_store_dword v3, off, s[0:3], 0 offset:268
	s_waitcnt vmcnt(3)
	buffer_store_dword v4, v1, s[0:3], 0 offen
	s_waitcnt vmcnt(3)
	buffer_store_dword v5, v1, s[0:3], 0 offen offset:4
.LBB126_450:
	global_load_dword v0, v0, s[12:13] offset:128
	s_waitcnt vmcnt(0)
	v_add_u32_e32 v0, -1, v0
	v_cmp_eq_u32_e32 vcc, 32, v0
	s_cbranch_vccnz .LBB126_452
; %bb.451:
	v_lshlrev_b32_e32 v0, 3, v0
	buffer_load_dword v1, v0, s[0:3], 0 offen
	buffer_load_dword v2, v0, s[0:3], 0 offen offset:4
	buffer_load_dword v3, off, s[0:3], 0 offset:260
	buffer_load_dword v4, off, s[0:3], 0 offset:256
	s_waitcnt vmcnt(3)
	buffer_store_dword v1, off, s[0:3], 0 offset:256
	s_waitcnt vmcnt(3)
	buffer_store_dword v2, off, s[0:3], 0 offset:260
	s_waitcnt vmcnt(3)
	buffer_store_dword v3, v0, s[0:3], 0 offen offset:4
	s_waitcnt vmcnt(3)
	buffer_store_dword v4, v0, s[0:3], 0 offen
.LBB126_452:
	v_mov_b32_e32 v0, 0
	global_load_dword v1, v0, s[12:13] offset:124
	s_waitcnt vmcnt(0)
	v_add_u32_e32 v1, -1, v1
	v_cmp_eq_u32_e32 vcc, 31, v1
	s_cbranch_vccnz .LBB126_454
; %bb.453:
	v_lshlrev_b32_e32 v1, 3, v1
	buffer_load_dword v2, v1, s[0:3], 0 offen
	buffer_load_dword v3, v1, s[0:3], 0 offen offset:4
	buffer_load_dword v4, off, s[0:3], 0 offset:248
	buffer_load_dword v5, off, s[0:3], 0 offset:252
	s_waitcnt vmcnt(3)
	buffer_store_dword v2, off, s[0:3], 0 offset:248
	s_waitcnt vmcnt(3)
	buffer_store_dword v3, off, s[0:3], 0 offset:252
	s_waitcnt vmcnt(3)
	buffer_store_dword v4, v1, s[0:3], 0 offen
	s_waitcnt vmcnt(3)
	buffer_store_dword v5, v1, s[0:3], 0 offen offset:4
.LBB126_454:
	global_load_dword v0, v0, s[12:13] offset:120
	s_waitcnt vmcnt(0)
	v_add_u32_e32 v0, -1, v0
	v_cmp_eq_u32_e32 vcc, 30, v0
	s_cbranch_vccnz .LBB126_456
; %bb.455:
	v_lshlrev_b32_e32 v0, 3, v0
	buffer_load_dword v1, v0, s[0:3], 0 offen
	buffer_load_dword v2, v0, s[0:3], 0 offen offset:4
	buffer_load_dword v3, off, s[0:3], 0 offset:244
	buffer_load_dword v4, off, s[0:3], 0 offset:240
	s_waitcnt vmcnt(3)
	buffer_store_dword v1, off, s[0:3], 0 offset:240
	s_waitcnt vmcnt(3)
	buffer_store_dword v2, off, s[0:3], 0 offset:244
	s_waitcnt vmcnt(3)
	buffer_store_dword v3, v0, s[0:3], 0 offen offset:4
	s_waitcnt vmcnt(3)
	buffer_store_dword v4, v0, s[0:3], 0 offen
.LBB126_456:
	v_mov_b32_e32 v0, 0
	global_load_dword v1, v0, s[12:13] offset:116
	s_waitcnt vmcnt(0)
	v_add_u32_e32 v1, -1, v1
	v_cmp_eq_u32_e32 vcc, 29, v1
	s_cbranch_vccnz .LBB126_458
; %bb.457:
	v_lshlrev_b32_e32 v1, 3, v1
	buffer_load_dword v2, v1, s[0:3], 0 offen
	buffer_load_dword v3, v1, s[0:3], 0 offen offset:4
	buffer_load_dword v4, off, s[0:3], 0 offset:232
	buffer_load_dword v5, off, s[0:3], 0 offset:236
	s_waitcnt vmcnt(3)
	buffer_store_dword v2, off, s[0:3], 0 offset:232
	s_waitcnt vmcnt(3)
	buffer_store_dword v3, off, s[0:3], 0 offset:236
	s_waitcnt vmcnt(3)
	buffer_store_dword v4, v1, s[0:3], 0 offen
	s_waitcnt vmcnt(3)
	buffer_store_dword v5, v1, s[0:3], 0 offen offset:4
.LBB126_458:
	global_load_dword v0, v0, s[12:13] offset:112
	s_waitcnt vmcnt(0)
	v_add_u32_e32 v0, -1, v0
	v_cmp_eq_u32_e32 vcc, 28, v0
	s_cbranch_vccnz .LBB126_460
; %bb.459:
	v_lshlrev_b32_e32 v0, 3, v0
	buffer_load_dword v1, v0, s[0:3], 0 offen
	buffer_load_dword v2, v0, s[0:3], 0 offen offset:4
	buffer_load_dword v3, off, s[0:3], 0 offset:228
	buffer_load_dword v4, off, s[0:3], 0 offset:224
	s_waitcnt vmcnt(3)
	buffer_store_dword v1, off, s[0:3], 0 offset:224
	s_waitcnt vmcnt(3)
	buffer_store_dword v2, off, s[0:3], 0 offset:228
	s_waitcnt vmcnt(3)
	buffer_store_dword v3, v0, s[0:3], 0 offen offset:4
	s_waitcnt vmcnt(3)
	buffer_store_dword v4, v0, s[0:3], 0 offen
.LBB126_460:
	v_mov_b32_e32 v0, 0
	global_load_dword v1, v0, s[12:13] offset:108
	s_waitcnt vmcnt(0)
	v_add_u32_e32 v1, -1, v1
	v_cmp_eq_u32_e32 vcc, 27, v1
	s_cbranch_vccnz .LBB126_462
; %bb.461:
	v_lshlrev_b32_e32 v1, 3, v1
	buffer_load_dword v2, v1, s[0:3], 0 offen
	buffer_load_dword v3, v1, s[0:3], 0 offen offset:4
	buffer_load_dword v4, off, s[0:3], 0 offset:216
	buffer_load_dword v5, off, s[0:3], 0 offset:220
	s_waitcnt vmcnt(3)
	buffer_store_dword v2, off, s[0:3], 0 offset:216
	s_waitcnt vmcnt(3)
	buffer_store_dword v3, off, s[0:3], 0 offset:220
	s_waitcnt vmcnt(3)
	buffer_store_dword v4, v1, s[0:3], 0 offen
	s_waitcnt vmcnt(3)
	buffer_store_dword v5, v1, s[0:3], 0 offen offset:4
.LBB126_462:
	global_load_dword v0, v0, s[12:13] offset:104
	s_waitcnt vmcnt(0)
	v_add_u32_e32 v0, -1, v0
	v_cmp_eq_u32_e32 vcc, 26, v0
	s_cbranch_vccnz .LBB126_464
; %bb.463:
	v_lshlrev_b32_e32 v0, 3, v0
	buffer_load_dword v1, v0, s[0:3], 0 offen
	buffer_load_dword v2, v0, s[0:3], 0 offen offset:4
	buffer_load_dword v3, off, s[0:3], 0 offset:212
	buffer_load_dword v4, off, s[0:3], 0 offset:208
	s_waitcnt vmcnt(3)
	buffer_store_dword v1, off, s[0:3], 0 offset:208
	s_waitcnt vmcnt(3)
	buffer_store_dword v2, off, s[0:3], 0 offset:212
	s_waitcnt vmcnt(3)
	buffer_store_dword v3, v0, s[0:3], 0 offen offset:4
	s_waitcnt vmcnt(3)
	buffer_store_dword v4, v0, s[0:3], 0 offen
.LBB126_464:
	v_mov_b32_e32 v0, 0
	global_load_dword v1, v0, s[12:13] offset:100
	s_waitcnt vmcnt(0)
	v_add_u32_e32 v1, -1, v1
	v_cmp_eq_u32_e32 vcc, 25, v1
	s_cbranch_vccnz .LBB126_466
; %bb.465:
	v_lshlrev_b32_e32 v1, 3, v1
	buffer_load_dword v2, v1, s[0:3], 0 offen
	buffer_load_dword v3, v1, s[0:3], 0 offen offset:4
	buffer_load_dword v4, off, s[0:3], 0 offset:200
	buffer_load_dword v5, off, s[0:3], 0 offset:204
	s_waitcnt vmcnt(3)
	buffer_store_dword v2, off, s[0:3], 0 offset:200
	s_waitcnt vmcnt(3)
	buffer_store_dword v3, off, s[0:3], 0 offset:204
	s_waitcnt vmcnt(3)
	buffer_store_dword v4, v1, s[0:3], 0 offen
	s_waitcnt vmcnt(3)
	buffer_store_dword v5, v1, s[0:3], 0 offen offset:4
.LBB126_466:
	global_load_dword v0, v0, s[12:13] offset:96
	s_waitcnt vmcnt(0)
	v_add_u32_e32 v0, -1, v0
	v_cmp_eq_u32_e32 vcc, 24, v0
	s_cbranch_vccnz .LBB126_468
; %bb.467:
	v_lshlrev_b32_e32 v0, 3, v0
	buffer_load_dword v1, v0, s[0:3], 0 offen
	buffer_load_dword v2, v0, s[0:3], 0 offen offset:4
	buffer_load_dword v3, off, s[0:3], 0 offset:196
	buffer_load_dword v4, off, s[0:3], 0 offset:192
	s_waitcnt vmcnt(3)
	buffer_store_dword v1, off, s[0:3], 0 offset:192
	s_waitcnt vmcnt(3)
	buffer_store_dword v2, off, s[0:3], 0 offset:196
	s_waitcnt vmcnt(3)
	buffer_store_dword v3, v0, s[0:3], 0 offen offset:4
	s_waitcnt vmcnt(3)
	buffer_store_dword v4, v0, s[0:3], 0 offen
.LBB126_468:
	v_mov_b32_e32 v0, 0
	global_load_dword v1, v0, s[12:13] offset:92
	s_waitcnt vmcnt(0)
	v_add_u32_e32 v1, -1, v1
	v_cmp_eq_u32_e32 vcc, 23, v1
	s_cbranch_vccnz .LBB126_470
; %bb.469:
	v_lshlrev_b32_e32 v1, 3, v1
	buffer_load_dword v2, v1, s[0:3], 0 offen
	buffer_load_dword v3, v1, s[0:3], 0 offen offset:4
	buffer_load_dword v4, off, s[0:3], 0 offset:184
	buffer_load_dword v5, off, s[0:3], 0 offset:188
	s_waitcnt vmcnt(3)
	buffer_store_dword v2, off, s[0:3], 0 offset:184
	s_waitcnt vmcnt(3)
	buffer_store_dword v3, off, s[0:3], 0 offset:188
	s_waitcnt vmcnt(3)
	buffer_store_dword v4, v1, s[0:3], 0 offen
	s_waitcnt vmcnt(3)
	buffer_store_dword v5, v1, s[0:3], 0 offen offset:4
.LBB126_470:
	global_load_dword v0, v0, s[12:13] offset:88
	s_waitcnt vmcnt(0)
	v_add_u32_e32 v0, -1, v0
	v_cmp_eq_u32_e32 vcc, 22, v0
	s_cbranch_vccnz .LBB126_472
; %bb.471:
	v_lshlrev_b32_e32 v0, 3, v0
	buffer_load_dword v1, v0, s[0:3], 0 offen
	buffer_load_dword v2, v0, s[0:3], 0 offen offset:4
	buffer_load_dword v3, off, s[0:3], 0 offset:180
	buffer_load_dword v4, off, s[0:3], 0 offset:176
	s_waitcnt vmcnt(3)
	buffer_store_dword v1, off, s[0:3], 0 offset:176
	s_waitcnt vmcnt(3)
	buffer_store_dword v2, off, s[0:3], 0 offset:180
	s_waitcnt vmcnt(3)
	buffer_store_dword v3, v0, s[0:3], 0 offen offset:4
	s_waitcnt vmcnt(3)
	buffer_store_dword v4, v0, s[0:3], 0 offen
.LBB126_472:
	v_mov_b32_e32 v0, 0
	global_load_dword v1, v0, s[12:13] offset:84
	s_waitcnt vmcnt(0)
	v_add_u32_e32 v1, -1, v1
	v_cmp_eq_u32_e32 vcc, 21, v1
	s_cbranch_vccnz .LBB126_474
; %bb.473:
	v_lshlrev_b32_e32 v1, 3, v1
	buffer_load_dword v2, v1, s[0:3], 0 offen
	buffer_load_dword v3, v1, s[0:3], 0 offen offset:4
	buffer_load_dword v4, off, s[0:3], 0 offset:168
	buffer_load_dword v5, off, s[0:3], 0 offset:172
	s_waitcnt vmcnt(3)
	buffer_store_dword v2, off, s[0:3], 0 offset:168
	s_waitcnt vmcnt(3)
	buffer_store_dword v3, off, s[0:3], 0 offset:172
	s_waitcnt vmcnt(3)
	buffer_store_dword v4, v1, s[0:3], 0 offen
	s_waitcnt vmcnt(3)
	buffer_store_dword v5, v1, s[0:3], 0 offen offset:4
.LBB126_474:
	global_load_dword v0, v0, s[12:13] offset:80
	s_waitcnt vmcnt(0)
	v_add_u32_e32 v0, -1, v0
	v_cmp_eq_u32_e32 vcc, 20, v0
	s_cbranch_vccnz .LBB126_476
; %bb.475:
	v_lshlrev_b32_e32 v0, 3, v0
	buffer_load_dword v1, v0, s[0:3], 0 offen
	buffer_load_dword v2, v0, s[0:3], 0 offen offset:4
	buffer_load_dword v3, off, s[0:3], 0 offset:164
	buffer_load_dword v4, off, s[0:3], 0 offset:160
	s_waitcnt vmcnt(3)
	buffer_store_dword v1, off, s[0:3], 0 offset:160
	s_waitcnt vmcnt(3)
	buffer_store_dword v2, off, s[0:3], 0 offset:164
	s_waitcnt vmcnt(3)
	buffer_store_dword v3, v0, s[0:3], 0 offen offset:4
	s_waitcnt vmcnt(3)
	buffer_store_dword v4, v0, s[0:3], 0 offen
.LBB126_476:
	v_mov_b32_e32 v0, 0
	global_load_dword v1, v0, s[12:13] offset:76
	s_waitcnt vmcnt(0)
	v_add_u32_e32 v1, -1, v1
	v_cmp_eq_u32_e32 vcc, 19, v1
	s_cbranch_vccnz .LBB126_478
; %bb.477:
	v_lshlrev_b32_e32 v1, 3, v1
	buffer_load_dword v2, v1, s[0:3], 0 offen
	buffer_load_dword v3, v1, s[0:3], 0 offen offset:4
	buffer_load_dword v4, off, s[0:3], 0 offset:152
	buffer_load_dword v5, off, s[0:3], 0 offset:156
	s_waitcnt vmcnt(3)
	buffer_store_dword v2, off, s[0:3], 0 offset:152
	s_waitcnt vmcnt(3)
	buffer_store_dword v3, off, s[0:3], 0 offset:156
	s_waitcnt vmcnt(3)
	buffer_store_dword v4, v1, s[0:3], 0 offen
	s_waitcnt vmcnt(3)
	buffer_store_dword v5, v1, s[0:3], 0 offen offset:4
.LBB126_478:
	global_load_dword v0, v0, s[12:13] offset:72
	s_waitcnt vmcnt(0)
	v_add_u32_e32 v0, -1, v0
	v_cmp_eq_u32_e32 vcc, 18, v0
	s_cbranch_vccnz .LBB126_480
; %bb.479:
	v_lshlrev_b32_e32 v0, 3, v0
	buffer_load_dword v1, v0, s[0:3], 0 offen
	buffer_load_dword v2, v0, s[0:3], 0 offen offset:4
	buffer_load_dword v3, off, s[0:3], 0 offset:148
	buffer_load_dword v4, off, s[0:3], 0 offset:144
	s_waitcnt vmcnt(3)
	buffer_store_dword v1, off, s[0:3], 0 offset:144
	s_waitcnt vmcnt(3)
	buffer_store_dword v2, off, s[0:3], 0 offset:148
	s_waitcnt vmcnt(3)
	buffer_store_dword v3, v0, s[0:3], 0 offen offset:4
	s_waitcnt vmcnt(3)
	buffer_store_dword v4, v0, s[0:3], 0 offen
.LBB126_480:
	v_mov_b32_e32 v0, 0
	global_load_dword v1, v0, s[12:13] offset:68
	s_waitcnt vmcnt(0)
	v_add_u32_e32 v1, -1, v1
	v_cmp_eq_u32_e32 vcc, 17, v1
	s_cbranch_vccnz .LBB126_482
; %bb.481:
	v_lshlrev_b32_e32 v1, 3, v1
	buffer_load_dword v2, v1, s[0:3], 0 offen
	buffer_load_dword v3, v1, s[0:3], 0 offen offset:4
	buffer_load_dword v4, off, s[0:3], 0 offset:136
	buffer_load_dword v5, off, s[0:3], 0 offset:140
	s_waitcnt vmcnt(3)
	buffer_store_dword v2, off, s[0:3], 0 offset:136
	s_waitcnt vmcnt(3)
	buffer_store_dword v3, off, s[0:3], 0 offset:140
	s_waitcnt vmcnt(3)
	buffer_store_dword v4, v1, s[0:3], 0 offen
	s_waitcnt vmcnt(3)
	buffer_store_dword v5, v1, s[0:3], 0 offen offset:4
.LBB126_482:
	global_load_dword v0, v0, s[12:13] offset:64
	s_waitcnt vmcnt(0)
	v_add_u32_e32 v0, -1, v0
	v_cmp_eq_u32_e32 vcc, 16, v0
	s_cbranch_vccnz .LBB126_484
; %bb.483:
	v_lshlrev_b32_e32 v0, 3, v0
	buffer_load_dword v1, v0, s[0:3], 0 offen
	buffer_load_dword v2, v0, s[0:3], 0 offen offset:4
	buffer_load_dword v3, off, s[0:3], 0 offset:132
	buffer_load_dword v4, off, s[0:3], 0 offset:128
	s_waitcnt vmcnt(3)
	buffer_store_dword v1, off, s[0:3], 0 offset:128
	s_waitcnt vmcnt(3)
	buffer_store_dword v2, off, s[0:3], 0 offset:132
	s_waitcnt vmcnt(3)
	buffer_store_dword v3, v0, s[0:3], 0 offen offset:4
	s_waitcnt vmcnt(3)
	buffer_store_dword v4, v0, s[0:3], 0 offen
.LBB126_484:
	v_mov_b32_e32 v0, 0
	global_load_dword v1, v0, s[12:13] offset:60
	s_waitcnt vmcnt(0)
	v_add_u32_e32 v1, -1, v1
	v_cmp_eq_u32_e32 vcc, 15, v1
	s_cbranch_vccnz .LBB126_486
; %bb.485:
	v_lshlrev_b32_e32 v1, 3, v1
	buffer_load_dword v2, v1, s[0:3], 0 offen
	buffer_load_dword v3, v1, s[0:3], 0 offen offset:4
	buffer_load_dword v4, off, s[0:3], 0 offset:120
	buffer_load_dword v5, off, s[0:3], 0 offset:124
	s_waitcnt vmcnt(3)
	buffer_store_dword v2, off, s[0:3], 0 offset:120
	s_waitcnt vmcnt(3)
	buffer_store_dword v3, off, s[0:3], 0 offset:124
	s_waitcnt vmcnt(3)
	buffer_store_dword v4, v1, s[0:3], 0 offen
	s_waitcnt vmcnt(3)
	buffer_store_dword v5, v1, s[0:3], 0 offen offset:4
.LBB126_486:
	global_load_dword v0, v0, s[12:13] offset:56
	s_waitcnt vmcnt(0)
	v_add_u32_e32 v0, -1, v0
	v_cmp_eq_u32_e32 vcc, 14, v0
	s_cbranch_vccnz .LBB126_488
; %bb.487:
	v_lshlrev_b32_e32 v0, 3, v0
	buffer_load_dword v1, v0, s[0:3], 0 offen
	buffer_load_dword v2, v0, s[0:3], 0 offen offset:4
	buffer_load_dword v3, off, s[0:3], 0 offset:116
	buffer_load_dword v4, off, s[0:3], 0 offset:112
	s_waitcnt vmcnt(3)
	buffer_store_dword v1, off, s[0:3], 0 offset:112
	s_waitcnt vmcnt(3)
	buffer_store_dword v2, off, s[0:3], 0 offset:116
	s_waitcnt vmcnt(3)
	buffer_store_dword v3, v0, s[0:3], 0 offen offset:4
	s_waitcnt vmcnt(3)
	buffer_store_dword v4, v0, s[0:3], 0 offen
.LBB126_488:
	v_mov_b32_e32 v0, 0
	global_load_dword v1, v0, s[12:13] offset:52
	s_waitcnt vmcnt(0)
	v_add_u32_e32 v1, -1, v1
	v_cmp_eq_u32_e32 vcc, 13, v1
	s_cbranch_vccnz .LBB126_490
; %bb.489:
	v_lshlrev_b32_e32 v1, 3, v1
	buffer_load_dword v2, v1, s[0:3], 0 offen
	buffer_load_dword v3, v1, s[0:3], 0 offen offset:4
	buffer_load_dword v4, off, s[0:3], 0 offset:104
	buffer_load_dword v5, off, s[0:3], 0 offset:108
	s_waitcnt vmcnt(3)
	buffer_store_dword v2, off, s[0:3], 0 offset:104
	s_waitcnt vmcnt(3)
	buffer_store_dword v3, off, s[0:3], 0 offset:108
	s_waitcnt vmcnt(3)
	buffer_store_dword v4, v1, s[0:3], 0 offen
	s_waitcnt vmcnt(3)
	buffer_store_dword v5, v1, s[0:3], 0 offen offset:4
.LBB126_490:
	global_load_dword v0, v0, s[12:13] offset:48
	s_waitcnt vmcnt(0)
	v_add_u32_e32 v0, -1, v0
	v_cmp_eq_u32_e32 vcc, 12, v0
	s_cbranch_vccnz .LBB126_492
; %bb.491:
	v_lshlrev_b32_e32 v0, 3, v0
	buffer_load_dword v1, v0, s[0:3], 0 offen
	buffer_load_dword v2, v0, s[0:3], 0 offen offset:4
	buffer_load_dword v3, off, s[0:3], 0 offset:100
	buffer_load_dword v4, off, s[0:3], 0 offset:96
	s_waitcnt vmcnt(3)
	buffer_store_dword v1, off, s[0:3], 0 offset:96
	s_waitcnt vmcnt(3)
	buffer_store_dword v2, off, s[0:3], 0 offset:100
	s_waitcnt vmcnt(3)
	buffer_store_dword v3, v0, s[0:3], 0 offen offset:4
	s_waitcnt vmcnt(3)
	buffer_store_dword v4, v0, s[0:3], 0 offen
.LBB126_492:
	v_mov_b32_e32 v0, 0
	global_load_dword v1, v0, s[12:13] offset:44
	s_waitcnt vmcnt(0)
	v_add_u32_e32 v1, -1, v1
	v_cmp_eq_u32_e32 vcc, 11, v1
	s_cbranch_vccnz .LBB126_494
; %bb.493:
	v_lshlrev_b32_e32 v1, 3, v1
	buffer_load_dword v2, v1, s[0:3], 0 offen
	buffer_load_dword v3, v1, s[0:3], 0 offen offset:4
	buffer_load_dword v4, off, s[0:3], 0 offset:88
	buffer_load_dword v5, off, s[0:3], 0 offset:92
	s_waitcnt vmcnt(3)
	buffer_store_dword v2, off, s[0:3], 0 offset:88
	s_waitcnt vmcnt(3)
	buffer_store_dword v3, off, s[0:3], 0 offset:92
	s_waitcnt vmcnt(3)
	buffer_store_dword v4, v1, s[0:3], 0 offen
	s_waitcnt vmcnt(3)
	buffer_store_dword v5, v1, s[0:3], 0 offen offset:4
.LBB126_494:
	global_load_dword v0, v0, s[12:13] offset:40
	s_waitcnt vmcnt(0)
	v_add_u32_e32 v0, -1, v0
	v_cmp_eq_u32_e32 vcc, 10, v0
	s_cbranch_vccnz .LBB126_496
; %bb.495:
	v_lshlrev_b32_e32 v0, 3, v0
	buffer_load_dword v1, v0, s[0:3], 0 offen
	buffer_load_dword v2, v0, s[0:3], 0 offen offset:4
	buffer_load_dword v3, off, s[0:3], 0 offset:84
	buffer_load_dword v4, off, s[0:3], 0 offset:80
	s_waitcnt vmcnt(3)
	buffer_store_dword v1, off, s[0:3], 0 offset:80
	s_waitcnt vmcnt(3)
	buffer_store_dword v2, off, s[0:3], 0 offset:84
	s_waitcnt vmcnt(3)
	buffer_store_dword v3, v0, s[0:3], 0 offen offset:4
	s_waitcnt vmcnt(3)
	buffer_store_dword v4, v0, s[0:3], 0 offen
.LBB126_496:
	v_mov_b32_e32 v0, 0
	global_load_dword v1, v0, s[12:13] offset:36
	s_waitcnt vmcnt(0)
	v_add_u32_e32 v1, -1, v1
	v_cmp_eq_u32_e32 vcc, 9, v1
	s_cbranch_vccnz .LBB126_498
; %bb.497:
	v_lshlrev_b32_e32 v1, 3, v1
	buffer_load_dword v2, v1, s[0:3], 0 offen
	buffer_load_dword v3, v1, s[0:3], 0 offen offset:4
	buffer_load_dword v4, off, s[0:3], 0 offset:72
	buffer_load_dword v5, off, s[0:3], 0 offset:76
	s_waitcnt vmcnt(3)
	buffer_store_dword v2, off, s[0:3], 0 offset:72
	s_waitcnt vmcnt(3)
	buffer_store_dword v3, off, s[0:3], 0 offset:76
	s_waitcnt vmcnt(3)
	buffer_store_dword v4, v1, s[0:3], 0 offen
	s_waitcnt vmcnt(3)
	buffer_store_dword v5, v1, s[0:3], 0 offen offset:4
.LBB126_498:
	global_load_dword v0, v0, s[12:13] offset:32
	s_waitcnt vmcnt(0)
	v_add_u32_e32 v0, -1, v0
	v_cmp_eq_u32_e32 vcc, 8, v0
	s_cbranch_vccnz .LBB126_500
; %bb.499:
	v_lshlrev_b32_e32 v0, 3, v0
	buffer_load_dword v1, v0, s[0:3], 0 offen
	buffer_load_dword v2, v0, s[0:3], 0 offen offset:4
	buffer_load_dword v3, off, s[0:3], 0 offset:68
	buffer_load_dword v4, off, s[0:3], 0 offset:64
	s_waitcnt vmcnt(3)
	buffer_store_dword v1, off, s[0:3], 0 offset:64
	s_waitcnt vmcnt(3)
	buffer_store_dword v2, off, s[0:3], 0 offset:68
	s_waitcnt vmcnt(3)
	buffer_store_dword v3, v0, s[0:3], 0 offen offset:4
	s_waitcnt vmcnt(3)
	buffer_store_dword v4, v0, s[0:3], 0 offen
.LBB126_500:
	v_mov_b32_e32 v0, 0
	global_load_dword v1, v0, s[12:13] offset:28
	s_waitcnt vmcnt(0)
	v_add_u32_e32 v1, -1, v1
	v_cmp_eq_u32_e32 vcc, 7, v1
	s_cbranch_vccnz .LBB126_502
; %bb.501:
	v_lshlrev_b32_e32 v1, 3, v1
	buffer_load_dword v2, v1, s[0:3], 0 offen
	buffer_load_dword v3, v1, s[0:3], 0 offen offset:4
	buffer_load_dword v4, off, s[0:3], 0 offset:56
	buffer_load_dword v5, off, s[0:3], 0 offset:60
	s_waitcnt vmcnt(3)
	buffer_store_dword v2, off, s[0:3], 0 offset:56
	s_waitcnt vmcnt(3)
	buffer_store_dword v3, off, s[0:3], 0 offset:60
	s_waitcnt vmcnt(3)
	buffer_store_dword v4, v1, s[0:3], 0 offen
	s_waitcnt vmcnt(3)
	buffer_store_dword v5, v1, s[0:3], 0 offen offset:4
.LBB126_502:
	global_load_dword v0, v0, s[12:13] offset:24
	s_waitcnt vmcnt(0)
	v_add_u32_e32 v0, -1, v0
	v_cmp_eq_u32_e32 vcc, 6, v0
	s_cbranch_vccnz .LBB126_504
; %bb.503:
	v_lshlrev_b32_e32 v0, 3, v0
	buffer_load_dword v1, v0, s[0:3], 0 offen
	buffer_load_dword v2, v0, s[0:3], 0 offen offset:4
	buffer_load_dword v3, off, s[0:3], 0 offset:52
	buffer_load_dword v4, off, s[0:3], 0 offset:48
	s_waitcnt vmcnt(3)
	buffer_store_dword v1, off, s[0:3], 0 offset:48
	s_waitcnt vmcnt(3)
	buffer_store_dword v2, off, s[0:3], 0 offset:52
	s_waitcnt vmcnt(3)
	buffer_store_dword v3, v0, s[0:3], 0 offen offset:4
	s_waitcnt vmcnt(3)
	buffer_store_dword v4, v0, s[0:3], 0 offen
.LBB126_504:
	v_mov_b32_e32 v0, 0
	global_load_dword v1, v0, s[12:13] offset:20
	s_waitcnt vmcnt(0)
	v_add_u32_e32 v1, -1, v1
	v_cmp_eq_u32_e32 vcc, 5, v1
	s_cbranch_vccnz .LBB126_506
; %bb.505:
	v_lshlrev_b32_e32 v1, 3, v1
	buffer_load_dword v2, v1, s[0:3], 0 offen
	buffer_load_dword v3, v1, s[0:3], 0 offen offset:4
	buffer_load_dword v4, off, s[0:3], 0 offset:40
	buffer_load_dword v5, off, s[0:3], 0 offset:44
	s_waitcnt vmcnt(3)
	buffer_store_dword v2, off, s[0:3], 0 offset:40
	s_waitcnt vmcnt(3)
	buffer_store_dword v3, off, s[0:3], 0 offset:44
	s_waitcnt vmcnt(3)
	buffer_store_dword v4, v1, s[0:3], 0 offen
	s_waitcnt vmcnt(3)
	buffer_store_dword v5, v1, s[0:3], 0 offen offset:4
.LBB126_506:
	global_load_dword v0, v0, s[12:13] offset:16
	s_waitcnt vmcnt(0)
	v_add_u32_e32 v0, -1, v0
	v_cmp_eq_u32_e32 vcc, 4, v0
	s_cbranch_vccnz .LBB126_508
; %bb.507:
	v_lshlrev_b32_e32 v0, 3, v0
	buffer_load_dword v1, v0, s[0:3], 0 offen
	buffer_load_dword v2, v0, s[0:3], 0 offen offset:4
	buffer_load_dword v3, off, s[0:3], 0 offset:36
	buffer_load_dword v4, off, s[0:3], 0 offset:32
	s_waitcnt vmcnt(3)
	buffer_store_dword v1, off, s[0:3], 0 offset:32
	s_waitcnt vmcnt(3)
	buffer_store_dword v2, off, s[0:3], 0 offset:36
	s_waitcnt vmcnt(3)
	buffer_store_dword v3, v0, s[0:3], 0 offen offset:4
	s_waitcnt vmcnt(3)
	buffer_store_dword v4, v0, s[0:3], 0 offen
.LBB126_508:
	v_mov_b32_e32 v0, 0
	global_load_dword v1, v0, s[12:13] offset:12
	s_waitcnt vmcnt(0)
	v_add_u32_e32 v1, -1, v1
	v_cmp_eq_u32_e32 vcc, 3, v1
	s_cbranch_vccnz .LBB126_510
; %bb.509:
	v_lshlrev_b32_e32 v1, 3, v1
	buffer_load_dword v2, v1, s[0:3], 0 offen
	buffer_load_dword v3, v1, s[0:3], 0 offen offset:4
	buffer_load_dword v4, off, s[0:3], 0 offset:24
	buffer_load_dword v5, off, s[0:3], 0 offset:28
	s_waitcnt vmcnt(3)
	buffer_store_dword v2, off, s[0:3], 0 offset:24
	s_waitcnt vmcnt(3)
	buffer_store_dword v3, off, s[0:3], 0 offset:28
	s_waitcnt vmcnt(3)
	buffer_store_dword v4, v1, s[0:3], 0 offen
	s_waitcnt vmcnt(3)
	buffer_store_dword v5, v1, s[0:3], 0 offen offset:4
.LBB126_510:
	global_load_dword v0, v0, s[12:13] offset:8
	s_waitcnt vmcnt(0)
	v_add_u32_e32 v0, -1, v0
	v_cmp_eq_u32_e32 vcc, 2, v0
	s_cbranch_vccnz .LBB126_512
; %bb.511:
	v_lshlrev_b32_e32 v0, 3, v0
	buffer_load_dword v1, v0, s[0:3], 0 offen
	buffer_load_dword v2, v0, s[0:3], 0 offen offset:4
	buffer_load_dword v3, off, s[0:3], 0 offset:20
	buffer_load_dword v4, off, s[0:3], 0 offset:16
	s_waitcnt vmcnt(3)
	buffer_store_dword v1, off, s[0:3], 0 offset:16
	s_waitcnt vmcnt(3)
	buffer_store_dword v2, off, s[0:3], 0 offset:20
	s_waitcnt vmcnt(3)
	buffer_store_dword v3, v0, s[0:3], 0 offen offset:4
	s_waitcnt vmcnt(3)
	buffer_store_dword v4, v0, s[0:3], 0 offen
.LBB126_512:
	v_mov_b32_e32 v0, 0
	global_load_dword v1, v0, s[12:13] offset:4
	s_waitcnt vmcnt(0)
	v_add_u32_e32 v1, -1, v1
	v_cmp_eq_u32_e32 vcc, 1, v1
	s_cbranch_vccnz .LBB126_514
; %bb.513:
	v_lshlrev_b32_e32 v1, 3, v1
	buffer_load_dword v2, v1, s[0:3], 0 offen
	buffer_load_dword v3, v1, s[0:3], 0 offen offset:4
	buffer_load_dword v4, off, s[0:3], 0 offset:8
	buffer_load_dword v5, off, s[0:3], 0 offset:12
	s_waitcnt vmcnt(3)
	buffer_store_dword v2, off, s[0:3], 0 offset:8
	s_waitcnt vmcnt(3)
	buffer_store_dword v3, off, s[0:3], 0 offset:12
	s_waitcnt vmcnt(3)
	buffer_store_dword v4, v1, s[0:3], 0 offen
	s_waitcnt vmcnt(3)
	buffer_store_dword v5, v1, s[0:3], 0 offen offset:4
.LBB126_514:
	global_load_dword v0, v0, s[12:13]
	s_waitcnt vmcnt(0)
	v_add_u32_e32 v0, -1, v0
	v_cmp_eq_u32_e32 vcc, 0, v0
	s_cbranch_vccnz .LBB126_516
; %bb.515:
	v_lshlrev_b32_e32 v0, 3, v0
	buffer_load_dword v1, v0, s[0:3], 0 offen
	buffer_load_dword v2, v0, s[0:3], 0 offen offset:4
	buffer_load_dword v3, off, s[0:3], 0 offset:4
	buffer_load_dword v4, off, s[0:3], 0
	s_waitcnt vmcnt(3)
	buffer_store_dword v1, off, s[0:3], 0
	s_waitcnt vmcnt(3)
	buffer_store_dword v2, off, s[0:3], 0 offset:4
	s_waitcnt vmcnt(3)
	buffer_store_dword v3, v0, s[0:3], 0 offen offset:4
	s_waitcnt vmcnt(3)
	buffer_store_dword v4, v0, s[0:3], 0 offen
.LBB126_516:
	buffer_load_dword v0, off, s[0:3], 0
	s_nop 0
	buffer_load_dword v1, off, s[0:3], 0 offset:4
	s_waitcnt vmcnt(0)
	flat_store_dwordx2 v[120:121], v[0:1]
	buffer_load_dword v0, off, s[0:3], 0 offset:8
	s_nop 0
	buffer_load_dword v1, off, s[0:3], 0 offset:12
	buffer_load_dword v2, off, s[0:3], 0 offset:504 ; 4-byte Folded Reload
	buffer_load_dword v3, off, s[0:3], 0 offset:508 ; 4-byte Folded Reload
	s_waitcnt vmcnt(0)
	flat_store_dwordx2 v[2:3], v[0:1]
	buffer_load_dword v0, off, s[0:3], 0 offset:16
	s_nop 0
	buffer_load_dword v1, off, s[0:3], 0 offset:20
	buffer_load_dword v2, off, s[0:3], 0 offset:512 ; 4-byte Folded Reload
	buffer_load_dword v3, off, s[0:3], 0 offset:516 ; 4-byte Folded Reload
	;; [unrolled: 7-line block ×58, first 2 shown]
	s_waitcnt vmcnt(0)
	flat_store_dwordx2 v[2:3], v[0:1]
	buffer_load_dword v0, off, s[0:3], 0 offset:472
	s_nop 0
	buffer_load_dword v1, off, s[0:3], 0 offset:476
	s_waitcnt vmcnt(0)
	flat_store_dwordx2 v[238:239], v[0:1]
	buffer_load_dword v0, off, s[0:3], 0 offset:480
	s_nop 0
	buffer_load_dword v1, off, s[0:3], 0 offset:484
	;; [unrolled: 5-line block ×4, first 2 shown]
	s_waitcnt vmcnt(0)
	flat_store_dwordx2 v[244:245], v[0:1]
	s_endpgm
	.section	.rodata,"a",@progbits
	.p2align	6, 0x0
	.amdhsa_kernel _ZN9rocsolver6v33100L18getri_kernel_smallILi63E19rocblas_complex_numIfEPKPS3_EEvT1_iilPiilS8_bb
		.amdhsa_group_segment_fixed_size 1016
		.amdhsa_private_segment_fixed_size 976
		.amdhsa_kernarg_size 60
		.amdhsa_user_sgpr_count 6
		.amdhsa_user_sgpr_private_segment_buffer 1
		.amdhsa_user_sgpr_dispatch_ptr 0
		.amdhsa_user_sgpr_queue_ptr 0
		.amdhsa_user_sgpr_kernarg_segment_ptr 1
		.amdhsa_user_sgpr_dispatch_id 0
		.amdhsa_user_sgpr_flat_scratch_init 0
		.amdhsa_user_sgpr_private_segment_size 0
		.amdhsa_uses_dynamic_stack 0
		.amdhsa_system_sgpr_private_segment_wavefront_offset 1
		.amdhsa_system_sgpr_workgroup_id_x 1
		.amdhsa_system_sgpr_workgroup_id_y 0
		.amdhsa_system_sgpr_workgroup_id_z 0
		.amdhsa_system_sgpr_workgroup_info 0
		.amdhsa_system_vgpr_workitem_id 0
		.amdhsa_next_free_vgpr 256
		.amdhsa_next_free_sgpr 21
		.amdhsa_reserve_vcc 1
		.amdhsa_reserve_flat_scratch 0
		.amdhsa_float_round_mode_32 0
		.amdhsa_float_round_mode_16_64 0
		.amdhsa_float_denorm_mode_32 3
		.amdhsa_float_denorm_mode_16_64 3
		.amdhsa_dx10_clamp 1
		.amdhsa_ieee_mode 1
		.amdhsa_fp16_overflow 0
		.amdhsa_exception_fp_ieee_invalid_op 0
		.amdhsa_exception_fp_denorm_src 0
		.amdhsa_exception_fp_ieee_div_zero 0
		.amdhsa_exception_fp_ieee_overflow 0
		.amdhsa_exception_fp_ieee_underflow 0
		.amdhsa_exception_fp_ieee_inexact 0
		.amdhsa_exception_int_div_zero 0
	.end_amdhsa_kernel
	.section	.text._ZN9rocsolver6v33100L18getri_kernel_smallILi63E19rocblas_complex_numIfEPKPS3_EEvT1_iilPiilS8_bb,"axG",@progbits,_ZN9rocsolver6v33100L18getri_kernel_smallILi63E19rocblas_complex_numIfEPKPS3_EEvT1_iilPiilS8_bb,comdat
.Lfunc_end126:
	.size	_ZN9rocsolver6v33100L18getri_kernel_smallILi63E19rocblas_complex_numIfEPKPS3_EEvT1_iilPiilS8_bb, .Lfunc_end126-_ZN9rocsolver6v33100L18getri_kernel_smallILi63E19rocblas_complex_numIfEPKPS3_EEvT1_iilPiilS8_bb
                                        ; -- End function
	.set _ZN9rocsolver6v33100L18getri_kernel_smallILi63E19rocblas_complex_numIfEPKPS3_EEvT1_iilPiilS8_bb.num_vgpr, 256
	.set _ZN9rocsolver6v33100L18getri_kernel_smallILi63E19rocblas_complex_numIfEPKPS3_EEvT1_iilPiilS8_bb.num_agpr, 0
	.set _ZN9rocsolver6v33100L18getri_kernel_smallILi63E19rocblas_complex_numIfEPKPS3_EEvT1_iilPiilS8_bb.numbered_sgpr, 21
	.set _ZN9rocsolver6v33100L18getri_kernel_smallILi63E19rocblas_complex_numIfEPKPS3_EEvT1_iilPiilS8_bb.num_named_barrier, 0
	.set _ZN9rocsolver6v33100L18getri_kernel_smallILi63E19rocblas_complex_numIfEPKPS3_EEvT1_iilPiilS8_bb.private_seg_size, 976
	.set _ZN9rocsolver6v33100L18getri_kernel_smallILi63E19rocblas_complex_numIfEPKPS3_EEvT1_iilPiilS8_bb.uses_vcc, 1
	.set _ZN9rocsolver6v33100L18getri_kernel_smallILi63E19rocblas_complex_numIfEPKPS3_EEvT1_iilPiilS8_bb.uses_flat_scratch, 0
	.set _ZN9rocsolver6v33100L18getri_kernel_smallILi63E19rocblas_complex_numIfEPKPS3_EEvT1_iilPiilS8_bb.has_dyn_sized_stack, 0
	.set _ZN9rocsolver6v33100L18getri_kernel_smallILi63E19rocblas_complex_numIfEPKPS3_EEvT1_iilPiilS8_bb.has_recursion, 0
	.set _ZN9rocsolver6v33100L18getri_kernel_smallILi63E19rocblas_complex_numIfEPKPS3_EEvT1_iilPiilS8_bb.has_indirect_call, 0
	.section	.AMDGPU.csdata,"",@progbits
; Kernel info:
; codeLenInByte = 140088
; TotalNumSgprs: 25
; NumVgprs: 256
; ScratchSize: 976
; MemoryBound: 0
; FloatMode: 240
; IeeeMode: 1
; LDSByteSize: 1016 bytes/workgroup (compile time only)
; SGPRBlocks: 3
; VGPRBlocks: 63
; NumSGPRsForWavesPerEU: 25
; NumVGPRsForWavesPerEU: 256
; Occupancy: 1
; WaveLimiterHint : 1
; COMPUTE_PGM_RSRC2:SCRATCH_EN: 1
; COMPUTE_PGM_RSRC2:USER_SGPR: 6
; COMPUTE_PGM_RSRC2:TRAP_HANDLER: 0
; COMPUTE_PGM_RSRC2:TGID_X_EN: 1
; COMPUTE_PGM_RSRC2:TGID_Y_EN: 0
; COMPUTE_PGM_RSRC2:TGID_Z_EN: 0
; COMPUTE_PGM_RSRC2:TIDIG_COMP_CNT: 0
	.section	.text._ZN9rocsolver6v33100L18getri_kernel_smallILi64E19rocblas_complex_numIfEPKPS3_EEvT1_iilPiilS8_bb,"axG",@progbits,_ZN9rocsolver6v33100L18getri_kernel_smallILi64E19rocblas_complex_numIfEPKPS3_EEvT1_iilPiilS8_bb,comdat
	.globl	_ZN9rocsolver6v33100L18getri_kernel_smallILi64E19rocblas_complex_numIfEPKPS3_EEvT1_iilPiilS8_bb ; -- Begin function _ZN9rocsolver6v33100L18getri_kernel_smallILi64E19rocblas_complex_numIfEPKPS3_EEvT1_iilPiilS8_bb
	.p2align	8
	.type	_ZN9rocsolver6v33100L18getri_kernel_smallILi64E19rocblas_complex_numIfEPKPS3_EEvT1_iilPiilS8_bb,@function
_ZN9rocsolver6v33100L18getri_kernel_smallILi64E19rocblas_complex_numIfEPKPS3_EEvT1_iilPiilS8_bb: ; @_ZN9rocsolver6v33100L18getri_kernel_smallILi64E19rocblas_complex_numIfEPKPS3_EEvT1_iilPiilS8_bb
; %bb.0:
	s_add_u32 s0, s0, s7
	s_addc_u32 s1, s1, 0
	v_cmp_gt_u32_e32 vcc, 64, v0
	s_and_saveexec_b64 s[8:9], vcc
	s_cbranch_execz .LBB127_270
; %bb.1:
	s_load_dword s18, s[4:5], 0x38
	s_load_dwordx2 s[12:13], s[4:5], 0x0
	s_load_dwordx4 s[8:11], s[4:5], 0x28
	s_waitcnt lgkmcnt(0)
	s_bitcmp1_b32 s18, 8
	s_cselect_b64 s[14:15], -1, 0
	s_ashr_i32 s7, s6, 31
	s_lshl_b64 s[16:17], s[6:7], 3
	s_add_u32 s12, s12, s16
	s_addc_u32 s13, s13, s17
	s_load_dwordx2 s[16:17], s[12:13], 0x0
	s_bfe_u32 s12, s18, 0x10008
	s_cmp_eq_u32 s12, 0
                                        ; implicit-def: $sgpr12_sgpr13
	s_cbranch_scc1 .LBB127_3
; %bb.2:
	s_load_dword s12, s[4:5], 0x20
	s_load_dwordx2 s[18:19], s[4:5], 0x18
	s_mul_i32 s13, s8, s7
	s_mul_hi_u32 s20, s8, s6
	s_add_i32 s20, s20, s13
	s_mul_i32 s9, s9, s6
	s_add_i32 s9, s20, s9
	s_mul_i32 s8, s8, s6
	s_waitcnt lgkmcnt(0)
	s_ashr_i32 s13, s12, 31
	s_lshl_b64 s[8:9], s[8:9], 2
	s_add_u32 s18, s18, s8
	s_addc_u32 s19, s19, s9
	s_lshl_b64 s[8:9], s[12:13], 2
	s_add_u32 s12, s18, s8
	s_addc_u32 s13, s19, s9
.LBB127_3:
	s_load_dwordx2 s[8:9], s[4:5], 0x8
	v_lshlrev_b32_e32 v3, 3, v0
	s_load_dword s4, s[4:5], 0x38
	s_waitcnt lgkmcnt(0)
	s_ashr_i32 s19, s8, 31
	s_mov_b32 s18, s8
	s_lshl_b64 s[18:19], s[18:19], 3
	s_add_u32 s5, s16, s18
	s_addc_u32 s8, s17, s19
	v_mov_b32_e32 v1, s8
	v_add_co_u32_e32 v121, vcc, s5, v3
	v_addc_co_u32_e32 v122, vcc, 0, v1, vcc
	flat_load_dwordx2 v[1:2], v[121:122]
	s_mov_b32 s16, s9
	s_ashr_i32 s17, s9, 31
	s_lshl_b64 s[16:17], s[16:17], 3
	v_mov_b32_e32 v4, s17
	v_add_co_u32_e32 v5, vcc, s16, v121
	v_addc_co_u32_e32 v6, vcc, v122, v4, vcc
	s_add_i32 s16, s9, s9
	v_add_u32_e32 v4, s16, v0
	v_mov_b32_e32 v7, s8
	s_bitcmp0_b32 s4, 0
	s_waitcnt vmcnt(0) lgkmcnt(0)
	buffer_store_dword v2, off, s[0:3], 0 offset:4
	buffer_store_dword v1, off, s[0:3], 0
	buffer_store_dword v5, off, s[0:3], 0 offset:512 ; 4-byte Folded Spill
	s_nop 0
	buffer_store_dword v6, off, s[0:3], 0 offset:516 ; 4-byte Folded Spill
	flat_load_dwordx2 v[1:2], v[5:6]
	v_ashrrev_i32_e32 v5, 31, v4
	v_lshlrev_b64 v[5:6], 3, v[4:5]
	v_add_u32_e32 v4, s9, v4
	v_add_co_u32_e32 v5, vcc, s5, v5
	v_addc_co_u32_e32 v6, vcc, v7, v6, vcc
	s_waitcnt vmcnt(0) lgkmcnt(0)
	buffer_store_dword v2, off, s[0:3], 0 offset:12
	buffer_store_dword v1, off, s[0:3], 0 offset:8
	buffer_store_dword v5, off, s[0:3], 0 offset:520 ; 4-byte Folded Spill
	s_nop 0
	buffer_store_dword v6, off, s[0:3], 0 offset:524 ; 4-byte Folded Spill
	flat_load_dwordx2 v[1:2], v[5:6]
	v_ashrrev_i32_e32 v5, 31, v4
	v_lshlrev_b64 v[5:6], 3, v[4:5]
	v_add_u32_e32 v4, s9, v4
	v_add_co_u32_e32 v5, vcc, s5, v5
	v_addc_co_u32_e32 v6, vcc, v7, v6, vcc
	s_waitcnt vmcnt(0) lgkmcnt(0)
	buffer_store_dword v2, off, s[0:3], 0 offset:20
	buffer_store_dword v1, off, s[0:3], 0 offset:16
	;; [unrolled: 12-line block ×59, first 2 shown]
	buffer_store_dword v5, off, s[0:3], 0 offset:984 ; 4-byte Folded Spill
	s_nop 0
	buffer_store_dword v6, off, s[0:3], 0 offset:988 ; 4-byte Folded Spill
	flat_load_dwordx2 v[1:2], v[5:6]
	v_ashrrev_i32_e32 v5, 31, v4
	v_lshlrev_b64 v[5:6], 3, v[4:5]
	v_add_u32_e32 v4, s9, v4
	v_add_co_u32_e32 v243, vcc, s5, v5
	v_addc_co_u32_e32 v244, vcc, v7, v6, vcc
	v_ashrrev_i32_e32 v5, 31, v4
	v_lshlrev_b64 v[5:6], 3, v[4:5]
	v_add_u32_e32 v4, s9, v4
	v_add_co_u32_e32 v245, vcc, s5, v5
	v_addc_co_u32_e32 v246, vcc, v7, v6, vcc
	v_ashrrev_i32_e32 v5, 31, v4
	v_lshlrev_b64 v[4:5], 3, v[4:5]
	v_mov_b32_e32 v6, s8
	v_add_co_u32_e32 v247, vcc, s5, v4
	v_addc_co_u32_e32 v248, vcc, v6, v5, vcc
	s_mov_b64 s[8:9], -1
	s_waitcnt vmcnt(0) lgkmcnt(0)
	buffer_store_dword v2, off, s[0:3], 0 offset:484
	buffer_store_dword v1, off, s[0:3], 0 offset:480
	flat_load_dwordx2 v[1:2], v[243:244]
	s_waitcnt vmcnt(0) lgkmcnt(0)
	buffer_store_dword v2, off, s[0:3], 0 offset:492
	buffer_store_dword v1, off, s[0:3], 0 offset:488
	flat_load_dwordx2 v[1:2], v[245:246]
	;; [unrolled: 4-line block ×3, first 2 shown]
	s_waitcnt vmcnt(0) lgkmcnt(0)
	buffer_store_dword v2, off, s[0:3], 0 offset:508
	buffer_store_dword v1, off, s[0:3], 0 offset:504
	s_cbranch_scc1 .LBB127_268
; %bb.4:
	v_cmp_eq_u32_e64 s[4:5], 0, v0
	s_and_saveexec_b64 s[8:9], s[4:5]
; %bb.5:
	v_mov_b32_e32 v1, 0
	ds_write_b32 v1, v1 offset:1024
; %bb.6:
	s_or_b64 exec, exec, s[8:9]
	v_mov_b32_e32 v1, 0
	v_lshl_add_u32 v5, v0, 3, v1
	s_waitcnt lgkmcnt(0)
	; wave barrier
	buffer_load_dword v1, v5, s[0:3], 0 offen
	buffer_load_dword v2, v5, s[0:3], 0 offen offset:4
	s_waitcnt vmcnt(1)
	v_cmp_eq_f32_e32 vcc, 0, v1
	s_waitcnt vmcnt(0)
	v_cmp_eq_f32_e64 s[8:9], 0, v2
	s_and_b64 s[8:9], vcc, s[8:9]
	s_and_saveexec_b64 s[16:17], s[8:9]
	s_cbranch_execz .LBB127_10
; %bb.7:
	v_mov_b32_e32 v1, 0
	ds_read_b32 v4, v1 offset:1024
	v_add_u32_e32 v2, 1, v0
	s_waitcnt lgkmcnt(0)
	v_readfirstlane_b32 s8, v4
	s_cmp_eq_u32 s8, 0
	s_cselect_b64 s[18:19], -1, 0
	v_cmp_gt_i32_e32 vcc, s8, v2
	s_or_b64 s[18:19], s[18:19], vcc
	s_and_b64 exec, exec, s[18:19]
	s_cbranch_execz .LBB127_10
; %bb.8:
	s_mov_b64 s[18:19], 0
	v_mov_b32_e32 v4, s8
.LBB127_9:                              ; =>This Inner Loop Header: Depth=1
	ds_cmpst_rtn_b32 v4, v1, v4, v2 offset:1024
	s_waitcnt lgkmcnt(0)
	v_cmp_ne_u32_e32 vcc, 0, v4
	v_cmp_le_i32_e64 s[8:9], v4, v2
	s_and_b64 s[8:9], vcc, s[8:9]
	s_and_b64 s[8:9], exec, s[8:9]
	s_or_b64 s[18:19], s[8:9], s[18:19]
	s_andn2_b64 exec, exec, s[18:19]
	s_cbranch_execnz .LBB127_9
.LBB127_10:
	s_or_b64 exec, exec, s[16:17]
	v_mov_b32_e32 v2, 0
	; wave barrier
	ds_read_b32 v1, v2 offset:1024
	s_and_saveexec_b64 s[8:9], s[4:5]
	s_cbranch_execz .LBB127_12
; %bb.11:
	s_lshl_b64 s[16:17], s[6:7], 2
	s_add_u32 s16, s10, s16
	s_addc_u32 s17, s11, s17
	s_waitcnt lgkmcnt(0)
	global_store_dword v2, v1, s[16:17]
.LBB127_12:
	s_or_b64 exec, exec, s[8:9]
	s_waitcnt lgkmcnt(0)
	v_cmp_ne_u32_e32 vcc, 0, v1
	s_mov_b64 s[8:9], 0
	s_cbranch_vccnz .LBB127_268
; %bb.13:
	buffer_load_dword v2, v5, s[0:3], 0 offen
	buffer_load_dword v4, v5, s[0:3], 0 offen offset:4
                                        ; implicit-def: $vgpr7
                                        ; implicit-def: $vgpr6
                                        ; implicit-def: $vgpr1
	s_waitcnt vmcnt(0)
	v_cmp_ngt_f32_e64 s[8:9], |v2|, |v4|
	s_and_saveexec_b64 s[16:17], s[8:9]
	s_xor_b64 s[8:9], exec, s[16:17]
	s_cbranch_execz .LBB127_15
; %bb.14:
	v_div_scale_f32 v1, s[16:17], v4, v4, v2
	v_div_scale_f32 v6, vcc, v2, v4, v2
	v_rcp_f32_e32 v7, v1
	v_fma_f32 v8, -v1, v7, 1.0
	v_fmac_f32_e32 v7, v8, v7
	v_mul_f32_e32 v8, v6, v7
	v_fma_f32 v9, -v1, v8, v6
	v_fmac_f32_e32 v8, v9, v7
	v_fma_f32 v1, -v1, v8, v6
	v_div_fmas_f32 v1, v1, v7, v8
	v_div_fixup_f32 v1, v1, v4, v2
	v_fmac_f32_e32 v4, v2, v1
	v_div_scale_f32 v2, s[16:17], v4, v4, 1.0
	v_div_scale_f32 v6, vcc, 1.0, v4, 1.0
	v_rcp_f32_e32 v7, v2
	v_fma_f32 v8, -v2, v7, 1.0
	v_fmac_f32_e32 v7, v8, v7
	v_mul_f32_e32 v8, v6, v7
	v_fma_f32 v9, -v2, v8, v6
	v_fmac_f32_e32 v8, v9, v7
	v_fma_f32 v2, -v2, v8, v6
	v_div_fmas_f32 v2, v2, v7, v8
	v_div_fixup_f32 v2, v2, v4, 1.0
	v_mul_f32_e32 v7, v1, v2
	v_xor_b32_e32 v6, 0x80000000, v2
	v_xor_b32_e32 v1, 0x80000000, v7
                                        ; implicit-def: $vgpr2
                                        ; implicit-def: $vgpr4
.LBB127_15:
	s_andn2_saveexec_b64 s[8:9], s[8:9]
	s_cbranch_execz .LBB127_17
; %bb.16:
	v_div_scale_f32 v1, s[16:17], v2, v2, v4
	v_div_scale_f32 v6, vcc, v4, v2, v4
	v_rcp_f32_e32 v7, v1
	v_fma_f32 v8, -v1, v7, 1.0
	v_fmac_f32_e32 v7, v8, v7
	v_mul_f32_e32 v8, v6, v7
	v_fma_f32 v9, -v1, v8, v6
	v_fmac_f32_e32 v8, v9, v7
	v_fma_f32 v1, -v1, v8, v6
	v_div_fmas_f32 v1, v1, v7, v8
	v_div_fixup_f32 v6, v1, v2, v4
	v_fmac_f32_e32 v2, v4, v6
	v_div_scale_f32 v1, s[16:17], v2, v2, 1.0
	v_div_scale_f32 v4, vcc, 1.0, v2, 1.0
	v_rcp_f32_e32 v7, v1
	v_fma_f32 v8, -v1, v7, 1.0
	v_fmac_f32_e32 v7, v8, v7
	v_mul_f32_e32 v8, v4, v7
	v_fma_f32 v9, -v1, v8, v4
	v_fmac_f32_e32 v8, v9, v7
	v_fma_f32 v1, -v1, v8, v4
	v_div_fmas_f32 v1, v1, v7, v8
	v_div_fixup_f32 v7, v1, v2, 1.0
	v_xor_b32_e32 v1, 0x80000000, v7
	v_mul_f32_e64 v6, v6, -v7
.LBB127_17:
	s_or_b64 exec, exec, s[8:9]
	buffer_store_dword v7, v5, s[0:3], 0 offen
	buffer_store_dword v6, v5, s[0:3], 0 offen offset:4
	buffer_load_dword v8, off, s[0:3], 0 offset:12
	s_nop 0
	buffer_load_dword v7, off, s[0:3], 0 offset:8
	v_xor_b32_e32 v2, 0x80000000, v6
	v_or_b32_e32 v4, 0x200, v3
	s_waitcnt vmcnt(0)
	ds_write2st64_b64 v3, v[1:2], v[7:8] offset1:1
	s_waitcnt lgkmcnt(0)
	; wave barrier
	s_and_saveexec_b64 s[8:9], s[4:5]
	s_cbranch_execz .LBB127_19
; %bb.18:
	buffer_load_dword v8, v5, s[0:3], 0 offen offset:4
	buffer_load_dword v9, v5, s[0:3], 0 offen
	ds_read_b64 v[1:2], v4
	v_mov_b32_e32 v6, 0
	ds_read_b64 v[6:7], v6 offset:8
	s_waitcnt vmcnt(1) lgkmcnt(1)
	v_mul_f32_e32 v10, v2, v8
	v_mul_f32_e32 v8, v1, v8
	s_waitcnt vmcnt(0)
	v_fmac_f32_e32 v8, v2, v9
	v_fma_f32 v1, v1, v9, -v10
	v_add_f32_e32 v2, 0, v8
	v_add_f32_e32 v1, 0, v1
	s_waitcnt lgkmcnt(0)
	v_mul_f32_e32 v8, v2, v7
	v_mul_f32_e32 v7, v1, v7
	v_fma_f32 v1, v1, v6, -v8
	v_fmac_f32_e32 v7, v2, v6
	buffer_store_dword v1, off, s[0:3], 0 offset:8
	buffer_store_dword v7, off, s[0:3], 0 offset:12
.LBB127_19:
	s_or_b64 exec, exec, s[8:9]
	; wave barrier
	buffer_load_dword v1, off, s[0:3], 0 offset:16
	buffer_load_dword v2, off, s[0:3], 0 offset:20
	v_cmp_gt_u32_e32 vcc, 2, v0
	s_waitcnt vmcnt(0)
	ds_write_b64 v4, v[1:2]
	s_waitcnt lgkmcnt(0)
	; wave barrier
	s_and_saveexec_b64 s[8:9], vcc
	s_cbranch_execz .LBB127_23
; %bb.20:
	buffer_load_dword v6, v5, s[0:3], 0 offen offset:4
	s_nop 0
	buffer_load_dword v5, v5, s[0:3], 0 offen
	ds_read_b64 v[1:2], v4
	s_waitcnt vmcnt(1) lgkmcnt(0)
	v_mul_f32_e32 v7, v2, v6
	v_mul_f32_e32 v6, v1, v6
	s_waitcnt vmcnt(0)
	v_fma_f32 v1, v1, v5, -v7
	v_fmac_f32_e32 v6, v2, v5
	v_add_f32_e32 v2, 0, v1
	v_add_f32_e32 v1, 0, v6
	s_and_saveexec_b64 s[16:17], s[4:5]
	s_cbranch_execz .LBB127_22
; %bb.21:
	buffer_load_dword v7, off, s[0:3], 0 offset:12
	buffer_load_dword v8, off, s[0:3], 0 offset:8
	v_mov_b32_e32 v5, 0
	ds_read_b64 v[5:6], v5 offset:520
	s_waitcnt vmcnt(1) lgkmcnt(0)
	v_mul_f32_e32 v9, v5, v7
	v_mul_f32_e32 v7, v6, v7
	s_waitcnt vmcnt(0)
	v_fmac_f32_e32 v9, v6, v8
	v_fma_f32 v5, v5, v8, -v7
	v_add_f32_e32 v1, v1, v9
	v_add_f32_e32 v2, v2, v5
.LBB127_22:
	s_or_b64 exec, exec, s[16:17]
	v_mov_b32_e32 v5, 0
	ds_read_b64 v[5:6], v5 offset:16
	s_waitcnt lgkmcnt(0)
	v_mul_f32_e32 v7, v1, v6
	v_mul_f32_e32 v6, v2, v6
	v_fma_f32 v2, v2, v5, -v7
	v_fmac_f32_e32 v6, v1, v5
	buffer_store_dword v2, off, s[0:3], 0 offset:16
	buffer_store_dword v6, off, s[0:3], 0 offset:20
.LBB127_23:
	s_or_b64 exec, exec, s[8:9]
	; wave barrier
	buffer_load_dword v1, off, s[0:3], 0 offset:24
	buffer_load_dword v2, off, s[0:3], 0 offset:28
	v_cmp_gt_u32_e32 vcc, 3, v0
	s_waitcnt vmcnt(0)
	ds_write_b64 v4, v[1:2]
	v_add_u32_e32 v1, -1, v0
	s_waitcnt lgkmcnt(0)
	; wave barrier
	s_and_saveexec_b64 s[4:5], vcc
	s_cbranch_execz .LBB127_27
; %bb.24:
	v_add_u32_e32 v5, -1, v0
	v_or_b32_e32 v6, 0x200, v3
	v_mov_b32_e32 v7, v3
	v_mov_b32_e32 v2, 0
	s_mov_b64 s[8:9], 0
	v_mov_b32_e32 v8, 0
.LBB127_25:                             ; =>This Inner Loop Header: Depth=1
	buffer_load_dword v11, v7, s[0:3], 0 offen offset:4
	buffer_load_dword v12, v7, s[0:3], 0 offen
	ds_read_b64 v[9:10], v6
	v_add_u32_e32 v5, 1, v5
	v_cmp_lt_u32_e32 vcc, 1, v5
	v_add_u32_e32 v6, 8, v6
	v_add_u32_e32 v7, 8, v7
	s_or_b64 s[8:9], vcc, s[8:9]
	s_waitcnt vmcnt(1) lgkmcnt(0)
	v_mul_f32_e32 v13, v10, v11
	v_mul_f32_e32 v11, v9, v11
	s_waitcnt vmcnt(0)
	v_fma_f32 v9, v9, v12, -v13
	v_fmac_f32_e32 v11, v10, v12
	v_add_f32_e32 v8, v8, v9
	v_add_f32_e32 v2, v2, v11
	s_andn2_b64 exec, exec, s[8:9]
	s_cbranch_execnz .LBB127_25
; %bb.26:
	s_or_b64 exec, exec, s[8:9]
	v_mov_b32_e32 v5, 0
	ds_read_b64 v[5:6], v5 offset:24
	s_waitcnt lgkmcnt(0)
	v_mul_f32_e32 v7, v2, v6
	v_mul_f32_e32 v6, v8, v6
	v_fma_f32 v7, v8, v5, -v7
	v_fmac_f32_e32 v6, v2, v5
	buffer_store_dword v7, off, s[0:3], 0 offset:24
	buffer_store_dword v6, off, s[0:3], 0 offset:28
.LBB127_27:
	s_or_b64 exec, exec, s[4:5]
	; wave barrier
	buffer_load_dword v5, off, s[0:3], 0 offset:32
	buffer_load_dword v6, off, s[0:3], 0 offset:36
	v_cmp_gt_u32_e32 vcc, 4, v0
	s_waitcnt vmcnt(0)
	ds_write_b64 v4, v[5:6]
	s_waitcnt lgkmcnt(0)
	; wave barrier
	s_and_saveexec_b64 s[4:5], vcc
	s_cbranch_execz .LBB127_31
; %bb.28:
	v_add_u32_e32 v5, -1, v0
	v_or_b32_e32 v6, 0x200, v3
	v_mov_b32_e32 v7, v3
	v_mov_b32_e32 v2, 0
	s_mov_b64 s[8:9], 0
	v_mov_b32_e32 v8, 0
.LBB127_29:                             ; =>This Inner Loop Header: Depth=1
	buffer_load_dword v11, v7, s[0:3], 0 offen offset:4
	buffer_load_dword v12, v7, s[0:3], 0 offen
	ds_read_b64 v[9:10], v6
	v_add_u32_e32 v5, 1, v5
	v_cmp_lt_u32_e32 vcc, 2, v5
	v_add_u32_e32 v6, 8, v6
	v_add_u32_e32 v7, 8, v7
	s_or_b64 s[8:9], vcc, s[8:9]
	s_waitcnt vmcnt(1) lgkmcnt(0)
	v_mul_f32_e32 v13, v10, v11
	v_mul_f32_e32 v11, v9, v11
	s_waitcnt vmcnt(0)
	v_fma_f32 v9, v9, v12, -v13
	v_fmac_f32_e32 v11, v10, v12
	v_add_f32_e32 v8, v8, v9
	v_add_f32_e32 v2, v2, v11
	s_andn2_b64 exec, exec, s[8:9]
	s_cbranch_execnz .LBB127_29
; %bb.30:
	s_or_b64 exec, exec, s[8:9]
	v_mov_b32_e32 v5, 0
	ds_read_b64 v[5:6], v5 offset:32
	s_waitcnt lgkmcnt(0)
	v_mul_f32_e32 v7, v2, v6
	v_mul_f32_e32 v6, v8, v6
	v_fma_f32 v7, v8, v5, -v7
	v_fmac_f32_e32 v6, v2, v5
	buffer_store_dword v7, off, s[0:3], 0 offset:32
	buffer_store_dword v6, off, s[0:3], 0 offset:36
.LBB127_31:
	s_or_b64 exec, exec, s[4:5]
	; wave barrier
	buffer_load_dword v5, off, s[0:3], 0 offset:40
	buffer_load_dword v6, off, s[0:3], 0 offset:44
	v_cmp_gt_u32_e32 vcc, 5, v0
	s_waitcnt vmcnt(0)
	ds_write_b64 v4, v[5:6]
	;; [unrolled: 49-line block ×19, first 2 shown]
	s_waitcnt lgkmcnt(0)
	; wave barrier
	s_and_saveexec_b64 s[4:5], vcc
	s_cbranch_execz .LBB127_103
; %bb.100:
	v_add_u32_e32 v5, -1, v0
	v_or_b32_e32 v6, 0x200, v3
	v_mov_b32_e32 v7, v3
	v_mov_b32_e32 v2, 0
	s_mov_b64 s[8:9], 0
	v_mov_b32_e32 v8, 0
.LBB127_101:                            ; =>This Inner Loop Header: Depth=1
	buffer_load_dword v11, v7, s[0:3], 0 offen offset:4
	buffer_load_dword v12, v7, s[0:3], 0 offen
	ds_read_b64 v[9:10], v6
	v_add_u32_e32 v5, 1, v5
	v_cmp_lt_u32_e32 vcc, 20, v5
	v_add_u32_e32 v6, 8, v6
	v_add_u32_e32 v7, 8, v7
	s_or_b64 s[8:9], vcc, s[8:9]
	s_waitcnt vmcnt(1) lgkmcnt(0)
	v_mul_f32_e32 v13, v10, v11
	v_mul_f32_e32 v11, v9, v11
	s_waitcnt vmcnt(0)
	v_fma_f32 v9, v9, v12, -v13
	v_fmac_f32_e32 v11, v10, v12
	v_add_f32_e32 v8, v8, v9
	v_add_f32_e32 v2, v2, v11
	s_andn2_b64 exec, exec, s[8:9]
	s_cbranch_execnz .LBB127_101
; %bb.102:
	s_or_b64 exec, exec, s[8:9]
	v_mov_b32_e32 v5, 0
	ds_read_b64 v[5:6], v5 offset:176
	s_waitcnt lgkmcnt(0)
	v_mul_f32_e32 v7, v2, v6
	v_mul_f32_e32 v6, v8, v6
	v_fma_f32 v7, v8, v5, -v7
	v_fmac_f32_e32 v6, v2, v5
	buffer_store_dword v7, off, s[0:3], 0 offset:176
	buffer_store_dword v6, off, s[0:3], 0 offset:180
.LBB127_103:
	s_or_b64 exec, exec, s[4:5]
	; wave barrier
	buffer_load_dword v5, off, s[0:3], 0 offset:184
	buffer_load_dword v6, off, s[0:3], 0 offset:188
	v_cmp_gt_u32_e32 vcc, 23, v0
	s_waitcnt vmcnt(0)
	ds_write_b64 v4, v[5:6]
	s_waitcnt lgkmcnt(0)
	; wave barrier
	s_and_saveexec_b64 s[4:5], vcc
	s_cbranch_execz .LBB127_107
; %bb.104:
	v_add_u32_e32 v5, -1, v0
	v_or_b32_e32 v6, 0x200, v3
	v_mov_b32_e32 v7, v3
	v_mov_b32_e32 v2, 0
	s_mov_b64 s[8:9], 0
	v_mov_b32_e32 v8, 0
.LBB127_105:                            ; =>This Inner Loop Header: Depth=1
	buffer_load_dword v11, v7, s[0:3], 0 offen offset:4
	buffer_load_dword v12, v7, s[0:3], 0 offen
	ds_read_b64 v[9:10], v6
	v_add_u32_e32 v5, 1, v5
	v_cmp_lt_u32_e32 vcc, 21, v5
	v_add_u32_e32 v6, 8, v6
	v_add_u32_e32 v7, 8, v7
	s_or_b64 s[8:9], vcc, s[8:9]
	s_waitcnt vmcnt(1) lgkmcnt(0)
	v_mul_f32_e32 v13, v10, v11
	v_mul_f32_e32 v11, v9, v11
	s_waitcnt vmcnt(0)
	v_fma_f32 v9, v9, v12, -v13
	v_fmac_f32_e32 v11, v10, v12
	v_add_f32_e32 v8, v8, v9
	v_add_f32_e32 v2, v2, v11
	s_andn2_b64 exec, exec, s[8:9]
	s_cbranch_execnz .LBB127_105
; %bb.106:
	s_or_b64 exec, exec, s[8:9]
	v_mov_b32_e32 v5, 0
	ds_read_b64 v[5:6], v5 offset:184
	s_waitcnt lgkmcnt(0)
	v_mul_f32_e32 v7, v2, v6
	v_mul_f32_e32 v6, v8, v6
	v_fma_f32 v7, v8, v5, -v7
	v_fmac_f32_e32 v6, v2, v5
	buffer_store_dword v7, off, s[0:3], 0 offset:184
	buffer_store_dword v6, off, s[0:3], 0 offset:188
.LBB127_107:
	s_or_b64 exec, exec, s[4:5]
	; wave barrier
	buffer_load_dword v5, off, s[0:3], 0 offset:192
	buffer_load_dword v6, off, s[0:3], 0 offset:196
	v_cmp_gt_u32_e32 vcc, 24, v0
	s_waitcnt vmcnt(0)
	ds_write_b64 v4, v[5:6]
	;; [unrolled: 49-line block ×40, first 2 shown]
	s_waitcnt lgkmcnt(0)
	; wave barrier
	s_and_saveexec_b64 s[4:5], vcc
	s_cbranch_execz .LBB127_263
; %bb.260:
	v_add_u32_e32 v5, -1, v0
	v_or_b32_e32 v6, 0x200, v3
	v_mov_b32_e32 v7, v3
	v_mov_b32_e32 v2, 0
	s_mov_b64 s[8:9], 0
	v_mov_b32_e32 v8, 0
.LBB127_261:                            ; =>This Inner Loop Header: Depth=1
	buffer_load_dword v11, v7, s[0:3], 0 offen offset:4
	buffer_load_dword v12, v7, s[0:3], 0 offen
	ds_read_b64 v[9:10], v6
	v_add_u32_e32 v5, 1, v5
	v_cmp_lt_u32_e32 vcc, 60, v5
	v_add_u32_e32 v6, 8, v6
	v_add_u32_e32 v7, 8, v7
	s_or_b64 s[8:9], vcc, s[8:9]
	s_waitcnt vmcnt(1) lgkmcnt(0)
	v_mul_f32_e32 v13, v10, v11
	v_mul_f32_e32 v11, v9, v11
	s_waitcnt vmcnt(0)
	v_fma_f32 v9, v9, v12, -v13
	v_fmac_f32_e32 v11, v10, v12
	v_add_f32_e32 v8, v8, v9
	v_add_f32_e32 v2, v2, v11
	s_andn2_b64 exec, exec, s[8:9]
	s_cbranch_execnz .LBB127_261
; %bb.262:
	s_or_b64 exec, exec, s[8:9]
	v_mov_b32_e32 v5, 0
	ds_read_b64 v[5:6], v5 offset:496
	s_waitcnt lgkmcnt(0)
	v_mul_f32_e32 v7, v2, v6
	v_mul_f32_e32 v6, v8, v6
	v_fma_f32 v7, v8, v5, -v7
	v_fmac_f32_e32 v6, v2, v5
	buffer_store_dword v7, off, s[0:3], 0 offset:496
	buffer_store_dword v6, off, s[0:3], 0 offset:500
.LBB127_263:
	s_or_b64 exec, exec, s[4:5]
	; wave barrier
	buffer_load_dword v5, off, s[0:3], 0 offset:504
	buffer_load_dword v6, off, s[0:3], 0 offset:508
	v_cmp_ne_u32_e32 vcc, 63, v0
	s_waitcnt vmcnt(0)
	ds_write_b64 v4, v[5:6]
	s_waitcnt lgkmcnt(0)
	; wave barrier
	s_and_saveexec_b64 s[4:5], vcc
	s_cbranch_execz .LBB127_267
; %bb.264:
	v_or_b32_e32 v4, 0x200, v3
	v_mov_b32_e32 v2, 0
	s_mov_b64 s[8:9], 0
	v_mov_b32_e32 v5, 0
.LBB127_265:                            ; =>This Inner Loop Header: Depth=1
	buffer_load_dword v8, v3, s[0:3], 0 offen offset:4
	buffer_load_dword v9, v3, s[0:3], 0 offen
	ds_read_b64 v[6:7], v4
	v_add_u32_e32 v1, 1, v1
	v_cmp_lt_u32_e32 vcc, 61, v1
	v_add_u32_e32 v4, 8, v4
	v_add_u32_e32 v3, 8, v3
	s_or_b64 s[8:9], vcc, s[8:9]
	s_waitcnt vmcnt(1) lgkmcnt(0)
	v_mul_f32_e32 v10, v7, v8
	v_mul_f32_e32 v8, v6, v8
	s_waitcnt vmcnt(0)
	v_fma_f32 v6, v6, v9, -v10
	v_fmac_f32_e32 v8, v7, v9
	v_add_f32_e32 v5, v5, v6
	v_add_f32_e32 v2, v2, v8
	s_andn2_b64 exec, exec, s[8:9]
	s_cbranch_execnz .LBB127_265
; %bb.266:
	s_or_b64 exec, exec, s[8:9]
	v_mov_b32_e32 v1, 0
	ds_read_b64 v[3:4], v1 offset:504
	s_waitcnt lgkmcnt(0)
	v_mul_f32_e32 v1, v2, v4
	v_mul_f32_e32 v4, v5, v4
	v_fma_f32 v1, v5, v3, -v1
	v_fmac_f32_e32 v4, v2, v3
	buffer_store_dword v1, off, s[0:3], 0 offset:504
	buffer_store_dword v4, off, s[0:3], 0 offset:508
.LBB127_267:
	s_or_b64 exec, exec, s[4:5]
	s_mov_b64 s[8:9], -1
	; wave barrier
.LBB127_268:
	s_and_b64 vcc, exec, s[8:9]
	s_cbranch_vccz .LBB127_270
; %bb.269:
	s_lshl_b64 s[4:5], s[6:7], 2
	s_add_u32 s4, s10, s4
	s_addc_u32 s5, s11, s5
	v_mov_b32_e32 v1, 0
	global_load_dword v1, v1, s[4:5]
	s_waitcnt vmcnt(0)
	v_cmp_ne_u32_e32 vcc, 0, v1
	s_cbranch_vccz .LBB127_271
.LBB127_270:
	s_endpgm
.LBB127_271:
	v_mov_b32_e32 v1, 0x200
	v_lshl_or_b32 v249, v0, 3, v1
	v_cmp_eq_u32_e32 vcc, 63, v0
	s_and_saveexec_b64 s[4:5], vcc
	s_cbranch_execz .LBB127_273
; %bb.272:
	buffer_load_dword v1, off, s[0:3], 0 offset:496
	buffer_load_dword v2, off, s[0:3], 0 offset:500
	v_mov_b32_e32 v3, 0
	buffer_store_dword v3, off, s[0:3], 0 offset:496
	buffer_store_dword v3, off, s[0:3], 0 offset:500
	s_waitcnt vmcnt(2)
	ds_write_b64 v249, v[1:2]
.LBB127_273:
	s_or_b64 exec, exec, s[4:5]
	s_waitcnt lgkmcnt(0)
	; wave barrier
	buffer_load_dword v4, off, s[0:3], 0 offset:508
	buffer_load_dword v5, off, s[0:3], 0 offset:504
	;; [unrolled: 1-line block ×4, first 2 shown]
	v_mov_b32_e32 v1, 0
	ds_read_b64 v[2:3], v1 offset:1016
	v_cmp_lt_u32_e32 vcc, 61, v0
	s_waitcnt vmcnt(3) lgkmcnt(0)
	v_mul_f32_e32 v8, v2, v4
	v_mul_f32_e32 v4, v3, v4
	s_waitcnt vmcnt(2)
	v_fma_f32 v2, v2, v5, -v4
	v_fmac_f32_e32 v8, v3, v5
	v_add_f32_e32 v2, 0, v2
	v_add_f32_e32 v3, 0, v8
	s_waitcnt vmcnt(1)
	v_sub_f32_e32 v2, v6, v2
	s_waitcnt vmcnt(0)
	v_sub_f32_e32 v3, v7, v3
	buffer_store_dword v2, off, s[0:3], 0 offset:496
	buffer_store_dword v3, off, s[0:3], 0 offset:500
	s_and_saveexec_b64 s[4:5], vcc
	s_cbranch_execz .LBB127_275
; %bb.274:
	buffer_load_dword v2, off, s[0:3], 0 offset:488
	buffer_load_dword v3, off, s[0:3], 0 offset:492
	s_waitcnt vmcnt(0)
	ds_write_b64 v249, v[2:3]
	buffer_store_dword v1, off, s[0:3], 0 offset:488
	buffer_store_dword v1, off, s[0:3], 0 offset:492
.LBB127_275:
	s_or_b64 exec, exec, s[4:5]
	s_waitcnt lgkmcnt(0)
	; wave barrier
	buffer_load_dword v5, off, s[0:3], 0 offset:500
	buffer_load_dword v6, off, s[0:3], 0 offset:508
	;; [unrolled: 1-line block ×6, first 2 shown]
	ds_read_b128 v[1:4], v1 offset:1008
	v_cmp_lt_u32_e32 vcc, 60, v0
	s_waitcnt vmcnt(5) lgkmcnt(0)
	v_mul_f32_e32 v11, v1, v5
	v_mul_f32_e32 v5, v2, v5
	s_waitcnt vmcnt(4)
	v_mul_f32_e32 v12, v3, v6
	v_mul_f32_e32 v6, v4, v6
	s_waitcnt vmcnt(3)
	v_fma_f32 v1, v1, v7, -v5
	v_fmac_f32_e32 v11, v2, v7
	s_waitcnt vmcnt(2)
	v_fma_f32 v2, v3, v8, -v6
	v_add_f32_e32 v1, 0, v1
	v_fmac_f32_e32 v12, v4, v8
	v_add_f32_e32 v3, 0, v11
	v_add_f32_e32 v1, v1, v2
	v_add_f32_e32 v3, v3, v12
	s_waitcnt vmcnt(1)
	v_sub_f32_e32 v1, v9, v1
	s_waitcnt vmcnt(0)
	v_sub_f32_e32 v2, v10, v3
	buffer_store_dword v1, off, s[0:3], 0 offset:488
	buffer_store_dword v2, off, s[0:3], 0 offset:492
	s_and_saveexec_b64 s[4:5], vcc
	s_cbranch_execz .LBB127_277
; %bb.276:
	buffer_load_dword v1, off, s[0:3], 0 offset:480
	buffer_load_dword v2, off, s[0:3], 0 offset:484
	v_mov_b32_e32 v3, 0
	buffer_store_dword v3, off, s[0:3], 0 offset:480
	buffer_store_dword v3, off, s[0:3], 0 offset:484
	s_waitcnt vmcnt(2)
	ds_write_b64 v249, v[1:2]
.LBB127_277:
	s_or_b64 exec, exec, s[4:5]
	s_waitcnt lgkmcnt(0)
	; wave barrier
	buffer_load_dword v8, off, s[0:3], 0 offset:492
	buffer_load_dword v9, off, s[0:3], 0 offset:500
	;; [unrolled: 1-line block ×8, first 2 shown]
	v_mov_b32_e32 v1, 0
	ds_read2_b64 v[2:5], v1 offset0:125 offset1:126
	ds_read_b64 v[6:7], v1 offset:1016
	v_cmp_lt_u32_e32 vcc, 59, v0
	s_waitcnt vmcnt(7) lgkmcnt(1)
	v_mul_f32_e32 v16, v2, v8
	v_mul_f32_e32 v8, v3, v8
	s_waitcnt vmcnt(6)
	v_mul_f32_e32 v17, v4, v9
	v_mul_f32_e32 v9, v5, v9
	s_waitcnt vmcnt(4)
	v_fma_f32 v2, v2, v11, -v8
	s_waitcnt lgkmcnt(0)
	v_mul_f32_e32 v18, v6, v10
	v_mul_f32_e32 v10, v7, v10
	v_fmac_f32_e32 v16, v3, v11
	s_waitcnt vmcnt(3)
	v_fma_f32 v3, v4, v12, -v9
	v_add_f32_e32 v2, 0, v2
	v_fmac_f32_e32 v17, v5, v12
	s_waitcnt vmcnt(2)
	v_fma_f32 v4, v6, v13, -v10
	v_add_f32_e32 v5, 0, v16
	v_add_f32_e32 v2, v2, v3
	v_fmac_f32_e32 v18, v7, v13
	v_add_f32_e32 v5, v5, v17
	v_add_f32_e32 v2, v2, v4
	;; [unrolled: 1-line block ×3, first 2 shown]
	s_waitcnt vmcnt(1)
	v_sub_f32_e32 v2, v14, v2
	s_waitcnt vmcnt(0)
	v_sub_f32_e32 v3, v15, v3
	buffer_store_dword v2, off, s[0:3], 0 offset:480
	buffer_store_dword v3, off, s[0:3], 0 offset:484
	s_and_saveexec_b64 s[4:5], vcc
	s_cbranch_execz .LBB127_279
; %bb.278:
	buffer_load_dword v2, off, s[0:3], 0 offset:472
	buffer_load_dword v3, off, s[0:3], 0 offset:476
	s_waitcnt vmcnt(0)
	ds_write_b64 v249, v[2:3]
	buffer_store_dword v1, off, s[0:3], 0 offset:472
	buffer_store_dword v1, off, s[0:3], 0 offset:476
.LBB127_279:
	s_or_b64 exec, exec, s[4:5]
	s_waitcnt lgkmcnt(0)
	; wave barrier
	buffer_load_dword v10, off, s[0:3], 0 offset:484
	buffer_load_dword v11, off, s[0:3], 0 offset:492
	;; [unrolled: 1-line block ×10, first 2 shown]
	ds_read_b128 v[2:5], v1 offset:992
	ds_read_b128 v[6:9], v1 offset:1008
	v_cmp_lt_u32_e32 vcc, 58, v0
	s_waitcnt vmcnt(9) lgkmcnt(1)
	v_mul_f32_e32 v1, v2, v10
	v_mul_f32_e32 v10, v3, v10
	s_waitcnt vmcnt(8)
	v_mul_f32_e32 v20, v4, v11
	v_mul_f32_e32 v11, v5, v11
	s_waitcnt vmcnt(5)
	v_fma_f32 v2, v2, v14, -v10
	s_waitcnt lgkmcnt(0)
	v_mul_f32_e32 v21, v6, v12
	v_mul_f32_e32 v12, v7, v12
	v_fmac_f32_e32 v1, v3, v14
	s_waitcnt vmcnt(4)
	v_fma_f32 v3, v4, v15, -v11
	v_add_f32_e32 v2, 0, v2
	v_mul_f32_e32 v22, v8, v13
	v_mul_f32_e32 v13, v9, v13
	v_fmac_f32_e32 v20, v5, v15
	s_waitcnt vmcnt(3)
	v_fma_f32 v4, v6, v16, -v12
	v_add_f32_e32 v1, 0, v1
	v_add_f32_e32 v2, v2, v3
	v_fmac_f32_e32 v21, v7, v16
	s_waitcnt vmcnt(2)
	v_fma_f32 v5, v8, v17, -v13
	v_add_f32_e32 v1, v1, v20
	v_add_f32_e32 v2, v2, v4
	v_fmac_f32_e32 v22, v9, v17
	v_add_f32_e32 v1, v1, v21
	v_add_f32_e32 v2, v2, v5
	;; [unrolled: 1-line block ×3, first 2 shown]
	s_waitcnt vmcnt(1)
	v_sub_f32_e32 v2, v18, v2
	s_waitcnt vmcnt(0)
	v_sub_f32_e32 v1, v19, v1
	buffer_store_dword v2, off, s[0:3], 0 offset:472
	buffer_store_dword v1, off, s[0:3], 0 offset:476
	s_and_saveexec_b64 s[4:5], vcc
	s_cbranch_execz .LBB127_281
; %bb.280:
	buffer_load_dword v1, off, s[0:3], 0 offset:464
	buffer_load_dword v2, off, s[0:3], 0 offset:468
	v_mov_b32_e32 v3, 0
	buffer_store_dword v3, off, s[0:3], 0 offset:464
	buffer_store_dword v3, off, s[0:3], 0 offset:468
	s_waitcnt vmcnt(2)
	ds_write_b64 v249, v[1:2]
.LBB127_281:
	s_or_b64 exec, exec, s[4:5]
	s_waitcnt lgkmcnt(0)
	; wave barrier
	buffer_load_dword v12, off, s[0:3], 0 offset:476
	buffer_load_dword v13, off, s[0:3], 0 offset:484
	;; [unrolled: 1-line block ×12, first 2 shown]
	v_mov_b32_e32 v1, 0
	ds_read2_b64 v[2:5], v1 offset0:123 offset1:124
	ds_read2_b64 v[6:9], v1 offset0:125 offset1:126
	ds_read_b64 v[10:11], v1 offset:1016
	v_cmp_lt_u32_e32 vcc, 57, v0
	s_waitcnt vmcnt(11) lgkmcnt(2)
	v_mul_f32_e32 v24, v2, v12
	v_mul_f32_e32 v12, v3, v12
	s_waitcnt vmcnt(10)
	v_mul_f32_e32 v25, v4, v13
	v_mul_f32_e32 v13, v5, v13
	s_waitcnt vmcnt(9) lgkmcnt(1)
	v_mul_f32_e32 v26, v6, v14
	s_waitcnt vmcnt(6)
	v_fma_f32 v2, v2, v17, -v12
	v_mul_f32_e32 v14, v7, v14
	v_fmac_f32_e32 v24, v3, v17
	s_waitcnt vmcnt(5)
	v_fma_f32 v3, v4, v18, -v13
	v_add_f32_e32 v2, 0, v2
	v_mul_f32_e32 v27, v8, v15
	v_mul_f32_e32 v15, v9, v15
	v_fmac_f32_e32 v25, v5, v18
	s_waitcnt vmcnt(4)
	v_fmac_f32_e32 v26, v7, v19
	v_fma_f32 v4, v6, v19, -v14
	v_add_f32_e32 v7, 0, v24
	v_add_f32_e32 v2, v2, v3
	s_waitcnt lgkmcnt(0)
	v_mul_f32_e32 v28, v10, v16
	v_mul_f32_e32 v16, v11, v16
	s_waitcnt vmcnt(3)
	v_fma_f32 v5, v8, v20, -v15
	v_add_f32_e32 v7, v7, v25
	v_add_f32_e32 v2, v2, v4
	v_fmac_f32_e32 v27, v9, v20
	s_waitcnt vmcnt(2)
	v_fma_f32 v6, v10, v21, -v16
	v_add_f32_e32 v3, v7, v26
	v_add_f32_e32 v2, v2, v5
	v_fmac_f32_e32 v28, v11, v21
	v_add_f32_e32 v3, v3, v27
	v_add_f32_e32 v2, v2, v6
	;; [unrolled: 1-line block ×3, first 2 shown]
	s_waitcnt vmcnt(1)
	v_sub_f32_e32 v2, v22, v2
	s_waitcnt vmcnt(0)
	v_sub_f32_e32 v3, v23, v3
	buffer_store_dword v2, off, s[0:3], 0 offset:464
	buffer_store_dword v3, off, s[0:3], 0 offset:468
	s_and_saveexec_b64 s[4:5], vcc
	s_cbranch_execz .LBB127_283
; %bb.282:
	buffer_load_dword v2, off, s[0:3], 0 offset:456
	buffer_load_dword v3, off, s[0:3], 0 offset:460
	s_waitcnt vmcnt(0)
	ds_write_b64 v249, v[2:3]
	buffer_store_dword v1, off, s[0:3], 0 offset:456
	buffer_store_dword v1, off, s[0:3], 0 offset:460
.LBB127_283:
	s_or_b64 exec, exec, s[4:5]
	s_waitcnt lgkmcnt(0)
	; wave barrier
	buffer_load_dword v14, off, s[0:3], 0 offset:468
	buffer_load_dword v15, off, s[0:3], 0 offset:476
	;; [unrolled: 1-line block ×14, first 2 shown]
	ds_read_b128 v[2:5], v1 offset:976
	ds_read_b128 v[6:9], v1 offset:992
	ds_read_b128 v[10:13], v1 offset:1008
	v_cmp_lt_u32_e32 vcc, 56, v0
	s_waitcnt vmcnt(13) lgkmcnt(2)
	v_mul_f32_e32 v1, v2, v14
	v_mul_f32_e32 v14, v3, v14
	s_waitcnt vmcnt(12)
	v_mul_f32_e32 v28, v4, v15
	v_mul_f32_e32 v15, v5, v15
	s_waitcnt vmcnt(11) lgkmcnt(1)
	v_mul_f32_e32 v29, v6, v16
	v_mul_f32_e32 v16, v7, v16
	s_waitcnt vmcnt(7)
	v_fma_f32 v2, v2, v20, -v14
	v_fmac_f32_e32 v1, v3, v20
	s_waitcnt vmcnt(6)
	v_fma_f32 v3, v4, v21, -v15
	v_add_f32_e32 v2, 0, v2
	v_mul_f32_e32 v30, v8, v17
	v_mul_f32_e32 v17, v9, v17
	v_fmac_f32_e32 v28, v5, v21
	s_waitcnt vmcnt(5)
	v_fma_f32 v4, v6, v22, -v16
	v_add_f32_e32 v1, 0, v1
	v_add_f32_e32 v2, v2, v3
	s_waitcnt lgkmcnt(0)
	v_mul_f32_e32 v31, v10, v18
	v_mul_f32_e32 v18, v11, v18
	v_fmac_f32_e32 v29, v7, v22
	s_waitcnt vmcnt(4)
	v_fma_f32 v5, v8, v23, -v17
	v_add_f32_e32 v1, v1, v28
	v_add_f32_e32 v2, v2, v4
	v_mul_f32_e32 v32, v12, v19
	v_mul_f32_e32 v19, v13, v19
	v_fmac_f32_e32 v30, v9, v23
	s_waitcnt vmcnt(3)
	v_fma_f32 v6, v10, v24, -v18
	v_add_f32_e32 v1, v1, v29
	v_add_f32_e32 v2, v2, v5
	v_fmac_f32_e32 v31, v11, v24
	s_waitcnt vmcnt(2)
	v_fma_f32 v7, v12, v25, -v19
	v_add_f32_e32 v1, v1, v30
	v_add_f32_e32 v2, v2, v6
	v_fmac_f32_e32 v32, v13, v25
	v_add_f32_e32 v1, v1, v31
	v_add_f32_e32 v2, v2, v7
	;; [unrolled: 1-line block ×3, first 2 shown]
	s_waitcnt vmcnt(1)
	v_sub_f32_e32 v2, v26, v2
	s_waitcnt vmcnt(0)
	v_sub_f32_e32 v1, v27, v1
	buffer_store_dword v2, off, s[0:3], 0 offset:456
	buffer_store_dword v1, off, s[0:3], 0 offset:460
	s_and_saveexec_b64 s[4:5], vcc
	s_cbranch_execz .LBB127_285
; %bb.284:
	buffer_load_dword v1, off, s[0:3], 0 offset:448
	buffer_load_dword v2, off, s[0:3], 0 offset:452
	v_mov_b32_e32 v3, 0
	buffer_store_dword v3, off, s[0:3], 0 offset:448
	buffer_store_dword v3, off, s[0:3], 0 offset:452
	s_waitcnt vmcnt(2)
	ds_write_b64 v249, v[1:2]
.LBB127_285:
	s_or_b64 exec, exec, s[4:5]
	s_waitcnt lgkmcnt(0)
	; wave barrier
	buffer_load_dword v16, off, s[0:3], 0 offset:460
	buffer_load_dword v17, off, s[0:3], 0 offset:468
	;; [unrolled: 1-line block ×16, first 2 shown]
	v_mov_b32_e32 v1, 0
	ds_read2_b64 v[2:5], v1 offset0:121 offset1:122
	ds_read2_b64 v[6:9], v1 offset0:123 offset1:124
	;; [unrolled: 1-line block ×3, first 2 shown]
	ds_read_b64 v[14:15], v1 offset:1016
	v_cmp_lt_u32_e32 vcc, 55, v0
	s_waitcnt vmcnt(15) lgkmcnt(3)
	v_mul_f32_e32 v32, v2, v16
	v_mul_f32_e32 v16, v3, v16
	s_waitcnt vmcnt(14)
	v_mul_f32_e32 v33, v4, v17
	v_mul_f32_e32 v17, v5, v17
	s_waitcnt vmcnt(13) lgkmcnt(2)
	v_mul_f32_e32 v34, v6, v18
	s_waitcnt vmcnt(12)
	v_mul_f32_e32 v35, v8, v19
	v_mul_f32_e32 v18, v7, v18
	s_waitcnt vmcnt(8)
	v_fma_f32 v2, v2, v23, -v16
	v_fmac_f32_e32 v32, v3, v23
	s_waitcnt vmcnt(7)
	v_fma_f32 v3, v4, v24, -v17
	v_add_f32_e32 v2, 0, v2
	v_mul_f32_e32 v19, v9, v19
	v_fmac_f32_e32 v33, v5, v24
	s_waitcnt vmcnt(5)
	v_fmac_f32_e32 v35, v9, v26
	v_fma_f32 v4, v6, v25, -v18
	v_add_f32_e32 v9, 0, v32
	v_add_f32_e32 v2, v2, v3
	s_waitcnt lgkmcnt(1)
	v_mul_f32_e32 v36, v10, v20
	v_mul_f32_e32 v20, v11, v20
	v_fmac_f32_e32 v34, v7, v25
	v_fma_f32 v5, v8, v26, -v19
	v_add_f32_e32 v9, v9, v33
	v_add_f32_e32 v2, v2, v4
	v_mul_f32_e32 v37, v12, v21
	v_mul_f32_e32 v21, v13, v21
	s_waitcnt vmcnt(4)
	v_fma_f32 v6, v10, v27, -v20
	v_add_f32_e32 v3, v9, v34
	v_add_f32_e32 v2, v2, v5
	s_waitcnt lgkmcnt(0)
	v_mul_f32_e32 v38, v14, v22
	v_mul_f32_e32 v22, v15, v22
	v_fmac_f32_e32 v36, v11, v27
	s_waitcnt vmcnt(3)
	v_fma_f32 v7, v12, v28, -v21
	v_add_f32_e32 v3, v3, v35
	v_add_f32_e32 v2, v2, v6
	v_fmac_f32_e32 v37, v13, v28
	s_waitcnt vmcnt(2)
	v_fma_f32 v8, v14, v29, -v22
	v_add_f32_e32 v3, v3, v36
	v_add_f32_e32 v2, v2, v7
	v_fmac_f32_e32 v38, v15, v29
	v_add_f32_e32 v3, v3, v37
	v_add_f32_e32 v2, v2, v8
	;; [unrolled: 1-line block ×3, first 2 shown]
	s_waitcnt vmcnt(1)
	v_sub_f32_e32 v2, v30, v2
	s_waitcnt vmcnt(0)
	v_sub_f32_e32 v3, v31, v3
	buffer_store_dword v2, off, s[0:3], 0 offset:448
	buffer_store_dword v3, off, s[0:3], 0 offset:452
	s_and_saveexec_b64 s[4:5], vcc
	s_cbranch_execz .LBB127_287
; %bb.286:
	buffer_load_dword v2, off, s[0:3], 0 offset:440
	buffer_load_dword v3, off, s[0:3], 0 offset:444
	s_waitcnt vmcnt(0)
	ds_write_b64 v249, v[2:3]
	buffer_store_dword v1, off, s[0:3], 0 offset:440
	buffer_store_dword v1, off, s[0:3], 0 offset:444
.LBB127_287:
	s_or_b64 exec, exec, s[4:5]
	s_waitcnt lgkmcnt(0)
	; wave barrier
	buffer_load_dword v18, off, s[0:3], 0 offset:452
	buffer_load_dword v19, off, s[0:3], 0 offset:460
	buffer_load_dword v20, off, s[0:3], 0 offset:468
	buffer_load_dword v21, off, s[0:3], 0 offset:476
	buffer_load_dword v22, off, s[0:3], 0 offset:484
	buffer_load_dword v23, off, s[0:3], 0 offset:492
	buffer_load_dword v24, off, s[0:3], 0 offset:500
	buffer_load_dword v25, off, s[0:3], 0 offset:508
	buffer_load_dword v26, off, s[0:3], 0 offset:448
	buffer_load_dword v27, off, s[0:3], 0 offset:456
	buffer_load_dword v28, off, s[0:3], 0 offset:464
	buffer_load_dword v29, off, s[0:3], 0 offset:472
	buffer_load_dword v30, off, s[0:3], 0 offset:480
	buffer_load_dword v31, off, s[0:3], 0 offset:488
	buffer_load_dword v32, off, s[0:3], 0 offset:496
	buffer_load_dword v33, off, s[0:3], 0 offset:504
	buffer_load_dword v34, off, s[0:3], 0 offset:440
	buffer_load_dword v35, off, s[0:3], 0 offset:444
	ds_read_b128 v[2:5], v1 offset:960
	ds_read_b128 v[6:9], v1 offset:976
	;; [unrolled: 1-line block ×4, first 2 shown]
	v_cmp_lt_u32_e32 vcc, 54, v0
	s_waitcnt vmcnt(17) lgkmcnt(3)
	v_mul_f32_e32 v1, v2, v18
	v_mul_f32_e32 v18, v3, v18
	s_waitcnt vmcnt(16)
	v_mul_f32_e32 v36, v4, v19
	v_mul_f32_e32 v19, v5, v19
	s_waitcnt vmcnt(15) lgkmcnt(2)
	v_mul_f32_e32 v37, v6, v20
	v_mul_f32_e32 v20, v7, v20
	s_waitcnt vmcnt(14)
	v_mul_f32_e32 v38, v8, v21
	v_mul_f32_e32 v21, v9, v21
	s_waitcnt vmcnt(9)
	v_fma_f32 v2, v2, v26, -v18
	v_fmac_f32_e32 v1, v3, v26
	s_waitcnt vmcnt(8)
	v_fma_f32 v3, v4, v27, -v19
	v_add_f32_e32 v2, 0, v2
	v_fmac_f32_e32 v36, v5, v27
	s_waitcnt vmcnt(7)
	v_fma_f32 v4, v6, v28, -v20
	v_add_f32_e32 v1, 0, v1
	v_add_f32_e32 v2, v2, v3
	s_waitcnt lgkmcnt(1)
	v_mul_f32_e32 v39, v10, v22
	v_mul_f32_e32 v22, v11, v22
	v_fmac_f32_e32 v37, v7, v28
	s_waitcnt vmcnt(6)
	v_fma_f32 v5, v8, v29, -v21
	v_add_f32_e32 v1, v1, v36
	v_add_f32_e32 v2, v2, v4
	v_mul_f32_e32 v40, v12, v23
	v_mul_f32_e32 v23, v13, v23
	v_fmac_f32_e32 v38, v9, v29
	s_waitcnt vmcnt(5)
	v_fma_f32 v6, v10, v30, -v22
	v_add_f32_e32 v1, v1, v37
	v_add_f32_e32 v2, v2, v5
	s_waitcnt lgkmcnt(0)
	v_mul_f32_e32 v41, v14, v24
	v_mul_f32_e32 v24, v15, v24
	v_fmac_f32_e32 v39, v11, v30
	s_waitcnt vmcnt(4)
	v_fma_f32 v7, v12, v31, -v23
	v_add_f32_e32 v1, v1, v38
	v_add_f32_e32 v2, v2, v6
	v_mul_f32_e32 v42, v16, v25
	v_mul_f32_e32 v25, v17, v25
	v_fmac_f32_e32 v40, v13, v31
	s_waitcnt vmcnt(3)
	v_fma_f32 v8, v14, v32, -v24
	v_add_f32_e32 v1, v1, v39
	v_add_f32_e32 v2, v2, v7
	v_fmac_f32_e32 v41, v15, v32
	s_waitcnt vmcnt(2)
	v_fma_f32 v9, v16, v33, -v25
	v_add_f32_e32 v1, v1, v40
	v_add_f32_e32 v2, v2, v8
	v_fmac_f32_e32 v42, v17, v33
	v_add_f32_e32 v1, v1, v41
	v_add_f32_e32 v2, v2, v9
	;; [unrolled: 1-line block ×3, first 2 shown]
	s_waitcnt vmcnt(1)
	v_sub_f32_e32 v2, v34, v2
	s_waitcnt vmcnt(0)
	v_sub_f32_e32 v1, v35, v1
	buffer_store_dword v2, off, s[0:3], 0 offset:440
	buffer_store_dword v1, off, s[0:3], 0 offset:444
	s_and_saveexec_b64 s[4:5], vcc
	s_cbranch_execz .LBB127_289
; %bb.288:
	buffer_load_dword v1, off, s[0:3], 0 offset:432
	buffer_load_dword v2, off, s[0:3], 0 offset:436
	v_mov_b32_e32 v3, 0
	buffer_store_dword v3, off, s[0:3], 0 offset:432
	buffer_store_dword v3, off, s[0:3], 0 offset:436
	s_waitcnt vmcnt(2)
	ds_write_b64 v249, v[1:2]
.LBB127_289:
	s_or_b64 exec, exec, s[4:5]
	s_waitcnt lgkmcnt(0)
	; wave barrier
	buffer_load_dword v20, off, s[0:3], 0 offset:444
	buffer_load_dword v21, off, s[0:3], 0 offset:452
	;; [unrolled: 1-line block ×20, first 2 shown]
	v_mov_b32_e32 v1, 0
	ds_read2_b64 v[2:5], v1 offset0:119 offset1:120
	ds_read2_b64 v[6:9], v1 offset0:121 offset1:122
	;; [unrolled: 1-line block ×4, first 2 shown]
	ds_read_b64 v[18:19], v1 offset:1016
	v_cmp_lt_u32_e32 vcc, 53, v0
	s_waitcnt vmcnt(19) lgkmcnt(4)
	v_mul_f32_e32 v40, v2, v20
	v_mul_f32_e32 v20, v3, v20
	s_waitcnt vmcnt(18)
	v_mul_f32_e32 v41, v4, v21
	v_mul_f32_e32 v21, v5, v21
	s_waitcnt vmcnt(17) lgkmcnt(3)
	v_mul_f32_e32 v42, v6, v22
	s_waitcnt vmcnt(15) lgkmcnt(2)
	v_mul_f32_e32 v44, v10, v24
	v_mul_f32_e32 v22, v7, v22
	;; [unrolled: 1-line block ×4, first 2 shown]
	s_waitcnt vmcnt(10)
	v_fma_f32 v2, v2, v29, -v20
	v_fmac_f32_e32 v40, v3, v29
	s_waitcnt vmcnt(9)
	v_fma_f32 v3, v4, v30, -v21
	v_add_f32_e32 v2, 0, v2
	v_mul_f32_e32 v24, v11, v24
	v_fmac_f32_e32 v41, v5, v30
	s_waitcnt vmcnt(6)
	v_fmac_f32_e32 v44, v11, v33
	v_fma_f32 v4, v6, v31, -v22
	v_add_f32_e32 v11, 0, v40
	v_add_f32_e32 v2, v2, v3
	v_fmac_f32_e32 v42, v7, v31
	v_fma_f32 v5, v8, v32, -v23
	v_add_f32_e32 v11, v11, v41
	v_add_f32_e32 v2, v2, v4
	v_mul_f32_e32 v45, v12, v25
	v_mul_f32_e32 v25, v13, v25
	v_fmac_f32_e32 v43, v9, v32
	v_fma_f32 v6, v10, v33, -v24
	v_add_f32_e32 v3, v11, v42
	v_add_f32_e32 v2, v2, v5
	s_waitcnt lgkmcnt(1)
	v_mul_f32_e32 v46, v14, v26
	v_mul_f32_e32 v26, v15, v26
	s_waitcnt vmcnt(5)
	v_fma_f32 v7, v12, v34, -v25
	v_add_f32_e32 v3, v3, v43
	v_add_f32_e32 v2, v2, v6
	v_mul_f32_e32 v47, v16, v27
	v_mul_f32_e32 v27, v17, v27
	v_fmac_f32_e32 v45, v13, v34
	s_waitcnt vmcnt(4)
	v_fma_f32 v8, v14, v35, -v26
	v_add_f32_e32 v3, v3, v44
	v_add_f32_e32 v2, v2, v7
	s_waitcnt lgkmcnt(0)
	v_mul_f32_e32 v48, v18, v28
	v_mul_f32_e32 v28, v19, v28
	v_fmac_f32_e32 v46, v15, v35
	s_waitcnt vmcnt(3)
	v_fma_f32 v9, v16, v36, -v27
	v_add_f32_e32 v3, v3, v45
	v_add_f32_e32 v2, v2, v8
	v_fmac_f32_e32 v47, v17, v36
	s_waitcnt vmcnt(2)
	v_fma_f32 v10, v18, v37, -v28
	v_add_f32_e32 v3, v3, v46
	v_add_f32_e32 v2, v2, v9
	v_fmac_f32_e32 v48, v19, v37
	v_add_f32_e32 v3, v3, v47
	v_add_f32_e32 v2, v2, v10
	;; [unrolled: 1-line block ×3, first 2 shown]
	s_waitcnt vmcnt(1)
	v_sub_f32_e32 v2, v38, v2
	s_waitcnt vmcnt(0)
	v_sub_f32_e32 v3, v39, v3
	buffer_store_dword v2, off, s[0:3], 0 offset:432
	buffer_store_dword v3, off, s[0:3], 0 offset:436
	s_and_saveexec_b64 s[4:5], vcc
	s_cbranch_execz .LBB127_291
; %bb.290:
	buffer_load_dword v2, off, s[0:3], 0 offset:424
	buffer_load_dword v3, off, s[0:3], 0 offset:428
	s_waitcnt vmcnt(0)
	ds_write_b64 v249, v[2:3]
	buffer_store_dword v1, off, s[0:3], 0 offset:424
	buffer_store_dword v1, off, s[0:3], 0 offset:428
.LBB127_291:
	s_or_b64 exec, exec, s[4:5]
	s_waitcnt lgkmcnt(0)
	; wave barrier
	buffer_load_dword v22, off, s[0:3], 0 offset:436
	buffer_load_dword v23, off, s[0:3], 0 offset:444
	;; [unrolled: 1-line block ×22, first 2 shown]
	ds_read_b128 v[2:5], v1 offset:944
	ds_read_b128 v[6:9], v1 offset:960
	;; [unrolled: 1-line block ×5, first 2 shown]
	v_cmp_lt_u32_e32 vcc, 52, v0
	s_waitcnt vmcnt(21) lgkmcnt(4)
	v_mul_f32_e32 v1, v2, v22
	v_mul_f32_e32 v22, v3, v22
	s_waitcnt vmcnt(20)
	v_mul_f32_e32 v44, v4, v23
	v_mul_f32_e32 v23, v5, v23
	s_waitcnt vmcnt(19) lgkmcnt(3)
	v_mul_f32_e32 v45, v6, v24
	v_mul_f32_e32 v24, v7, v24
	s_waitcnt vmcnt(18)
	v_mul_f32_e32 v46, v8, v25
	v_mul_f32_e32 v25, v9, v25
	s_waitcnt vmcnt(17) lgkmcnt(2)
	v_mul_f32_e32 v47, v10, v26
	v_mul_f32_e32 v26, v11, v26
	s_waitcnt vmcnt(11)
	v_fma_f32 v2, v2, v32, -v22
	v_fmac_f32_e32 v1, v3, v32
	s_waitcnt vmcnt(10)
	v_fma_f32 v3, v4, v33, -v23
	v_add_f32_e32 v2, 0, v2
	v_fmac_f32_e32 v44, v5, v33
	s_waitcnt vmcnt(9)
	v_fma_f32 v4, v6, v34, -v24
	v_add_f32_e32 v1, 0, v1
	v_add_f32_e32 v2, v2, v3
	v_fmac_f32_e32 v45, v7, v34
	s_waitcnt vmcnt(8)
	v_fma_f32 v5, v8, v35, -v25
	v_add_f32_e32 v1, v1, v44
	v_add_f32_e32 v2, v2, v4
	v_mul_f32_e32 v48, v12, v27
	v_mul_f32_e32 v27, v13, v27
	v_fmac_f32_e32 v46, v9, v35
	s_waitcnt vmcnt(7)
	v_fma_f32 v6, v10, v36, -v26
	v_add_f32_e32 v1, v1, v45
	v_add_f32_e32 v2, v2, v5
	s_waitcnt lgkmcnt(1)
	v_mul_f32_e32 v49, v14, v28
	v_mul_f32_e32 v28, v15, v28
	v_fmac_f32_e32 v47, v11, v36
	s_waitcnt vmcnt(6)
	v_fma_f32 v7, v12, v37, -v27
	v_add_f32_e32 v1, v1, v46
	v_add_f32_e32 v2, v2, v6
	v_mul_f32_e32 v50, v16, v29
	v_mul_f32_e32 v29, v17, v29
	v_fmac_f32_e32 v48, v13, v37
	s_waitcnt vmcnt(5)
	v_fma_f32 v8, v14, v38, -v28
	v_add_f32_e32 v1, v1, v47
	v_add_f32_e32 v2, v2, v7
	s_waitcnt lgkmcnt(0)
	v_mul_f32_e32 v51, v18, v30
	v_mul_f32_e32 v30, v19, v30
	v_fmac_f32_e32 v49, v15, v38
	s_waitcnt vmcnt(4)
	v_fma_f32 v9, v16, v39, -v29
	v_add_f32_e32 v1, v1, v48
	v_add_f32_e32 v2, v2, v8
	v_mul_f32_e32 v52, v20, v31
	v_mul_f32_e32 v31, v21, v31
	v_fmac_f32_e32 v50, v17, v39
	s_waitcnt vmcnt(3)
	v_fma_f32 v10, v18, v40, -v30
	v_add_f32_e32 v1, v1, v49
	v_add_f32_e32 v2, v2, v9
	v_fmac_f32_e32 v51, v19, v40
	s_waitcnt vmcnt(2)
	v_fma_f32 v11, v20, v41, -v31
	v_add_f32_e32 v1, v1, v50
	v_add_f32_e32 v2, v2, v10
	v_fmac_f32_e32 v52, v21, v41
	v_add_f32_e32 v1, v1, v51
	v_add_f32_e32 v2, v2, v11
	;; [unrolled: 1-line block ×3, first 2 shown]
	s_waitcnt vmcnt(1)
	v_sub_f32_e32 v2, v42, v2
	s_waitcnt vmcnt(0)
	v_sub_f32_e32 v1, v43, v1
	buffer_store_dword v2, off, s[0:3], 0 offset:424
	buffer_store_dword v1, off, s[0:3], 0 offset:428
	s_and_saveexec_b64 s[4:5], vcc
	s_cbranch_execz .LBB127_293
; %bb.292:
	buffer_load_dword v1, off, s[0:3], 0 offset:416
	buffer_load_dword v2, off, s[0:3], 0 offset:420
	v_mov_b32_e32 v3, 0
	buffer_store_dword v3, off, s[0:3], 0 offset:416
	buffer_store_dword v3, off, s[0:3], 0 offset:420
	s_waitcnt vmcnt(2)
	ds_write_b64 v249, v[1:2]
.LBB127_293:
	s_or_b64 exec, exec, s[4:5]
	s_waitcnt lgkmcnt(0)
	; wave barrier
	buffer_load_dword v24, off, s[0:3], 0 offset:428
	buffer_load_dword v25, off, s[0:3], 0 offset:436
	buffer_load_dword v26, off, s[0:3], 0 offset:444
	buffer_load_dword v27, off, s[0:3], 0 offset:452
	buffer_load_dword v28, off, s[0:3], 0 offset:460
	buffer_load_dword v29, off, s[0:3], 0 offset:468
	buffer_load_dword v30, off, s[0:3], 0 offset:476
	buffer_load_dword v31, off, s[0:3], 0 offset:484
	buffer_load_dword v32, off, s[0:3], 0 offset:492
	buffer_load_dword v33, off, s[0:3], 0 offset:500
	buffer_load_dword v34, off, s[0:3], 0 offset:508
	buffer_load_dword v35, off, s[0:3], 0 offset:424
	buffer_load_dword v36, off, s[0:3], 0 offset:432
	buffer_load_dword v37, off, s[0:3], 0 offset:440
	buffer_load_dword v38, off, s[0:3], 0 offset:448
	buffer_load_dword v39, off, s[0:3], 0 offset:456
	buffer_load_dword v40, off, s[0:3], 0 offset:464
	buffer_load_dword v41, off, s[0:3], 0 offset:472
	buffer_load_dword v42, off, s[0:3], 0 offset:480
	buffer_load_dword v43, off, s[0:3], 0 offset:488
	buffer_load_dword v44, off, s[0:3], 0 offset:496
	buffer_load_dword v45, off, s[0:3], 0 offset:504
	buffer_load_dword v46, off, s[0:3], 0 offset:416
	buffer_load_dword v47, off, s[0:3], 0 offset:420
	v_mov_b32_e32 v1, 0
	ds_read2_b64 v[2:5], v1 offset0:117 offset1:118
	ds_read2_b64 v[6:9], v1 offset0:119 offset1:120
	;; [unrolled: 1-line block ×5, first 2 shown]
	ds_read_b64 v[22:23], v1 offset:1016
	v_cmp_lt_u32_e32 vcc, 51, v0
	s_waitcnt vmcnt(23) lgkmcnt(5)
	v_mul_f32_e32 v48, v2, v24
	v_mul_f32_e32 v24, v3, v24
	s_waitcnt vmcnt(22)
	v_mul_f32_e32 v49, v4, v25
	v_mul_f32_e32 v25, v5, v25
	s_waitcnt vmcnt(21) lgkmcnt(4)
	v_mul_f32_e32 v50, v6, v26
	v_mul_f32_e32 v26, v7, v26
	s_waitcnt vmcnt(20)
	v_mul_f32_e32 v51, v8, v27
	s_waitcnt vmcnt(19) lgkmcnt(3)
	v_mul_f32_e32 v52, v10, v28
	v_mul_f32_e32 v27, v9, v27
	;; [unrolled: 1-line block ×3, first 2 shown]
	s_waitcnt vmcnt(18)
	v_mul_f32_e32 v53, v12, v29
	s_waitcnt vmcnt(12)
	v_fma_f32 v2, v2, v35, -v24
	v_fmac_f32_e32 v48, v3, v35
	s_waitcnt vmcnt(11)
	v_fma_f32 v3, v4, v36, -v25
	v_add_f32_e32 v2, 0, v2
	s_waitcnt vmcnt(10)
	v_fma_f32 v4, v6, v37, -v26
	v_add_f32_e32 v2, v2, v3
	v_fmac_f32_e32 v49, v5, v36
	s_waitcnt vmcnt(8)
	v_fmac_f32_e32 v52, v11, v39
	v_fma_f32 v5, v8, v38, -v27
	v_add_f32_e32 v11, 0, v48
	v_add_f32_e32 v2, v2, v4
	v_mul_f32_e32 v29, v13, v29
	v_fmac_f32_e32 v50, v7, v37
	v_fma_f32 v6, v10, v39, -v28
	v_add_f32_e32 v11, v11, v49
	v_add_f32_e32 v2, v2, v5
	s_waitcnt lgkmcnt(2)
	v_mul_f32_e32 v54, v14, v30
	v_mul_f32_e32 v30, v15, v30
	v_fmac_f32_e32 v51, v9, v38
	s_waitcnt vmcnt(7)
	v_fma_f32 v7, v12, v40, -v29
	v_add_f32_e32 v3, v11, v50
	v_add_f32_e32 v2, v2, v6
	v_mul_f32_e32 v55, v16, v31
	v_mul_f32_e32 v31, v17, v31
	s_waitcnt vmcnt(6)
	v_fma_f32 v8, v14, v41, -v30
	v_add_f32_e32 v3, v3, v51
	v_add_f32_e32 v2, v2, v7
	s_waitcnt lgkmcnt(1)
	v_mul_f32_e32 v56, v18, v32
	v_mul_f32_e32 v32, v19, v32
	v_fmac_f32_e32 v53, v13, v40
	s_waitcnt vmcnt(5)
	v_fma_f32 v9, v16, v42, -v31
	v_add_f32_e32 v3, v3, v52
	v_add_f32_e32 v2, v2, v8
	v_fmac_f32_e32 v54, v15, v41
	s_waitcnt vmcnt(4)
	v_fma_f32 v10, v18, v43, -v32
	v_add_f32_e32 v3, v3, v53
	v_add_f32_e32 v2, v2, v9
	v_mul_f32_e32 v4, v21, v33
	v_fmac_f32_e32 v55, v17, v42
	v_add_f32_e32 v3, v3, v54
	v_add_f32_e32 v2, v2, v10
	s_waitcnt vmcnt(3)
	v_fma_f32 v4, v20, v44, -v4
	v_mul_f32_e32 v57, v20, v33
	v_fmac_f32_e32 v56, v19, v43
	v_add_f32_e32 v3, v3, v55
	v_add_f32_e32 v2, v2, v4
	s_waitcnt lgkmcnt(0)
	v_mul_f32_e32 v4, v23, v34
	v_mul_f32_e32 v58, v22, v34
	v_fmac_f32_e32 v57, v21, v44
	v_add_f32_e32 v3, v3, v56
	s_waitcnt vmcnt(2)
	v_fma_f32 v4, v22, v45, -v4
	v_fmac_f32_e32 v58, v23, v45
	v_add_f32_e32 v3, v3, v57
	v_add_f32_e32 v2, v2, v4
	;; [unrolled: 1-line block ×3, first 2 shown]
	s_waitcnt vmcnt(1)
	v_sub_f32_e32 v2, v46, v2
	s_waitcnt vmcnt(0)
	v_sub_f32_e32 v3, v47, v3
	buffer_store_dword v2, off, s[0:3], 0 offset:416
	buffer_store_dword v3, off, s[0:3], 0 offset:420
	s_and_saveexec_b64 s[4:5], vcc
	s_cbranch_execz .LBB127_295
; %bb.294:
	buffer_load_dword v2, off, s[0:3], 0 offset:408
	buffer_load_dword v3, off, s[0:3], 0 offset:412
	s_waitcnt vmcnt(0)
	ds_write_b64 v249, v[2:3]
	buffer_store_dword v1, off, s[0:3], 0 offset:408
	buffer_store_dword v1, off, s[0:3], 0 offset:412
.LBB127_295:
	s_or_b64 exec, exec, s[4:5]
	s_waitcnt lgkmcnt(0)
	; wave barrier
	buffer_load_dword v26, off, s[0:3], 0 offset:420
	buffer_load_dword v27, off, s[0:3], 0 offset:428
	;; [unrolled: 1-line block ×26, first 2 shown]
	ds_read_b128 v[2:5], v1 offset:928
	ds_read_b128 v[6:9], v1 offset:944
	;; [unrolled: 1-line block ×6, first 2 shown]
	v_cmp_lt_u32_e32 vcc, 50, v0
	s_waitcnt vmcnt(25) lgkmcnt(5)
	v_mul_f32_e32 v1, v2, v26
	v_mul_f32_e32 v26, v3, v26
	s_waitcnt vmcnt(24)
	v_mul_f32_e32 v52, v4, v27
	v_mul_f32_e32 v27, v5, v27
	s_waitcnt vmcnt(23) lgkmcnt(4)
	v_mul_f32_e32 v53, v6, v28
	v_mul_f32_e32 v28, v7, v28
	s_waitcnt vmcnt(22)
	v_mul_f32_e32 v54, v8, v29
	v_mul_f32_e32 v29, v9, v29
	;; [unrolled: 6-line block ×3, first 2 shown]
	s_waitcnt vmcnt(13)
	v_fma_f32 v2, v2, v38, -v26
	v_fmac_f32_e32 v1, v3, v38
	s_waitcnt vmcnt(12)
	v_fma_f32 v3, v4, v39, -v27
	v_add_f32_e32 v2, 0, v2
	s_waitcnt vmcnt(11)
	v_fma_f32 v4, v6, v40, -v28
	v_add_f32_e32 v2, v2, v3
	v_fmac_f32_e32 v52, v5, v39
	s_waitcnt vmcnt(10)
	v_fma_f32 v5, v8, v41, -v29
	v_add_f32_e32 v2, v2, v4
	s_waitcnt vmcnt(9)
	v_fma_f32 v6, v10, v42, -v30
	v_add_f32_e32 v2, v2, v5
	s_waitcnt lgkmcnt(2)
	v_mul_f32_e32 v57, v14, v32
	v_mul_f32_e32 v32, v15, v32
	v_fmac_f32_e32 v53, v7, v40
	s_waitcnt vmcnt(8)
	v_fma_f32 v7, v12, v43, -v31
	v_add_f32_e32 v1, 0, v1
	v_add_f32_e32 v2, v2, v6
	v_mul_f32_e32 v58, v16, v33
	v_mul_f32_e32 v33, v17, v33
	s_waitcnt vmcnt(7)
	v_fma_f32 v8, v14, v44, -v32
	v_add_f32_e32 v1, v1, v52
	v_add_f32_e32 v2, v2, v7
	v_fmac_f32_e32 v54, v9, v41
	s_waitcnt vmcnt(6)
	v_fma_f32 v9, v16, v45, -v33
	v_add_f32_e32 v1, v1, v53
	v_add_f32_e32 v2, v2, v8
	s_waitcnt lgkmcnt(1)
	v_mul_f32_e32 v3, v19, v34
	v_fmac_f32_e32 v55, v11, v42
	v_add_f32_e32 v1, v1, v54
	v_add_f32_e32 v2, v2, v9
	s_waitcnt vmcnt(5)
	v_fma_f32 v3, v18, v46, -v3
	v_fmac_f32_e32 v56, v13, v43
	v_add_f32_e32 v1, v1, v55
	v_add_f32_e32 v2, v2, v3
	v_mul_f32_e32 v3, v21, v35
	v_fmac_f32_e32 v57, v15, v44
	v_add_f32_e32 v1, v1, v56
	s_waitcnt vmcnt(4)
	v_fma_f32 v3, v20, v47, -v3
	v_mul_f32_e32 v59, v18, v34
	v_fmac_f32_e32 v58, v17, v45
	v_add_f32_e32 v1, v1, v57
	v_add_f32_e32 v2, v2, v3
	s_waitcnt lgkmcnt(0)
	v_mul_f32_e32 v3, v23, v36
	v_mul_f32_e32 v60, v20, v35
	v_fmac_f32_e32 v59, v19, v46
	v_add_f32_e32 v1, v1, v58
	s_waitcnt vmcnt(3)
	v_fma_f32 v3, v22, v48, -v3
	v_mul_f32_e32 v61, v22, v36
	v_fmac_f32_e32 v60, v21, v47
	v_add_f32_e32 v1, v1, v59
	v_add_f32_e32 v2, v2, v3
	v_mul_f32_e32 v3, v25, v37
	v_mul_f32_e32 v62, v24, v37
	v_fmac_f32_e32 v61, v23, v48
	v_add_f32_e32 v1, v1, v60
	s_waitcnt vmcnt(2)
	v_fma_f32 v3, v24, v49, -v3
	v_fmac_f32_e32 v62, v25, v49
	v_add_f32_e32 v1, v1, v61
	v_add_f32_e32 v2, v2, v3
	;; [unrolled: 1-line block ×3, first 2 shown]
	s_waitcnt vmcnt(1)
	v_sub_f32_e32 v2, v50, v2
	s_waitcnt vmcnt(0)
	v_sub_f32_e32 v1, v51, v1
	buffer_store_dword v2, off, s[0:3], 0 offset:408
	buffer_store_dword v1, off, s[0:3], 0 offset:412
	s_and_saveexec_b64 s[4:5], vcc
	s_cbranch_execz .LBB127_297
; %bb.296:
	buffer_load_dword v1, off, s[0:3], 0 offset:400
	buffer_load_dword v2, off, s[0:3], 0 offset:404
	v_mov_b32_e32 v3, 0
	buffer_store_dword v3, off, s[0:3], 0 offset:400
	buffer_store_dword v3, off, s[0:3], 0 offset:404
	s_waitcnt vmcnt(2)
	ds_write_b64 v249, v[1:2]
.LBB127_297:
	s_or_b64 exec, exec, s[4:5]
	s_waitcnt lgkmcnt(0)
	; wave barrier
	buffer_load_dword v28, off, s[0:3], 0 offset:412
	buffer_load_dword v29, off, s[0:3], 0 offset:420
	;; [unrolled: 1-line block ×28, first 2 shown]
	v_mov_b32_e32 v1, 0
	ds_read2_b64 v[2:5], v1 offset0:115 offset1:116
	ds_read2_b64 v[6:9], v1 offset0:117 offset1:118
	;; [unrolled: 1-line block ×6, first 2 shown]
	ds_read_b64 v[26:27], v1 offset:1016
	v_cmp_lt_u32_e32 vcc, 49, v0
	s_waitcnt vmcnt(27) lgkmcnt(6)
	v_mul_f32_e32 v56, v2, v28
	v_mul_f32_e32 v28, v3, v28
	s_waitcnt vmcnt(26)
	v_mul_f32_e32 v57, v4, v29
	v_mul_f32_e32 v29, v5, v29
	s_waitcnt vmcnt(25) lgkmcnt(5)
	v_mul_f32_e32 v58, v6, v30
	v_mul_f32_e32 v30, v7, v30
	s_waitcnt vmcnt(24)
	v_mul_f32_e32 v59, v8, v31
	v_mul_f32_e32 v31, v9, v31
	;; [unrolled: 6-line block ×3, first 2 shown]
	s_waitcnt vmcnt(21) lgkmcnt(3)
	v_mul_f32_e32 v62, v14, v34
	s_waitcnt vmcnt(14)
	v_fma_f32 v2, v2, v41, -v28
	v_fmac_f32_e32 v56, v3, v41
	s_waitcnt vmcnt(13)
	v_fma_f32 v3, v4, v42, -v29
	v_add_f32_e32 v2, 0, v2
	s_waitcnt vmcnt(12)
	v_fma_f32 v4, v6, v43, -v30
	v_add_f32_e32 v2, v2, v3
	v_fmac_f32_e32 v57, v5, v42
	s_waitcnt vmcnt(11)
	v_fma_f32 v5, v8, v44, -v31
	v_add_f32_e32 v2, v2, v4
	s_waitcnt vmcnt(10)
	v_fma_f32 v6, v10, v45, -v32
	v_add_f32_e32 v2, v2, v5
	v_fmac_f32_e32 v58, v7, v43
	s_waitcnt vmcnt(9)
	v_fma_f32 v7, v12, v46, -v33
	v_add_f32_e32 v2, v2, v6
	v_mul_f32_e32 v4, v15, v34
	v_add_f32_e32 v2, v2, v7
	s_waitcnt vmcnt(8)
	v_fma_f32 v4, v14, v47, -v4
	v_add_f32_e32 v2, v2, v4
	v_mul_f32_e32 v4, v17, v35
	v_add_f32_e32 v8, 0, v56
	s_waitcnt vmcnt(7)
	v_fma_f32 v4, v16, v48, -v4
	v_add_f32_e32 v8, v8, v57
	v_add_f32_e32 v2, v2, v4
	s_waitcnt lgkmcnt(2)
	v_mul_f32_e32 v4, v19, v36
	v_fmac_f32_e32 v59, v9, v44
	v_add_f32_e32 v3, v8, v58
	s_waitcnt vmcnt(6)
	v_fma_f32 v4, v18, v49, -v4
	v_fmac_f32_e32 v60, v11, v45
	v_add_f32_e32 v3, v3, v59
	v_add_f32_e32 v2, v2, v4
	v_mul_f32_e32 v4, v21, v37
	v_fmac_f32_e32 v61, v13, v46
	v_add_f32_e32 v3, v3, v60
	s_waitcnt vmcnt(5)
	v_fma_f32 v4, v20, v50, -v4
	v_mul_f32_e32 v63, v16, v35
	v_fmac_f32_e32 v62, v15, v47
	v_add_f32_e32 v3, v3, v61
	v_add_f32_e32 v2, v2, v4
	s_waitcnt lgkmcnt(1)
	v_mul_f32_e32 v4, v23, v38
	v_mul_f32_e32 v64, v18, v36
	v_fmac_f32_e32 v63, v17, v48
	v_add_f32_e32 v3, v3, v62
	s_waitcnt vmcnt(4)
	v_fma_f32 v4, v22, v51, -v4
	v_mul_f32_e32 v65, v20, v37
	v_fmac_f32_e32 v64, v19, v49
	v_add_f32_e32 v3, v3, v63
	v_add_f32_e32 v2, v2, v4
	v_mul_f32_e32 v4, v25, v39
	v_mul_f32_e32 v66, v22, v38
	v_fmac_f32_e32 v65, v21, v50
	v_add_f32_e32 v3, v3, v64
	s_waitcnt vmcnt(3)
	v_fma_f32 v4, v24, v52, -v4
	v_mul_f32_e32 v67, v24, v39
	v_fmac_f32_e32 v66, v23, v51
	v_add_f32_e32 v3, v3, v65
	v_add_f32_e32 v2, v2, v4
	s_waitcnt lgkmcnt(0)
	v_mul_f32_e32 v4, v27, v40
	v_mul_f32_e32 v68, v26, v40
	v_fmac_f32_e32 v67, v25, v52
	v_add_f32_e32 v3, v3, v66
	s_waitcnt vmcnt(2)
	v_fma_f32 v4, v26, v53, -v4
	v_fmac_f32_e32 v68, v27, v53
	v_add_f32_e32 v3, v3, v67
	v_add_f32_e32 v2, v2, v4
	;; [unrolled: 1-line block ×3, first 2 shown]
	s_waitcnt vmcnt(1)
	v_sub_f32_e32 v2, v54, v2
	s_waitcnt vmcnt(0)
	v_sub_f32_e32 v3, v55, v3
	buffer_store_dword v2, off, s[0:3], 0 offset:400
	buffer_store_dword v3, off, s[0:3], 0 offset:404
	s_and_saveexec_b64 s[4:5], vcc
	s_cbranch_execz .LBB127_299
; %bb.298:
	buffer_load_dword v2, off, s[0:3], 0 offset:392
	buffer_load_dword v3, off, s[0:3], 0 offset:396
	s_waitcnt vmcnt(0)
	ds_write_b64 v249, v[2:3]
	buffer_store_dword v1, off, s[0:3], 0 offset:392
	buffer_store_dword v1, off, s[0:3], 0 offset:396
.LBB127_299:
	s_or_b64 exec, exec, s[4:5]
	s_waitcnt lgkmcnt(0)
	; wave barrier
	buffer_load_dword v30, off, s[0:3], 0 offset:404
	buffer_load_dword v31, off, s[0:3], 0 offset:412
	;; [unrolled: 1-line block ×30, first 2 shown]
	ds_read_b128 v[2:5], v1 offset:912
	ds_read_b128 v[6:9], v1 offset:928
	;; [unrolled: 1-line block ×7, first 2 shown]
	v_cmp_lt_u32_e32 vcc, 48, v0
	s_waitcnt vmcnt(29) lgkmcnt(6)
	v_mul_f32_e32 v1, v2, v30
	v_mul_f32_e32 v30, v3, v30
	s_waitcnt vmcnt(28)
	v_mul_f32_e32 v60, v4, v31
	v_mul_f32_e32 v31, v5, v31
	s_waitcnt vmcnt(27) lgkmcnt(5)
	v_mul_f32_e32 v61, v6, v32
	v_mul_f32_e32 v32, v7, v32
	s_waitcnt vmcnt(26)
	v_mul_f32_e32 v62, v8, v33
	v_mul_f32_e32 v33, v9, v33
	s_waitcnt vmcnt(25) lgkmcnt(4)
	v_mul_f32_e32 v63, v10, v34
	v_mul_f32_e32 v34, v11, v34
	s_waitcnt vmcnt(24)
	v_mul_f32_e32 v64, v12, v35
	s_waitcnt vmcnt(23) lgkmcnt(3)
	v_mul_f32_e32 v65, v14, v36
	s_waitcnt vmcnt(22)
	v_mul_f32_e32 v66, v16, v37
	s_waitcnt vmcnt(21) lgkmcnt(2)
	v_mul_f32_e32 v67, v18, v38
	s_waitcnt vmcnt(15)
	v_fma_f32 v2, v2, v44, -v30
	v_fmac_f32_e32 v1, v3, v44
	s_waitcnt vmcnt(14)
	v_fma_f32 v3, v4, v45, -v31
	v_add_f32_e32 v2, 0, v2
	s_waitcnt vmcnt(13)
	v_fma_f32 v4, v6, v46, -v32
	v_add_f32_e32 v2, v2, v3
	v_fmac_f32_e32 v60, v5, v45
	s_waitcnt vmcnt(12)
	v_fma_f32 v5, v8, v47, -v33
	v_add_f32_e32 v2, v2, v4
	s_waitcnt vmcnt(11)
	v_fma_f32 v6, v10, v48, -v34
	v_add_f32_e32 v2, v2, v5
	v_mul_f32_e32 v3, v13, v35
	v_add_f32_e32 v2, v2, v6
	s_waitcnt vmcnt(10)
	v_fma_f32 v3, v12, v49, -v3
	v_add_f32_e32 v2, v2, v3
	v_mul_f32_e32 v3, v15, v36
	s_waitcnt vmcnt(9)
	v_fma_f32 v3, v14, v50, -v3
	v_add_f32_e32 v2, v2, v3
	v_mul_f32_e32 v3, v17, v37
	s_waitcnt vmcnt(8)
	v_fma_f32 v3, v16, v51, -v3
	v_add_f32_e32 v1, 0, v1
	v_add_f32_e32 v2, v2, v3
	v_mul_f32_e32 v3, v19, v38
	v_fmac_f32_e32 v61, v7, v46
	v_add_f32_e32 v1, v1, v60
	s_waitcnt vmcnt(7)
	v_fma_f32 v3, v18, v52, -v3
	v_fmac_f32_e32 v62, v9, v47
	v_add_f32_e32 v1, v1, v61
	v_add_f32_e32 v2, v2, v3
	v_mul_f32_e32 v3, v21, v39
	v_fmac_f32_e32 v63, v11, v48
	v_add_f32_e32 v1, v1, v62
	s_waitcnt vmcnt(6)
	v_fma_f32 v3, v20, v53, -v3
	v_fmac_f32_e32 v64, v13, v49
	v_add_f32_e32 v1, v1, v63
	v_add_f32_e32 v2, v2, v3
	s_waitcnt lgkmcnt(1)
	v_mul_f32_e32 v3, v23, v40
	v_fmac_f32_e32 v65, v15, v50
	v_add_f32_e32 v1, v1, v64
	s_waitcnt vmcnt(5)
	v_fma_f32 v3, v22, v54, -v3
	v_fmac_f32_e32 v66, v17, v51
	v_add_f32_e32 v1, v1, v65
	v_add_f32_e32 v2, v2, v3
	v_mul_f32_e32 v3, v25, v41
	v_mul_f32_e32 v68, v20, v39
	v_fmac_f32_e32 v67, v19, v52
	v_add_f32_e32 v1, v1, v66
	s_waitcnt vmcnt(4)
	v_fma_f32 v3, v24, v55, -v3
	v_mul_f32_e32 v69, v22, v40
	v_fmac_f32_e32 v68, v21, v53
	v_add_f32_e32 v1, v1, v67
	v_add_f32_e32 v2, v2, v3
	s_waitcnt lgkmcnt(0)
	v_mul_f32_e32 v3, v27, v42
	v_mul_f32_e32 v70, v24, v41
	v_fmac_f32_e32 v69, v23, v54
	v_add_f32_e32 v1, v1, v68
	s_waitcnt vmcnt(3)
	v_fma_f32 v3, v26, v56, -v3
	v_mul_f32_e32 v71, v26, v42
	v_fmac_f32_e32 v70, v25, v55
	v_add_f32_e32 v1, v1, v69
	v_add_f32_e32 v2, v2, v3
	v_mul_f32_e32 v3, v29, v43
	v_mul_f32_e32 v72, v28, v43
	v_fmac_f32_e32 v71, v27, v56
	v_add_f32_e32 v1, v1, v70
	s_waitcnt vmcnt(2)
	v_fma_f32 v3, v28, v57, -v3
	v_fmac_f32_e32 v72, v29, v57
	v_add_f32_e32 v1, v1, v71
	v_add_f32_e32 v2, v2, v3
	v_add_f32_e32 v1, v1, v72
	s_waitcnt vmcnt(1)
	v_sub_f32_e32 v2, v58, v2
	s_waitcnt vmcnt(0)
	v_sub_f32_e32 v1, v59, v1
	buffer_store_dword v2, off, s[0:3], 0 offset:392
	buffer_store_dword v1, off, s[0:3], 0 offset:396
	s_and_saveexec_b64 s[4:5], vcc
	s_cbranch_execz .LBB127_301
; %bb.300:
	buffer_load_dword v1, off, s[0:3], 0 offset:384
	buffer_load_dword v2, off, s[0:3], 0 offset:388
	v_mov_b32_e32 v3, 0
	buffer_store_dword v3, off, s[0:3], 0 offset:384
	buffer_store_dword v3, off, s[0:3], 0 offset:388
	s_waitcnt vmcnt(2)
	ds_write_b64 v249, v[1:2]
.LBB127_301:
	s_or_b64 exec, exec, s[4:5]
	s_waitcnt lgkmcnt(0)
	; wave barrier
	buffer_load_dword v32, off, s[0:3], 0 offset:396
	buffer_load_dword v33, off, s[0:3], 0 offset:404
	;; [unrolled: 1-line block ×32, first 2 shown]
	v_mov_b32_e32 v1, 0
	ds_read2_b64 v[2:5], v1 offset0:113 offset1:114
	ds_read2_b64 v[6:9], v1 offset0:115 offset1:116
	;; [unrolled: 1-line block ×7, first 2 shown]
	ds_read_b64 v[30:31], v1 offset:1016
	v_cmp_lt_u32_e32 vcc, 47, v0
	s_waitcnt vmcnt(31) lgkmcnt(7)
	v_mul_f32_e32 v64, v2, v32
	v_mul_f32_e32 v32, v3, v32
	s_waitcnt vmcnt(30)
	v_mul_f32_e32 v65, v4, v33
	v_mul_f32_e32 v33, v5, v33
	s_waitcnt vmcnt(29) lgkmcnt(6)
	v_mul_f32_e32 v66, v6, v34
	v_mul_f32_e32 v34, v7, v34
	s_waitcnt vmcnt(28)
	v_mul_f32_e32 v67, v8, v35
	s_waitcnt vmcnt(27) lgkmcnt(5)
	v_mul_f32_e32 v68, v10, v36
	s_waitcnt vmcnt(26)
	v_mul_f32_e32 v69, v12, v37
	s_waitcnt vmcnt(25) lgkmcnt(4)
	;; [unrolled: 4-line block ×4, first 2 shown]
	v_mul_f32_e32 v74, v22, v42
	s_waitcnt vmcnt(20)
	v_mul_f32_e32 v75, v24, v43
	s_waitcnt vmcnt(16)
	v_fma_f32 v2, v2, v47, -v32
	v_fmac_f32_e32 v64, v3, v47
	s_waitcnt vmcnt(15)
	v_fma_f32 v3, v4, v48, -v33
	v_add_f32_e32 v2, 0, v2
	s_waitcnt vmcnt(14)
	v_fma_f32 v4, v6, v49, -v34
	v_add_f32_e32 v2, v2, v3
	v_add_f32_e32 v2, v2, v4
	v_mul_f32_e32 v4, v9, v35
	s_waitcnt vmcnt(13)
	v_fma_f32 v4, v8, v50, -v4
	v_add_f32_e32 v2, v2, v4
	v_mul_f32_e32 v4, v11, v36
	s_waitcnt vmcnt(12)
	v_fma_f32 v4, v10, v51, -v4
	;; [unrolled: 4-line block ×5, first 2 shown]
	v_add_f32_e32 v2, v2, v4
	v_mul_f32_e32 v4, v19, v40
	v_fmac_f32_e32 v65, v5, v48
	v_add_f32_e32 v5, 0, v64
	s_waitcnt vmcnt(8)
	v_fma_f32 v4, v18, v55, -v4
	v_fmac_f32_e32 v66, v7, v49
	v_add_f32_e32 v5, v5, v65
	v_add_f32_e32 v2, v2, v4
	v_mul_f32_e32 v4, v21, v41
	v_fmac_f32_e32 v67, v9, v50
	v_add_f32_e32 v3, v5, v66
	s_waitcnt vmcnt(7)
	v_fma_f32 v4, v20, v56, -v4
	v_fmac_f32_e32 v68, v11, v51
	v_add_f32_e32 v3, v3, v67
	;; [unrolled: 8-line block ×4, first 2 shown]
	v_add_f32_e32 v2, v2, v4
	s_waitcnt lgkmcnt(1)
	v_mul_f32_e32 v4, v27, v44
	v_fmac_f32_e32 v73, v21, v56
	v_add_f32_e32 v3, v3, v72
	s_waitcnt vmcnt(4)
	v_fma_f32 v4, v26, v59, -v4
	v_fmac_f32_e32 v74, v23, v57
	v_add_f32_e32 v3, v3, v73
	v_add_f32_e32 v2, v2, v4
	v_mul_f32_e32 v4, v29, v45
	v_mul_f32_e32 v76, v26, v44
	v_fmac_f32_e32 v75, v25, v58
	v_add_f32_e32 v3, v3, v74
	s_waitcnt vmcnt(3)
	v_fma_f32 v4, v28, v60, -v4
	v_mul_f32_e32 v77, v28, v45
	v_fmac_f32_e32 v76, v27, v59
	v_add_f32_e32 v3, v3, v75
	v_add_f32_e32 v2, v2, v4
	s_waitcnt lgkmcnt(0)
	v_mul_f32_e32 v4, v31, v46
	v_mul_f32_e32 v78, v30, v46
	v_fmac_f32_e32 v77, v29, v60
	v_add_f32_e32 v3, v3, v76
	s_waitcnt vmcnt(2)
	v_fma_f32 v4, v30, v61, -v4
	v_fmac_f32_e32 v78, v31, v61
	v_add_f32_e32 v3, v3, v77
	v_add_f32_e32 v2, v2, v4
	;; [unrolled: 1-line block ×3, first 2 shown]
	s_waitcnt vmcnt(1)
	v_sub_f32_e32 v2, v62, v2
	s_waitcnt vmcnt(0)
	v_sub_f32_e32 v3, v63, v3
	buffer_store_dword v2, off, s[0:3], 0 offset:384
	buffer_store_dword v3, off, s[0:3], 0 offset:388
	s_and_saveexec_b64 s[4:5], vcc
	s_cbranch_execz .LBB127_303
; %bb.302:
	buffer_load_dword v2, off, s[0:3], 0 offset:376
	buffer_load_dword v3, off, s[0:3], 0 offset:380
	s_waitcnt vmcnt(0)
	ds_write_b64 v249, v[2:3]
	buffer_store_dword v1, off, s[0:3], 0 offset:376
	buffer_store_dword v1, off, s[0:3], 0 offset:380
.LBB127_303:
	s_or_b64 exec, exec, s[4:5]
	s_waitcnt lgkmcnt(0)
	; wave barrier
	buffer_load_dword v34, off, s[0:3], 0 offset:388
	buffer_load_dword v35, off, s[0:3], 0 offset:396
	;; [unrolled: 1-line block ×34, first 2 shown]
	ds_read_b128 v[2:5], v1 offset:896
	ds_read_b128 v[6:9], v1 offset:912
	;; [unrolled: 1-line block ×8, first 2 shown]
	v_cmp_lt_u32_e32 vcc, 46, v0
	s_waitcnt vmcnt(33) lgkmcnt(7)
	v_mul_f32_e32 v1, v2, v34
	v_mul_f32_e32 v34, v3, v34
	s_waitcnt vmcnt(32)
	v_mul_f32_e32 v68, v4, v35
	v_mul_f32_e32 v35, v5, v35
	s_waitcnt vmcnt(31) lgkmcnt(6)
	v_mul_f32_e32 v69, v6, v36
	s_waitcnt vmcnt(30)
	v_mul_f32_e32 v70, v8, v37
	s_waitcnt vmcnt(29) lgkmcnt(5)
	v_mul_f32_e32 v71, v10, v38
	s_waitcnt vmcnt(28)
	;; [unrolled: 4-line block ×6, first 2 shown]
	v_mul_f32_e32 v80, v28, v47
	s_waitcnt vmcnt(17)
	v_fma_f32 v2, v2, v50, -v34
	v_fmac_f32_e32 v1, v3, v50
	s_waitcnt vmcnt(16)
	v_fma_f32 v3, v4, v51, -v35
	v_add_f32_e32 v2, 0, v2
	v_add_f32_e32 v2, v2, v3
	v_mul_f32_e32 v3, v7, v36
	s_waitcnt vmcnt(15)
	v_fma_f32 v3, v6, v52, -v3
	v_add_f32_e32 v2, v2, v3
	v_mul_f32_e32 v3, v9, v37
	s_waitcnt vmcnt(14)
	v_fma_f32 v3, v8, v53, -v3
	;; [unrolled: 4-line block ×7, first 2 shown]
	v_fmac_f32_e32 v68, v5, v51
	v_add_f32_e32 v1, 0, v1
	v_add_f32_e32 v2, v2, v3
	v_mul_f32_e32 v3, v21, v43
	v_fmac_f32_e32 v69, v7, v52
	v_add_f32_e32 v1, v1, v68
	s_waitcnt vmcnt(8)
	v_fma_f32 v3, v20, v59, -v3
	v_fmac_f32_e32 v70, v9, v53
	v_add_f32_e32 v1, v1, v69
	v_add_f32_e32 v2, v2, v3
	v_mul_f32_e32 v3, v23, v44
	v_fmac_f32_e32 v71, v11, v54
	v_add_f32_e32 v1, v1, v70
	s_waitcnt vmcnt(7)
	v_fma_f32 v3, v22, v60, -v3
	;; [unrolled: 8-line block ×5, first 2 shown]
	v_fmac_f32_e32 v78, v25, v61
	v_add_f32_e32 v1, v1, v77
	v_add_f32_e32 v2, v2, v3
	s_waitcnt lgkmcnt(0)
	v_mul_f32_e32 v3, v31, v48
	v_fmac_f32_e32 v79, v27, v62
	v_add_f32_e32 v1, v1, v78
	s_waitcnt vmcnt(3)
	v_fma_f32 v3, v30, v64, -v3
	v_mul_f32_e32 v81, v30, v48
	v_fmac_f32_e32 v80, v29, v63
	v_add_f32_e32 v1, v1, v79
	v_add_f32_e32 v2, v2, v3
	v_mul_f32_e32 v3, v33, v49
	v_mul_f32_e32 v82, v32, v49
	v_fmac_f32_e32 v81, v31, v64
	v_add_f32_e32 v1, v1, v80
	s_waitcnt vmcnt(2)
	v_fma_f32 v3, v32, v65, -v3
	v_fmac_f32_e32 v82, v33, v65
	v_add_f32_e32 v1, v1, v81
	v_add_f32_e32 v2, v2, v3
	;; [unrolled: 1-line block ×3, first 2 shown]
	s_waitcnt vmcnt(1)
	v_sub_f32_e32 v2, v66, v2
	s_waitcnt vmcnt(0)
	v_sub_f32_e32 v1, v67, v1
	buffer_store_dword v2, off, s[0:3], 0 offset:376
	buffer_store_dword v1, off, s[0:3], 0 offset:380
	s_and_saveexec_b64 s[4:5], vcc
	s_cbranch_execz .LBB127_305
; %bb.304:
	buffer_load_dword v1, off, s[0:3], 0 offset:368
	buffer_load_dword v2, off, s[0:3], 0 offset:372
	v_mov_b32_e32 v3, 0
	buffer_store_dword v3, off, s[0:3], 0 offset:368
	buffer_store_dword v3, off, s[0:3], 0 offset:372
	s_waitcnt vmcnt(2)
	ds_write_b64 v249, v[1:2]
.LBB127_305:
	s_or_b64 exec, exec, s[4:5]
	s_waitcnt lgkmcnt(0)
	; wave barrier
	buffer_load_dword v36, off, s[0:3], 0 offset:380
	buffer_load_dword v37, off, s[0:3], 0 offset:388
	;; [unrolled: 1-line block ×36, first 2 shown]
	v_mov_b32_e32 v1, 0
	ds_read2_b64 v[2:5], v1 offset0:111 offset1:112
	ds_read2_b64 v[6:9], v1 offset0:113 offset1:114
	;; [unrolled: 1-line block ×8, first 2 shown]
	ds_read_b64 v[34:35], v1 offset:1016
	v_cmp_lt_u32_e32 vcc, 45, v0
	s_waitcnt vmcnt(35) lgkmcnt(8)
	v_mul_f32_e32 v72, v2, v36
	s_waitcnt vmcnt(34)
	v_mul_f32_e32 v73, v4, v37
	s_waitcnt vmcnt(33) lgkmcnt(7)
	v_mul_f32_e32 v74, v6, v38
	s_waitcnt vmcnt(32)
	v_mul_f32_e32 v75, v8, v39
	;; [unrolled: 4-line block ×8, first 2 shown]
	s_waitcnt vmcnt(19) lgkmcnt(0)
	v_mul_f32_e32 v88, v34, v52
	s_waitcnt vmcnt(18)
	v_fmac_f32_e32 v72, v3, v53
	v_mul_f32_e32 v3, v3, v36
	v_fma_f32 v2, v2, v53, -v3
	v_mul_f32_e32 v3, v5, v37
	v_add_f32_e32 v2, 0, v2
	s_waitcnt vmcnt(17)
	v_fma_f32 v3, v4, v54, -v3
	v_add_f32_e32 v2, v2, v3
	v_mul_f32_e32 v3, v7, v38
	s_waitcnt vmcnt(16)
	v_fma_f32 v3, v6, v55, -v3
	v_add_f32_e32 v2, v2, v3
	v_mul_f32_e32 v3, v9, v39
	;; [unrolled: 4-line block ×8, first 2 shown]
	v_fmac_f32_e32 v73, v5, v54
	v_add_f32_e32 v72, 0, v72
	s_waitcnt vmcnt(9)
	v_fma_f32 v3, v20, v62, -v3
	v_fmac_f32_e32 v74, v7, v55
	v_add_f32_e32 v72, v72, v73
	v_add_f32_e32 v2, v2, v3
	v_mul_f32_e32 v3, v23, v46
	v_fmac_f32_e32 v75, v9, v56
	v_add_f32_e32 v72, v72, v74
	s_waitcnt vmcnt(8)
	v_fma_f32 v3, v22, v63, -v3
	v_fmac_f32_e32 v76, v11, v57
	v_add_f32_e32 v72, v72, v75
	v_add_f32_e32 v2, v2, v3
	v_mul_f32_e32 v3, v25, v47
	;; [unrolled: 8-line block ×7, first 2 shown]
	v_fmac_f32_e32 v87, v33, v68
	v_add_f32_e32 v72, v72, v86
	s_waitcnt vmcnt(2)
	v_fma_f32 v3, v34, v69, -v3
	v_fmac_f32_e32 v88, v35, v69
	v_add_f32_e32 v72, v72, v87
	v_add_f32_e32 v2, v2, v3
	;; [unrolled: 1-line block ×3, first 2 shown]
	s_waitcnt vmcnt(1)
	v_sub_f32_e32 v2, v70, v2
	s_waitcnt vmcnt(0)
	v_sub_f32_e32 v3, v71, v72
	buffer_store_dword v2, off, s[0:3], 0 offset:368
	buffer_store_dword v3, off, s[0:3], 0 offset:372
	s_and_saveexec_b64 s[4:5], vcc
	s_cbranch_execz .LBB127_307
; %bb.306:
	buffer_load_dword v2, off, s[0:3], 0 offset:360
	buffer_load_dword v3, off, s[0:3], 0 offset:364
	s_waitcnt vmcnt(0)
	ds_write_b64 v249, v[2:3]
	buffer_store_dword v1, off, s[0:3], 0 offset:360
	buffer_store_dword v1, off, s[0:3], 0 offset:364
.LBB127_307:
	s_or_b64 exec, exec, s[4:5]
	s_waitcnt lgkmcnt(0)
	; wave barrier
	buffer_load_dword v38, off, s[0:3], 0 offset:372
	buffer_load_dword v39, off, s[0:3], 0 offset:380
	buffer_load_dword v40, off, s[0:3], 0 offset:388
	buffer_load_dword v41, off, s[0:3], 0 offset:396
	buffer_load_dword v42, off, s[0:3], 0 offset:404
	buffer_load_dword v43, off, s[0:3], 0 offset:412
	buffer_load_dword v44, off, s[0:3], 0 offset:420
	buffer_load_dword v45, off, s[0:3], 0 offset:428
	buffer_load_dword v46, off, s[0:3], 0 offset:436
	buffer_load_dword v47, off, s[0:3], 0 offset:444
	buffer_load_dword v48, off, s[0:3], 0 offset:452
	buffer_load_dword v49, off, s[0:3], 0 offset:460
	buffer_load_dword v50, off, s[0:3], 0 offset:468
	buffer_load_dword v51, off, s[0:3], 0 offset:476
	buffer_load_dword v52, off, s[0:3], 0 offset:484
	buffer_load_dword v53, off, s[0:3], 0 offset:492
	buffer_load_dword v54, off, s[0:3], 0 offset:500
	buffer_load_dword v55, off, s[0:3], 0 offset:368
	buffer_load_dword v56, off, s[0:3], 0 offset:376
	buffer_load_dword v57, off, s[0:3], 0 offset:384
	buffer_load_dword v58, off, s[0:3], 0 offset:392
	buffer_load_dword v59, off, s[0:3], 0 offset:400
	buffer_load_dword v60, off, s[0:3], 0 offset:408
	buffer_load_dword v61, off, s[0:3], 0 offset:416
	buffer_load_dword v62, off, s[0:3], 0 offset:424
	buffer_load_dword v63, off, s[0:3], 0 offset:432
	buffer_load_dword v64, off, s[0:3], 0 offset:440
	buffer_load_dword v65, off, s[0:3], 0 offset:448
	buffer_load_dword v66, off, s[0:3], 0 offset:456
	buffer_load_dword v67, off, s[0:3], 0 offset:464
	buffer_load_dword v68, off, s[0:3], 0 offset:472
	buffer_load_dword v69, off, s[0:3], 0 offset:480
	buffer_load_dword v70, off, s[0:3], 0 offset:488
	buffer_load_dword v71, off, s[0:3], 0 offset:496
	buffer_load_dword v72, off, s[0:3], 0 offset:508
	buffer_load_dword v73, off, s[0:3], 0 offset:504
	buffer_load_dword v74, off, s[0:3], 0 offset:360
	buffer_load_dword v75, off, s[0:3], 0 offset:364
	ds_read_b128 v[2:5], v1 offset:880
	ds_read_b128 v[6:9], v1 offset:896
	;; [unrolled: 1-line block ×9, first 2 shown]
	v_cmp_lt_u32_e32 vcc, 44, v0
	s_waitcnt vmcnt(37) lgkmcnt(8)
	v_mul_f32_e32 v1, v2, v38
	s_waitcnt vmcnt(36)
	v_mul_f32_e32 v76, v4, v39
	s_waitcnt vmcnt(35) lgkmcnt(7)
	v_mul_f32_e32 v77, v6, v40
	s_waitcnt vmcnt(34)
	v_mul_f32_e32 v78, v8, v41
	;; [unrolled: 4-line block ×8, first 2 shown]
	s_waitcnt vmcnt(21) lgkmcnt(0)
	v_mul_f32_e32 v91, v34, v54
	s_waitcnt vmcnt(20)
	v_fmac_f32_e32 v1, v3, v55
	v_mul_f32_e32 v3, v3, v38
	v_fma_f32 v2, v2, v55, -v3
	v_mul_f32_e32 v3, v5, v39
	v_add_f32_e32 v2, 0, v2
	s_waitcnt vmcnt(19)
	v_fma_f32 v3, v4, v56, -v3
	v_add_f32_e32 v2, v2, v3
	v_mul_f32_e32 v3, v7, v40
	s_waitcnt vmcnt(18)
	v_fma_f32 v3, v6, v57, -v3
	v_add_f32_e32 v2, v2, v3
	v_mul_f32_e32 v3, v9, v41
	;; [unrolled: 4-line block ×8, first 2 shown]
	s_waitcnt vmcnt(11)
	v_fma_f32 v3, v20, v64, -v3
	v_fmac_f32_e32 v76, v5, v56
	v_add_f32_e32 v1, 0, v1
	v_add_f32_e32 v2, v2, v3
	v_mul_f32_e32 v3, v23, v48
	v_fmac_f32_e32 v77, v7, v57
	v_add_f32_e32 v1, v1, v76
	s_waitcnt vmcnt(10)
	v_fma_f32 v3, v22, v65, -v3
	v_fmac_f32_e32 v78, v9, v58
	v_add_f32_e32 v1, v1, v77
	v_add_f32_e32 v2, v2, v3
	v_mul_f32_e32 v3, v25, v49
	v_fmac_f32_e32 v79, v11, v59
	v_add_f32_e32 v1, v1, v78
	s_waitcnt vmcnt(9)
	v_fma_f32 v3, v24, v66, -v3
	v_fmac_f32_e32 v80, v13, v60
	v_add_f32_e32 v1, v1, v79
	v_add_f32_e32 v2, v2, v3
	v_mul_f32_e32 v3, v27, v50
	v_fmac_f32_e32 v81, v15, v61
	v_add_f32_e32 v1, v1, v80
	s_waitcnt vmcnt(8)
	v_fma_f32 v3, v26, v67, -v3
	v_fmac_f32_e32 v82, v17, v62
	v_add_f32_e32 v1, v1, v81
	v_add_f32_e32 v2, v2, v3
	v_mul_f32_e32 v3, v29, v51
	v_fmac_f32_e32 v83, v19, v63
	v_add_f32_e32 v1, v1, v82
	s_waitcnt vmcnt(7)
	v_fma_f32 v3, v28, v68, -v3
	v_fmac_f32_e32 v84, v21, v64
	v_add_f32_e32 v1, v1, v83
	v_add_f32_e32 v2, v2, v3
	v_mul_f32_e32 v3, v31, v52
	v_fmac_f32_e32 v85, v23, v65
	v_add_f32_e32 v1, v1, v84
	s_waitcnt vmcnt(6)
	v_fma_f32 v3, v30, v69, -v3
	v_fmac_f32_e32 v86, v25, v66
	v_add_f32_e32 v1, v1, v85
	v_add_f32_e32 v2, v2, v3
	v_mul_f32_e32 v3, v33, v53
	v_fmac_f32_e32 v87, v27, v67
	v_add_f32_e32 v1, v1, v86
	s_waitcnt vmcnt(5)
	v_fma_f32 v3, v32, v70, -v3
	v_fmac_f32_e32 v88, v29, v68
	v_add_f32_e32 v1, v1, v87
	v_add_f32_e32 v2, v2, v3
	v_mul_f32_e32 v3, v35, v54
	v_fmac_f32_e32 v89, v31, v69
	v_add_f32_e32 v1, v1, v88
	s_waitcnt vmcnt(4)
	v_fma_f32 v3, v34, v71, -v3
	v_fmac_f32_e32 v90, v33, v70
	v_add_f32_e32 v1, v1, v89
	v_add_f32_e32 v2, v2, v3
	s_waitcnt vmcnt(3)
	v_mul_f32_e32 v3, v37, v72
	v_add_f32_e32 v1, v1, v90
	v_fmac_f32_e32 v91, v35, v71
	v_mul_f32_e32 v76, v36, v72
	s_waitcnt vmcnt(2)
	v_fma_f32 v3, v36, v73, -v3
	v_add_f32_e32 v1, v1, v91
	v_fmac_f32_e32 v76, v37, v73
	v_add_f32_e32 v2, v2, v3
	v_add_f32_e32 v1, v1, v76
	s_waitcnt vmcnt(1)
	v_sub_f32_e32 v2, v74, v2
	s_waitcnt vmcnt(0)
	v_sub_f32_e32 v1, v75, v1
	buffer_store_dword v2, off, s[0:3], 0 offset:360
	buffer_store_dword v1, off, s[0:3], 0 offset:364
	s_and_saveexec_b64 s[4:5], vcc
	s_cbranch_execz .LBB127_309
; %bb.308:
	buffer_load_dword v1, off, s[0:3], 0 offset:352
	buffer_load_dword v2, off, s[0:3], 0 offset:356
	v_mov_b32_e32 v3, 0
	buffer_store_dword v3, off, s[0:3], 0 offset:352
	buffer_store_dword v3, off, s[0:3], 0 offset:356
	s_waitcnt vmcnt(2)
	ds_write_b64 v249, v[1:2]
.LBB127_309:
	s_or_b64 exec, exec, s[4:5]
	s_waitcnt lgkmcnt(0)
	; wave barrier
	buffer_load_dword v40, off, s[0:3], 0 offset:364
	buffer_load_dword v41, off, s[0:3], 0 offset:372
	;; [unrolled: 1-line block ×40, first 2 shown]
	v_mov_b32_e32 v1, 0
	ds_read2_b64 v[2:5], v1 offset0:109 offset1:110
	ds_read2_b64 v[6:9], v1 offset0:111 offset1:112
	;; [unrolled: 1-line block ×9, first 2 shown]
	v_cmp_lt_u32_e32 vcc, 43, v0
	s_waitcnt vmcnt(39) lgkmcnt(8)
	v_mul_f32_e32 v38, v2, v40
	s_waitcnt vmcnt(38)
	v_mul_f32_e32 v39, v4, v41
	s_waitcnt vmcnt(37) lgkmcnt(7)
	v_mul_f32_e32 v80, v6, v42
	s_waitcnt vmcnt(36)
	v_mul_f32_e32 v81, v8, v43
	;; [unrolled: 4-line block ×7, first 2 shown]
	s_waitcnt vmcnt(25) lgkmcnt(1)
	v_mul_f32_e32 v92, v30, v54
	s_waitcnt vmcnt(24)
	v_fmac_f32_e32 v38, v3, v55
	v_mul_f32_e32 v3, v3, v40
	v_fma_f32 v2, v2, v55, -v3
	v_mul_f32_e32 v3, v5, v41
	v_add_f32_e32 v2, 0, v2
	s_waitcnt vmcnt(23)
	v_fma_f32 v3, v4, v56, -v3
	v_add_f32_e32 v2, v2, v3
	v_mul_f32_e32 v3, v7, v42
	s_waitcnt vmcnt(22)
	v_fma_f32 v3, v6, v57, -v3
	v_add_f32_e32 v2, v2, v3
	v_mul_f32_e32 v3, v9, v43
	s_waitcnt vmcnt(21)
	v_fma_f32 v3, v8, v58, -v3
	v_add_f32_e32 v2, v2, v3
	v_mul_f32_e32 v3, v11, v44
	s_waitcnt vmcnt(20)
	v_fma_f32 v3, v10, v59, -v3
	v_add_f32_e32 v2, v2, v3
	v_mul_f32_e32 v3, v13, v45
	s_waitcnt vmcnt(19)
	v_fma_f32 v3, v12, v60, -v3
	v_add_f32_e32 v2, v2, v3
	v_mul_f32_e32 v3, v15, v46
	s_waitcnt vmcnt(18)
	v_fma_f32 v3, v14, v61, -v3
	v_add_f32_e32 v2, v2, v3
	v_mul_f32_e32 v3, v17, v47
	s_waitcnt vmcnt(17)
	v_fma_f32 v3, v16, v62, -v3
	v_fmac_f32_e32 v39, v5, v56
	v_add_f32_e32 v38, 0, v38
	v_add_f32_e32 v2, v2, v3
	v_mul_f32_e32 v3, v19, v48
	v_fmac_f32_e32 v80, v7, v57
	v_add_f32_e32 v38, v38, v39
	s_waitcnt vmcnt(16)
	v_fma_f32 v3, v18, v63, -v3
	v_fmac_f32_e32 v81, v9, v58
	v_add_f32_e32 v38, v38, v80
	v_add_f32_e32 v2, v2, v3
	v_mul_f32_e32 v3, v21, v49
	v_fmac_f32_e32 v82, v11, v59
	v_add_f32_e32 v38, v38, v81
	;; [unrolled: 8-line block ×6, first 2 shown]
	s_waitcnt vmcnt(11)
	v_fma_f32 v3, v28, v68, -v3
	v_fmac_f32_e32 v91, v29, v68
	v_add_f32_e32 v38, v38, v90
	v_add_f32_e32 v2, v2, v3
	v_mul_f32_e32 v3, v31, v54
	s_waitcnt vmcnt(10)
	v_fmac_f32_e32 v92, v31, v69
	v_add_f32_e32 v38, v38, v91
	s_waitcnt vmcnt(9)
	v_mul_f32_e32 v39, v32, v70
	v_fma_f32 v3, v30, v69, -v3
	v_add_f32_e32 v38, v38, v92
	s_waitcnt vmcnt(8)
	v_fmac_f32_e32 v39, v33, v71
	v_add_f32_e32 v2, v2, v3
	v_mul_f32_e32 v3, v33, v70
	v_add_f32_e32 v80, v38, v39
	ds_read_b64 v[38:39], v1 offset:1016
	v_fma_f32 v3, v32, v71, -v3
	v_add_f32_e32 v2, v2, v3
	s_waitcnt vmcnt(7) lgkmcnt(1)
	v_mul_f32_e32 v3, v35, v72
	v_mul_f32_e32 v81, v34, v72
	s_waitcnt vmcnt(6)
	v_fma_f32 v3, v34, v73, -v3
	v_fmac_f32_e32 v81, v35, v73
	v_add_f32_e32 v2, v2, v3
	s_waitcnt vmcnt(5)
	v_mul_f32_e32 v3, v37, v74
	v_add_f32_e32 v80, v80, v81
	v_mul_f32_e32 v81, v36, v74
	s_waitcnt vmcnt(4)
	v_fma_f32 v3, v36, v75, -v3
	v_fmac_f32_e32 v81, v37, v75
	v_add_f32_e32 v2, v2, v3
	s_waitcnt vmcnt(3) lgkmcnt(0)
	v_mul_f32_e32 v3, v39, v76
	v_add_f32_e32 v80, v80, v81
	v_mul_f32_e32 v81, v38, v76
	s_waitcnt vmcnt(2)
	v_fma_f32 v3, v38, v77, -v3
	v_fmac_f32_e32 v81, v39, v77
	v_add_f32_e32 v2, v2, v3
	v_add_f32_e32 v80, v80, v81
	s_waitcnt vmcnt(1)
	v_sub_f32_e32 v2, v78, v2
	s_waitcnt vmcnt(0)
	v_sub_f32_e32 v3, v79, v80
	buffer_store_dword v2, off, s[0:3], 0 offset:352
	buffer_store_dword v3, off, s[0:3], 0 offset:356
	s_and_saveexec_b64 s[4:5], vcc
	s_cbranch_execz .LBB127_311
; %bb.310:
	buffer_load_dword v2, off, s[0:3], 0 offset:344
	buffer_load_dword v3, off, s[0:3], 0 offset:348
	s_waitcnt vmcnt(0)
	ds_write_b64 v249, v[2:3]
	buffer_store_dword v1, off, s[0:3], 0 offset:344
	buffer_store_dword v1, off, s[0:3], 0 offset:348
.LBB127_311:
	s_or_b64 exec, exec, s[4:5]
	s_waitcnt lgkmcnt(0)
	; wave barrier
	buffer_load_dword v42, off, s[0:3], 0 offset:356
	buffer_load_dword v43, off, s[0:3], 0 offset:364
	;; [unrolled: 1-line block ×42, first 2 shown]
	ds_read_b128 v[2:5], v1 offset:864
	ds_read_b128 v[6:9], v1 offset:880
	ds_read_b128 v[10:13], v1 offset:896
	ds_read_b128 v[14:17], v1 offset:912
	ds_read_b128 v[18:21], v1 offset:928
	ds_read_b128 v[22:25], v1 offset:944
	ds_read_b128 v[26:29], v1 offset:960
	ds_read_b128 v[30:33], v1 offset:976
	v_cmp_lt_u32_e32 vcc, 42, v0
	s_waitcnt vmcnt(41) lgkmcnt(7)
	v_mul_f32_e32 v34, v2, v42
	s_waitcnt vmcnt(40)
	v_mul_f32_e32 v35, v4, v43
	s_waitcnt vmcnt(39) lgkmcnt(6)
	v_mul_f32_e32 v36, v6, v44
	s_waitcnt vmcnt(38)
	v_mul_f32_e32 v37, v8, v45
	;; [unrolled: 4-line block ×7, first 2 shown]
	s_waitcnt vmcnt(27) lgkmcnt(0)
	v_mul_f32_e32 v90, v30, v56
	s_waitcnt vmcnt(26)
	v_fmac_f32_e32 v34, v3, v57
	v_mul_f32_e32 v3, v3, v42
	v_fma_f32 v2, v2, v57, -v3
	v_mul_f32_e32 v3, v5, v43
	v_add_f32_e32 v2, 0, v2
	s_waitcnt vmcnt(25)
	v_fma_f32 v3, v4, v58, -v3
	v_add_f32_e32 v2, v2, v3
	v_mul_f32_e32 v3, v7, v44
	s_waitcnt vmcnt(24)
	v_fma_f32 v3, v6, v59, -v3
	v_add_f32_e32 v2, v2, v3
	v_mul_f32_e32 v3, v9, v45
	;; [unrolled: 4-line block ×5, first 2 shown]
	v_fmac_f32_e32 v35, v5, v58
	v_add_f32_e32 v34, 0, v34
	s_waitcnt vmcnt(20)
	v_fma_f32 v3, v14, v63, -v3
	v_fmac_f32_e32 v36, v7, v59
	v_add_f32_e32 v34, v34, v35
	v_add_f32_e32 v2, v2, v3
	v_mul_f32_e32 v3, v17, v49
	v_fmac_f32_e32 v37, v9, v60
	v_add_f32_e32 v34, v34, v36
	s_waitcnt vmcnt(19)
	v_fma_f32 v3, v16, v64, -v3
	v_fmac_f32_e32 v38, v11, v61
	v_add_f32_e32 v34, v34, v37
	v_add_f32_e32 v2, v2, v3
	v_mul_f32_e32 v3, v19, v50
	;; [unrolled: 8-line block ×5, first 2 shown]
	s_waitcnt vmcnt(15)
	v_fmac_f32_e32 v87, v25, v68
	v_add_f32_e32 v34, v34, v86
	v_fma_f32 v3, v24, v68, -v3
	s_waitcnt vmcnt(14)
	v_fmac_f32_e32 v88, v27, v69
	v_add_f32_e32 v34, v34, v87
	v_add_f32_e32 v2, v2, v3
	v_mul_f32_e32 v3, v27, v54
	s_waitcnt vmcnt(13)
	v_fmac_f32_e32 v89, v29, v70
	v_add_f32_e32 v34, v34, v88
	v_fma_f32 v3, v26, v69, -v3
	s_waitcnt vmcnt(12)
	v_fmac_f32_e32 v90, v31, v71
	v_add_f32_e32 v34, v34, v89
	v_add_f32_e32 v2, v2, v3
	v_mul_f32_e32 v3, v29, v55
	v_add_f32_e32 v38, v34, v90
	ds_read_b128 v[34:37], v1 offset:992
	v_fma_f32 v3, v28, v70, -v3
	v_add_f32_e32 v2, v2, v3
	v_mul_f32_e32 v3, v31, v56
	s_waitcnt vmcnt(11)
	v_mul_f32_e32 v39, v32, v72
	v_fma_f32 v3, v30, v71, -v3
	s_waitcnt vmcnt(10)
	v_fmac_f32_e32 v39, v33, v73
	v_add_f32_e32 v2, v2, v3
	v_mul_f32_e32 v3, v33, v72
	v_add_f32_e32 v84, v38, v39
	ds_read_b128 v[38:41], v1 offset:1008
	v_fma_f32 v3, v32, v73, -v3
	v_add_f32_e32 v2, v2, v3
	s_waitcnt vmcnt(9) lgkmcnt(1)
	v_mul_f32_e32 v3, v35, v74
	v_mul_f32_e32 v1, v34, v74
	s_waitcnt vmcnt(8)
	v_fma_f32 v3, v34, v75, -v3
	v_fmac_f32_e32 v1, v35, v75
	v_add_f32_e32 v2, v2, v3
	s_waitcnt vmcnt(7)
	v_mul_f32_e32 v3, v37, v76
	v_add_f32_e32 v1, v84, v1
	v_mul_f32_e32 v84, v36, v76
	s_waitcnt vmcnt(6)
	v_fma_f32 v3, v36, v77, -v3
	v_fmac_f32_e32 v84, v37, v77
	v_add_f32_e32 v2, v2, v3
	s_waitcnt vmcnt(5) lgkmcnt(0)
	v_mul_f32_e32 v3, v39, v78
	v_add_f32_e32 v1, v1, v84
	v_mul_f32_e32 v84, v38, v78
	s_waitcnt vmcnt(4)
	v_fma_f32 v3, v38, v79, -v3
	v_fmac_f32_e32 v84, v39, v79
	v_add_f32_e32 v2, v2, v3
	s_waitcnt vmcnt(3)
	v_mul_f32_e32 v3, v41, v80
	v_add_f32_e32 v1, v1, v84
	v_mul_f32_e32 v84, v40, v80
	s_waitcnt vmcnt(2)
	v_fma_f32 v3, v40, v81, -v3
	v_fmac_f32_e32 v84, v41, v81
	v_add_f32_e32 v2, v2, v3
	v_add_f32_e32 v1, v1, v84
	s_waitcnt vmcnt(1)
	v_sub_f32_e32 v2, v82, v2
	s_waitcnt vmcnt(0)
	v_sub_f32_e32 v1, v83, v1
	buffer_store_dword v2, off, s[0:3], 0 offset:344
	buffer_store_dword v1, off, s[0:3], 0 offset:348
	s_and_saveexec_b64 s[4:5], vcc
	s_cbranch_execz .LBB127_313
; %bb.312:
	buffer_load_dword v1, off, s[0:3], 0 offset:336
	buffer_load_dword v2, off, s[0:3], 0 offset:340
	v_mov_b32_e32 v3, 0
	buffer_store_dword v3, off, s[0:3], 0 offset:336
	buffer_store_dword v3, off, s[0:3], 0 offset:340
	s_waitcnt vmcnt(2)
	ds_write_b64 v249, v[1:2]
.LBB127_313:
	s_or_b64 exec, exec, s[4:5]
	s_waitcnt lgkmcnt(0)
	; wave barrier
	buffer_load_dword v44, off, s[0:3], 0 offset:348
	buffer_load_dword v45, off, s[0:3], 0 offset:356
	;; [unrolled: 1-line block ×44, first 2 shown]
	v_mov_b32_e32 v1, 0
	ds_read2_b64 v[2:5], v1 offset0:107 offset1:108
	ds_read2_b64 v[6:9], v1 offset0:109 offset1:110
	;; [unrolled: 1-line block ×8, first 2 shown]
	v_cmp_lt_u32_e32 vcc, 41, v0
	s_waitcnt vmcnt(43) lgkmcnt(7)
	v_mul_f32_e32 v34, v2, v44
	s_waitcnt vmcnt(42)
	v_mul_f32_e32 v35, v4, v45
	s_waitcnt vmcnt(41) lgkmcnt(6)
	v_mul_f32_e32 v36, v6, v46
	s_waitcnt vmcnt(40)
	v_mul_f32_e32 v37, v8, v47
	;; [unrolled: 4-line block ×7, first 2 shown]
	s_waitcnt vmcnt(29)
	v_fmac_f32_e32 v34, v3, v58
	v_mul_f32_e32 v3, v3, v44
	v_fma_f32 v2, v2, v58, -v3
	v_mul_f32_e32 v3, v5, v45
	v_add_f32_e32 v2, 0, v2
	s_waitcnt vmcnt(28)
	v_fma_f32 v3, v4, v59, -v3
	v_add_f32_e32 v2, v2, v3
	v_mul_f32_e32 v3, v7, v46
	s_waitcnt vmcnt(27)
	v_fma_f32 v3, v6, v60, -v3
	v_add_f32_e32 v2, v2, v3
	v_mul_f32_e32 v3, v9, v47
	;; [unrolled: 4-line block ×4, first 2 shown]
	s_waitcnt vmcnt(24)
	v_fma_f32 v3, v12, v63, -v3
	v_fmac_f32_e32 v35, v5, v59
	v_add_f32_e32 v34, 0, v34
	v_add_f32_e32 v2, v2, v3
	v_mul_f32_e32 v3, v15, v50
	v_fmac_f32_e32 v36, v7, v60
	v_add_f32_e32 v34, v34, v35
	s_waitcnt vmcnt(23)
	v_fma_f32 v3, v14, v64, -v3
	v_fmac_f32_e32 v37, v9, v61
	v_add_f32_e32 v34, v34, v36
	v_add_f32_e32 v2, v2, v3
	v_mul_f32_e32 v3, v17, v51
	v_fmac_f32_e32 v38, v11, v62
	v_add_f32_e32 v34, v34, v37
	;; [unrolled: 8-line block ×4, first 2 shown]
	s_waitcnt vmcnt(20)
	v_fma_f32 v3, v20, v67, -v3
	v_fmac_f32_e32 v43, v21, v67
	v_add_f32_e32 v34, v34, v42
	v_add_f32_e32 v2, v2, v3
	v_mul_f32_e32 v3, v23, v54
	s_waitcnt vmcnt(19)
	v_fmac_f32_e32 v88, v23, v68
	v_add_f32_e32 v34, v34, v43
	v_fma_f32 v3, v22, v68, -v3
	s_waitcnt vmcnt(18)
	v_fmac_f32_e32 v89, v25, v69
	v_add_f32_e32 v34, v34, v88
	v_add_f32_e32 v2, v2, v3
	v_mul_f32_e32 v3, v25, v55
	s_waitcnt vmcnt(17)
	v_fmac_f32_e32 v90, v27, v70
	v_add_f32_e32 v34, v34, v89
	v_fma_f32 v3, v24, v69, -v3
	v_add_f32_e32 v34, v34, v90
	s_waitcnt vmcnt(16)
	v_fmac_f32_e32 v91, v29, v71
	s_waitcnt vmcnt(15) lgkmcnt(0)
	v_mul_f32_e32 v35, v30, v72
	v_add_f32_e32 v2, v2, v3
	v_mul_f32_e32 v3, v27, v56
	v_add_f32_e32 v34, v34, v91
	s_waitcnt vmcnt(14)
	v_fmac_f32_e32 v35, v31, v73
	v_fma_f32 v3, v26, v70, -v3
	v_add_f32_e32 v38, v34, v35
	ds_read2_b64 v[34:37], v1 offset0:123 offset1:124
	v_add_f32_e32 v2, v2, v3
	v_mul_f32_e32 v3, v29, v57
	v_fma_f32 v3, v28, v71, -v3
	v_add_f32_e32 v2, v2, v3
	v_mul_f32_e32 v3, v31, v72
	s_waitcnt vmcnt(13)
	v_mul_f32_e32 v39, v32, v74
	v_fma_f32 v3, v30, v73, -v3
	s_waitcnt vmcnt(12)
	v_fmac_f32_e32 v39, v33, v75
	v_add_f32_e32 v2, v2, v3
	v_mul_f32_e32 v3, v33, v74
	v_add_f32_e32 v42, v38, v39
	ds_read2_b64 v[38:41], v1 offset0:125 offset1:126
	s_waitcnt vmcnt(11) lgkmcnt(1)
	v_mul_f32_e32 v43, v34, v76
	v_fma_f32 v3, v32, v75, -v3
	s_waitcnt vmcnt(10)
	v_fmac_f32_e32 v43, v35, v77
	v_add_f32_e32 v2, v2, v3
	v_mul_f32_e32 v3, v35, v76
	v_add_f32_e32 v42, v42, v43
	s_waitcnt vmcnt(9)
	v_mul_f32_e32 v43, v36, v78
	v_fma_f32 v3, v34, v77, -v3
	s_waitcnt vmcnt(8)
	v_fmac_f32_e32 v43, v37, v79
	v_add_f32_e32 v2, v2, v3
	v_mul_f32_e32 v3, v37, v78
	v_add_f32_e32 v88, v42, v43
	ds_read_b64 v[42:43], v1 offset:1016
	v_fma_f32 v3, v36, v79, -v3
	v_add_f32_e32 v2, v2, v3
	s_waitcnt vmcnt(7) lgkmcnt(1)
	v_mul_f32_e32 v3, v39, v80
	v_mul_f32_e32 v89, v38, v80
	s_waitcnt vmcnt(6)
	v_fma_f32 v3, v38, v81, -v3
	v_fmac_f32_e32 v89, v39, v81
	v_add_f32_e32 v2, v2, v3
	s_waitcnt vmcnt(5)
	v_mul_f32_e32 v3, v41, v82
	v_add_f32_e32 v88, v88, v89
	v_mul_f32_e32 v89, v40, v82
	s_waitcnt vmcnt(4)
	v_fma_f32 v3, v40, v83, -v3
	v_fmac_f32_e32 v89, v41, v83
	v_add_f32_e32 v2, v2, v3
	s_waitcnt vmcnt(3) lgkmcnt(0)
	v_mul_f32_e32 v3, v43, v84
	v_add_f32_e32 v88, v88, v89
	v_mul_f32_e32 v89, v42, v84
	s_waitcnt vmcnt(2)
	v_fma_f32 v3, v42, v85, -v3
	v_fmac_f32_e32 v89, v43, v85
	v_add_f32_e32 v2, v2, v3
	v_add_f32_e32 v88, v88, v89
	s_waitcnt vmcnt(1)
	v_sub_f32_e32 v2, v86, v2
	s_waitcnt vmcnt(0)
	v_sub_f32_e32 v3, v87, v88
	buffer_store_dword v2, off, s[0:3], 0 offset:336
	buffer_store_dword v3, off, s[0:3], 0 offset:340
	s_and_saveexec_b64 s[4:5], vcc
	s_cbranch_execz .LBB127_315
; %bb.314:
	buffer_load_dword v2, off, s[0:3], 0 offset:328
	buffer_load_dword v3, off, s[0:3], 0 offset:332
	s_waitcnt vmcnt(0)
	ds_write_b64 v249, v[2:3]
	buffer_store_dword v1, off, s[0:3], 0 offset:328
	buffer_store_dword v1, off, s[0:3], 0 offset:332
.LBB127_315:
	s_or_b64 exec, exec, s[4:5]
	s_waitcnt lgkmcnt(0)
	; wave barrier
	buffer_load_dword v46, off, s[0:3], 0 offset:340
	buffer_load_dword v47, off, s[0:3], 0 offset:348
	;; [unrolled: 1-line block ×46, first 2 shown]
	ds_read_b128 v[2:5], v1 offset:848
	ds_read_b128 v[6:9], v1 offset:864
	;; [unrolled: 1-line block ×8, first 2 shown]
	v_cmp_lt_u32_e32 vcc, 40, v0
	s_waitcnt vmcnt(45) lgkmcnt(7)
	v_mul_f32_e32 v34, v2, v46
	s_waitcnt vmcnt(44)
	v_mul_f32_e32 v35, v4, v47
	s_waitcnt vmcnt(43) lgkmcnt(6)
	v_mul_f32_e32 v36, v6, v48
	s_waitcnt vmcnt(42)
	v_mul_f32_e32 v37, v8, v49
	;; [unrolled: 4-line block ×6, first 2 shown]
	s_waitcnt vmcnt(33) lgkmcnt(1)
	v_mul_f32_e32 v92, v26, v58
	s_waitcnt vmcnt(32)
	v_fmac_f32_e32 v34, v3, v59
	v_mul_f32_e32 v3, v3, v46
	v_fma_f32 v2, v2, v59, -v3
	v_mul_f32_e32 v3, v5, v47
	v_add_f32_e32 v2, 0, v2
	s_waitcnt vmcnt(31)
	v_fma_f32 v3, v4, v60, -v3
	v_add_f32_e32 v2, v2, v3
	v_mul_f32_e32 v3, v7, v48
	s_waitcnt vmcnt(30)
	v_fma_f32 v3, v6, v61, -v3
	v_add_f32_e32 v2, v2, v3
	v_mul_f32_e32 v3, v9, v49
	;; [unrolled: 4-line block ×4, first 2 shown]
	v_fmac_f32_e32 v35, v5, v60
	v_add_f32_e32 v34, 0, v34
	s_waitcnt vmcnt(27)
	v_fma_f32 v3, v12, v64, -v3
	v_fmac_f32_e32 v36, v7, v61
	v_add_f32_e32 v34, v34, v35
	v_add_f32_e32 v2, v2, v3
	v_mul_f32_e32 v3, v15, v52
	v_fmac_f32_e32 v37, v9, v62
	v_add_f32_e32 v34, v34, v36
	s_waitcnt vmcnt(26)
	v_fma_f32 v3, v14, v65, -v3
	v_fmac_f32_e32 v38, v11, v63
	v_add_f32_e32 v34, v34, v37
	v_add_f32_e32 v2, v2, v3
	v_mul_f32_e32 v3, v17, v53
	;; [unrolled: 8-line block ×4, first 2 shown]
	s_waitcnt vmcnt(23)
	v_fmac_f32_e32 v43, v21, v68
	v_add_f32_e32 v34, v34, v42
	v_fma_f32 v3, v20, v68, -v3
	s_waitcnt vmcnt(22)
	v_fmac_f32_e32 v44, v23, v69
	v_add_f32_e32 v34, v34, v43
	v_add_f32_e32 v2, v2, v3
	v_mul_f32_e32 v3, v23, v56
	s_waitcnt vmcnt(21)
	v_fmac_f32_e32 v45, v25, v70
	v_add_f32_e32 v34, v34, v44
	v_fma_f32 v3, v22, v69, -v3
	s_waitcnt vmcnt(20)
	v_fmac_f32_e32 v92, v27, v71
	v_add_f32_e32 v34, v34, v45
	s_waitcnt vmcnt(19)
	v_mul_f32_e32 v35, v28, v72
	v_add_f32_e32 v2, v2, v3
	v_mul_f32_e32 v3, v25, v57
	v_add_f32_e32 v34, v34, v92
	s_waitcnt vmcnt(18)
	v_fmac_f32_e32 v35, v29, v73
	v_fma_f32 v3, v24, v70, -v3
	v_add_f32_e32 v34, v34, v35
	s_waitcnt vmcnt(17) lgkmcnt(0)
	v_mul_f32_e32 v35, v30, v74
	v_add_f32_e32 v2, v2, v3
	v_mul_f32_e32 v3, v27, v58
	s_waitcnt vmcnt(16)
	v_fmac_f32_e32 v35, v31, v75
	v_fma_f32 v3, v26, v71, -v3
	v_add_f32_e32 v38, v34, v35
	ds_read_b128 v[34:37], v1 offset:976
	v_add_f32_e32 v2, v2, v3
	v_mul_f32_e32 v3, v29, v72
	v_fma_f32 v3, v28, v73, -v3
	v_add_f32_e32 v2, v2, v3
	v_mul_f32_e32 v3, v31, v74
	s_waitcnt vmcnt(15)
	v_mul_f32_e32 v39, v32, v76
	v_fma_f32 v3, v30, v75, -v3
	s_waitcnt vmcnt(14)
	v_fmac_f32_e32 v39, v33, v77
	v_add_f32_e32 v2, v2, v3
	v_mul_f32_e32 v3, v33, v76
	v_add_f32_e32 v42, v38, v39
	ds_read_b128 v[38:41], v1 offset:992
	s_waitcnt vmcnt(13) lgkmcnt(1)
	v_mul_f32_e32 v43, v34, v78
	v_fma_f32 v3, v32, v77, -v3
	s_waitcnt vmcnt(12)
	v_fmac_f32_e32 v43, v35, v79
	v_add_f32_e32 v2, v2, v3
	v_mul_f32_e32 v3, v35, v78
	v_add_f32_e32 v42, v42, v43
	s_waitcnt vmcnt(11)
	v_mul_f32_e32 v43, v36, v80
	v_fma_f32 v3, v34, v79, -v3
	s_waitcnt vmcnt(10)
	v_fmac_f32_e32 v43, v37, v81
	v_add_f32_e32 v2, v2, v3
	v_mul_f32_e32 v3, v37, v80
	v_add_f32_e32 v92, v42, v43
	ds_read_b128 v[42:45], v1 offset:1008
	v_fma_f32 v3, v36, v81, -v3
	v_add_f32_e32 v2, v2, v3
	s_waitcnt vmcnt(9) lgkmcnt(1)
	v_mul_f32_e32 v3, v39, v82
	v_mul_f32_e32 v93, v38, v82
	s_waitcnt vmcnt(8)
	v_fma_f32 v3, v38, v83, -v3
	v_fmac_f32_e32 v93, v39, v83
	v_add_f32_e32 v2, v2, v3
	s_waitcnt vmcnt(7)
	v_mul_f32_e32 v3, v41, v84
	v_add_f32_e32 v1, v92, v93
	v_mul_f32_e32 v92, v40, v84
	s_waitcnt vmcnt(6)
	v_fma_f32 v3, v40, v85, -v3
	v_fmac_f32_e32 v92, v41, v85
	v_add_f32_e32 v2, v2, v3
	s_waitcnt vmcnt(5) lgkmcnt(0)
	v_mul_f32_e32 v3, v43, v86
	v_add_f32_e32 v1, v1, v92
	v_mul_f32_e32 v92, v42, v86
	s_waitcnt vmcnt(4)
	v_fma_f32 v3, v42, v87, -v3
	v_fmac_f32_e32 v92, v43, v87
	v_add_f32_e32 v2, v2, v3
	s_waitcnt vmcnt(3)
	v_mul_f32_e32 v3, v45, v88
	v_add_f32_e32 v1, v1, v92
	v_mul_f32_e32 v92, v44, v88
	s_waitcnt vmcnt(2)
	v_fma_f32 v3, v44, v89, -v3
	v_fmac_f32_e32 v92, v45, v89
	v_add_f32_e32 v2, v2, v3
	v_add_f32_e32 v1, v1, v92
	s_waitcnt vmcnt(1)
	v_sub_f32_e32 v2, v90, v2
	s_waitcnt vmcnt(0)
	v_sub_f32_e32 v1, v91, v1
	buffer_store_dword v2, off, s[0:3], 0 offset:328
	buffer_store_dword v1, off, s[0:3], 0 offset:332
	s_and_saveexec_b64 s[4:5], vcc
	s_cbranch_execz .LBB127_317
; %bb.316:
	buffer_load_dword v1, off, s[0:3], 0 offset:320
	buffer_load_dword v2, off, s[0:3], 0 offset:324
	v_mov_b32_e32 v3, 0
	buffer_store_dword v3, off, s[0:3], 0 offset:320
	buffer_store_dword v3, off, s[0:3], 0 offset:324
	s_waitcnt vmcnt(2)
	ds_write_b64 v249, v[1:2]
.LBB127_317:
	s_or_b64 exec, exec, s[4:5]
	s_waitcnt lgkmcnt(0)
	; wave barrier
	buffer_load_dword v48, off, s[0:3], 0 offset:332
	buffer_load_dword v49, off, s[0:3], 0 offset:340
	;; [unrolled: 1-line block ×48, first 2 shown]
	v_mov_b32_e32 v1, 0
	ds_read2_b64 v[2:5], v1 offset0:105 offset1:106
	ds_read2_b64 v[6:9], v1 offset0:107 offset1:108
	;; [unrolled: 1-line block ×7, first 2 shown]
	v_cmp_lt_u32_e32 vcc, 39, v0
	s_waitcnt vmcnt(47) lgkmcnt(6)
	v_mul_f32_e32 v30, v2, v48
	s_waitcnt vmcnt(46)
	v_mul_f32_e32 v31, v4, v49
	s_waitcnt vmcnt(45) lgkmcnt(5)
	v_mul_f32_e32 v32, v6, v50
	s_waitcnt vmcnt(44)
	v_mul_f32_e32 v33, v8, v51
	;; [unrolled: 4-line block ×6, first 2 shown]
	s_waitcnt vmcnt(35)
	v_fmac_f32_e32 v30, v3, v60
	v_mul_f32_e32 v3, v3, v48
	v_fma_f32 v2, v2, v60, -v3
	v_mul_f32_e32 v3, v5, v49
	v_add_f32_e32 v2, 0, v2
	s_waitcnt vmcnt(34)
	v_fma_f32 v3, v4, v61, -v3
	v_add_f32_e32 v2, v2, v3
	v_mul_f32_e32 v3, v7, v50
	s_waitcnt vmcnt(33)
	v_fma_f32 v3, v6, v62, -v3
	v_fmac_f32_e32 v31, v5, v61
	v_add_f32_e32 v30, 0, v30
	v_add_f32_e32 v2, v2, v3
	v_mul_f32_e32 v3, v9, v51
	v_fmac_f32_e32 v32, v7, v62
	v_add_f32_e32 v30, v30, v31
	s_waitcnt vmcnt(32)
	v_fma_f32 v3, v8, v63, -v3
	v_fmac_f32_e32 v33, v9, v63
	v_add_f32_e32 v30, v30, v32
	v_add_f32_e32 v2, v2, v3
	v_mul_f32_e32 v3, v11, v52
	s_waitcnt vmcnt(31)
	v_fmac_f32_e32 v34, v11, v64
	v_add_f32_e32 v30, v30, v33
	v_fma_f32 v3, v10, v64, -v3
	s_waitcnt vmcnt(30)
	v_fmac_f32_e32 v35, v13, v65
	v_add_f32_e32 v30, v30, v34
	v_add_f32_e32 v2, v2, v3
	v_mul_f32_e32 v3, v13, v53
	s_waitcnt vmcnt(29)
	v_fmac_f32_e32 v36, v15, v66
	v_add_f32_e32 v30, v30, v35
	v_fma_f32 v3, v12, v65, -v3
	s_waitcnt vmcnt(28)
	;; [unrolled: 9-line block ×4, first 2 shown]
	v_fmac_f32_e32 v41, v25, v71
	v_add_f32_e32 v30, v30, v40
	v_add_f32_e32 v2, v2, v3
	v_mul_f32_e32 v3, v19, v56
	v_add_f32_e32 v34, v30, v41
	ds_read2_b64 v[30:33], v1 offset0:119 offset1:120
	v_fma_f32 v3, v18, v68, -v3
	s_waitcnt vmcnt(23) lgkmcnt(1)
	v_mul_f32_e32 v35, v26, v72
	v_add_f32_e32 v2, v2, v3
	v_mul_f32_e32 v3, v21, v57
	s_waitcnt vmcnt(22)
	v_fmac_f32_e32 v35, v27, v73
	v_fma_f32 v3, v20, v69, -v3
	v_add_f32_e32 v34, v34, v35
	s_waitcnt vmcnt(21)
	v_mul_f32_e32 v35, v28, v74
	v_add_f32_e32 v2, v2, v3
	v_mul_f32_e32 v3, v23, v58
	s_waitcnt vmcnt(20)
	v_fmac_f32_e32 v35, v29, v75
	v_fma_f32 v3, v22, v70, -v3
	v_add_f32_e32 v34, v34, v35
	s_waitcnt vmcnt(19) lgkmcnt(0)
	v_mul_f32_e32 v35, v30, v76
	v_add_f32_e32 v2, v2, v3
	v_mul_f32_e32 v3, v25, v59
	s_waitcnt vmcnt(18)
	v_fmac_f32_e32 v35, v31, v77
	v_fma_f32 v3, v24, v71, -v3
	v_add_f32_e32 v38, v34, v35
	ds_read2_b64 v[34:37], v1 offset0:121 offset1:122
	v_add_f32_e32 v2, v2, v3
	v_mul_f32_e32 v3, v27, v72
	v_fma_f32 v3, v26, v73, -v3
	s_waitcnt vmcnt(17)
	v_mul_f32_e32 v39, v32, v78
	v_add_f32_e32 v2, v2, v3
	v_mul_f32_e32 v3, v29, v74
	s_waitcnt vmcnt(16)
	v_fmac_f32_e32 v39, v33, v79
	v_fma_f32 v3, v28, v75, -v3
	v_add_f32_e32 v42, v38, v39
	ds_read2_b64 v[38:41], v1 offset0:123 offset1:124
	v_add_f32_e32 v2, v2, v3
	v_mul_f32_e32 v3, v31, v76
	s_waitcnt vmcnt(15) lgkmcnt(1)
	v_mul_f32_e32 v43, v34, v80
	v_fma_f32 v3, v30, v77, -v3
	s_waitcnt vmcnt(14)
	v_fmac_f32_e32 v43, v35, v81
	v_add_f32_e32 v2, v2, v3
	v_mul_f32_e32 v3, v33, v78
	v_add_f32_e32 v42, v42, v43
	s_waitcnt vmcnt(13)
	v_mul_f32_e32 v43, v36, v82
	v_fma_f32 v3, v32, v79, -v3
	s_waitcnt vmcnt(12)
	v_fmac_f32_e32 v43, v37, v83
	v_add_f32_e32 v2, v2, v3
	v_mul_f32_e32 v3, v35, v80
	v_add_f32_e32 v42, v42, v43
	s_waitcnt vmcnt(11) lgkmcnt(0)
	v_mul_f32_e32 v43, v38, v84
	v_fma_f32 v3, v34, v81, -v3
	s_waitcnt vmcnt(10)
	v_fmac_f32_e32 v43, v39, v85
	v_add_f32_e32 v2, v2, v3
	v_mul_f32_e32 v3, v37, v82
	v_add_f32_e32 v46, v42, v43
	ds_read2_b64 v[42:45], v1 offset0:125 offset1:126
	v_fma_f32 v3, v36, v83, -v3
	v_add_f32_e32 v2, v2, v3
	v_mul_f32_e32 v3, v39, v84
	s_waitcnt vmcnt(9)
	v_mul_f32_e32 v47, v40, v86
	v_fma_f32 v3, v38, v85, -v3
	s_waitcnt vmcnt(8)
	v_fmac_f32_e32 v47, v41, v87
	v_add_f32_e32 v2, v2, v3
	v_mul_f32_e32 v3, v41, v86
	v_add_f32_e32 v96, v46, v47
	ds_read_b64 v[46:47], v1 offset:1016
	v_fma_f32 v3, v40, v87, -v3
	v_add_f32_e32 v2, v2, v3
	s_waitcnt vmcnt(6) lgkmcnt(1)
	v_mul_f32_e32 v3, v43, v89
	v_mul_f32_e32 v97, v42, v89
	v_fma_f32 v3, v42, v88, -v3
	v_fmac_f32_e32 v97, v43, v88
	v_add_f32_e32 v2, v2, v3
	s_waitcnt vmcnt(3)
	v_mul_f32_e32 v3, v45, v92
	v_add_f32_e32 v96, v96, v97
	v_mul_f32_e32 v97, v44, v92
	s_waitcnt vmcnt(2)
	v_fma_f32 v3, v44, v93, -v3
	v_fmac_f32_e32 v97, v45, v93
	v_add_f32_e32 v2, v2, v3
	s_waitcnt vmcnt(0) lgkmcnt(0)
	v_mul_f32_e32 v3, v47, v95
	v_add_f32_e32 v96, v96, v97
	v_mul_f32_e32 v97, v46, v95
	v_fma_f32 v3, v46, v94, -v3
	v_fmac_f32_e32 v97, v47, v94
	v_add_f32_e32 v2, v2, v3
	v_add_f32_e32 v96, v96, v97
	v_sub_f32_e32 v2, v90, v2
	v_sub_f32_e32 v3, v91, v96
	buffer_store_dword v2, off, s[0:3], 0 offset:320
	buffer_store_dword v3, off, s[0:3], 0 offset:324
	s_and_saveexec_b64 s[4:5], vcc
	s_cbranch_execz .LBB127_319
; %bb.318:
	buffer_load_dword v2, off, s[0:3], 0 offset:312
	buffer_load_dword v3, off, s[0:3], 0 offset:316
	s_waitcnt vmcnt(0)
	ds_write_b64 v249, v[2:3]
	buffer_store_dword v1, off, s[0:3], 0 offset:312
	buffer_store_dword v1, off, s[0:3], 0 offset:316
.LBB127_319:
	s_or_b64 exec, exec, s[4:5]
	s_waitcnt lgkmcnt(0)
	; wave barrier
	buffer_load_dword v50, off, s[0:3], 0 offset:324
	buffer_load_dword v51, off, s[0:3], 0 offset:332
	;; [unrolled: 1-line block ×48, first 2 shown]
	ds_read_b128 v[2:5], v1 offset:832
	ds_read_b128 v[6:9], v1 offset:848
	buffer_load_dword v98, off, s[0:3], 0 offset:504
	buffer_load_dword v99, off, s[0:3], 0 offset:508
	ds_read_b128 v[10:13], v1 offset:864
	ds_read_b128 v[14:17], v1 offset:880
	;; [unrolled: 1-line block ×5, first 2 shown]
	v_cmp_lt_u32_e32 vcc, 38, v0
	s_waitcnt vmcnt(49) lgkmcnt(6)
	v_mul_f32_e32 v30, v2, v50
	s_waitcnt vmcnt(48)
	v_mul_f32_e32 v31, v4, v51
	s_waitcnt vmcnt(47) lgkmcnt(5)
	v_mul_f32_e32 v32, v6, v52
	s_waitcnt vmcnt(46)
	v_mul_f32_e32 v33, v8, v53
	s_waitcnt vmcnt(45) lgkmcnt(4)
	v_mul_f32_e32 v34, v10, v54
	s_waitcnt vmcnt(44)
	v_mul_f32_e32 v35, v12, v55
	s_waitcnt vmcnt(43) lgkmcnt(3)
	v_mul_f32_e32 v36, v14, v56
	s_waitcnt vmcnt(42)
	v_mul_f32_e32 v37, v16, v57
	s_waitcnt vmcnt(41) lgkmcnt(2)
	v_mul_f32_e32 v38, v18, v58
	s_waitcnt vmcnt(40)
	v_mul_f32_e32 v39, v20, v59
	s_waitcnt vmcnt(39) lgkmcnt(1)
	v_mul_f32_e32 v40, v22, v60
	s_waitcnt vmcnt(38)
	v_mul_f32_e32 v41, v24, v61
	s_waitcnt vmcnt(37)
	v_fmac_f32_e32 v30, v3, v62
	v_mul_f32_e32 v3, v3, v50
	v_fma_f32 v2, v2, v62, -v3
	v_mul_f32_e32 v3, v5, v51
	v_add_f32_e32 v2, 0, v2
	s_waitcnt vmcnt(36)
	v_fma_f32 v3, v4, v63, -v3
	v_add_f32_e32 v2, v2, v3
	v_mul_f32_e32 v3, v7, v52
	s_waitcnt vmcnt(35)
	v_fma_f32 v3, v6, v64, -v3
	v_fmac_f32_e32 v31, v5, v63
	v_add_f32_e32 v30, 0, v30
	v_add_f32_e32 v2, v2, v3
	v_mul_f32_e32 v3, v9, v53
	v_fmac_f32_e32 v32, v7, v64
	v_add_f32_e32 v30, v30, v31
	s_waitcnt vmcnt(34)
	v_fma_f32 v3, v8, v65, -v3
	v_fmac_f32_e32 v33, v9, v65
	v_add_f32_e32 v30, v30, v32
	v_add_f32_e32 v2, v2, v3
	v_mul_f32_e32 v3, v11, v54
	s_waitcnt vmcnt(33)
	v_fmac_f32_e32 v34, v11, v66
	v_add_f32_e32 v30, v30, v33
	v_fma_f32 v3, v10, v66, -v3
	s_waitcnt vmcnt(32)
	v_fmac_f32_e32 v35, v13, v67
	v_add_f32_e32 v30, v30, v34
	v_add_f32_e32 v2, v2, v3
	v_mul_f32_e32 v3, v13, v55
	s_waitcnt vmcnt(31)
	v_fmac_f32_e32 v36, v15, v68
	v_add_f32_e32 v30, v30, v35
	v_fma_f32 v3, v12, v67, -v3
	s_waitcnt vmcnt(30)
	v_fmac_f32_e32 v37, v17, v69
	v_add_f32_e32 v30, v30, v36
	v_add_f32_e32 v2, v2, v3
	v_mul_f32_e32 v3, v15, v56
	s_waitcnt vmcnt(29)
	v_fmac_f32_e32 v38, v19, v70
	v_add_f32_e32 v30, v30, v37
	v_fma_f32 v3, v14, v68, -v3
	s_waitcnt vmcnt(28)
	v_fmac_f32_e32 v39, v21, v71
	v_add_f32_e32 v30, v30, v38
	v_add_f32_e32 v2, v2, v3
	v_mul_f32_e32 v3, v17, v57
	s_waitcnt vmcnt(27)
	v_fmac_f32_e32 v40, v23, v72
	v_add_f32_e32 v30, v30, v39
	v_fma_f32 v3, v16, v69, -v3
	v_add_f32_e32 v30, v30, v40
	s_waitcnt vmcnt(26)
	v_fmac_f32_e32 v41, v25, v73
	v_add_f32_e32 v2, v2, v3
	v_mul_f32_e32 v3, v19, v58
	v_add_f32_e32 v34, v30, v41
	ds_read_b128 v[30:33], v1 offset:944
	v_fma_f32 v3, v18, v70, -v3
	s_waitcnt vmcnt(25) lgkmcnt(1)
	v_mul_f32_e32 v35, v26, v74
	v_add_f32_e32 v2, v2, v3
	v_mul_f32_e32 v3, v21, v59
	s_waitcnt vmcnt(24)
	v_fmac_f32_e32 v35, v27, v75
	v_fma_f32 v3, v20, v71, -v3
	v_add_f32_e32 v34, v34, v35
	s_waitcnt vmcnt(23)
	v_mul_f32_e32 v35, v28, v76
	v_add_f32_e32 v2, v2, v3
	v_mul_f32_e32 v3, v23, v60
	s_waitcnt vmcnt(22)
	v_fmac_f32_e32 v35, v29, v77
	v_fma_f32 v3, v22, v72, -v3
	v_add_f32_e32 v34, v34, v35
	s_waitcnt vmcnt(21) lgkmcnt(0)
	v_mul_f32_e32 v35, v30, v78
	v_add_f32_e32 v2, v2, v3
	v_mul_f32_e32 v3, v25, v61
	s_waitcnt vmcnt(20)
	v_fmac_f32_e32 v35, v31, v79
	v_fma_f32 v3, v24, v73, -v3
	v_add_f32_e32 v38, v34, v35
	ds_read_b128 v[34:37], v1 offset:960
	v_add_f32_e32 v2, v2, v3
	v_mul_f32_e32 v3, v27, v74
	v_fma_f32 v3, v26, v75, -v3
	s_waitcnt vmcnt(19)
	v_mul_f32_e32 v39, v32, v80
	v_add_f32_e32 v2, v2, v3
	v_mul_f32_e32 v3, v29, v76
	s_waitcnt vmcnt(18)
	v_fmac_f32_e32 v39, v33, v81
	v_fma_f32 v3, v28, v77, -v3
	v_add_f32_e32 v42, v38, v39
	ds_read_b128 v[38:41], v1 offset:976
	v_add_f32_e32 v2, v2, v3
	v_mul_f32_e32 v3, v31, v78
	s_waitcnt vmcnt(17) lgkmcnt(1)
	v_mul_f32_e32 v43, v34, v82
	v_fma_f32 v3, v30, v79, -v3
	s_waitcnt vmcnt(16)
	v_fmac_f32_e32 v43, v35, v83
	v_add_f32_e32 v2, v2, v3
	v_mul_f32_e32 v3, v33, v80
	v_add_f32_e32 v42, v42, v43
	s_waitcnt vmcnt(15)
	v_mul_f32_e32 v43, v36, v84
	v_fma_f32 v3, v32, v81, -v3
	s_waitcnt vmcnt(14)
	v_fmac_f32_e32 v43, v37, v85
	v_add_f32_e32 v2, v2, v3
	v_mul_f32_e32 v3, v35, v82
	v_add_f32_e32 v42, v42, v43
	s_waitcnt vmcnt(13) lgkmcnt(0)
	v_mul_f32_e32 v43, v38, v86
	v_fma_f32 v3, v34, v83, -v3
	s_waitcnt vmcnt(12)
	v_fmac_f32_e32 v43, v39, v87
	v_add_f32_e32 v2, v2, v3
	v_mul_f32_e32 v3, v37, v84
	v_add_f32_e32 v46, v42, v43
	ds_read_b128 v[42:45], v1 offset:992
	v_fma_f32 v3, v36, v85, -v3
	v_add_f32_e32 v2, v2, v3
	v_mul_f32_e32 v3, v39, v86
	s_waitcnt vmcnt(11)
	v_mul_f32_e32 v47, v40, v88
	v_fma_f32 v3, v38, v87, -v3
	s_waitcnt vmcnt(10)
	v_fmac_f32_e32 v47, v41, v89
	v_add_f32_e32 v2, v2, v3
	v_mul_f32_e32 v3, v41, v88
	v_add_f32_e32 v100, v46, v47
	ds_read_b128 v[46:49], v1 offset:1008
	v_fma_f32 v3, v40, v89, -v3
	v_add_f32_e32 v2, v2, v3
	s_waitcnt vmcnt(7) lgkmcnt(1)
	v_mul_f32_e32 v3, v43, v92
	v_mul_f32_e32 v1, v42, v92
	s_waitcnt vmcnt(6)
	v_fma_f32 v3, v42, v93, -v3
	v_fmac_f32_e32 v1, v43, v93
	v_add_f32_e32 v2, v2, v3
	s_waitcnt vmcnt(4)
	v_mul_f32_e32 v3, v45, v95
	v_add_f32_e32 v1, v100, v1
	v_mul_f32_e32 v100, v44, v95
	v_fma_f32 v3, v44, v94, -v3
	v_fmac_f32_e32 v100, v45, v94
	v_add_f32_e32 v2, v2, v3
	s_waitcnt vmcnt(2) lgkmcnt(0)
	v_mul_f32_e32 v3, v47, v97
	v_add_f32_e32 v1, v1, v100
	v_mul_f32_e32 v100, v46, v97
	v_fma_f32 v3, v46, v96, -v3
	v_fmac_f32_e32 v100, v47, v96
	v_add_f32_e32 v2, v2, v3
	s_waitcnt vmcnt(0)
	v_mul_f32_e32 v3, v49, v99
	v_add_f32_e32 v1, v1, v100
	v_mul_f32_e32 v100, v48, v99
	v_fma_f32 v3, v48, v98, -v3
	v_fmac_f32_e32 v100, v49, v98
	v_add_f32_e32 v2, v2, v3
	v_add_f32_e32 v1, v1, v100
	v_sub_f32_e32 v2, v90, v2
	v_sub_f32_e32 v1, v91, v1
	buffer_store_dword v2, off, s[0:3], 0 offset:312
	buffer_store_dword v1, off, s[0:3], 0 offset:316
	s_and_saveexec_b64 s[4:5], vcc
	s_cbranch_execz .LBB127_321
; %bb.320:
	buffer_load_dword v1, off, s[0:3], 0 offset:304
	buffer_load_dword v2, off, s[0:3], 0 offset:308
	v_mov_b32_e32 v3, 0
	buffer_store_dword v3, off, s[0:3], 0 offset:304
	buffer_store_dword v3, off, s[0:3], 0 offset:308
	s_waitcnt vmcnt(2)
	ds_write_b64 v249, v[1:2]
.LBB127_321:
	s_or_b64 exec, exec, s[4:5]
	s_waitcnt lgkmcnt(0)
	; wave barrier
	buffer_load_dword v52, off, s[0:3], 0 offset:316
	buffer_load_dword v53, off, s[0:3], 0 offset:324
	;; [unrolled: 1-line block ×52, first 2 shown]
	v_mov_b32_e32 v1, 0
	ds_read2_b64 v[2:5], v1 offset0:103 offset1:104
	ds_read2_b64 v[6:9], v1 offset0:105 offset1:106
	;; [unrolled: 1-line block ×6, first 2 shown]
	v_cmp_lt_u32_e32 vcc, 37, v0
	s_waitcnt vmcnt(51) lgkmcnt(5)
	v_mul_f32_e32 v26, v2, v52
	s_waitcnt vmcnt(50)
	v_mul_f32_e32 v27, v4, v53
	s_waitcnt vmcnt(49) lgkmcnt(4)
	v_mul_f32_e32 v28, v6, v54
	s_waitcnt vmcnt(48)
	v_mul_f32_e32 v29, v8, v55
	;; [unrolled: 4-line block ×5, first 2 shown]
	s_waitcnt vmcnt(41) lgkmcnt(0)
	v_mul_f32_e32 v36, v22, v62
	s_waitcnt vmcnt(40)
	v_fmac_f32_e32 v26, v3, v63
	v_mul_f32_e32 v3, v3, v52
	s_waitcnt vmcnt(39)
	v_fmac_f32_e32 v27, v5, v64
	v_add_f32_e32 v26, 0, v26
	v_fma_f32 v2, v2, v63, -v3
	v_mul_f32_e32 v3, v5, v53
	s_waitcnt vmcnt(38)
	v_fmac_f32_e32 v28, v7, v65
	v_add_f32_e32 v26, v26, v27
	v_add_f32_e32 v2, 0, v2
	v_fma_f32 v3, v4, v64, -v3
	s_waitcnt vmcnt(37)
	v_fmac_f32_e32 v29, v9, v66
	v_add_f32_e32 v26, v26, v28
	v_add_f32_e32 v2, v2, v3
	v_mul_f32_e32 v3, v7, v54
	s_waitcnt vmcnt(36)
	v_fmac_f32_e32 v30, v11, v67
	v_add_f32_e32 v26, v26, v29
	v_fma_f32 v3, v6, v65, -v3
	s_waitcnt vmcnt(35)
	v_fmac_f32_e32 v31, v13, v68
	v_add_f32_e32 v26, v26, v30
	v_add_f32_e32 v2, v2, v3
	v_mul_f32_e32 v3, v9, v55
	s_waitcnt vmcnt(34)
	v_fmac_f32_e32 v32, v15, v69
	;; [unrolled: 9-line block ×3, first 2 shown]
	v_add_f32_e32 v26, v26, v33
	v_fma_f32 v3, v10, v67, -v3
	s_waitcnt vmcnt(31)
	v_fmac_f32_e32 v35, v21, v72
	v_add_f32_e32 v26, v26, v34
	v_add_f32_e32 v2, v2, v3
	v_mul_f32_e32 v3, v13, v57
	v_add_f32_e32 v26, v26, v35
	s_waitcnt vmcnt(30)
	v_fmac_f32_e32 v36, v23, v73
	v_fma_f32 v3, v12, v68, -v3
	v_add_f32_e32 v30, v26, v36
	ds_read2_b64 v[26:29], v1 offset0:115 offset1:116
	v_add_f32_e32 v2, v2, v3
	v_mul_f32_e32 v3, v15, v58
	v_fma_f32 v3, v14, v69, -v3
	s_waitcnt vmcnt(29)
	v_mul_f32_e32 v31, v24, v74
	v_add_f32_e32 v2, v2, v3
	v_mul_f32_e32 v3, v17, v59
	s_waitcnt vmcnt(28)
	v_fmac_f32_e32 v31, v25, v75
	v_fma_f32 v3, v16, v70, -v3
	v_add_f32_e32 v34, v30, v31
	ds_read2_b64 v[30:33], v1 offset0:117 offset1:118
	v_add_f32_e32 v2, v2, v3
	v_mul_f32_e32 v3, v19, v60
	s_waitcnt vmcnt(27) lgkmcnt(1)
	v_mul_f32_e32 v35, v26, v76
	v_fma_f32 v3, v18, v71, -v3
	s_waitcnt vmcnt(26)
	v_fmac_f32_e32 v35, v27, v77
	v_add_f32_e32 v2, v2, v3
	v_mul_f32_e32 v3, v21, v61
	v_add_f32_e32 v34, v34, v35
	s_waitcnt vmcnt(25)
	v_mul_f32_e32 v35, v28, v78
	v_fma_f32 v3, v20, v72, -v3
	s_waitcnt vmcnt(24)
	v_fmac_f32_e32 v35, v29, v79
	v_add_f32_e32 v2, v2, v3
	v_mul_f32_e32 v3, v23, v62
	v_add_f32_e32 v34, v34, v35
	s_waitcnt vmcnt(23) lgkmcnt(0)
	v_mul_f32_e32 v35, v30, v80
	v_fma_f32 v3, v22, v73, -v3
	s_waitcnt vmcnt(22)
	v_fmac_f32_e32 v35, v31, v81
	v_add_f32_e32 v2, v2, v3
	v_mul_f32_e32 v3, v25, v74
	v_add_f32_e32 v38, v34, v35
	ds_read2_b64 v[34:37], v1 offset0:119 offset1:120
	v_fma_f32 v3, v24, v75, -v3
	v_add_f32_e32 v2, v2, v3
	v_mul_f32_e32 v3, v27, v76
	s_waitcnt vmcnt(21)
	v_mul_f32_e32 v39, v32, v82
	v_fma_f32 v3, v26, v77, -v3
	s_waitcnt vmcnt(20)
	v_fmac_f32_e32 v39, v33, v83
	v_add_f32_e32 v2, v2, v3
	v_mul_f32_e32 v3, v29, v78
	v_add_f32_e32 v42, v38, v39
	ds_read2_b64 v[38:41], v1 offset0:121 offset1:122
	v_fma_f32 v3, v28, v79, -v3
	s_waitcnt vmcnt(19) lgkmcnt(1)
	v_mul_f32_e32 v43, v34, v84
	v_add_f32_e32 v2, v2, v3
	v_mul_f32_e32 v3, v31, v80
	s_waitcnt vmcnt(18)
	v_fmac_f32_e32 v43, v35, v85
	v_fma_f32 v3, v30, v81, -v3
	v_add_f32_e32 v42, v42, v43
	s_waitcnt vmcnt(17)
	v_mul_f32_e32 v43, v36, v86
	v_add_f32_e32 v2, v2, v3
	v_mul_f32_e32 v3, v33, v82
	s_waitcnt vmcnt(16)
	v_fmac_f32_e32 v43, v37, v87
	v_fma_f32 v3, v32, v83, -v3
	v_add_f32_e32 v42, v42, v43
	s_waitcnt vmcnt(14) lgkmcnt(0)
	v_mul_f32_e32 v43, v38, v89
	v_add_f32_e32 v2, v2, v3
	v_mul_f32_e32 v3, v35, v84
	v_fmac_f32_e32 v43, v39, v88
	v_fma_f32 v3, v34, v85, -v3
	v_add_f32_e32 v46, v42, v43
	ds_read2_b64 v[42:45], v1 offset0:123 offset1:124
	v_add_f32_e32 v2, v2, v3
	v_mul_f32_e32 v3, v37, v86
	v_fma_f32 v3, v36, v87, -v3
	v_add_f32_e32 v2, v2, v3
	v_mul_f32_e32 v3, v39, v89
	s_waitcnt vmcnt(11)
	v_mul_f32_e32 v47, v40, v92
	v_fma_f32 v3, v38, v88, -v3
	s_waitcnt vmcnt(10)
	v_fmac_f32_e32 v47, v41, v93
	v_add_f32_e32 v2, v2, v3
	v_mul_f32_e32 v3, v41, v92
	v_add_f32_e32 v50, v46, v47
	ds_read2_b64 v[46:49], v1 offset0:125 offset1:126
	s_waitcnt vmcnt(8) lgkmcnt(1)
	v_mul_f32_e32 v51, v42, v95
	v_fma_f32 v3, v40, v93, -v3
	v_fmac_f32_e32 v51, v43, v94
	v_add_f32_e32 v2, v2, v3
	v_mul_f32_e32 v3, v43, v95
	v_add_f32_e32 v50, v50, v51
	s_waitcnt vmcnt(6)
	v_mul_f32_e32 v51, v44, v97
	v_fma_f32 v3, v42, v94, -v3
	v_fmac_f32_e32 v51, v45, v96
	v_add_f32_e32 v2, v2, v3
	v_mul_f32_e32 v3, v45, v97
	v_add_f32_e32 v104, v50, v51
	ds_read_b64 v[50:51], v1 offset:1016
	v_fma_f32 v3, v44, v96, -v3
	v_add_f32_e32 v2, v2, v3
	s_waitcnt vmcnt(4) lgkmcnt(1)
	v_mul_f32_e32 v3, v47, v99
	v_mul_f32_e32 v105, v46, v99
	v_fma_f32 v3, v46, v98, -v3
	v_fmac_f32_e32 v105, v47, v98
	v_add_f32_e32 v2, v2, v3
	s_waitcnt vmcnt(2)
	v_mul_f32_e32 v3, v49, v101
	v_add_f32_e32 v104, v104, v105
	v_mul_f32_e32 v105, v48, v101
	v_fma_f32 v3, v48, v100, -v3
	v_fmac_f32_e32 v105, v49, v100
	v_add_f32_e32 v2, v2, v3
	s_waitcnt vmcnt(0) lgkmcnt(0)
	v_mul_f32_e32 v3, v51, v103
	v_add_f32_e32 v104, v104, v105
	v_mul_f32_e32 v105, v50, v103
	v_fma_f32 v3, v50, v102, -v3
	v_fmac_f32_e32 v105, v51, v102
	v_add_f32_e32 v2, v2, v3
	v_add_f32_e32 v104, v104, v105
	v_sub_f32_e32 v2, v90, v2
	v_sub_f32_e32 v3, v91, v104
	buffer_store_dword v2, off, s[0:3], 0 offset:304
	buffer_store_dword v3, off, s[0:3], 0 offset:308
	s_and_saveexec_b64 s[4:5], vcc
	s_cbranch_execz .LBB127_323
; %bb.322:
	buffer_load_dword v2, off, s[0:3], 0 offset:296
	buffer_load_dword v3, off, s[0:3], 0 offset:300
	s_waitcnt vmcnt(0)
	ds_write_b64 v249, v[2:3]
	buffer_store_dword v1, off, s[0:3], 0 offset:296
	buffer_store_dword v1, off, s[0:3], 0 offset:300
.LBB127_323:
	s_or_b64 exec, exec, s[4:5]
	s_waitcnt lgkmcnt(0)
	; wave barrier
	buffer_load_dword v54, off, s[0:3], 0 offset:308
	buffer_load_dword v55, off, s[0:3], 0 offset:316
	;; [unrolled: 1-line block ×42, first 2 shown]
	ds_read_b128 v[2:5], v1 offset:816
	ds_read_b128 v[6:9], v1 offset:832
	;; [unrolled: 1-line block ×4, first 2 shown]
	buffer_load_dword v96, off, s[0:3], 0 offset:468
	buffer_load_dword v97, off, s[0:3], 0 offset:464
	;; [unrolled: 1-line block ×6, first 2 shown]
	ds_read_b128 v[18:21], v1 offset:880
	ds_read_b128 v[22:25], v1 offset:896
	buffer_load_dword v102, off, s[0:3], 0 offset:488
	buffer_load_dword v103, off, s[0:3], 0 offset:492
	;; [unrolled: 1-line block ×6, first 2 shown]
	v_cmp_lt_u32_e32 vcc, 36, v0
	s_waitcnt vmcnt(53) lgkmcnt(5)
	v_mul_f32_e32 v26, v2, v54
	s_waitcnt vmcnt(52)
	v_mul_f32_e32 v27, v4, v55
	s_waitcnt vmcnt(51) lgkmcnt(4)
	v_mul_f32_e32 v28, v6, v56
	s_waitcnt vmcnt(50)
	v_mul_f32_e32 v29, v8, v57
	s_waitcnt vmcnt(49) lgkmcnt(3)
	v_mul_f32_e32 v30, v10, v58
	s_waitcnt vmcnt(48)
	v_mul_f32_e32 v31, v12, v59
	s_waitcnt vmcnt(47) lgkmcnt(2)
	v_mul_f32_e32 v32, v14, v60
	s_waitcnt vmcnt(46)
	v_mul_f32_e32 v33, v16, v61
	s_waitcnt vmcnt(45) lgkmcnt(1)
	v_mul_f32_e32 v34, v18, v62
	s_waitcnt vmcnt(44)
	v_mul_f32_e32 v35, v20, v63
	s_waitcnt vmcnt(43)
	v_fmac_f32_e32 v26, v3, v64
	v_mul_f32_e32 v3, v3, v54
	s_waitcnt vmcnt(42)
	v_fmac_f32_e32 v27, v5, v65
	v_add_f32_e32 v26, 0, v26
	v_fma_f32 v2, v2, v64, -v3
	v_mul_f32_e32 v3, v5, v55
	s_waitcnt vmcnt(41)
	v_fmac_f32_e32 v28, v7, v66
	v_add_f32_e32 v26, v26, v27
	v_add_f32_e32 v2, 0, v2
	v_fma_f32 v3, v4, v65, -v3
	s_waitcnt vmcnt(40)
	v_fmac_f32_e32 v29, v9, v67
	v_add_f32_e32 v26, v26, v28
	v_add_f32_e32 v2, v2, v3
	v_mul_f32_e32 v3, v7, v56
	s_waitcnt vmcnt(39)
	v_fmac_f32_e32 v30, v11, v68
	v_add_f32_e32 v26, v26, v29
	v_fma_f32 v3, v6, v66, -v3
	s_waitcnt vmcnt(38)
	v_fmac_f32_e32 v31, v13, v69
	v_add_f32_e32 v26, v26, v30
	v_add_f32_e32 v2, v2, v3
	v_mul_f32_e32 v3, v9, v57
	s_waitcnt vmcnt(37)
	v_fmac_f32_e32 v32, v15, v70
	;; [unrolled: 9-line block ×3, first 2 shown]
	v_add_f32_e32 v26, v26, v33
	v_fma_f32 v3, v10, v68, -v3
	s_waitcnt vmcnt(34)
	v_fmac_f32_e32 v35, v21, v73
	v_add_f32_e32 v26, v26, v34
	s_waitcnt vmcnt(33) lgkmcnt(0)
	v_mul_f32_e32 v27, v22, v74
	v_add_f32_e32 v2, v2, v3
	v_mul_f32_e32 v3, v13, v59
	v_add_f32_e32 v26, v26, v35
	s_waitcnt vmcnt(32)
	v_fmac_f32_e32 v27, v23, v75
	v_fma_f32 v3, v12, v69, -v3
	v_add_f32_e32 v30, v26, v27
	ds_read_b128 v[26:29], v1 offset:912
	v_add_f32_e32 v2, v2, v3
	v_mul_f32_e32 v3, v15, v60
	v_fma_f32 v3, v14, v70, -v3
	s_waitcnt vmcnt(31)
	v_mul_f32_e32 v31, v24, v76
	v_add_f32_e32 v2, v2, v3
	v_mul_f32_e32 v3, v17, v61
	s_waitcnt vmcnt(30)
	v_fmac_f32_e32 v31, v25, v77
	v_fma_f32 v3, v16, v71, -v3
	v_add_f32_e32 v34, v30, v31
	ds_read_b128 v[30:33], v1 offset:928
	v_add_f32_e32 v2, v2, v3
	v_mul_f32_e32 v3, v19, v62
	s_waitcnt vmcnt(29) lgkmcnt(1)
	v_mul_f32_e32 v35, v26, v78
	v_fma_f32 v3, v18, v72, -v3
	s_waitcnt vmcnt(28)
	v_fmac_f32_e32 v35, v27, v79
	v_add_f32_e32 v2, v2, v3
	v_mul_f32_e32 v3, v21, v63
	v_add_f32_e32 v34, v34, v35
	s_waitcnt vmcnt(27)
	v_mul_f32_e32 v35, v28, v80
	v_fma_f32 v3, v20, v73, -v3
	s_waitcnt vmcnt(26)
	v_fmac_f32_e32 v35, v29, v81
	v_add_f32_e32 v2, v2, v3
	v_mul_f32_e32 v3, v23, v74
	v_add_f32_e32 v34, v34, v35
	s_waitcnt vmcnt(25) lgkmcnt(0)
	v_mul_f32_e32 v35, v30, v82
	v_fma_f32 v3, v22, v75, -v3
	s_waitcnt vmcnt(24)
	v_fmac_f32_e32 v35, v31, v83
	v_add_f32_e32 v2, v2, v3
	v_mul_f32_e32 v3, v25, v76
	v_add_f32_e32 v38, v34, v35
	ds_read_b128 v[34:37], v1 offset:944
	v_fma_f32 v3, v24, v77, -v3
	v_add_f32_e32 v2, v2, v3
	v_mul_f32_e32 v3, v27, v78
	s_waitcnt vmcnt(23)
	v_mul_f32_e32 v39, v32, v84
	v_fma_f32 v3, v26, v79, -v3
	s_waitcnt vmcnt(22)
	v_fmac_f32_e32 v39, v33, v85
	v_add_f32_e32 v2, v2, v3
	v_mul_f32_e32 v3, v29, v80
	v_add_f32_e32 v42, v38, v39
	ds_read_b128 v[38:41], v1 offset:960
	v_fma_f32 v3, v28, v81, -v3
	s_waitcnt vmcnt(21) lgkmcnt(1)
	v_mul_f32_e32 v43, v34, v86
	v_add_f32_e32 v2, v2, v3
	v_mul_f32_e32 v3, v31, v82
	s_waitcnt vmcnt(20)
	v_fmac_f32_e32 v43, v35, v87
	v_fma_f32 v3, v30, v83, -v3
	v_add_f32_e32 v42, v42, v43
	s_waitcnt vmcnt(18)
	v_mul_f32_e32 v43, v36, v89
	v_add_f32_e32 v2, v2, v3
	v_mul_f32_e32 v3, v33, v84
	v_fmac_f32_e32 v43, v37, v88
	v_fma_f32 v3, v32, v85, -v3
	v_add_f32_e32 v42, v42, v43
	s_waitcnt vmcnt(15) lgkmcnt(0)
	v_mul_f32_e32 v43, v38, v92
	v_add_f32_e32 v2, v2, v3
	v_mul_f32_e32 v3, v35, v86
	s_waitcnt vmcnt(14)
	v_fmac_f32_e32 v43, v39, v93
	v_fma_f32 v3, v34, v87, -v3
	v_add_f32_e32 v46, v42, v43
	ds_read_b128 v[42:45], v1 offset:976
	v_add_f32_e32 v2, v2, v3
	v_mul_f32_e32 v3, v37, v89
	v_fma_f32 v3, v36, v88, -v3
	v_add_f32_e32 v2, v2, v3
	v_mul_f32_e32 v3, v39, v92
	s_waitcnt vmcnt(12)
	v_mul_f32_e32 v47, v40, v95
	v_fma_f32 v3, v38, v93, -v3
	v_fmac_f32_e32 v47, v41, v94
	v_add_f32_e32 v2, v2, v3
	v_mul_f32_e32 v3, v41, v95
	v_add_f32_e32 v50, v46, v47
	ds_read_b128 v[46:49], v1 offset:992
	s_waitcnt vmcnt(11) lgkmcnt(1)
	v_mul_f32_e32 v51, v42, v96
	v_fma_f32 v3, v40, v94, -v3
	s_waitcnt vmcnt(10)
	v_fmac_f32_e32 v51, v43, v97
	v_add_f32_e32 v2, v2, v3
	v_mul_f32_e32 v3, v43, v96
	v_add_f32_e32 v50, v50, v51
	s_waitcnt vmcnt(8)
	v_mul_f32_e32 v51, v44, v99
	v_fma_f32 v3, v42, v97, -v3
	v_fmac_f32_e32 v51, v45, v98
	v_add_f32_e32 v2, v2, v3
	v_mul_f32_e32 v3, v45, v99
	v_add_f32_e32 v108, v50, v51
	ds_read_b128 v[50:53], v1 offset:1008
	v_fma_f32 v3, v44, v98, -v3
	v_add_f32_e32 v2, v2, v3
	s_waitcnt vmcnt(6) lgkmcnt(1)
	v_mul_f32_e32 v3, v47, v101
	v_mul_f32_e32 v109, v46, v101
	v_fma_f32 v3, v46, v100, -v3
	v_fmac_f32_e32 v109, v47, v100
	v_add_f32_e32 v2, v2, v3
	s_waitcnt vmcnt(4)
	v_mul_f32_e32 v3, v49, v103
	v_add_f32_e32 v1, v108, v109
	v_mul_f32_e32 v108, v48, v103
	v_fma_f32 v3, v48, v102, -v3
	v_fmac_f32_e32 v108, v49, v102
	v_add_f32_e32 v2, v2, v3
	s_waitcnt vmcnt(2) lgkmcnt(0)
	v_mul_f32_e32 v3, v51, v105
	v_add_f32_e32 v1, v1, v108
	v_mul_f32_e32 v108, v50, v105
	v_fma_f32 v3, v50, v104, -v3
	v_fmac_f32_e32 v108, v51, v104
	v_add_f32_e32 v2, v2, v3
	s_waitcnt vmcnt(0)
	v_mul_f32_e32 v3, v53, v107
	v_add_f32_e32 v1, v1, v108
	v_mul_f32_e32 v108, v52, v107
	v_fma_f32 v3, v52, v106, -v3
	v_fmac_f32_e32 v108, v53, v106
	v_add_f32_e32 v2, v2, v3
	v_add_f32_e32 v1, v1, v108
	v_sub_f32_e32 v2, v90, v2
	v_sub_f32_e32 v1, v91, v1
	buffer_store_dword v2, off, s[0:3], 0 offset:296
	buffer_store_dword v1, off, s[0:3], 0 offset:300
	s_and_saveexec_b64 s[4:5], vcc
	s_cbranch_execz .LBB127_325
; %bb.324:
	buffer_load_dword v1, off, s[0:3], 0 offset:288
	buffer_load_dword v2, off, s[0:3], 0 offset:292
	v_mov_b32_e32 v3, 0
	buffer_store_dword v3, off, s[0:3], 0 offset:288
	buffer_store_dword v3, off, s[0:3], 0 offset:292
	s_waitcnt vmcnt(2)
	ds_write_b64 v249, v[1:2]
.LBB127_325:
	s_or_b64 exec, exec, s[4:5]
	s_waitcnt lgkmcnt(0)
	; wave barrier
	buffer_load_dword v56, off, s[0:3], 0 offset:300
	buffer_load_dword v57, off, s[0:3], 0 offset:308
	buffer_load_dword v58, off, s[0:3], 0 offset:316
	buffer_load_dword v59, off, s[0:3], 0 offset:324
	buffer_load_dword v60, off, s[0:3], 0 offset:332
	buffer_load_dword v61, off, s[0:3], 0 offset:340
	buffer_load_dword v62, off, s[0:3], 0 offset:348
	buffer_load_dword v63, off, s[0:3], 0 offset:356
	buffer_load_dword v64, off, s[0:3], 0 offset:364
	buffer_load_dword v65, off, s[0:3], 0 offset:296
	buffer_load_dword v66, off, s[0:3], 0 offset:304
	buffer_load_dword v67, off, s[0:3], 0 offset:312
	buffer_load_dword v68, off, s[0:3], 0 offset:320
	buffer_load_dword v69, off, s[0:3], 0 offset:328
	buffer_load_dword v70, off, s[0:3], 0 offset:336
	buffer_load_dword v71, off, s[0:3], 0 offset:344
	buffer_load_dword v72, off, s[0:3], 0 offset:352
	buffer_load_dword v73, off, s[0:3], 0 offset:360
	buffer_load_dword v74, off, s[0:3], 0 offset:372
	buffer_load_dword v75, off, s[0:3], 0 offset:368
	buffer_load_dword v76, off, s[0:3], 0 offset:380
	buffer_load_dword v77, off, s[0:3], 0 offset:376
	buffer_load_dword v78, off, s[0:3], 0 offset:388
	buffer_load_dword v79, off, s[0:3], 0 offset:384
	buffer_load_dword v80, off, s[0:3], 0 offset:396
	buffer_load_dword v81, off, s[0:3], 0 offset:392
	buffer_load_dword v82, off, s[0:3], 0 offset:404
	buffer_load_dword v83, off, s[0:3], 0 offset:400
	buffer_load_dword v84, off, s[0:3], 0 offset:412
	buffer_load_dword v85, off, s[0:3], 0 offset:408
	buffer_load_dword v86, off, s[0:3], 0 offset:416
	buffer_load_dword v87, off, s[0:3], 0 offset:420
	buffer_load_dword v88, off, s[0:3], 0 offset:288
	buffer_load_dword v89, off, s[0:3], 0 offset:292
	buffer_load_dword v90, off, s[0:3], 0 offset:428
	buffer_load_dword v91, off, s[0:3], 0 offset:424
	buffer_load_dword v92, off, s[0:3], 0 offset:432
	buffer_load_dword v93, off, s[0:3], 0 offset:436
	buffer_load_dword v94, off, s[0:3], 0 offset:440
	buffer_load_dword v95, off, s[0:3], 0 offset:444
	buffer_load_dword v96, off, s[0:3], 0 offset:448
	buffer_load_dword v97, off, s[0:3], 0 offset:452
	buffer_load_dword v98, off, s[0:3], 0 offset:456
	buffer_load_dword v99, off, s[0:3], 0 offset:460
	buffer_load_dword v100, off, s[0:3], 0 offset:464
	buffer_load_dword v101, off, s[0:3], 0 offset:468
	buffer_load_dword v102, off, s[0:3], 0 offset:472
	buffer_load_dword v103, off, s[0:3], 0 offset:476
	buffer_load_dword v104, off, s[0:3], 0 offset:480
	buffer_load_dword v105, off, s[0:3], 0 offset:484
	buffer_load_dword v106, off, s[0:3], 0 offset:488
	buffer_load_dword v107, off, s[0:3], 0 offset:492
	buffer_load_dword v108, off, s[0:3], 0 offset:496
	buffer_load_dword v109, off, s[0:3], 0 offset:500
	buffer_load_dword v110, off, s[0:3], 0 offset:504
	buffer_load_dword v111, off, s[0:3], 0 offset:508
	v_mov_b32_e32 v1, 0
	ds_read2_b64 v[2:5], v1 offset0:101 offset1:102
	ds_read2_b64 v[6:9], v1 offset0:103 offset1:104
	;; [unrolled: 1-line block ×6, first 2 shown]
	v_cmp_lt_u32_e32 vcc, 35, v0
	s_waitcnt vmcnt(55) lgkmcnt(5)
	v_mul_f32_e32 v26, v2, v56
	s_waitcnt vmcnt(54)
	v_mul_f32_e32 v27, v4, v57
	s_waitcnt vmcnt(53) lgkmcnt(4)
	v_mul_f32_e32 v28, v6, v58
	s_waitcnt vmcnt(52)
	v_mul_f32_e32 v29, v8, v59
	;; [unrolled: 4-line block ×4, first 2 shown]
	s_waitcnt vmcnt(47) lgkmcnt(1)
	v_mul_f32_e32 v34, v18, v64
	s_waitcnt vmcnt(46)
	v_fmac_f32_e32 v26, v3, v65
	s_waitcnt vmcnt(45)
	v_fmac_f32_e32 v27, v5, v66
	v_add_f32_e32 v26, 0, v26
	s_waitcnt vmcnt(44)
	v_fmac_f32_e32 v28, v7, v67
	v_add_f32_e32 v26, v26, v27
	;; [unrolled: 3-line block ×3, first 2 shown]
	v_mul_f32_e32 v3, v3, v56
	s_waitcnt vmcnt(42)
	v_fmac_f32_e32 v30, v11, v69
	v_add_f32_e32 v26, v26, v29
	v_fma_f32 v2, v2, v65, -v3
	v_mul_f32_e32 v3, v5, v57
	s_waitcnt vmcnt(41)
	v_fmac_f32_e32 v31, v13, v70
	v_add_f32_e32 v26, v26, v30
	v_add_f32_e32 v2, 0, v2
	v_fma_f32 v3, v4, v66, -v3
	s_waitcnt vmcnt(40)
	v_fmac_f32_e32 v32, v15, v71
	v_add_f32_e32 v26, v26, v31
	v_add_f32_e32 v2, v2, v3
	v_mul_f32_e32 v3, v7, v58
	s_waitcnt vmcnt(39)
	v_fmac_f32_e32 v33, v17, v72
	v_add_f32_e32 v26, v26, v32
	v_fma_f32 v3, v6, v67, -v3
	v_add_f32_e32 v26, v26, v33
	s_waitcnt vmcnt(38)
	v_fmac_f32_e32 v34, v19, v73
	s_waitcnt vmcnt(37)
	v_mul_f32_e32 v27, v20, v74
	v_add_f32_e32 v2, v2, v3
	v_mul_f32_e32 v3, v9, v59
	v_add_f32_e32 v26, v26, v34
	s_waitcnt vmcnt(36)
	v_fmac_f32_e32 v27, v21, v75
	v_fma_f32 v3, v8, v68, -v3
	v_add_f32_e32 v26, v26, v27
	s_waitcnt vmcnt(35) lgkmcnt(0)
	v_mul_f32_e32 v27, v22, v76
	v_add_f32_e32 v2, v2, v3
	v_mul_f32_e32 v3, v11, v60
	s_waitcnt vmcnt(34)
	v_fmac_f32_e32 v27, v23, v77
	v_fma_f32 v3, v10, v69, -v3
	v_add_f32_e32 v30, v26, v27
	ds_read2_b64 v[26:29], v1 offset0:113 offset1:114
	v_add_f32_e32 v2, v2, v3
	v_mul_f32_e32 v3, v13, v61
	v_fma_f32 v3, v12, v70, -v3
	s_waitcnt vmcnt(33)
	v_mul_f32_e32 v31, v24, v78
	v_add_f32_e32 v2, v2, v3
	v_mul_f32_e32 v3, v15, v62
	s_waitcnt vmcnt(32)
	v_fmac_f32_e32 v31, v25, v79
	v_fma_f32 v3, v14, v71, -v3
	v_add_f32_e32 v34, v30, v31
	ds_read2_b64 v[30:33], v1 offset0:115 offset1:116
	v_add_f32_e32 v2, v2, v3
	v_mul_f32_e32 v3, v17, v63
	s_waitcnt vmcnt(31) lgkmcnt(1)
	v_mul_f32_e32 v35, v26, v80
	v_fma_f32 v3, v16, v72, -v3
	s_waitcnt vmcnt(30)
	v_fmac_f32_e32 v35, v27, v81
	v_add_f32_e32 v2, v2, v3
	v_mul_f32_e32 v3, v19, v64
	v_add_f32_e32 v34, v34, v35
	s_waitcnt vmcnt(29)
	v_mul_f32_e32 v35, v28, v82
	v_fma_f32 v3, v18, v73, -v3
	s_waitcnt vmcnt(28)
	v_fmac_f32_e32 v35, v29, v83
	v_add_f32_e32 v2, v2, v3
	v_mul_f32_e32 v3, v21, v74
	v_add_f32_e32 v34, v34, v35
	s_waitcnt vmcnt(27) lgkmcnt(0)
	v_mul_f32_e32 v35, v30, v84
	v_fma_f32 v3, v20, v75, -v3
	s_waitcnt vmcnt(26)
	v_fmac_f32_e32 v35, v31, v85
	v_add_f32_e32 v2, v2, v3
	v_mul_f32_e32 v3, v23, v76
	v_add_f32_e32 v38, v34, v35
	ds_read2_b64 v[34:37], v1 offset0:117 offset1:118
	v_fma_f32 v3, v22, v77, -v3
	v_add_f32_e32 v2, v2, v3
	v_mul_f32_e32 v3, v25, v78
	s_waitcnt vmcnt(24)
	v_mul_f32_e32 v39, v32, v87
	v_fma_f32 v3, v24, v79, -v3
	v_fmac_f32_e32 v39, v33, v86
	v_add_f32_e32 v2, v2, v3
	v_mul_f32_e32 v3, v27, v80
	v_add_f32_e32 v42, v38, v39
	ds_read2_b64 v[38:41], v1 offset0:119 offset1:120
	v_fma_f32 v3, v26, v81, -v3
	s_waitcnt vmcnt(21) lgkmcnt(1)
	v_mul_f32_e32 v43, v34, v90
	v_add_f32_e32 v2, v2, v3
	v_mul_f32_e32 v3, v29, v82
	s_waitcnt vmcnt(20)
	v_fmac_f32_e32 v43, v35, v91
	v_fma_f32 v3, v28, v83, -v3
	v_add_f32_e32 v42, v42, v43
	s_waitcnt vmcnt(18)
	v_mul_f32_e32 v43, v36, v93
	v_add_f32_e32 v2, v2, v3
	v_mul_f32_e32 v3, v31, v84
	v_fmac_f32_e32 v43, v37, v92
	v_fma_f32 v3, v30, v85, -v3
	v_add_f32_e32 v42, v42, v43
	s_waitcnt vmcnt(16) lgkmcnt(0)
	v_mul_f32_e32 v43, v38, v95
	v_add_f32_e32 v2, v2, v3
	v_mul_f32_e32 v3, v33, v87
	v_fmac_f32_e32 v43, v39, v94
	v_fma_f32 v3, v32, v86, -v3
	v_add_f32_e32 v46, v42, v43
	ds_read2_b64 v[42:45], v1 offset0:121 offset1:122
	v_add_f32_e32 v2, v2, v3
	v_mul_f32_e32 v3, v35, v90
	v_fma_f32 v3, v34, v91, -v3
	s_waitcnt vmcnt(14)
	v_mul_f32_e32 v47, v40, v97
	v_add_f32_e32 v2, v2, v3
	v_mul_f32_e32 v3, v37, v93
	v_fmac_f32_e32 v47, v41, v96
	v_fma_f32 v3, v36, v92, -v3
	v_add_f32_e32 v50, v46, v47
	ds_read2_b64 v[46:49], v1 offset0:123 offset1:124
	v_add_f32_e32 v2, v2, v3
	v_mul_f32_e32 v3, v39, v95
	s_waitcnt vmcnt(12) lgkmcnt(1)
	v_mul_f32_e32 v51, v42, v99
	v_fma_f32 v3, v38, v94, -v3
	v_fmac_f32_e32 v51, v43, v98
	v_add_f32_e32 v2, v2, v3
	v_mul_f32_e32 v3, v41, v97
	v_add_f32_e32 v50, v50, v51
	s_waitcnt vmcnt(10)
	v_mul_f32_e32 v51, v44, v101
	v_fma_f32 v3, v40, v96, -v3
	v_fmac_f32_e32 v51, v45, v100
	v_add_f32_e32 v2, v2, v3
	v_mul_f32_e32 v3, v43, v99
	v_add_f32_e32 v50, v50, v51
	s_waitcnt vmcnt(8) lgkmcnt(0)
	v_mul_f32_e32 v51, v46, v103
	v_fma_f32 v3, v42, v98, -v3
	v_fmac_f32_e32 v51, v47, v102
	v_add_f32_e32 v2, v2, v3
	v_mul_f32_e32 v3, v45, v101
	v_add_f32_e32 v54, v50, v51
	ds_read2_b64 v[50:53], v1 offset0:125 offset1:126
	v_fma_f32 v3, v44, v100, -v3
	v_add_f32_e32 v2, v2, v3
	v_mul_f32_e32 v3, v47, v103
	s_waitcnt vmcnt(6)
	v_mul_f32_e32 v55, v48, v105
	v_fma_f32 v3, v46, v102, -v3
	v_fmac_f32_e32 v55, v49, v104
	v_add_f32_e32 v2, v2, v3
	v_mul_f32_e32 v3, v49, v105
	v_add_f32_e32 v112, v54, v55
	ds_read_b64 v[54:55], v1 offset:1016
	v_fma_f32 v3, v48, v104, -v3
	v_add_f32_e32 v2, v2, v3
	s_waitcnt vmcnt(4) lgkmcnt(1)
	v_mul_f32_e32 v3, v51, v107
	v_mul_f32_e32 v113, v50, v107
	v_fma_f32 v3, v50, v106, -v3
	v_fmac_f32_e32 v113, v51, v106
	v_add_f32_e32 v2, v2, v3
	s_waitcnt vmcnt(2)
	v_mul_f32_e32 v3, v53, v109
	v_add_f32_e32 v112, v112, v113
	v_mul_f32_e32 v113, v52, v109
	v_fma_f32 v3, v52, v108, -v3
	v_fmac_f32_e32 v113, v53, v108
	v_add_f32_e32 v2, v2, v3
	s_waitcnt vmcnt(0) lgkmcnt(0)
	v_mul_f32_e32 v3, v55, v111
	v_add_f32_e32 v112, v112, v113
	v_mul_f32_e32 v113, v54, v111
	v_fma_f32 v3, v54, v110, -v3
	v_fmac_f32_e32 v113, v55, v110
	v_add_f32_e32 v2, v2, v3
	v_add_f32_e32 v112, v112, v113
	v_sub_f32_e32 v2, v88, v2
	v_sub_f32_e32 v3, v89, v112
	buffer_store_dword v2, off, s[0:3], 0 offset:288
	buffer_store_dword v3, off, s[0:3], 0 offset:292
	s_and_saveexec_b64 s[4:5], vcc
	s_cbranch_execz .LBB127_327
; %bb.326:
	buffer_load_dword v2, off, s[0:3], 0 offset:280
	buffer_load_dword v3, off, s[0:3], 0 offset:284
	s_waitcnt vmcnt(0)
	ds_write_b64 v249, v[2:3]
	buffer_store_dword v1, off, s[0:3], 0 offset:280
	buffer_store_dword v1, off, s[0:3], 0 offset:284
.LBB127_327:
	s_or_b64 exec, exec, s[4:5]
	s_waitcnt lgkmcnt(0)
	; wave barrier
	buffer_load_dword v58, off, s[0:3], 0 offset:292
	buffer_load_dword v59, off, s[0:3], 0 offset:300
	;; [unrolled: 1-line block ×34, first 2 shown]
	ds_read_b128 v[2:5], v1 offset:800
	ds_read_b128 v[6:9], v1 offset:816
	buffer_load_dword v92, off, s[0:3], 0 offset:420
	buffer_load_dword v93, off, s[0:3], 0 offset:416
	;; [unrolled: 1-line block ×6, first 2 shown]
	ds_read_b128 v[10:13], v1 offset:832
	ds_read_b128 v[14:17], v1 offset:848
	;; [unrolled: 1-line block ×4, first 2 shown]
	buffer_load_dword v98, off, s[0:3], 0 offset:444
	buffer_load_dword v99, off, s[0:3], 0 offset:440
	;; [unrolled: 1-line block ×18, first 2 shown]
	v_cmp_lt_u32_e32 vcc, 34, v0
	s_waitcnt vmcnt(57) lgkmcnt(5)
	v_mul_f32_e32 v26, v2, v58
	s_waitcnt vmcnt(56)
	v_mul_f32_e32 v27, v4, v59
	s_waitcnt vmcnt(55) lgkmcnt(4)
	v_mul_f32_e32 v28, v6, v60
	s_waitcnt vmcnt(54)
	v_mul_f32_e32 v29, v8, v61
	;; [unrolled: 4-line block ×4, first 2 shown]
	s_waitcnt vmcnt(49)
	v_fmac_f32_e32 v26, v3, v66
	s_waitcnt vmcnt(48)
	v_fmac_f32_e32 v27, v5, v67
	v_add_f32_e32 v26, 0, v26
	s_waitcnt vmcnt(47)
	v_fmac_f32_e32 v28, v7, v68
	v_add_f32_e32 v26, v26, v27
	;; [unrolled: 3-line block ×4, first 2 shown]
	v_mul_f32_e32 v3, v3, v58
	s_waitcnt vmcnt(44)
	v_fmac_f32_e32 v31, v13, v71
	v_add_f32_e32 v26, v26, v30
	v_fma_f32 v2, v2, v66, -v3
	v_mul_f32_e32 v3, v5, v59
	s_waitcnt vmcnt(43)
	v_fmac_f32_e32 v32, v15, v72
	v_add_f32_e32 v26, v26, v31
	v_add_f32_e32 v2, 0, v2
	v_fma_f32 v3, v4, v67, -v3
	s_waitcnt vmcnt(42)
	v_fmac_f32_e32 v33, v17, v73
	v_add_f32_e32 v26, v26, v32
	s_waitcnt vmcnt(41) lgkmcnt(1)
	v_mul_f32_e32 v27, v18, v74
	v_add_f32_e32 v2, v2, v3
	v_mul_f32_e32 v3, v7, v60
	v_add_f32_e32 v26, v26, v33
	s_waitcnt vmcnt(40)
	v_fmac_f32_e32 v27, v19, v75
	v_fma_f32 v3, v6, v68, -v3
	v_add_f32_e32 v26, v26, v27
	s_waitcnt vmcnt(39)
	v_mul_f32_e32 v27, v20, v76
	v_add_f32_e32 v2, v2, v3
	v_mul_f32_e32 v3, v9, v61
	s_waitcnt vmcnt(38)
	v_fmac_f32_e32 v27, v21, v77
	v_fma_f32 v3, v8, v69, -v3
	v_add_f32_e32 v26, v26, v27
	s_waitcnt vmcnt(37) lgkmcnt(0)
	v_mul_f32_e32 v27, v22, v78
	v_add_f32_e32 v2, v2, v3
	v_mul_f32_e32 v3, v11, v62
	s_waitcnt vmcnt(36)
	v_fmac_f32_e32 v27, v23, v79
	v_fma_f32 v3, v10, v70, -v3
	v_add_f32_e32 v30, v26, v27
	ds_read_b128 v[26:29], v1 offset:896
	v_add_f32_e32 v2, v2, v3
	v_mul_f32_e32 v3, v13, v63
	v_fma_f32 v3, v12, v71, -v3
	s_waitcnt vmcnt(35)
	v_mul_f32_e32 v31, v24, v80
	v_add_f32_e32 v2, v2, v3
	v_mul_f32_e32 v3, v15, v64
	s_waitcnt vmcnt(34)
	v_fmac_f32_e32 v31, v25, v81
	v_fma_f32 v3, v14, v72, -v3
	v_add_f32_e32 v34, v30, v31
	ds_read_b128 v[30:33], v1 offset:912
	v_add_f32_e32 v2, v2, v3
	v_mul_f32_e32 v3, v17, v65
	s_waitcnt vmcnt(33) lgkmcnt(1)
	v_mul_f32_e32 v35, v26, v82
	v_fma_f32 v3, v16, v73, -v3
	s_waitcnt vmcnt(32)
	v_fmac_f32_e32 v35, v27, v83
	v_add_f32_e32 v2, v2, v3
	v_mul_f32_e32 v3, v19, v74
	v_add_f32_e32 v34, v34, v35
	s_waitcnt vmcnt(31)
	v_mul_f32_e32 v35, v28, v84
	v_fma_f32 v3, v18, v75, -v3
	s_waitcnt vmcnt(30)
	v_fmac_f32_e32 v35, v29, v85
	v_add_f32_e32 v2, v2, v3
	v_mul_f32_e32 v3, v21, v76
	v_add_f32_e32 v34, v34, v35
	s_waitcnt vmcnt(29) lgkmcnt(0)
	v_mul_f32_e32 v35, v30, v86
	v_fma_f32 v3, v20, v77, -v3
	s_waitcnt vmcnt(28)
	v_fmac_f32_e32 v35, v31, v87
	v_add_f32_e32 v2, v2, v3
	v_mul_f32_e32 v3, v23, v78
	v_add_f32_e32 v38, v34, v35
	ds_read_b128 v[34:37], v1 offset:928
	v_fma_f32 v3, v22, v79, -v3
	v_add_f32_e32 v2, v2, v3
	v_mul_f32_e32 v3, v25, v80
	s_waitcnt vmcnt(25)
	v_mul_f32_e32 v39, v32, v90
	v_fma_f32 v3, v24, v81, -v3
	s_waitcnt vmcnt(24)
	v_fmac_f32_e32 v39, v33, v91
	v_add_f32_e32 v2, v2, v3
	v_mul_f32_e32 v3, v27, v82
	v_add_f32_e32 v42, v38, v39
	ds_read_b128 v[38:41], v1 offset:944
	v_fma_f32 v3, v26, v83, -v3
	s_waitcnt vmcnt(23) lgkmcnt(1)
	v_mul_f32_e32 v43, v34, v92
	v_add_f32_e32 v2, v2, v3
	v_mul_f32_e32 v3, v29, v84
	s_waitcnt vmcnt(22)
	v_fmac_f32_e32 v43, v35, v93
	v_fma_f32 v3, v28, v85, -v3
	v_add_f32_e32 v42, v42, v43
	s_waitcnt vmcnt(20)
	v_mul_f32_e32 v43, v36, v95
	v_add_f32_e32 v2, v2, v3
	v_mul_f32_e32 v3, v31, v86
	v_fmac_f32_e32 v43, v37, v94
	v_fma_f32 v3, v30, v87, -v3
	v_add_f32_e32 v42, v42, v43
	s_waitcnt vmcnt(18) lgkmcnt(0)
	v_mul_f32_e32 v43, v38, v97
	v_add_f32_e32 v2, v2, v3
	v_mul_f32_e32 v3, v33, v90
	v_fmac_f32_e32 v43, v39, v96
	v_fma_f32 v3, v32, v91, -v3
	v_add_f32_e32 v46, v42, v43
	ds_read_b128 v[42:45], v1 offset:960
	v_add_f32_e32 v2, v2, v3
	v_mul_f32_e32 v3, v35, v92
	v_fma_f32 v3, v34, v93, -v3
	s_waitcnt vmcnt(17)
	v_mul_f32_e32 v47, v40, v98
	v_add_f32_e32 v2, v2, v3
	v_mul_f32_e32 v3, v37, v95
	s_waitcnt vmcnt(16)
	v_fmac_f32_e32 v47, v41, v99
	v_fma_f32 v3, v36, v94, -v3
	v_add_f32_e32 v50, v46, v47
	ds_read_b128 v[46:49], v1 offset:976
	v_add_f32_e32 v2, v2, v3
	v_mul_f32_e32 v3, v39, v97
	s_waitcnt vmcnt(14) lgkmcnt(1)
	v_mul_f32_e32 v51, v42, v101
	v_fma_f32 v3, v38, v96, -v3
	v_fmac_f32_e32 v51, v43, v100
	v_add_f32_e32 v2, v2, v3
	v_mul_f32_e32 v3, v41, v98
	v_add_f32_e32 v50, v50, v51
	s_waitcnt vmcnt(12)
	v_mul_f32_e32 v51, v44, v103
	v_fma_f32 v3, v40, v99, -v3
	v_fmac_f32_e32 v51, v45, v102
	v_add_f32_e32 v2, v2, v3
	v_mul_f32_e32 v3, v43, v101
	v_add_f32_e32 v50, v50, v51
	s_waitcnt vmcnt(10) lgkmcnt(0)
	v_mul_f32_e32 v51, v46, v105
	v_fma_f32 v3, v42, v100, -v3
	v_fmac_f32_e32 v51, v47, v104
	v_add_f32_e32 v2, v2, v3
	v_mul_f32_e32 v3, v45, v103
	v_add_f32_e32 v54, v50, v51
	ds_read_b128 v[50:53], v1 offset:992
	v_fma_f32 v3, v44, v102, -v3
	v_add_f32_e32 v2, v2, v3
	v_mul_f32_e32 v3, v47, v105
	s_waitcnt vmcnt(8)
	v_mul_f32_e32 v55, v48, v107
	v_fma_f32 v3, v46, v104, -v3
	v_fmac_f32_e32 v55, v49, v106
	v_add_f32_e32 v2, v2, v3
	v_mul_f32_e32 v3, v49, v107
	v_add_f32_e32 v116, v54, v55
	ds_read_b128 v[54:57], v1 offset:1008
	v_fma_f32 v3, v48, v106, -v3
	v_add_f32_e32 v2, v2, v3
	s_waitcnt vmcnt(6) lgkmcnt(1)
	v_mul_f32_e32 v3, v51, v109
	v_mul_f32_e32 v1, v50, v109
	v_fma_f32 v3, v50, v108, -v3
	v_fmac_f32_e32 v1, v51, v108
	v_add_f32_e32 v2, v2, v3
	s_waitcnt vmcnt(4)
	v_mul_f32_e32 v3, v53, v111
	v_add_f32_e32 v1, v116, v1
	v_mul_f32_e32 v116, v52, v111
	v_fma_f32 v3, v52, v110, -v3
	v_fmac_f32_e32 v116, v53, v110
	v_add_f32_e32 v2, v2, v3
	s_waitcnt vmcnt(2) lgkmcnt(0)
	v_mul_f32_e32 v3, v55, v113
	v_add_f32_e32 v1, v1, v116
	v_mul_f32_e32 v116, v54, v113
	v_fma_f32 v3, v54, v112, -v3
	v_fmac_f32_e32 v116, v55, v112
	v_add_f32_e32 v2, v2, v3
	s_waitcnt vmcnt(0)
	v_mul_f32_e32 v3, v57, v115
	v_add_f32_e32 v1, v1, v116
	v_mul_f32_e32 v116, v56, v115
	v_fma_f32 v3, v56, v114, -v3
	v_fmac_f32_e32 v116, v57, v114
	v_add_f32_e32 v2, v2, v3
	v_add_f32_e32 v1, v1, v116
	v_sub_f32_e32 v2, v88, v2
	v_sub_f32_e32 v1, v89, v1
	buffer_store_dword v2, off, s[0:3], 0 offset:280
	buffer_store_dword v1, off, s[0:3], 0 offset:284
	s_and_saveexec_b64 s[4:5], vcc
	s_cbranch_execz .LBB127_329
; %bb.328:
	buffer_load_dword v1, off, s[0:3], 0 offset:272
	buffer_load_dword v2, off, s[0:3], 0 offset:276
	v_mov_b32_e32 v3, 0
	buffer_store_dword v3, off, s[0:3], 0 offset:272
	buffer_store_dword v3, off, s[0:3], 0 offset:276
	s_waitcnt vmcnt(2)
	ds_write_b64 v249, v[1:2]
.LBB127_329:
	s_or_b64 exec, exec, s[4:5]
	s_waitcnt lgkmcnt(0)
	; wave barrier
	buffer_load_dword v60, off, s[0:3], 0 offset:284
	buffer_load_dword v61, off, s[0:3], 0 offset:292
	;; [unrolled: 1-line block ×60, first 2 shown]
	v_mov_b32_e32 v1, 0
	ds_read2_b64 v[2:5], v1 offset0:99 offset1:100
	ds_read2_b64 v[6:9], v1 offset0:101 offset1:102
	;; [unrolled: 1-line block ×5, first 2 shown]
	v_cmp_lt_u32_e32 vcc, 33, v0
	s_waitcnt vmcnt(59) lgkmcnt(4)
	v_mul_f32_e32 v22, v2, v60
	s_waitcnt vmcnt(58)
	v_mul_f32_e32 v23, v4, v61
	s_waitcnt vmcnt(57) lgkmcnt(3)
	v_mul_f32_e32 v24, v6, v62
	s_waitcnt vmcnt(56)
	v_mul_f32_e32 v25, v8, v63
	;; [unrolled: 4-line block ×3, first 2 shown]
	s_waitcnt vmcnt(53) lgkmcnt(1)
	v_mul_f32_e32 v28, v14, v66
	s_waitcnt vmcnt(52)
	v_fmac_f32_e32 v22, v3, v67
	s_waitcnt vmcnt(51)
	v_fmac_f32_e32 v23, v5, v68
	v_add_f32_e32 v22, 0, v22
	s_waitcnt vmcnt(50)
	v_fmac_f32_e32 v24, v7, v69
	v_add_f32_e32 v22, v22, v23
	;; [unrolled: 3-line block ×6, first 2 shown]
	s_waitcnt vmcnt(45)
	v_mul_f32_e32 v23, v16, v74
	v_add_f32_e32 v22, v22, v28
	s_waitcnt vmcnt(44)
	v_fmac_f32_e32 v23, v17, v75
	v_mul_f32_e32 v3, v3, v60
	v_add_f32_e32 v26, v22, v23
	ds_read2_b64 v[22:25], v1 offset0:109 offset1:110
	v_fma_f32 v2, v2, v67, -v3
	v_mul_f32_e32 v3, v5, v61
	s_waitcnt vmcnt(43) lgkmcnt(1)
	v_mul_f32_e32 v27, v18, v76
	v_add_f32_e32 v2, 0, v2
	v_fma_f32 v3, v4, v68, -v3
	s_waitcnt vmcnt(42)
	v_fmac_f32_e32 v27, v19, v77
	v_add_f32_e32 v2, v2, v3
	v_mul_f32_e32 v3, v7, v62
	v_add_f32_e32 v26, v26, v27
	s_waitcnt vmcnt(41)
	v_mul_f32_e32 v27, v20, v78
	v_fma_f32 v3, v6, v69, -v3
	s_waitcnt vmcnt(40)
	v_fmac_f32_e32 v27, v21, v79
	v_add_f32_e32 v2, v2, v3
	v_mul_f32_e32 v3, v9, v63
	v_add_f32_e32 v26, v26, v27
	s_waitcnt vmcnt(39) lgkmcnt(0)
	v_mul_f32_e32 v27, v22, v80
	v_fma_f32 v3, v8, v70, -v3
	s_waitcnt vmcnt(38)
	v_fmac_f32_e32 v27, v23, v81
	v_add_f32_e32 v2, v2, v3
	v_mul_f32_e32 v3, v11, v64
	v_add_f32_e32 v30, v26, v27
	ds_read2_b64 v[26:29], v1 offset0:111 offset1:112
	v_fma_f32 v3, v10, v71, -v3
	v_add_f32_e32 v2, v2, v3
	v_mul_f32_e32 v3, v13, v65
	s_waitcnt vmcnt(37)
	v_mul_f32_e32 v31, v24, v82
	v_fma_f32 v3, v12, v72, -v3
	s_waitcnt vmcnt(36)
	v_fmac_f32_e32 v31, v25, v83
	v_add_f32_e32 v2, v2, v3
	v_mul_f32_e32 v3, v15, v66
	v_add_f32_e32 v34, v30, v31
	ds_read2_b64 v[30:33], v1 offset0:113 offset1:114
	v_fma_f32 v3, v14, v73, -v3
	s_waitcnt vmcnt(34) lgkmcnt(1)
	v_mul_f32_e32 v35, v26, v85
	v_add_f32_e32 v2, v2, v3
	v_mul_f32_e32 v3, v17, v74
	v_fmac_f32_e32 v35, v27, v84
	v_fma_f32 v3, v16, v75, -v3
	v_add_f32_e32 v34, v34, v35
	s_waitcnt vmcnt(31)
	v_mul_f32_e32 v35, v28, v88
	v_add_f32_e32 v2, v2, v3
	v_mul_f32_e32 v3, v19, v76
	s_waitcnt vmcnt(30)
	v_fmac_f32_e32 v35, v29, v89
	v_fma_f32 v3, v18, v77, -v3
	v_add_f32_e32 v34, v34, v35
	s_waitcnt vmcnt(28) lgkmcnt(0)
	v_mul_f32_e32 v35, v30, v91
	v_add_f32_e32 v2, v2, v3
	v_mul_f32_e32 v3, v21, v78
	v_fmac_f32_e32 v35, v31, v90
	v_fma_f32 v3, v20, v79, -v3
	v_add_f32_e32 v38, v34, v35
	ds_read2_b64 v[34:37], v1 offset0:115 offset1:116
	v_add_f32_e32 v2, v2, v3
	v_mul_f32_e32 v3, v23, v80
	v_fma_f32 v3, v22, v81, -v3
	s_waitcnt vmcnt(26)
	v_mul_f32_e32 v39, v32, v93
	v_add_f32_e32 v2, v2, v3
	v_mul_f32_e32 v3, v25, v82
	v_fmac_f32_e32 v39, v33, v92
	v_fma_f32 v3, v24, v83, -v3
	v_add_f32_e32 v42, v38, v39
	ds_read2_b64 v[38:41], v1 offset0:117 offset1:118
	v_add_f32_e32 v2, v2, v3
	v_mul_f32_e32 v3, v27, v85
	s_waitcnt vmcnt(24) lgkmcnt(1)
	v_mul_f32_e32 v43, v34, v95
	v_fma_f32 v3, v26, v84, -v3
	v_fmac_f32_e32 v43, v35, v94
	v_add_f32_e32 v2, v2, v3
	v_mul_f32_e32 v3, v29, v88
	v_add_f32_e32 v42, v42, v43
	s_waitcnt vmcnt(22)
	v_mul_f32_e32 v43, v36, v97
	v_fma_f32 v3, v28, v89, -v3
	v_fmac_f32_e32 v43, v37, v96
	v_add_f32_e32 v2, v2, v3
	v_mul_f32_e32 v3, v31, v91
	v_add_f32_e32 v42, v42, v43
	s_waitcnt vmcnt(20) lgkmcnt(0)
	v_mul_f32_e32 v43, v38, v99
	v_fma_f32 v3, v30, v90, -v3
	v_fmac_f32_e32 v43, v39, v98
	v_add_f32_e32 v2, v2, v3
	v_mul_f32_e32 v3, v33, v93
	v_add_f32_e32 v46, v42, v43
	ds_read2_b64 v[42:45], v1 offset0:119 offset1:120
	v_fma_f32 v3, v32, v92, -v3
	v_add_f32_e32 v2, v2, v3
	v_mul_f32_e32 v3, v35, v95
	s_waitcnt vmcnt(18)
	v_mul_f32_e32 v47, v40, v101
	v_fma_f32 v3, v34, v94, -v3
	v_fmac_f32_e32 v47, v41, v100
	v_add_f32_e32 v2, v2, v3
	v_mul_f32_e32 v3, v37, v97
	v_add_f32_e32 v50, v46, v47
	ds_read2_b64 v[46:49], v1 offset0:121 offset1:122
	v_fma_f32 v3, v36, v96, -v3
	s_waitcnt vmcnt(16) lgkmcnt(1)
	v_mul_f32_e32 v51, v42, v103
	v_add_f32_e32 v2, v2, v3
	v_mul_f32_e32 v3, v39, v99
	v_fmac_f32_e32 v51, v43, v102
	v_fma_f32 v3, v38, v98, -v3
	v_add_f32_e32 v50, v50, v51
	s_waitcnt vmcnt(14)
	v_mul_f32_e32 v51, v44, v105
	v_add_f32_e32 v2, v2, v3
	v_mul_f32_e32 v3, v41, v101
	v_fmac_f32_e32 v51, v45, v104
	v_fma_f32 v3, v40, v100, -v3
	v_add_f32_e32 v50, v50, v51
	s_waitcnt vmcnt(12) lgkmcnt(0)
	v_mul_f32_e32 v51, v46, v107
	v_add_f32_e32 v2, v2, v3
	v_mul_f32_e32 v3, v43, v103
	v_fmac_f32_e32 v51, v47, v106
	v_fma_f32 v3, v42, v102, -v3
	v_add_f32_e32 v54, v50, v51
	ds_read2_b64 v[50:53], v1 offset0:123 offset1:124
	v_add_f32_e32 v2, v2, v3
	v_mul_f32_e32 v3, v45, v105
	v_fma_f32 v3, v44, v104, -v3
	v_add_f32_e32 v2, v2, v3
	v_mul_f32_e32 v3, v47, v107
	s_waitcnt vmcnt(10)
	v_mul_f32_e32 v55, v48, v109
	v_fma_f32 v3, v46, v106, -v3
	v_fmac_f32_e32 v55, v49, v108
	v_add_f32_e32 v2, v2, v3
	v_mul_f32_e32 v3, v49, v109
	v_add_f32_e32 v58, v54, v55
	ds_read2_b64 v[54:57], v1 offset0:125 offset1:126
	s_waitcnt vmcnt(8) lgkmcnt(1)
	v_mul_f32_e32 v59, v50, v111
	v_fma_f32 v3, v48, v108, -v3
	v_fmac_f32_e32 v59, v51, v110
	v_add_f32_e32 v2, v2, v3
	v_mul_f32_e32 v3, v51, v111
	v_add_f32_e32 v58, v58, v59
	s_waitcnt vmcnt(6)
	v_mul_f32_e32 v59, v52, v113
	v_fma_f32 v3, v50, v110, -v3
	v_fmac_f32_e32 v59, v53, v112
	v_add_f32_e32 v2, v2, v3
	v_mul_f32_e32 v3, v53, v113
	v_add_f32_e32 v120, v58, v59
	ds_read_b64 v[58:59], v1 offset:1016
	v_fma_f32 v3, v52, v112, -v3
	v_add_f32_e32 v2, v2, v3
	s_waitcnt vmcnt(4) lgkmcnt(1)
	v_mul_f32_e32 v3, v55, v115
	v_mul_f32_e32 v123, v54, v115
	v_fma_f32 v3, v54, v114, -v3
	v_fmac_f32_e32 v123, v55, v114
	v_add_f32_e32 v2, v2, v3
	s_waitcnt vmcnt(2)
	v_mul_f32_e32 v3, v57, v117
	v_add_f32_e32 v120, v120, v123
	v_mul_f32_e32 v123, v56, v117
	v_fma_f32 v3, v56, v116, -v3
	v_fmac_f32_e32 v123, v57, v116
	v_add_f32_e32 v2, v2, v3
	s_waitcnt vmcnt(0) lgkmcnt(0)
	v_mul_f32_e32 v3, v59, v119
	v_add_f32_e32 v120, v120, v123
	v_mul_f32_e32 v123, v58, v119
	v_fma_f32 v3, v58, v118, -v3
	v_fmac_f32_e32 v123, v59, v118
	v_add_f32_e32 v2, v2, v3
	v_add_f32_e32 v120, v120, v123
	v_sub_f32_e32 v2, v86, v2
	v_sub_f32_e32 v3, v87, v120
	buffer_store_dword v2, off, s[0:3], 0 offset:272
	buffer_store_dword v3, off, s[0:3], 0 offset:276
	s_and_saveexec_b64 s[4:5], vcc
	s_cbranch_execz .LBB127_331
; %bb.330:
	buffer_load_dword v2, off, s[0:3], 0 offset:264
	buffer_load_dword v3, off, s[0:3], 0 offset:268
	s_waitcnt vmcnt(0)
	ds_write_b64 v249, v[2:3]
	buffer_store_dword v1, off, s[0:3], 0 offset:264
	buffer_store_dword v1, off, s[0:3], 0 offset:268
.LBB127_331:
	s_or_b64 exec, exec, s[4:5]
	s_waitcnt lgkmcnt(0)
	; wave barrier
	buffer_load_dword v62, off, s[0:3], 0 offset:276
	buffer_load_dword v63, off, s[0:3], 0 offset:284
	buffer_load_dword v64, off, s[0:3], 0 offset:292
	buffer_load_dword v65, off, s[0:3], 0 offset:300
	buffer_load_dword v66, off, s[0:3], 0 offset:308
	buffer_load_dword v67, off, s[0:3], 0 offset:316
	buffer_load_dword v68, off, s[0:3], 0 offset:324
	buffer_load_dword v69, off, s[0:3], 0 offset:272
	buffer_load_dword v70, off, s[0:3], 0 offset:280
	buffer_load_dword v71, off, s[0:3], 0 offset:288
	buffer_load_dword v72, off, s[0:3], 0 offset:296
	buffer_load_dword v73, off, s[0:3], 0 offset:304
	buffer_load_dword v74, off, s[0:3], 0 offset:312
	buffer_load_dword v75, off, s[0:3], 0 offset:320
	buffer_load_dword v76, off, s[0:3], 0 offset:332
	buffer_load_dword v77, off, s[0:3], 0 offset:328
	buffer_load_dword v78, off, s[0:3], 0 offset:340
	buffer_load_dword v79, off, s[0:3], 0 offset:336
	buffer_load_dword v80, off, s[0:3], 0 offset:348
	buffer_load_dword v81, off, s[0:3], 0 offset:344
	buffer_load_dword v82, off, s[0:3], 0 offset:356
	buffer_load_dword v83, off, s[0:3], 0 offset:352
	buffer_load_dword v84, off, s[0:3], 0 offset:364
	buffer_load_dword v85, off, s[0:3], 0 offset:360
	buffer_load_dword v86, off, s[0:3], 0 offset:264
	buffer_load_dword v87, off, s[0:3], 0 offset:268
	buffer_load_dword v88, off, s[0:3], 0 offset:372
	buffer_load_dword v89, off, s[0:3], 0 offset:368
	buffer_load_dword v90, off, s[0:3], 0 offset:376
	buffer_load_dword v91, off, s[0:3], 0 offset:380
	buffer_load_dword v92, off, s[0:3], 0 offset:384
	buffer_load_dword v93, off, s[0:3], 0 offset:388
	ds_read_b128 v[2:5], v1 offset:784
	ds_read_b128 v[6:9], v1 offset:800
	ds_read_b128 v[10:13], v1 offset:816
	ds_read_b128 v[14:17], v1 offset:832
	buffer_load_dword v94, off, s[0:3], 0 offset:396
	buffer_load_dword v95, off, s[0:3], 0 offset:392
	;; [unrolled: 1-line block ×30, first 2 shown]
	v_cmp_lt_u32_e32 vcc, 32, v0
	s_waitcnt vmcnt(61) lgkmcnt(3)
	v_mul_f32_e32 v18, v2, v62
	s_waitcnt vmcnt(60)
	v_mul_f32_e32 v19, v4, v63
	s_waitcnt vmcnt(59) lgkmcnt(2)
	v_mul_f32_e32 v20, v6, v64
	s_waitcnt vmcnt(58)
	v_mul_f32_e32 v21, v8, v65
	;; [unrolled: 4-line block ×3, first 2 shown]
	s_waitcnt vmcnt(55) lgkmcnt(0)
	v_mul_f32_e32 v24, v14, v68
	s_waitcnt vmcnt(54)
	v_fmac_f32_e32 v18, v3, v69
	s_waitcnt vmcnt(53)
	v_fmac_f32_e32 v19, v5, v70
	v_add_f32_e32 v18, 0, v18
	s_waitcnt vmcnt(52)
	v_fmac_f32_e32 v20, v7, v71
	v_add_f32_e32 v18, v18, v19
	;; [unrolled: 3-line block ×6, first 2 shown]
	v_add_f32_e32 v22, v18, v24
	ds_read_b128 v[18:21], v1 offset:848
	s_waitcnt vmcnt(47)
	v_mul_f32_e32 v23, v16, v76
	s_waitcnt vmcnt(46)
	v_fmac_f32_e32 v23, v17, v77
	v_mul_f32_e32 v3, v3, v62
	v_add_f32_e32 v26, v22, v23
	ds_read_b128 v[22:25], v1 offset:864
	v_fma_f32 v2, v2, v69, -v3
	v_mul_f32_e32 v3, v5, v63
	s_waitcnt vmcnt(45) lgkmcnt(1)
	v_mul_f32_e32 v27, v18, v78
	v_add_f32_e32 v2, 0, v2
	v_fma_f32 v3, v4, v70, -v3
	s_waitcnt vmcnt(44)
	v_fmac_f32_e32 v27, v19, v79
	v_add_f32_e32 v2, v2, v3
	v_mul_f32_e32 v3, v7, v64
	v_add_f32_e32 v26, v26, v27
	s_waitcnt vmcnt(43)
	v_mul_f32_e32 v27, v20, v80
	v_fma_f32 v3, v6, v71, -v3
	s_waitcnt vmcnt(42)
	v_fmac_f32_e32 v27, v21, v81
	v_add_f32_e32 v2, v2, v3
	v_mul_f32_e32 v3, v9, v65
	v_add_f32_e32 v26, v26, v27
	s_waitcnt vmcnt(41) lgkmcnt(0)
	v_mul_f32_e32 v27, v22, v82
	v_fma_f32 v3, v8, v72, -v3
	s_waitcnt vmcnt(40)
	v_fmac_f32_e32 v27, v23, v83
	v_add_f32_e32 v2, v2, v3
	v_mul_f32_e32 v3, v11, v66
	v_add_f32_e32 v30, v26, v27
	ds_read_b128 v[26:29], v1 offset:880
	v_fma_f32 v3, v10, v73, -v3
	v_add_f32_e32 v2, v2, v3
	v_mul_f32_e32 v3, v13, v67
	s_waitcnt vmcnt(39)
	v_mul_f32_e32 v31, v24, v84
	v_fma_f32 v3, v12, v74, -v3
	s_waitcnt vmcnt(38)
	v_fmac_f32_e32 v31, v25, v85
	v_add_f32_e32 v2, v2, v3
	v_mul_f32_e32 v3, v15, v68
	v_add_f32_e32 v34, v30, v31
	ds_read_b128 v[30:33], v1 offset:896
	v_fma_f32 v3, v14, v75, -v3
	s_waitcnt vmcnt(35) lgkmcnt(1)
	v_mul_f32_e32 v35, v26, v88
	v_add_f32_e32 v2, v2, v3
	v_mul_f32_e32 v3, v17, v76
	s_waitcnt vmcnt(34)
	v_fmac_f32_e32 v35, v27, v89
	v_fma_f32 v3, v16, v77, -v3
	v_add_f32_e32 v34, v34, v35
	s_waitcnt vmcnt(32)
	v_mul_f32_e32 v35, v28, v91
	v_add_f32_e32 v2, v2, v3
	v_mul_f32_e32 v3, v19, v78
	v_fmac_f32_e32 v35, v29, v90
	v_fma_f32 v3, v18, v79, -v3
	v_add_f32_e32 v34, v34, v35
	s_waitcnt vmcnt(30) lgkmcnt(0)
	v_mul_f32_e32 v35, v30, v93
	v_add_f32_e32 v2, v2, v3
	v_mul_f32_e32 v3, v21, v80
	v_fmac_f32_e32 v35, v31, v92
	v_fma_f32 v3, v20, v81, -v3
	v_add_f32_e32 v38, v34, v35
	ds_read_b128 v[34:37], v1 offset:912
	v_add_f32_e32 v2, v2, v3
	v_mul_f32_e32 v3, v23, v82
	v_fma_f32 v3, v22, v83, -v3
	s_waitcnt vmcnt(29)
	v_mul_f32_e32 v39, v32, v94
	v_add_f32_e32 v2, v2, v3
	v_mul_f32_e32 v3, v25, v84
	s_waitcnt vmcnt(28)
	v_fmac_f32_e32 v39, v33, v95
	v_fma_f32 v3, v24, v85, -v3
	v_add_f32_e32 v42, v38, v39
	ds_read_b128 v[38:41], v1 offset:928
	v_add_f32_e32 v2, v2, v3
	v_mul_f32_e32 v3, v27, v88
	s_waitcnt vmcnt(26) lgkmcnt(1)
	v_mul_f32_e32 v43, v34, v97
	v_fma_f32 v3, v26, v89, -v3
	v_fmac_f32_e32 v43, v35, v96
	v_add_f32_e32 v2, v2, v3
	v_mul_f32_e32 v3, v29, v91
	v_add_f32_e32 v42, v42, v43
	s_waitcnt vmcnt(24)
	v_mul_f32_e32 v43, v36, v99
	v_fma_f32 v3, v28, v90, -v3
	v_fmac_f32_e32 v43, v37, v98
	v_add_f32_e32 v2, v2, v3
	v_mul_f32_e32 v3, v31, v93
	v_add_f32_e32 v42, v42, v43
	s_waitcnt vmcnt(22) lgkmcnt(0)
	v_mul_f32_e32 v43, v38, v101
	v_fma_f32 v3, v30, v92, -v3
	v_fmac_f32_e32 v43, v39, v100
	v_add_f32_e32 v2, v2, v3
	v_mul_f32_e32 v3, v33, v94
	v_add_f32_e32 v46, v42, v43
	ds_read_b128 v[42:45], v1 offset:944
	v_fma_f32 v3, v32, v95, -v3
	v_add_f32_e32 v2, v2, v3
	v_mul_f32_e32 v3, v35, v97
	s_waitcnt vmcnt(20)
	v_mul_f32_e32 v47, v40, v103
	v_fma_f32 v3, v34, v96, -v3
	v_fmac_f32_e32 v47, v41, v102
	v_add_f32_e32 v2, v2, v3
	v_mul_f32_e32 v3, v37, v99
	v_add_f32_e32 v50, v46, v47
	ds_read_b128 v[46:49], v1 offset:960
	v_fma_f32 v3, v36, v98, -v3
	s_waitcnt vmcnt(18) lgkmcnt(1)
	v_mul_f32_e32 v51, v42, v105
	v_add_f32_e32 v2, v2, v3
	v_mul_f32_e32 v3, v39, v101
	v_fmac_f32_e32 v51, v43, v104
	v_fma_f32 v3, v38, v100, -v3
	v_add_f32_e32 v50, v50, v51
	s_waitcnt vmcnt(16)
	v_mul_f32_e32 v51, v44, v107
	v_add_f32_e32 v2, v2, v3
	v_mul_f32_e32 v3, v41, v103
	v_fmac_f32_e32 v51, v45, v106
	v_fma_f32 v3, v40, v102, -v3
	v_add_f32_e32 v50, v50, v51
	s_waitcnt vmcnt(14) lgkmcnt(0)
	v_mul_f32_e32 v51, v46, v109
	v_add_f32_e32 v2, v2, v3
	v_mul_f32_e32 v3, v43, v105
	v_fmac_f32_e32 v51, v47, v108
	v_fma_f32 v3, v42, v104, -v3
	v_add_f32_e32 v54, v50, v51
	ds_read_b128 v[50:53], v1 offset:976
	v_add_f32_e32 v2, v2, v3
	v_mul_f32_e32 v3, v45, v107
	v_fma_f32 v3, v44, v106, -v3
	v_add_f32_e32 v2, v2, v3
	v_mul_f32_e32 v3, v47, v109
	s_waitcnt vmcnt(12)
	v_mul_f32_e32 v55, v48, v111
	v_fma_f32 v3, v46, v108, -v3
	v_fmac_f32_e32 v55, v49, v110
	v_add_f32_e32 v2, v2, v3
	v_mul_f32_e32 v3, v49, v111
	v_add_f32_e32 v58, v54, v55
	ds_read_b128 v[54:57], v1 offset:992
	s_waitcnt vmcnt(10) lgkmcnt(1)
	v_mul_f32_e32 v59, v50, v113
	v_fma_f32 v3, v48, v110, -v3
	v_fmac_f32_e32 v59, v51, v112
	v_add_f32_e32 v2, v2, v3
	v_mul_f32_e32 v3, v51, v113
	v_add_f32_e32 v58, v58, v59
	s_waitcnt vmcnt(8)
	v_mul_f32_e32 v59, v52, v115
	v_fma_f32 v3, v50, v112, -v3
	v_fmac_f32_e32 v59, v53, v114
	v_add_f32_e32 v2, v2, v3
	v_mul_f32_e32 v3, v53, v115
	v_add_f32_e32 v126, v58, v59
	ds_read_b128 v[58:61], v1 offset:1008
	v_fma_f32 v3, v52, v114, -v3
	v_add_f32_e32 v2, v2, v3
	s_waitcnt vmcnt(6) lgkmcnt(1)
	v_mul_f32_e32 v3, v55, v117
	v_mul_f32_e32 v127, v54, v117
	v_fma_f32 v3, v54, v116, -v3
	v_fmac_f32_e32 v127, v55, v116
	v_add_f32_e32 v2, v2, v3
	s_waitcnt vmcnt(4)
	v_mul_f32_e32 v3, v57, v119
	v_add_f32_e32 v1, v126, v127
	v_mul_f32_e32 v126, v56, v119
	v_fma_f32 v3, v56, v118, -v3
	v_fmac_f32_e32 v126, v57, v118
	v_add_f32_e32 v2, v2, v3
	s_waitcnt vmcnt(2) lgkmcnt(0)
	v_mul_f32_e32 v3, v59, v123
	v_add_f32_e32 v1, v1, v126
	v_mul_f32_e32 v126, v58, v123
	v_fma_f32 v3, v58, v120, -v3
	v_fmac_f32_e32 v126, v59, v120
	v_add_f32_e32 v2, v2, v3
	s_waitcnt vmcnt(0)
	v_mul_f32_e32 v3, v61, v125
	v_add_f32_e32 v1, v1, v126
	v_mul_f32_e32 v126, v60, v125
	v_fma_f32 v3, v60, v124, -v3
	v_fmac_f32_e32 v126, v61, v124
	v_add_f32_e32 v2, v2, v3
	v_add_f32_e32 v1, v1, v126
	v_sub_f32_e32 v2, v86, v2
	v_sub_f32_e32 v1, v87, v1
	buffer_store_dword v2, off, s[0:3], 0 offset:264
	buffer_store_dword v1, off, s[0:3], 0 offset:268
	s_and_saveexec_b64 s[4:5], vcc
	s_cbranch_execz .LBB127_333
; %bb.332:
	buffer_load_dword v1, off, s[0:3], 0 offset:256
	buffer_load_dword v2, off, s[0:3], 0 offset:260
	v_mov_b32_e32 v3, 0
	buffer_store_dword v3, off, s[0:3], 0 offset:256
	buffer_store_dword v3, off, s[0:3], 0 offset:260
	s_waitcnt vmcnt(2)
	ds_write_b64 v249, v[1:2]
.LBB127_333:
	s_or_b64 exec, exec, s[4:5]
	s_waitcnt lgkmcnt(0)
	; wave barrier
	buffer_load_dword v64, off, s[0:3], 0 offset:268
	buffer_load_dword v65, off, s[0:3], 0 offset:276
	;; [unrolled: 1-line block ×56, first 2 shown]
	v_mov_b32_e32 v1, 0
	ds_read2_b64 v[2:5], v1 offset0:97 offset1:98
	buffer_load_dword v120, off, s[0:3], 0 offset:480
	buffer_load_dword v123, off, s[0:3], 0 offset:484
	ds_read2_b64 v[6:9], v1 offset0:99 offset1:100
	ds_read2_b64 v[10:13], v1 offset0:101 offset1:102
	;; [unrolled: 1-line block ×3, first 2 shown]
	buffer_load_dword v124, off, s[0:3], 0 offset:488
	buffer_load_dword v125, off, s[0:3], 0 offset:492
	;; [unrolled: 1-line block ×6, first 2 shown]
	v_cmp_lt_u32_e32 vcc, 31, v0
	s_waitcnt vmcnt(62) lgkmcnt(3)
	v_mul_f32_e32 v18, v2, v64
	v_mul_f32_e32 v19, v4, v65
	s_waitcnt vmcnt(61) lgkmcnt(2)
	v_mul_f32_e32 v20, v6, v66
	s_waitcnt vmcnt(60)
	v_mul_f32_e32 v21, v8, v67
	s_waitcnt vmcnt(59) lgkmcnt(1)
	v_mul_f32_e32 v22, v10, v68
	s_waitcnt vmcnt(58)
	;; [unrolled: 4-line block ×3, first 2 shown]
	v_mul_f32_e32 v25, v16, v71
	s_waitcnt vmcnt(55)
	v_fmac_f32_e32 v20, v7, v72
	s_waitcnt vmcnt(54)
	v_fmac_f32_e32 v19, v5, v73
	;; [unrolled: 2-line block ×3, first 2 shown]
	v_add_f32_e32 v18, 0, v18
	v_add_f32_e32 v18, v18, v19
	;; [unrolled: 1-line block ×3, first 2 shown]
	s_waitcnt vmcnt(49)
	v_fmac_f32_e32 v21, v9, v78
	v_fmac_f32_e32 v22, v11, v77
	v_add_f32_e32 v18, v18, v21
	v_fmac_f32_e32 v23, v13, v76
	v_add_f32_e32 v18, v18, v22
	v_add_f32_e32 v22, v18, v23
	ds_read2_b64 v[18:21], v1 offset0:105 offset1:106
	v_fmac_f32_e32 v24, v15, v75
	v_add_f32_e32 v22, v22, v24
	s_waitcnt vmcnt(44)
	v_fmac_f32_e32 v25, v17, v83
	v_add_f32_e32 v26, v22, v25
	ds_read2_b64 v[22:25], v1 offset0:107 offset1:108
	s_waitcnt vmcnt(43) lgkmcnt(1)
	v_mul_f32_e32 v27, v18, v84
	v_mul_f32_e32 v3, v3, v64
	v_fmac_f32_e32 v27, v19, v82
	v_fma_f32 v2, v2, v74, -v3
	v_mul_f32_e32 v3, v5, v65
	v_add_f32_e32 v26, v26, v27
	s_waitcnt vmcnt(42)
	v_mul_f32_e32 v27, v20, v85
	v_add_f32_e32 v2, 0, v2
	v_fma_f32 v3, v4, v73, -v3
	v_fmac_f32_e32 v27, v21, v81
	v_add_f32_e32 v2, v2, v3
	v_mul_f32_e32 v3, v7, v66
	v_add_f32_e32 v26, v26, v27
	s_waitcnt lgkmcnt(0)
	v_mul_f32_e32 v27, v22, v80
	v_fma_f32 v3, v6, v72, -v3
	v_fmac_f32_e32 v27, v23, v79
	v_add_f32_e32 v2, v2, v3
	v_mul_f32_e32 v3, v9, v67
	v_add_f32_e32 v30, v26, v27
	ds_read2_b64 v[26:29], v1 offset0:109 offset1:110
	v_fma_f32 v3, v8, v78, -v3
	v_add_f32_e32 v2, v2, v3
	v_mul_f32_e32 v3, v11, v68
	s_waitcnt vmcnt(41)
	v_mul_f32_e32 v31, v24, v86
	v_fma_f32 v3, v10, v77, -v3
	s_waitcnt vmcnt(34)
	v_fmac_f32_e32 v31, v25, v93
	v_add_f32_e32 v2, v2, v3
	v_mul_f32_e32 v3, v13, v69
	v_add_f32_e32 v34, v30, v31
	ds_read2_b64 v[30:33], v1 offset0:111 offset1:112
	v_fma_f32 v3, v12, v76, -v3
	s_waitcnt lgkmcnt(1)
	v_mul_f32_e32 v35, v26, v88
	v_add_f32_e32 v2, v2, v3
	v_mul_f32_e32 v3, v15, v70
	v_fmac_f32_e32 v35, v27, v87
	v_fma_f32 v3, v14, v75, -v3
	v_add_f32_e32 v34, v34, v35
	v_mul_f32_e32 v35, v28, v90
	v_add_f32_e32 v2, v2, v3
	v_mul_f32_e32 v3, v17, v71
	v_fmac_f32_e32 v35, v29, v89
	v_fma_f32 v3, v16, v83, -v3
	v_add_f32_e32 v34, v34, v35
	s_waitcnt lgkmcnt(0)
	v_mul_f32_e32 v35, v30, v92
	v_add_f32_e32 v2, v2, v3
	v_mul_f32_e32 v3, v19, v84
	v_fmac_f32_e32 v35, v31, v91
	v_fma_f32 v3, v18, v82, -v3
	v_add_f32_e32 v38, v34, v35
	ds_read2_b64 v[34:37], v1 offset0:113 offset1:114
	v_add_f32_e32 v2, v2, v3
	v_mul_f32_e32 v3, v21, v85
	v_fma_f32 v3, v20, v81, -v3
	s_waitcnt vmcnt(30)
	v_mul_f32_e32 v39, v32, v97
	v_add_f32_e32 v2, v2, v3
	v_mul_f32_e32 v3, v23, v80
	v_fmac_f32_e32 v39, v33, v96
	v_fma_f32 v3, v22, v79, -v3
	v_add_f32_e32 v42, v38, v39
	ds_read2_b64 v[38:41], v1 offset0:115 offset1:116
	v_add_f32_e32 v2, v2, v3
	v_mul_f32_e32 v3, v25, v86
	s_waitcnt vmcnt(28) lgkmcnt(1)
	v_mul_f32_e32 v43, v34, v99
	v_fma_f32 v3, v24, v93, -v3
	v_fmac_f32_e32 v43, v35, v98
	v_add_f32_e32 v2, v2, v3
	v_mul_f32_e32 v3, v27, v88
	v_add_f32_e32 v42, v42, v43
	s_waitcnt vmcnt(26)
	v_mul_f32_e32 v43, v36, v101
	v_fma_f32 v3, v26, v87, -v3
	v_fmac_f32_e32 v43, v37, v100
	v_add_f32_e32 v2, v2, v3
	v_mul_f32_e32 v3, v29, v90
	v_add_f32_e32 v42, v42, v43
	s_waitcnt vmcnt(24) lgkmcnt(0)
	v_mul_f32_e32 v43, v38, v103
	v_fma_f32 v3, v28, v89, -v3
	v_fmac_f32_e32 v43, v39, v102
	v_add_f32_e32 v2, v2, v3
	v_mul_f32_e32 v3, v31, v92
	v_add_f32_e32 v46, v42, v43
	ds_read2_b64 v[42:45], v1 offset0:117 offset1:118
	v_fma_f32 v3, v30, v91, -v3
	v_add_f32_e32 v2, v2, v3
	v_mul_f32_e32 v3, v33, v97
	s_waitcnt vmcnt(22)
	v_mul_f32_e32 v47, v40, v105
	v_fma_f32 v3, v32, v96, -v3
	v_fmac_f32_e32 v47, v41, v104
	v_add_f32_e32 v2, v2, v3
	v_mul_f32_e32 v3, v35, v99
	v_add_f32_e32 v50, v46, v47
	ds_read2_b64 v[46:49], v1 offset0:119 offset1:120
	v_fma_f32 v3, v34, v98, -v3
	s_waitcnt vmcnt(20) lgkmcnt(1)
	v_mul_f32_e32 v51, v42, v107
	v_add_f32_e32 v2, v2, v3
	v_mul_f32_e32 v3, v37, v101
	v_fmac_f32_e32 v51, v43, v106
	v_fma_f32 v3, v36, v100, -v3
	v_add_f32_e32 v50, v50, v51
	s_waitcnt vmcnt(18)
	v_mul_f32_e32 v51, v44, v109
	v_add_f32_e32 v2, v2, v3
	v_mul_f32_e32 v3, v39, v103
	v_fmac_f32_e32 v51, v45, v108
	v_fma_f32 v3, v38, v102, -v3
	v_add_f32_e32 v50, v50, v51
	s_waitcnt vmcnt(16) lgkmcnt(0)
	v_mul_f32_e32 v51, v46, v111
	v_add_f32_e32 v2, v2, v3
	v_mul_f32_e32 v3, v41, v105
	v_fmac_f32_e32 v51, v47, v110
	v_fma_f32 v3, v40, v104, -v3
	v_add_f32_e32 v54, v50, v51
	ds_read2_b64 v[50:53], v1 offset0:121 offset1:122
	v_add_f32_e32 v2, v2, v3
	v_mul_f32_e32 v3, v43, v107
	v_fma_f32 v3, v42, v106, -v3
	s_waitcnt vmcnt(14)
	v_mul_f32_e32 v55, v48, v113
	v_add_f32_e32 v2, v2, v3
	v_mul_f32_e32 v3, v45, v109
	v_fmac_f32_e32 v55, v49, v112
	v_fma_f32 v3, v44, v108, -v3
	v_add_f32_e32 v58, v54, v55
	ds_read2_b64 v[54:57], v1 offset0:123 offset1:124
	v_add_f32_e32 v2, v2, v3
	v_mul_f32_e32 v3, v47, v111
	s_waitcnt vmcnt(12) lgkmcnt(1)
	v_mul_f32_e32 v59, v50, v115
	v_fma_f32 v3, v46, v110, -v3
	v_fmac_f32_e32 v59, v51, v114
	v_add_f32_e32 v2, v2, v3
	v_mul_f32_e32 v3, v49, v113
	v_add_f32_e32 v58, v58, v59
	s_waitcnt vmcnt(10)
	v_mul_f32_e32 v59, v52, v117
	v_fma_f32 v3, v48, v112, -v3
	v_fmac_f32_e32 v59, v53, v116
	v_add_f32_e32 v2, v2, v3
	v_mul_f32_e32 v3, v51, v115
	v_add_f32_e32 v58, v58, v59
	s_waitcnt vmcnt(8) lgkmcnt(0)
	v_mul_f32_e32 v59, v54, v119
	v_fma_f32 v3, v50, v114, -v3
	v_fmac_f32_e32 v59, v55, v118
	v_add_f32_e32 v2, v2, v3
	v_mul_f32_e32 v3, v53, v117
	v_add_f32_e32 v62, v58, v59
	ds_read2_b64 v[58:61], v1 offset0:125 offset1:126
	v_fma_f32 v3, v52, v116, -v3
	v_add_f32_e32 v2, v2, v3
	v_mul_f32_e32 v3, v55, v119
	s_waitcnt vmcnt(6)
	v_mul_f32_e32 v63, v56, v123
	v_fma_f32 v3, v54, v118, -v3
	v_fmac_f32_e32 v63, v57, v120
	v_add_f32_e32 v2, v2, v3
	v_mul_f32_e32 v3, v57, v123
	v_add_f32_e32 v130, v62, v63
	ds_read_b64 v[62:63], v1 offset:1016
	v_fma_f32 v3, v56, v120, -v3
	v_add_f32_e32 v2, v2, v3
	s_waitcnt vmcnt(4) lgkmcnt(1)
	v_mul_f32_e32 v3, v59, v125
	v_mul_f32_e32 v131, v58, v125
	v_fma_f32 v3, v58, v124, -v3
	v_fmac_f32_e32 v131, v59, v124
	v_add_f32_e32 v2, v2, v3
	s_waitcnt vmcnt(3)
	v_mul_f32_e32 v3, v61, v126
	v_add_f32_e32 v130, v130, v131
	v_mul_f32_e32 v131, v60, v126
	s_waitcnt vmcnt(0)
	v_fma_f32 v3, v60, v129, -v3
	v_fmac_f32_e32 v131, v61, v129
	v_add_f32_e32 v2, v2, v3
	s_waitcnt lgkmcnt(0)
	v_mul_f32_e32 v3, v63, v128
	v_add_f32_e32 v130, v130, v131
	v_mul_f32_e32 v131, v62, v128
	v_fma_f32 v3, v62, v127, -v3
	v_fmac_f32_e32 v131, v63, v127
	v_add_f32_e32 v2, v2, v3
	v_add_f32_e32 v130, v130, v131
	v_sub_f32_e32 v2, v94, v2
	v_sub_f32_e32 v3, v95, v130
	buffer_store_dword v2, off, s[0:3], 0 offset:256
	buffer_store_dword v3, off, s[0:3], 0 offset:260
	s_and_saveexec_b64 s[4:5], vcc
	s_cbranch_execz .LBB127_335
; %bb.334:
	buffer_load_dword v2, off, s[0:3], 0 offset:248
	buffer_load_dword v3, off, s[0:3], 0 offset:252
	s_waitcnt vmcnt(0)
	ds_write_b64 v249, v[2:3]
	buffer_store_dword v1, off, s[0:3], 0 offset:248
	buffer_store_dword v1, off, s[0:3], 0 offset:252
.LBB127_335:
	s_or_b64 exec, exec, s[4:5]
	s_waitcnt lgkmcnt(0)
	; wave barrier
	buffer_load_dword v66, off, s[0:3], 0 offset:316
	buffer_load_dword v67, off, s[0:3], 0 offset:260
	buffer_load_dword v68, off, s[0:3], 0 offset:268
	buffer_load_dword v69, off, s[0:3], 0 offset:276
	buffer_load_dword v70, off, s[0:3], 0 offset:272
	buffer_load_dword v71, off, s[0:3], 0 offset:264
	buffer_load_dword v72, off, s[0:3], 0 offset:256
	buffer_load_dword v73, off, s[0:3], 0 offset:284
	buffer_load_dword v74, off, s[0:3], 0 offset:292
	buffer_load_dword v75, off, s[0:3], 0 offset:300
	buffer_load_dword v76, off, s[0:3], 0 offset:308
	buffer_load_dword v77, off, s[0:3], 0 offset:304
	buffer_load_dword v78, off, s[0:3], 0 offset:296
	buffer_load_dword v79, off, s[0:3], 0 offset:288
	buffer_load_dword v80, off, s[0:3], 0 offset:280
	buffer_load_dword v81, off, s[0:3], 0 offset:328
	buffer_load_dword v82, off, s[0:3], 0 offset:332
	buffer_load_dword v83, off, s[0:3], 0 offset:336
	buffer_load_dword v84, off, s[0:3], 0 offset:320
	buffer_load_dword v85, off, s[0:3], 0 offset:312
	buffer_load_dword v86, off, s[0:3], 0 offset:324
	buffer_load_dword v87, off, s[0:3], 0 offset:340
	buffer_load_dword v88, off, s[0:3], 0 offset:248
	buffer_load_dword v89, off, s[0:3], 0 offset:252
	buffer_load_dword v90, off, s[0:3], 0 offset:344
	buffer_load_dword v91, off, s[0:3], 0 offset:348
	buffer_load_dword v92, off, s[0:3], 0 offset:356
	buffer_load_dword v93, off, s[0:3], 0 offset:360
	buffer_load_dword v94, off, s[0:3], 0 offset:364
	buffer_load_dword v95, off, s[0:3], 0 offset:368
	buffer_load_dword v96, off, s[0:3], 0 offset:372
	buffer_load_dword v97, off, s[0:3], 0 offset:352
	ds_read_b128 v[2:5], v1 offset:768
	ds_read_b128 v[6:9], v1 offset:784
	;; [unrolled: 1-line block ×4, first 2 shown]
	buffer_load_dword v98, off, s[0:3], 0 offset:376
	buffer_load_dword v99, off, s[0:3], 0 offset:380
	;; [unrolled: 1-line block ×32, first 2 shown]
	v_cmp_lt_u32_e32 vcc, 30, v0
	s_waitcnt vmcnt(62) lgkmcnt(0)
	v_mul_f32_e32 v25, v16, v66
	v_mul_f32_e32 v18, v2, v67
	s_waitcnt vmcnt(61)
	v_mul_f32_e32 v19, v4, v68
	s_waitcnt vmcnt(60)
	;; [unrolled: 2-line block ×3, first 2 shown]
	v_fmac_f32_e32 v20, v7, v70
	s_waitcnt vmcnt(58)
	v_fmac_f32_e32 v19, v5, v71
	s_waitcnt vmcnt(57)
	v_fmac_f32_e32 v18, v3, v72
	v_add_f32_e32 v18, 0, v18
	s_waitcnt vmcnt(56)
	v_mul_f32_e32 v21, v8, v73
	v_add_f32_e32 v18, v18, v19
	s_waitcnt vmcnt(55)
	v_mul_f32_e32 v22, v10, v74
	;; [unrolled: 3-line block ×3, first 2 shown]
	s_waitcnt vmcnt(50)
	v_fmac_f32_e32 v22, v11, v79
	s_waitcnt vmcnt(49)
	v_fmac_f32_e32 v21, v9, v80
	v_add_f32_e32 v18, v18, v21
	v_mul_f32_e32 v24, v14, v76
	v_fmac_f32_e32 v23, v13, v78
	v_add_f32_e32 v18, v18, v22
	v_fmac_f32_e32 v24, v15, v77
	v_add_f32_e32 v18, v18, v23
	s_waitcnt vmcnt(44)
	v_fmac_f32_e32 v25, v17, v85
	v_add_f32_e32 v22, v18, v24
	ds_read_b128 v[18:21], v1 offset:832
	v_add_f32_e32 v26, v22, v25
	ds_read_b128 v[22:25], v1 offset:848
	buffer_load_dword v132, off, s[0:3], 0 offset:504
	buffer_load_dword v133, off, s[0:3], 0 offset:508
	v_mul_f32_e32 v3, v3, v67
	s_waitcnt vmcnt(45) lgkmcnt(1)
	v_mul_f32_e32 v27, v18, v86
	v_fmac_f32_e32 v27, v19, v84
	v_fma_f32 v2, v2, v72, -v3
	v_mul_f32_e32 v3, v5, v68
	v_add_f32_e32 v26, v26, v27
	v_mul_f32_e32 v27, v20, v82
	v_add_f32_e32 v2, 0, v2
	v_fma_f32 v3, v4, v71, -v3
	v_fmac_f32_e32 v27, v21, v81
	v_add_f32_e32 v2, v2, v3
	v_mul_f32_e32 v3, v7, v69
	v_add_f32_e32 v26, v26, v27
	s_waitcnt vmcnt(44) lgkmcnt(0)
	v_mul_f32_e32 v27, v22, v87
	v_fma_f32 v3, v6, v70, -v3
	v_fmac_f32_e32 v27, v23, v83
	v_add_f32_e32 v2, v2, v3
	v_mul_f32_e32 v3, v9, v73
	v_add_f32_e32 v30, v26, v27
	ds_read_b128 v[26:29], v1 offset:864
	v_fma_f32 v3, v8, v80, -v3
	v_add_f32_e32 v2, v2, v3
	v_mul_f32_e32 v3, v11, v74
	s_waitcnt vmcnt(40)
	v_mul_f32_e32 v31, v24, v91
	v_fma_f32 v3, v10, v79, -v3
	v_fmac_f32_e32 v31, v25, v90
	v_add_f32_e32 v2, v2, v3
	v_mul_f32_e32 v3, v13, v75
	v_add_f32_e32 v34, v30, v31
	ds_read_b128 v[30:33], v1 offset:880
	v_fma_f32 v3, v12, v78, -v3
	s_waitcnt vmcnt(39) lgkmcnt(1)
	v_mul_f32_e32 v35, v26, v92
	v_add_f32_e32 v2, v2, v3
	v_mul_f32_e32 v3, v15, v76
	s_waitcnt vmcnt(34)
	v_fmac_f32_e32 v35, v27, v97
	v_fma_f32 v3, v14, v77, -v3
	v_add_f32_e32 v34, v34, v35
	v_mul_f32_e32 v35, v28, v94
	v_add_f32_e32 v2, v2, v3
	v_mul_f32_e32 v3, v17, v66
	v_fmac_f32_e32 v35, v29, v93
	v_fma_f32 v3, v16, v85, -v3
	v_add_f32_e32 v34, v34, v35
	s_waitcnt lgkmcnt(0)
	v_mul_f32_e32 v35, v30, v96
	v_add_f32_e32 v2, v2, v3
	v_mul_f32_e32 v3, v19, v86
	v_fmac_f32_e32 v35, v31, v95
	v_fma_f32 v3, v18, v84, -v3
	v_add_f32_e32 v38, v34, v35
	ds_read_b128 v[34:37], v1 offset:896
	v_add_f32_e32 v2, v2, v3
	v_mul_f32_e32 v3, v21, v82
	v_fma_f32 v3, v20, v81, -v3
	s_waitcnt vmcnt(32)
	v_mul_f32_e32 v39, v32, v99
	v_add_f32_e32 v2, v2, v3
	v_mul_f32_e32 v3, v23, v87
	v_fmac_f32_e32 v39, v33, v98
	v_fma_f32 v3, v22, v83, -v3
	v_add_f32_e32 v42, v38, v39
	ds_read_b128 v[38:41], v1 offset:912
	v_add_f32_e32 v2, v2, v3
	v_mul_f32_e32 v3, v25, v91
	s_waitcnt vmcnt(30) lgkmcnt(1)
	v_mul_f32_e32 v43, v34, v101
	v_fma_f32 v3, v24, v90, -v3
	v_fmac_f32_e32 v43, v35, v100
	v_add_f32_e32 v2, v2, v3
	v_mul_f32_e32 v3, v27, v92
	v_add_f32_e32 v42, v42, v43
	s_waitcnt vmcnt(28)
	v_mul_f32_e32 v43, v36, v103
	v_fma_f32 v3, v26, v97, -v3
	v_fmac_f32_e32 v43, v37, v102
	v_add_f32_e32 v2, v2, v3
	v_mul_f32_e32 v3, v29, v94
	v_add_f32_e32 v42, v42, v43
	s_waitcnt vmcnt(26) lgkmcnt(0)
	v_mul_f32_e32 v43, v38, v105
	v_fma_f32 v3, v28, v93, -v3
	v_fmac_f32_e32 v43, v39, v104
	v_add_f32_e32 v2, v2, v3
	v_mul_f32_e32 v3, v31, v96
	v_add_f32_e32 v46, v42, v43
	ds_read_b128 v[42:45], v1 offset:928
	v_fma_f32 v3, v30, v95, -v3
	v_add_f32_e32 v2, v2, v3
	v_mul_f32_e32 v3, v33, v99
	s_waitcnt vmcnt(24)
	v_mul_f32_e32 v47, v40, v107
	v_fma_f32 v3, v32, v98, -v3
	v_fmac_f32_e32 v47, v41, v106
	v_add_f32_e32 v2, v2, v3
	v_mul_f32_e32 v3, v35, v101
	v_add_f32_e32 v50, v46, v47
	ds_read_b128 v[46:49], v1 offset:944
	v_fma_f32 v3, v34, v100, -v3
	s_waitcnt vmcnt(22) lgkmcnt(1)
	v_mul_f32_e32 v51, v42, v109
	v_add_f32_e32 v2, v2, v3
	v_mul_f32_e32 v3, v37, v103
	v_fmac_f32_e32 v51, v43, v108
	v_fma_f32 v3, v36, v102, -v3
	v_add_f32_e32 v50, v50, v51
	s_waitcnt vmcnt(20)
	v_mul_f32_e32 v51, v44, v111
	v_add_f32_e32 v2, v2, v3
	v_mul_f32_e32 v3, v39, v105
	v_fmac_f32_e32 v51, v45, v110
	v_fma_f32 v3, v38, v104, -v3
	v_add_f32_e32 v50, v50, v51
	s_waitcnt vmcnt(18) lgkmcnt(0)
	v_mul_f32_e32 v51, v46, v113
	v_add_f32_e32 v2, v2, v3
	v_mul_f32_e32 v3, v41, v107
	v_fmac_f32_e32 v51, v47, v112
	v_fma_f32 v3, v40, v106, -v3
	v_add_f32_e32 v54, v50, v51
	ds_read_b128 v[50:53], v1 offset:960
	v_add_f32_e32 v2, v2, v3
	v_mul_f32_e32 v3, v43, v109
	v_fma_f32 v3, v42, v108, -v3
	s_waitcnt vmcnt(16)
	v_mul_f32_e32 v55, v48, v115
	v_add_f32_e32 v2, v2, v3
	v_mul_f32_e32 v3, v45, v111
	v_fmac_f32_e32 v55, v49, v114
	v_fma_f32 v3, v44, v110, -v3
	v_add_f32_e32 v58, v54, v55
	ds_read_b128 v[54:57], v1 offset:976
	v_add_f32_e32 v2, v2, v3
	v_mul_f32_e32 v3, v47, v113
	s_waitcnt vmcnt(14) lgkmcnt(1)
	v_mul_f32_e32 v59, v50, v117
	v_fma_f32 v3, v46, v112, -v3
	v_fmac_f32_e32 v59, v51, v116
	v_add_f32_e32 v2, v2, v3
	v_mul_f32_e32 v3, v49, v115
	v_add_f32_e32 v58, v58, v59
	s_waitcnt vmcnt(12)
	v_mul_f32_e32 v59, v52, v119
	v_fma_f32 v3, v48, v114, -v3
	v_fmac_f32_e32 v59, v53, v118
	v_add_f32_e32 v2, v2, v3
	v_mul_f32_e32 v3, v51, v117
	v_add_f32_e32 v58, v58, v59
	s_waitcnt vmcnt(10) lgkmcnt(0)
	v_mul_f32_e32 v59, v54, v123
	v_fma_f32 v3, v50, v116, -v3
	v_fmac_f32_e32 v59, v55, v120
	v_add_f32_e32 v2, v2, v3
	v_mul_f32_e32 v3, v53, v119
	v_add_f32_e32 v62, v58, v59
	ds_read_b128 v[58:61], v1 offset:992
	v_fma_f32 v3, v52, v118, -v3
	v_add_f32_e32 v2, v2, v3
	v_mul_f32_e32 v3, v55, v123
	s_waitcnt vmcnt(8)
	v_mul_f32_e32 v63, v56, v125
	v_fma_f32 v3, v54, v120, -v3
	v_fmac_f32_e32 v63, v57, v124
	v_add_f32_e32 v2, v2, v3
	v_mul_f32_e32 v3, v57, v125
	v_add_f32_e32 v134, v62, v63
	ds_read_b128 v[62:65], v1 offset:1008
	v_fma_f32 v3, v56, v124, -v3
	v_add_f32_e32 v2, v2, v3
	s_waitcnt vmcnt(6) lgkmcnt(1)
	v_mul_f32_e32 v3, v59, v127
	v_mul_f32_e32 v1, v58, v127
	v_fma_f32 v3, v58, v126, -v3
	v_fmac_f32_e32 v1, v59, v126
	v_add_f32_e32 v2, v2, v3
	s_waitcnt vmcnt(5)
	v_mul_f32_e32 v3, v61, v128
	v_add_f32_e32 v1, v134, v1
	v_mul_f32_e32 v134, v60, v128
	s_waitcnt vmcnt(2)
	v_fma_f32 v3, v60, v131, -v3
	v_fmac_f32_e32 v134, v61, v131
	v_add_f32_e32 v2, v2, v3
	s_waitcnt lgkmcnt(0)
	v_mul_f32_e32 v3, v63, v130
	v_add_f32_e32 v1, v1, v134
	v_mul_f32_e32 v134, v62, v130
	v_fma_f32 v3, v62, v129, -v3
	v_fmac_f32_e32 v134, v63, v129
	v_add_f32_e32 v2, v2, v3
	s_waitcnt vmcnt(0)
	v_mul_f32_e32 v3, v65, v133
	v_add_f32_e32 v1, v1, v134
	v_mul_f32_e32 v134, v64, v133
	v_fma_f32 v3, v64, v132, -v3
	v_fmac_f32_e32 v134, v65, v132
	v_add_f32_e32 v2, v2, v3
	v_add_f32_e32 v1, v1, v134
	v_sub_f32_e32 v2, v88, v2
	v_sub_f32_e32 v1, v89, v1
	buffer_store_dword v2, off, s[0:3], 0 offset:248
	buffer_store_dword v1, off, s[0:3], 0 offset:252
	s_and_saveexec_b64 s[4:5], vcc
	s_cbranch_execz .LBB127_337
; %bb.336:
	buffer_load_dword v1, off, s[0:3], 0 offset:240
	buffer_load_dword v2, off, s[0:3], 0 offset:244
	v_mov_b32_e32 v3, 0
	buffer_store_dword v3, off, s[0:3], 0 offset:240
	buffer_store_dword v3, off, s[0:3], 0 offset:244
	s_waitcnt vmcnt(2)
	ds_write_b64 v249, v[1:2]
.LBB127_337:
	s_or_b64 exec, exec, s[4:5]
	s_waitcnt lgkmcnt(0)
	; wave barrier
	buffer_load_dword v68, off, s[0:3], 0 offset:308
	buffer_load_dword v69, off, s[0:3], 0 offset:252
	;; [unrolled: 1-line block ×58, first 2 shown]
	v_mov_b32_e32 v1, 0
	ds_read2_b64 v[2:5], v1 offset0:95 offset1:96
	ds_read2_b64 v[6:9], v1 offset0:97 offset1:98
	;; [unrolled: 1-line block ×5, first 2 shown]
	buffer_load_dword v128, off, s[0:3], 0 offset:472
	buffer_load_dword v129, off, s[0:3], 0 offset:476
	;; [unrolled: 1-line block ×6, first 2 shown]
	v_cmp_lt_u32_e32 vcc, 29, v0
	s_waitcnt vmcnt(62) lgkmcnt(1)
	v_mul_f32_e32 v29, v16, v68
	v_mul_f32_e32 v22, v2, v69
	s_waitcnt vmcnt(61)
	v_mul_f32_e32 v23, v4, v70
	s_waitcnt vmcnt(60)
	;; [unrolled: 2-line block ×3, first 2 shown]
	v_fmac_f32_e32 v24, v7, v72
	s_waitcnt vmcnt(58)
	v_fmac_f32_e32 v23, v5, v73
	s_waitcnt vmcnt(57)
	v_fmac_f32_e32 v22, v3, v74
	v_add_f32_e32 v22, 0, v22
	s_waitcnt vmcnt(56)
	v_mul_f32_e32 v25, v8, v75
	v_add_f32_e32 v22, v22, v23
	s_waitcnt vmcnt(55)
	v_mul_f32_e32 v26, v10, v76
	;; [unrolled: 3-line block ×3, first 2 shown]
	s_waitcnt vmcnt(50)
	v_fmac_f32_e32 v26, v11, v81
	s_waitcnt vmcnt(49)
	v_fmac_f32_e32 v25, v9, v82
	v_add_f32_e32 v22, v22, v25
	v_mul_f32_e32 v28, v14, v78
	v_fmac_f32_e32 v27, v13, v80
	v_add_f32_e32 v22, v22, v26
	v_fmac_f32_e32 v28, v15, v79
	v_add_f32_e32 v22, v22, v27
	s_waitcnt vmcnt(44)
	v_fmac_f32_e32 v29, v17, v87
	v_add_f32_e32 v22, v22, v28
	v_add_f32_e32 v26, v22, v29
	ds_read2_b64 v[22:25], v1 offset0:105 offset1:106
	buffer_load_dword v134, off, s[0:3], 0 offset:500
	buffer_load_dword v135, off, s[0:3], 0 offset:504
	;; [unrolled: 1-line block ×4, first 2 shown]
	s_waitcnt vmcnt(47) lgkmcnt(1)
	v_mul_f32_e32 v27, v18, v88
	v_fmac_f32_e32 v27, v19, v86
	v_mul_f32_e32 v3, v3, v69
	v_add_f32_e32 v26, v26, v27
	s_waitcnt vmcnt(46)
	v_mul_f32_e32 v27, v20, v89
	v_fma_f32 v2, v2, v74, -v3
	v_mul_f32_e32 v3, v5, v70
	v_fmac_f32_e32 v27, v21, v85
	v_add_f32_e32 v2, 0, v2
	v_fma_f32 v3, v4, v73, -v3
	v_add_f32_e32 v26, v26, v27
	s_waitcnt lgkmcnt(0)
	v_mul_f32_e32 v27, v22, v84
	v_add_f32_e32 v2, v2, v3
	v_mul_f32_e32 v3, v7, v71
	v_fmac_f32_e32 v27, v23, v83
	v_fma_f32 v3, v6, v72, -v3
	v_add_f32_e32 v30, v26, v27
	ds_read2_b64 v[26:29], v1 offset0:107 offset1:108
	v_add_f32_e32 v2, v2, v3
	v_mul_f32_e32 v3, v9, v75
	v_fma_f32 v3, v8, v82, -v3
	s_waitcnt vmcnt(42)
	v_mul_f32_e32 v31, v24, v93
	v_add_f32_e32 v2, v2, v3
	v_mul_f32_e32 v3, v11, v76
	v_fmac_f32_e32 v31, v25, v92
	v_fma_f32 v3, v10, v81, -v3
	v_add_f32_e32 v34, v30, v31
	ds_read2_b64 v[30:33], v1 offset0:109 offset1:110
	v_add_f32_e32 v2, v2, v3
	v_mul_f32_e32 v3, v13, v77
	s_waitcnt vmcnt(40) lgkmcnt(1)
	v_mul_f32_e32 v35, v26, v95
	v_fma_f32 v3, v12, v80, -v3
	v_fmac_f32_e32 v35, v27, v94
	v_add_f32_e32 v2, v2, v3
	v_mul_f32_e32 v3, v15, v78
	v_add_f32_e32 v34, v34, v35
	s_waitcnt vmcnt(38)
	v_mul_f32_e32 v35, v28, v97
	v_fma_f32 v3, v14, v79, -v3
	v_fmac_f32_e32 v35, v29, v96
	v_add_f32_e32 v2, v2, v3
	v_mul_f32_e32 v3, v17, v68
	v_add_f32_e32 v34, v34, v35
	s_waitcnt vmcnt(36) lgkmcnt(0)
	v_mul_f32_e32 v35, v30, v99
	v_fma_f32 v3, v16, v87, -v3
	v_fmac_f32_e32 v35, v31, v98
	v_add_f32_e32 v2, v2, v3
	v_mul_f32_e32 v3, v19, v88
	v_add_f32_e32 v38, v34, v35
	ds_read2_b64 v[34:37], v1 offset0:111 offset1:112
	v_fma_f32 v3, v18, v86, -v3
	v_add_f32_e32 v2, v2, v3
	v_mul_f32_e32 v3, v21, v89
	s_waitcnt vmcnt(34)
	v_mul_f32_e32 v39, v32, v101
	v_fma_f32 v3, v20, v85, -v3
	v_fmac_f32_e32 v39, v33, v100
	v_add_f32_e32 v2, v2, v3
	v_mul_f32_e32 v3, v23, v84
	v_add_f32_e32 v42, v38, v39
	ds_read2_b64 v[38:41], v1 offset0:113 offset1:114
	v_fma_f32 v3, v22, v83, -v3
	s_waitcnt vmcnt(32) lgkmcnt(1)
	v_mul_f32_e32 v43, v34, v103
	v_add_f32_e32 v2, v2, v3
	v_mul_f32_e32 v3, v25, v93
	v_fmac_f32_e32 v43, v35, v102
	v_fma_f32 v3, v24, v92, -v3
	v_add_f32_e32 v42, v42, v43
	s_waitcnt vmcnt(30)
	v_mul_f32_e32 v43, v36, v105
	v_add_f32_e32 v2, v2, v3
	v_mul_f32_e32 v3, v27, v95
	v_fmac_f32_e32 v43, v37, v104
	v_fma_f32 v3, v26, v94, -v3
	v_add_f32_e32 v42, v42, v43
	s_waitcnt vmcnt(28) lgkmcnt(0)
	v_mul_f32_e32 v43, v38, v107
	v_add_f32_e32 v2, v2, v3
	v_mul_f32_e32 v3, v29, v97
	v_fmac_f32_e32 v43, v39, v106
	v_fma_f32 v3, v28, v96, -v3
	v_add_f32_e32 v46, v42, v43
	ds_read2_b64 v[42:45], v1 offset0:115 offset1:116
	v_add_f32_e32 v2, v2, v3
	v_mul_f32_e32 v3, v31, v99
	v_fma_f32 v3, v30, v98, -v3
	s_waitcnt vmcnt(26)
	v_mul_f32_e32 v47, v40, v109
	v_add_f32_e32 v2, v2, v3
	v_mul_f32_e32 v3, v33, v101
	v_fmac_f32_e32 v47, v41, v108
	v_fma_f32 v3, v32, v100, -v3
	v_add_f32_e32 v50, v46, v47
	ds_read2_b64 v[46:49], v1 offset0:117 offset1:118
	v_add_f32_e32 v2, v2, v3
	v_mul_f32_e32 v3, v35, v103
	s_waitcnt vmcnt(24) lgkmcnt(1)
	v_mul_f32_e32 v51, v42, v111
	v_fma_f32 v3, v34, v102, -v3
	v_fmac_f32_e32 v51, v43, v110
	v_add_f32_e32 v2, v2, v3
	v_mul_f32_e32 v3, v37, v105
	v_add_f32_e32 v50, v50, v51
	s_waitcnt vmcnt(22)
	v_mul_f32_e32 v51, v44, v113
	v_fma_f32 v3, v36, v104, -v3
	v_fmac_f32_e32 v51, v45, v112
	v_add_f32_e32 v2, v2, v3
	v_mul_f32_e32 v3, v39, v107
	v_add_f32_e32 v50, v50, v51
	s_waitcnt vmcnt(20) lgkmcnt(0)
	v_mul_f32_e32 v51, v46, v115
	v_fma_f32 v3, v38, v106, -v3
	v_fmac_f32_e32 v51, v47, v114
	v_add_f32_e32 v2, v2, v3
	v_mul_f32_e32 v3, v41, v109
	v_add_f32_e32 v54, v50, v51
	ds_read2_b64 v[50:53], v1 offset0:119 offset1:120
	v_fma_f32 v3, v40, v108, -v3
	v_add_f32_e32 v2, v2, v3
	v_mul_f32_e32 v3, v43, v111
	s_waitcnt vmcnt(18)
	v_mul_f32_e32 v55, v48, v117
	v_fma_f32 v3, v42, v110, -v3
	v_fmac_f32_e32 v55, v49, v116
	v_add_f32_e32 v2, v2, v3
	v_mul_f32_e32 v3, v45, v113
	v_add_f32_e32 v58, v54, v55
	ds_read2_b64 v[54:57], v1 offset0:121 offset1:122
	v_fma_f32 v3, v44, v112, -v3
	s_waitcnt vmcnt(16) lgkmcnt(1)
	v_mul_f32_e32 v59, v50, v119
	v_add_f32_e32 v2, v2, v3
	v_mul_f32_e32 v3, v47, v115
	v_fmac_f32_e32 v59, v51, v118
	v_fma_f32 v3, v46, v114, -v3
	v_add_f32_e32 v58, v58, v59
	s_waitcnt vmcnt(14)
	v_mul_f32_e32 v59, v52, v123
	v_add_f32_e32 v2, v2, v3
	v_mul_f32_e32 v3, v49, v117
	v_fmac_f32_e32 v59, v53, v120
	v_fma_f32 v3, v48, v116, -v3
	v_add_f32_e32 v58, v58, v59
	s_waitcnt vmcnt(12) lgkmcnt(0)
	v_mul_f32_e32 v59, v54, v125
	v_add_f32_e32 v2, v2, v3
	v_mul_f32_e32 v3, v51, v119
	v_fmac_f32_e32 v59, v55, v124
	v_fma_f32 v3, v50, v118, -v3
	v_add_f32_e32 v62, v58, v59
	ds_read2_b64 v[58:61], v1 offset0:123 offset1:124
	v_add_f32_e32 v2, v2, v3
	v_mul_f32_e32 v3, v53, v123
	v_fma_f32 v3, v52, v120, -v3
	v_add_f32_e32 v2, v2, v3
	v_mul_f32_e32 v3, v55, v125
	s_waitcnt vmcnt(10)
	v_mul_f32_e32 v63, v56, v127
	v_fma_f32 v3, v54, v124, -v3
	v_fmac_f32_e32 v63, v57, v126
	v_add_f32_e32 v2, v2, v3
	v_mul_f32_e32 v3, v57, v127
	v_add_f32_e32 v66, v62, v63
	ds_read2_b64 v[62:65], v1 offset0:125 offset1:126
	s_waitcnt vmcnt(8) lgkmcnt(1)
	v_mul_f32_e32 v67, v58, v129
	v_fma_f32 v3, v56, v126, -v3
	v_fmac_f32_e32 v67, v59, v128
	v_add_f32_e32 v2, v2, v3
	v_mul_f32_e32 v3, v59, v129
	v_add_f32_e32 v66, v66, v67
	s_waitcnt vmcnt(7)
	v_mul_f32_e32 v67, v60, v130
	v_fma_f32 v3, v58, v128, -v3
	s_waitcnt vmcnt(4)
	v_fmac_f32_e32 v67, v61, v133
	v_add_f32_e32 v2, v2, v3
	v_mul_f32_e32 v3, v61, v130
	v_add_f32_e32 v138, v66, v67
	ds_read_b64 v[66:67], v1 offset:1016
	v_fma_f32 v3, v60, v133, -v3
	v_add_f32_e32 v2, v2, v3
	s_waitcnt lgkmcnt(1)
	v_mul_f32_e32 v3, v63, v132
	v_mul_f32_e32 v139, v62, v132
	v_fma_f32 v3, v62, v131, -v3
	v_fmac_f32_e32 v139, v63, v131
	v_add_f32_e32 v2, v2, v3
	s_waitcnt vmcnt(3)
	v_mul_f32_e32 v3, v65, v134
	v_add_f32_e32 v138, v138, v139
	v_mul_f32_e32 v139, v64, v134
	s_waitcnt vmcnt(0)
	v_fma_f32 v3, v64, v137, -v3
	v_fmac_f32_e32 v139, v65, v137
	v_add_f32_e32 v2, v2, v3
	s_waitcnt lgkmcnt(0)
	v_mul_f32_e32 v3, v67, v136
	v_add_f32_e32 v138, v138, v139
	v_mul_f32_e32 v139, v66, v136
	v_fma_f32 v3, v66, v135, -v3
	v_fmac_f32_e32 v139, v67, v135
	v_add_f32_e32 v2, v2, v3
	v_add_f32_e32 v138, v138, v139
	v_sub_f32_e32 v2, v90, v2
	v_sub_f32_e32 v3, v91, v138
	buffer_store_dword v2, off, s[0:3], 0 offset:240
	buffer_store_dword v3, off, s[0:3], 0 offset:244
	s_and_saveexec_b64 s[4:5], vcc
	s_cbranch_execz .LBB127_339
; %bb.338:
	buffer_load_dword v2, off, s[0:3], 0 offset:232
	buffer_load_dword v3, off, s[0:3], 0 offset:236
	s_waitcnt vmcnt(0)
	ds_write_b64 v249, v[2:3]
	buffer_store_dword v1, off, s[0:3], 0 offset:232
	buffer_store_dword v1, off, s[0:3], 0 offset:236
.LBB127_339:
	s_or_b64 exec, exec, s[4:5]
	s_waitcnt lgkmcnt(0)
	; wave barrier
	buffer_load_dword v70, off, s[0:3], 0 offset:244
	buffer_load_dword v71, off, s[0:3], 0 offset:252
	;; [unrolled: 1-line block ×32, first 2 shown]
	ds_read_b128 v[2:5], v1 offset:752
	ds_read_b128 v[6:9], v1 offset:768
	;; [unrolled: 1-line block ×6, first 2 shown]
	buffer_load_dword v102, off, s[0:3], 0 offset:360
	buffer_load_dword v103, off, s[0:3], 0 offset:364
	;; [unrolled: 1-line block ×38, first 2 shown]
	v_cmp_lt_u32_e32 vcc, 28, v0
	s_waitcnt vmcnt(62) lgkmcnt(5)
	v_mul_f32_e32 v26, v2, v70
	v_mul_f32_e32 v27, v4, v71
	s_waitcnt lgkmcnt(4)
	v_mul_f32_e32 v28, v6, v72
	v_mul_f32_e32 v29, v8, v73
	s_waitcnt lgkmcnt(3)
	v_mul_f32_e32 v30, v10, v74
	v_mul_f32_e32 v31, v12, v75
	s_waitcnt lgkmcnt(2)
	v_mul_f32_e32 v32, v14, v76
	v_mul_f32_e32 v33, v16, v77
	s_waitcnt vmcnt(61)
	v_fmac_f32_e32 v28, v7, v78
	s_waitcnt vmcnt(60)
	v_fmac_f32_e32 v27, v5, v79
	s_waitcnt vmcnt(59)
	v_fmac_f32_e32 v26, v3, v80
	v_add_f32_e32 v26, 0, v26
	v_add_f32_e32 v26, v26, v27
	;; [unrolled: 1-line block ×3, first 2 shown]
	s_waitcnt vmcnt(55)
	v_fmac_f32_e32 v29, v9, v84
	v_fmac_f32_e32 v30, v11, v83
	v_add_f32_e32 v26, v26, v29
	v_fmac_f32_e32 v31, v13, v82
	v_add_f32_e32 v26, v26, v30
	;; [unrolled: 2-line block ×3, first 2 shown]
	s_waitcnt vmcnt(51)
	v_fmac_f32_e32 v33, v17, v88
	v_add_f32_e32 v26, v26, v32
	s_waitcnt vmcnt(50) lgkmcnt(1)
	v_mul_f32_e32 v27, v18, v89
	v_add_f32_e32 v26, v26, v33
	v_fmac_f32_e32 v27, v19, v87
	v_mul_f32_e32 v3, v3, v70
	v_add_f32_e32 v26, v26, v27
	s_waitcnt vmcnt(49)
	v_mul_f32_e32 v27, v20, v90
	v_fma_f32 v2, v2, v80, -v3
	v_mul_f32_e32 v3, v5, v71
	v_fmac_f32_e32 v27, v21, v86
	v_add_f32_e32 v2, 0, v2
	v_fma_f32 v3, v4, v79, -v3
	v_add_f32_e32 v26, v26, v27
	s_waitcnt vmcnt(48) lgkmcnt(0)
	v_mul_f32_e32 v27, v22, v91
	v_add_f32_e32 v2, v2, v3
	v_mul_f32_e32 v3, v7, v72
	v_fmac_f32_e32 v27, v23, v85
	v_fma_f32 v3, v6, v78, -v3
	v_add_f32_e32 v30, v26, v27
	ds_read_b128 v[26:29], v1 offset:848
	v_add_f32_e32 v2, v2, v3
	v_mul_f32_e32 v3, v9, v73
	v_fma_f32 v3, v8, v84, -v3
	s_waitcnt vmcnt(45)
	v_mul_f32_e32 v31, v24, v94
	v_add_f32_e32 v2, v2, v3
	v_mul_f32_e32 v3, v11, v74
	s_waitcnt vmcnt(38)
	v_fmac_f32_e32 v31, v25, v101
	v_fma_f32 v3, v10, v83, -v3
	v_add_f32_e32 v34, v30, v31
	ds_read_b128 v[30:33], v1 offset:864
	v_add_f32_e32 v2, v2, v3
	v_mul_f32_e32 v3, v13, v75
	s_waitcnt lgkmcnt(1)
	v_mul_f32_e32 v35, v26, v96
	v_fma_f32 v3, v12, v82, -v3
	v_fmac_f32_e32 v35, v27, v95
	v_add_f32_e32 v2, v2, v3
	v_mul_f32_e32 v3, v15, v76
	v_add_f32_e32 v34, v34, v35
	v_mul_f32_e32 v35, v28, v98
	v_fma_f32 v3, v14, v81, -v3
	v_fmac_f32_e32 v35, v29, v97
	v_add_f32_e32 v2, v2, v3
	v_mul_f32_e32 v3, v17, v77
	v_add_f32_e32 v34, v34, v35
	s_waitcnt lgkmcnt(0)
	v_mul_f32_e32 v35, v30, v100
	v_fma_f32 v3, v16, v88, -v3
	v_fmac_f32_e32 v35, v31, v99
	v_add_f32_e32 v2, v2, v3
	v_mul_f32_e32 v3, v19, v89
	v_add_f32_e32 v38, v34, v35
	ds_read_b128 v[34:37], v1 offset:880
	v_fma_f32 v3, v18, v87, -v3
	v_add_f32_e32 v2, v2, v3
	v_mul_f32_e32 v3, v21, v90
	s_waitcnt vmcnt(36)
	v_mul_f32_e32 v39, v32, v103
	v_fma_f32 v3, v20, v86, -v3
	v_fmac_f32_e32 v39, v33, v102
	v_add_f32_e32 v2, v2, v3
	v_mul_f32_e32 v3, v23, v91
	v_add_f32_e32 v42, v38, v39
	ds_read_b128 v[38:41], v1 offset:896
	v_fma_f32 v3, v22, v85, -v3
	s_waitcnt vmcnt(34) lgkmcnt(1)
	v_mul_f32_e32 v43, v34, v105
	v_add_f32_e32 v2, v2, v3
	v_mul_f32_e32 v3, v25, v94
	v_fmac_f32_e32 v43, v35, v104
	v_fma_f32 v3, v24, v101, -v3
	v_add_f32_e32 v42, v42, v43
	s_waitcnt vmcnt(32)
	v_mul_f32_e32 v43, v36, v107
	v_add_f32_e32 v2, v2, v3
	v_mul_f32_e32 v3, v27, v96
	v_fmac_f32_e32 v43, v37, v106
	v_fma_f32 v3, v26, v95, -v3
	v_add_f32_e32 v42, v42, v43
	s_waitcnt vmcnt(30) lgkmcnt(0)
	v_mul_f32_e32 v43, v38, v109
	v_add_f32_e32 v2, v2, v3
	v_mul_f32_e32 v3, v29, v98
	v_fmac_f32_e32 v43, v39, v108
	v_fma_f32 v3, v28, v97, -v3
	v_add_f32_e32 v46, v42, v43
	ds_read_b128 v[42:45], v1 offset:912
	v_add_f32_e32 v2, v2, v3
	v_mul_f32_e32 v3, v31, v100
	v_fma_f32 v3, v30, v99, -v3
	s_waitcnt vmcnt(28)
	v_mul_f32_e32 v47, v40, v111
	v_add_f32_e32 v2, v2, v3
	v_mul_f32_e32 v3, v33, v103
	v_fmac_f32_e32 v47, v41, v110
	v_fma_f32 v3, v32, v102, -v3
	v_add_f32_e32 v50, v46, v47
	ds_read_b128 v[46:49], v1 offset:928
	v_add_f32_e32 v2, v2, v3
	v_mul_f32_e32 v3, v35, v105
	s_waitcnt vmcnt(26) lgkmcnt(1)
	v_mul_f32_e32 v51, v42, v113
	v_fma_f32 v3, v34, v104, -v3
	v_fmac_f32_e32 v51, v43, v112
	v_add_f32_e32 v2, v2, v3
	v_mul_f32_e32 v3, v37, v107
	v_add_f32_e32 v50, v50, v51
	s_waitcnt vmcnt(24)
	v_mul_f32_e32 v51, v44, v115
	v_fma_f32 v3, v36, v106, -v3
	v_fmac_f32_e32 v51, v45, v114
	v_add_f32_e32 v2, v2, v3
	v_mul_f32_e32 v3, v39, v109
	v_add_f32_e32 v50, v50, v51
	s_waitcnt vmcnt(22) lgkmcnt(0)
	v_mul_f32_e32 v51, v46, v117
	v_fma_f32 v3, v38, v108, -v3
	v_fmac_f32_e32 v51, v47, v116
	v_add_f32_e32 v2, v2, v3
	v_mul_f32_e32 v3, v41, v111
	v_add_f32_e32 v54, v50, v51
	ds_read_b128 v[50:53], v1 offset:944
	v_fma_f32 v3, v40, v110, -v3
	v_add_f32_e32 v2, v2, v3
	v_mul_f32_e32 v3, v43, v113
	s_waitcnt vmcnt(20)
	v_mul_f32_e32 v55, v48, v119
	v_fma_f32 v3, v42, v112, -v3
	v_fmac_f32_e32 v55, v49, v118
	v_add_f32_e32 v2, v2, v3
	v_mul_f32_e32 v3, v45, v115
	v_add_f32_e32 v58, v54, v55
	ds_read_b128 v[54:57], v1 offset:960
	v_fma_f32 v3, v44, v114, -v3
	s_waitcnt vmcnt(18) lgkmcnt(1)
	v_mul_f32_e32 v59, v50, v123
	v_add_f32_e32 v2, v2, v3
	v_mul_f32_e32 v3, v47, v117
	v_fmac_f32_e32 v59, v51, v120
	v_fma_f32 v3, v46, v116, -v3
	v_add_f32_e32 v58, v58, v59
	s_waitcnt vmcnt(16)
	v_mul_f32_e32 v59, v52, v125
	v_add_f32_e32 v2, v2, v3
	v_mul_f32_e32 v3, v49, v119
	v_fmac_f32_e32 v59, v53, v124
	v_fma_f32 v3, v48, v118, -v3
	v_add_f32_e32 v58, v58, v59
	s_waitcnt vmcnt(14) lgkmcnt(0)
	v_mul_f32_e32 v59, v54, v127
	v_add_f32_e32 v2, v2, v3
	v_mul_f32_e32 v3, v51, v123
	v_fmac_f32_e32 v59, v55, v126
	v_fma_f32 v3, v50, v120, -v3
	v_add_f32_e32 v62, v58, v59
	ds_read_b128 v[58:61], v1 offset:976
	v_add_f32_e32 v2, v2, v3
	v_mul_f32_e32 v3, v53, v125
	v_fma_f32 v3, v52, v124, -v3
	v_add_f32_e32 v2, v2, v3
	v_mul_f32_e32 v3, v55, v127
	s_waitcnt vmcnt(12)
	v_mul_f32_e32 v63, v56, v129
	v_fma_f32 v3, v54, v126, -v3
	v_fmac_f32_e32 v63, v57, v128
	v_add_f32_e32 v2, v2, v3
	v_mul_f32_e32 v3, v57, v129
	v_add_f32_e32 v66, v62, v63
	ds_read_b128 v[62:65], v1 offset:992
	s_waitcnt vmcnt(10) lgkmcnt(1)
	v_mul_f32_e32 v67, v58, v131
	v_fma_f32 v3, v56, v128, -v3
	v_fmac_f32_e32 v67, v59, v130
	v_add_f32_e32 v2, v2, v3
	v_mul_f32_e32 v3, v59, v131
	v_add_f32_e32 v66, v66, v67
	s_waitcnt vmcnt(9)
	v_mul_f32_e32 v67, v60, v132
	v_fma_f32 v3, v58, v130, -v3
	s_waitcnt vmcnt(6)
	v_fmac_f32_e32 v67, v61, v135
	v_add_f32_e32 v2, v2, v3
	v_mul_f32_e32 v3, v61, v132
	v_add_f32_e32 v142, v66, v67
	ds_read_b128 v[66:69], v1 offset:1008
	v_fma_f32 v3, v60, v135, -v3
	v_add_f32_e32 v2, v2, v3
	s_waitcnt lgkmcnt(1)
	v_mul_f32_e32 v3, v63, v134
	v_mul_f32_e32 v143, v62, v134
	v_fma_f32 v3, v62, v133, -v3
	v_fmac_f32_e32 v143, v63, v133
	v_add_f32_e32 v2, v2, v3
	s_waitcnt vmcnt(4)
	v_mul_f32_e32 v3, v65, v137
	v_add_f32_e32 v1, v142, v143
	v_mul_f32_e32 v142, v64, v137
	v_fma_f32 v3, v64, v136, -v3
	v_fmac_f32_e32 v142, v65, v136
	v_add_f32_e32 v2, v2, v3
	s_waitcnt vmcnt(3) lgkmcnt(0)
	v_mul_f32_e32 v3, v67, v138
	v_add_f32_e32 v1, v1, v142
	v_mul_f32_e32 v142, v66, v138
	s_waitcnt vmcnt(0)
	v_fma_f32 v3, v66, v141, -v3
	v_fmac_f32_e32 v142, v67, v141
	v_add_f32_e32 v2, v2, v3
	v_mul_f32_e32 v3, v69, v140
	v_add_f32_e32 v1, v1, v142
	v_mul_f32_e32 v142, v68, v140
	v_fma_f32 v3, v68, v139, -v3
	v_fmac_f32_e32 v142, v69, v139
	v_add_f32_e32 v2, v2, v3
	v_add_f32_e32 v1, v1, v142
	v_sub_f32_e32 v2, v92, v2
	v_sub_f32_e32 v1, v93, v1
	buffer_store_dword v2, off, s[0:3], 0 offset:232
	buffer_store_dword v1, off, s[0:3], 0 offset:236
	s_and_saveexec_b64 s[4:5], vcc
	s_cbranch_execz .LBB127_341
; %bb.340:
	buffer_load_dword v1, off, s[0:3], 0 offset:224
	buffer_load_dword v2, off, s[0:3], 0 offset:228
	v_mov_b32_e32 v3, 0
	buffer_store_dword v3, off, s[0:3], 0 offset:224
	buffer_store_dword v3, off, s[0:3], 0 offset:228
	s_waitcnt vmcnt(2)
	ds_write_b64 v249, v[1:2]
.LBB127_341:
	s_or_b64 exec, exec, s[4:5]
	s_waitcnt lgkmcnt(0)
	; wave barrier
	buffer_load_dword v72, off, s[0:3], 0 offset:236
	buffer_load_dword v73, off, s[0:3], 0 offset:244
	;; [unrolled: 1-line block ×56, first 2 shown]
	v_mov_b32_e32 v1, 0
	ds_read2_b64 v[2:5], v1 offset0:93 offset1:94
	ds_read2_b64 v[6:9], v1 offset0:95 offset1:96
	;; [unrolled: 1-line block ×6, first 2 shown]
	buffer_load_dword v130, off, s[0:3], 0 offset:448
	buffer_load_dword v131, off, s[0:3], 0 offset:452
	;; [unrolled: 1-line block ×16, first 2 shown]
	v_cmp_lt_u32_e32 vcc, 27, v0
	s_waitcnt vmcnt(62) lgkmcnt(5)
	v_mul_f32_e32 v26, v2, v72
	v_mul_f32_e32 v27, v4, v73
	s_waitcnt lgkmcnt(4)
	v_mul_f32_e32 v28, v6, v74
	v_mul_f32_e32 v29, v8, v75
	s_waitcnt lgkmcnt(3)
	;; [unrolled: 3-line block ×4, first 2 shown]
	v_mul_f32_e32 v34, v18, v80
	v_fmac_f32_e32 v28, v7, v81
	s_waitcnt vmcnt(61)
	v_fmac_f32_e32 v27, v5, v82
	s_waitcnt vmcnt(60)
	v_fmac_f32_e32 v26, v3, v83
	v_add_f32_e32 v26, 0, v26
	v_add_f32_e32 v26, v26, v27
	;; [unrolled: 1-line block ×3, first 2 shown]
	s_waitcnt vmcnt(56)
	v_fmac_f32_e32 v29, v9, v87
	v_fmac_f32_e32 v30, v11, v86
	v_add_f32_e32 v26, v26, v29
	v_fmac_f32_e32 v31, v13, v85
	v_add_f32_e32 v26, v26, v30
	;; [unrolled: 2-line block ×3, first 2 shown]
	s_waitcnt vmcnt(52)
	v_fmac_f32_e32 v33, v17, v91
	v_add_f32_e32 v26, v26, v32
	v_add_f32_e32 v26, v26, v33
	v_fmac_f32_e32 v34, v19, v90
	s_waitcnt vmcnt(51)
	v_mul_f32_e32 v27, v20, v92
	v_add_f32_e32 v26, v26, v34
	v_fmac_f32_e32 v27, v21, v89
	v_mul_f32_e32 v3, v3, v72
	v_add_f32_e32 v26, v26, v27
	s_waitcnt vmcnt(50) lgkmcnt(0)
	v_mul_f32_e32 v27, v22, v93
	v_fma_f32 v2, v2, v83, -v3
	v_mul_f32_e32 v3, v5, v73
	v_fmac_f32_e32 v27, v23, v88
	v_add_f32_e32 v2, 0, v2
	v_fma_f32 v3, v4, v82, -v3
	v_add_f32_e32 v30, v26, v27
	ds_read2_b64 v[26:29], v1 offset0:105 offset1:106
	v_add_f32_e32 v2, v2, v3
	v_mul_f32_e32 v3, v7, v74
	v_fma_f32 v3, v6, v81, -v3
	s_waitcnt vmcnt(46)
	v_mul_f32_e32 v31, v24, v97
	v_add_f32_e32 v2, v2, v3
	v_mul_f32_e32 v3, v9, v75
	v_fmac_f32_e32 v31, v25, v96
	v_fma_f32 v3, v8, v87, -v3
	v_add_f32_e32 v34, v30, v31
	ds_read2_b64 v[30:33], v1 offset0:107 offset1:108
	v_add_f32_e32 v2, v2, v3
	v_mul_f32_e32 v3, v11, v76
	s_waitcnt vmcnt(44) lgkmcnt(1)
	v_mul_f32_e32 v35, v26, v99
	v_fma_f32 v3, v10, v86, -v3
	v_fmac_f32_e32 v35, v27, v98
	v_add_f32_e32 v2, v2, v3
	v_mul_f32_e32 v3, v13, v77
	v_add_f32_e32 v34, v34, v35
	s_waitcnt vmcnt(42)
	v_mul_f32_e32 v35, v28, v101
	v_fma_f32 v3, v12, v85, -v3
	v_fmac_f32_e32 v35, v29, v100
	v_add_f32_e32 v2, v2, v3
	v_mul_f32_e32 v3, v15, v78
	v_add_f32_e32 v34, v34, v35
	s_waitcnt vmcnt(40) lgkmcnt(0)
	v_mul_f32_e32 v35, v30, v103
	v_fma_f32 v3, v14, v84, -v3
	v_fmac_f32_e32 v35, v31, v102
	v_add_f32_e32 v2, v2, v3
	v_mul_f32_e32 v3, v17, v79
	v_add_f32_e32 v38, v34, v35
	ds_read2_b64 v[34:37], v1 offset0:109 offset1:110
	v_fma_f32 v3, v16, v91, -v3
	v_add_f32_e32 v2, v2, v3
	v_mul_f32_e32 v3, v19, v80
	s_waitcnt vmcnt(38)
	v_mul_f32_e32 v39, v32, v105
	v_fma_f32 v3, v18, v90, -v3
	v_fmac_f32_e32 v39, v33, v104
	v_add_f32_e32 v2, v2, v3
	v_mul_f32_e32 v3, v21, v92
	v_add_f32_e32 v42, v38, v39
	ds_read2_b64 v[38:41], v1 offset0:111 offset1:112
	v_fma_f32 v3, v20, v89, -v3
	s_waitcnt vmcnt(36) lgkmcnt(1)
	v_mul_f32_e32 v43, v34, v107
	v_add_f32_e32 v2, v2, v3
	v_mul_f32_e32 v3, v23, v93
	v_fmac_f32_e32 v43, v35, v106
	v_fma_f32 v3, v22, v88, -v3
	v_add_f32_e32 v42, v42, v43
	s_waitcnt vmcnt(34)
	v_mul_f32_e32 v43, v36, v109
	v_add_f32_e32 v2, v2, v3
	v_mul_f32_e32 v3, v25, v97
	v_fmac_f32_e32 v43, v37, v108
	v_fma_f32 v3, v24, v96, -v3
	v_add_f32_e32 v42, v42, v43
	s_waitcnt vmcnt(32) lgkmcnt(0)
	v_mul_f32_e32 v43, v38, v111
	v_add_f32_e32 v2, v2, v3
	v_mul_f32_e32 v3, v27, v99
	v_fmac_f32_e32 v43, v39, v110
	v_fma_f32 v3, v26, v98, -v3
	v_add_f32_e32 v46, v42, v43
	ds_read2_b64 v[42:45], v1 offset0:113 offset1:114
	v_add_f32_e32 v2, v2, v3
	v_mul_f32_e32 v3, v29, v101
	v_fma_f32 v3, v28, v100, -v3
	s_waitcnt vmcnt(30)
	v_mul_f32_e32 v47, v40, v113
	v_add_f32_e32 v2, v2, v3
	v_mul_f32_e32 v3, v31, v103
	v_fmac_f32_e32 v47, v41, v112
	v_fma_f32 v3, v30, v102, -v3
	v_add_f32_e32 v50, v46, v47
	ds_read2_b64 v[46:49], v1 offset0:115 offset1:116
	v_add_f32_e32 v2, v2, v3
	v_mul_f32_e32 v3, v33, v105
	s_waitcnt vmcnt(28) lgkmcnt(1)
	v_mul_f32_e32 v51, v42, v115
	v_fma_f32 v3, v32, v104, -v3
	v_fmac_f32_e32 v51, v43, v114
	v_add_f32_e32 v2, v2, v3
	v_mul_f32_e32 v3, v35, v107
	v_add_f32_e32 v50, v50, v51
	s_waitcnt vmcnt(26)
	v_mul_f32_e32 v51, v44, v117
	v_fma_f32 v3, v34, v106, -v3
	v_fmac_f32_e32 v51, v45, v116
	v_add_f32_e32 v2, v2, v3
	v_mul_f32_e32 v3, v37, v109
	v_add_f32_e32 v50, v50, v51
	s_waitcnt vmcnt(24) lgkmcnt(0)
	v_mul_f32_e32 v51, v46, v119
	v_fma_f32 v3, v36, v108, -v3
	v_fmac_f32_e32 v51, v47, v118
	v_add_f32_e32 v2, v2, v3
	v_mul_f32_e32 v3, v39, v111
	v_add_f32_e32 v54, v50, v51
	ds_read2_b64 v[50:53], v1 offset0:117 offset1:118
	v_fma_f32 v3, v38, v110, -v3
	v_add_f32_e32 v2, v2, v3
	v_mul_f32_e32 v3, v41, v113
	s_waitcnt vmcnt(22)
	v_mul_f32_e32 v55, v48, v123
	v_fma_f32 v3, v40, v112, -v3
	v_fmac_f32_e32 v55, v49, v120
	v_add_f32_e32 v2, v2, v3
	v_mul_f32_e32 v3, v43, v115
	v_add_f32_e32 v58, v54, v55
	ds_read2_b64 v[54:57], v1 offset0:119 offset1:120
	v_fma_f32 v3, v42, v114, -v3
	s_waitcnt vmcnt(20) lgkmcnt(1)
	v_mul_f32_e32 v59, v50, v125
	v_add_f32_e32 v2, v2, v3
	v_mul_f32_e32 v3, v45, v117
	v_fmac_f32_e32 v59, v51, v124
	v_fma_f32 v3, v44, v116, -v3
	v_add_f32_e32 v58, v58, v59
	s_waitcnt vmcnt(18)
	v_mul_f32_e32 v59, v52, v127
	v_add_f32_e32 v2, v2, v3
	v_mul_f32_e32 v3, v47, v119
	v_fmac_f32_e32 v59, v53, v126
	v_fma_f32 v3, v46, v118, -v3
	v_add_f32_e32 v58, v58, v59
	s_waitcnt vmcnt(16) lgkmcnt(0)
	v_mul_f32_e32 v59, v54, v129
	v_add_f32_e32 v2, v2, v3
	v_mul_f32_e32 v3, v49, v123
	v_fmac_f32_e32 v59, v55, v128
	v_fma_f32 v3, v48, v120, -v3
	v_add_f32_e32 v62, v58, v59
	ds_read2_b64 v[58:61], v1 offset0:121 offset1:122
	v_add_f32_e32 v2, v2, v3
	v_mul_f32_e32 v3, v51, v125
	v_fma_f32 v3, v50, v124, -v3
	s_waitcnt vmcnt(14)
	v_mul_f32_e32 v63, v56, v131
	v_add_f32_e32 v2, v2, v3
	v_mul_f32_e32 v3, v53, v127
	v_fmac_f32_e32 v63, v57, v130
	v_fma_f32 v3, v52, v126, -v3
	v_add_f32_e32 v66, v62, v63
	ds_read2_b64 v[62:65], v1 offset0:123 offset1:124
	v_add_f32_e32 v2, v2, v3
	v_mul_f32_e32 v3, v55, v129
	s_waitcnt vmcnt(12) lgkmcnt(1)
	v_mul_f32_e32 v67, v58, v133
	v_fma_f32 v3, v54, v128, -v3
	v_fmac_f32_e32 v67, v59, v132
	v_add_f32_e32 v2, v2, v3
	v_mul_f32_e32 v3, v57, v131
	v_add_f32_e32 v66, v66, v67
	s_waitcnt vmcnt(11)
	v_mul_f32_e32 v67, v60, v134
	v_fma_f32 v3, v56, v130, -v3
	s_waitcnt vmcnt(8)
	v_fmac_f32_e32 v67, v61, v137
	v_add_f32_e32 v2, v2, v3
	v_mul_f32_e32 v3, v59, v133
	v_add_f32_e32 v66, v66, v67
	s_waitcnt lgkmcnt(0)
	v_mul_f32_e32 v67, v62, v136
	v_fma_f32 v3, v58, v132, -v3
	v_fmac_f32_e32 v67, v63, v135
	v_add_f32_e32 v2, v2, v3
	v_mul_f32_e32 v3, v61, v134
	v_add_f32_e32 v70, v66, v67
	ds_read2_b64 v[66:69], v1 offset0:125 offset1:126
	v_fma_f32 v3, v60, v137, -v3
	v_add_f32_e32 v2, v2, v3
	v_mul_f32_e32 v3, v63, v136
	s_waitcnt vmcnt(6)
	v_mul_f32_e32 v71, v64, v139
	v_fma_f32 v3, v62, v135, -v3
	v_fmac_f32_e32 v71, v65, v138
	v_add_f32_e32 v2, v2, v3
	v_mul_f32_e32 v3, v65, v139
	v_add_f32_e32 v146, v70, v71
	ds_read_b64 v[70:71], v1 offset:1016
	v_fma_f32 v3, v64, v138, -v3
	v_add_f32_e32 v2, v2, v3
	s_waitcnt vmcnt(4) lgkmcnt(1)
	v_mul_f32_e32 v3, v67, v141
	v_mul_f32_e32 v147, v66, v141
	v_fma_f32 v3, v66, v140, -v3
	v_fmac_f32_e32 v147, v67, v140
	v_add_f32_e32 v2, v2, v3
	s_waitcnt vmcnt(3)
	v_mul_f32_e32 v3, v69, v142
	v_add_f32_e32 v146, v146, v147
	v_mul_f32_e32 v147, v68, v142
	s_waitcnt vmcnt(0)
	v_fma_f32 v3, v68, v145, -v3
	v_fmac_f32_e32 v147, v69, v145
	v_add_f32_e32 v2, v2, v3
	s_waitcnt lgkmcnt(0)
	v_mul_f32_e32 v3, v71, v144
	v_add_f32_e32 v146, v146, v147
	v_mul_f32_e32 v147, v70, v144
	v_fma_f32 v3, v70, v143, -v3
	v_fmac_f32_e32 v147, v71, v143
	v_add_f32_e32 v2, v2, v3
	v_add_f32_e32 v146, v146, v147
	v_sub_f32_e32 v2, v94, v2
	v_sub_f32_e32 v3, v95, v146
	buffer_store_dword v2, off, s[0:3], 0 offset:224
	buffer_store_dword v3, off, s[0:3], 0 offset:228
	s_and_saveexec_b64 s[4:5], vcc
	s_cbranch_execz .LBB127_343
; %bb.342:
	buffer_load_dword v2, off, s[0:3], 0 offset:216
	buffer_load_dword v3, off, s[0:3], 0 offset:220
	s_waitcnt vmcnt(0)
	ds_write_b64 v249, v[2:3]
	buffer_store_dword v1, off, s[0:3], 0 offset:216
	buffer_store_dword v1, off, s[0:3], 0 offset:220
.LBB127_343:
	s_or_b64 exec, exec, s[4:5]
	s_waitcnt lgkmcnt(0)
	; wave barrier
	buffer_load_dword v74, off, s[0:3], 0 offset:228
	buffer_load_dword v75, off, s[0:3], 0 offset:236
	;; [unrolled: 1-line block ×26, first 2 shown]
	ds_read_b128 v[2:5], v1 offset:736
	ds_read_b128 v[6:9], v1 offset:752
	;; [unrolled: 1-line block ×6, first 2 shown]
	buffer_load_dword v100, off, s[0:3], 0 offset:320
	buffer_load_dword v101, off, s[0:3], 0 offset:324
	buffer_load_dword v102, off, s[0:3], 0 offset:328
	buffer_load_dword v103, off, s[0:3], 0 offset:332
	buffer_load_dword v104, off, s[0:3], 0 offset:336
	buffer_load_dword v105, off, s[0:3], 0 offset:340
	buffer_load_dword v106, off, s[0:3], 0 offset:344
	buffer_load_dword v107, off, s[0:3], 0 offset:348
	buffer_load_dword v108, off, s[0:3], 0 offset:352
	buffer_load_dword v109, off, s[0:3], 0 offset:356
	buffer_load_dword v110, off, s[0:3], 0 offset:360
	buffer_load_dword v111, off, s[0:3], 0 offset:364
	buffer_load_dword v112, off, s[0:3], 0 offset:368
	buffer_load_dword v113, off, s[0:3], 0 offset:372
	buffer_load_dword v114, off, s[0:3], 0 offset:376
	buffer_load_dword v115, off, s[0:3], 0 offset:380
	buffer_load_dword v116, off, s[0:3], 0 offset:384
	buffer_load_dword v117, off, s[0:3], 0 offset:388
	buffer_load_dword v118, off, s[0:3], 0 offset:392
	buffer_load_dword v119, off, s[0:3], 0 offset:396
	buffer_load_dword v120, off, s[0:3], 0 offset:400
	buffer_load_dword v123, off, s[0:3], 0 offset:404
	buffer_load_dword v124, off, s[0:3], 0 offset:408
	buffer_load_dword v125, off, s[0:3], 0 offset:412
	buffer_load_dword v126, off, s[0:3], 0 offset:416
	buffer_load_dword v127, off, s[0:3], 0 offset:420
	buffer_load_dword v128, off, s[0:3], 0 offset:424
	buffer_load_dword v129, off, s[0:3], 0 offset:428
	buffer_load_dword v130, off, s[0:3], 0 offset:432
	buffer_load_dword v131, off, s[0:3], 0 offset:436
	buffer_load_dword v132, off, s[0:3], 0 offset:440
	buffer_load_dword v133, off, s[0:3], 0 offset:444
	buffer_load_dword v134, off, s[0:3], 0 offset:448
	buffer_load_dword v135, off, s[0:3], 0 offset:452
	buffer_load_dword v136, off, s[0:3], 0 offset:460
	buffer_load_dword v137, off, s[0:3], 0 offset:464
	buffer_load_dword v138, off, s[0:3], 0 offset:468
	buffer_load_dword v139, off, s[0:3], 0 offset:456
	buffer_load_dword v140, off, s[0:3], 0 offset:472
	buffer_load_dword v141, off, s[0:3], 0 offset:476
	buffer_load_dword v142, off, s[0:3], 0 offset:480
	buffer_load_dword v143, off, s[0:3], 0 offset:484
	buffer_load_dword v144, off, s[0:3], 0 offset:492
	buffer_load_dword v145, off, s[0:3], 0 offset:496
	buffer_load_dword v146, off, s[0:3], 0 offset:500
	buffer_load_dword v147, off, s[0:3], 0 offset:488
	v_cmp_lt_u32_e32 vcc, 26, v0
	s_waitcnt vmcnt(62) lgkmcnt(5)
	v_mul_f32_e32 v26, v2, v74
	v_mul_f32_e32 v27, v4, v75
	s_waitcnt lgkmcnt(4)
	v_mul_f32_e32 v28, v6, v76
	v_mul_f32_e32 v29, v8, v77
	s_waitcnt lgkmcnt(3)
	;; [unrolled: 3-line block ×4, first 2 shown]
	v_mul_f32_e32 v34, v18, v82
	v_fmac_f32_e32 v28, v7, v83
	s_waitcnt vmcnt(61)
	v_fmac_f32_e32 v27, v5, v84
	s_waitcnt vmcnt(60)
	v_fmac_f32_e32 v26, v3, v85
	v_add_f32_e32 v26, 0, v26
	v_add_f32_e32 v26, v26, v27
	;; [unrolled: 1-line block ×3, first 2 shown]
	s_waitcnt vmcnt(56)
	v_fmac_f32_e32 v29, v9, v89
	v_fmac_f32_e32 v30, v11, v88
	v_add_f32_e32 v26, v26, v29
	v_fmac_f32_e32 v31, v13, v87
	v_add_f32_e32 v26, v26, v30
	;; [unrolled: 2-line block ×3, first 2 shown]
	s_waitcnt vmcnt(52)
	v_fmac_f32_e32 v33, v17, v93
	v_add_f32_e32 v26, v26, v32
	v_fmac_f32_e32 v34, v19, v92
	v_add_f32_e32 v26, v26, v33
	s_waitcnt vmcnt(51)
	v_mul_f32_e32 v27, v20, v94
	v_add_f32_e32 v26, v26, v34
	v_fmac_f32_e32 v27, v21, v91
	v_add_f32_e32 v26, v26, v27
	s_waitcnt vmcnt(50) lgkmcnt(0)
	v_mul_f32_e32 v27, v22, v95
	v_fmac_f32_e32 v27, v23, v90
	s_waitcnt vmcnt(46)
	v_mul_f32_e32 v31, v24, v99
	v_add_f32_e32 v30, v26, v27
	v_fmac_f32_e32 v31, v25, v98
	ds_read_b128 v[26:29], v1 offset:832
	v_add_f32_e32 v34, v30, v31
	ds_read_b128 v[30:33], v1 offset:848
	buffer_load_dword v148, off, s[0:3], 0 offset:504
	buffer_load_dword v149, off, s[0:3], 0 offset:508
	v_mul_f32_e32 v3, v3, v74
	v_fma_f32 v2, v2, v85, -v3
	v_mul_f32_e32 v3, v5, v75
	v_add_f32_e32 v2, 0, v2
	v_fma_f32 v3, v4, v84, -v3
	v_add_f32_e32 v2, v2, v3
	v_mul_f32_e32 v3, v7, v76
	v_fma_f32 v3, v6, v83, -v3
	v_add_f32_e32 v2, v2, v3
	v_mul_f32_e32 v3, v9, v77
	v_fma_f32 v3, v8, v89, -v3
	v_add_f32_e32 v2, v2, v3
	v_mul_f32_e32 v3, v11, v78
	s_waitcnt vmcnt(46) lgkmcnt(1)
	v_mul_f32_e32 v35, v26, v101
	v_fma_f32 v3, v10, v88, -v3
	v_fmac_f32_e32 v35, v27, v100
	v_add_f32_e32 v2, v2, v3
	v_mul_f32_e32 v3, v13, v79
	v_add_f32_e32 v34, v34, v35
	s_waitcnt vmcnt(44)
	v_mul_f32_e32 v35, v28, v103
	v_fma_f32 v3, v12, v87, -v3
	v_fmac_f32_e32 v35, v29, v102
	v_add_f32_e32 v2, v2, v3
	v_mul_f32_e32 v3, v15, v80
	v_add_f32_e32 v34, v34, v35
	s_waitcnt vmcnt(42) lgkmcnt(0)
	v_mul_f32_e32 v35, v30, v105
	v_fma_f32 v3, v14, v86, -v3
	v_fmac_f32_e32 v35, v31, v104
	v_add_f32_e32 v2, v2, v3
	v_mul_f32_e32 v3, v17, v81
	v_add_f32_e32 v38, v34, v35
	ds_read_b128 v[34:37], v1 offset:864
	v_fma_f32 v3, v16, v93, -v3
	v_add_f32_e32 v2, v2, v3
	v_mul_f32_e32 v3, v19, v82
	s_waitcnt vmcnt(40)
	v_mul_f32_e32 v39, v32, v107
	v_fma_f32 v3, v18, v92, -v3
	v_fmac_f32_e32 v39, v33, v106
	v_add_f32_e32 v2, v2, v3
	v_mul_f32_e32 v3, v21, v94
	v_add_f32_e32 v42, v38, v39
	ds_read_b128 v[38:41], v1 offset:880
	v_fma_f32 v3, v20, v91, -v3
	s_waitcnt vmcnt(38) lgkmcnt(1)
	v_mul_f32_e32 v43, v34, v109
	v_add_f32_e32 v2, v2, v3
	v_mul_f32_e32 v3, v23, v95
	v_fmac_f32_e32 v43, v35, v108
	v_fma_f32 v3, v22, v90, -v3
	v_add_f32_e32 v42, v42, v43
	s_waitcnt vmcnt(36)
	v_mul_f32_e32 v43, v36, v111
	v_add_f32_e32 v2, v2, v3
	v_mul_f32_e32 v3, v25, v99
	v_fmac_f32_e32 v43, v37, v110
	v_fma_f32 v3, v24, v98, -v3
	v_add_f32_e32 v42, v42, v43
	s_waitcnt vmcnt(34) lgkmcnt(0)
	v_mul_f32_e32 v43, v38, v113
	v_add_f32_e32 v2, v2, v3
	v_mul_f32_e32 v3, v27, v101
	v_fmac_f32_e32 v43, v39, v112
	v_fma_f32 v3, v26, v100, -v3
	v_add_f32_e32 v46, v42, v43
	ds_read_b128 v[42:45], v1 offset:896
	v_add_f32_e32 v2, v2, v3
	v_mul_f32_e32 v3, v29, v103
	v_fma_f32 v3, v28, v102, -v3
	s_waitcnt vmcnt(32)
	v_mul_f32_e32 v47, v40, v115
	v_add_f32_e32 v2, v2, v3
	v_mul_f32_e32 v3, v31, v105
	v_fmac_f32_e32 v47, v41, v114
	v_fma_f32 v3, v30, v104, -v3
	v_add_f32_e32 v50, v46, v47
	ds_read_b128 v[46:49], v1 offset:912
	v_add_f32_e32 v2, v2, v3
	v_mul_f32_e32 v3, v33, v107
	s_waitcnt vmcnt(30) lgkmcnt(1)
	v_mul_f32_e32 v51, v42, v117
	v_fma_f32 v3, v32, v106, -v3
	v_fmac_f32_e32 v51, v43, v116
	v_add_f32_e32 v2, v2, v3
	v_mul_f32_e32 v3, v35, v109
	v_add_f32_e32 v50, v50, v51
	s_waitcnt vmcnt(28)
	v_mul_f32_e32 v51, v44, v119
	v_fma_f32 v3, v34, v108, -v3
	v_fmac_f32_e32 v51, v45, v118
	v_add_f32_e32 v2, v2, v3
	v_mul_f32_e32 v3, v37, v111
	v_add_f32_e32 v50, v50, v51
	s_waitcnt vmcnt(26) lgkmcnt(0)
	v_mul_f32_e32 v51, v46, v123
	v_fma_f32 v3, v36, v110, -v3
	v_fmac_f32_e32 v51, v47, v120
	v_add_f32_e32 v2, v2, v3
	v_mul_f32_e32 v3, v39, v113
	v_add_f32_e32 v54, v50, v51
	ds_read_b128 v[50:53], v1 offset:928
	v_fma_f32 v3, v38, v112, -v3
	v_add_f32_e32 v2, v2, v3
	v_mul_f32_e32 v3, v41, v115
	s_waitcnt vmcnt(24)
	v_mul_f32_e32 v55, v48, v125
	v_fma_f32 v3, v40, v114, -v3
	v_fmac_f32_e32 v55, v49, v124
	v_add_f32_e32 v2, v2, v3
	v_mul_f32_e32 v3, v43, v117
	v_add_f32_e32 v58, v54, v55
	ds_read_b128 v[54:57], v1 offset:944
	v_fma_f32 v3, v42, v116, -v3
	s_waitcnt vmcnt(22) lgkmcnt(1)
	v_mul_f32_e32 v59, v50, v127
	v_add_f32_e32 v2, v2, v3
	v_mul_f32_e32 v3, v45, v119
	v_fmac_f32_e32 v59, v51, v126
	v_fma_f32 v3, v44, v118, -v3
	v_add_f32_e32 v58, v58, v59
	s_waitcnt vmcnt(20)
	v_mul_f32_e32 v59, v52, v129
	v_add_f32_e32 v2, v2, v3
	v_mul_f32_e32 v3, v47, v123
	v_fmac_f32_e32 v59, v53, v128
	v_fma_f32 v3, v46, v120, -v3
	v_add_f32_e32 v58, v58, v59
	s_waitcnt vmcnt(18) lgkmcnt(0)
	v_mul_f32_e32 v59, v54, v131
	v_add_f32_e32 v2, v2, v3
	v_mul_f32_e32 v3, v49, v125
	v_fmac_f32_e32 v59, v55, v130
	v_fma_f32 v3, v48, v124, -v3
	v_add_f32_e32 v62, v58, v59
	ds_read_b128 v[58:61], v1 offset:960
	v_add_f32_e32 v2, v2, v3
	v_mul_f32_e32 v3, v51, v127
	v_fma_f32 v3, v50, v126, -v3
	s_waitcnt vmcnt(16)
	v_mul_f32_e32 v63, v56, v133
	v_add_f32_e32 v2, v2, v3
	v_mul_f32_e32 v3, v53, v129
	v_fmac_f32_e32 v63, v57, v132
	v_fma_f32 v3, v52, v128, -v3
	v_add_f32_e32 v66, v62, v63
	ds_read_b128 v[62:65], v1 offset:976
	v_add_f32_e32 v2, v2, v3
	v_mul_f32_e32 v3, v55, v131
	s_waitcnt vmcnt(14) lgkmcnt(1)
	v_mul_f32_e32 v67, v58, v135
	v_fma_f32 v3, v54, v130, -v3
	v_fmac_f32_e32 v67, v59, v134
	v_add_f32_e32 v2, v2, v3
	v_mul_f32_e32 v3, v57, v133
	v_add_f32_e32 v66, v66, v67
	s_waitcnt vmcnt(13)
	v_mul_f32_e32 v67, v60, v136
	v_fma_f32 v3, v56, v132, -v3
	s_waitcnt vmcnt(10)
	v_fmac_f32_e32 v67, v61, v139
	v_add_f32_e32 v2, v2, v3
	v_mul_f32_e32 v3, v59, v135
	v_add_f32_e32 v66, v66, v67
	s_waitcnt lgkmcnt(0)
	v_mul_f32_e32 v67, v62, v138
	v_fma_f32 v3, v58, v134, -v3
	v_fmac_f32_e32 v67, v63, v137
	v_add_f32_e32 v2, v2, v3
	v_mul_f32_e32 v3, v61, v136
	v_add_f32_e32 v70, v66, v67
	ds_read_b128 v[66:69], v1 offset:992
	v_fma_f32 v3, v60, v139, -v3
	v_add_f32_e32 v2, v2, v3
	v_mul_f32_e32 v3, v63, v138
	s_waitcnt vmcnt(8)
	v_mul_f32_e32 v71, v64, v141
	v_fma_f32 v3, v62, v137, -v3
	v_fmac_f32_e32 v71, v65, v140
	v_add_f32_e32 v2, v2, v3
	v_mul_f32_e32 v3, v65, v141
	v_add_f32_e32 v150, v70, v71
	ds_read_b128 v[70:73], v1 offset:1008
	v_fma_f32 v3, v64, v140, -v3
	v_add_f32_e32 v2, v2, v3
	s_waitcnt vmcnt(6) lgkmcnt(1)
	v_mul_f32_e32 v3, v67, v143
	v_mul_f32_e32 v1, v66, v143
	v_fma_f32 v3, v66, v142, -v3
	v_fmac_f32_e32 v1, v67, v142
	v_add_f32_e32 v2, v2, v3
	s_waitcnt vmcnt(5)
	v_mul_f32_e32 v3, v69, v144
	v_add_f32_e32 v1, v150, v1
	v_mul_f32_e32 v150, v68, v144
	s_waitcnt vmcnt(2)
	v_fma_f32 v3, v68, v147, -v3
	v_fmac_f32_e32 v150, v69, v147
	v_add_f32_e32 v2, v2, v3
	s_waitcnt lgkmcnt(0)
	v_mul_f32_e32 v3, v71, v146
	v_add_f32_e32 v1, v1, v150
	v_mul_f32_e32 v150, v70, v146
	v_fma_f32 v3, v70, v145, -v3
	v_fmac_f32_e32 v150, v71, v145
	v_add_f32_e32 v2, v2, v3
	s_waitcnt vmcnt(0)
	v_mul_f32_e32 v3, v73, v149
	v_add_f32_e32 v1, v1, v150
	v_mul_f32_e32 v150, v72, v149
	v_fma_f32 v3, v72, v148, -v3
	v_fmac_f32_e32 v150, v73, v148
	v_add_f32_e32 v2, v2, v3
	v_add_f32_e32 v1, v1, v150
	v_sub_f32_e32 v2, v96, v2
	v_sub_f32_e32 v1, v97, v1
	buffer_store_dword v2, off, s[0:3], 0 offset:216
	buffer_store_dword v1, off, s[0:3], 0 offset:220
	s_and_saveexec_b64 s[4:5], vcc
	s_cbranch_execz .LBB127_345
; %bb.344:
	buffer_load_dword v1, off, s[0:3], 0 offset:208
	buffer_load_dword v2, off, s[0:3], 0 offset:212
	v_mov_b32_e32 v3, 0
	buffer_store_dword v3, off, s[0:3], 0 offset:208
	buffer_store_dword v3, off, s[0:3], 0 offset:212
	s_waitcnt vmcnt(2)
	ds_write_b64 v249, v[1:2]
.LBB127_345:
	s_or_b64 exec, exec, s[4:5]
	s_waitcnt lgkmcnt(0)
	; wave barrier
	buffer_load_dword v76, off, s[0:3], 0 offset:220
	buffer_load_dword v77, off, s[0:3], 0 offset:228
	;; [unrolled: 1-line block ×50, first 2 shown]
	v_mov_b32_e32 v1, 0
	ds_read2_b64 v[2:5], v1 offset0:91 offset1:92
	ds_read2_b64 v[6:9], v1 offset0:93 offset1:94
	;; [unrolled: 1-line block ×6, first 2 shown]
	buffer_load_dword v128, off, s[0:3], 0 offset:408
	buffer_load_dword v129, off, s[0:3], 0 offset:412
	;; [unrolled: 1-line block ×16, first 2 shown]
	v_cmp_lt_u32_e32 vcc, 25, v0
	s_waitcnt vmcnt(62) lgkmcnt(5)
	v_mul_f32_e32 v26, v2, v76
	v_mul_f32_e32 v27, v4, v77
	s_waitcnt lgkmcnt(4)
	v_mul_f32_e32 v28, v6, v78
	v_mul_f32_e32 v29, v8, v79
	s_waitcnt vmcnt(61) lgkmcnt(3)
	v_mul_f32_e32 v30, v10, v80
	s_waitcnt vmcnt(60)
	v_mul_f32_e32 v31, v12, v81
	s_waitcnt vmcnt(59) lgkmcnt(2)
	v_mul_f32_e32 v32, v14, v82
	s_waitcnt vmcnt(58)
	;; [unrolled: 4-line block ×3, first 2 shown]
	v_fmac_f32_e32 v28, v7, v85
	s_waitcnt vmcnt(55)
	v_fmac_f32_e32 v27, v5, v86
	s_waitcnt vmcnt(54)
	v_fmac_f32_e32 v26, v3, v87
	v_add_f32_e32 v26, 0, v26
	v_add_f32_e32 v26, v26, v27
	;; [unrolled: 1-line block ×3, first 2 shown]
	s_waitcnt vmcnt(50)
	v_fmac_f32_e32 v29, v9, v91
	v_fmac_f32_e32 v30, v11, v90
	v_add_f32_e32 v26, v26, v29
	v_fmac_f32_e32 v31, v13, v89
	v_add_f32_e32 v26, v26, v30
	;; [unrolled: 2-line block ×3, first 2 shown]
	s_waitcnt vmcnt(46)
	v_fmac_f32_e32 v33, v17, v95
	v_add_f32_e32 v26, v26, v32
	v_fmac_f32_e32 v34, v19, v94
	v_add_f32_e32 v26, v26, v33
	s_waitcnt vmcnt(45)
	v_mul_f32_e32 v27, v20, v96
	v_add_f32_e32 v26, v26, v34
	v_fmac_f32_e32 v27, v21, v93
	v_add_f32_e32 v26, v26, v27
	s_waitcnt vmcnt(44) lgkmcnt(0)
	v_mul_f32_e32 v27, v22, v97
	v_fmac_f32_e32 v27, v23, v92
	v_add_f32_e32 v30, v26, v27
	ds_read2_b64 v[26:29], v1 offset0:103 offset1:104
	buffer_load_dword v144, off, s[0:3], 0 offset:472
	buffer_load_dword v145, off, s[0:3], 0 offset:476
	;; [unrolled: 1-line block ×6, first 2 shown]
	s_waitcnt vmcnt(49)
	v_mul_f32_e32 v31, v24, v98
	s_waitcnt vmcnt(42)
	v_fmac_f32_e32 v31, v25, v105
	v_add_f32_e32 v34, v30, v31
	ds_read2_b64 v[30:33], v1 offset0:105 offset1:106
	buffer_load_dword v150, off, s[0:3], 0 offset:500
	buffer_load_dword v151, off, s[0:3], 0 offset:504
	;; [unrolled: 1-line block ×4, first 2 shown]
	v_mul_f32_e32 v3, v3, v76
	v_fma_f32 v2, v2, v87, -v3
	v_mul_f32_e32 v3, v5, v77
	v_add_f32_e32 v2, 0, v2
	v_fma_f32 v3, v4, v86, -v3
	v_add_f32_e32 v2, v2, v3
	v_mul_f32_e32 v3, v7, v78
	v_fma_f32 v3, v6, v85, -v3
	v_add_f32_e32 v2, v2, v3
	v_mul_f32_e32 v3, v9, v79
	v_fma_f32 v3, v8, v91, -v3
	s_waitcnt lgkmcnt(1)
	v_mul_f32_e32 v35, v26, v100
	v_add_f32_e32 v2, v2, v3
	v_mul_f32_e32 v3, v11, v80
	v_fmac_f32_e32 v35, v27, v99
	v_fma_f32 v3, v10, v90, -v3
	v_add_f32_e32 v34, v34, v35
	v_mul_f32_e32 v35, v28, v102
	v_add_f32_e32 v2, v2, v3
	v_mul_f32_e32 v3, v13, v81
	v_fmac_f32_e32 v35, v29, v101
	v_fma_f32 v3, v12, v89, -v3
	v_add_f32_e32 v34, v34, v35
	s_waitcnt lgkmcnt(0)
	v_mul_f32_e32 v35, v30, v104
	v_add_f32_e32 v2, v2, v3
	v_mul_f32_e32 v3, v15, v82
	v_fmac_f32_e32 v35, v31, v103
	v_fma_f32 v3, v14, v88, -v3
	v_add_f32_e32 v38, v34, v35
	ds_read2_b64 v[34:37], v1 offset0:107 offset1:108
	v_add_f32_e32 v2, v2, v3
	v_mul_f32_e32 v3, v17, v83
	v_fma_f32 v3, v16, v95, -v3
	s_waitcnt vmcnt(42)
	v_mul_f32_e32 v39, v32, v109
	v_add_f32_e32 v2, v2, v3
	v_mul_f32_e32 v3, v19, v84
	v_fmac_f32_e32 v39, v33, v108
	v_fma_f32 v3, v18, v94, -v3
	v_add_f32_e32 v42, v38, v39
	ds_read2_b64 v[38:41], v1 offset0:109 offset1:110
	v_add_f32_e32 v2, v2, v3
	v_mul_f32_e32 v3, v21, v96
	s_waitcnt vmcnt(40) lgkmcnt(1)
	v_mul_f32_e32 v43, v34, v111
	v_fma_f32 v3, v20, v93, -v3
	v_fmac_f32_e32 v43, v35, v110
	v_add_f32_e32 v2, v2, v3
	v_mul_f32_e32 v3, v23, v97
	v_add_f32_e32 v42, v42, v43
	s_waitcnt vmcnt(38)
	v_mul_f32_e32 v43, v36, v113
	v_fma_f32 v3, v22, v92, -v3
	v_fmac_f32_e32 v43, v37, v112
	v_add_f32_e32 v2, v2, v3
	v_mul_f32_e32 v3, v25, v98
	v_add_f32_e32 v42, v42, v43
	s_waitcnt vmcnt(36) lgkmcnt(0)
	v_mul_f32_e32 v43, v38, v115
	v_fma_f32 v3, v24, v105, -v3
	v_fmac_f32_e32 v43, v39, v114
	v_add_f32_e32 v2, v2, v3
	v_mul_f32_e32 v3, v27, v100
	v_add_f32_e32 v46, v42, v43
	ds_read2_b64 v[42:45], v1 offset0:111 offset1:112
	v_fma_f32 v3, v26, v99, -v3
	v_add_f32_e32 v2, v2, v3
	v_mul_f32_e32 v3, v29, v102
	s_waitcnt vmcnt(34)
	v_mul_f32_e32 v47, v40, v117
	v_fma_f32 v3, v28, v101, -v3
	v_fmac_f32_e32 v47, v41, v116
	v_add_f32_e32 v2, v2, v3
	v_mul_f32_e32 v3, v31, v104
	v_add_f32_e32 v50, v46, v47
	ds_read2_b64 v[46:49], v1 offset0:113 offset1:114
	v_fma_f32 v3, v30, v103, -v3
	s_waitcnt vmcnt(32) lgkmcnt(1)
	v_mul_f32_e32 v51, v42, v119
	v_add_f32_e32 v2, v2, v3
	v_mul_f32_e32 v3, v33, v109
	v_fmac_f32_e32 v51, v43, v118
	v_fma_f32 v3, v32, v108, -v3
	v_add_f32_e32 v50, v50, v51
	s_waitcnt vmcnt(30)
	v_mul_f32_e32 v51, v44, v123
	v_add_f32_e32 v2, v2, v3
	v_mul_f32_e32 v3, v35, v111
	v_fmac_f32_e32 v51, v45, v120
	v_fma_f32 v3, v34, v110, -v3
	v_add_f32_e32 v50, v50, v51
	s_waitcnt vmcnt(28) lgkmcnt(0)
	v_mul_f32_e32 v51, v46, v125
	v_add_f32_e32 v2, v2, v3
	v_mul_f32_e32 v3, v37, v113
	v_fmac_f32_e32 v51, v47, v124
	v_fma_f32 v3, v36, v112, -v3
	v_add_f32_e32 v54, v50, v51
	ds_read2_b64 v[50:53], v1 offset0:115 offset1:116
	v_add_f32_e32 v2, v2, v3
	v_mul_f32_e32 v3, v39, v115
	v_fma_f32 v3, v38, v114, -v3
	s_waitcnt vmcnt(26)
	v_mul_f32_e32 v55, v48, v127
	v_add_f32_e32 v2, v2, v3
	v_mul_f32_e32 v3, v41, v117
	v_fmac_f32_e32 v55, v49, v126
	v_fma_f32 v3, v40, v116, -v3
	v_add_f32_e32 v58, v54, v55
	ds_read2_b64 v[54:57], v1 offset0:117 offset1:118
	v_add_f32_e32 v2, v2, v3
	v_mul_f32_e32 v3, v43, v119
	s_waitcnt vmcnt(24) lgkmcnt(1)
	v_mul_f32_e32 v59, v50, v129
	v_fma_f32 v3, v42, v118, -v3
	v_fmac_f32_e32 v59, v51, v128
	v_add_f32_e32 v2, v2, v3
	v_mul_f32_e32 v3, v45, v123
	v_add_f32_e32 v58, v58, v59
	s_waitcnt vmcnt(23)
	v_mul_f32_e32 v59, v52, v130
	v_fma_f32 v3, v44, v120, -v3
	s_waitcnt vmcnt(20)
	v_fmac_f32_e32 v59, v53, v133
	v_add_f32_e32 v2, v2, v3
	v_mul_f32_e32 v3, v47, v125
	v_add_f32_e32 v58, v58, v59
	s_waitcnt lgkmcnt(0)
	v_mul_f32_e32 v59, v54, v132
	v_fma_f32 v3, v46, v124, -v3
	v_fmac_f32_e32 v59, v55, v131
	v_add_f32_e32 v2, v2, v3
	v_mul_f32_e32 v3, v49, v127
	v_add_f32_e32 v62, v58, v59
	ds_read2_b64 v[58:61], v1 offset0:119 offset1:120
	v_fma_f32 v3, v48, v126, -v3
	v_add_f32_e32 v2, v2, v3
	v_mul_f32_e32 v3, v51, v129
	s_waitcnt vmcnt(18)
	v_mul_f32_e32 v63, v56, v135
	v_fma_f32 v3, v50, v128, -v3
	v_fmac_f32_e32 v63, v57, v134
	v_add_f32_e32 v2, v2, v3
	v_mul_f32_e32 v3, v53, v130
	v_add_f32_e32 v66, v62, v63
	ds_read2_b64 v[62:65], v1 offset0:121 offset1:122
	v_fma_f32 v3, v52, v133, -v3
	s_waitcnt vmcnt(16) lgkmcnt(1)
	v_mul_f32_e32 v67, v58, v137
	v_add_f32_e32 v2, v2, v3
	v_mul_f32_e32 v3, v55, v132
	v_fmac_f32_e32 v67, v59, v136
	v_fma_f32 v3, v54, v131, -v3
	v_add_f32_e32 v66, v66, v67
	s_waitcnt vmcnt(15)
	v_mul_f32_e32 v67, v60, v138
	v_add_f32_e32 v2, v2, v3
	v_mul_f32_e32 v3, v57, v135
	s_waitcnt vmcnt(12)
	v_fmac_f32_e32 v67, v61, v141
	v_fma_f32 v3, v56, v134, -v3
	v_add_f32_e32 v66, v66, v67
	s_waitcnt lgkmcnt(0)
	v_mul_f32_e32 v67, v62, v140
	v_add_f32_e32 v2, v2, v3
	v_mul_f32_e32 v3, v59, v137
	v_fmac_f32_e32 v67, v63, v139
	v_fma_f32 v3, v58, v136, -v3
	v_add_f32_e32 v70, v66, v67
	ds_read2_b64 v[66:69], v1 offset0:123 offset1:124
	v_add_f32_e32 v2, v2, v3
	v_mul_f32_e32 v3, v61, v138
	v_fma_f32 v3, v60, v141, -v3
	v_add_f32_e32 v2, v2, v3
	v_mul_f32_e32 v3, v63, v140
	s_waitcnt vmcnt(10)
	v_mul_f32_e32 v71, v64, v143
	v_fma_f32 v3, v62, v139, -v3
	v_fmac_f32_e32 v71, v65, v142
	v_add_f32_e32 v2, v2, v3
	v_mul_f32_e32 v3, v65, v143
	v_add_f32_e32 v74, v70, v71
	ds_read2_b64 v[70:73], v1 offset0:125 offset1:126
	s_waitcnt vmcnt(8) lgkmcnt(1)
	v_mul_f32_e32 v75, v66, v145
	v_fma_f32 v3, v64, v142, -v3
	v_fmac_f32_e32 v75, v67, v144
	v_add_f32_e32 v2, v2, v3
	v_mul_f32_e32 v3, v67, v145
	v_add_f32_e32 v74, v74, v75
	s_waitcnt vmcnt(7)
	v_mul_f32_e32 v75, v68, v146
	v_fma_f32 v3, v66, v144, -v3
	s_waitcnt vmcnt(4)
	v_fmac_f32_e32 v75, v69, v149
	v_add_f32_e32 v2, v2, v3
	v_mul_f32_e32 v3, v69, v146
	v_add_f32_e32 v154, v74, v75
	ds_read_b64 v[74:75], v1 offset:1016
	v_fma_f32 v3, v68, v149, -v3
	v_add_f32_e32 v2, v2, v3
	s_waitcnt lgkmcnt(1)
	v_mul_f32_e32 v3, v71, v148
	v_mul_f32_e32 v155, v70, v148
	v_fma_f32 v3, v70, v147, -v3
	v_fmac_f32_e32 v155, v71, v147
	v_add_f32_e32 v2, v2, v3
	s_waitcnt vmcnt(3)
	v_mul_f32_e32 v3, v73, v150
	v_add_f32_e32 v154, v154, v155
	v_mul_f32_e32 v155, v72, v150
	s_waitcnt vmcnt(0)
	v_fma_f32 v3, v72, v153, -v3
	v_fmac_f32_e32 v155, v73, v153
	v_add_f32_e32 v2, v2, v3
	s_waitcnt lgkmcnt(0)
	v_mul_f32_e32 v3, v75, v152
	v_add_f32_e32 v154, v154, v155
	v_mul_f32_e32 v155, v74, v152
	v_fma_f32 v3, v74, v151, -v3
	v_fmac_f32_e32 v155, v75, v151
	v_add_f32_e32 v2, v2, v3
	v_add_f32_e32 v154, v154, v155
	v_sub_f32_e32 v2, v106, v2
	v_sub_f32_e32 v3, v107, v154
	buffer_store_dword v2, off, s[0:3], 0 offset:208
	buffer_store_dword v3, off, s[0:3], 0 offset:212
	s_and_saveexec_b64 s[4:5], vcc
	s_cbranch_execz .LBB127_347
; %bb.346:
	buffer_load_dword v2, off, s[0:3], 0 offset:200
	buffer_load_dword v3, off, s[0:3], 0 offset:204
	s_waitcnt vmcnt(0)
	ds_write_b64 v249, v[2:3]
	buffer_store_dword v1, off, s[0:3], 0 offset:200
	buffer_store_dword v1, off, s[0:3], 0 offset:204
.LBB127_347:
	s_or_b64 exec, exec, s[4:5]
	s_waitcnt lgkmcnt(0)
	; wave barrier
	buffer_load_dword v78, off, s[0:3], 0 offset:212
	buffer_load_dword v79, off, s[0:3], 0 offset:220
	;; [unrolled: 1-line block ×32, first 2 shown]
	ds_read_b128 v[2:5], v1 offset:720
	ds_read_b128 v[6:9], v1 offset:736
	;; [unrolled: 1-line block ×6, first 2 shown]
	buffer_load_dword v110, off, s[0:3], 0 offset:328
	buffer_load_dword v111, off, s[0:3], 0 offset:332
	buffer_load_dword v112, off, s[0:3], 0 offset:336
	buffer_load_dword v113, off, s[0:3], 0 offset:340
	buffer_load_dword v114, off, s[0:3], 0 offset:344
	buffer_load_dword v115, off, s[0:3], 0 offset:348
	buffer_load_dword v116, off, s[0:3], 0 offset:352
	buffer_load_dword v117, off, s[0:3], 0 offset:356
	buffer_load_dword v118, off, s[0:3], 0 offset:360
	buffer_load_dword v119, off, s[0:3], 0 offset:364
	buffer_load_dword v120, off, s[0:3], 0 offset:368
	buffer_load_dword v123, off, s[0:3], 0 offset:372
	buffer_load_dword v124, off, s[0:3], 0 offset:376
	buffer_load_dword v125, off, s[0:3], 0 offset:380
	buffer_load_dword v126, off, s[0:3], 0 offset:384
	buffer_load_dword v127, off, s[0:3], 0 offset:388
	buffer_load_dword v128, off, s[0:3], 0 offset:392
	buffer_load_dword v129, off, s[0:3], 0 offset:396
	buffer_load_dword v130, off, s[0:3], 0 offset:400
	buffer_load_dword v131, off, s[0:3], 0 offset:404
	buffer_load_dword v132, off, s[0:3], 0 offset:412
	buffer_load_dword v133, off, s[0:3], 0 offset:416
	buffer_load_dword v134, off, s[0:3], 0 offset:420
	buffer_load_dword v135, off, s[0:3], 0 offset:408
	buffer_load_dword v136, off, s[0:3], 0 offset:424
	buffer_load_dword v137, off, s[0:3], 0 offset:428
	buffer_load_dword v138, off, s[0:3], 0 offset:432
	buffer_load_dword v139, off, s[0:3], 0 offset:436
	buffer_load_dword v140, off, s[0:3], 0 offset:444
	buffer_load_dword v141, off, s[0:3], 0 offset:448
	buffer_load_dword v142, off, s[0:3], 0 offset:452
	buffer_load_dword v143, off, s[0:3], 0 offset:440
	v_cmp_lt_u32_e32 vcc, 24, v0
	s_waitcnt vmcnt(62) lgkmcnt(5)
	v_mul_f32_e32 v26, v2, v78
	v_mul_f32_e32 v27, v4, v79
	s_waitcnt vmcnt(61) lgkmcnt(4)
	v_mul_f32_e32 v28, v6, v80
	s_waitcnt vmcnt(60)
	v_mul_f32_e32 v29, v8, v81
	s_waitcnt vmcnt(59) lgkmcnt(3)
	v_mul_f32_e32 v30, v10, v82
	s_waitcnt vmcnt(58)
	v_mul_f32_e32 v31, v12, v83
	s_waitcnt vmcnt(57) lgkmcnt(2)
	v_mul_f32_e32 v32, v14, v84
	s_waitcnt vmcnt(56)
	v_mul_f32_e32 v33, v16, v85
	s_waitcnt vmcnt(55) lgkmcnt(1)
	v_mul_f32_e32 v34, v18, v86
	s_waitcnt vmcnt(54)
	v_mul_f32_e32 v35, v20, v87
	s_waitcnt vmcnt(53)
	v_fmac_f32_e32 v28, v7, v88
	s_waitcnt vmcnt(52)
	v_fmac_f32_e32 v27, v5, v89
	;; [unrolled: 2-line block ×3, first 2 shown]
	v_add_f32_e32 v26, 0, v26
	v_add_f32_e32 v26, v26, v27
	;; [unrolled: 1-line block ×3, first 2 shown]
	s_waitcnt vmcnt(47)
	v_fmac_f32_e32 v29, v9, v94
	v_fmac_f32_e32 v30, v11, v93
	v_add_f32_e32 v26, v26, v29
	v_fmac_f32_e32 v31, v13, v92
	v_add_f32_e32 v26, v26, v30
	;; [unrolled: 2-line block ×3, first 2 shown]
	s_waitcnt vmcnt(43)
	v_fmac_f32_e32 v33, v17, v98
	v_add_f32_e32 v26, v26, v32
	v_fmac_f32_e32 v34, v19, v97
	v_add_f32_e32 v26, v26, v33
	;; [unrolled: 2-line block ×3, first 2 shown]
	s_waitcnt vmcnt(42) lgkmcnt(0)
	v_mul_f32_e32 v27, v22, v99
	v_add_f32_e32 v26, v26, v35
	v_fmac_f32_e32 v27, v23, v95
	v_add_f32_e32 v30, v26, v27
	ds_read_b128 v[26:29], v1 offset:816
	buffer_load_dword v144, off, s[0:3], 0 offset:456
	buffer_load_dword v145, off, s[0:3], 0 offset:460
	s_waitcnt vmcnt(43)
	v_mul_f32_e32 v31, v24, v100
	s_waitcnt vmcnt(37)
	v_fmac_f32_e32 v31, v25, v106
	v_add_f32_e32 v34, v30, v31
	ds_read_b128 v[30:33], v1 offset:832
	buffer_load_dword v146, off, s[0:3], 0 offset:464
	buffer_load_dword v147, off, s[0:3], 0 offset:468
	;; [unrolled: 1-line block ×12, first 2 shown]
	v_mul_f32_e32 v3, v3, v78
	v_fma_f32 v2, v2, v90, -v3
	v_mul_f32_e32 v3, v5, v79
	v_add_f32_e32 v2, 0, v2
	v_fma_f32 v3, v4, v89, -v3
	v_add_f32_e32 v2, v2, v3
	v_mul_f32_e32 v3, v7, v80
	v_fma_f32 v3, v6, v88, -v3
	v_add_f32_e32 v2, v2, v3
	v_mul_f32_e32 v3, v9, v81
	v_fma_f32 v3, v8, v94, -v3
	s_waitcnt vmcnt(48) lgkmcnt(1)
	v_mul_f32_e32 v35, v26, v107
	v_add_f32_e32 v2, v2, v3
	v_mul_f32_e32 v3, v11, v82
	v_fmac_f32_e32 v35, v27, v105
	v_fma_f32 v3, v10, v93, -v3
	v_add_f32_e32 v34, v34, v35
	v_mul_f32_e32 v35, v28, v102
	v_add_f32_e32 v2, v2, v3
	v_mul_f32_e32 v3, v13, v83
	v_fmac_f32_e32 v35, v29, v101
	v_fma_f32 v3, v12, v92, -v3
	v_add_f32_e32 v34, v34, v35
	s_waitcnt lgkmcnt(0)
	v_mul_f32_e32 v35, v30, v104
	v_add_f32_e32 v2, v2, v3
	v_mul_f32_e32 v3, v15, v84
	v_fmac_f32_e32 v35, v31, v103
	v_fma_f32 v3, v14, v91, -v3
	v_add_f32_e32 v38, v34, v35
	ds_read_b128 v[34:37], v1 offset:848
	v_add_f32_e32 v2, v2, v3
	v_mul_f32_e32 v3, v17, v85
	v_fma_f32 v3, v16, v98, -v3
	s_waitcnt vmcnt(44)
	v_mul_f32_e32 v39, v32, v111
	v_add_f32_e32 v2, v2, v3
	v_mul_f32_e32 v3, v19, v86
	v_fmac_f32_e32 v39, v33, v110
	v_fma_f32 v3, v18, v97, -v3
	v_add_f32_e32 v42, v38, v39
	ds_read_b128 v[38:41], v1 offset:864
	v_add_f32_e32 v2, v2, v3
	v_mul_f32_e32 v3, v21, v87
	s_waitcnt vmcnt(42) lgkmcnt(1)
	v_mul_f32_e32 v43, v34, v113
	v_fma_f32 v3, v20, v96, -v3
	v_fmac_f32_e32 v43, v35, v112
	v_add_f32_e32 v2, v2, v3
	v_mul_f32_e32 v3, v23, v99
	v_add_f32_e32 v42, v42, v43
	s_waitcnt vmcnt(40)
	v_mul_f32_e32 v43, v36, v115
	v_fma_f32 v3, v22, v95, -v3
	v_fmac_f32_e32 v43, v37, v114
	v_add_f32_e32 v2, v2, v3
	v_mul_f32_e32 v3, v25, v100
	v_add_f32_e32 v42, v42, v43
	s_waitcnt vmcnt(38) lgkmcnt(0)
	v_mul_f32_e32 v43, v38, v117
	v_fma_f32 v3, v24, v106, -v3
	v_fmac_f32_e32 v43, v39, v116
	v_add_f32_e32 v2, v2, v3
	v_mul_f32_e32 v3, v27, v107
	v_add_f32_e32 v46, v42, v43
	ds_read_b128 v[42:45], v1 offset:880
	v_fma_f32 v3, v26, v105, -v3
	v_add_f32_e32 v2, v2, v3
	v_mul_f32_e32 v3, v29, v102
	s_waitcnt vmcnt(36)
	v_mul_f32_e32 v47, v40, v119
	v_fma_f32 v3, v28, v101, -v3
	v_fmac_f32_e32 v47, v41, v118
	v_add_f32_e32 v2, v2, v3
	v_mul_f32_e32 v3, v31, v104
	v_add_f32_e32 v50, v46, v47
	ds_read_b128 v[46:49], v1 offset:896
	v_fma_f32 v3, v30, v103, -v3
	s_waitcnt vmcnt(34) lgkmcnt(1)
	v_mul_f32_e32 v51, v42, v123
	v_add_f32_e32 v2, v2, v3
	v_mul_f32_e32 v3, v33, v111
	v_fmac_f32_e32 v51, v43, v120
	v_fma_f32 v3, v32, v110, -v3
	v_add_f32_e32 v50, v50, v51
	s_waitcnt vmcnt(32)
	v_mul_f32_e32 v51, v44, v125
	v_add_f32_e32 v2, v2, v3
	v_mul_f32_e32 v3, v35, v113
	v_fmac_f32_e32 v51, v45, v124
	v_fma_f32 v3, v34, v112, -v3
	v_add_f32_e32 v50, v50, v51
	s_waitcnt vmcnt(30) lgkmcnt(0)
	v_mul_f32_e32 v51, v46, v127
	v_add_f32_e32 v2, v2, v3
	v_mul_f32_e32 v3, v37, v115
	v_fmac_f32_e32 v51, v47, v126
	v_fma_f32 v3, v36, v114, -v3
	v_add_f32_e32 v54, v50, v51
	ds_read_b128 v[50:53], v1 offset:912
	v_add_f32_e32 v2, v2, v3
	v_mul_f32_e32 v3, v39, v117
	v_fma_f32 v3, v38, v116, -v3
	s_waitcnt vmcnt(28)
	v_mul_f32_e32 v55, v48, v129
	v_add_f32_e32 v2, v2, v3
	v_mul_f32_e32 v3, v41, v119
	v_fmac_f32_e32 v55, v49, v128
	v_fma_f32 v3, v40, v118, -v3
	v_add_f32_e32 v58, v54, v55
	ds_read_b128 v[54:57], v1 offset:928
	v_add_f32_e32 v2, v2, v3
	v_mul_f32_e32 v3, v43, v123
	s_waitcnt vmcnt(26) lgkmcnt(1)
	v_mul_f32_e32 v59, v50, v131
	v_fma_f32 v3, v42, v120, -v3
	v_fmac_f32_e32 v59, v51, v130
	v_add_f32_e32 v2, v2, v3
	v_mul_f32_e32 v3, v45, v125
	v_add_f32_e32 v58, v58, v59
	s_waitcnt vmcnt(25)
	v_mul_f32_e32 v59, v52, v132
	v_fma_f32 v3, v44, v124, -v3
	s_waitcnt vmcnt(22)
	v_fmac_f32_e32 v59, v53, v135
	v_add_f32_e32 v2, v2, v3
	v_mul_f32_e32 v3, v47, v127
	v_add_f32_e32 v58, v58, v59
	s_waitcnt lgkmcnt(0)
	v_mul_f32_e32 v59, v54, v134
	v_fma_f32 v3, v46, v126, -v3
	v_fmac_f32_e32 v59, v55, v133
	v_add_f32_e32 v2, v2, v3
	v_mul_f32_e32 v3, v49, v129
	v_add_f32_e32 v62, v58, v59
	ds_read_b128 v[58:61], v1 offset:944
	v_fma_f32 v3, v48, v128, -v3
	v_add_f32_e32 v2, v2, v3
	v_mul_f32_e32 v3, v51, v131
	s_waitcnt vmcnt(20)
	v_mul_f32_e32 v63, v56, v137
	v_fma_f32 v3, v50, v130, -v3
	v_fmac_f32_e32 v63, v57, v136
	v_add_f32_e32 v2, v2, v3
	v_mul_f32_e32 v3, v53, v132
	v_add_f32_e32 v66, v62, v63
	ds_read_b128 v[62:65], v1 offset:960
	v_fma_f32 v3, v52, v135, -v3
	s_waitcnt vmcnt(18) lgkmcnt(1)
	v_mul_f32_e32 v67, v58, v139
	v_add_f32_e32 v2, v2, v3
	v_mul_f32_e32 v3, v55, v134
	v_fmac_f32_e32 v67, v59, v138
	v_fma_f32 v3, v54, v133, -v3
	v_add_f32_e32 v66, v66, v67
	s_waitcnt vmcnt(17)
	v_mul_f32_e32 v67, v60, v140
	v_add_f32_e32 v2, v2, v3
	v_mul_f32_e32 v3, v57, v137
	s_waitcnt vmcnt(14)
	v_fmac_f32_e32 v67, v61, v143
	v_fma_f32 v3, v56, v136, -v3
	v_add_f32_e32 v66, v66, v67
	s_waitcnt lgkmcnt(0)
	v_mul_f32_e32 v67, v62, v142
	v_add_f32_e32 v2, v2, v3
	v_mul_f32_e32 v3, v59, v139
	v_fmac_f32_e32 v67, v63, v141
	v_fma_f32 v3, v58, v138, -v3
	v_add_f32_e32 v70, v66, v67
	ds_read_b128 v[66:69], v1 offset:976
	v_add_f32_e32 v2, v2, v3
	v_mul_f32_e32 v3, v61, v140
	v_fma_f32 v3, v60, v143, -v3
	v_add_f32_e32 v2, v2, v3
	v_mul_f32_e32 v3, v63, v142
	s_waitcnt vmcnt(12)
	v_mul_f32_e32 v71, v64, v145
	v_fma_f32 v3, v62, v141, -v3
	v_fmac_f32_e32 v71, v65, v144
	v_add_f32_e32 v2, v2, v3
	v_mul_f32_e32 v3, v65, v145
	v_add_f32_e32 v74, v70, v71
	ds_read_b128 v[70:73], v1 offset:992
	s_waitcnt vmcnt(10) lgkmcnt(1)
	v_mul_f32_e32 v75, v66, v147
	v_fma_f32 v3, v64, v144, -v3
	v_fmac_f32_e32 v75, v67, v146
	v_add_f32_e32 v2, v2, v3
	v_mul_f32_e32 v3, v67, v147
	v_add_f32_e32 v74, v74, v75
	s_waitcnt vmcnt(9)
	v_mul_f32_e32 v75, v68, v148
	v_fma_f32 v3, v66, v146, -v3
	s_waitcnt vmcnt(6)
	v_fmac_f32_e32 v75, v69, v151
	v_add_f32_e32 v2, v2, v3
	v_mul_f32_e32 v3, v69, v148
	v_add_f32_e32 v158, v74, v75
	ds_read_b128 v[74:77], v1 offset:1008
	v_fma_f32 v3, v68, v151, -v3
	v_add_f32_e32 v2, v2, v3
	s_waitcnt lgkmcnt(1)
	v_mul_f32_e32 v3, v71, v150
	v_mul_f32_e32 v159, v70, v150
	v_fma_f32 v3, v70, v149, -v3
	v_fmac_f32_e32 v159, v71, v149
	v_add_f32_e32 v2, v2, v3
	s_waitcnt vmcnt(4)
	v_mul_f32_e32 v3, v73, v153
	v_add_f32_e32 v1, v158, v159
	v_mul_f32_e32 v158, v72, v153
	v_fma_f32 v3, v72, v152, -v3
	v_fmac_f32_e32 v158, v73, v152
	v_add_f32_e32 v2, v2, v3
	s_waitcnt vmcnt(3) lgkmcnt(0)
	v_mul_f32_e32 v3, v75, v154
	v_add_f32_e32 v1, v1, v158
	v_mul_f32_e32 v158, v74, v154
	s_waitcnt vmcnt(0)
	v_fma_f32 v3, v74, v157, -v3
	v_fmac_f32_e32 v158, v75, v157
	v_add_f32_e32 v2, v2, v3
	v_mul_f32_e32 v3, v77, v156
	v_add_f32_e32 v1, v1, v158
	v_mul_f32_e32 v158, v76, v156
	v_fma_f32 v3, v76, v155, -v3
	v_fmac_f32_e32 v158, v77, v155
	v_add_f32_e32 v2, v2, v3
	v_add_f32_e32 v1, v1, v158
	v_sub_f32_e32 v2, v108, v2
	v_sub_f32_e32 v1, v109, v1
	buffer_store_dword v2, off, s[0:3], 0 offset:200
	buffer_store_dword v1, off, s[0:3], 0 offset:204
	s_and_saveexec_b64 s[4:5], vcc
	s_cbranch_execz .LBB127_349
; %bb.348:
	buffer_load_dword v1, off, s[0:3], 0 offset:192
	buffer_load_dword v2, off, s[0:3], 0 offset:196
	v_mov_b32_e32 v3, 0
	buffer_store_dword v3, off, s[0:3], 0 offset:192
	buffer_store_dword v3, off, s[0:3], 0 offset:196
	s_waitcnt vmcnt(2)
	ds_write_b64 v249, v[1:2]
.LBB127_349:
	s_or_b64 exec, exec, s[4:5]
	s_waitcnt lgkmcnt(0)
	; wave barrier
	buffer_load_dword v80, off, s[0:3], 0 offset:204
	buffer_load_dword v81, off, s[0:3], 0 offset:212
	;; [unrolled: 1-line block ×50, first 2 shown]
	v_mov_b32_e32 v1, 0
	ds_read2_b64 v[2:5], v1 offset0:89 offset1:90
	ds_read2_b64 v[6:9], v1 offset0:91 offset1:92
	;; [unrolled: 1-line block ×6, first 2 shown]
	buffer_load_dword v132, off, s[0:3], 0 offset:392
	buffer_load_dword v133, off, s[0:3], 0 offset:396
	;; [unrolled: 1-line block ×8, first 2 shown]
	v_cmp_lt_u32_e32 vcc, 23, v0
	s_waitcnt vmcnt(57) lgkmcnt(5)
	v_mul_f32_e32 v26, v2, v80
	s_waitcnt vmcnt(56)
	v_mul_f32_e32 v27, v4, v81
	s_waitcnt vmcnt(55) lgkmcnt(4)
	v_mul_f32_e32 v28, v6, v82
	s_waitcnt vmcnt(54)
	v_mul_f32_e32 v29, v8, v83
	;; [unrolled: 4-line block ×5, first 2 shown]
	s_waitcnt vmcnt(47) lgkmcnt(0)
	v_mul_f32_e32 v36, v22, v90
	s_waitcnt vmcnt(46)
	v_fmac_f32_e32 v28, v7, v91
	s_waitcnt vmcnt(45)
	v_fmac_f32_e32 v27, v5, v92
	;; [unrolled: 2-line block ×3, first 2 shown]
	v_add_f32_e32 v26, 0, v26
	v_add_f32_e32 v26, v26, v27
	;; [unrolled: 1-line block ×3, first 2 shown]
	s_waitcnt vmcnt(40)
	v_fmac_f32_e32 v29, v9, v97
	v_fmac_f32_e32 v30, v11, v96
	v_add_f32_e32 v26, v26, v29
	v_fmac_f32_e32 v31, v13, v95
	v_add_f32_e32 v26, v26, v30
	;; [unrolled: 2-line block ×3, first 2 shown]
	s_waitcnt vmcnt(36)
	v_fmac_f32_e32 v33, v17, v101
	v_add_f32_e32 v26, v26, v32
	v_fmac_f32_e32 v34, v19, v100
	v_add_f32_e32 v26, v26, v33
	;; [unrolled: 2-line block ×3, first 2 shown]
	v_add_f32_e32 v26, v26, v35
	v_fmac_f32_e32 v36, v23, v98
	v_add_f32_e32 v30, v26, v36
	ds_read2_b64 v[26:29], v1 offset0:101 offset1:102
	buffer_load_dword v140, off, s[0:3], 0 offset:424
	buffer_load_dword v141, off, s[0:3], 0 offset:428
	;; [unrolled: 1-line block ×6, first 2 shown]
	s_waitcnt vmcnt(41)
	v_mul_f32_e32 v31, v24, v102
	s_waitcnt vmcnt(34)
	v_fmac_f32_e32 v31, v25, v109
	v_add_f32_e32 v34, v30, v31
	ds_read2_b64 v[30:33], v1 offset0:103 offset1:104
	buffer_load_dword v146, off, s[0:3], 0 offset:448
	buffer_load_dword v147, off, s[0:3], 0 offset:452
	buffer_load_dword v148, off, s[0:3], 0 offset:456
	buffer_load_dword v149, off, s[0:3], 0 offset:460
	buffer_load_dword v150, off, s[0:3], 0 offset:468
	buffer_load_dword v151, off, s[0:3], 0 offset:472
	buffer_load_dword v152, off, s[0:3], 0 offset:476
	buffer_load_dword v153, off, s[0:3], 0 offset:464
	buffer_load_dword v154, off, s[0:3], 0 offset:480
	buffer_load_dword v155, off, s[0:3], 0 offset:484
	buffer_load_dword v156, off, s[0:3], 0 offset:488
	buffer_load_dword v157, off, s[0:3], 0 offset:492
	buffer_load_dword v158, off, s[0:3], 0 offset:500
	buffer_load_dword v159, off, s[0:3], 0 offset:504
	buffer_load_dword v160, off, s[0:3], 0 offset:508
	buffer_load_dword v161, off, s[0:3], 0 offset:496
	v_mul_f32_e32 v3, v3, v80
	v_fma_f32 v2, v2, v93, -v3
	v_mul_f32_e32 v3, v5, v81
	v_add_f32_e32 v2, 0, v2
	v_fma_f32 v3, v4, v92, -v3
	v_add_f32_e32 v2, v2, v3
	v_mul_f32_e32 v3, v7, v82
	v_fma_f32 v3, v6, v91, -v3
	s_waitcnt lgkmcnt(1)
	v_mul_f32_e32 v35, v26, v104
	v_add_f32_e32 v2, v2, v3
	v_mul_f32_e32 v3, v9, v83
	v_fmac_f32_e32 v35, v27, v103
	v_fma_f32 v3, v8, v97, -v3
	v_add_f32_e32 v34, v34, v35
	v_mul_f32_e32 v35, v28, v106
	v_add_f32_e32 v2, v2, v3
	v_mul_f32_e32 v3, v11, v84
	v_fmac_f32_e32 v35, v29, v105
	v_fma_f32 v3, v10, v96, -v3
	v_add_f32_e32 v34, v34, v35
	s_waitcnt lgkmcnt(0)
	v_mul_f32_e32 v35, v30, v108
	v_add_f32_e32 v2, v2, v3
	v_mul_f32_e32 v3, v13, v85
	v_fmac_f32_e32 v35, v31, v107
	v_fma_f32 v3, v12, v95, -v3
	v_add_f32_e32 v38, v34, v35
	ds_read2_b64 v[34:37], v1 offset0:105 offset1:106
	v_add_f32_e32 v2, v2, v3
	v_mul_f32_e32 v3, v15, v86
	v_fma_f32 v3, v14, v94, -v3
	s_waitcnt vmcnt(46)
	v_mul_f32_e32 v39, v32, v113
	v_add_f32_e32 v2, v2, v3
	v_mul_f32_e32 v3, v17, v87
	v_fmac_f32_e32 v39, v33, v112
	v_fma_f32 v3, v16, v101, -v3
	v_add_f32_e32 v42, v38, v39
	ds_read2_b64 v[38:41], v1 offset0:107 offset1:108
	v_add_f32_e32 v2, v2, v3
	v_mul_f32_e32 v3, v19, v88
	s_waitcnt vmcnt(44) lgkmcnt(1)
	v_mul_f32_e32 v43, v34, v115
	v_fma_f32 v3, v18, v100, -v3
	v_fmac_f32_e32 v43, v35, v114
	v_add_f32_e32 v2, v2, v3
	v_mul_f32_e32 v3, v21, v89
	v_add_f32_e32 v42, v42, v43
	s_waitcnt vmcnt(42)
	v_mul_f32_e32 v43, v36, v117
	v_fma_f32 v3, v20, v99, -v3
	v_fmac_f32_e32 v43, v37, v116
	v_add_f32_e32 v2, v2, v3
	v_mul_f32_e32 v3, v23, v90
	v_add_f32_e32 v42, v42, v43
	s_waitcnt vmcnt(40) lgkmcnt(0)
	v_mul_f32_e32 v43, v38, v119
	v_fma_f32 v3, v22, v98, -v3
	v_fmac_f32_e32 v43, v39, v118
	v_add_f32_e32 v2, v2, v3
	v_mul_f32_e32 v3, v25, v102
	v_add_f32_e32 v46, v42, v43
	ds_read2_b64 v[42:45], v1 offset0:109 offset1:110
	v_fma_f32 v3, v24, v109, -v3
	v_add_f32_e32 v2, v2, v3
	v_mul_f32_e32 v3, v27, v104
	s_waitcnt vmcnt(38)
	v_mul_f32_e32 v47, v40, v123
	v_fma_f32 v3, v26, v103, -v3
	v_fmac_f32_e32 v47, v41, v120
	v_add_f32_e32 v2, v2, v3
	v_mul_f32_e32 v3, v29, v106
	v_add_f32_e32 v50, v46, v47
	ds_read2_b64 v[46:49], v1 offset0:111 offset1:112
	v_fma_f32 v3, v28, v105, -v3
	s_waitcnt vmcnt(36) lgkmcnt(1)
	v_mul_f32_e32 v51, v42, v125
	v_add_f32_e32 v2, v2, v3
	v_mul_f32_e32 v3, v31, v108
	v_fmac_f32_e32 v51, v43, v124
	v_fma_f32 v3, v30, v107, -v3
	v_add_f32_e32 v50, v50, v51
	s_waitcnt vmcnt(34)
	v_mul_f32_e32 v51, v44, v127
	v_add_f32_e32 v2, v2, v3
	v_mul_f32_e32 v3, v33, v113
	v_fmac_f32_e32 v51, v45, v126
	v_fma_f32 v3, v32, v112, -v3
	v_add_f32_e32 v50, v50, v51
	s_waitcnt vmcnt(32) lgkmcnt(0)
	v_mul_f32_e32 v51, v46, v129
	v_add_f32_e32 v2, v2, v3
	v_mul_f32_e32 v3, v35, v115
	v_fmac_f32_e32 v51, v47, v128
	v_fma_f32 v3, v34, v114, -v3
	v_add_f32_e32 v54, v50, v51
	ds_read2_b64 v[50:53], v1 offset0:113 offset1:114
	v_add_f32_e32 v2, v2, v3
	v_mul_f32_e32 v3, v37, v117
	v_fma_f32 v3, v36, v116, -v3
	s_waitcnt vmcnt(30)
	v_mul_f32_e32 v55, v48, v131
	v_add_f32_e32 v2, v2, v3
	v_mul_f32_e32 v3, v39, v119
	v_fmac_f32_e32 v55, v49, v130
	v_fma_f32 v3, v38, v118, -v3
	v_add_f32_e32 v58, v54, v55
	ds_read2_b64 v[54:57], v1 offset0:115 offset1:116
	v_add_f32_e32 v2, v2, v3
	v_mul_f32_e32 v3, v41, v123
	s_waitcnt vmcnt(28) lgkmcnt(1)
	v_mul_f32_e32 v59, v50, v133
	v_fma_f32 v3, v40, v120, -v3
	v_fmac_f32_e32 v59, v51, v132
	v_add_f32_e32 v2, v2, v3
	v_mul_f32_e32 v3, v43, v125
	v_add_f32_e32 v58, v58, v59
	s_waitcnt vmcnt(27)
	v_mul_f32_e32 v59, v52, v134
	v_fma_f32 v3, v42, v124, -v3
	s_waitcnt vmcnt(24)
	v_fmac_f32_e32 v59, v53, v137
	v_add_f32_e32 v2, v2, v3
	v_mul_f32_e32 v3, v45, v127
	v_add_f32_e32 v58, v58, v59
	s_waitcnt lgkmcnt(0)
	v_mul_f32_e32 v59, v54, v136
	v_fma_f32 v3, v44, v126, -v3
	v_fmac_f32_e32 v59, v55, v135
	v_add_f32_e32 v2, v2, v3
	v_mul_f32_e32 v3, v47, v129
	v_add_f32_e32 v62, v58, v59
	ds_read2_b64 v[58:61], v1 offset0:117 offset1:118
	v_fma_f32 v3, v46, v128, -v3
	v_add_f32_e32 v2, v2, v3
	v_mul_f32_e32 v3, v49, v131
	s_waitcnt vmcnt(22)
	v_mul_f32_e32 v63, v56, v139
	v_fma_f32 v3, v48, v130, -v3
	v_fmac_f32_e32 v63, v57, v138
	v_add_f32_e32 v2, v2, v3
	v_mul_f32_e32 v3, v51, v133
	v_add_f32_e32 v66, v62, v63
	ds_read2_b64 v[62:65], v1 offset0:119 offset1:120
	v_fma_f32 v3, v50, v132, -v3
	s_waitcnt vmcnt(20) lgkmcnt(1)
	v_mul_f32_e32 v67, v58, v141
	v_add_f32_e32 v2, v2, v3
	v_mul_f32_e32 v3, v53, v134
	v_fmac_f32_e32 v67, v59, v140
	v_fma_f32 v3, v52, v137, -v3
	v_add_f32_e32 v66, v66, v67
	s_waitcnt vmcnt(19)
	v_mul_f32_e32 v67, v60, v142
	v_add_f32_e32 v2, v2, v3
	v_mul_f32_e32 v3, v55, v136
	s_waitcnt vmcnt(16)
	v_fmac_f32_e32 v67, v61, v145
	v_fma_f32 v3, v54, v135, -v3
	v_add_f32_e32 v66, v66, v67
	s_waitcnt lgkmcnt(0)
	v_mul_f32_e32 v67, v62, v144
	v_add_f32_e32 v2, v2, v3
	v_mul_f32_e32 v3, v57, v139
	v_fmac_f32_e32 v67, v63, v143
	v_fma_f32 v3, v56, v138, -v3
	v_add_f32_e32 v70, v66, v67
	ds_read2_b64 v[66:69], v1 offset0:121 offset1:122
	v_add_f32_e32 v2, v2, v3
	v_mul_f32_e32 v3, v59, v141
	v_fma_f32 v3, v58, v140, -v3
	s_waitcnt vmcnt(14)
	v_mul_f32_e32 v71, v64, v147
	v_add_f32_e32 v2, v2, v3
	v_mul_f32_e32 v3, v61, v142
	v_fmac_f32_e32 v71, v65, v146
	v_fma_f32 v3, v60, v145, -v3
	v_add_f32_e32 v74, v70, v71
	ds_read2_b64 v[70:73], v1 offset0:123 offset1:124
	v_add_f32_e32 v2, v2, v3
	v_mul_f32_e32 v3, v63, v144
	s_waitcnt vmcnt(12) lgkmcnt(1)
	v_mul_f32_e32 v75, v66, v149
	v_fma_f32 v3, v62, v143, -v3
	v_fmac_f32_e32 v75, v67, v148
	v_add_f32_e32 v2, v2, v3
	v_mul_f32_e32 v3, v65, v147
	v_add_f32_e32 v74, v74, v75
	s_waitcnt vmcnt(11)
	v_mul_f32_e32 v75, v68, v150
	v_fma_f32 v3, v64, v146, -v3
	s_waitcnt vmcnt(8)
	v_fmac_f32_e32 v75, v69, v153
	v_add_f32_e32 v2, v2, v3
	v_mul_f32_e32 v3, v67, v149
	v_add_f32_e32 v74, v74, v75
	s_waitcnt lgkmcnt(0)
	v_mul_f32_e32 v75, v70, v152
	v_fma_f32 v3, v66, v148, -v3
	v_fmac_f32_e32 v75, v71, v151
	v_add_f32_e32 v2, v2, v3
	v_mul_f32_e32 v3, v69, v150
	v_add_f32_e32 v78, v74, v75
	ds_read2_b64 v[74:77], v1 offset0:125 offset1:126
	v_fma_f32 v3, v68, v153, -v3
	v_add_f32_e32 v2, v2, v3
	v_mul_f32_e32 v3, v71, v152
	s_waitcnt vmcnt(6)
	v_mul_f32_e32 v79, v72, v155
	v_fma_f32 v3, v70, v151, -v3
	v_fmac_f32_e32 v79, v73, v154
	v_add_f32_e32 v2, v2, v3
	v_mul_f32_e32 v3, v73, v155
	v_add_f32_e32 v162, v78, v79
	ds_read_b64 v[78:79], v1 offset:1016
	v_fma_f32 v3, v72, v154, -v3
	v_add_f32_e32 v2, v2, v3
	s_waitcnt vmcnt(4) lgkmcnt(1)
	v_mul_f32_e32 v3, v75, v157
	v_mul_f32_e32 v163, v74, v157
	v_fma_f32 v3, v74, v156, -v3
	v_fmac_f32_e32 v163, v75, v156
	v_add_f32_e32 v2, v2, v3
	s_waitcnt vmcnt(3)
	v_mul_f32_e32 v3, v77, v158
	v_add_f32_e32 v162, v162, v163
	v_mul_f32_e32 v163, v76, v158
	s_waitcnt vmcnt(0)
	v_fma_f32 v3, v76, v161, -v3
	v_fmac_f32_e32 v163, v77, v161
	v_add_f32_e32 v2, v2, v3
	s_waitcnt lgkmcnt(0)
	v_mul_f32_e32 v3, v79, v160
	v_add_f32_e32 v162, v162, v163
	v_mul_f32_e32 v163, v78, v160
	v_fma_f32 v3, v78, v159, -v3
	v_fmac_f32_e32 v163, v79, v159
	v_add_f32_e32 v2, v2, v3
	v_add_f32_e32 v162, v162, v163
	v_sub_f32_e32 v2, v110, v2
	v_sub_f32_e32 v3, v111, v162
	buffer_store_dword v2, off, s[0:3], 0 offset:192
	buffer_store_dword v3, off, s[0:3], 0 offset:196
	s_and_saveexec_b64 s[4:5], vcc
	s_cbranch_execz .LBB127_351
; %bb.350:
	buffer_load_dword v2, off, s[0:3], 0 offset:184
	buffer_load_dword v3, off, s[0:3], 0 offset:188
	s_waitcnt vmcnt(0)
	ds_write_b64 v249, v[2:3]
	buffer_store_dword v1, off, s[0:3], 0 offset:184
	buffer_store_dword v1, off, s[0:3], 0 offset:188
.LBB127_351:
	s_or_b64 exec, exec, s[4:5]
	s_waitcnt lgkmcnt(0)
	; wave barrier
	buffer_load_dword v82, off, s[0:3], 0 offset:196
	buffer_load_dword v83, off, s[0:3], 0 offset:204
	;; [unrolled: 1-line block ×32, first 2 shown]
	ds_read_b128 v[2:5], v1 offset:704
	ds_read_b128 v[6:9], v1 offset:720
	ds_read_b128 v[10:13], v1 offset:736
	ds_read_b128 v[14:17], v1 offset:752
	ds_read_b128 v[18:21], v1 offset:768
	ds_read_b128 v[22:25], v1 offset:784
	buffer_load_dword v114, off, s[0:3], 0 offset:312
	buffer_load_dword v115, off, s[0:3], 0 offset:316
	;; [unrolled: 1-line block ×26, first 2 shown]
	v_cmp_lt_u32_e32 vcc, 22, v0
	s_waitcnt vmcnt(57) lgkmcnt(5)
	v_mul_f32_e32 v26, v2, v82
	s_waitcnt vmcnt(56)
	v_mul_f32_e32 v27, v4, v83
	s_waitcnt vmcnt(55) lgkmcnt(4)
	v_mul_f32_e32 v28, v6, v84
	s_waitcnt vmcnt(54)
	v_mul_f32_e32 v29, v8, v85
	;; [unrolled: 4-line block ×5, first 2 shown]
	s_waitcnt vmcnt(47) lgkmcnt(0)
	v_mul_f32_e32 v36, v22, v92
	s_waitcnt vmcnt(46)
	v_fmac_f32_e32 v28, v7, v93
	s_waitcnt vmcnt(45)
	v_fmac_f32_e32 v27, v5, v94
	;; [unrolled: 2-line block ×3, first 2 shown]
	v_add_f32_e32 v26, 0, v26
	v_add_f32_e32 v26, v26, v27
	;; [unrolled: 1-line block ×3, first 2 shown]
	s_waitcnt vmcnt(40)
	v_fmac_f32_e32 v29, v9, v99
	v_fmac_f32_e32 v30, v11, v98
	v_add_f32_e32 v26, v26, v29
	v_fmac_f32_e32 v31, v13, v97
	v_add_f32_e32 v26, v26, v30
	;; [unrolled: 2-line block ×3, first 2 shown]
	s_waitcnt vmcnt(36)
	v_fmac_f32_e32 v33, v17, v103
	v_add_f32_e32 v26, v26, v32
	v_fmac_f32_e32 v34, v19, v102
	v_add_f32_e32 v26, v26, v33
	;; [unrolled: 2-line block ×4, first 2 shown]
	v_add_f32_e32 v30, v26, v36
	ds_read_b128 v[26:29], v1 offset:800
	buffer_load_dword v142, off, s[0:3], 0 offset:416
	buffer_load_dword v143, off, s[0:3], 0 offset:420
	;; [unrolled: 1-line block ×6, first 2 shown]
	s_waitcnt vmcnt(41)
	v_mul_f32_e32 v31, v24, v104
	s_waitcnt vmcnt(35)
	v_fmac_f32_e32 v31, v25, v110
	v_add_f32_e32 v34, v30, v31
	ds_read_b128 v[30:33], v1 offset:816
	buffer_load_dword v148, off, s[0:3], 0 offset:440
	buffer_load_dword v149, off, s[0:3], 0 offset:444
	;; [unrolled: 1-line block ×10, first 2 shown]
	s_waitcnt vmcnt(44) lgkmcnt(1)
	v_mul_f32_e32 v35, v26, v111
	v_fmac_f32_e32 v35, v27, v109
	v_add_f32_e32 v34, v34, v35
	v_mul_f32_e32 v35, v28, v106
	v_fmac_f32_e32 v35, v29, v105
	v_add_f32_e32 v34, v34, v35
	s_waitcnt lgkmcnt(0)
	v_mul_f32_e32 v35, v30, v108
	buffer_load_dword v158, off, s[0:3], 0 offset:480
	buffer_load_dword v159, off, s[0:3], 0 offset:484
	;; [unrolled: 1-line block ×6, first 2 shown]
	v_fmac_f32_e32 v35, v31, v107
	s_waitcnt vmcnt(46)
	v_mul_f32_e32 v39, v32, v115
	v_add_f32_e32 v38, v34, v35
	v_fmac_f32_e32 v39, v33, v114
	ds_read_b128 v[34:37], v1 offset:832
	v_add_f32_e32 v42, v38, v39
	ds_read_b128 v[38:41], v1 offset:848
	buffer_load_dword v164, off, s[0:3], 0 offset:504
	buffer_load_dword v165, off, s[0:3], 0 offset:508
	v_mul_f32_e32 v3, v3, v82
	v_fma_f32 v2, v2, v95, -v3
	v_mul_f32_e32 v3, v5, v83
	v_add_f32_e32 v2, 0, v2
	v_fma_f32 v3, v4, v94, -v3
	v_add_f32_e32 v2, v2, v3
	v_mul_f32_e32 v3, v7, v84
	v_fma_f32 v3, v6, v93, -v3
	v_add_f32_e32 v2, v2, v3
	v_mul_f32_e32 v3, v9, v85
	;; [unrolled: 3-line block ×7, first 2 shown]
	s_waitcnt vmcnt(46) lgkmcnt(1)
	v_mul_f32_e32 v43, v34, v117
	v_fma_f32 v3, v18, v102, -v3
	v_fmac_f32_e32 v43, v35, v116
	v_add_f32_e32 v2, v2, v3
	v_mul_f32_e32 v3, v21, v91
	v_add_f32_e32 v42, v42, v43
	s_waitcnt vmcnt(44)
	v_mul_f32_e32 v43, v36, v119
	v_fma_f32 v3, v20, v101, -v3
	v_fmac_f32_e32 v43, v37, v118
	v_add_f32_e32 v2, v2, v3
	v_mul_f32_e32 v3, v23, v92
	v_add_f32_e32 v42, v42, v43
	s_waitcnt vmcnt(42) lgkmcnt(0)
	v_mul_f32_e32 v43, v38, v123
	v_fma_f32 v3, v22, v100, -v3
	v_fmac_f32_e32 v43, v39, v120
	v_add_f32_e32 v2, v2, v3
	v_mul_f32_e32 v3, v25, v104
	v_add_f32_e32 v46, v42, v43
	ds_read_b128 v[42:45], v1 offset:864
	v_fma_f32 v3, v24, v110, -v3
	v_add_f32_e32 v2, v2, v3
	v_mul_f32_e32 v3, v27, v111
	s_waitcnt vmcnt(40)
	v_mul_f32_e32 v47, v40, v125
	v_fma_f32 v3, v26, v109, -v3
	v_fmac_f32_e32 v47, v41, v124
	v_add_f32_e32 v2, v2, v3
	v_mul_f32_e32 v3, v29, v106
	v_add_f32_e32 v50, v46, v47
	ds_read_b128 v[46:49], v1 offset:880
	v_fma_f32 v3, v28, v105, -v3
	s_waitcnt vmcnt(38) lgkmcnt(1)
	v_mul_f32_e32 v51, v42, v127
	v_add_f32_e32 v2, v2, v3
	v_mul_f32_e32 v3, v31, v108
	v_fmac_f32_e32 v51, v43, v126
	v_fma_f32 v3, v30, v107, -v3
	v_add_f32_e32 v50, v50, v51
	s_waitcnt vmcnt(36)
	v_mul_f32_e32 v51, v44, v129
	v_add_f32_e32 v2, v2, v3
	v_mul_f32_e32 v3, v33, v115
	v_fmac_f32_e32 v51, v45, v128
	v_fma_f32 v3, v32, v114, -v3
	v_add_f32_e32 v50, v50, v51
	s_waitcnt vmcnt(34) lgkmcnt(0)
	v_mul_f32_e32 v51, v46, v131
	v_add_f32_e32 v2, v2, v3
	v_mul_f32_e32 v3, v35, v117
	v_fmac_f32_e32 v51, v47, v130
	v_fma_f32 v3, v34, v116, -v3
	v_add_f32_e32 v54, v50, v51
	ds_read_b128 v[50:53], v1 offset:896
	v_add_f32_e32 v2, v2, v3
	v_mul_f32_e32 v3, v37, v119
	v_fma_f32 v3, v36, v118, -v3
	s_waitcnt vmcnt(32)
	v_mul_f32_e32 v55, v48, v133
	v_add_f32_e32 v2, v2, v3
	v_mul_f32_e32 v3, v39, v123
	v_fmac_f32_e32 v55, v49, v132
	v_fma_f32 v3, v38, v120, -v3
	v_add_f32_e32 v58, v54, v55
	ds_read_b128 v[54:57], v1 offset:912
	v_add_f32_e32 v2, v2, v3
	v_mul_f32_e32 v3, v41, v125
	s_waitcnt vmcnt(30) lgkmcnt(1)
	v_mul_f32_e32 v59, v50, v135
	v_fma_f32 v3, v40, v124, -v3
	v_fmac_f32_e32 v59, v51, v134
	v_add_f32_e32 v2, v2, v3
	v_mul_f32_e32 v3, v43, v127
	v_add_f32_e32 v58, v58, v59
	s_waitcnt vmcnt(29)
	v_mul_f32_e32 v59, v52, v136
	v_fma_f32 v3, v42, v126, -v3
	s_waitcnt vmcnt(26)
	v_fmac_f32_e32 v59, v53, v139
	v_add_f32_e32 v2, v2, v3
	v_mul_f32_e32 v3, v45, v129
	v_add_f32_e32 v58, v58, v59
	s_waitcnt lgkmcnt(0)
	v_mul_f32_e32 v59, v54, v138
	v_fma_f32 v3, v44, v128, -v3
	v_fmac_f32_e32 v59, v55, v137
	v_add_f32_e32 v2, v2, v3
	v_mul_f32_e32 v3, v47, v131
	v_add_f32_e32 v62, v58, v59
	ds_read_b128 v[58:61], v1 offset:928
	v_fma_f32 v3, v46, v130, -v3
	v_add_f32_e32 v2, v2, v3
	v_mul_f32_e32 v3, v49, v133
	s_waitcnt vmcnt(24)
	v_mul_f32_e32 v63, v56, v141
	v_fma_f32 v3, v48, v132, -v3
	v_fmac_f32_e32 v63, v57, v140
	v_add_f32_e32 v2, v2, v3
	v_mul_f32_e32 v3, v51, v135
	v_add_f32_e32 v66, v62, v63
	ds_read_b128 v[62:65], v1 offset:944
	v_fma_f32 v3, v50, v134, -v3
	s_waitcnt vmcnt(22) lgkmcnt(1)
	v_mul_f32_e32 v67, v58, v143
	v_add_f32_e32 v2, v2, v3
	v_mul_f32_e32 v3, v53, v136
	v_fmac_f32_e32 v67, v59, v142
	v_fma_f32 v3, v52, v139, -v3
	v_add_f32_e32 v66, v66, v67
	s_waitcnt vmcnt(21)
	v_mul_f32_e32 v67, v60, v144
	v_add_f32_e32 v2, v2, v3
	v_mul_f32_e32 v3, v55, v138
	s_waitcnt vmcnt(18)
	v_fmac_f32_e32 v67, v61, v147
	v_fma_f32 v3, v54, v137, -v3
	v_add_f32_e32 v66, v66, v67
	s_waitcnt lgkmcnt(0)
	v_mul_f32_e32 v67, v62, v146
	v_add_f32_e32 v2, v2, v3
	v_mul_f32_e32 v3, v57, v141
	v_fmac_f32_e32 v67, v63, v145
	v_fma_f32 v3, v56, v140, -v3
	v_add_f32_e32 v70, v66, v67
	ds_read_b128 v[66:69], v1 offset:960
	v_add_f32_e32 v2, v2, v3
	v_mul_f32_e32 v3, v59, v143
	v_fma_f32 v3, v58, v142, -v3
	s_waitcnt vmcnt(16)
	v_mul_f32_e32 v71, v64, v149
	v_add_f32_e32 v2, v2, v3
	v_mul_f32_e32 v3, v61, v144
	v_fmac_f32_e32 v71, v65, v148
	v_fma_f32 v3, v60, v147, -v3
	v_add_f32_e32 v74, v70, v71
	ds_read_b128 v[70:73], v1 offset:976
	v_add_f32_e32 v2, v2, v3
	v_mul_f32_e32 v3, v63, v146
	s_waitcnt vmcnt(14) lgkmcnt(1)
	v_mul_f32_e32 v75, v66, v151
	v_fma_f32 v3, v62, v145, -v3
	v_fmac_f32_e32 v75, v67, v150
	v_add_f32_e32 v2, v2, v3
	v_mul_f32_e32 v3, v65, v149
	v_add_f32_e32 v74, v74, v75
	s_waitcnt vmcnt(13)
	v_mul_f32_e32 v75, v68, v152
	v_fma_f32 v3, v64, v148, -v3
	s_waitcnt vmcnt(10)
	v_fmac_f32_e32 v75, v69, v155
	v_add_f32_e32 v2, v2, v3
	v_mul_f32_e32 v3, v67, v151
	v_add_f32_e32 v74, v74, v75
	s_waitcnt lgkmcnt(0)
	v_mul_f32_e32 v75, v70, v154
	v_fma_f32 v3, v66, v150, -v3
	v_fmac_f32_e32 v75, v71, v153
	v_add_f32_e32 v2, v2, v3
	v_mul_f32_e32 v3, v69, v152
	v_add_f32_e32 v78, v74, v75
	ds_read_b128 v[74:77], v1 offset:992
	v_fma_f32 v3, v68, v155, -v3
	v_add_f32_e32 v2, v2, v3
	v_mul_f32_e32 v3, v71, v154
	s_waitcnt vmcnt(8)
	v_mul_f32_e32 v79, v72, v157
	v_fma_f32 v3, v70, v153, -v3
	v_fmac_f32_e32 v79, v73, v156
	v_add_f32_e32 v2, v2, v3
	v_mul_f32_e32 v3, v73, v157
	v_add_f32_e32 v166, v78, v79
	ds_read_b128 v[78:81], v1 offset:1008
	v_fma_f32 v3, v72, v156, -v3
	v_add_f32_e32 v2, v2, v3
	s_waitcnt vmcnt(6) lgkmcnt(1)
	v_mul_f32_e32 v3, v75, v159
	v_mul_f32_e32 v1, v74, v159
	v_fma_f32 v3, v74, v158, -v3
	v_fmac_f32_e32 v1, v75, v158
	v_add_f32_e32 v2, v2, v3
	s_waitcnt vmcnt(5)
	v_mul_f32_e32 v3, v77, v160
	v_add_f32_e32 v1, v166, v1
	v_mul_f32_e32 v166, v76, v160
	s_waitcnt vmcnt(2)
	v_fma_f32 v3, v76, v163, -v3
	v_fmac_f32_e32 v166, v77, v163
	v_add_f32_e32 v2, v2, v3
	s_waitcnt lgkmcnt(0)
	v_mul_f32_e32 v3, v79, v162
	v_add_f32_e32 v1, v1, v166
	v_mul_f32_e32 v166, v78, v162
	v_fma_f32 v3, v78, v161, -v3
	v_fmac_f32_e32 v166, v79, v161
	v_add_f32_e32 v2, v2, v3
	s_waitcnt vmcnt(0)
	v_mul_f32_e32 v3, v81, v165
	v_add_f32_e32 v1, v1, v166
	v_mul_f32_e32 v166, v80, v165
	v_fma_f32 v3, v80, v164, -v3
	v_fmac_f32_e32 v166, v81, v164
	v_add_f32_e32 v2, v2, v3
	v_add_f32_e32 v1, v1, v166
	v_sub_f32_e32 v2, v112, v2
	v_sub_f32_e32 v1, v113, v1
	buffer_store_dword v2, off, s[0:3], 0 offset:184
	buffer_store_dword v1, off, s[0:3], 0 offset:188
	s_and_saveexec_b64 s[4:5], vcc
	s_cbranch_execz .LBB127_353
; %bb.352:
	buffer_load_dword v1, off, s[0:3], 0 offset:176
	buffer_load_dword v2, off, s[0:3], 0 offset:180
	v_mov_b32_e32 v3, 0
	buffer_store_dword v3, off, s[0:3], 0 offset:176
	buffer_store_dword v3, off, s[0:3], 0 offset:180
	s_waitcnt vmcnt(2)
	ds_write_b64 v249, v[1:2]
.LBB127_353:
	s_or_b64 exec, exec, s[4:5]
	s_waitcnt lgkmcnt(0)
	; wave barrier
	buffer_load_dword v10, off, s[0:3], 0 offset:188
	buffer_load_dword v9, off, s[0:3], 0 offset:196
	;; [unrolled: 1-line block ×50, first 2 shown]
	v_mov_b32_e32 v1, 0
	ds_read2_b64 v[11:14], v1 offset0:87 offset1:88
	ds_read2_b64 v[15:18], v1 offset0:89 offset1:90
	;; [unrolled: 1-line block ×6, first 2 shown]
	buffer_load_dword v136, off, s[0:3], 0 offset:376
	buffer_load_dword v137, off, s[0:3], 0 offset:380
	;; [unrolled: 1-line block ×6, first 2 shown]
	v_cmp_lt_u32_e32 vcc, 21, v0
	s_waitcnt vmcnt(55) lgkmcnt(5)
	v_mul_f32_e32 v35, v11, v10
	s_waitcnt vmcnt(54)
	v_mul_f32_e32 v36, v13, v9
	s_waitcnt vmcnt(53) lgkmcnt(4)
	v_mul_f32_e32 v37, v15, v8
	s_waitcnt vmcnt(52)
	v_mul_f32_e32 v38, v17, v7
	s_waitcnt vmcnt(51) lgkmcnt(3)
	v_mul_f32_e32 v39, v19, v6
	s_waitcnt vmcnt(50)
	v_mul_f32_e32 v40, v21, v3
	s_waitcnt vmcnt(49) lgkmcnt(2)
	v_mul_f32_e32 v41, v23, v2
	s_waitcnt vmcnt(48)
	v_mul_f32_e32 v42, v25, v93
	s_waitcnt vmcnt(47) lgkmcnt(1)
	v_mul_f32_e32 v43, v27, v94
	s_waitcnt vmcnt(46)
	v_mul_f32_e32 v44, v29, v95
	s_waitcnt vmcnt(45) lgkmcnt(0)
	v_mul_f32_e32 v45, v31, v96
	s_waitcnt vmcnt(44)
	v_fmac_f32_e32 v37, v16, v97
	s_waitcnt vmcnt(43)
	v_fmac_f32_e32 v36, v14, v98
	;; [unrolled: 2-line block ×3, first 2 shown]
	v_add_f32_e32 v35, 0, v35
	v_add_f32_e32 v35, v35, v36
	v_add_f32_e32 v35, v35, v37
	s_waitcnt vmcnt(38)
	v_fmac_f32_e32 v38, v18, v103
	v_fmac_f32_e32 v39, v20, v102
	v_add_f32_e32 v35, v35, v38
	v_fmac_f32_e32 v40, v22, v101
	v_add_f32_e32 v35, v35, v39
	;; [unrolled: 2-line block ×3, first 2 shown]
	s_waitcnt vmcnt(34)
	v_fmac_f32_e32 v42, v26, v107
	v_add_f32_e32 v35, v35, v41
	v_fmac_f32_e32 v43, v28, v106
	v_add_f32_e32 v35, v35, v42
	v_fmac_f32_e32 v44, v30, v105
	v_add_f32_e32 v35, v35, v43
	v_fmac_f32_e32 v45, v32, v104
	v_add_f32_e32 v35, v35, v44
	v_add_f32_e32 v39, v35, v45
	ds_read2_b64 v[35:38], v1 offset0:99 offset1:100
	buffer_load_dword v142, off, s[0:3], 0 offset:400
	buffer_load_dword v143, off, s[0:3], 0 offset:404
	s_waitcnt vmcnt(35)
	v_mul_f32_e32 v40, v33, v108
	s_waitcnt vmcnt(29)
	v_fmac_f32_e32 v40, v34, v114
	v_add_f32_e32 v43, v39, v40
	ds_read2_b64 v[39:42], v1 offset0:101 offset1:102
	buffer_load_dword v144, off, s[0:3], 0 offset:408
	buffer_load_dword v145, off, s[0:3], 0 offset:412
	buffer_load_dword v146, off, s[0:3], 0 offset:420
	buffer_load_dword v147, off, s[0:3], 0 offset:424
	buffer_load_dword v148, off, s[0:3], 0 offset:428
	buffer_load_dword v149, off, s[0:3], 0 offset:416
	buffer_load_dword v150, off, s[0:3], 0 offset:432
	buffer_load_dword v151, off, s[0:3], 0 offset:436
	buffer_load_dword v152, off, s[0:3], 0 offset:440
	buffer_load_dword v153, off, s[0:3], 0 offset:444
	buffer_load_dword v154, off, s[0:3], 0 offset:452
	buffer_load_dword v155, off, s[0:3], 0 offset:456
	buffer_load_dword v156, off, s[0:3], 0 offset:460
	buffer_load_dword v157, off, s[0:3], 0 offset:448
	s_waitcnt vmcnt(42) lgkmcnt(1)
	v_mul_f32_e32 v44, v35, v115
	v_fmac_f32_e32 v44, v36, v113
	buffer_load_dword v158, off, s[0:3], 0 offset:464
	buffer_load_dword v159, off, s[0:3], 0 offset:468
	v_add_f32_e32 v43, v43, v44
	v_mul_f32_e32 v44, v37, v110
	v_fmac_f32_e32 v44, v38, v109
	v_add_f32_e32 v43, v43, v44
	s_waitcnt lgkmcnt(0)
	v_mul_f32_e32 v44, v39, v112
	v_fmac_f32_e32 v44, v40, v111
	v_add_f32_e32 v47, v43, v44
	ds_read2_b64 v[43:46], v1 offset0:103 offset1:104
	buffer_load_dword v160, off, s[0:3], 0 offset:472
	buffer_load_dword v161, off, s[0:3], 0 offset:476
	;; [unrolled: 1-line block ×6, first 2 shown]
	s_waitcnt vmcnt(46)
	v_mul_f32_e32 v48, v41, v117
	v_fmac_f32_e32 v48, v42, v116
	v_add_f32_e32 v51, v47, v48
	ds_read2_b64 v[47:50], v1 offset0:105 offset1:106
	buffer_load_dword v166, off, s[0:3], 0 offset:500
	buffer_load_dword v167, off, s[0:3], 0 offset:504
	;; [unrolled: 1-line block ×4, first 2 shown]
	v_mul_f32_e32 v10, v12, v10
	v_fma_f32 v10, v11, v99, -v10
	v_mul_f32_e32 v9, v14, v9
	v_add_f32_e32 v10, 0, v10
	v_fma_f32 v9, v13, v98, -v9
	v_mul_f32_e32 v8, v16, v8
	v_add_f32_e32 v9, v10, v9
	;; [unrolled: 3-line block ×6, first 2 shown]
	v_fma_f32 v2, v23, v100, -v2
	v_add_f32_e32 v2, v3, v2
	v_mul_f32_e32 v3, v26, v93
	v_fma_f32 v3, v25, v107, -v3
	s_waitcnt vmcnt(48) lgkmcnt(1)
	v_mul_f32_e32 v52, v43, v119
	v_add_f32_e32 v2, v2, v3
	v_mul_f32_e32 v3, v28, v94
	v_fmac_f32_e32 v52, v44, v118
	v_fma_f32 v3, v27, v106, -v3
	v_add_f32_e32 v51, v51, v52
	s_waitcnt vmcnt(46)
	v_mul_f32_e32 v52, v45, v123
	v_add_f32_e32 v2, v2, v3
	v_mul_f32_e32 v3, v30, v95
	v_fmac_f32_e32 v52, v46, v120
	v_fma_f32 v3, v29, v105, -v3
	v_add_f32_e32 v51, v51, v52
	s_waitcnt vmcnt(44) lgkmcnt(0)
	v_mul_f32_e32 v52, v47, v125
	v_add_f32_e32 v2, v2, v3
	v_mul_f32_e32 v3, v32, v96
	v_fmac_f32_e32 v52, v48, v124
	v_fma_f32 v3, v31, v104, -v3
	v_add_f32_e32 v55, v51, v52
	ds_read2_b64 v[51:54], v1 offset0:107 offset1:108
	v_add_f32_e32 v2, v2, v3
	v_mul_f32_e32 v3, v34, v108
	v_fma_f32 v3, v33, v114, -v3
	s_waitcnt vmcnt(42)
	v_mul_f32_e32 v56, v49, v127
	v_add_f32_e32 v2, v2, v3
	v_mul_f32_e32 v3, v36, v115
	v_fmac_f32_e32 v56, v50, v126
	v_fma_f32 v3, v35, v113, -v3
	v_add_f32_e32 v59, v55, v56
	ds_read2_b64 v[55:58], v1 offset0:109 offset1:110
	v_add_f32_e32 v2, v2, v3
	v_mul_f32_e32 v3, v38, v110
	s_waitcnt vmcnt(40) lgkmcnt(1)
	v_mul_f32_e32 v60, v51, v129
	v_fma_f32 v3, v37, v109, -v3
	v_fmac_f32_e32 v60, v52, v128
	v_add_f32_e32 v2, v2, v3
	v_mul_f32_e32 v3, v40, v112
	v_add_f32_e32 v59, v59, v60
	s_waitcnt vmcnt(38)
	v_mul_f32_e32 v60, v53, v131
	v_fma_f32 v3, v39, v111, -v3
	v_fmac_f32_e32 v60, v54, v130
	v_add_f32_e32 v2, v2, v3
	v_mul_f32_e32 v3, v42, v117
	v_add_f32_e32 v59, v59, v60
	s_waitcnt vmcnt(36) lgkmcnt(0)
	v_mul_f32_e32 v60, v55, v133
	v_fma_f32 v3, v41, v116, -v3
	v_fmac_f32_e32 v60, v56, v132
	v_add_f32_e32 v2, v2, v3
	v_mul_f32_e32 v3, v44, v119
	v_add_f32_e32 v63, v59, v60
	ds_read2_b64 v[59:62], v1 offset0:111 offset1:112
	v_fma_f32 v3, v43, v118, -v3
	v_add_f32_e32 v2, v2, v3
	v_mul_f32_e32 v3, v46, v123
	s_waitcnt vmcnt(34)
	v_mul_f32_e32 v64, v57, v135
	v_fma_f32 v3, v45, v120, -v3
	v_fmac_f32_e32 v64, v58, v134
	v_add_f32_e32 v2, v2, v3
	v_mul_f32_e32 v3, v48, v125
	v_add_f32_e32 v67, v63, v64
	ds_read2_b64 v[63:66], v1 offset0:113 offset1:114
	v_fma_f32 v3, v47, v124, -v3
	s_waitcnt vmcnt(32) lgkmcnt(1)
	v_mul_f32_e32 v68, v59, v137
	v_add_f32_e32 v2, v2, v3
	v_mul_f32_e32 v3, v50, v127
	v_fmac_f32_e32 v68, v60, v136
	v_fma_f32 v3, v49, v126, -v3
	v_add_f32_e32 v67, v67, v68
	s_waitcnt vmcnt(31)
	v_mul_f32_e32 v68, v61, v138
	v_add_f32_e32 v2, v2, v3
	v_mul_f32_e32 v3, v52, v129
	s_waitcnt vmcnt(28)
	v_fmac_f32_e32 v68, v62, v141
	v_fma_f32 v3, v51, v128, -v3
	v_add_f32_e32 v67, v67, v68
	s_waitcnt lgkmcnt(0)
	v_mul_f32_e32 v68, v63, v140
	v_add_f32_e32 v2, v2, v3
	v_mul_f32_e32 v3, v54, v131
	v_fmac_f32_e32 v68, v64, v139
	v_fma_f32 v3, v53, v130, -v3
	v_add_f32_e32 v71, v67, v68
	ds_read2_b64 v[67:70], v1 offset0:115 offset1:116
	v_add_f32_e32 v2, v2, v3
	v_mul_f32_e32 v3, v56, v133
	v_fma_f32 v3, v55, v132, -v3
	s_waitcnt vmcnt(26)
	v_mul_f32_e32 v72, v65, v143
	v_add_f32_e32 v2, v2, v3
	v_mul_f32_e32 v3, v58, v135
	v_fmac_f32_e32 v72, v66, v142
	v_fma_f32 v3, v57, v134, -v3
	v_add_f32_e32 v75, v71, v72
	ds_read2_b64 v[71:74], v1 offset0:117 offset1:118
	v_add_f32_e32 v2, v2, v3
	v_mul_f32_e32 v3, v60, v137
	s_waitcnt vmcnt(24) lgkmcnt(1)
	v_mul_f32_e32 v76, v67, v145
	v_fma_f32 v3, v59, v136, -v3
	v_fmac_f32_e32 v76, v68, v144
	v_add_f32_e32 v2, v2, v3
	v_mul_f32_e32 v3, v62, v138
	v_add_f32_e32 v75, v75, v76
	s_waitcnt vmcnt(23)
	v_mul_f32_e32 v76, v69, v146
	v_fma_f32 v3, v61, v141, -v3
	s_waitcnt vmcnt(20)
	v_fmac_f32_e32 v76, v70, v149
	v_add_f32_e32 v2, v2, v3
	v_mul_f32_e32 v3, v64, v140
	v_add_f32_e32 v75, v75, v76
	s_waitcnt lgkmcnt(0)
	v_mul_f32_e32 v76, v71, v148
	v_fma_f32 v3, v63, v139, -v3
	v_fmac_f32_e32 v76, v72, v147
	v_add_f32_e32 v2, v2, v3
	v_mul_f32_e32 v3, v66, v143
	v_add_f32_e32 v79, v75, v76
	ds_read2_b64 v[75:78], v1 offset0:119 offset1:120
	v_fma_f32 v3, v65, v142, -v3
	v_add_f32_e32 v2, v2, v3
	v_mul_f32_e32 v3, v68, v145
	s_waitcnt vmcnt(18)
	v_mul_f32_e32 v80, v73, v151
	v_fma_f32 v3, v67, v144, -v3
	v_fmac_f32_e32 v80, v74, v150
	v_add_f32_e32 v2, v2, v3
	v_mul_f32_e32 v3, v70, v146
	v_add_f32_e32 v83, v79, v80
	ds_read2_b64 v[79:82], v1 offset0:121 offset1:122
	v_fma_f32 v3, v69, v149, -v3
	s_waitcnt vmcnt(16) lgkmcnt(1)
	v_mul_f32_e32 v84, v75, v153
	v_add_f32_e32 v2, v2, v3
	v_mul_f32_e32 v3, v72, v148
	v_fmac_f32_e32 v84, v76, v152
	v_fma_f32 v3, v71, v147, -v3
	v_add_f32_e32 v83, v83, v84
	s_waitcnt vmcnt(15)
	v_mul_f32_e32 v84, v77, v154
	v_add_f32_e32 v2, v2, v3
	v_mul_f32_e32 v3, v74, v151
	s_waitcnt vmcnt(12)
	v_fmac_f32_e32 v84, v78, v157
	v_fma_f32 v3, v73, v150, -v3
	v_add_f32_e32 v83, v83, v84
	s_waitcnt lgkmcnt(0)
	v_mul_f32_e32 v84, v79, v156
	v_add_f32_e32 v2, v2, v3
	v_mul_f32_e32 v3, v76, v153
	v_fmac_f32_e32 v84, v80, v155
	v_fma_f32 v3, v75, v152, -v3
	v_add_f32_e32 v87, v83, v84
	ds_read2_b64 v[83:86], v1 offset0:123 offset1:124
	v_add_f32_e32 v2, v2, v3
	v_mul_f32_e32 v3, v78, v154
	v_fma_f32 v3, v77, v157, -v3
	v_add_f32_e32 v2, v2, v3
	v_mul_f32_e32 v3, v80, v156
	s_waitcnt vmcnt(10)
	v_mul_f32_e32 v88, v81, v159
	v_fma_f32 v3, v79, v155, -v3
	v_fmac_f32_e32 v88, v82, v158
	v_add_f32_e32 v2, v2, v3
	v_mul_f32_e32 v3, v82, v159
	v_add_f32_e32 v91, v87, v88
	ds_read2_b64 v[87:90], v1 offset0:125 offset1:126
	s_waitcnt vmcnt(8) lgkmcnt(1)
	v_mul_f32_e32 v92, v83, v161
	v_fma_f32 v3, v81, v158, -v3
	v_fmac_f32_e32 v92, v84, v160
	v_add_f32_e32 v2, v2, v3
	v_mul_f32_e32 v3, v84, v161
	v_add_f32_e32 v91, v91, v92
	s_waitcnt vmcnt(7)
	v_mul_f32_e32 v92, v85, v162
	v_fma_f32 v3, v83, v160, -v3
	s_waitcnt vmcnt(4)
	v_fmac_f32_e32 v92, v86, v165
	v_add_f32_e32 v2, v2, v3
	v_mul_f32_e32 v3, v86, v162
	v_add_f32_e32 v170, v91, v92
	ds_read_b64 v[91:92], v1 offset:1016
	v_fma_f32 v3, v85, v165, -v3
	v_add_f32_e32 v2, v2, v3
	s_waitcnt lgkmcnt(1)
	v_mul_f32_e32 v3, v88, v164
	v_mul_f32_e32 v171, v87, v164
	v_fma_f32 v3, v87, v163, -v3
	v_fmac_f32_e32 v171, v88, v163
	v_add_f32_e32 v2, v2, v3
	s_waitcnt vmcnt(3)
	v_mul_f32_e32 v3, v90, v166
	v_add_f32_e32 v170, v170, v171
	v_mul_f32_e32 v171, v89, v166
	s_waitcnt vmcnt(0)
	v_fma_f32 v3, v89, v169, -v3
	v_fmac_f32_e32 v171, v90, v169
	v_add_f32_e32 v2, v2, v3
	s_waitcnt lgkmcnt(0)
	v_mul_f32_e32 v3, v92, v168
	v_add_f32_e32 v170, v170, v171
	v_mul_f32_e32 v171, v91, v168
	v_fma_f32 v3, v91, v167, -v3
	v_fmac_f32_e32 v171, v92, v167
	v_add_f32_e32 v2, v2, v3
	v_add_f32_e32 v170, v170, v171
	v_sub_f32_e32 v2, v4, v2
	v_sub_f32_e32 v3, v5, v170
	buffer_store_dword v2, off, s[0:3], 0 offset:176
	buffer_store_dword v3, off, s[0:3], 0 offset:180
	s_and_saveexec_b64 s[4:5], vcc
	s_cbranch_execz .LBB127_355
; %bb.354:
	buffer_load_dword v2, off, s[0:3], 0 offset:168
	buffer_load_dword v3, off, s[0:3], 0 offset:172
	s_waitcnt vmcnt(0)
	ds_write_b64 v249, v[2:3]
	buffer_store_dword v1, off, s[0:3], 0 offset:168
	buffer_store_dword v1, off, s[0:3], 0 offset:172
.LBB127_355:
	s_or_b64 exec, exec, s[4:5]
	s_waitcnt lgkmcnt(0)
	; wave barrier
	buffer_load_dword v86, off, s[0:3], 0 offset:180
	buffer_load_dword v87, off, s[0:3], 0 offset:188
	;; [unrolled: 1-line block ×32, first 2 shown]
	ds_read_b128 v[2:5], v1 offset:688
	ds_read_b128 v[6:9], v1 offset:704
	;; [unrolled: 1-line block ×6, first 2 shown]
	buffer_load_dword v118, off, s[0:3], 0 offset:296
	buffer_load_dword v119, off, s[0:3], 0 offset:300
	buffer_load_dword v120, off, s[0:3], 0 offset:304
	buffer_load_dword v123, off, s[0:3], 0 offset:308
	buffer_load_dword v124, off, s[0:3], 0 offset:312
	buffer_load_dword v125, off, s[0:3], 0 offset:316
	buffer_load_dword v126, off, s[0:3], 0 offset:320
	buffer_load_dword v127, off, s[0:3], 0 offset:324
	buffer_load_dword v128, off, s[0:3], 0 offset:328
	buffer_load_dword v129, off, s[0:3], 0 offset:332
	buffer_load_dword v130, off, s[0:3], 0 offset:336
	buffer_load_dword v131, off, s[0:3], 0 offset:340
	buffer_load_dword v132, off, s[0:3], 0 offset:344
	buffer_load_dword v133, off, s[0:3], 0 offset:348
	buffer_load_dword v134, off, s[0:3], 0 offset:352
	buffer_load_dword v135, off, s[0:3], 0 offset:356
	buffer_load_dword v136, off, s[0:3], 0 offset:360
	buffer_load_dword v137, off, s[0:3], 0 offset:364
	v_cmp_lt_u32_e32 vcc, 20, v0
	s_waitcnt vmcnt(49) lgkmcnt(5)
	v_mul_f32_e32 v26, v2, v86
	s_waitcnt vmcnt(48)
	v_mul_f32_e32 v27, v4, v87
	s_waitcnt vmcnt(47) lgkmcnt(4)
	v_mul_f32_e32 v28, v6, v88
	s_waitcnt vmcnt(46)
	v_mul_f32_e32 v29, v8, v89
	;; [unrolled: 4-line block ×6, first 2 shown]
	s_waitcnt vmcnt(37)
	v_fmac_f32_e32 v28, v7, v98
	s_waitcnt vmcnt(36)
	v_fmac_f32_e32 v27, v5, v99
	s_waitcnt vmcnt(35)
	v_fmac_f32_e32 v26, v3, v100
	v_add_f32_e32 v26, 0, v26
	v_add_f32_e32 v26, v26, v27
	;; [unrolled: 1-line block ×3, first 2 shown]
	s_waitcnt vmcnt(31)
	v_fmac_f32_e32 v29, v9, v104
	v_fmac_f32_e32 v30, v11, v103
	v_add_f32_e32 v26, v26, v29
	v_fmac_f32_e32 v31, v13, v102
	v_add_f32_e32 v26, v26, v30
	;; [unrolled: 2-line block ×3, first 2 shown]
	s_waitcnt vmcnt(27)
	v_fmac_f32_e32 v33, v17, v108
	v_add_f32_e32 v26, v26, v32
	v_fmac_f32_e32 v34, v19, v107
	v_add_f32_e32 v26, v26, v33
	;; [unrolled: 2-line block ×3, first 2 shown]
	v_add_f32_e32 v30, v26, v35
	ds_read_b128 v[26:29], v1 offset:784
	buffer_load_dword v138, off, s[0:3], 0 offset:368
	buffer_load_dword v139, off, s[0:3], 0 offset:372
	;; [unrolled: 1-line block ×6, first 2 shown]
	v_fmac_f32_e32 v36, v23, v105
	s_waitcnt vmcnt(27)
	v_fmac_f32_e32 v37, v25, v114
	v_add_f32_e32 v30, v30, v36
	v_add_f32_e32 v34, v30, v37
	ds_read_b128 v[30:33], v1 offset:800
	buffer_load_dword v144, off, s[0:3], 0 offset:392
	buffer_load_dword v145, off, s[0:3], 0 offset:396
	buffer_load_dword v146, off, s[0:3], 0 offset:400
	buffer_load_dword v147, off, s[0:3], 0 offset:404
	buffer_load_dword v148, off, s[0:3], 0 offset:412
	buffer_load_dword v149, off, s[0:3], 0 offset:416
	buffer_load_dword v150, off, s[0:3], 0 offset:420
	buffer_load_dword v151, off, s[0:3], 0 offset:408
	buffer_load_dword v152, off, s[0:3], 0 offset:424
	buffer_load_dword v153, off, s[0:3], 0 offset:428
	s_waitcnt vmcnt(36) lgkmcnt(1)
	v_mul_f32_e32 v35, v26, v115
	buffer_load_dword v154, off, s[0:3], 0 offset:432
	buffer_load_dword v155, off, s[0:3], 0 offset:436
	;; [unrolled: 1-line block ×6, first 2 shown]
	v_fmac_f32_e32 v35, v27, v113
	v_add_f32_e32 v34, v34, v35
	v_mul_f32_e32 v35, v28, v110
	v_fmac_f32_e32 v35, v29, v109
	v_add_f32_e32 v34, v34, v35
	s_waitcnt lgkmcnt(0)
	v_mul_f32_e32 v35, v30, v112
	v_fmac_f32_e32 v35, v31, v111
	v_add_f32_e32 v38, v34, v35
	ds_read_b128 v[34:37], v1 offset:816
	buffer_load_dword v160, off, s[0:3], 0 offset:456
	buffer_load_dword v161, off, s[0:3], 0 offset:460
	s_waitcnt vmcnt(40)
	v_mul_f32_e32 v39, v32, v119
	v_fmac_f32_e32 v39, v33, v118
	v_add_f32_e32 v42, v38, v39
	ds_read_b128 v[38:41], v1 offset:832
	buffer_load_dword v162, off, s[0:3], 0 offset:464
	buffer_load_dword v163, off, s[0:3], 0 offset:468
	;; [unrolled: 1-line block ×12, first 2 shown]
	v_mul_f32_e32 v3, v3, v86
	v_fma_f32 v2, v2, v100, -v3
	v_mul_f32_e32 v3, v5, v87
	v_add_f32_e32 v2, 0, v2
	v_fma_f32 v3, v4, v99, -v3
	v_add_f32_e32 v2, v2, v3
	v_mul_f32_e32 v3, v7, v88
	v_fma_f32 v3, v6, v98, -v3
	v_add_f32_e32 v2, v2, v3
	v_mul_f32_e32 v3, v9, v89
	;; [unrolled: 3-line block ×6, first 2 shown]
	v_fma_f32 v3, v16, v108, -v3
	s_waitcnt vmcnt(50) lgkmcnt(1)
	v_mul_f32_e32 v43, v34, v123
	v_add_f32_e32 v2, v2, v3
	v_mul_f32_e32 v3, v19, v94
	v_fmac_f32_e32 v43, v35, v120
	v_fma_f32 v3, v18, v107, -v3
	v_add_f32_e32 v42, v42, v43
	s_waitcnt vmcnt(48)
	v_mul_f32_e32 v43, v36, v125
	v_add_f32_e32 v2, v2, v3
	v_mul_f32_e32 v3, v21, v95
	v_fmac_f32_e32 v43, v37, v124
	v_fma_f32 v3, v20, v106, -v3
	v_add_f32_e32 v42, v42, v43
	s_waitcnt vmcnt(46) lgkmcnt(0)
	v_mul_f32_e32 v43, v38, v127
	v_add_f32_e32 v2, v2, v3
	v_mul_f32_e32 v3, v23, v96
	v_fmac_f32_e32 v43, v39, v126
	v_fma_f32 v3, v22, v105, -v3
	v_add_f32_e32 v46, v42, v43
	ds_read_b128 v[42:45], v1 offset:848
	v_add_f32_e32 v2, v2, v3
	v_mul_f32_e32 v3, v25, v97
	v_fma_f32 v3, v24, v114, -v3
	s_waitcnt vmcnt(44)
	v_mul_f32_e32 v47, v40, v129
	v_add_f32_e32 v2, v2, v3
	v_mul_f32_e32 v3, v27, v115
	v_fmac_f32_e32 v47, v41, v128
	v_fma_f32 v3, v26, v113, -v3
	v_add_f32_e32 v50, v46, v47
	ds_read_b128 v[46:49], v1 offset:864
	v_add_f32_e32 v2, v2, v3
	v_mul_f32_e32 v3, v29, v110
	s_waitcnt vmcnt(42) lgkmcnt(1)
	v_mul_f32_e32 v51, v42, v131
	v_fma_f32 v3, v28, v109, -v3
	v_fmac_f32_e32 v51, v43, v130
	v_add_f32_e32 v2, v2, v3
	v_mul_f32_e32 v3, v31, v112
	v_add_f32_e32 v50, v50, v51
	s_waitcnt vmcnt(40)
	v_mul_f32_e32 v51, v44, v133
	v_fma_f32 v3, v30, v111, -v3
	v_fmac_f32_e32 v51, v45, v132
	v_add_f32_e32 v2, v2, v3
	v_mul_f32_e32 v3, v33, v119
	v_add_f32_e32 v50, v50, v51
	s_waitcnt vmcnt(38) lgkmcnt(0)
	v_mul_f32_e32 v51, v46, v135
	v_fma_f32 v3, v32, v118, -v3
	v_fmac_f32_e32 v51, v47, v134
	v_add_f32_e32 v2, v2, v3
	v_mul_f32_e32 v3, v35, v123
	v_add_f32_e32 v54, v50, v51
	ds_read_b128 v[50:53], v1 offset:880
	v_fma_f32 v3, v34, v120, -v3
	v_add_f32_e32 v2, v2, v3
	v_mul_f32_e32 v3, v37, v125
	s_waitcnt vmcnt(36)
	v_mul_f32_e32 v55, v48, v137
	v_fma_f32 v3, v36, v124, -v3
	v_fmac_f32_e32 v55, v49, v136
	v_add_f32_e32 v2, v2, v3
	v_mul_f32_e32 v3, v39, v127
	v_add_f32_e32 v58, v54, v55
	ds_read_b128 v[54:57], v1 offset:896
	v_fma_f32 v3, v38, v126, -v3
	s_waitcnt vmcnt(34) lgkmcnt(1)
	v_mul_f32_e32 v59, v50, v139
	v_add_f32_e32 v2, v2, v3
	v_mul_f32_e32 v3, v41, v129
	v_fmac_f32_e32 v59, v51, v138
	v_fma_f32 v3, v40, v128, -v3
	v_add_f32_e32 v58, v58, v59
	s_waitcnt vmcnt(33)
	v_mul_f32_e32 v59, v52, v140
	v_add_f32_e32 v2, v2, v3
	v_mul_f32_e32 v3, v43, v131
	s_waitcnt vmcnt(30)
	v_fmac_f32_e32 v59, v53, v143
	v_fma_f32 v3, v42, v130, -v3
	v_add_f32_e32 v58, v58, v59
	s_waitcnt lgkmcnt(0)
	v_mul_f32_e32 v59, v54, v142
	v_add_f32_e32 v2, v2, v3
	v_mul_f32_e32 v3, v45, v133
	v_fmac_f32_e32 v59, v55, v141
	v_fma_f32 v3, v44, v132, -v3
	v_add_f32_e32 v62, v58, v59
	ds_read_b128 v[58:61], v1 offset:912
	v_add_f32_e32 v2, v2, v3
	v_mul_f32_e32 v3, v47, v135
	v_fma_f32 v3, v46, v134, -v3
	s_waitcnt vmcnt(28)
	v_mul_f32_e32 v63, v56, v145
	v_add_f32_e32 v2, v2, v3
	v_mul_f32_e32 v3, v49, v137
	v_fmac_f32_e32 v63, v57, v144
	v_fma_f32 v3, v48, v136, -v3
	v_add_f32_e32 v66, v62, v63
	ds_read_b128 v[62:65], v1 offset:928
	v_add_f32_e32 v2, v2, v3
	v_mul_f32_e32 v3, v51, v139
	s_waitcnt vmcnt(26) lgkmcnt(1)
	v_mul_f32_e32 v67, v58, v147
	v_fma_f32 v3, v50, v138, -v3
	v_fmac_f32_e32 v67, v59, v146
	v_add_f32_e32 v2, v2, v3
	v_mul_f32_e32 v3, v53, v140
	v_add_f32_e32 v66, v66, v67
	s_waitcnt vmcnt(25)
	v_mul_f32_e32 v67, v60, v148
	v_fma_f32 v3, v52, v143, -v3
	s_waitcnt vmcnt(22)
	v_fmac_f32_e32 v67, v61, v151
	v_add_f32_e32 v2, v2, v3
	v_mul_f32_e32 v3, v55, v142
	v_add_f32_e32 v66, v66, v67
	s_waitcnt lgkmcnt(0)
	v_mul_f32_e32 v67, v62, v150
	v_fma_f32 v3, v54, v141, -v3
	v_fmac_f32_e32 v67, v63, v149
	v_add_f32_e32 v2, v2, v3
	v_mul_f32_e32 v3, v57, v145
	v_add_f32_e32 v70, v66, v67
	ds_read_b128 v[66:69], v1 offset:944
	v_fma_f32 v3, v56, v144, -v3
	v_add_f32_e32 v2, v2, v3
	v_mul_f32_e32 v3, v59, v147
	s_waitcnt vmcnt(20)
	v_mul_f32_e32 v71, v64, v153
	v_fma_f32 v3, v58, v146, -v3
	v_fmac_f32_e32 v71, v65, v152
	v_add_f32_e32 v2, v2, v3
	v_mul_f32_e32 v3, v61, v148
	v_add_f32_e32 v74, v70, v71
	ds_read_b128 v[70:73], v1 offset:960
	v_fma_f32 v3, v60, v151, -v3
	s_waitcnt vmcnt(18) lgkmcnt(1)
	v_mul_f32_e32 v75, v66, v155
	v_add_f32_e32 v2, v2, v3
	v_mul_f32_e32 v3, v63, v150
	v_fmac_f32_e32 v75, v67, v154
	v_fma_f32 v3, v62, v149, -v3
	v_add_f32_e32 v74, v74, v75
	s_waitcnt vmcnt(17)
	v_mul_f32_e32 v75, v68, v156
	v_add_f32_e32 v2, v2, v3
	v_mul_f32_e32 v3, v65, v153
	s_waitcnt vmcnt(14)
	v_fmac_f32_e32 v75, v69, v159
	v_fma_f32 v3, v64, v152, -v3
	v_add_f32_e32 v74, v74, v75
	s_waitcnt lgkmcnt(0)
	v_mul_f32_e32 v75, v70, v158
	v_add_f32_e32 v2, v2, v3
	v_mul_f32_e32 v3, v67, v155
	v_fmac_f32_e32 v75, v71, v157
	v_fma_f32 v3, v66, v154, -v3
	v_add_f32_e32 v78, v74, v75
	ds_read_b128 v[74:77], v1 offset:976
	v_add_f32_e32 v2, v2, v3
	v_mul_f32_e32 v3, v69, v156
	v_fma_f32 v3, v68, v159, -v3
	v_add_f32_e32 v2, v2, v3
	v_mul_f32_e32 v3, v71, v158
	s_waitcnt vmcnt(12)
	v_mul_f32_e32 v79, v72, v161
	v_fma_f32 v3, v70, v157, -v3
	v_fmac_f32_e32 v79, v73, v160
	v_add_f32_e32 v2, v2, v3
	v_mul_f32_e32 v3, v73, v161
	v_add_f32_e32 v82, v78, v79
	ds_read_b128 v[78:81], v1 offset:992
	s_waitcnt vmcnt(10) lgkmcnt(1)
	v_mul_f32_e32 v83, v74, v163
	v_fma_f32 v3, v72, v160, -v3
	v_fmac_f32_e32 v83, v75, v162
	v_add_f32_e32 v2, v2, v3
	v_mul_f32_e32 v3, v75, v163
	v_add_f32_e32 v82, v82, v83
	s_waitcnt vmcnt(9)
	v_mul_f32_e32 v83, v76, v164
	v_fma_f32 v3, v74, v162, -v3
	s_waitcnt vmcnt(6)
	v_fmac_f32_e32 v83, v77, v167
	v_add_f32_e32 v2, v2, v3
	v_mul_f32_e32 v3, v77, v164
	v_add_f32_e32 v174, v82, v83
	ds_read_b128 v[82:85], v1 offset:1008
	v_fma_f32 v3, v76, v167, -v3
	v_add_f32_e32 v2, v2, v3
	s_waitcnt lgkmcnt(1)
	v_mul_f32_e32 v3, v79, v166
	v_mul_f32_e32 v175, v78, v166
	v_fma_f32 v3, v78, v165, -v3
	v_fmac_f32_e32 v175, v79, v165
	v_add_f32_e32 v2, v2, v3
	s_waitcnt vmcnt(4)
	v_mul_f32_e32 v3, v81, v169
	v_add_f32_e32 v1, v174, v175
	v_mul_f32_e32 v174, v80, v169
	v_fma_f32 v3, v80, v168, -v3
	v_fmac_f32_e32 v174, v81, v168
	v_add_f32_e32 v2, v2, v3
	s_waitcnt vmcnt(3) lgkmcnt(0)
	v_mul_f32_e32 v3, v83, v170
	v_add_f32_e32 v1, v1, v174
	v_mul_f32_e32 v174, v82, v170
	s_waitcnt vmcnt(0)
	v_fma_f32 v3, v82, v173, -v3
	v_fmac_f32_e32 v174, v83, v173
	v_add_f32_e32 v2, v2, v3
	v_mul_f32_e32 v3, v85, v172
	v_add_f32_e32 v1, v1, v174
	v_mul_f32_e32 v174, v84, v172
	v_fma_f32 v3, v84, v171, -v3
	v_fmac_f32_e32 v174, v85, v171
	v_add_f32_e32 v2, v2, v3
	v_add_f32_e32 v1, v1, v174
	v_sub_f32_e32 v2, v116, v2
	v_sub_f32_e32 v1, v117, v1
	buffer_store_dword v2, off, s[0:3], 0 offset:168
	buffer_store_dword v1, off, s[0:3], 0 offset:172
	s_and_saveexec_b64 s[4:5], vcc
	s_cbranch_execz .LBB127_357
; %bb.356:
	buffer_load_dword v1, off, s[0:3], 0 offset:160
	buffer_load_dword v2, off, s[0:3], 0 offset:164
	v_mov_b32_e32 v3, 0
	buffer_store_dword v3, off, s[0:3], 0 offset:160
	buffer_store_dword v3, off, s[0:3], 0 offset:164
	s_waitcnt vmcnt(2)
	ds_write_b64 v249, v[1:2]
.LBB127_357:
	s_or_b64 exec, exec, s[4:5]
	s_waitcnt lgkmcnt(0)
	; wave barrier
	buffer_load_dword v10, off, s[0:3], 0 offset:172
	buffer_load_dword v9, off, s[0:3], 0 offset:180
	;; [unrolled: 1-line block ×48, first 2 shown]
	v_mov_b32_e32 v1, 0
	ds_read2_b64 v[16:19], v1 offset0:85 offset1:86
	ds_read2_b64 v[20:23], v1 offset0:87 offset1:88
	;; [unrolled: 1-line block ×6, first 2 shown]
	buffer_load_dword v138, off, s[0:3], 0 offset:352
	buffer_load_dword v139, off, s[0:3], 0 offset:356
	v_cmp_lt_u32_e32 vcc, 19, v0
	s_waitcnt vmcnt(49) lgkmcnt(5)
	v_mul_f32_e32 v40, v16, v10
	s_waitcnt vmcnt(48)
	v_mul_f32_e32 v41, v18, v9
	s_waitcnt vmcnt(47) lgkmcnt(4)
	v_mul_f32_e32 v42, v20, v8
	s_waitcnt vmcnt(46)
	v_mul_f32_e32 v43, v22, v7
	;; [unrolled: 4-line block ×6, first 2 shown]
	s_waitcnt vmcnt(37)
	v_fmac_f32_e32 v42, v21, v102
	s_waitcnt vmcnt(36)
	v_fmac_f32_e32 v41, v19, v103
	;; [unrolled: 2-line block ×3, first 2 shown]
	v_add_f32_e32 v40, 0, v40
	v_add_f32_e32 v40, v40, v41
	;; [unrolled: 1-line block ×3, first 2 shown]
	s_waitcnt vmcnt(31)
	v_fmac_f32_e32 v43, v23, v108
	v_fmac_f32_e32 v44, v25, v107
	v_add_f32_e32 v40, v40, v43
	v_fmac_f32_e32 v45, v27, v106
	v_add_f32_e32 v40, v40, v44
	;; [unrolled: 2-line block ×3, first 2 shown]
	s_waitcnt vmcnt(27)
	v_fmac_f32_e32 v47, v31, v112
	v_add_f32_e32 v40, v40, v46
	v_fmac_f32_e32 v48, v33, v111
	v_add_f32_e32 v40, v40, v47
	;; [unrolled: 2-line block ×4, first 2 shown]
	v_add_f32_e32 v44, v40, v50
	ds_read2_b64 v[40:43], v1 offset0:97 offset1:98
	buffer_load_dword v140, off, s[0:3], 0 offset:360
	buffer_load_dword v141, off, s[0:3], 0 offset:364
	;; [unrolled: 1-line block ×6, first 2 shown]
	s_waitcnt vmcnt(28)
	v_fmac_f32_e32 v51, v39, v117
	v_add_f32_e32 v48, v44, v51
	ds_read2_b64 v[44:47], v1 offset0:99 offset1:100
	buffer_load_dword v146, off, s[0:3], 0 offset:384
	buffer_load_dword v147, off, s[0:3], 0 offset:388
	;; [unrolled: 1-line block ×8, first 2 shown]
	s_waitcnt vmcnt(35) lgkmcnt(1)
	v_mul_f32_e32 v49, v40, v118
	buffer_load_dword v154, off, s[0:3], 0 offset:416
	buffer_load_dword v155, off, s[0:3], 0 offset:420
	v_fmac_f32_e32 v49, v41, v116
	v_add_f32_e32 v48, v48, v49
	s_waitcnt vmcnt(36)
	v_mul_f32_e32 v49, v42, v119
	v_fmac_f32_e32 v49, v43, v115
	v_add_f32_e32 v48, v48, v49
	s_waitcnt lgkmcnt(0)
	v_mul_f32_e32 v49, v44, v114
	v_fmac_f32_e32 v49, v45, v113
	v_add_f32_e32 v52, v48, v49
	ds_read2_b64 v[48:51], v1 offset0:101 offset1:102
	buffer_load_dword v156, off, s[0:3], 0 offset:424
	buffer_load_dword v157, off, s[0:3], 0 offset:428
	;; [unrolled: 1-line block ×6, first 2 shown]
	s_waitcnt vmcnt(38)
	v_mul_f32_e32 v53, v46, v123
	v_fmac_f32_e32 v53, v47, v120
	v_add_f32_e32 v56, v52, v53
	ds_read2_b64 v[52:55], v1 offset0:103 offset1:104
	buffer_load_dword v162, off, s[0:3], 0 offset:448
	buffer_load_dword v163, off, s[0:3], 0 offset:452
	;; [unrolled: 1-line block ×16, first 2 shown]
	v_mul_f32_e32 v10, v17, v10
	v_fma_f32 v10, v16, v104, -v10
	v_mul_f32_e32 v9, v19, v9
	v_add_f32_e32 v10, 0, v10
	v_fma_f32 v9, v18, v103, -v9
	v_mul_f32_e32 v8, v21, v8
	v_add_f32_e32 v9, v10, v9
	;; [unrolled: 3-line block ×6, first 2 shown]
	v_fma_f32 v4, v28, v105, -v4
	s_waitcnt vmcnt(52) lgkmcnt(1)
	v_mul_f32_e32 v57, v48, v125
	v_add_f32_e32 v4, v5, v4
	v_mul_f32_e32 v5, v31, v11
	v_fmac_f32_e32 v57, v49, v124
	v_fma_f32 v5, v30, v112, -v5
	v_add_f32_e32 v56, v56, v57
	s_waitcnt vmcnt(50)
	v_mul_f32_e32 v57, v50, v127
	v_add_f32_e32 v4, v4, v5
	v_mul_f32_e32 v5, v33, v12
	v_fmac_f32_e32 v57, v51, v126
	v_fma_f32 v5, v32, v111, -v5
	v_add_f32_e32 v56, v56, v57
	s_waitcnt vmcnt(48) lgkmcnt(0)
	v_mul_f32_e32 v57, v52, v129
	v_add_f32_e32 v4, v4, v5
	v_mul_f32_e32 v5, v35, v13
	v_fmac_f32_e32 v57, v53, v128
	v_fma_f32 v5, v34, v110, -v5
	v_add_f32_e32 v60, v56, v57
	ds_read2_b64 v[56:59], v1 offset0:105 offset1:106
	v_add_f32_e32 v4, v4, v5
	v_mul_f32_e32 v5, v37, v14
	v_fma_f32 v5, v36, v109, -v5
	s_waitcnt vmcnt(46)
	v_mul_f32_e32 v61, v54, v131
	v_add_f32_e32 v4, v4, v5
	v_mul_f32_e32 v5, v39, v15
	v_fmac_f32_e32 v61, v55, v130
	v_fma_f32 v5, v38, v117, -v5
	v_add_f32_e32 v64, v60, v61
	ds_read2_b64 v[60:63], v1 offset0:107 offset1:108
	v_add_f32_e32 v4, v4, v5
	v_mul_f32_e32 v5, v41, v118
	s_waitcnt vmcnt(44) lgkmcnt(1)
	v_mul_f32_e32 v65, v56, v133
	v_fma_f32 v5, v40, v116, -v5
	v_fmac_f32_e32 v65, v57, v132
	v_add_f32_e32 v4, v4, v5
	v_mul_f32_e32 v5, v43, v119
	v_add_f32_e32 v64, v64, v65
	s_waitcnt vmcnt(42)
	v_mul_f32_e32 v65, v58, v135
	v_fma_f32 v5, v42, v115, -v5
	v_fmac_f32_e32 v65, v59, v134
	v_add_f32_e32 v4, v4, v5
	v_mul_f32_e32 v5, v45, v114
	v_add_f32_e32 v64, v64, v65
	s_waitcnt vmcnt(40) lgkmcnt(0)
	v_mul_f32_e32 v65, v60, v137
	v_fma_f32 v5, v44, v113, -v5
	v_fmac_f32_e32 v65, v61, v136
	v_add_f32_e32 v4, v4, v5
	v_mul_f32_e32 v5, v47, v123
	v_add_f32_e32 v68, v64, v65
	ds_read2_b64 v[64:67], v1 offset0:109 offset1:110
	v_fma_f32 v5, v46, v120, -v5
	v_add_f32_e32 v4, v4, v5
	v_mul_f32_e32 v5, v49, v125
	s_waitcnt vmcnt(38)
	v_mul_f32_e32 v69, v62, v139
	v_fma_f32 v5, v48, v124, -v5
	v_fmac_f32_e32 v69, v63, v138
	v_add_f32_e32 v4, v4, v5
	v_mul_f32_e32 v5, v51, v127
	v_add_f32_e32 v72, v68, v69
	ds_read2_b64 v[68:71], v1 offset0:111 offset1:112
	v_fma_f32 v5, v50, v126, -v5
	s_waitcnt vmcnt(36) lgkmcnt(1)
	v_mul_f32_e32 v73, v64, v141
	v_add_f32_e32 v4, v4, v5
	v_mul_f32_e32 v5, v53, v129
	v_fmac_f32_e32 v73, v65, v140
	v_fma_f32 v5, v52, v128, -v5
	v_add_f32_e32 v72, v72, v73
	s_waitcnt vmcnt(35)
	v_mul_f32_e32 v73, v66, v142
	v_add_f32_e32 v4, v4, v5
	v_mul_f32_e32 v5, v55, v131
	s_waitcnt vmcnt(32)
	v_fmac_f32_e32 v73, v67, v145
	v_fma_f32 v5, v54, v130, -v5
	v_add_f32_e32 v72, v72, v73
	s_waitcnt lgkmcnt(0)
	v_mul_f32_e32 v73, v68, v144
	v_add_f32_e32 v4, v4, v5
	v_mul_f32_e32 v5, v57, v133
	v_fmac_f32_e32 v73, v69, v143
	v_fma_f32 v5, v56, v132, -v5
	v_add_f32_e32 v76, v72, v73
	ds_read2_b64 v[72:75], v1 offset0:113 offset1:114
	v_add_f32_e32 v4, v4, v5
	v_mul_f32_e32 v5, v59, v135
	v_fma_f32 v5, v58, v134, -v5
	s_waitcnt vmcnt(30)
	v_mul_f32_e32 v77, v70, v147
	v_add_f32_e32 v4, v4, v5
	v_mul_f32_e32 v5, v61, v137
	v_fmac_f32_e32 v77, v71, v146
	v_fma_f32 v5, v60, v136, -v5
	v_add_f32_e32 v80, v76, v77
	ds_read2_b64 v[76:79], v1 offset0:115 offset1:116
	v_add_f32_e32 v4, v4, v5
	v_mul_f32_e32 v5, v63, v139
	s_waitcnt vmcnt(28) lgkmcnt(1)
	v_mul_f32_e32 v81, v72, v149
	v_fma_f32 v5, v62, v138, -v5
	v_fmac_f32_e32 v81, v73, v148
	v_add_f32_e32 v4, v4, v5
	v_mul_f32_e32 v5, v65, v141
	v_add_f32_e32 v80, v80, v81
	s_waitcnt vmcnt(27)
	v_mul_f32_e32 v81, v74, v150
	v_fma_f32 v5, v64, v140, -v5
	s_waitcnt vmcnt(24)
	v_fmac_f32_e32 v81, v75, v153
	v_add_f32_e32 v4, v4, v5
	v_mul_f32_e32 v5, v67, v142
	v_add_f32_e32 v80, v80, v81
	s_waitcnt lgkmcnt(0)
	v_mul_f32_e32 v81, v76, v152
	v_fma_f32 v5, v66, v145, -v5
	v_fmac_f32_e32 v81, v77, v151
	v_add_f32_e32 v4, v4, v5
	v_mul_f32_e32 v5, v69, v144
	v_add_f32_e32 v84, v80, v81
	ds_read2_b64 v[80:83], v1 offset0:117 offset1:118
	v_fma_f32 v5, v68, v143, -v5
	v_add_f32_e32 v4, v4, v5
	v_mul_f32_e32 v5, v71, v147
	s_waitcnt vmcnt(22)
	v_mul_f32_e32 v85, v78, v155
	v_fma_f32 v5, v70, v146, -v5
	v_fmac_f32_e32 v85, v79, v154
	v_add_f32_e32 v4, v4, v5
	v_mul_f32_e32 v5, v73, v149
	v_add_f32_e32 v88, v84, v85
	ds_read2_b64 v[84:87], v1 offset0:119 offset1:120
	v_fma_f32 v5, v72, v148, -v5
	s_waitcnt vmcnt(20) lgkmcnt(1)
	v_mul_f32_e32 v89, v80, v157
	v_add_f32_e32 v4, v4, v5
	v_mul_f32_e32 v5, v75, v150
	v_fmac_f32_e32 v89, v81, v156
	v_fma_f32 v5, v74, v153, -v5
	v_add_f32_e32 v88, v88, v89
	s_waitcnt vmcnt(19)
	v_mul_f32_e32 v89, v82, v158
	v_add_f32_e32 v4, v4, v5
	v_mul_f32_e32 v5, v77, v152
	s_waitcnt vmcnt(16)
	v_fmac_f32_e32 v89, v83, v161
	v_fma_f32 v5, v76, v151, -v5
	v_add_f32_e32 v88, v88, v89
	s_waitcnt lgkmcnt(0)
	v_mul_f32_e32 v89, v84, v160
	v_add_f32_e32 v4, v4, v5
	v_mul_f32_e32 v5, v79, v155
	v_fmac_f32_e32 v89, v85, v159
	v_fma_f32 v5, v78, v154, -v5
	v_add_f32_e32 v92, v88, v89
	ds_read2_b64 v[88:91], v1 offset0:121 offset1:122
	v_add_f32_e32 v4, v4, v5
	v_mul_f32_e32 v5, v81, v157
	v_fma_f32 v5, v80, v156, -v5
	s_waitcnt vmcnt(14)
	v_mul_f32_e32 v93, v86, v163
	v_add_f32_e32 v4, v4, v5
	v_mul_f32_e32 v5, v83, v158
	v_fmac_f32_e32 v93, v87, v162
	v_fma_f32 v5, v82, v161, -v5
	v_add_f32_e32 v96, v92, v93
	ds_read2_b64 v[92:95], v1 offset0:123 offset1:124
	v_add_f32_e32 v4, v4, v5
	v_mul_f32_e32 v5, v85, v160
	s_waitcnt vmcnt(12) lgkmcnt(1)
	v_mul_f32_e32 v97, v88, v165
	v_fma_f32 v5, v84, v159, -v5
	v_fmac_f32_e32 v97, v89, v164
	v_add_f32_e32 v4, v4, v5
	v_mul_f32_e32 v5, v87, v163
	v_add_f32_e32 v96, v96, v97
	s_waitcnt vmcnt(11)
	v_mul_f32_e32 v97, v90, v166
	v_fma_f32 v5, v86, v162, -v5
	s_waitcnt vmcnt(8)
	v_fmac_f32_e32 v97, v91, v169
	v_add_f32_e32 v4, v4, v5
	v_mul_f32_e32 v5, v89, v165
	v_add_f32_e32 v96, v96, v97
	s_waitcnt lgkmcnt(0)
	v_mul_f32_e32 v97, v92, v168
	v_fma_f32 v5, v88, v164, -v5
	v_fmac_f32_e32 v97, v93, v167
	v_add_f32_e32 v4, v4, v5
	v_mul_f32_e32 v5, v91, v166
	v_add_f32_e32 v100, v96, v97
	ds_read2_b64 v[96:99], v1 offset0:125 offset1:126
	v_fma_f32 v5, v90, v169, -v5
	v_add_f32_e32 v4, v4, v5
	v_mul_f32_e32 v5, v93, v168
	s_waitcnt vmcnt(6)
	v_mul_f32_e32 v101, v94, v171
	v_fma_f32 v5, v92, v167, -v5
	v_fmac_f32_e32 v101, v95, v170
	v_add_f32_e32 v4, v4, v5
	v_mul_f32_e32 v5, v95, v171
	v_add_f32_e32 v178, v100, v101
	ds_read_b64 v[100:101], v1 offset:1016
	v_fma_f32 v5, v94, v170, -v5
	v_add_f32_e32 v4, v4, v5
	s_waitcnt vmcnt(4) lgkmcnt(1)
	v_mul_f32_e32 v5, v97, v173
	v_mul_f32_e32 v179, v96, v173
	v_fma_f32 v5, v96, v172, -v5
	v_fmac_f32_e32 v179, v97, v172
	v_add_f32_e32 v4, v4, v5
	s_waitcnt vmcnt(3)
	v_mul_f32_e32 v5, v99, v174
	v_add_f32_e32 v178, v178, v179
	v_mul_f32_e32 v179, v98, v174
	s_waitcnt vmcnt(0)
	v_fma_f32 v5, v98, v177, -v5
	v_fmac_f32_e32 v179, v99, v177
	v_add_f32_e32 v4, v4, v5
	s_waitcnt lgkmcnt(0)
	v_mul_f32_e32 v5, v101, v176
	v_add_f32_e32 v178, v178, v179
	v_mul_f32_e32 v179, v100, v176
	v_fma_f32 v5, v100, v175, -v5
	v_fmac_f32_e32 v179, v101, v175
	v_add_f32_e32 v4, v4, v5
	v_add_f32_e32 v178, v178, v179
	v_sub_f32_e32 v2, v2, v4
	v_sub_f32_e32 v3, v3, v178
	buffer_store_dword v2, off, s[0:3], 0 offset:160
	buffer_store_dword v3, off, s[0:3], 0 offset:164
	s_and_saveexec_b64 s[4:5], vcc
	s_cbranch_execz .LBB127_359
; %bb.358:
	buffer_load_dword v2, off, s[0:3], 0 offset:152
	buffer_load_dword v3, off, s[0:3], 0 offset:156
	s_waitcnt vmcnt(0)
	ds_write_b64 v249, v[2:3]
	buffer_store_dword v1, off, s[0:3], 0 offset:152
	buffer_store_dword v1, off, s[0:3], 0 offset:156
.LBB127_359:
	s_or_b64 exec, exec, s[4:5]
	s_waitcnt lgkmcnt(0)
	; wave barrier
	buffer_load_dword v10, off, s[0:3], 0 offset:164
	buffer_load_dword v9, off, s[0:3], 0 offset:172
	;; [unrolled: 1-line block ×32, first 2 shown]
	ds_read_b128 v[16:19], v1 offset:672
	ds_read_b128 v[20:23], v1 offset:688
	;; [unrolled: 1-line block ×4, first 2 shown]
	buffer_load_dword v124, off, s[0:3], 0 offset:280
	buffer_load_dword v125, off, s[0:3], 0 offset:284
	ds_read_b128 v[32:35], v1 offset:736
	ds_read_b128 v[36:39], v1 offset:752
	;; [unrolled: 1-line block ×3, first 2 shown]
	buffer_load_dword v126, off, s[0:3], 0 offset:288
	buffer_load_dword v127, off, s[0:3], 0 offset:292
	;; [unrolled: 1-line block ×16, first 2 shown]
	v_cmp_lt_u32_e32 vcc, 18, v0
	s_waitcnt vmcnt(49) lgkmcnt(6)
	v_mul_f32_e32 v44, v16, v10
	s_waitcnt vmcnt(48)
	v_mul_f32_e32 v45, v18, v9
	s_waitcnt vmcnt(47) lgkmcnt(5)
	v_mul_f32_e32 v46, v20, v8
	s_waitcnt vmcnt(46)
	v_mul_f32_e32 v47, v22, v7
	s_waitcnt vmcnt(45) lgkmcnt(4)
	v_mul_f32_e32 v48, v24, v6
	s_waitcnt vmcnt(44)
	v_mul_f32_e32 v49, v26, v5
	s_waitcnt vmcnt(43) lgkmcnt(3)
	v_mul_f32_e32 v50, v28, v4
	s_waitcnt vmcnt(42)
	v_mul_f32_e32 v51, v30, v11
	s_waitcnt vmcnt(41) lgkmcnt(2)
	v_mul_f32_e32 v52, v32, v12
	s_waitcnt vmcnt(40)
	v_mul_f32_e32 v53, v34, v13
	s_waitcnt vmcnt(39) lgkmcnt(1)
	v_mul_f32_e32 v54, v36, v14
	s_waitcnt vmcnt(38)
	v_mul_f32_e32 v55, v38, v15
	s_waitcnt vmcnt(37)
	v_fmac_f32_e32 v46, v21, v104
	s_waitcnt vmcnt(36)
	v_fmac_f32_e32 v45, v19, v105
	;; [unrolled: 2-line block ×3, first 2 shown]
	v_add_f32_e32 v44, 0, v44
	v_add_f32_e32 v44, v44, v45
	;; [unrolled: 1-line block ×3, first 2 shown]
	s_waitcnt vmcnt(31)
	v_fmac_f32_e32 v47, v23, v110
	v_fmac_f32_e32 v48, v25, v109
	v_add_f32_e32 v44, v44, v47
	v_fmac_f32_e32 v49, v27, v108
	v_add_f32_e32 v44, v44, v48
	;; [unrolled: 2-line block ×3, first 2 shown]
	s_waitcnt vmcnt(27)
	v_fmac_f32_e32 v51, v31, v114
	v_add_f32_e32 v44, v44, v50
	v_fmac_f32_e32 v52, v33, v113
	v_add_f32_e32 v44, v44, v51
	;; [unrolled: 2-line block ×4, first 2 shown]
	s_waitcnt vmcnt(23)
	v_fmac_f32_e32 v55, v39, v118
	v_add_f32_e32 v44, v44, v54
	v_add_f32_e32 v48, v44, v55
	ds_read_b128 v[44:47], v1 offset:784
	buffer_load_dword v142, off, s[0:3], 0 offset:352
	buffer_load_dword v143, off, s[0:3], 0 offset:356
	;; [unrolled: 1-line block ×14, first 2 shown]
	s_waitcnt vmcnt(36) lgkmcnt(1)
	v_mul_f32_e32 v49, v40, v119
	buffer_load_dword v156, off, s[0:3], 0 offset:408
	buffer_load_dword v157, off, s[0:3], 0 offset:412
	v_fmac_f32_e32 v49, v41, v117
	v_add_f32_e32 v48, v48, v49
	s_waitcnt vmcnt(37)
	v_mul_f32_e32 v49, v42, v120
	v_fmac_f32_e32 v49, v43, v116
	v_add_f32_e32 v48, v48, v49
	s_waitcnt vmcnt(36) lgkmcnt(0)
	v_mul_f32_e32 v49, v44, v123
	v_fmac_f32_e32 v49, v45, v115
	v_add_f32_e32 v52, v48, v49
	ds_read_b128 v[48:51], v1 offset:800
	buffer_load_dword v158, off, s[0:3], 0 offset:416
	buffer_load_dword v159, off, s[0:3], 0 offset:420
	;; [unrolled: 1-line block ×6, first 2 shown]
	s_waitcnt vmcnt(38)
	v_mul_f32_e32 v53, v46, v125
	v_fmac_f32_e32 v53, v47, v124
	v_add_f32_e32 v56, v52, v53
	ds_read_b128 v[52:55], v1 offset:816
	buffer_load_dword v164, off, s[0:3], 0 offset:440
	buffer_load_dword v165, off, s[0:3], 0 offset:444
	;; [unrolled: 1-line block ×10, first 2 shown]
	s_waitcnt vmcnt(46) lgkmcnt(1)
	v_mul_f32_e32 v57, v48, v127
	v_fmac_f32_e32 v57, v49, v126
	v_add_f32_e32 v56, v56, v57
	s_waitcnt vmcnt(44)
	v_mul_f32_e32 v57, v50, v129
	v_fmac_f32_e32 v57, v51, v128
	v_add_f32_e32 v56, v56, v57
	s_waitcnt vmcnt(42) lgkmcnt(0)
	v_mul_f32_e32 v57, v52, v131
	buffer_load_dword v174, off, s[0:3], 0 offset:480
	buffer_load_dword v175, off, s[0:3], 0 offset:484
	buffer_load_dword v176, off, s[0:3], 0 offset:492
	buffer_load_dword v177, off, s[0:3], 0 offset:496
	buffer_load_dword v178, off, s[0:3], 0 offset:500
	buffer_load_dword v179, off, s[0:3], 0 offset:488
	v_fmac_f32_e32 v57, v53, v130
	s_waitcnt vmcnt(46)
	v_mul_f32_e32 v61, v54, v133
	v_add_f32_e32 v60, v56, v57
	v_fmac_f32_e32 v61, v55, v132
	ds_read_b128 v[56:59], v1 offset:832
	v_add_f32_e32 v64, v60, v61
	ds_read_b128 v[60:63], v1 offset:848
	buffer_load_dword v180, off, s[0:3], 0 offset:504
	buffer_load_dword v181, off, s[0:3], 0 offset:508
	v_mul_f32_e32 v10, v17, v10
	v_fma_f32 v10, v16, v106, -v10
	v_mul_f32_e32 v9, v19, v9
	v_add_f32_e32 v10, 0, v10
	v_fma_f32 v9, v18, v105, -v9
	v_mul_f32_e32 v8, v21, v8
	v_add_f32_e32 v9, v10, v9
	;; [unrolled: 3-line block ×6, first 2 shown]
	v_fma_f32 v4, v28, v107, -v4
	v_add_f32_e32 v4, v5, v4
	v_mul_f32_e32 v5, v31, v11
	v_fma_f32 v5, v30, v114, -v5
	v_add_f32_e32 v4, v4, v5
	v_mul_f32_e32 v5, v33, v12
	;; [unrolled: 3-line block ×6, first 2 shown]
	s_waitcnt vmcnt(46) lgkmcnt(1)
	v_mul_f32_e32 v65, v56, v135
	v_fma_f32 v5, v40, v117, -v5
	v_fmac_f32_e32 v65, v57, v134
	v_add_f32_e32 v4, v4, v5
	v_mul_f32_e32 v5, v43, v120
	v_add_f32_e32 v64, v64, v65
	s_waitcnt vmcnt(44)
	v_mul_f32_e32 v65, v58, v137
	v_fma_f32 v5, v42, v116, -v5
	v_fmac_f32_e32 v65, v59, v136
	v_add_f32_e32 v4, v4, v5
	v_mul_f32_e32 v5, v45, v123
	v_add_f32_e32 v64, v64, v65
	s_waitcnt vmcnt(42) lgkmcnt(0)
	v_mul_f32_e32 v65, v60, v139
	v_fma_f32 v5, v44, v115, -v5
	v_fmac_f32_e32 v65, v61, v138
	v_add_f32_e32 v4, v4, v5
	v_mul_f32_e32 v5, v47, v125
	v_add_f32_e32 v68, v64, v65
	ds_read_b128 v[64:67], v1 offset:864
	v_fma_f32 v5, v46, v124, -v5
	v_add_f32_e32 v4, v4, v5
	v_mul_f32_e32 v5, v49, v127
	s_waitcnt vmcnt(40)
	v_mul_f32_e32 v69, v62, v141
	v_fma_f32 v5, v48, v126, -v5
	v_fmac_f32_e32 v69, v63, v140
	v_add_f32_e32 v4, v4, v5
	v_mul_f32_e32 v5, v51, v129
	v_add_f32_e32 v72, v68, v69
	ds_read_b128 v[68:71], v1 offset:880
	v_fma_f32 v5, v50, v128, -v5
	s_waitcnt vmcnt(38) lgkmcnt(1)
	v_mul_f32_e32 v73, v64, v143
	v_add_f32_e32 v4, v4, v5
	v_mul_f32_e32 v5, v53, v131
	v_fmac_f32_e32 v73, v65, v142
	v_fma_f32 v5, v52, v130, -v5
	v_add_f32_e32 v72, v72, v73
	s_waitcnt vmcnt(37)
	v_mul_f32_e32 v73, v66, v144
	v_add_f32_e32 v4, v4, v5
	v_mul_f32_e32 v5, v55, v133
	s_waitcnt vmcnt(34)
	v_fmac_f32_e32 v73, v67, v147
	v_fma_f32 v5, v54, v132, -v5
	v_add_f32_e32 v72, v72, v73
	s_waitcnt lgkmcnt(0)
	v_mul_f32_e32 v73, v68, v146
	v_add_f32_e32 v4, v4, v5
	v_mul_f32_e32 v5, v57, v135
	v_fmac_f32_e32 v73, v69, v145
	v_fma_f32 v5, v56, v134, -v5
	v_add_f32_e32 v76, v72, v73
	ds_read_b128 v[72:75], v1 offset:896
	v_add_f32_e32 v4, v4, v5
	v_mul_f32_e32 v5, v59, v137
	v_fma_f32 v5, v58, v136, -v5
	s_waitcnt vmcnt(32)
	v_mul_f32_e32 v77, v70, v149
	v_add_f32_e32 v4, v4, v5
	v_mul_f32_e32 v5, v61, v139
	v_fmac_f32_e32 v77, v71, v148
	v_fma_f32 v5, v60, v138, -v5
	v_add_f32_e32 v80, v76, v77
	ds_read_b128 v[76:79], v1 offset:912
	v_add_f32_e32 v4, v4, v5
	v_mul_f32_e32 v5, v63, v141
	s_waitcnt vmcnt(30) lgkmcnt(1)
	v_mul_f32_e32 v81, v72, v151
	v_fma_f32 v5, v62, v140, -v5
	v_fmac_f32_e32 v81, v73, v150
	v_add_f32_e32 v4, v4, v5
	v_mul_f32_e32 v5, v65, v143
	v_add_f32_e32 v80, v80, v81
	s_waitcnt vmcnt(29)
	v_mul_f32_e32 v81, v74, v152
	v_fma_f32 v5, v64, v142, -v5
	s_waitcnt vmcnt(26)
	v_fmac_f32_e32 v81, v75, v155
	v_add_f32_e32 v4, v4, v5
	v_mul_f32_e32 v5, v67, v144
	v_add_f32_e32 v80, v80, v81
	s_waitcnt lgkmcnt(0)
	v_mul_f32_e32 v81, v76, v154
	v_fma_f32 v5, v66, v147, -v5
	v_fmac_f32_e32 v81, v77, v153
	v_add_f32_e32 v4, v4, v5
	v_mul_f32_e32 v5, v69, v146
	v_add_f32_e32 v84, v80, v81
	ds_read_b128 v[80:83], v1 offset:928
	v_fma_f32 v5, v68, v145, -v5
	v_add_f32_e32 v4, v4, v5
	v_mul_f32_e32 v5, v71, v149
	s_waitcnt vmcnt(24)
	v_mul_f32_e32 v85, v78, v157
	v_fma_f32 v5, v70, v148, -v5
	v_fmac_f32_e32 v85, v79, v156
	v_add_f32_e32 v4, v4, v5
	v_mul_f32_e32 v5, v73, v151
	v_add_f32_e32 v88, v84, v85
	ds_read_b128 v[84:87], v1 offset:944
	v_fma_f32 v5, v72, v150, -v5
	s_waitcnt vmcnt(22) lgkmcnt(1)
	v_mul_f32_e32 v89, v80, v159
	v_add_f32_e32 v4, v4, v5
	v_mul_f32_e32 v5, v75, v152
	v_fmac_f32_e32 v89, v81, v158
	v_fma_f32 v5, v74, v155, -v5
	v_add_f32_e32 v88, v88, v89
	s_waitcnt vmcnt(21)
	v_mul_f32_e32 v89, v82, v160
	v_add_f32_e32 v4, v4, v5
	v_mul_f32_e32 v5, v77, v154
	s_waitcnt vmcnt(18)
	v_fmac_f32_e32 v89, v83, v163
	v_fma_f32 v5, v76, v153, -v5
	v_add_f32_e32 v88, v88, v89
	s_waitcnt lgkmcnt(0)
	v_mul_f32_e32 v89, v84, v162
	v_add_f32_e32 v4, v4, v5
	v_mul_f32_e32 v5, v79, v157
	v_fmac_f32_e32 v89, v85, v161
	v_fma_f32 v5, v78, v156, -v5
	v_add_f32_e32 v92, v88, v89
	ds_read_b128 v[88:91], v1 offset:960
	v_add_f32_e32 v4, v4, v5
	v_mul_f32_e32 v5, v81, v159
	v_fma_f32 v5, v80, v158, -v5
	s_waitcnt vmcnt(16)
	v_mul_f32_e32 v93, v86, v165
	v_add_f32_e32 v4, v4, v5
	v_mul_f32_e32 v5, v83, v160
	v_fmac_f32_e32 v93, v87, v164
	v_fma_f32 v5, v82, v163, -v5
	v_add_f32_e32 v96, v92, v93
	ds_read_b128 v[92:95], v1 offset:976
	v_add_f32_e32 v4, v4, v5
	v_mul_f32_e32 v5, v85, v162
	s_waitcnt vmcnt(14) lgkmcnt(1)
	v_mul_f32_e32 v97, v88, v167
	v_fma_f32 v5, v84, v161, -v5
	v_fmac_f32_e32 v97, v89, v166
	v_add_f32_e32 v4, v4, v5
	v_mul_f32_e32 v5, v87, v165
	v_add_f32_e32 v96, v96, v97
	s_waitcnt vmcnt(13)
	v_mul_f32_e32 v97, v90, v168
	v_fma_f32 v5, v86, v164, -v5
	s_waitcnt vmcnt(10)
	v_fmac_f32_e32 v97, v91, v171
	v_add_f32_e32 v4, v4, v5
	v_mul_f32_e32 v5, v89, v167
	v_add_f32_e32 v96, v96, v97
	s_waitcnt lgkmcnt(0)
	v_mul_f32_e32 v97, v92, v170
	v_fma_f32 v5, v88, v166, -v5
	v_fmac_f32_e32 v97, v93, v169
	v_add_f32_e32 v4, v4, v5
	v_mul_f32_e32 v5, v91, v168
	v_add_f32_e32 v100, v96, v97
	ds_read_b128 v[96:99], v1 offset:992
	v_fma_f32 v5, v90, v171, -v5
	v_add_f32_e32 v4, v4, v5
	v_mul_f32_e32 v5, v93, v170
	s_waitcnt vmcnt(8)
	v_mul_f32_e32 v101, v94, v173
	v_fma_f32 v5, v92, v169, -v5
	v_fmac_f32_e32 v101, v95, v172
	v_add_f32_e32 v4, v4, v5
	v_mul_f32_e32 v5, v95, v173
	v_add_f32_e32 v182, v100, v101
	ds_read_b128 v[100:103], v1 offset:1008
	v_fma_f32 v5, v94, v172, -v5
	v_add_f32_e32 v4, v4, v5
	s_waitcnt vmcnt(6) lgkmcnt(1)
	v_mul_f32_e32 v5, v97, v175
	v_mul_f32_e32 v1, v96, v175
	v_fma_f32 v5, v96, v174, -v5
	v_fmac_f32_e32 v1, v97, v174
	v_add_f32_e32 v4, v4, v5
	s_waitcnt vmcnt(5)
	v_mul_f32_e32 v5, v99, v176
	v_add_f32_e32 v1, v182, v1
	v_mul_f32_e32 v182, v98, v176
	s_waitcnt vmcnt(2)
	v_fma_f32 v5, v98, v179, -v5
	v_fmac_f32_e32 v182, v99, v179
	v_add_f32_e32 v4, v4, v5
	s_waitcnt lgkmcnt(0)
	v_mul_f32_e32 v5, v101, v178
	v_add_f32_e32 v1, v1, v182
	v_mul_f32_e32 v182, v100, v178
	v_fma_f32 v5, v100, v177, -v5
	v_fmac_f32_e32 v182, v101, v177
	v_add_f32_e32 v4, v4, v5
	s_waitcnt vmcnt(0)
	v_mul_f32_e32 v5, v103, v181
	v_add_f32_e32 v1, v1, v182
	v_mul_f32_e32 v182, v102, v181
	v_fma_f32 v5, v102, v180, -v5
	v_fmac_f32_e32 v182, v103, v180
	v_add_f32_e32 v4, v4, v5
	v_add_f32_e32 v1, v1, v182
	v_sub_f32_e32 v2, v2, v4
	v_sub_f32_e32 v1, v3, v1
	buffer_store_dword v2, off, s[0:3], 0 offset:152
	buffer_store_dword v1, off, s[0:3], 0 offset:156
	s_and_saveexec_b64 s[4:5], vcc
	s_cbranch_execz .LBB127_361
; %bb.360:
	buffer_load_dword v1, off, s[0:3], 0 offset:144
	buffer_load_dword v2, off, s[0:3], 0 offset:148
	v_mov_b32_e32 v3, 0
	buffer_store_dword v3, off, s[0:3], 0 offset:144
	buffer_store_dword v3, off, s[0:3], 0 offset:148
	s_waitcnt vmcnt(2)
	ds_write_b64 v249, v[1:2]
.LBB127_361:
	s_or_b64 exec, exec, s[4:5]
	s_waitcnt lgkmcnt(0)
	; wave barrier
	buffer_load_dword v94, off, s[0:3], 0 offset:156
	buffer_load_dword v95, off, s[0:3], 0 offset:164
	;; [unrolled: 1-line block ×48, first 2 shown]
	v_mov_b32_e32 v1, 0
	ds_read2_b64 v[4:7], v1 offset0:83 offset1:84
	ds_read2_b64 v[8:11], v1 offset0:85 offset1:86
	;; [unrolled: 1-line block ×7, first 2 shown]
	v_cmp_lt_u32_e32 vcc, 17, v0
	s_waitcnt vmcnt(47) lgkmcnt(6)
	v_mul_f32_e32 v32, v4, v94
	s_waitcnt vmcnt(46)
	v_mul_f32_e32 v33, v6, v95
	s_waitcnt vmcnt(45) lgkmcnt(5)
	v_mul_f32_e32 v34, v8, v96
	s_waitcnt vmcnt(44)
	v_mul_f32_e32 v35, v10, v97
	;; [unrolled: 4-line block ×6, first 2 shown]
	s_waitcnt vmcnt(35)
	v_fmac_f32_e32 v34, v9, v106
	s_waitcnt vmcnt(34)
	v_fmac_f32_e32 v33, v7, v107
	;; [unrolled: 2-line block ×3, first 2 shown]
	v_add_f32_e32 v32, 0, v32
	v_add_f32_e32 v32, v32, v33
	;; [unrolled: 1-line block ×3, first 2 shown]
	s_waitcnt vmcnt(29)
	v_fmac_f32_e32 v35, v11, v112
	v_fmac_f32_e32 v36, v13, v111
	v_add_f32_e32 v32, v32, v35
	v_fmac_f32_e32 v37, v15, v110
	v_add_f32_e32 v32, v32, v36
	;; [unrolled: 2-line block ×3, first 2 shown]
	s_waitcnt vmcnt(25)
	v_fmac_f32_e32 v39, v19, v116
	v_add_f32_e32 v32, v32, v38
	v_fmac_f32_e32 v40, v21, v115
	v_add_f32_e32 v32, v32, v39
	;; [unrolled: 2-line block ×4, first 2 shown]
	s_waitcnt vmcnt(21)
	v_fmac_f32_e32 v43, v27, v120
	v_add_f32_e32 v32, v32, v42
	v_add_f32_e32 v36, v32, v43
	ds_read2_b64 v[32:35], v1 offset0:97 offset1:98
	buffer_load_dword v142, off, s[0:3], 0 offset:336
	buffer_load_dword v143, off, s[0:3], 0 offset:340
	;; [unrolled: 1-line block ×10, first 2 shown]
	s_waitcnt vmcnt(30) lgkmcnt(1)
	v_mul_f32_e32 v37, v28, v123
	v_fmac_f32_e32 v37, v29, v119
	buffer_load_dword v152, off, s[0:3], 0 offset:376
	buffer_load_dword v153, off, s[0:3], 0 offset:380
	;; [unrolled: 1-line block ×6, first 2 shown]
	v_add_f32_e32 v36, v36, v37
	s_waitcnt vmcnt(35)
	v_mul_f32_e32 v37, v30, v124
	v_fmac_f32_e32 v37, v31, v118
	v_add_f32_e32 v36, v36, v37
	s_waitcnt vmcnt(34) lgkmcnt(0)
	v_mul_f32_e32 v37, v32, v125
	v_fmac_f32_e32 v37, v33, v117
	v_add_f32_e32 v40, v36, v37
	ds_read2_b64 v[36:39], v1 offset0:99 offset1:100
	buffer_load_dword v158, off, s[0:3], 0 offset:400
	buffer_load_dword v159, off, s[0:3], 0 offset:404
	s_waitcnt vmcnt(32)
	v_mul_f32_e32 v41, v34, v127
	v_fmac_f32_e32 v41, v35, v126
	v_add_f32_e32 v44, v40, v41
	ds_read2_b64 v[40:43], v1 offset0:101 offset1:102
	buffer_load_dword v160, off, s[0:3], 0 offset:408
	buffer_load_dword v161, off, s[0:3], 0 offset:412
	;; [unrolled: 1-line block ×14, first 2 shown]
	s_waitcnt vmcnt(44) lgkmcnt(1)
	v_mul_f32_e32 v45, v36, v129
	v_fmac_f32_e32 v45, v37, v128
	buffer_load_dword v174, off, s[0:3], 0 offset:464
	buffer_load_dword v175, off, s[0:3], 0 offset:468
	v_add_f32_e32 v44, v44, v45
	s_waitcnt vmcnt(44)
	v_mul_f32_e32 v45, v38, v131
	v_fmac_f32_e32 v45, v39, v130
	v_add_f32_e32 v44, v44, v45
	s_waitcnt vmcnt(42) lgkmcnt(0)
	v_mul_f32_e32 v45, v40, v133
	v_fmac_f32_e32 v45, v41, v132
	v_mul_f32_e32 v5, v5, v94
	v_add_f32_e32 v48, v44, v45
	ds_read2_b64 v[44:47], v1 offset0:103 offset1:104
	buffer_load_dword v176, off, s[0:3], 0 offset:472
	buffer_load_dword v177, off, s[0:3], 0 offset:476
	;; [unrolled: 1-line block ×6, first 2 shown]
	v_fma_f32 v4, v4, v108, -v5
	v_mul_f32_e32 v5, v7, v95
	v_add_f32_e32 v4, 0, v4
	v_fma_f32 v5, v6, v107, -v5
	v_add_f32_e32 v4, v4, v5
	v_mul_f32_e32 v5, v9, v96
	s_waitcnt vmcnt(46)
	v_mul_f32_e32 v49, v42, v135
	v_fma_f32 v5, v8, v106, -v5
	v_fmac_f32_e32 v49, v43, v134
	v_add_f32_e32 v4, v4, v5
	v_mul_f32_e32 v5, v11, v97
	v_add_f32_e32 v52, v48, v49
	ds_read2_b64 v[48:51], v1 offset0:105 offset1:106
	buffer_load_dword v182, off, s[0:3], 0 offset:500
	buffer_load_dword v183, off, s[0:3], 0 offset:504
	;; [unrolled: 1-line block ×4, first 2 shown]
	v_fma_f32 v5, v10, v112, -v5
	v_add_f32_e32 v4, v4, v5
	v_mul_f32_e32 v5, v13, v98
	v_fma_f32 v5, v12, v111, -v5
	v_add_f32_e32 v4, v4, v5
	v_mul_f32_e32 v5, v15, v99
	;; [unrolled: 3-line block ×8, first 2 shown]
	v_fma_f32 v5, v26, v120, -v5
	s_waitcnt vmcnt(48) lgkmcnt(1)
	v_mul_f32_e32 v53, v44, v137
	v_add_f32_e32 v4, v4, v5
	v_mul_f32_e32 v5, v29, v123
	v_fmac_f32_e32 v53, v45, v136
	v_fma_f32 v5, v28, v119, -v5
	v_add_f32_e32 v52, v52, v53
	s_waitcnt vmcnt(46)
	v_mul_f32_e32 v53, v46, v139
	v_add_f32_e32 v4, v4, v5
	v_mul_f32_e32 v5, v31, v124
	v_fmac_f32_e32 v53, v47, v138
	v_fma_f32 v5, v30, v118, -v5
	v_add_f32_e32 v52, v52, v53
	s_waitcnt vmcnt(44) lgkmcnt(0)
	v_mul_f32_e32 v53, v48, v141
	v_add_f32_e32 v4, v4, v5
	v_mul_f32_e32 v5, v33, v125
	v_fmac_f32_e32 v53, v49, v140
	v_fma_f32 v5, v32, v117, -v5
	v_add_f32_e32 v56, v52, v53
	ds_read2_b64 v[52:55], v1 offset0:107 offset1:108
	v_add_f32_e32 v4, v4, v5
	v_mul_f32_e32 v5, v35, v127
	v_fma_f32 v5, v34, v126, -v5
	s_waitcnt vmcnt(42)
	v_mul_f32_e32 v57, v50, v143
	v_add_f32_e32 v4, v4, v5
	v_mul_f32_e32 v5, v37, v129
	v_fmac_f32_e32 v57, v51, v142
	v_fma_f32 v5, v36, v128, -v5
	v_add_f32_e32 v60, v56, v57
	ds_read2_b64 v[56:59], v1 offset0:109 offset1:110
	v_add_f32_e32 v4, v4, v5
	v_mul_f32_e32 v5, v39, v131
	s_waitcnt vmcnt(40) lgkmcnt(1)
	v_mul_f32_e32 v61, v52, v145
	v_fma_f32 v5, v38, v130, -v5
	v_fmac_f32_e32 v61, v53, v144
	v_add_f32_e32 v4, v4, v5
	v_mul_f32_e32 v5, v41, v133
	v_add_f32_e32 v60, v60, v61
	s_waitcnt vmcnt(39)
	v_mul_f32_e32 v61, v54, v146
	v_fma_f32 v5, v40, v132, -v5
	s_waitcnt vmcnt(36)
	v_fmac_f32_e32 v61, v55, v149
	v_add_f32_e32 v4, v4, v5
	v_mul_f32_e32 v5, v43, v135
	v_add_f32_e32 v60, v60, v61
	s_waitcnt lgkmcnt(0)
	v_mul_f32_e32 v61, v56, v148
	v_fma_f32 v5, v42, v134, -v5
	v_fmac_f32_e32 v61, v57, v147
	v_add_f32_e32 v4, v4, v5
	v_mul_f32_e32 v5, v45, v137
	v_add_f32_e32 v64, v60, v61
	ds_read2_b64 v[60:63], v1 offset0:111 offset1:112
	v_fma_f32 v5, v44, v136, -v5
	v_add_f32_e32 v4, v4, v5
	v_mul_f32_e32 v5, v47, v139
	s_waitcnt vmcnt(34)
	v_mul_f32_e32 v65, v58, v151
	v_fma_f32 v5, v46, v138, -v5
	v_fmac_f32_e32 v65, v59, v150
	v_add_f32_e32 v4, v4, v5
	v_mul_f32_e32 v5, v49, v141
	v_add_f32_e32 v68, v64, v65
	ds_read2_b64 v[64:67], v1 offset0:113 offset1:114
	v_fma_f32 v5, v48, v140, -v5
	s_waitcnt vmcnt(32) lgkmcnt(1)
	v_mul_f32_e32 v69, v60, v153
	v_add_f32_e32 v4, v4, v5
	v_mul_f32_e32 v5, v51, v143
	v_fmac_f32_e32 v69, v61, v152
	v_fma_f32 v5, v50, v142, -v5
	v_add_f32_e32 v68, v68, v69
	s_waitcnt vmcnt(31)
	v_mul_f32_e32 v69, v62, v154
	v_add_f32_e32 v4, v4, v5
	v_mul_f32_e32 v5, v53, v145
	s_waitcnt vmcnt(28)
	v_fmac_f32_e32 v69, v63, v157
	v_fma_f32 v5, v52, v144, -v5
	v_add_f32_e32 v68, v68, v69
	s_waitcnt lgkmcnt(0)
	v_mul_f32_e32 v69, v64, v156
	v_add_f32_e32 v4, v4, v5
	v_mul_f32_e32 v5, v55, v146
	v_fmac_f32_e32 v69, v65, v155
	v_fma_f32 v5, v54, v149, -v5
	v_add_f32_e32 v72, v68, v69
	ds_read2_b64 v[68:71], v1 offset0:115 offset1:116
	v_add_f32_e32 v4, v4, v5
	v_mul_f32_e32 v5, v57, v148
	v_fma_f32 v5, v56, v147, -v5
	s_waitcnt vmcnt(26)
	v_mul_f32_e32 v73, v66, v159
	v_add_f32_e32 v4, v4, v5
	v_mul_f32_e32 v5, v59, v151
	v_fmac_f32_e32 v73, v67, v158
	v_fma_f32 v5, v58, v150, -v5
	v_add_f32_e32 v76, v72, v73
	ds_read2_b64 v[72:75], v1 offset0:117 offset1:118
	v_add_f32_e32 v4, v4, v5
	v_mul_f32_e32 v5, v61, v153
	s_waitcnt vmcnt(24) lgkmcnt(1)
	v_mul_f32_e32 v77, v68, v161
	v_fma_f32 v5, v60, v152, -v5
	v_fmac_f32_e32 v77, v69, v160
	v_add_f32_e32 v4, v4, v5
	v_mul_f32_e32 v5, v63, v154
	v_add_f32_e32 v76, v76, v77
	s_waitcnt vmcnt(23)
	v_mul_f32_e32 v77, v70, v162
	v_fma_f32 v5, v62, v157, -v5
	s_waitcnt vmcnt(20)
	v_fmac_f32_e32 v77, v71, v165
	v_add_f32_e32 v4, v4, v5
	v_mul_f32_e32 v5, v65, v156
	v_add_f32_e32 v76, v76, v77
	s_waitcnt lgkmcnt(0)
	v_mul_f32_e32 v77, v72, v164
	v_fma_f32 v5, v64, v155, -v5
	v_fmac_f32_e32 v77, v73, v163
	v_add_f32_e32 v4, v4, v5
	v_mul_f32_e32 v5, v67, v159
	v_add_f32_e32 v80, v76, v77
	ds_read2_b64 v[76:79], v1 offset0:119 offset1:120
	v_fma_f32 v5, v66, v158, -v5
	v_add_f32_e32 v4, v4, v5
	v_mul_f32_e32 v5, v69, v161
	s_waitcnt vmcnt(18)
	v_mul_f32_e32 v81, v74, v167
	v_fma_f32 v5, v68, v160, -v5
	v_fmac_f32_e32 v81, v75, v166
	v_add_f32_e32 v4, v4, v5
	v_mul_f32_e32 v5, v71, v162
	v_add_f32_e32 v84, v80, v81
	ds_read2_b64 v[80:83], v1 offset0:121 offset1:122
	v_fma_f32 v5, v70, v165, -v5
	s_waitcnt vmcnt(16) lgkmcnt(1)
	v_mul_f32_e32 v85, v76, v169
	v_add_f32_e32 v4, v4, v5
	v_mul_f32_e32 v5, v73, v164
	v_fmac_f32_e32 v85, v77, v168
	v_fma_f32 v5, v72, v163, -v5
	v_add_f32_e32 v84, v84, v85
	s_waitcnt vmcnt(15)
	v_mul_f32_e32 v85, v78, v170
	v_add_f32_e32 v4, v4, v5
	v_mul_f32_e32 v5, v75, v167
	s_waitcnt vmcnt(12)
	v_fmac_f32_e32 v85, v79, v173
	v_fma_f32 v5, v74, v166, -v5
	v_add_f32_e32 v84, v84, v85
	s_waitcnt lgkmcnt(0)
	v_mul_f32_e32 v85, v80, v172
	v_add_f32_e32 v4, v4, v5
	v_mul_f32_e32 v5, v77, v169
	v_fmac_f32_e32 v85, v81, v171
	v_fma_f32 v5, v76, v168, -v5
	v_add_f32_e32 v88, v84, v85
	ds_read2_b64 v[84:87], v1 offset0:123 offset1:124
	v_add_f32_e32 v4, v4, v5
	v_mul_f32_e32 v5, v79, v170
	v_fma_f32 v5, v78, v173, -v5
	v_add_f32_e32 v4, v4, v5
	v_mul_f32_e32 v5, v81, v172
	s_waitcnt vmcnt(10)
	v_mul_f32_e32 v89, v82, v175
	v_fma_f32 v5, v80, v171, -v5
	v_fmac_f32_e32 v89, v83, v174
	v_add_f32_e32 v4, v4, v5
	v_mul_f32_e32 v5, v83, v175
	v_add_f32_e32 v92, v88, v89
	ds_read2_b64 v[88:91], v1 offset0:125 offset1:126
	s_waitcnt vmcnt(8) lgkmcnt(1)
	v_mul_f32_e32 v93, v84, v177
	v_fma_f32 v5, v82, v174, -v5
	v_fmac_f32_e32 v93, v85, v176
	v_add_f32_e32 v4, v4, v5
	v_mul_f32_e32 v5, v85, v177
	v_add_f32_e32 v92, v92, v93
	s_waitcnt vmcnt(7)
	v_mul_f32_e32 v93, v86, v178
	v_fma_f32 v5, v84, v176, -v5
	s_waitcnt vmcnt(4)
	v_fmac_f32_e32 v93, v87, v181
	v_add_f32_e32 v4, v4, v5
	v_mul_f32_e32 v5, v87, v178
	v_add_f32_e32 v186, v92, v93
	ds_read_b64 v[92:93], v1 offset:1016
	v_fma_f32 v5, v86, v181, -v5
	v_add_f32_e32 v4, v4, v5
	s_waitcnt lgkmcnt(1)
	v_mul_f32_e32 v5, v89, v180
	v_mul_f32_e32 v187, v88, v180
	v_fma_f32 v5, v88, v179, -v5
	v_fmac_f32_e32 v187, v89, v179
	v_add_f32_e32 v4, v4, v5
	s_waitcnt vmcnt(3)
	v_mul_f32_e32 v5, v91, v182
	v_add_f32_e32 v186, v186, v187
	v_mul_f32_e32 v187, v90, v182
	s_waitcnt vmcnt(0)
	v_fma_f32 v5, v90, v185, -v5
	v_fmac_f32_e32 v187, v91, v185
	v_add_f32_e32 v4, v4, v5
	s_waitcnt lgkmcnt(0)
	v_mul_f32_e32 v5, v93, v184
	v_add_f32_e32 v186, v186, v187
	v_mul_f32_e32 v187, v92, v184
	v_fma_f32 v5, v92, v183, -v5
	v_fmac_f32_e32 v187, v93, v183
	v_add_f32_e32 v4, v4, v5
	v_add_f32_e32 v186, v186, v187
	v_sub_f32_e32 v2, v2, v4
	v_sub_f32_e32 v3, v3, v186
	buffer_store_dword v2, off, s[0:3], 0 offset:144
	buffer_store_dword v3, off, s[0:3], 0 offset:148
	s_and_saveexec_b64 s[4:5], vcc
	s_cbranch_execz .LBB127_363
; %bb.362:
	buffer_load_dword v2, off, s[0:3], 0 offset:136
	buffer_load_dword v3, off, s[0:3], 0 offset:140
	s_waitcnt vmcnt(0)
	ds_write_b64 v249, v[2:3]
	buffer_store_dword v1, off, s[0:3], 0 offset:136
	buffer_store_dword v1, off, s[0:3], 0 offset:140
.LBB127_363:
	s_or_b64 exec, exec, s[4:5]
	s_waitcnt lgkmcnt(0)
	; wave barrier
	buffer_load_dword v10, off, s[0:3], 0 offset:148
	buffer_load_dword v9, off, s[0:3], 0 offset:156
	;; [unrolled: 1-line block ×33, first 2 shown]
	ds_read_b128 v[11:14], v1 offset:656
	ds_read_b128 v[15:18], v1 offset:672
	;; [unrolled: 1-line block ×6, first 2 shown]
	buffer_load_dword v129, off, s[0:3], 0 offset:264
	buffer_load_dword v130, off, s[0:3], 0 offset:276
	;; [unrolled: 1-line block ×7, first 2 shown]
	ds_read_b128 v[35:38], v1 offset:752
	ds_read_b128 v[39:42], v1 offset:768
	buffer_load_dword v136, off, s[0:3], 0 offset:296
	buffer_load_dword v137, off, s[0:3], 0 offset:300
	;; [unrolled: 1-line block ×18, first 2 shown]
	v_cmp_lt_u32_e32 vcc, 16, v0
	s_waitcnt vmcnt(57) lgkmcnt(7)
	v_mul_f32_e32 v43, v11, v10
	s_waitcnt vmcnt(56)
	v_mul_f32_e32 v44, v13, v9
	s_waitcnt vmcnt(55) lgkmcnt(6)
	v_mul_f32_e32 v45, v15, v8
	s_waitcnt vmcnt(54)
	v_mul_f32_e32 v46, v17, v7
	;; [unrolled: 4-line block ×6, first 2 shown]
	s_waitcnt vmcnt(45)
	v_fmac_f32_e32 v45, v16, v108
	s_waitcnt vmcnt(44)
	v_fmac_f32_e32 v44, v14, v109
	;; [unrolled: 2-line block ×3, first 2 shown]
	v_add_f32_e32 v43, 0, v43
	v_add_f32_e32 v43, v43, v44
	;; [unrolled: 1-line block ×3, first 2 shown]
	s_waitcnt vmcnt(39)
	v_fmac_f32_e32 v46, v18, v114
	v_fmac_f32_e32 v47, v20, v113
	v_add_f32_e32 v43, v43, v46
	v_fmac_f32_e32 v48, v22, v112
	v_add_f32_e32 v43, v43, v47
	;; [unrolled: 2-line block ×3, first 2 shown]
	s_waitcnt vmcnt(35)
	v_fmac_f32_e32 v50, v26, v118
	v_add_f32_e32 v43, v43, v49
	v_fmac_f32_e32 v51, v28, v117
	v_add_f32_e32 v43, v43, v50
	;; [unrolled: 2-line block ×4, first 2 shown]
	s_waitcnt vmcnt(31)
	v_fmac_f32_e32 v54, v34, v124
	v_add_f32_e32 v43, v43, v53
	s_waitcnt vmcnt(30) lgkmcnt(1)
	v_mul_f32_e32 v44, v35, v125
	v_add_f32_e32 v43, v43, v54
	v_fmac_f32_e32 v44, v36, v123
	v_add_f32_e32 v43, v43, v44
	s_waitcnt vmcnt(29)
	v_mul_f32_e32 v44, v37, v126
	v_fmac_f32_e32 v44, v38, v120
	v_add_f32_e32 v43, v43, v44
	s_waitcnt vmcnt(28) lgkmcnt(0)
	v_mul_f32_e32 v44, v39, v127
	v_fmac_f32_e32 v44, v40, v119
	v_add_f32_e32 v47, v43, v44
	ds_read_b128 v[43:46], v1 offset:784
	buffer_load_dword v154, off, s[0:3], 0 offset:368
	buffer_load_dword v155, off, s[0:3], 0 offset:372
	;; [unrolled: 1-line block ×6, first 2 shown]
	s_waitcnt vmcnt(33)
	v_mul_f32_e32 v48, v41, v128
	s_waitcnt vmcnt(30)
	v_fmac_f32_e32 v48, v42, v129
	v_add_f32_e32 v51, v47, v48
	ds_read_b128 v[47:50], v1 offset:800
	buffer_load_dword v160, off, s[0:3], 0 offset:392
	buffer_load_dword v161, off, s[0:3], 0 offset:396
	;; [unrolled: 1-line block ×10, first 2 shown]
	s_waitcnt vmcnt(39) lgkmcnt(1)
	v_mul_f32_e32 v52, v43, v130
	buffer_load_dword v170, off, s[0:3], 0 offset:432
	buffer_load_dword v171, off, s[0:3], 0 offset:436
	;; [unrolled: 1-line block ×6, first 2 shown]
	s_waitcnt vmcnt(40)
	v_fmac_f32_e32 v52, v44, v135
	v_add_f32_e32 v51, v51, v52
	v_mul_f32_e32 v52, v45, v132
	v_fmac_f32_e32 v52, v46, v131
	v_add_f32_e32 v51, v51, v52
	s_waitcnt lgkmcnt(0)
	v_mul_f32_e32 v52, v47, v134
	v_fmac_f32_e32 v52, v48, v133
	v_add_f32_e32 v55, v51, v52
	ds_read_b128 v[51:54], v1 offset:816
	buffer_load_dword v176, off, s[0:3], 0 offset:456
	buffer_load_dword v177, off, s[0:3], 0 offset:460
	s_waitcnt vmcnt(40)
	v_mul_f32_e32 v56, v49, v137
	v_fmac_f32_e32 v56, v50, v136
	v_add_f32_e32 v59, v55, v56
	ds_read_b128 v[55:58], v1 offset:832
	buffer_load_dword v178, off, s[0:3], 0 offset:464
	buffer_load_dword v179, off, s[0:3], 0 offset:468
	;; [unrolled: 1-line block ×6, first 2 shown]
	v_mul_f32_e32 v10, v12, v10
	v_fma_f32 v10, v11, v110, -v10
	v_mul_f32_e32 v9, v14, v9
	v_add_f32_e32 v10, 0, v10
	v_fma_f32 v9, v13, v109, -v9
	v_mul_f32_e32 v8, v16, v8
	buffer_load_dword v184, off, s[0:3], 0 offset:488
	buffer_load_dword v185, off, s[0:3], 0 offset:492
	;; [unrolled: 1-line block ×6, first 2 shown]
	v_add_f32_e32 v9, v10, v9
	v_fma_f32 v8, v15, v108, -v8
	v_mul_f32_e32 v7, v18, v7
	v_add_f32_e32 v8, v9, v8
	v_fma_f32 v7, v17, v114, -v7
	v_mul_f32_e32 v6, v20, v6
	;; [unrolled: 3-line block ×4, first 2 shown]
	v_add_f32_e32 v5, v6, v5
	v_fma_f32 v4, v23, v111, -v4
	v_add_f32_e32 v4, v5, v4
	v_mul_f32_e32 v5, v26, v103
	v_fma_f32 v5, v25, v118, -v5
	v_add_f32_e32 v4, v4, v5
	v_mul_f32_e32 v5, v28, v104
	;; [unrolled: 3-line block ×5, first 2 shown]
	v_fma_f32 v5, v33, v124, -v5
	s_waitcnt vmcnt(50) lgkmcnt(1)
	v_mul_f32_e32 v60, v51, v139
	v_add_f32_e32 v4, v4, v5
	v_mul_f32_e32 v5, v36, v125
	v_fmac_f32_e32 v60, v52, v138
	v_fma_f32 v5, v35, v123, -v5
	v_add_f32_e32 v59, v59, v60
	s_waitcnt vmcnt(48)
	v_mul_f32_e32 v60, v53, v141
	v_add_f32_e32 v4, v4, v5
	v_mul_f32_e32 v5, v38, v126
	v_fmac_f32_e32 v60, v54, v140
	v_fma_f32 v5, v37, v120, -v5
	v_add_f32_e32 v59, v59, v60
	s_waitcnt vmcnt(46) lgkmcnt(0)
	v_mul_f32_e32 v60, v55, v143
	v_add_f32_e32 v4, v4, v5
	v_mul_f32_e32 v5, v40, v127
	v_fmac_f32_e32 v60, v56, v142
	v_fma_f32 v5, v39, v119, -v5
	v_add_f32_e32 v63, v59, v60
	ds_read_b128 v[59:62], v1 offset:848
	v_add_f32_e32 v4, v4, v5
	v_mul_f32_e32 v5, v42, v128
	v_fma_f32 v5, v41, v129, -v5
	s_waitcnt vmcnt(44)
	v_mul_f32_e32 v64, v57, v145
	v_add_f32_e32 v4, v4, v5
	v_mul_f32_e32 v5, v44, v130
	v_fmac_f32_e32 v64, v58, v144
	v_fma_f32 v5, v43, v135, -v5
	v_add_f32_e32 v67, v63, v64
	ds_read_b128 v[63:66], v1 offset:864
	v_add_f32_e32 v4, v4, v5
	v_mul_f32_e32 v5, v46, v132
	s_waitcnt vmcnt(42) lgkmcnt(1)
	v_mul_f32_e32 v68, v59, v147
	v_fma_f32 v5, v45, v131, -v5
	v_fmac_f32_e32 v68, v60, v146
	v_add_f32_e32 v4, v4, v5
	v_mul_f32_e32 v5, v48, v134
	v_add_f32_e32 v67, v67, v68
	s_waitcnt vmcnt(41)
	v_mul_f32_e32 v68, v61, v148
	v_fma_f32 v5, v47, v133, -v5
	s_waitcnt vmcnt(38)
	v_fmac_f32_e32 v68, v62, v151
	v_add_f32_e32 v4, v4, v5
	v_mul_f32_e32 v5, v50, v137
	v_add_f32_e32 v67, v67, v68
	s_waitcnt lgkmcnt(0)
	v_mul_f32_e32 v68, v63, v150
	v_fma_f32 v5, v49, v136, -v5
	v_fmac_f32_e32 v68, v64, v149
	v_add_f32_e32 v4, v4, v5
	v_mul_f32_e32 v5, v52, v139
	v_add_f32_e32 v71, v67, v68
	ds_read_b128 v[67:70], v1 offset:880
	v_fma_f32 v5, v51, v138, -v5
	v_add_f32_e32 v4, v4, v5
	v_mul_f32_e32 v5, v54, v141
	s_waitcnt vmcnt(36)
	v_mul_f32_e32 v72, v65, v153
	v_fma_f32 v5, v53, v140, -v5
	v_fmac_f32_e32 v72, v66, v152
	v_add_f32_e32 v4, v4, v5
	v_mul_f32_e32 v5, v56, v143
	v_add_f32_e32 v75, v71, v72
	ds_read_b128 v[71:74], v1 offset:896
	v_fma_f32 v5, v55, v142, -v5
	s_waitcnt vmcnt(34) lgkmcnt(1)
	v_mul_f32_e32 v76, v67, v155
	v_add_f32_e32 v4, v4, v5
	v_mul_f32_e32 v5, v58, v145
	v_fmac_f32_e32 v76, v68, v154
	v_fma_f32 v5, v57, v144, -v5
	v_add_f32_e32 v75, v75, v76
	s_waitcnt vmcnt(33)
	v_mul_f32_e32 v76, v69, v156
	v_add_f32_e32 v4, v4, v5
	v_mul_f32_e32 v5, v60, v147
	s_waitcnt vmcnt(30)
	v_fmac_f32_e32 v76, v70, v159
	v_fma_f32 v5, v59, v146, -v5
	v_add_f32_e32 v75, v75, v76
	s_waitcnt lgkmcnt(0)
	v_mul_f32_e32 v76, v71, v158
	v_add_f32_e32 v4, v4, v5
	v_mul_f32_e32 v5, v62, v148
	v_fmac_f32_e32 v76, v72, v157
	v_fma_f32 v5, v61, v151, -v5
	v_add_f32_e32 v79, v75, v76
	ds_read_b128 v[75:78], v1 offset:912
	v_add_f32_e32 v4, v4, v5
	v_mul_f32_e32 v5, v64, v150
	v_fma_f32 v5, v63, v149, -v5
	s_waitcnt vmcnt(28)
	v_mul_f32_e32 v80, v73, v161
	v_add_f32_e32 v4, v4, v5
	v_mul_f32_e32 v5, v66, v153
	v_fmac_f32_e32 v80, v74, v160
	v_fma_f32 v5, v65, v152, -v5
	v_add_f32_e32 v83, v79, v80
	ds_read_b128 v[79:82], v1 offset:928
	v_add_f32_e32 v4, v4, v5
	v_mul_f32_e32 v5, v68, v155
	s_waitcnt vmcnt(26) lgkmcnt(1)
	v_mul_f32_e32 v84, v75, v163
	v_fma_f32 v5, v67, v154, -v5
	v_fmac_f32_e32 v84, v76, v162
	v_add_f32_e32 v4, v4, v5
	v_mul_f32_e32 v5, v70, v156
	v_add_f32_e32 v83, v83, v84
	s_waitcnt vmcnt(25)
	v_mul_f32_e32 v84, v77, v164
	v_fma_f32 v5, v69, v159, -v5
	s_waitcnt vmcnt(22)
	v_fmac_f32_e32 v84, v78, v167
	v_add_f32_e32 v4, v4, v5
	v_mul_f32_e32 v5, v72, v158
	v_add_f32_e32 v83, v83, v84
	s_waitcnt lgkmcnt(0)
	v_mul_f32_e32 v84, v79, v166
	v_fma_f32 v5, v71, v157, -v5
	v_fmac_f32_e32 v84, v80, v165
	v_add_f32_e32 v4, v4, v5
	v_mul_f32_e32 v5, v74, v161
	v_add_f32_e32 v87, v83, v84
	ds_read_b128 v[83:86], v1 offset:944
	v_fma_f32 v5, v73, v160, -v5
	v_add_f32_e32 v4, v4, v5
	v_mul_f32_e32 v5, v76, v163
	s_waitcnt vmcnt(20)
	v_mul_f32_e32 v88, v81, v169
	v_fma_f32 v5, v75, v162, -v5
	v_fmac_f32_e32 v88, v82, v168
	v_add_f32_e32 v4, v4, v5
	v_mul_f32_e32 v5, v78, v164
	v_add_f32_e32 v91, v87, v88
	ds_read_b128 v[87:90], v1 offset:960
	v_fma_f32 v5, v77, v167, -v5
	s_waitcnt vmcnt(18) lgkmcnt(1)
	v_mul_f32_e32 v92, v83, v171
	v_add_f32_e32 v4, v4, v5
	v_mul_f32_e32 v5, v80, v166
	v_fmac_f32_e32 v92, v84, v170
	v_fma_f32 v5, v79, v165, -v5
	v_add_f32_e32 v91, v91, v92
	s_waitcnt vmcnt(17)
	v_mul_f32_e32 v92, v85, v172
	v_add_f32_e32 v4, v4, v5
	v_mul_f32_e32 v5, v82, v169
	s_waitcnt vmcnt(14)
	v_fmac_f32_e32 v92, v86, v175
	v_fma_f32 v5, v81, v168, -v5
	v_add_f32_e32 v91, v91, v92
	s_waitcnt lgkmcnt(0)
	v_mul_f32_e32 v92, v87, v174
	v_add_f32_e32 v4, v4, v5
	v_mul_f32_e32 v5, v84, v171
	v_fmac_f32_e32 v92, v88, v173
	v_fma_f32 v5, v83, v170, -v5
	v_add_f32_e32 v95, v91, v92
	ds_read_b128 v[91:94], v1 offset:976
	v_add_f32_e32 v4, v4, v5
	v_mul_f32_e32 v5, v86, v172
	v_fma_f32 v5, v85, v175, -v5
	v_add_f32_e32 v4, v4, v5
	v_mul_f32_e32 v5, v88, v174
	s_waitcnt vmcnt(12)
	v_mul_f32_e32 v96, v89, v177
	v_fma_f32 v5, v87, v173, -v5
	v_fmac_f32_e32 v96, v90, v176
	v_add_f32_e32 v4, v4, v5
	v_mul_f32_e32 v5, v90, v177
	v_add_f32_e32 v99, v95, v96
	ds_read_b128 v[95:98], v1 offset:992
	s_waitcnt vmcnt(10) lgkmcnt(1)
	v_mul_f32_e32 v100, v91, v179
	v_fma_f32 v5, v89, v176, -v5
	v_fmac_f32_e32 v100, v92, v178
	v_add_f32_e32 v4, v4, v5
	v_mul_f32_e32 v5, v92, v179
	v_add_f32_e32 v99, v99, v100
	s_waitcnt vmcnt(9)
	v_mul_f32_e32 v100, v93, v180
	v_fma_f32 v5, v91, v178, -v5
	s_waitcnt vmcnt(6)
	v_fmac_f32_e32 v100, v94, v183
	v_add_f32_e32 v4, v4, v5
	v_mul_f32_e32 v5, v94, v180
	v_add_f32_e32 v190, v99, v100
	ds_read_b128 v[99:102], v1 offset:1008
	v_fma_f32 v5, v93, v183, -v5
	v_add_f32_e32 v4, v4, v5
	s_waitcnt lgkmcnt(1)
	v_mul_f32_e32 v5, v96, v182
	v_mul_f32_e32 v191, v95, v182
	v_fma_f32 v5, v95, v181, -v5
	v_fmac_f32_e32 v191, v96, v181
	v_add_f32_e32 v4, v4, v5
	s_waitcnt vmcnt(4)
	v_mul_f32_e32 v5, v98, v185
	v_add_f32_e32 v1, v190, v191
	v_mul_f32_e32 v190, v97, v185
	v_fma_f32 v5, v97, v184, -v5
	v_fmac_f32_e32 v190, v98, v184
	v_add_f32_e32 v4, v4, v5
	s_waitcnt vmcnt(3) lgkmcnt(0)
	v_mul_f32_e32 v5, v100, v186
	v_add_f32_e32 v1, v1, v190
	v_mul_f32_e32 v190, v99, v186
	s_waitcnt vmcnt(0)
	v_fma_f32 v5, v99, v189, -v5
	v_fmac_f32_e32 v190, v100, v189
	v_add_f32_e32 v4, v4, v5
	v_mul_f32_e32 v5, v102, v188
	v_add_f32_e32 v1, v1, v190
	v_mul_f32_e32 v190, v101, v188
	v_fma_f32 v5, v101, v187, -v5
	v_fmac_f32_e32 v190, v102, v187
	v_add_f32_e32 v4, v4, v5
	v_add_f32_e32 v1, v1, v190
	v_sub_f32_e32 v2, v2, v4
	v_sub_f32_e32 v1, v3, v1
	buffer_store_dword v2, off, s[0:3], 0 offset:136
	buffer_store_dword v1, off, s[0:3], 0 offset:140
	s_and_saveexec_b64 s[4:5], vcc
	s_cbranch_execz .LBB127_365
; %bb.364:
	buffer_load_dword v1, off, s[0:3], 0 offset:128
	buffer_load_dword v2, off, s[0:3], 0 offset:132
	v_mov_b32_e32 v3, 0
	buffer_store_dword v3, off, s[0:3], 0 offset:128
	buffer_store_dword v3, off, s[0:3], 0 offset:132
	s_waitcnt vmcnt(2)
	ds_write_b64 v249, v[1:2]
.LBB127_365:
	s_or_b64 exec, exec, s[4:5]
	s_waitcnt lgkmcnt(0)
	; wave barrier
	buffer_load_dword v8, off, s[0:3], 0 offset:140
	buffer_load_dword v7, off, s[0:3], 0 offset:148
	buffer_load_dword v6, off, s[0:3], 0 offset:156
	buffer_load_dword v5, off, s[0:3], 0 offset:164
	buffer_load_dword v4, off, s[0:3], 0 offset:172
	buffer_load_dword v3, off, s[0:3], 0 offset:180
	buffer_load_dword v2, off, s[0:3], 0 offset:188
	buffer_load_dword v105, off, s[0:3], 0 offset:196
	buffer_load_dword v106, off, s[0:3], 0 offset:204
	buffer_load_dword v107, off, s[0:3], 0 offset:212
	buffer_load_dword v108, off, s[0:3], 0 offset:220
	buffer_load_dword v109, off, s[0:3], 0 offset:228
	buffer_load_dword v110, off, s[0:3], 0 offset:152
	buffer_load_dword v111, off, s[0:3], 0 offset:144
	buffer_load_dword v112, off, s[0:3], 0 offset:136
	buffer_load_dword v113, off, s[0:3], 0 offset:184
	buffer_load_dword v114, off, s[0:3], 0 offset:176
	buffer_load_dword v115, off, s[0:3], 0 offset:168
	buffer_load_dword v116, off, s[0:3], 0 offset:160
	buffer_load_dword v117, off, s[0:3], 0 offset:216
	buffer_load_dword v118, off, s[0:3], 0 offset:208
	buffer_load_dword v119, off, s[0:3], 0 offset:200
	buffer_load_dword v120, off, s[0:3], 0 offset:192
	buffer_load_dword v123, off, s[0:3], 0 offset:248
	buffer_load_dword v124, off, s[0:3], 0 offset:240
	buffer_load_dword v125, off, s[0:3], 0 offset:232
	buffer_load_dword v126, off, s[0:3], 0 offset:224
	buffer_load_dword v127, off, s[0:3], 0 offset:236
	buffer_load_dword v128, off, s[0:3], 0 offset:244
	buffer_load_dword v129, off, s[0:3], 0 offset:252
	buffer_load_dword v130, off, s[0:3], 0 offset:260
	buffer_load_dword v131, off, s[0:3], 0 offset:264
	buffer_load_dword v132, off, s[0:3], 0 offset:268
	buffer_load_dword v133, off, s[0:3], 0 offset:272
	buffer_load_dword v134, off, s[0:3], 0 offset:276
	buffer_load_dword v135, off, s[0:3], 0 offset:280
	buffer_load_dword v136, off, s[0:3], 0 offset:284
	buffer_load_dword v137, off, s[0:3], 0 offset:256
	buffer_load_dword v9, off, s[0:3], 0 offset:128
	buffer_load_dword v10, off, s[0:3], 0 offset:132
	buffer_load_dword v138, off, s[0:3], 0 offset:288
	buffer_load_dword v139, off, s[0:3], 0 offset:292
	buffer_load_dword v140, off, s[0:3], 0 offset:296
	buffer_load_dword v141, off, s[0:3], 0 offset:300
	buffer_load_dword v142, off, s[0:3], 0 offset:304
	buffer_load_dword v143, off, s[0:3], 0 offset:308
	buffer_load_dword v144, off, s[0:3], 0 offset:312
	buffer_load_dword v145, off, s[0:3], 0 offset:316
	v_mov_b32_e32 v1, 0
	ds_read2_b64 v[11:14], v1 offset0:81 offset1:82
	ds_read2_b64 v[15:18], v1 offset0:83 offset1:84
	ds_read2_b64 v[19:22], v1 offset0:85 offset1:86
	ds_read2_b64 v[23:26], v1 offset0:87 offset1:88
	ds_read2_b64 v[27:30], v1 offset0:89 offset1:90
	ds_read2_b64 v[31:34], v1 offset0:91 offset1:92
	ds_read2_b64 v[35:38], v1 offset0:93 offset1:94
	v_cmp_lt_u32_e32 vcc, 15, v0
	s_waitcnt vmcnt(47) lgkmcnt(6)
	v_mul_f32_e32 v39, v11, v8
	s_waitcnt vmcnt(46)
	v_mul_f32_e32 v40, v13, v7
	s_waitcnt vmcnt(45) lgkmcnt(5)
	v_mul_f32_e32 v41, v15, v6
	s_waitcnt vmcnt(44)
	v_mul_f32_e32 v42, v17, v5
	;; [unrolled: 4-line block ×6, first 2 shown]
	s_waitcnt vmcnt(35)
	v_fmac_f32_e32 v41, v16, v110
	s_waitcnt vmcnt(34)
	v_fmac_f32_e32 v40, v14, v111
	;; [unrolled: 2-line block ×3, first 2 shown]
	v_add_f32_e32 v39, 0, v39
	v_add_f32_e32 v39, v39, v40
	;; [unrolled: 1-line block ×3, first 2 shown]
	s_waitcnt vmcnt(29)
	v_fmac_f32_e32 v42, v18, v116
	v_fmac_f32_e32 v43, v20, v115
	v_add_f32_e32 v39, v39, v42
	v_fmac_f32_e32 v44, v22, v114
	v_add_f32_e32 v39, v39, v43
	;; [unrolled: 2-line block ×3, first 2 shown]
	s_waitcnt vmcnt(25)
	v_fmac_f32_e32 v46, v26, v120
	v_add_f32_e32 v39, v39, v45
	v_fmac_f32_e32 v47, v28, v119
	v_add_f32_e32 v39, v39, v46
	v_fmac_f32_e32 v48, v30, v118
	v_add_f32_e32 v39, v39, v47
	v_fmac_f32_e32 v49, v32, v117
	v_add_f32_e32 v39, v39, v48
	s_waitcnt vmcnt(21)
	v_fmac_f32_e32 v50, v34, v126
	v_add_f32_e32 v39, v39, v49
	v_add_f32_e32 v43, v39, v50
	ds_read2_b64 v[39:42], v1 offset0:95 offset1:96
	buffer_load_dword v146, off, s[0:3], 0 offset:320
	buffer_load_dword v147, off, s[0:3], 0 offset:324
	;; [unrolled: 1-line block ×8, first 2 shown]
	s_waitcnt vmcnt(28) lgkmcnt(1)
	v_mul_f32_e32 v44, v35, v127
	buffer_load_dword v154, off, s[0:3], 0 offset:352
	buffer_load_dword v155, off, s[0:3], 0 offset:356
	v_fmac_f32_e32 v44, v36, v125
	v_add_f32_e32 v43, v43, v44
	s_waitcnt vmcnt(29)
	v_mul_f32_e32 v44, v37, v128
	v_fmac_f32_e32 v44, v38, v124
	v_add_f32_e32 v43, v43, v44
	s_waitcnt vmcnt(28) lgkmcnt(0)
	v_mul_f32_e32 v44, v39, v129
	v_fmac_f32_e32 v44, v40, v123
	v_add_f32_e32 v47, v43, v44
	ds_read2_b64 v[43:46], v1 offset0:97 offset1:98
	buffer_load_dword v156, off, s[0:3], 0 offset:360
	buffer_load_dword v157, off, s[0:3], 0 offset:364
	;; [unrolled: 1-line block ×6, first 2 shown]
	s_waitcnt vmcnt(33)
	v_mul_f32_e32 v48, v41, v130
	s_waitcnt vmcnt(26)
	v_fmac_f32_e32 v48, v42, v137
	v_add_f32_e32 v51, v47, v48
	ds_read2_b64 v[47:50], v1 offset0:99 offset1:100
	buffer_load_dword v162, off, s[0:3], 0 offset:384
	buffer_load_dword v163, off, s[0:3], 0 offset:388
	;; [unrolled: 1-line block ×8, first 2 shown]
	s_waitcnt lgkmcnt(1)
	v_mul_f32_e32 v52, v43, v132
	buffer_load_dword v170, off, s[0:3], 0 offset:416
	buffer_load_dword v171, off, s[0:3], 0 offset:420
	v_fmac_f32_e32 v52, v44, v131
	v_add_f32_e32 v51, v51, v52
	v_mul_f32_e32 v52, v45, v134
	v_fmac_f32_e32 v52, v46, v133
	v_add_f32_e32 v51, v51, v52
	s_waitcnt lgkmcnt(0)
	v_mul_f32_e32 v52, v47, v136
	v_fmac_f32_e32 v52, v48, v135
	v_add_f32_e32 v55, v51, v52
	ds_read2_b64 v[51:54], v1 offset0:101 offset1:102
	buffer_load_dword v172, off, s[0:3], 0 offset:424
	buffer_load_dword v173, off, s[0:3], 0 offset:428
	buffer_load_dword v174, off, s[0:3], 0 offset:436
	buffer_load_dword v175, off, s[0:3], 0 offset:440
	buffer_load_dword v176, off, s[0:3], 0 offset:444
	buffer_load_dword v177, off, s[0:3], 0 offset:432
	s_waitcnt vmcnt(38)
	v_mul_f32_e32 v56, v49, v139
	v_fmac_f32_e32 v56, v50, v138
	v_add_f32_e32 v59, v55, v56
	ds_read2_b64 v[55:58], v1 offset0:103 offset1:104
	buffer_load_dword v178, off, s[0:3], 0 offset:448
	buffer_load_dword v179, off, s[0:3], 0 offset:452
	;; [unrolled: 1-line block ×10, first 2 shown]
	v_mul_f32_e32 v8, v12, v8
	v_fma_f32 v8, v11, v112, -v8
	v_mul_f32_e32 v7, v14, v7
	v_add_f32_e32 v8, 0, v8
	v_fma_f32 v7, v13, v111, -v7
	v_mul_f32_e32 v6, v16, v6
	v_add_f32_e32 v7, v8, v7
	;; [unrolled: 3-line block ×3, first 2 shown]
	v_fma_f32 v5, v17, v116, -v5
	v_mul_f32_e32 v4, v20, v4
	buffer_load_dword v188, off, s[0:3], 0 offset:488
	buffer_load_dword v189, off, s[0:3], 0 offset:492
	;; [unrolled: 1-line block ×6, first 2 shown]
	v_add_f32_e32 v5, v6, v5
	v_fma_f32 v4, v19, v115, -v4
	v_mul_f32_e32 v3, v22, v3
	v_add_f32_e32 v4, v5, v4
	v_fma_f32 v3, v21, v114, -v3
	v_mul_f32_e32 v2, v24, v2
	v_add_f32_e32 v3, v4, v3
	v_fma_f32 v2, v23, v113, -v2
	v_add_f32_e32 v2, v3, v2
	v_mul_f32_e32 v3, v26, v105
	v_fma_f32 v3, v25, v120, -v3
	v_add_f32_e32 v2, v2, v3
	v_mul_f32_e32 v3, v28, v106
	;; [unrolled: 3-line block ×4, first 2 shown]
	v_fma_f32 v3, v31, v117, -v3
	s_waitcnt vmcnt(52) lgkmcnt(1)
	v_mul_f32_e32 v60, v51, v141
	v_add_f32_e32 v2, v2, v3
	v_mul_f32_e32 v3, v34, v109
	v_fmac_f32_e32 v60, v52, v140
	v_fma_f32 v3, v33, v126, -v3
	v_add_f32_e32 v59, v59, v60
	s_waitcnt vmcnt(50)
	v_mul_f32_e32 v60, v53, v143
	v_add_f32_e32 v2, v2, v3
	v_mul_f32_e32 v3, v36, v127
	v_fmac_f32_e32 v60, v54, v142
	v_fma_f32 v3, v35, v125, -v3
	v_add_f32_e32 v59, v59, v60
	s_waitcnt vmcnt(48) lgkmcnt(0)
	v_mul_f32_e32 v60, v55, v145
	v_add_f32_e32 v2, v2, v3
	v_mul_f32_e32 v3, v38, v128
	v_fmac_f32_e32 v60, v56, v144
	v_fma_f32 v3, v37, v124, -v3
	v_add_f32_e32 v63, v59, v60
	ds_read2_b64 v[59:62], v1 offset0:105 offset1:106
	v_add_f32_e32 v2, v2, v3
	v_mul_f32_e32 v3, v40, v129
	v_fma_f32 v3, v39, v123, -v3
	s_waitcnt vmcnt(46)
	v_mul_f32_e32 v64, v57, v147
	v_add_f32_e32 v2, v2, v3
	v_mul_f32_e32 v3, v42, v130
	v_fmac_f32_e32 v64, v58, v146
	v_fma_f32 v3, v41, v137, -v3
	v_add_f32_e32 v67, v63, v64
	ds_read2_b64 v[63:66], v1 offset0:107 offset1:108
	v_add_f32_e32 v2, v2, v3
	v_mul_f32_e32 v3, v44, v132
	s_waitcnt vmcnt(44) lgkmcnt(1)
	v_mul_f32_e32 v68, v59, v149
	v_fma_f32 v3, v43, v131, -v3
	v_fmac_f32_e32 v68, v60, v148
	v_add_f32_e32 v2, v2, v3
	v_mul_f32_e32 v3, v46, v134
	v_add_f32_e32 v67, v67, v68
	s_waitcnt vmcnt(43)
	v_mul_f32_e32 v68, v61, v150
	v_fma_f32 v3, v45, v133, -v3
	s_waitcnt vmcnt(40)
	v_fmac_f32_e32 v68, v62, v153
	v_add_f32_e32 v2, v2, v3
	v_mul_f32_e32 v3, v48, v136
	v_add_f32_e32 v67, v67, v68
	s_waitcnt lgkmcnt(0)
	v_mul_f32_e32 v68, v63, v152
	v_fma_f32 v3, v47, v135, -v3
	v_fmac_f32_e32 v68, v64, v151
	v_add_f32_e32 v2, v2, v3
	v_mul_f32_e32 v3, v50, v139
	v_add_f32_e32 v71, v67, v68
	ds_read2_b64 v[67:70], v1 offset0:109 offset1:110
	v_fma_f32 v3, v49, v138, -v3
	v_add_f32_e32 v2, v2, v3
	v_mul_f32_e32 v3, v52, v141
	s_waitcnt vmcnt(38)
	v_mul_f32_e32 v72, v65, v155
	v_fma_f32 v3, v51, v140, -v3
	v_fmac_f32_e32 v72, v66, v154
	v_add_f32_e32 v2, v2, v3
	v_mul_f32_e32 v3, v54, v143
	v_add_f32_e32 v75, v71, v72
	ds_read2_b64 v[71:74], v1 offset0:111 offset1:112
	v_fma_f32 v3, v53, v142, -v3
	s_waitcnt vmcnt(36) lgkmcnt(1)
	v_mul_f32_e32 v76, v67, v157
	v_add_f32_e32 v2, v2, v3
	v_mul_f32_e32 v3, v56, v145
	v_fmac_f32_e32 v76, v68, v156
	v_fma_f32 v3, v55, v144, -v3
	v_add_f32_e32 v75, v75, v76
	s_waitcnt vmcnt(35)
	v_mul_f32_e32 v76, v69, v158
	v_add_f32_e32 v2, v2, v3
	v_mul_f32_e32 v3, v58, v147
	s_waitcnt vmcnt(32)
	v_fmac_f32_e32 v76, v70, v161
	v_fma_f32 v3, v57, v146, -v3
	v_add_f32_e32 v75, v75, v76
	s_waitcnt lgkmcnt(0)
	v_mul_f32_e32 v76, v71, v160
	v_add_f32_e32 v2, v2, v3
	v_mul_f32_e32 v3, v60, v149
	v_fmac_f32_e32 v76, v72, v159
	v_fma_f32 v3, v59, v148, -v3
	v_add_f32_e32 v79, v75, v76
	ds_read2_b64 v[75:78], v1 offset0:113 offset1:114
	v_add_f32_e32 v2, v2, v3
	v_mul_f32_e32 v3, v62, v150
	v_fma_f32 v3, v61, v153, -v3
	s_waitcnt vmcnt(30)
	v_mul_f32_e32 v80, v73, v163
	v_add_f32_e32 v2, v2, v3
	v_mul_f32_e32 v3, v64, v152
	v_fmac_f32_e32 v80, v74, v162
	v_fma_f32 v3, v63, v151, -v3
	v_add_f32_e32 v83, v79, v80
	ds_read2_b64 v[79:82], v1 offset0:115 offset1:116
	v_add_f32_e32 v2, v2, v3
	v_mul_f32_e32 v3, v66, v155
	s_waitcnt vmcnt(28) lgkmcnt(1)
	v_mul_f32_e32 v84, v75, v165
	v_fma_f32 v3, v65, v154, -v3
	v_fmac_f32_e32 v84, v76, v164
	v_add_f32_e32 v2, v2, v3
	v_mul_f32_e32 v3, v68, v157
	v_add_f32_e32 v83, v83, v84
	s_waitcnt vmcnt(27)
	v_mul_f32_e32 v84, v77, v166
	v_fma_f32 v3, v67, v156, -v3
	s_waitcnt vmcnt(24)
	v_fmac_f32_e32 v84, v78, v169
	v_add_f32_e32 v2, v2, v3
	v_mul_f32_e32 v3, v70, v158
	v_add_f32_e32 v83, v83, v84
	s_waitcnt lgkmcnt(0)
	v_mul_f32_e32 v84, v79, v168
	v_fma_f32 v3, v69, v161, -v3
	v_fmac_f32_e32 v84, v80, v167
	v_add_f32_e32 v2, v2, v3
	v_mul_f32_e32 v3, v72, v160
	v_add_f32_e32 v87, v83, v84
	ds_read2_b64 v[83:86], v1 offset0:117 offset1:118
	v_fma_f32 v3, v71, v159, -v3
	v_add_f32_e32 v2, v2, v3
	v_mul_f32_e32 v3, v74, v163
	s_waitcnt vmcnt(22)
	v_mul_f32_e32 v88, v81, v171
	v_fma_f32 v3, v73, v162, -v3
	v_fmac_f32_e32 v88, v82, v170
	v_add_f32_e32 v2, v2, v3
	v_mul_f32_e32 v3, v76, v165
	v_add_f32_e32 v91, v87, v88
	ds_read2_b64 v[87:90], v1 offset0:119 offset1:120
	v_fma_f32 v3, v75, v164, -v3
	s_waitcnt vmcnt(20) lgkmcnt(1)
	v_mul_f32_e32 v92, v83, v173
	v_add_f32_e32 v2, v2, v3
	v_mul_f32_e32 v3, v78, v166
	v_fmac_f32_e32 v92, v84, v172
	v_fma_f32 v3, v77, v169, -v3
	v_add_f32_e32 v91, v91, v92
	s_waitcnt vmcnt(19)
	v_mul_f32_e32 v92, v85, v174
	v_add_f32_e32 v2, v2, v3
	v_mul_f32_e32 v3, v80, v168
	s_waitcnt vmcnt(16)
	v_fmac_f32_e32 v92, v86, v177
	v_fma_f32 v3, v79, v167, -v3
	v_add_f32_e32 v91, v91, v92
	s_waitcnt lgkmcnt(0)
	v_mul_f32_e32 v92, v87, v176
	v_add_f32_e32 v2, v2, v3
	v_mul_f32_e32 v3, v82, v171
	v_fmac_f32_e32 v92, v88, v175
	v_fma_f32 v3, v81, v170, -v3
	v_add_f32_e32 v95, v91, v92
	ds_read2_b64 v[91:94], v1 offset0:121 offset1:122
	v_add_f32_e32 v2, v2, v3
	v_mul_f32_e32 v3, v84, v173
	v_fma_f32 v3, v83, v172, -v3
	s_waitcnt vmcnt(14)
	v_mul_f32_e32 v96, v89, v179
	v_add_f32_e32 v2, v2, v3
	v_mul_f32_e32 v3, v86, v174
	v_fmac_f32_e32 v96, v90, v178
	v_fma_f32 v3, v85, v177, -v3
	v_add_f32_e32 v99, v95, v96
	ds_read2_b64 v[95:98], v1 offset0:123 offset1:124
	v_add_f32_e32 v2, v2, v3
	v_mul_f32_e32 v3, v88, v176
	s_waitcnt vmcnt(12) lgkmcnt(1)
	v_mul_f32_e32 v100, v91, v181
	v_fma_f32 v3, v87, v175, -v3
	v_fmac_f32_e32 v100, v92, v180
	v_add_f32_e32 v2, v2, v3
	v_mul_f32_e32 v3, v90, v179
	v_add_f32_e32 v99, v99, v100
	s_waitcnt vmcnt(11)
	v_mul_f32_e32 v100, v93, v182
	v_fma_f32 v3, v89, v178, -v3
	s_waitcnt vmcnt(8)
	v_fmac_f32_e32 v100, v94, v185
	v_add_f32_e32 v2, v2, v3
	v_mul_f32_e32 v3, v92, v181
	v_add_f32_e32 v99, v99, v100
	s_waitcnt lgkmcnt(0)
	v_mul_f32_e32 v100, v95, v184
	v_fma_f32 v3, v91, v180, -v3
	v_fmac_f32_e32 v100, v96, v183
	v_add_f32_e32 v2, v2, v3
	v_mul_f32_e32 v3, v94, v182
	v_add_f32_e32 v103, v99, v100
	ds_read2_b64 v[99:102], v1 offset0:125 offset1:126
	v_fma_f32 v3, v93, v185, -v3
	v_add_f32_e32 v2, v2, v3
	v_mul_f32_e32 v3, v96, v184
	s_waitcnt vmcnt(6)
	v_mul_f32_e32 v104, v97, v187
	v_fma_f32 v3, v95, v183, -v3
	v_fmac_f32_e32 v104, v98, v186
	v_add_f32_e32 v2, v2, v3
	v_mul_f32_e32 v3, v98, v187
	v_add_f32_e32 v194, v103, v104
	ds_read_b64 v[103:104], v1 offset:1016
	v_fma_f32 v3, v97, v186, -v3
	v_add_f32_e32 v2, v2, v3
	s_waitcnt vmcnt(4) lgkmcnt(1)
	v_mul_f32_e32 v3, v100, v189
	v_mul_f32_e32 v195, v99, v189
	v_fma_f32 v3, v99, v188, -v3
	v_fmac_f32_e32 v195, v100, v188
	v_add_f32_e32 v2, v2, v3
	s_waitcnt vmcnt(3)
	v_mul_f32_e32 v3, v102, v190
	v_add_f32_e32 v194, v194, v195
	v_mul_f32_e32 v195, v101, v190
	s_waitcnt vmcnt(0)
	v_fma_f32 v3, v101, v193, -v3
	v_fmac_f32_e32 v195, v102, v193
	v_add_f32_e32 v2, v2, v3
	s_waitcnt lgkmcnt(0)
	v_mul_f32_e32 v3, v104, v192
	v_add_f32_e32 v194, v194, v195
	v_mul_f32_e32 v195, v103, v192
	v_fma_f32 v3, v103, v191, -v3
	v_fmac_f32_e32 v195, v104, v191
	v_add_f32_e32 v2, v2, v3
	v_add_f32_e32 v194, v194, v195
	v_sub_f32_e32 v2, v9, v2
	v_sub_f32_e32 v3, v10, v194
	buffer_store_dword v2, off, s[0:3], 0 offset:128
	buffer_store_dword v3, off, s[0:3], 0 offset:132
	s_and_saveexec_b64 s[4:5], vcc
	s_cbranch_execz .LBB127_367
; %bb.366:
	buffer_load_dword v2, off, s[0:3], 0 offset:120
	buffer_load_dword v3, off, s[0:3], 0 offset:124
	s_waitcnt vmcnt(0)
	ds_write_b64 v249, v[2:3]
	buffer_store_dword v1, off, s[0:3], 0 offset:120
	buffer_store_dword v1, off, s[0:3], 0 offset:124
.LBB127_367:
	s_or_b64 exec, exec, s[4:5]
	s_waitcnt lgkmcnt(0)
	; wave barrier
	buffer_load_dword v8, off, s[0:3], 0 offset:132
	buffer_load_dword v7, off, s[0:3], 0 offset:140
	buffer_load_dword v6, off, s[0:3], 0 offset:148
	buffer_load_dword v5, off, s[0:3], 0 offset:156
	buffer_load_dword v4, off, s[0:3], 0 offset:164
	buffer_load_dword v3, off, s[0:3], 0 offset:172
	buffer_load_dword v2, off, s[0:3], 0 offset:180
	buffer_load_dword v11, off, s[0:3], 0 offset:188
	buffer_load_dword v12, off, s[0:3], 0 offset:196
	buffer_load_dword v13, off, s[0:3], 0 offset:204
	buffer_load_dword v14, off, s[0:3], 0 offset:212
	buffer_load_dword v15, off, s[0:3], 0 offset:220
	buffer_load_dword v21, off, s[0:3], 0 offset:144
	buffer_load_dword v24, off, s[0:3], 0 offset:136
	buffer_load_dword v27, off, s[0:3], 0 offset:128
	buffer_load_dword v18, off, s[0:3], 0 offset:176
	buffer_load_dword v20, off, s[0:3], 0 offset:168
	buffer_load_dword v23, off, s[0:3], 0 offset:160
	buffer_load_dword v26, off, s[0:3], 0 offset:152
	buffer_load_dword v16, off, s[0:3], 0 offset:208
	buffer_load_dword v17, off, s[0:3], 0 offset:200
	buffer_load_dword v19, off, s[0:3], 0 offset:192
	buffer_load_dword v22, off, s[0:3], 0 offset:184
	buffer_load_dword v25, off, s[0:3], 0 offset:240
	buffer_load_dword v28, off, s[0:3], 0 offset:232
	buffer_load_dword v30, off, s[0:3], 0 offset:224
	buffer_load_dword v34, off, s[0:3], 0 offset:216
	buffer_load_dword v33, off, s[0:3], 0 offset:228
	buffer_load_dword v31, off, s[0:3], 0 offset:236
	buffer_load_dword v29, off, s[0:3], 0 offset:244
	buffer_load_dword v32, off, s[0:3], 0 offset:252
	buffer_load_dword v35, off, s[0:3], 0 offset:256
	buffer_load_dword v36, off, s[0:3], 0 offset:260
	buffer_load_dword v37, off, s[0:3], 0 offset:264
	buffer_load_dword v38, off, s[0:3], 0 offset:268
	buffer_load_dword v119, off, s[0:3], 0 offset:272
	buffer_load_dword v120, off, s[0:3], 0 offset:276
	buffer_load_dword v139, off, s[0:3], 0 offset:248
	buffer_load_dword v9, off, s[0:3], 0 offset:120
	buffer_load_dword v10, off, s[0:3], 0 offset:124
	ds_read_b128 v[39:42], v1 offset:640
	ds_read_b128 v[43:46], v1 offset:656
	;; [unrolled: 1-line block ×7, first 2 shown]
	buffer_load_dword v140, off, s[0:3], 0 offset:280
	buffer_load_dword v141, off, s[0:3], 0 offset:284
	;; [unrolled: 1-line block ×10, first 2 shown]
	v_cmp_lt_u32_e32 vcc, 14, v0
	s_waitcnt vmcnt(49) lgkmcnt(6)
	v_mul_f32_e32 v67, v39, v8
	s_waitcnt vmcnt(48)
	v_mul_f32_e32 v68, v41, v7
	s_waitcnt vmcnt(47) lgkmcnt(5)
	v_mul_f32_e32 v69, v43, v6
	s_waitcnt vmcnt(46)
	v_mul_f32_e32 v70, v45, v5
	;; [unrolled: 4-line block ×6, first 2 shown]
	s_waitcnt vmcnt(37)
	v_fmac_f32_e32 v69, v44, v21
	s_waitcnt vmcnt(36)
	v_fmac_f32_e32 v68, v42, v24
	;; [unrolled: 2-line block ×3, first 2 shown]
	v_add_f32_e32 v67, 0, v67
	v_add_f32_e32 v67, v67, v68
	v_add_f32_e32 v67, v67, v69
	s_waitcnt vmcnt(31)
	v_fmac_f32_e32 v70, v46, v26
	v_fmac_f32_e32 v71, v48, v23
	v_add_f32_e32 v67, v67, v70
	v_fmac_f32_e32 v72, v50, v20
	v_add_f32_e32 v67, v67, v71
	;; [unrolled: 2-line block ×3, first 2 shown]
	s_waitcnt vmcnt(27)
	v_fmac_f32_e32 v74, v54, v22
	v_add_f32_e32 v67, v67, v73
	v_fmac_f32_e32 v75, v56, v19
	v_add_f32_e32 v67, v67, v74
	;; [unrolled: 2-line block ×4, first 2 shown]
	s_waitcnt vmcnt(23)
	v_fmac_f32_e32 v78, v62, v34
	v_add_f32_e32 v67, v67, v77
	v_add_f32_e32 v71, v67, v78
	ds_read_b128 v[67:70], v1 offset:752
	s_waitcnt vmcnt(22) lgkmcnt(1)
	v_mul_f32_e32 v72, v63, v33
	v_fmac_f32_e32 v72, v64, v30
	buffer_load_dword v150, off, s[0:3], 0 offset:320
	buffer_load_dword v151, off, s[0:3], 0 offset:324
	;; [unrolled: 1-line block ×6, first 2 shown]
	v_add_f32_e32 v71, v71, v72
	s_waitcnt vmcnt(27)
	v_mul_f32_e32 v72, v65, v31
	v_fmac_f32_e32 v72, v66, v28
	v_add_f32_e32 v71, v71, v72
	s_waitcnt vmcnt(26) lgkmcnt(0)
	v_mul_f32_e32 v72, v67, v29
	v_fmac_f32_e32 v72, v68, v25
	v_add_f32_e32 v75, v71, v72
	ds_read_b128 v[71:74], v1 offset:768
	buffer_load_dword v156, off, s[0:3], 0 offset:344
	buffer_load_dword v157, off, s[0:3], 0 offset:348
	s_waitcnt vmcnt(27)
	v_mul_f32_e32 v76, v69, v32
	s_waitcnt vmcnt(20)
	v_fmac_f32_e32 v76, v70, v139
	v_add_f32_e32 v79, v75, v76
	ds_read_b128 v[75:78], v1 offset:784
	buffer_load_dword v158, off, s[0:3], 0 offset:352
	buffer_load_dword v159, off, s[0:3], 0 offset:356
	;; [unrolled: 1-line block ×14, first 2 shown]
	s_waitcnt lgkmcnt(1)
	v_mul_f32_e32 v80, v71, v36
	buffer_load_dword v172, off, s[0:3], 0 offset:408
	buffer_load_dword v173, off, s[0:3], 0 offset:412
	v_fmac_f32_e32 v80, v72, v35
	v_add_f32_e32 v79, v79, v80
	v_mul_f32_e32 v80, v73, v38
	v_fmac_f32_e32 v80, v74, v37
	v_add_f32_e32 v79, v79, v80
	s_waitcnt lgkmcnt(0)
	v_mul_f32_e32 v80, v75, v120
	v_fmac_f32_e32 v80, v76, v119
	v_add_f32_e32 v83, v79, v80
	ds_read_b128 v[79:82], v1 offset:800
	buffer_load_dword v174, off, s[0:3], 0 offset:416
	buffer_load_dword v175, off, s[0:3], 0 offset:420
	;; [unrolled: 1-line block ×6, first 2 shown]
	s_waitcnt vmcnt(38)
	v_mul_f32_e32 v84, v77, v141
	v_fmac_f32_e32 v84, v78, v140
	v_add_f32_e32 v87, v83, v84
	ds_read_b128 v[83:86], v1 offset:816
	buffer_load_dword v180, off, s[0:3], 0 offset:440
	buffer_load_dword v181, off, s[0:3], 0 offset:444
	;; [unrolled: 1-line block ×10, first 2 shown]
	v_mul_f32_e32 v8, v40, v8
	s_waitcnt vmcnt(46) lgkmcnt(1)
	v_mul_f32_e32 v88, v79, v143
	v_fma_f32 v8, v39, v27, -v8
	v_mul_f32_e32 v7, v42, v7
	v_fmac_f32_e32 v88, v80, v142
	v_add_f32_e32 v8, 0, v8
	v_fma_f32 v7, v41, v24, -v7
	v_mul_f32_e32 v6, v44, v6
	v_add_f32_e32 v87, v87, v88
	s_waitcnt vmcnt(44)
	v_mul_f32_e32 v88, v81, v145
	v_add_f32_e32 v7, v8, v7
	v_fma_f32 v6, v43, v21, -v6
	v_mul_f32_e32 v5, v46, v5
	v_fmac_f32_e32 v88, v82, v144
	v_add_f32_e32 v6, v7, v6
	v_fma_f32 v5, v45, v26, -v5
	v_mul_f32_e32 v4, v48, v4
	v_add_f32_e32 v87, v87, v88
	s_waitcnt vmcnt(42) lgkmcnt(0)
	v_mul_f32_e32 v88, v83, v147
	buffer_load_dword v190, off, s[0:3], 0 offset:480
	buffer_load_dword v191, off, s[0:3], 0 offset:484
	;; [unrolled: 1-line block ×6, first 2 shown]
	v_add_f32_e32 v5, v6, v5
	v_fma_f32 v4, v47, v23, -v4
	v_mul_f32_e32 v3, v50, v3
	v_fmac_f32_e32 v88, v84, v146
	s_waitcnt vmcnt(46)
	v_mul_f32_e32 v92, v85, v149
	v_add_f32_e32 v4, v5, v4
	v_fma_f32 v3, v49, v20, -v3
	v_mul_f32_e32 v2, v52, v2
	v_add_f32_e32 v91, v87, v88
	v_fmac_f32_e32 v92, v86, v148
	v_add_f32_e32 v3, v4, v3
	v_fma_f32 v2, v51, v18, -v2
	ds_read_b128 v[87:90], v1 offset:832
	v_add_f32_e32 v95, v91, v92
	ds_read_b128 v[91:94], v1 offset:848
	buffer_load_dword v196, off, s[0:3], 0 offset:504
	buffer_load_dword v197, off, s[0:3], 0 offset:508
	v_add_f32_e32 v2, v3, v2
	v_mul_f32_e32 v3, v54, v11
	v_fma_f32 v3, v53, v22, -v3
	v_add_f32_e32 v2, v2, v3
	v_mul_f32_e32 v3, v56, v12
	v_fma_f32 v3, v55, v19, -v3
	;; [unrolled: 3-line block ×9, first 2 shown]
	v_add_f32_e32 v2, v2, v3
	v_mul_f32_e32 v3, v72, v36
	s_waitcnt vmcnt(46) lgkmcnt(1)
	v_mul_f32_e32 v96, v87, v151
	v_fma_f32 v3, v71, v35, -v3
	v_fmac_f32_e32 v96, v88, v150
	v_add_f32_e32 v2, v2, v3
	v_mul_f32_e32 v3, v74, v38
	v_add_f32_e32 v95, v95, v96
	s_waitcnt vmcnt(45)
	v_mul_f32_e32 v96, v89, v152
	v_fma_f32 v3, v73, v37, -v3
	s_waitcnt vmcnt(42)
	v_fmac_f32_e32 v96, v90, v155
	v_add_f32_e32 v2, v2, v3
	v_mul_f32_e32 v3, v76, v120
	v_add_f32_e32 v95, v95, v96
	s_waitcnt lgkmcnt(0)
	v_mul_f32_e32 v96, v91, v154
	v_fma_f32 v3, v75, v119, -v3
	v_fmac_f32_e32 v96, v92, v153
	v_add_f32_e32 v2, v2, v3
	v_mul_f32_e32 v3, v78, v141
	v_add_f32_e32 v99, v95, v96
	ds_read_b128 v[95:98], v1 offset:864
	v_fma_f32 v3, v77, v140, -v3
	v_add_f32_e32 v2, v2, v3
	v_mul_f32_e32 v3, v80, v143
	s_waitcnt vmcnt(40)
	v_mul_f32_e32 v100, v93, v157
	v_fma_f32 v3, v79, v142, -v3
	v_fmac_f32_e32 v100, v94, v156
	v_add_f32_e32 v2, v2, v3
	v_mul_f32_e32 v3, v82, v145
	v_add_f32_e32 v103, v99, v100
	ds_read_b128 v[99:102], v1 offset:880
	v_fma_f32 v3, v81, v144, -v3
	s_waitcnt vmcnt(38) lgkmcnt(1)
	v_mul_f32_e32 v104, v95, v159
	v_add_f32_e32 v2, v2, v3
	v_mul_f32_e32 v3, v84, v147
	v_fmac_f32_e32 v104, v96, v158
	v_fma_f32 v3, v83, v146, -v3
	v_add_f32_e32 v103, v103, v104
	s_waitcnt vmcnt(37)
	v_mul_f32_e32 v104, v97, v160
	v_add_f32_e32 v2, v2, v3
	v_mul_f32_e32 v3, v86, v149
	s_waitcnt vmcnt(34)
	v_fmac_f32_e32 v104, v98, v163
	v_fma_f32 v3, v85, v148, -v3
	v_add_f32_e32 v103, v103, v104
	s_waitcnt lgkmcnt(0)
	v_mul_f32_e32 v104, v99, v162
	v_add_f32_e32 v2, v2, v3
	v_mul_f32_e32 v3, v88, v151
	v_fmac_f32_e32 v104, v100, v161
	v_fma_f32 v3, v87, v150, -v3
	v_add_f32_e32 v107, v103, v104
	ds_read_b128 v[103:106], v1 offset:896
	v_add_f32_e32 v2, v2, v3
	v_mul_f32_e32 v3, v90, v152
	v_fma_f32 v3, v89, v155, -v3
	s_waitcnt vmcnt(32)
	v_mul_f32_e32 v108, v101, v165
	v_add_f32_e32 v2, v2, v3
	v_mul_f32_e32 v3, v92, v154
	v_fmac_f32_e32 v108, v102, v164
	v_fma_f32 v3, v91, v153, -v3
	v_add_f32_e32 v111, v107, v108
	ds_read_b128 v[107:110], v1 offset:912
	v_add_f32_e32 v2, v2, v3
	v_mul_f32_e32 v3, v94, v157
	s_waitcnt vmcnt(30) lgkmcnt(1)
	v_mul_f32_e32 v112, v103, v167
	v_fma_f32 v3, v93, v156, -v3
	v_fmac_f32_e32 v112, v104, v166
	v_add_f32_e32 v2, v2, v3
	v_mul_f32_e32 v3, v96, v159
	v_add_f32_e32 v111, v111, v112
	s_waitcnt vmcnt(29)
	v_mul_f32_e32 v112, v105, v168
	v_fma_f32 v3, v95, v158, -v3
	s_waitcnt vmcnt(26)
	v_fmac_f32_e32 v112, v106, v171
	v_add_f32_e32 v2, v2, v3
	v_mul_f32_e32 v3, v98, v160
	v_add_f32_e32 v111, v111, v112
	s_waitcnt lgkmcnt(0)
	v_mul_f32_e32 v112, v107, v170
	v_fma_f32 v3, v97, v163, -v3
	v_fmac_f32_e32 v112, v108, v169
	v_add_f32_e32 v2, v2, v3
	v_mul_f32_e32 v3, v100, v162
	v_add_f32_e32 v115, v111, v112
	ds_read_b128 v[111:114], v1 offset:928
	v_fma_f32 v3, v99, v161, -v3
	v_add_f32_e32 v2, v2, v3
	v_mul_f32_e32 v3, v102, v165
	s_waitcnt vmcnt(24)
	v_mul_f32_e32 v116, v109, v173
	v_fma_f32 v3, v101, v164, -v3
	v_fmac_f32_e32 v116, v110, v172
	v_add_f32_e32 v2, v2, v3
	v_mul_f32_e32 v3, v104, v167
	v_add_f32_e32 v123, v115, v116
	ds_read_b128 v[115:118], v1 offset:944
	v_fma_f32 v3, v103, v166, -v3
	s_waitcnt vmcnt(22) lgkmcnt(1)
	v_mul_f32_e32 v124, v111, v175
	v_add_f32_e32 v2, v2, v3
	v_mul_f32_e32 v3, v106, v168
	v_fmac_f32_e32 v124, v112, v174
	v_fma_f32 v3, v105, v171, -v3
	v_add_f32_e32 v123, v123, v124
	s_waitcnt vmcnt(21)
	v_mul_f32_e32 v124, v113, v176
	v_add_f32_e32 v2, v2, v3
	v_mul_f32_e32 v3, v108, v170
	s_waitcnt vmcnt(18)
	v_fmac_f32_e32 v124, v114, v179
	v_fma_f32 v3, v107, v169, -v3
	v_add_f32_e32 v123, v123, v124
	s_waitcnt lgkmcnt(0)
	v_mul_f32_e32 v124, v115, v178
	v_add_f32_e32 v2, v2, v3
	v_mul_f32_e32 v3, v110, v173
	v_fmac_f32_e32 v124, v116, v177
	v_fma_f32 v3, v109, v172, -v3
	v_add_f32_e32 v127, v123, v124
	ds_read_b128 v[123:126], v1 offset:960
	v_add_f32_e32 v2, v2, v3
	v_mul_f32_e32 v3, v112, v175
	v_fma_f32 v3, v111, v174, -v3
	s_waitcnt vmcnt(16)
	v_mul_f32_e32 v128, v117, v181
	v_add_f32_e32 v2, v2, v3
	v_mul_f32_e32 v3, v114, v176
	v_fmac_f32_e32 v128, v118, v180
	v_fma_f32 v3, v113, v179, -v3
	v_add_f32_e32 v131, v127, v128
	ds_read_b128 v[127:130], v1 offset:976
	v_add_f32_e32 v2, v2, v3
	v_mul_f32_e32 v3, v116, v178
	s_waitcnt vmcnt(14) lgkmcnt(1)
	v_mul_f32_e32 v132, v123, v183
	v_fma_f32 v3, v115, v177, -v3
	v_fmac_f32_e32 v132, v124, v182
	v_add_f32_e32 v2, v2, v3
	v_mul_f32_e32 v3, v118, v181
	v_add_f32_e32 v131, v131, v132
	s_waitcnt vmcnt(13)
	v_mul_f32_e32 v132, v125, v184
	v_fma_f32 v3, v117, v180, -v3
	s_waitcnt vmcnt(10)
	v_fmac_f32_e32 v132, v126, v187
	v_add_f32_e32 v2, v2, v3
	v_mul_f32_e32 v3, v124, v183
	v_add_f32_e32 v131, v131, v132
	s_waitcnt lgkmcnt(0)
	v_mul_f32_e32 v132, v127, v186
	v_fma_f32 v3, v123, v182, -v3
	v_fmac_f32_e32 v132, v128, v185
	v_add_f32_e32 v2, v2, v3
	v_mul_f32_e32 v3, v126, v184
	v_add_f32_e32 v135, v131, v132
	ds_read_b128 v[131:134], v1 offset:992
	v_fma_f32 v3, v125, v187, -v3
	v_add_f32_e32 v2, v2, v3
	v_mul_f32_e32 v3, v128, v186
	s_waitcnt vmcnt(8)
	v_mul_f32_e32 v136, v129, v189
	v_fma_f32 v3, v127, v185, -v3
	v_fmac_f32_e32 v136, v130, v188
	v_add_f32_e32 v2, v2, v3
	v_mul_f32_e32 v3, v130, v189
	v_add_f32_e32 v198, v135, v136
	ds_read_b128 v[135:138], v1 offset:1008
	v_fma_f32 v3, v129, v188, -v3
	v_add_f32_e32 v2, v2, v3
	s_waitcnt vmcnt(6) lgkmcnt(1)
	v_mul_f32_e32 v3, v132, v191
	v_mul_f32_e32 v1, v131, v191
	v_fma_f32 v3, v131, v190, -v3
	v_fmac_f32_e32 v1, v132, v190
	v_add_f32_e32 v2, v2, v3
	s_waitcnt vmcnt(5)
	v_mul_f32_e32 v3, v134, v192
	v_add_f32_e32 v1, v198, v1
	v_mul_f32_e32 v198, v133, v192
	s_waitcnt vmcnt(2)
	v_fma_f32 v3, v133, v195, -v3
	v_fmac_f32_e32 v198, v134, v195
	v_add_f32_e32 v2, v2, v3
	s_waitcnt lgkmcnt(0)
	v_mul_f32_e32 v3, v136, v194
	v_add_f32_e32 v1, v1, v198
	v_mul_f32_e32 v198, v135, v194
	v_fma_f32 v3, v135, v193, -v3
	v_fmac_f32_e32 v198, v136, v193
	v_add_f32_e32 v2, v2, v3
	s_waitcnt vmcnt(0)
	v_mul_f32_e32 v3, v138, v197
	v_add_f32_e32 v1, v1, v198
	v_mul_f32_e32 v198, v137, v197
	v_fma_f32 v3, v137, v196, -v3
	v_fmac_f32_e32 v198, v138, v196
	v_add_f32_e32 v2, v2, v3
	v_add_f32_e32 v1, v1, v198
	v_sub_f32_e32 v2, v9, v2
	v_sub_f32_e32 v1, v10, v1
	buffer_store_dword v2, off, s[0:3], 0 offset:120
	buffer_store_dword v1, off, s[0:3], 0 offset:124
	s_and_saveexec_b64 s[4:5], vcc
	s_cbranch_execz .LBB127_369
; %bb.368:
	buffer_load_dword v1, off, s[0:3], 0 offset:112
	buffer_load_dword v2, off, s[0:3], 0 offset:116
	v_mov_b32_e32 v3, 0
	buffer_store_dword v3, off, s[0:3], 0 offset:112
	buffer_store_dword v3, off, s[0:3], 0 offset:116
	s_waitcnt vmcnt(2)
	ds_write_b64 v249, v[1:2]
.LBB127_369:
	s_or_b64 exec, exec, s[4:5]
	s_waitcnt lgkmcnt(0)
	; wave barrier
	buffer_load_dword v8, off, s[0:3], 0 offset:124
	buffer_load_dword v7, off, s[0:3], 0 offset:132
	;; [unrolled: 1-line block ×50, first 2 shown]
	v_mov_b32_e32 v1, 0
	ds_read2_b64 v[15:18], v1 offset0:79 offset1:80
	ds_read2_b64 v[19:22], v1 offset0:81 offset1:82
	;; [unrolled: 1-line block ×7, first 2 shown]
	v_cmp_lt_u32_e32 vcc, 13, v0
	s_waitcnt vmcnt(49) lgkmcnt(6)
	v_mul_f32_e32 v43, v15, v8
	s_waitcnt vmcnt(48)
	v_mul_f32_e32 v44, v17, v7
	s_waitcnt vmcnt(47) lgkmcnt(5)
	v_mul_f32_e32 v45, v19, v6
	s_waitcnt vmcnt(46)
	v_mul_f32_e32 v46, v21, v5
	;; [unrolled: 4-line block ×5, first 2 shown]
	s_waitcnt vmcnt(39) lgkmcnt(1)
	v_mul_f32_e32 v53, v35, v14
	s_waitcnt vmcnt(38)
	v_fmac_f32_e32 v45, v20, v113
	s_waitcnt vmcnt(37)
	v_fmac_f32_e32 v44, v18, v114
	;; [unrolled: 2-line block ×3, first 2 shown]
	v_add_f32_e32 v43, 0, v43
	v_add_f32_e32 v43, v43, v44
	;; [unrolled: 1-line block ×3, first 2 shown]
	s_waitcnt vmcnt(32)
	v_fmac_f32_e32 v46, v22, v119
	v_fmac_f32_e32 v47, v24, v118
	v_add_f32_e32 v43, v43, v46
	v_fmac_f32_e32 v48, v26, v117
	v_add_f32_e32 v43, v43, v47
	;; [unrolled: 2-line block ×3, first 2 shown]
	s_waitcnt vmcnt(28)
	v_fmac_f32_e32 v50, v30, v125
	v_add_f32_e32 v43, v43, v49
	v_fmac_f32_e32 v51, v32, v124
	v_add_f32_e32 v43, v43, v50
	;; [unrolled: 2-line block ×4, first 2 shown]
	s_waitcnt vmcnt(27)
	v_mul_f32_e32 v44, v37, v126
	v_add_f32_e32 v43, v43, v53
	s_waitcnt vmcnt(23)
	v_fmac_f32_e32 v44, v38, v130
	v_add_f32_e32 v47, v43, v44
	ds_read2_b64 v[43:46], v1 offset0:93 offset1:94
	s_waitcnt vmcnt(22) lgkmcnt(1)
	v_mul_f32_e32 v48, v39, v131
	v_fmac_f32_e32 v48, v40, v129
	v_add_f32_e32 v47, v47, v48
	s_waitcnt vmcnt(21)
	v_mul_f32_e32 v48, v41, v132
	buffer_load_dword v152, off, s[0:3], 0 offset:312
	buffer_load_dword v153, off, s[0:3], 0 offset:316
	v_fmac_f32_e32 v48, v42, v128
	v_add_f32_e32 v47, v47, v48
	s_waitcnt vmcnt(22) lgkmcnt(0)
	v_mul_f32_e32 v48, v43, v133
	v_fmac_f32_e32 v48, v44, v127
	v_add_f32_e32 v51, v47, v48
	ds_read2_b64 v[47:50], v1 offset0:95 offset1:96
	buffer_load_dword v154, off, s[0:3], 0 offset:324
	buffer_load_dword v155, off, s[0:3], 0 offset:328
	buffer_load_dword v156, off, s[0:3], 0 offset:332
	buffer_load_dword v157, off, s[0:3], 0 offset:320
	s_waitcnt vmcnt(25)
	v_mul_f32_e32 v52, v45, v134
	s_waitcnt vmcnt(19)
	v_fmac_f32_e32 v52, v46, v140
	v_add_f32_e32 v55, v51, v52
	ds_read2_b64 v[51:54], v1 offset0:97 offset1:98
	buffer_load_dword v158, off, s[0:3], 0 offset:336
	buffer_load_dword v159, off, s[0:3], 0 offset:340
	;; [unrolled: 1-line block ×10, first 2 shown]
	s_waitcnt vmcnt(28) lgkmcnt(1)
	v_mul_f32_e32 v56, v47, v141
	v_fmac_f32_e32 v56, v48, v139
	buffer_load_dword v168, off, s[0:3], 0 offset:376
	buffer_load_dword v169, off, s[0:3], 0 offset:380
	;; [unrolled: 1-line block ×6, first 2 shown]
	v_add_f32_e32 v55, v55, v56
	v_mul_f32_e32 v56, v49, v136
	v_fmac_f32_e32 v56, v50, v135
	v_add_f32_e32 v55, v55, v56
	s_waitcnt lgkmcnt(0)
	v_mul_f32_e32 v56, v51, v138
	v_fmac_f32_e32 v56, v52, v137
	v_add_f32_e32 v59, v55, v56
	ds_read2_b64 v[55:58], v1 offset0:99 offset1:100
	buffer_load_dword v174, off, s[0:3], 0 offset:400
	buffer_load_dword v175, off, s[0:3], 0 offset:404
	s_waitcnt vmcnt(32)
	v_mul_f32_e32 v60, v53, v143
	v_fmac_f32_e32 v60, v54, v142
	v_add_f32_e32 v63, v59, v60
	ds_read2_b64 v[59:62], v1 offset0:101 offset1:102
	buffer_load_dword v176, off, s[0:3], 0 offset:408
	buffer_load_dword v177, off, s[0:3], 0 offset:412
	;; [unrolled: 1-line block ×14, first 2 shown]
	s_waitcnt vmcnt(44) lgkmcnt(1)
	v_mul_f32_e32 v64, v55, v145
	v_fmac_f32_e32 v64, v56, v144
	buffer_load_dword v190, off, s[0:3], 0 offset:464
	buffer_load_dword v191, off, s[0:3], 0 offset:468
	v_add_f32_e32 v63, v63, v64
	s_waitcnt vmcnt(44)
	v_mul_f32_e32 v64, v57, v147
	v_mul_f32_e32 v8, v16, v8
	v_fmac_f32_e32 v64, v58, v146
	v_fma_f32 v8, v15, v115, -v8
	v_mul_f32_e32 v7, v18, v7
	v_add_f32_e32 v63, v63, v64
	s_waitcnt vmcnt(42) lgkmcnt(0)
	v_mul_f32_e32 v64, v59, v149
	v_add_f32_e32 v8, 0, v8
	v_fma_f32 v7, v17, v114, -v7
	v_mul_f32_e32 v6, v20, v6
	v_fmac_f32_e32 v64, v60, v148
	v_add_f32_e32 v7, v8, v7
	v_fma_f32 v6, v19, v113, -v6
	v_mul_f32_e32 v5, v22, v5
	v_add_f32_e32 v67, v63, v64
	ds_read2_b64 v[63:66], v1 offset0:103 offset1:104
	buffer_load_dword v192, off, s[0:3], 0 offset:472
	buffer_load_dword v193, off, s[0:3], 0 offset:476
	buffer_load_dword v194, off, s[0:3], 0 offset:484
	buffer_load_dword v195, off, s[0:3], 0 offset:488
	buffer_load_dword v196, off, s[0:3], 0 offset:492
	buffer_load_dword v197, off, s[0:3], 0 offset:480
	v_add_f32_e32 v6, v7, v6
	v_fma_f32 v5, v21, v119, -v5
	v_mul_f32_e32 v4, v24, v4
	v_add_f32_e32 v5, v6, v5
	v_fma_f32 v4, v23, v118, -v4
	v_mul_f32_e32 v3, v26, v3
	;; [unrolled: 3-line block ×3, first 2 shown]
	s_waitcnt vmcnt(46)
	v_mul_f32_e32 v68, v61, v151
	v_add_f32_e32 v3, v4, v3
	v_fma_f32 v2, v27, v116, -v2
	v_fmac_f32_e32 v68, v62, v150
	v_add_f32_e32 v2, v3, v2
	v_mul_f32_e32 v3, v30, v11
	v_add_f32_e32 v71, v67, v68
	ds_read2_b64 v[67:70], v1 offset0:105 offset1:106
	buffer_load_dword v198, off, s[0:3], 0 offset:500
	buffer_load_dword v199, off, s[0:3], 0 offset:504
	;; [unrolled: 1-line block ×4, first 2 shown]
	v_fma_f32 v3, v29, v125, -v3
	v_add_f32_e32 v2, v2, v3
	v_mul_f32_e32 v3, v32, v12
	v_fma_f32 v3, v31, v124, -v3
	v_add_f32_e32 v2, v2, v3
	v_mul_f32_e32 v3, v34, v13
	;; [unrolled: 3-line block ×8, first 2 shown]
	v_fma_f32 v3, v45, v140, -v3
	s_waitcnt vmcnt(48) lgkmcnt(1)
	v_mul_f32_e32 v72, v63, v153
	v_add_f32_e32 v2, v2, v3
	v_mul_f32_e32 v3, v48, v141
	v_fmac_f32_e32 v72, v64, v152
	v_fma_f32 v3, v47, v139, -v3
	v_add_f32_e32 v71, v71, v72
	s_waitcnt vmcnt(47)
	v_mul_f32_e32 v72, v65, v154
	v_add_f32_e32 v2, v2, v3
	v_mul_f32_e32 v3, v50, v136
	s_waitcnt vmcnt(44)
	v_fmac_f32_e32 v72, v66, v157
	v_fma_f32 v3, v49, v135, -v3
	v_add_f32_e32 v71, v71, v72
	s_waitcnt lgkmcnt(0)
	v_mul_f32_e32 v72, v67, v156
	v_add_f32_e32 v2, v2, v3
	v_mul_f32_e32 v3, v52, v138
	v_fmac_f32_e32 v72, v68, v155
	v_fma_f32 v3, v51, v137, -v3
	v_add_f32_e32 v75, v71, v72
	ds_read2_b64 v[71:74], v1 offset0:107 offset1:108
	v_add_f32_e32 v2, v2, v3
	v_mul_f32_e32 v3, v54, v143
	v_fma_f32 v3, v53, v142, -v3
	s_waitcnt vmcnt(42)
	v_mul_f32_e32 v76, v69, v159
	v_add_f32_e32 v2, v2, v3
	v_mul_f32_e32 v3, v56, v145
	v_fmac_f32_e32 v76, v70, v158
	v_fma_f32 v3, v55, v144, -v3
	v_add_f32_e32 v79, v75, v76
	ds_read2_b64 v[75:78], v1 offset0:109 offset1:110
	v_add_f32_e32 v2, v2, v3
	v_mul_f32_e32 v3, v58, v147
	s_waitcnt vmcnt(40) lgkmcnt(1)
	v_mul_f32_e32 v80, v71, v161
	v_fma_f32 v3, v57, v146, -v3
	v_fmac_f32_e32 v80, v72, v160
	v_add_f32_e32 v2, v2, v3
	v_mul_f32_e32 v3, v60, v149
	v_add_f32_e32 v79, v79, v80
	s_waitcnt vmcnt(39)
	v_mul_f32_e32 v80, v73, v162
	v_fma_f32 v3, v59, v148, -v3
	s_waitcnt vmcnt(36)
	v_fmac_f32_e32 v80, v74, v165
	v_add_f32_e32 v2, v2, v3
	v_mul_f32_e32 v3, v62, v151
	v_add_f32_e32 v79, v79, v80
	s_waitcnt lgkmcnt(0)
	v_mul_f32_e32 v80, v75, v164
	v_fma_f32 v3, v61, v150, -v3
	v_fmac_f32_e32 v80, v76, v163
	v_add_f32_e32 v2, v2, v3
	v_mul_f32_e32 v3, v64, v153
	v_add_f32_e32 v83, v79, v80
	ds_read2_b64 v[79:82], v1 offset0:111 offset1:112
	v_fma_f32 v3, v63, v152, -v3
	v_add_f32_e32 v2, v2, v3
	v_mul_f32_e32 v3, v66, v154
	s_waitcnt vmcnt(34)
	v_mul_f32_e32 v84, v77, v167
	v_fma_f32 v3, v65, v157, -v3
	v_fmac_f32_e32 v84, v78, v166
	v_add_f32_e32 v2, v2, v3
	v_mul_f32_e32 v3, v68, v156
	v_add_f32_e32 v87, v83, v84
	ds_read2_b64 v[83:86], v1 offset0:113 offset1:114
	v_fma_f32 v3, v67, v155, -v3
	s_waitcnt vmcnt(32) lgkmcnt(1)
	v_mul_f32_e32 v88, v79, v169
	v_add_f32_e32 v2, v2, v3
	v_mul_f32_e32 v3, v70, v159
	v_fmac_f32_e32 v88, v80, v168
	v_fma_f32 v3, v69, v158, -v3
	v_add_f32_e32 v87, v87, v88
	s_waitcnt vmcnt(31)
	v_mul_f32_e32 v88, v81, v170
	v_add_f32_e32 v2, v2, v3
	v_mul_f32_e32 v3, v72, v161
	s_waitcnt vmcnt(28)
	v_fmac_f32_e32 v88, v82, v173
	v_fma_f32 v3, v71, v160, -v3
	v_add_f32_e32 v87, v87, v88
	s_waitcnt lgkmcnt(0)
	v_mul_f32_e32 v88, v83, v172
	v_add_f32_e32 v2, v2, v3
	v_mul_f32_e32 v3, v74, v162
	v_fmac_f32_e32 v88, v84, v171
	v_fma_f32 v3, v73, v165, -v3
	v_add_f32_e32 v91, v87, v88
	ds_read2_b64 v[87:90], v1 offset0:115 offset1:116
	v_add_f32_e32 v2, v2, v3
	v_mul_f32_e32 v3, v76, v164
	v_fma_f32 v3, v75, v163, -v3
	s_waitcnt vmcnt(26)
	v_mul_f32_e32 v92, v85, v175
	v_add_f32_e32 v2, v2, v3
	v_mul_f32_e32 v3, v78, v167
	v_fmac_f32_e32 v92, v86, v174
	v_fma_f32 v3, v77, v166, -v3
	v_add_f32_e32 v95, v91, v92
	ds_read2_b64 v[91:94], v1 offset0:117 offset1:118
	v_add_f32_e32 v2, v2, v3
	v_mul_f32_e32 v3, v80, v169
	s_waitcnt vmcnt(24) lgkmcnt(1)
	v_mul_f32_e32 v96, v87, v177
	v_fma_f32 v3, v79, v168, -v3
	v_fmac_f32_e32 v96, v88, v176
	v_add_f32_e32 v2, v2, v3
	v_mul_f32_e32 v3, v82, v170
	v_add_f32_e32 v95, v95, v96
	s_waitcnt vmcnt(23)
	v_mul_f32_e32 v96, v89, v178
	v_fma_f32 v3, v81, v173, -v3
	s_waitcnt vmcnt(20)
	v_fmac_f32_e32 v96, v90, v181
	v_add_f32_e32 v2, v2, v3
	v_mul_f32_e32 v3, v84, v172
	v_add_f32_e32 v95, v95, v96
	s_waitcnt lgkmcnt(0)
	v_mul_f32_e32 v96, v91, v180
	v_fma_f32 v3, v83, v171, -v3
	v_fmac_f32_e32 v96, v92, v179
	v_add_f32_e32 v2, v2, v3
	v_mul_f32_e32 v3, v86, v175
	v_add_f32_e32 v99, v95, v96
	ds_read2_b64 v[95:98], v1 offset0:119 offset1:120
	v_fma_f32 v3, v85, v174, -v3
	v_add_f32_e32 v2, v2, v3
	v_mul_f32_e32 v3, v88, v177
	s_waitcnt vmcnt(18)
	v_mul_f32_e32 v100, v93, v183
	v_fma_f32 v3, v87, v176, -v3
	v_fmac_f32_e32 v100, v94, v182
	v_add_f32_e32 v2, v2, v3
	v_mul_f32_e32 v3, v90, v178
	v_add_f32_e32 v103, v99, v100
	ds_read2_b64 v[99:102], v1 offset0:121 offset1:122
	v_fma_f32 v3, v89, v181, -v3
	s_waitcnt vmcnt(16) lgkmcnt(1)
	v_mul_f32_e32 v104, v95, v185
	v_add_f32_e32 v2, v2, v3
	v_mul_f32_e32 v3, v92, v180
	v_fmac_f32_e32 v104, v96, v184
	v_fma_f32 v3, v91, v179, -v3
	v_add_f32_e32 v103, v103, v104
	s_waitcnt vmcnt(15)
	v_mul_f32_e32 v104, v97, v186
	v_add_f32_e32 v2, v2, v3
	v_mul_f32_e32 v3, v94, v183
	s_waitcnt vmcnt(12)
	v_fmac_f32_e32 v104, v98, v189
	v_fma_f32 v3, v93, v182, -v3
	v_add_f32_e32 v103, v103, v104
	s_waitcnt lgkmcnt(0)
	v_mul_f32_e32 v104, v99, v188
	v_add_f32_e32 v2, v2, v3
	v_mul_f32_e32 v3, v96, v185
	v_fmac_f32_e32 v104, v100, v187
	v_fma_f32 v3, v95, v184, -v3
	v_add_f32_e32 v107, v103, v104
	ds_read2_b64 v[103:106], v1 offset0:123 offset1:124
	v_add_f32_e32 v2, v2, v3
	v_mul_f32_e32 v3, v98, v186
	v_fma_f32 v3, v97, v189, -v3
	v_add_f32_e32 v2, v2, v3
	v_mul_f32_e32 v3, v100, v188
	s_waitcnt vmcnt(10)
	v_mul_f32_e32 v108, v101, v191
	v_fma_f32 v3, v99, v187, -v3
	v_fmac_f32_e32 v108, v102, v190
	v_add_f32_e32 v2, v2, v3
	v_mul_f32_e32 v3, v102, v191
	v_add_f32_e32 v111, v107, v108
	ds_read2_b64 v[107:110], v1 offset0:125 offset1:126
	s_waitcnt vmcnt(8) lgkmcnt(1)
	v_mul_f32_e32 v112, v103, v193
	v_fma_f32 v3, v101, v190, -v3
	v_fmac_f32_e32 v112, v104, v192
	v_add_f32_e32 v2, v2, v3
	v_mul_f32_e32 v3, v104, v193
	v_add_f32_e32 v111, v111, v112
	s_waitcnt vmcnt(7)
	v_mul_f32_e32 v112, v105, v194
	v_fma_f32 v3, v103, v192, -v3
	s_waitcnt vmcnt(4)
	v_fmac_f32_e32 v112, v106, v197
	v_add_f32_e32 v2, v2, v3
	v_mul_f32_e32 v3, v106, v194
	v_add_f32_e32 v202, v111, v112
	ds_read_b64 v[111:112], v1 offset:1016
	v_fma_f32 v3, v105, v197, -v3
	v_add_f32_e32 v2, v2, v3
	s_waitcnt lgkmcnt(1)
	v_mul_f32_e32 v3, v108, v196
	v_mul_f32_e32 v203, v107, v196
	v_fma_f32 v3, v107, v195, -v3
	v_fmac_f32_e32 v203, v108, v195
	v_add_f32_e32 v2, v2, v3
	s_waitcnt vmcnt(3)
	v_mul_f32_e32 v3, v110, v198
	v_add_f32_e32 v202, v202, v203
	v_mul_f32_e32 v203, v109, v198
	s_waitcnt vmcnt(0)
	v_fma_f32 v3, v109, v201, -v3
	v_fmac_f32_e32 v203, v110, v201
	v_add_f32_e32 v2, v2, v3
	s_waitcnt lgkmcnt(0)
	v_mul_f32_e32 v3, v112, v200
	v_add_f32_e32 v202, v202, v203
	v_mul_f32_e32 v203, v111, v200
	v_fma_f32 v3, v111, v199, -v3
	v_fmac_f32_e32 v203, v112, v199
	v_add_f32_e32 v2, v2, v3
	v_add_f32_e32 v202, v202, v203
	v_sub_f32_e32 v2, v9, v2
	v_sub_f32_e32 v3, v10, v202
	buffer_store_dword v2, off, s[0:3], 0 offset:112
	buffer_store_dword v3, off, s[0:3], 0 offset:116
	s_and_saveexec_b64 s[4:5], vcc
	s_cbranch_execz .LBB127_371
; %bb.370:
	buffer_load_dword v2, off, s[0:3], 0 offset:104
	buffer_load_dword v3, off, s[0:3], 0 offset:108
	s_waitcnt vmcnt(0)
	ds_write_b64 v249, v[2:3]
	buffer_store_dword v1, off, s[0:3], 0 offset:104
	buffer_store_dword v1, off, s[0:3], 0 offset:108
.LBB127_371:
	s_or_b64 exec, exec, s[4:5]
	s_waitcnt lgkmcnt(0)
	; wave barrier
	buffer_load_dword v8, off, s[0:3], 0 offset:116
	buffer_load_dword v7, off, s[0:3], 0 offset:124
	;; [unrolled: 1-line block ×40, first 2 shown]
	ds_read_b128 v[16:19], v1 offset:624
	ds_read_b128 v[20:23], v1 offset:640
	;; [unrolled: 1-line block ×7, first 2 shown]
	buffer_load_dword v144, off, s[0:3], 0 offset:264
	buffer_load_dword v145, off, s[0:3], 0 offset:268
	;; [unrolled: 1-line block ×11, first 2 shown]
	v_cmp_lt_u32_e32 vcc, 12, v0
	s_waitcnt vmcnt(50) lgkmcnt(6)
	v_mul_f32_e32 v44, v16, v8
	s_waitcnt vmcnt(49)
	v_mul_f32_e32 v45, v18, v7
	s_waitcnt vmcnt(48) lgkmcnt(5)
	v_mul_f32_e32 v46, v20, v6
	s_waitcnt vmcnt(47)
	v_mul_f32_e32 v47, v22, v5
	;; [unrolled: 4-line block ×6, first 2 shown]
	s_waitcnt vmcnt(38)
	v_fmac_f32_e32 v46, v21, v116
	s_waitcnt vmcnt(37)
	v_fmac_f32_e32 v45, v19, v117
	;; [unrolled: 2-line block ×3, first 2 shown]
	v_add_f32_e32 v44, 0, v44
	v_add_f32_e32 v44, v44, v45
	;; [unrolled: 1-line block ×3, first 2 shown]
	s_waitcnt vmcnt(32)
	v_fmac_f32_e32 v47, v23, v124
	v_fmac_f32_e32 v48, v25, v123
	v_add_f32_e32 v44, v44, v47
	v_fmac_f32_e32 v49, v27, v120
	v_add_f32_e32 v44, v44, v48
	;; [unrolled: 2-line block ×3, first 2 shown]
	s_waitcnt vmcnt(28)
	v_fmac_f32_e32 v51, v31, v128
	v_add_f32_e32 v44, v44, v50
	v_fmac_f32_e32 v52, v33, v127
	v_add_f32_e32 v44, v44, v51
	;; [unrolled: 2-line block ×4, first 2 shown]
	v_add_f32_e32 v44, v44, v54
	s_waitcnt vmcnt(24)
	v_fmac_f32_e32 v55, v39, v132
	v_add_f32_e32 v48, v44, v55
	ds_read_b128 v[44:47], v1 offset:736
	s_waitcnt vmcnt(23) lgkmcnt(1)
	v_mul_f32_e32 v49, v40, v133
	v_fmac_f32_e32 v49, v41, v131
	v_add_f32_e32 v48, v48, v49
	s_waitcnt vmcnt(22)
	v_mul_f32_e32 v49, v42, v134
	v_fmac_f32_e32 v49, v43, v130
	v_add_f32_e32 v48, v48, v49
	s_waitcnt vmcnt(21) lgkmcnt(0)
	v_mul_f32_e32 v49, v44, v135
	buffer_load_dword v155, off, s[0:3], 0 offset:304
	buffer_load_dword v156, off, s[0:3], 0 offset:312
	buffer_load_dword v157, off, s[0:3], 0 offset:316
	v_fmac_f32_e32 v49, v45, v129
	v_add_f32_e32 v52, v48, v49
	ds_read_b128 v[48:51], v1 offset:752
	buffer_load_dword v158, off, s[0:3], 0 offset:320
	buffer_load_dword v159, off, s[0:3], 0 offset:324
	s_waitcnt vmcnt(25)
	v_mul_f32_e32 v53, v46, v136
	s_waitcnt vmcnt(19)
	v_fmac_f32_e32 v53, v47, v142
	v_add_f32_e32 v56, v52, v53
	ds_read_b128 v[52:55], v1 offset:768
	buffer_load_dword v160, off, s[0:3], 0 offset:328
	buffer_load_dword v161, off, s[0:3], 0 offset:332
	;; [unrolled: 1-line block ×8, first 2 shown]
	s_waitcnt vmcnt(26) lgkmcnt(1)
	v_mul_f32_e32 v57, v48, v143
	buffer_load_dword v168, off, s[0:3], 0 offset:360
	buffer_load_dword v169, off, s[0:3], 0 offset:364
	v_fmac_f32_e32 v57, v49, v141
	v_add_f32_e32 v56, v56, v57
	v_mul_f32_e32 v57, v50, v138
	v_fmac_f32_e32 v57, v51, v137
	v_add_f32_e32 v56, v56, v57
	s_waitcnt lgkmcnt(0)
	v_mul_f32_e32 v57, v52, v140
	v_fmac_f32_e32 v57, v53, v139
	v_add_f32_e32 v60, v56, v57
	ds_read_b128 v[56:59], v1 offset:784
	buffer_load_dword v170, off, s[0:3], 0 offset:368
	buffer_load_dword v171, off, s[0:3], 0 offset:372
	;; [unrolled: 1-line block ×6, first 2 shown]
	s_waitcnt vmcnt(30)
	v_mul_f32_e32 v61, v54, v145
	v_fmac_f32_e32 v61, v55, v144
	v_add_f32_e32 v64, v60, v61
	ds_read_b128 v[60:63], v1 offset:800
	buffer_load_dword v176, off, s[0:3], 0 offset:392
	buffer_load_dword v177, off, s[0:3], 0 offset:396
	;; [unrolled: 1-line block ×10, first 2 shown]
	s_waitcnt vmcnt(38) lgkmcnt(1)
	v_mul_f32_e32 v65, v56, v147
	buffer_load_dword v186, off, s[0:3], 0 offset:432
	buffer_load_dword v187, off, s[0:3], 0 offset:436
	;; [unrolled: 1-line block ×6, first 2 shown]
	v_fmac_f32_e32 v65, v57, v146
	v_add_f32_e32 v64, v64, v65
	s_waitcnt vmcnt(42)
	v_mul_f32_e32 v65, v58, v149
	v_fmac_f32_e32 v65, v59, v148
	v_add_f32_e32 v64, v64, v65
	s_waitcnt vmcnt(40) lgkmcnt(0)
	v_mul_f32_e32 v65, v60, v151
	v_fmac_f32_e32 v65, v61, v150
	v_add_f32_e32 v68, v64, v65
	ds_read_b128 v[64:67], v1 offset:816
	buffer_load_dword v192, off, s[0:3], 0 offset:456
	buffer_load_dword v193, off, s[0:3], 0 offset:460
	v_mul_f32_e32 v8, v17, v8
	v_fma_f32 v8, v16, v118, -v8
	v_mul_f32_e32 v7, v19, v7
	s_waitcnt vmcnt(40)
	v_mul_f32_e32 v69, v62, v153
	v_add_f32_e32 v8, 0, v8
	v_fma_f32 v7, v18, v117, -v7
	v_mul_f32_e32 v6, v21, v6
	v_fmac_f32_e32 v69, v63, v152
	v_add_f32_e32 v7, v8, v7
	v_fma_f32 v6, v20, v116, -v6
	v_mul_f32_e32 v5, v23, v5
	v_add_f32_e32 v72, v68, v69
	ds_read_b128 v[68:71], v1 offset:832
	buffer_load_dword v194, off, s[0:3], 0 offset:464
	buffer_load_dword v195, off, s[0:3], 0 offset:468
	;; [unrolled: 1-line block ×6, first 2 shown]
	v_add_f32_e32 v6, v7, v6
	v_fma_f32 v5, v22, v124, -v5
	v_mul_f32_e32 v4, v25, v4
	v_add_f32_e32 v5, v6, v5
	v_fma_f32 v4, v24, v123, -v4
	v_mul_f32_e32 v3, v27, v3
	;; [unrolled: 3-line block ×3, first 2 shown]
	v_add_f32_e32 v3, v4, v3
	v_fma_f32 v2, v28, v119, -v2
	v_add_f32_e32 v2, v3, v2
	v_mul_f32_e32 v3, v31, v11
	v_fma_f32 v3, v30, v128, -v3
	v_add_f32_e32 v2, v2, v3
	v_mul_f32_e32 v3, v33, v12
	buffer_load_dword v200, off, s[0:3], 0 offset:488
	buffer_load_dword v201, off, s[0:3], 0 offset:492
	;; [unrolled: 1-line block ×6, first 2 shown]
	v_fma_f32 v3, v32, v127, -v3
	v_add_f32_e32 v2, v2, v3
	v_mul_f32_e32 v3, v35, v13
	v_fma_f32 v3, v34, v126, -v3
	v_add_f32_e32 v2, v2, v3
	v_mul_f32_e32 v3, v37, v14
	;; [unrolled: 3-line block ×7, first 2 shown]
	v_fma_f32 v3, v46, v142, -v3
	s_waitcnt vmcnt(51) lgkmcnt(1)
	v_mul_f32_e32 v73, v64, v154
	v_add_f32_e32 v2, v2, v3
	v_mul_f32_e32 v3, v49, v143
	s_waitcnt vmcnt(50)
	v_fmac_f32_e32 v73, v65, v155
	v_fma_f32 v3, v48, v141, -v3
	v_add_f32_e32 v72, v72, v73
	s_waitcnt vmcnt(48)
	v_mul_f32_e32 v73, v66, v157
	v_add_f32_e32 v2, v2, v3
	v_mul_f32_e32 v3, v51, v138
	v_fmac_f32_e32 v73, v67, v156
	v_fma_f32 v3, v50, v137, -v3
	v_add_f32_e32 v72, v72, v73
	s_waitcnt vmcnt(46) lgkmcnt(0)
	v_mul_f32_e32 v73, v68, v159
	v_add_f32_e32 v2, v2, v3
	v_mul_f32_e32 v3, v53, v140
	v_fmac_f32_e32 v73, v69, v158
	v_fma_f32 v3, v52, v139, -v3
	v_add_f32_e32 v76, v72, v73
	ds_read_b128 v[72:75], v1 offset:848
	v_add_f32_e32 v2, v2, v3
	v_mul_f32_e32 v3, v55, v145
	v_fma_f32 v3, v54, v144, -v3
	s_waitcnt vmcnt(44)
	v_mul_f32_e32 v77, v70, v161
	v_add_f32_e32 v2, v2, v3
	v_mul_f32_e32 v3, v57, v147
	v_fmac_f32_e32 v77, v71, v160
	v_fma_f32 v3, v56, v146, -v3
	v_add_f32_e32 v80, v76, v77
	ds_read_b128 v[76:79], v1 offset:864
	v_add_f32_e32 v2, v2, v3
	v_mul_f32_e32 v3, v59, v149
	s_waitcnt vmcnt(42) lgkmcnt(1)
	v_mul_f32_e32 v81, v72, v163
	v_fma_f32 v3, v58, v148, -v3
	v_fmac_f32_e32 v81, v73, v162
	v_add_f32_e32 v2, v2, v3
	v_mul_f32_e32 v3, v61, v151
	v_add_f32_e32 v80, v80, v81
	s_waitcnt vmcnt(41)
	v_mul_f32_e32 v81, v74, v164
	v_fma_f32 v3, v60, v150, -v3
	s_waitcnt vmcnt(38)
	v_fmac_f32_e32 v81, v75, v167
	v_add_f32_e32 v2, v2, v3
	v_mul_f32_e32 v3, v63, v153
	v_add_f32_e32 v80, v80, v81
	s_waitcnt lgkmcnt(0)
	v_mul_f32_e32 v81, v76, v166
	v_fma_f32 v3, v62, v152, -v3
	v_fmac_f32_e32 v81, v77, v165
	v_add_f32_e32 v2, v2, v3
	v_mul_f32_e32 v3, v65, v154
	v_add_f32_e32 v84, v80, v81
	ds_read_b128 v[80:83], v1 offset:880
	v_fma_f32 v3, v64, v155, -v3
	v_add_f32_e32 v2, v2, v3
	v_mul_f32_e32 v3, v67, v157
	s_waitcnt vmcnt(36)
	v_mul_f32_e32 v85, v78, v169
	v_fma_f32 v3, v66, v156, -v3
	v_fmac_f32_e32 v85, v79, v168
	v_add_f32_e32 v2, v2, v3
	v_mul_f32_e32 v3, v69, v159
	v_add_f32_e32 v88, v84, v85
	ds_read_b128 v[84:87], v1 offset:896
	v_fma_f32 v3, v68, v158, -v3
	s_waitcnt vmcnt(34) lgkmcnt(1)
	v_mul_f32_e32 v89, v80, v171
	v_add_f32_e32 v2, v2, v3
	v_mul_f32_e32 v3, v71, v161
	v_fmac_f32_e32 v89, v81, v170
	v_fma_f32 v3, v70, v160, -v3
	v_add_f32_e32 v88, v88, v89
	s_waitcnt vmcnt(33)
	v_mul_f32_e32 v89, v82, v172
	v_add_f32_e32 v2, v2, v3
	v_mul_f32_e32 v3, v73, v163
	s_waitcnt vmcnt(30)
	v_fmac_f32_e32 v89, v83, v175
	v_fma_f32 v3, v72, v162, -v3
	v_add_f32_e32 v88, v88, v89
	s_waitcnt lgkmcnt(0)
	v_mul_f32_e32 v89, v84, v174
	v_add_f32_e32 v2, v2, v3
	v_mul_f32_e32 v3, v75, v164
	v_fmac_f32_e32 v89, v85, v173
	v_fma_f32 v3, v74, v167, -v3
	v_add_f32_e32 v92, v88, v89
	ds_read_b128 v[88:91], v1 offset:912
	v_add_f32_e32 v2, v2, v3
	v_mul_f32_e32 v3, v77, v166
	v_fma_f32 v3, v76, v165, -v3
	s_waitcnt vmcnt(28)
	v_mul_f32_e32 v93, v86, v177
	v_add_f32_e32 v2, v2, v3
	v_mul_f32_e32 v3, v79, v169
	v_fmac_f32_e32 v93, v87, v176
	v_fma_f32 v3, v78, v168, -v3
	v_add_f32_e32 v96, v92, v93
	ds_read_b128 v[92:95], v1 offset:928
	v_add_f32_e32 v2, v2, v3
	v_mul_f32_e32 v3, v81, v171
	s_waitcnt vmcnt(26) lgkmcnt(1)
	v_mul_f32_e32 v97, v88, v179
	v_fma_f32 v3, v80, v170, -v3
	v_fmac_f32_e32 v97, v89, v178
	v_add_f32_e32 v2, v2, v3
	v_mul_f32_e32 v3, v83, v172
	v_add_f32_e32 v96, v96, v97
	s_waitcnt vmcnt(25)
	v_mul_f32_e32 v97, v90, v180
	v_fma_f32 v3, v82, v175, -v3
	s_waitcnt vmcnt(22)
	v_fmac_f32_e32 v97, v91, v183
	v_add_f32_e32 v2, v2, v3
	v_mul_f32_e32 v3, v85, v174
	v_add_f32_e32 v96, v96, v97
	s_waitcnt lgkmcnt(0)
	v_mul_f32_e32 v97, v92, v182
	v_fma_f32 v3, v84, v173, -v3
	v_fmac_f32_e32 v97, v93, v181
	v_add_f32_e32 v2, v2, v3
	v_mul_f32_e32 v3, v87, v177
	v_add_f32_e32 v100, v96, v97
	ds_read_b128 v[96:99], v1 offset:944
	v_fma_f32 v3, v86, v176, -v3
	v_add_f32_e32 v2, v2, v3
	v_mul_f32_e32 v3, v89, v179
	s_waitcnt vmcnt(20)
	v_mul_f32_e32 v101, v94, v185
	v_fma_f32 v3, v88, v178, -v3
	v_fmac_f32_e32 v101, v95, v184
	v_add_f32_e32 v2, v2, v3
	v_mul_f32_e32 v3, v91, v180
	v_add_f32_e32 v104, v100, v101
	ds_read_b128 v[100:103], v1 offset:960
	v_fma_f32 v3, v90, v183, -v3
	s_waitcnt vmcnt(18) lgkmcnt(1)
	v_mul_f32_e32 v105, v96, v187
	v_add_f32_e32 v2, v2, v3
	v_mul_f32_e32 v3, v93, v182
	v_fmac_f32_e32 v105, v97, v186
	v_fma_f32 v3, v92, v181, -v3
	v_add_f32_e32 v104, v104, v105
	s_waitcnt vmcnt(17)
	v_mul_f32_e32 v105, v98, v188
	v_add_f32_e32 v2, v2, v3
	v_mul_f32_e32 v3, v95, v185
	s_waitcnt vmcnt(14)
	v_fmac_f32_e32 v105, v99, v191
	v_fma_f32 v3, v94, v184, -v3
	v_add_f32_e32 v104, v104, v105
	s_waitcnt lgkmcnt(0)
	v_mul_f32_e32 v105, v100, v190
	v_add_f32_e32 v2, v2, v3
	v_mul_f32_e32 v3, v97, v187
	v_fmac_f32_e32 v105, v101, v189
	v_fma_f32 v3, v96, v186, -v3
	v_add_f32_e32 v108, v104, v105
	ds_read_b128 v[104:107], v1 offset:976
	v_add_f32_e32 v2, v2, v3
	v_mul_f32_e32 v3, v99, v188
	v_fma_f32 v3, v98, v191, -v3
	v_add_f32_e32 v2, v2, v3
	v_mul_f32_e32 v3, v101, v190
	s_waitcnt vmcnt(12)
	v_mul_f32_e32 v109, v102, v193
	v_fma_f32 v3, v100, v189, -v3
	v_fmac_f32_e32 v109, v103, v192
	v_add_f32_e32 v2, v2, v3
	v_mul_f32_e32 v3, v103, v193
	v_add_f32_e32 v112, v108, v109
	ds_read_b128 v[108:111], v1 offset:992
	s_waitcnt vmcnt(10) lgkmcnt(1)
	v_mul_f32_e32 v113, v104, v195
	v_fma_f32 v3, v102, v192, -v3
	v_fmac_f32_e32 v113, v105, v194
	v_add_f32_e32 v2, v2, v3
	v_mul_f32_e32 v3, v105, v195
	v_add_f32_e32 v112, v112, v113
	s_waitcnt vmcnt(9)
	v_mul_f32_e32 v113, v106, v196
	v_fma_f32 v3, v104, v194, -v3
	s_waitcnt vmcnt(6)
	v_fmac_f32_e32 v113, v107, v199
	v_add_f32_e32 v2, v2, v3
	v_mul_f32_e32 v3, v107, v196
	v_add_f32_e32 v206, v112, v113
	ds_read_b128 v[112:115], v1 offset:1008
	v_fma_f32 v3, v106, v199, -v3
	v_add_f32_e32 v2, v2, v3
	s_waitcnt lgkmcnt(1)
	v_mul_f32_e32 v3, v109, v198
	v_mul_f32_e32 v207, v108, v198
	v_fma_f32 v3, v108, v197, -v3
	v_fmac_f32_e32 v207, v109, v197
	v_add_f32_e32 v2, v2, v3
	s_waitcnt vmcnt(4)
	v_mul_f32_e32 v3, v111, v201
	v_add_f32_e32 v1, v206, v207
	v_mul_f32_e32 v206, v110, v201
	v_fma_f32 v3, v110, v200, -v3
	v_fmac_f32_e32 v206, v111, v200
	v_add_f32_e32 v2, v2, v3
	s_waitcnt vmcnt(3) lgkmcnt(0)
	v_mul_f32_e32 v3, v113, v202
	v_add_f32_e32 v1, v1, v206
	v_mul_f32_e32 v206, v112, v202
	s_waitcnt vmcnt(0)
	v_fma_f32 v3, v112, v205, -v3
	v_fmac_f32_e32 v206, v113, v205
	v_add_f32_e32 v2, v2, v3
	v_mul_f32_e32 v3, v115, v204
	v_add_f32_e32 v1, v1, v206
	v_mul_f32_e32 v206, v114, v204
	v_fma_f32 v3, v114, v203, -v3
	v_fmac_f32_e32 v206, v115, v203
	v_add_f32_e32 v2, v2, v3
	v_add_f32_e32 v1, v1, v206
	v_sub_f32_e32 v2, v9, v2
	v_sub_f32_e32 v1, v10, v1
	buffer_store_dword v2, off, s[0:3], 0 offset:104
	buffer_store_dword v1, off, s[0:3], 0 offset:108
	s_and_saveexec_b64 s[4:5], vcc
	s_cbranch_execz .LBB127_373
; %bb.372:
	buffer_load_dword v1, off, s[0:3], 0 offset:96
	buffer_load_dword v2, off, s[0:3], 0 offset:100
	v_mov_b32_e32 v3, 0
	buffer_store_dword v3, off, s[0:3], 0 offset:96
	buffer_store_dword v3, off, s[0:3], 0 offset:100
	s_waitcnt vmcnt(2)
	ds_write_b64 v249, v[1:2]
.LBB127_373:
	s_or_b64 exec, exec, s[4:5]
	s_waitcnt lgkmcnt(0)
	; wave barrier
	buffer_load_dword v10, off, s[0:3], 0 offset:108
	buffer_load_dword v9, off, s[0:3], 0 offset:116
	;; [unrolled: 1-line block ×50, first 2 shown]
	v_mov_b32_e32 v1, 0
	ds_read2_b64 v[17:20], v1 offset0:77 offset1:78
	ds_read2_b64 v[21:24], v1 offset0:79 offset1:80
	;; [unrolled: 1-line block ×6, first 2 shown]
	v_cmp_lt_u32_e32 vcc, 11, v0
	s_waitcnt vmcnt(49) lgkmcnt(5)
	v_mul_f32_e32 v41, v17, v10
	s_waitcnt vmcnt(48)
	v_mul_f32_e32 v42, v19, v9
	s_waitcnt vmcnt(47) lgkmcnt(4)
	v_mul_f32_e32 v43, v21, v6
	s_waitcnt vmcnt(46)
	v_mul_f32_e32 v44, v23, v5
	;; [unrolled: 4-line block ×6, first 2 shown]
	s_waitcnt vmcnt(37)
	v_fmac_f32_e32 v43, v22, v119
	s_waitcnt vmcnt(36)
	v_fmac_f32_e32 v42, v20, v120
	;; [unrolled: 2-line block ×3, first 2 shown]
	v_add_f32_e32 v41, 0, v41
	v_add_f32_e32 v41, v41, v42
	;; [unrolled: 1-line block ×3, first 2 shown]
	s_waitcnt vmcnt(31)
	v_fmac_f32_e32 v44, v24, v127
	v_fmac_f32_e32 v45, v26, v126
	v_add_f32_e32 v41, v41, v44
	v_fmac_f32_e32 v46, v28, v125
	v_add_f32_e32 v41, v41, v45
	;; [unrolled: 2-line block ×3, first 2 shown]
	s_waitcnt vmcnt(27)
	v_fmac_f32_e32 v48, v32, v130
	v_add_f32_e32 v41, v41, v47
	v_fmac_f32_e32 v49, v34, v129
	v_add_f32_e32 v41, v41, v48
	;; [unrolled: 2-line block ×4, first 2 shown]
	v_add_f32_e32 v45, v41, v51
	ds_read2_b64 v[41:44], v1 offset0:89 offset1:90
	s_waitcnt vmcnt(23)
	v_fmac_f32_e32 v52, v40, v134
	v_add_f32_e32 v49, v45, v52
	buffer_load_dword v156, off, s[0:3], 0 offset:296
	buffer_load_dword v157, off, s[0:3], 0 offset:300
	ds_read2_b64 v[45:48], v1 offset0:91 offset1:92
	s_waitcnt vmcnt(24) lgkmcnt(1)
	v_mul_f32_e32 v50, v41, v135
	v_fmac_f32_e32 v50, v42, v133
	v_add_f32_e32 v49, v49, v50
	s_waitcnt vmcnt(23)
	v_mul_f32_e32 v50, v43, v136
	v_fmac_f32_e32 v50, v44, v132
	buffer_load_dword v158, off, s[0:3], 0 offset:308
	buffer_load_dword v159, off, s[0:3], 0 offset:304
	;; [unrolled: 1-line block ×4, first 2 shown]
	v_add_f32_e32 v49, v49, v50
	s_waitcnt vmcnt(26) lgkmcnt(0)
	v_mul_f32_e32 v50, v45, v137
	v_fmac_f32_e32 v50, v46, v131
	s_waitcnt vmcnt(25)
	v_mul_f32_e32 v54, v47, v138
	v_add_f32_e32 v53, v49, v50
	s_waitcnt vmcnt(18)
	v_fmac_f32_e32 v54, v48, v145
	ds_read2_b64 v[49:52], v1 offset0:93 offset1:94
	v_add_f32_e32 v57, v53, v54
	ds_read2_b64 v[53:56], v1 offset0:95 offset1:96
	buffer_load_dword v162, off, s[0:3], 0 offset:320
	buffer_load_dword v163, off, s[0:3], 0 offset:324
	;; [unrolled: 1-line block ×8, first 2 shown]
	s_waitcnt lgkmcnt(1)
	v_mul_f32_e32 v58, v49, v140
	buffer_load_dword v170, off, s[0:3], 0 offset:352
	buffer_load_dword v171, off, s[0:3], 0 offset:356
	v_fmac_f32_e32 v58, v50, v139
	v_add_f32_e32 v57, v57, v58
	v_mul_f32_e32 v58, v51, v142
	v_fmac_f32_e32 v58, v52, v141
	v_add_f32_e32 v57, v57, v58
	s_waitcnt lgkmcnt(0)
	v_mul_f32_e32 v58, v53, v144
	v_fmac_f32_e32 v58, v54, v143
	v_add_f32_e32 v61, v57, v58
	ds_read2_b64 v[57:60], v1 offset0:97 offset1:98
	buffer_load_dword v172, off, s[0:3], 0 offset:360
	buffer_load_dword v173, off, s[0:3], 0 offset:364
	;; [unrolled: 1-line block ×6, first 2 shown]
	s_waitcnt vmcnt(30)
	v_mul_f32_e32 v62, v55, v147
	v_fmac_f32_e32 v62, v56, v146
	v_add_f32_e32 v65, v61, v62
	ds_read2_b64 v[61:64], v1 offset0:99 offset1:100
	buffer_load_dword v178, off, s[0:3], 0 offset:384
	buffer_load_dword v179, off, s[0:3], 0 offset:388
	buffer_load_dword v180, off, s[0:3], 0 offset:392
	buffer_load_dword v181, off, s[0:3], 0 offset:396
	buffer_load_dword v182, off, s[0:3], 0 offset:404
	buffer_load_dword v183, off, s[0:3], 0 offset:408
	buffer_load_dword v184, off, s[0:3], 0 offset:412
	buffer_load_dword v185, off, s[0:3], 0 offset:400
	s_waitcnt vmcnt(36) lgkmcnt(1)
	v_mul_f32_e32 v66, v57, v149
	buffer_load_dword v186, off, s[0:3], 0 offset:416
	buffer_load_dword v187, off, s[0:3], 0 offset:420
	v_fmac_f32_e32 v66, v58, v148
	v_add_f32_e32 v65, v65, v66
	s_waitcnt vmcnt(36)
	v_mul_f32_e32 v66, v59, v151
	v_fmac_f32_e32 v66, v60, v150
	v_add_f32_e32 v65, v65, v66
	s_waitcnt vmcnt(34) lgkmcnt(0)
	v_mul_f32_e32 v66, v61, v153
	v_fmac_f32_e32 v66, v62, v152
	v_add_f32_e32 v69, v65, v66
	ds_read2_b64 v[65:68], v1 offset0:101 offset1:102
	buffer_load_dword v188, off, s[0:3], 0 offset:424
	buffer_load_dword v189, off, s[0:3], 0 offset:428
	;; [unrolled: 1-line block ×6, first 2 shown]
	s_waitcnt vmcnt(38)
	v_mul_f32_e32 v70, v63, v155
	v_fmac_f32_e32 v70, v64, v154
	v_add_f32_e32 v73, v69, v70
	ds_read2_b64 v[69:72], v1 offset0:103 offset1:104
	buffer_load_dword v194, off, s[0:3], 0 offset:448
	buffer_load_dword v195, off, s[0:3], 0 offset:452
	v_mul_f32_e32 v10, v18, v10
	v_fma_f32 v10, v17, v123, -v10
	v_mul_f32_e32 v9, v20, v9
	buffer_load_dword v196, off, s[0:3], 0 offset:456
	buffer_load_dword v197, off, s[0:3], 0 offset:460
	;; [unrolled: 1-line block ×6, first 2 shown]
	v_add_f32_e32 v10, 0, v10
	v_fma_f32 v9, v19, v120, -v9
	v_mul_f32_e32 v6, v22, v6
	v_add_f32_e32 v9, v10, v9
	v_fma_f32 v6, v21, v119, -v6
	v_mul_f32_e32 v5, v24, v5
	;; [unrolled: 3-line block ×5, first 2 shown]
	buffer_load_dword v202, off, s[0:3], 0 offset:480
	buffer_load_dword v203, off, s[0:3], 0 offset:484
	v_add_f32_e32 v3, v4, v3
	v_fma_f32 v2, v29, v124, -v2
	v_add_f32_e32 v2, v3, v2
	v_mul_f32_e32 v3, v32, v11
	v_fma_f32 v3, v31, v130, -v3
	v_add_f32_e32 v2, v2, v3
	v_mul_f32_e32 v3, v34, v12
	;; [unrolled: 3-line block ×3, first 2 shown]
	buffer_load_dword v204, off, s[0:3], 0 offset:488
	buffer_load_dword v205, off, s[0:3], 0 offset:492
	;; [unrolled: 1-line block ×6, first 2 shown]
	v_fma_f32 v3, v35, v128, -v3
	v_add_f32_e32 v2, v2, v3
	v_mul_f32_e32 v3, v38, v14
	v_fma_f32 v3, v37, v16, -v3
	v_add_f32_e32 v2, v2, v3
	v_mul_f32_e32 v3, v40, v15
	;; [unrolled: 3-line block ×5, first 2 shown]
	v_fma_f32 v3, v45, v131, -v3
	s_waitcnt vmcnt(52) lgkmcnt(1)
	v_mul_f32_e32 v74, v65, v157
	v_add_f32_e32 v2, v2, v3
	v_mul_f32_e32 v3, v48, v138
	v_fmac_f32_e32 v74, v66, v156
	v_fma_f32 v3, v47, v145, -v3
	v_add_f32_e32 v73, v73, v74
	s_waitcnt vmcnt(51)
	v_mul_f32_e32 v74, v67, v158
	v_add_f32_e32 v2, v2, v3
	v_mul_f32_e32 v3, v50, v140
	s_waitcnt vmcnt(50)
	v_fmac_f32_e32 v74, v68, v159
	v_fma_f32 v3, v49, v139, -v3
	v_add_f32_e32 v73, v73, v74
	s_waitcnt vmcnt(48) lgkmcnt(0)
	v_mul_f32_e32 v74, v69, v161
	v_add_f32_e32 v2, v2, v3
	v_mul_f32_e32 v3, v52, v142
	v_fmac_f32_e32 v74, v70, v160
	v_fma_f32 v3, v51, v141, -v3
	v_add_f32_e32 v77, v73, v74
	ds_read2_b64 v[73:76], v1 offset0:105 offset1:106
	v_add_f32_e32 v2, v2, v3
	v_mul_f32_e32 v3, v54, v144
	v_fma_f32 v3, v53, v143, -v3
	s_waitcnt vmcnt(46)
	v_mul_f32_e32 v78, v71, v163
	v_add_f32_e32 v2, v2, v3
	v_mul_f32_e32 v3, v56, v147
	v_fmac_f32_e32 v78, v72, v162
	v_fma_f32 v3, v55, v146, -v3
	v_add_f32_e32 v81, v77, v78
	ds_read2_b64 v[77:80], v1 offset0:107 offset1:108
	v_add_f32_e32 v2, v2, v3
	v_mul_f32_e32 v3, v58, v149
	s_waitcnt vmcnt(44) lgkmcnt(1)
	v_mul_f32_e32 v82, v73, v165
	v_fma_f32 v3, v57, v148, -v3
	v_fmac_f32_e32 v82, v74, v164
	v_add_f32_e32 v2, v2, v3
	v_mul_f32_e32 v3, v60, v151
	v_add_f32_e32 v81, v81, v82
	s_waitcnt vmcnt(43)
	v_mul_f32_e32 v82, v75, v166
	v_fma_f32 v3, v59, v150, -v3
	s_waitcnt vmcnt(40)
	v_fmac_f32_e32 v82, v76, v169
	v_add_f32_e32 v2, v2, v3
	v_mul_f32_e32 v3, v62, v153
	v_add_f32_e32 v81, v81, v82
	s_waitcnt lgkmcnt(0)
	v_mul_f32_e32 v82, v77, v168
	v_fma_f32 v3, v61, v152, -v3
	v_fmac_f32_e32 v82, v78, v167
	v_add_f32_e32 v2, v2, v3
	v_mul_f32_e32 v3, v64, v155
	v_add_f32_e32 v85, v81, v82
	ds_read2_b64 v[81:84], v1 offset0:109 offset1:110
	v_fma_f32 v3, v63, v154, -v3
	v_add_f32_e32 v2, v2, v3
	v_mul_f32_e32 v3, v66, v157
	s_waitcnt vmcnt(38)
	v_mul_f32_e32 v86, v79, v171
	v_fma_f32 v3, v65, v156, -v3
	v_fmac_f32_e32 v86, v80, v170
	v_add_f32_e32 v2, v2, v3
	v_mul_f32_e32 v3, v68, v158
	v_add_f32_e32 v89, v85, v86
	ds_read2_b64 v[85:88], v1 offset0:111 offset1:112
	v_fma_f32 v3, v67, v159, -v3
	s_waitcnt vmcnt(36) lgkmcnt(1)
	v_mul_f32_e32 v90, v81, v173
	v_add_f32_e32 v2, v2, v3
	v_mul_f32_e32 v3, v70, v161
	v_fmac_f32_e32 v90, v82, v172
	v_fma_f32 v3, v69, v160, -v3
	v_add_f32_e32 v89, v89, v90
	s_waitcnt vmcnt(35)
	v_mul_f32_e32 v90, v83, v174
	v_add_f32_e32 v2, v2, v3
	v_mul_f32_e32 v3, v72, v163
	s_waitcnt vmcnt(32)
	v_fmac_f32_e32 v90, v84, v177
	v_fma_f32 v3, v71, v162, -v3
	v_add_f32_e32 v89, v89, v90
	s_waitcnt lgkmcnt(0)
	v_mul_f32_e32 v90, v85, v176
	v_add_f32_e32 v2, v2, v3
	v_mul_f32_e32 v3, v74, v165
	v_fmac_f32_e32 v90, v86, v175
	v_fma_f32 v3, v73, v164, -v3
	v_add_f32_e32 v93, v89, v90
	ds_read2_b64 v[89:92], v1 offset0:113 offset1:114
	v_add_f32_e32 v2, v2, v3
	v_mul_f32_e32 v3, v76, v166
	v_fma_f32 v3, v75, v169, -v3
	s_waitcnt vmcnt(30)
	v_mul_f32_e32 v94, v87, v179
	v_add_f32_e32 v2, v2, v3
	v_mul_f32_e32 v3, v78, v168
	v_fmac_f32_e32 v94, v88, v178
	v_fma_f32 v3, v77, v167, -v3
	v_add_f32_e32 v97, v93, v94
	ds_read2_b64 v[93:96], v1 offset0:115 offset1:116
	v_add_f32_e32 v2, v2, v3
	v_mul_f32_e32 v3, v80, v171
	s_waitcnt vmcnt(28) lgkmcnt(1)
	v_mul_f32_e32 v98, v89, v181
	v_fma_f32 v3, v79, v170, -v3
	v_fmac_f32_e32 v98, v90, v180
	v_add_f32_e32 v2, v2, v3
	v_mul_f32_e32 v3, v82, v173
	v_add_f32_e32 v97, v97, v98
	s_waitcnt vmcnt(27)
	v_mul_f32_e32 v98, v91, v182
	v_fma_f32 v3, v81, v172, -v3
	s_waitcnt vmcnt(24)
	v_fmac_f32_e32 v98, v92, v185
	v_add_f32_e32 v2, v2, v3
	v_mul_f32_e32 v3, v84, v174
	v_add_f32_e32 v97, v97, v98
	s_waitcnt lgkmcnt(0)
	v_mul_f32_e32 v98, v93, v184
	v_fma_f32 v3, v83, v177, -v3
	v_fmac_f32_e32 v98, v94, v183
	v_add_f32_e32 v2, v2, v3
	v_mul_f32_e32 v3, v86, v176
	v_add_f32_e32 v101, v97, v98
	ds_read2_b64 v[97:100], v1 offset0:117 offset1:118
	v_fma_f32 v3, v85, v175, -v3
	v_add_f32_e32 v2, v2, v3
	v_mul_f32_e32 v3, v88, v179
	s_waitcnt vmcnt(22)
	v_mul_f32_e32 v102, v95, v187
	v_fma_f32 v3, v87, v178, -v3
	v_fmac_f32_e32 v102, v96, v186
	v_add_f32_e32 v2, v2, v3
	v_mul_f32_e32 v3, v90, v181
	v_add_f32_e32 v105, v101, v102
	ds_read2_b64 v[101:104], v1 offset0:119 offset1:120
	v_fma_f32 v3, v89, v180, -v3
	s_waitcnt vmcnt(20) lgkmcnt(1)
	v_mul_f32_e32 v106, v97, v189
	v_add_f32_e32 v2, v2, v3
	v_mul_f32_e32 v3, v92, v182
	v_fmac_f32_e32 v106, v98, v188
	v_fma_f32 v3, v91, v185, -v3
	v_add_f32_e32 v105, v105, v106
	s_waitcnt vmcnt(19)
	v_mul_f32_e32 v106, v99, v190
	v_add_f32_e32 v2, v2, v3
	v_mul_f32_e32 v3, v94, v184
	s_waitcnt vmcnt(16)
	v_fmac_f32_e32 v106, v100, v193
	v_fma_f32 v3, v93, v183, -v3
	v_add_f32_e32 v105, v105, v106
	s_waitcnt lgkmcnt(0)
	v_mul_f32_e32 v106, v101, v192
	v_add_f32_e32 v2, v2, v3
	v_mul_f32_e32 v3, v96, v187
	v_fmac_f32_e32 v106, v102, v191
	v_fma_f32 v3, v95, v186, -v3
	v_add_f32_e32 v109, v105, v106
	ds_read2_b64 v[105:108], v1 offset0:121 offset1:122
	v_add_f32_e32 v2, v2, v3
	v_mul_f32_e32 v3, v98, v189
	v_fma_f32 v3, v97, v188, -v3
	s_waitcnt vmcnt(14)
	v_mul_f32_e32 v110, v103, v195
	v_add_f32_e32 v2, v2, v3
	v_mul_f32_e32 v3, v100, v190
	v_fmac_f32_e32 v110, v104, v194
	v_fma_f32 v3, v99, v193, -v3
	v_add_f32_e32 v113, v109, v110
	ds_read2_b64 v[109:112], v1 offset0:123 offset1:124
	v_add_f32_e32 v2, v2, v3
	v_mul_f32_e32 v3, v102, v192
	s_waitcnt vmcnt(12) lgkmcnt(1)
	v_mul_f32_e32 v114, v105, v197
	v_fma_f32 v3, v101, v191, -v3
	v_fmac_f32_e32 v114, v106, v196
	v_add_f32_e32 v2, v2, v3
	v_mul_f32_e32 v3, v104, v195
	v_add_f32_e32 v113, v113, v114
	s_waitcnt vmcnt(11)
	v_mul_f32_e32 v114, v107, v198
	v_fma_f32 v3, v103, v194, -v3
	s_waitcnt vmcnt(8)
	v_fmac_f32_e32 v114, v108, v201
	v_add_f32_e32 v2, v2, v3
	v_mul_f32_e32 v3, v106, v197
	v_add_f32_e32 v113, v113, v114
	s_waitcnt lgkmcnt(0)
	v_mul_f32_e32 v114, v109, v200
	v_fma_f32 v3, v105, v196, -v3
	v_fmac_f32_e32 v114, v110, v199
	v_add_f32_e32 v2, v2, v3
	v_mul_f32_e32 v3, v108, v198
	v_add_f32_e32 v117, v113, v114
	ds_read2_b64 v[113:116], v1 offset0:125 offset1:126
	v_fma_f32 v3, v107, v201, -v3
	v_add_f32_e32 v2, v2, v3
	v_mul_f32_e32 v3, v110, v200
	s_waitcnt vmcnt(6)
	v_mul_f32_e32 v118, v111, v203
	v_fma_f32 v3, v109, v199, -v3
	v_fmac_f32_e32 v118, v112, v202
	v_add_f32_e32 v2, v2, v3
	v_mul_f32_e32 v3, v112, v203
	v_add_f32_e32 v210, v117, v118
	ds_read_b64 v[117:118], v1 offset:1016
	v_fma_f32 v3, v111, v202, -v3
	v_add_f32_e32 v2, v2, v3
	s_waitcnt vmcnt(4) lgkmcnt(1)
	v_mul_f32_e32 v3, v114, v205
	v_mul_f32_e32 v211, v113, v205
	v_fma_f32 v3, v113, v204, -v3
	v_fmac_f32_e32 v211, v114, v204
	v_add_f32_e32 v2, v2, v3
	s_waitcnt vmcnt(3)
	v_mul_f32_e32 v3, v116, v206
	v_add_f32_e32 v210, v210, v211
	v_mul_f32_e32 v211, v115, v206
	s_waitcnt vmcnt(0)
	v_fma_f32 v3, v115, v209, -v3
	v_fmac_f32_e32 v211, v116, v209
	v_add_f32_e32 v2, v2, v3
	s_waitcnt lgkmcnt(0)
	v_mul_f32_e32 v3, v118, v208
	v_add_f32_e32 v210, v210, v211
	v_mul_f32_e32 v211, v117, v208
	v_fma_f32 v3, v117, v207, -v3
	v_fmac_f32_e32 v211, v118, v207
	v_add_f32_e32 v2, v2, v3
	v_add_f32_e32 v210, v210, v211
	v_sub_f32_e32 v2, v7, v2
	v_sub_f32_e32 v3, v8, v210
	buffer_store_dword v2, off, s[0:3], 0 offset:96
	buffer_store_dword v3, off, s[0:3], 0 offset:100
	s_and_saveexec_b64 s[4:5], vcc
	s_cbranch_execz .LBB127_375
; %bb.374:
	buffer_load_dword v2, off, s[0:3], 0 offset:88
	buffer_load_dword v3, off, s[0:3], 0 offset:92
	s_waitcnt vmcnt(0)
	ds_write_b64 v249, v[2:3]
	buffer_store_dword v1, off, s[0:3], 0 offset:88
	buffer_store_dword v1, off, s[0:3], 0 offset:92
.LBB127_375:
	s_or_b64 exec, exec, s[4:5]
	s_waitcnt lgkmcnt(0)
	; wave barrier
	buffer_load_dword v10, off, s[0:3], 0 offset:100
	buffer_load_dword v7, off, s[0:3], 0 offset:108
	;; [unrolled: 1-line block ×40, first 2 shown]
	ds_read_b128 v[25:28], v1 offset:608
	ds_read_b128 v[29:32], v1 offset:624
	;; [unrolled: 1-line block ×6, first 2 shown]
	buffer_load_dword v148, off, s[0:3], 0 offset:248
	buffer_load_dword v149, off, s[0:3], 0 offset:252
	;; [unrolled: 1-line block ×12, first 2 shown]
	v_cmp_lt_u32_e32 vcc, 10, v0
	s_waitcnt vmcnt(51) lgkmcnt(5)
	v_mul_f32_e32 v49, v25, v10
	s_waitcnt vmcnt(50)
	v_mul_f32_e32 v50, v27, v7
	s_waitcnt vmcnt(49) lgkmcnt(4)
	v_mul_f32_e32 v51, v29, v6
	s_waitcnt vmcnt(48)
	v_mul_f32_e32 v52, v31, v5
	;; [unrolled: 4-line block ×5, first 2 shown]
	s_waitcnt vmcnt(41) lgkmcnt(0)
	v_mul_f32_e32 v59, v45, v14
	s_waitcnt vmcnt(40)
	v_fmac_f32_e32 v51, v30, v21
	s_waitcnt vmcnt(39)
	v_fmac_f32_e32 v50, v28, v24
	;; [unrolled: 2-line block ×3, first 2 shown]
	v_add_f32_e32 v49, 0, v49
	v_add_f32_e32 v49, v49, v50
	;; [unrolled: 1-line block ×3, first 2 shown]
	s_waitcnt vmcnt(34)
	v_fmac_f32_e32 v52, v32, v132
	v_fmac_f32_e32 v53, v34, v23
	v_add_f32_e32 v49, v49, v52
	v_fmac_f32_e32 v54, v36, v20
	v_add_f32_e32 v49, v49, v53
	;; [unrolled: 2-line block ×3, first 2 shown]
	s_waitcnt vmcnt(30)
	v_fmac_f32_e32 v56, v40, v22
	v_add_f32_e32 v49, v49, v55
	v_fmac_f32_e32 v57, v42, v19
	v_add_f32_e32 v49, v49, v56
	;; [unrolled: 2-line block ×4, first 2 shown]
	v_add_f32_e32 v53, v49, v59
	ds_read_b128 v[49:52], v1 offset:704
	s_waitcnt vmcnt(29)
	v_mul_f32_e32 v54, v47, v18
	s_waitcnt vmcnt(25)
	v_fmac_f32_e32 v54, v48, v136
	v_add_f32_e32 v57, v53, v54
	ds_read_b128 v[53:56], v1 offset:720
	s_waitcnt vmcnt(24) lgkmcnt(1)
	v_mul_f32_e32 v58, v49, v137
	v_fmac_f32_e32 v58, v50, v135
	v_add_f32_e32 v57, v57, v58
	s_waitcnt vmcnt(23)
	v_mul_f32_e32 v58, v51, v138
	buffer_load_dword v160, off, s[0:3], 0 offset:296
	buffer_load_dword v161, off, s[0:3], 0 offset:300
	v_fmac_f32_e32 v58, v52, v134
	v_add_f32_e32 v57, v57, v58
	s_waitcnt vmcnt(24) lgkmcnt(0)
	v_mul_f32_e32 v58, v53, v139
	buffer_load_dword v162, off, s[0:3], 0 offset:304
	buffer_load_dword v163, off, s[0:3], 0 offset:308
	v_fmac_f32_e32 v58, v54, v133
	v_add_f32_e32 v61, v57, v58
	ds_read_b128 v[57:60], v1 offset:736
	buffer_load_dword v164, off, s[0:3], 0 offset:312
	buffer_load_dword v165, off, s[0:3], 0 offset:316
	s_waitcnt vmcnt(27)
	v_mul_f32_e32 v62, v55, v140
	s_waitcnt vmcnt(21)
	v_fmac_f32_e32 v62, v56, v146
	v_add_f32_e32 v65, v61, v62
	ds_read_b128 v[61:64], v1 offset:752
	s_waitcnt vmcnt(20) lgkmcnt(1)
	v_mul_f32_e32 v66, v57, v147
	v_fmac_f32_e32 v66, v58, v145
	buffer_load_dword v166, off, s[0:3], 0 offset:320
	buffer_load_dword v167, off, s[0:3], 0 offset:324
	;; [unrolled: 1-line block ×6, first 2 shown]
	v_add_f32_e32 v65, v65, v66
	v_mul_f32_e32 v66, v59, v142
	v_fmac_f32_e32 v66, v60, v141
	v_add_f32_e32 v65, v65, v66
	s_waitcnt lgkmcnt(0)
	v_mul_f32_e32 v66, v61, v144
	v_fmac_f32_e32 v66, v62, v143
	v_add_f32_e32 v69, v65, v66
	ds_read_b128 v[65:68], v1 offset:768
	buffer_load_dword v172, off, s[0:3], 0 offset:344
	buffer_load_dword v173, off, s[0:3], 0 offset:348
	s_waitcnt vmcnt(24)
	v_mul_f32_e32 v70, v63, v149
	v_fmac_f32_e32 v70, v64, v148
	v_add_f32_e32 v73, v69, v70
	ds_read_b128 v[69:72], v1 offset:784
	buffer_load_dword v174, off, s[0:3], 0 offset:352
	buffer_load_dword v175, off, s[0:3], 0 offset:356
	;; [unrolled: 1-line block ×14, first 2 shown]
	s_waitcnt vmcnt(36) lgkmcnt(1)
	v_mul_f32_e32 v74, v65, v151
	buffer_load_dword v188, off, s[0:3], 0 offset:408
	buffer_load_dword v189, off, s[0:3], 0 offset:412
	v_fmac_f32_e32 v74, v66, v150
	v_add_f32_e32 v73, v73, v74
	s_waitcnt vmcnt(36)
	v_mul_f32_e32 v74, v67, v153
	v_fmac_f32_e32 v74, v68, v152
	v_add_f32_e32 v73, v73, v74
	s_waitcnt vmcnt(34) lgkmcnt(0)
	v_mul_f32_e32 v74, v69, v155
	v_fmac_f32_e32 v74, v70, v154
	v_add_f32_e32 v77, v73, v74
	ds_read_b128 v[73:76], v1 offset:800
	buffer_load_dword v190, off, s[0:3], 0 offset:416
	buffer_load_dword v191, off, s[0:3], 0 offset:420
	;; [unrolled: 1-line block ×6, first 2 shown]
	s_waitcnt vmcnt(38)
	v_mul_f32_e32 v78, v71, v157
	v_fmac_f32_e32 v78, v72, v156
	v_add_f32_e32 v81, v77, v78
	ds_read_b128 v[77:80], v1 offset:816
	buffer_load_dword v196, off, s[0:3], 0 offset:440
	buffer_load_dword v197, off, s[0:3], 0 offset:444
	v_mul_f32_e32 v10, v26, v10
	v_fma_f32 v10, v25, v131, -v10
	v_mul_f32_e32 v7, v28, v7
	buffer_load_dword v198, off, s[0:3], 0 offset:448
	buffer_load_dword v199, off, s[0:3], 0 offset:452
	;; [unrolled: 1-line block ×6, first 2 shown]
	v_add_f32_e32 v10, 0, v10
	v_fma_f32 v7, v27, v24, -v7
	v_mul_f32_e32 v6, v30, v6
	v_add_f32_e32 v7, v10, v7
	v_fma_f32 v6, v29, v21, -v6
	v_mul_f32_e32 v5, v32, v5
	;; [unrolled: 3-line block ×5, first 2 shown]
	buffer_load_dword v204, off, s[0:3], 0 offset:472
	buffer_load_dword v205, off, s[0:3], 0 offset:476
	v_add_f32_e32 v3, v4, v3
	v_fma_f32 v2, v37, v17, -v2
	v_add_f32_e32 v2, v3, v2
	v_mul_f32_e32 v3, v40, v11
	s_waitcnt vmcnt(46) lgkmcnt(1)
	v_mul_f32_e32 v82, v73, v159
	v_fma_f32 v3, v39, v22, -v3
	v_fmac_f32_e32 v82, v74, v158
	v_add_f32_e32 v2, v2, v3
	v_mul_f32_e32 v3, v42, v12
	v_add_f32_e32 v81, v81, v82
	v_fma_f32 v3, v41, v19, -v3
	s_waitcnt vmcnt(44)
	v_mul_f32_e32 v82, v75, v161
	v_fmac_f32_e32 v82, v76, v160
	v_add_f32_e32 v2, v2, v3
	v_mul_f32_e32 v3, v44, v13
	v_add_f32_e32 v81, v81, v82
	s_waitcnt vmcnt(42) lgkmcnt(0)
	v_mul_f32_e32 v82, v77, v163
	buffer_load_dword v206, off, s[0:3], 0 offset:480
	buffer_load_dword v207, off, s[0:3], 0 offset:484
	;; [unrolled: 1-line block ×6, first 2 shown]
	v_fma_f32 v3, v43, v16, -v3
	v_fmac_f32_e32 v82, v78, v162
	s_waitcnt vmcnt(46)
	v_mul_f32_e32 v86, v79, v165
	v_add_f32_e32 v2, v2, v3
	v_mul_f32_e32 v3, v46, v14
	v_add_f32_e32 v85, v81, v82
	v_fmac_f32_e32 v86, v80, v164
	v_fma_f32 v3, v45, v15, -v3
	ds_read_b128 v[81:84], v1 offset:832
	v_add_f32_e32 v89, v85, v86
	ds_read_b128 v[85:88], v1 offset:848
	buffer_load_dword v212, off, s[0:3], 0 offset:504
	buffer_load_dword v213, off, s[0:3], 0 offset:508
	v_add_f32_e32 v2, v2, v3
	v_mul_f32_e32 v3, v48, v18
	v_fma_f32 v3, v47, v136, -v3
	v_add_f32_e32 v2, v2, v3
	v_mul_f32_e32 v3, v50, v137
	v_fma_f32 v3, v49, v135, -v3
	v_add_f32_e32 v2, v2, v3
	v_mul_f32_e32 v3, v52, v138
	v_fma_f32 v3, v51, v134, -v3
	v_add_f32_e32 v2, v2, v3
	v_mul_f32_e32 v3, v54, v139
	v_fma_f32 v3, v53, v133, -v3
	v_add_f32_e32 v2, v2, v3
	v_mul_f32_e32 v3, v56, v140
	v_fma_f32 v3, v55, v146, -v3
	v_add_f32_e32 v2, v2, v3
	v_mul_f32_e32 v3, v58, v147
	v_fma_f32 v3, v57, v145, -v3
	v_add_f32_e32 v2, v2, v3
	v_mul_f32_e32 v3, v60, v142
	v_fma_f32 v3, v59, v141, -v3
	v_add_f32_e32 v2, v2, v3
	v_mul_f32_e32 v3, v62, v144
	v_fma_f32 v3, v61, v143, -v3
	v_add_f32_e32 v2, v2, v3
	v_mul_f32_e32 v3, v64, v149
	v_fma_f32 v3, v63, v148, -v3
	v_add_f32_e32 v2, v2, v3
	v_mul_f32_e32 v3, v66, v151
	s_waitcnt vmcnt(46) lgkmcnt(1)
	v_mul_f32_e32 v90, v81, v167
	v_fma_f32 v3, v65, v150, -v3
	v_fmac_f32_e32 v90, v82, v166
	v_add_f32_e32 v2, v2, v3
	v_mul_f32_e32 v3, v68, v153
	v_add_f32_e32 v89, v89, v90
	s_waitcnt vmcnt(45)
	v_mul_f32_e32 v90, v83, v168
	v_fma_f32 v3, v67, v152, -v3
	s_waitcnt vmcnt(42)
	v_fmac_f32_e32 v90, v84, v171
	v_add_f32_e32 v2, v2, v3
	v_mul_f32_e32 v3, v70, v155
	v_add_f32_e32 v89, v89, v90
	s_waitcnt lgkmcnt(0)
	v_mul_f32_e32 v90, v85, v170
	v_fma_f32 v3, v69, v154, -v3
	v_fmac_f32_e32 v90, v86, v169
	v_add_f32_e32 v2, v2, v3
	v_mul_f32_e32 v3, v72, v157
	v_add_f32_e32 v93, v89, v90
	ds_read_b128 v[89:92], v1 offset:864
	v_fma_f32 v3, v71, v156, -v3
	v_add_f32_e32 v2, v2, v3
	v_mul_f32_e32 v3, v74, v159
	s_waitcnt vmcnt(40)
	v_mul_f32_e32 v94, v87, v173
	v_fma_f32 v3, v73, v158, -v3
	v_fmac_f32_e32 v94, v88, v172
	v_add_f32_e32 v2, v2, v3
	v_mul_f32_e32 v3, v76, v161
	v_add_f32_e32 v97, v93, v94
	ds_read_b128 v[93:96], v1 offset:880
	v_fma_f32 v3, v75, v160, -v3
	s_waitcnt vmcnt(38) lgkmcnt(1)
	v_mul_f32_e32 v98, v89, v175
	v_add_f32_e32 v2, v2, v3
	v_mul_f32_e32 v3, v78, v163
	v_fmac_f32_e32 v98, v90, v174
	v_fma_f32 v3, v77, v162, -v3
	v_add_f32_e32 v97, v97, v98
	s_waitcnt vmcnt(37)
	v_mul_f32_e32 v98, v91, v176
	v_add_f32_e32 v2, v2, v3
	v_mul_f32_e32 v3, v80, v165
	s_waitcnt vmcnt(34)
	v_fmac_f32_e32 v98, v92, v179
	v_fma_f32 v3, v79, v164, -v3
	v_add_f32_e32 v97, v97, v98
	s_waitcnt lgkmcnt(0)
	v_mul_f32_e32 v98, v93, v178
	v_add_f32_e32 v2, v2, v3
	v_mul_f32_e32 v3, v82, v167
	v_fmac_f32_e32 v98, v94, v177
	v_fma_f32 v3, v81, v166, -v3
	v_add_f32_e32 v101, v97, v98
	ds_read_b128 v[97:100], v1 offset:896
	v_add_f32_e32 v2, v2, v3
	v_mul_f32_e32 v3, v84, v168
	v_fma_f32 v3, v83, v171, -v3
	s_waitcnt vmcnt(32)
	v_mul_f32_e32 v102, v95, v181
	v_add_f32_e32 v2, v2, v3
	v_mul_f32_e32 v3, v86, v170
	v_fmac_f32_e32 v102, v96, v180
	v_fma_f32 v3, v85, v169, -v3
	v_add_f32_e32 v105, v101, v102
	ds_read_b128 v[101:104], v1 offset:912
	v_add_f32_e32 v2, v2, v3
	v_mul_f32_e32 v3, v88, v173
	s_waitcnt vmcnt(30) lgkmcnt(1)
	v_mul_f32_e32 v106, v97, v183
	v_fma_f32 v3, v87, v172, -v3
	v_fmac_f32_e32 v106, v98, v182
	v_add_f32_e32 v2, v2, v3
	v_mul_f32_e32 v3, v90, v175
	v_add_f32_e32 v105, v105, v106
	s_waitcnt vmcnt(29)
	v_mul_f32_e32 v106, v99, v184
	v_fma_f32 v3, v89, v174, -v3
	s_waitcnt vmcnt(26)
	v_fmac_f32_e32 v106, v100, v187
	v_add_f32_e32 v2, v2, v3
	v_mul_f32_e32 v3, v92, v176
	v_add_f32_e32 v105, v105, v106
	s_waitcnt lgkmcnt(0)
	v_mul_f32_e32 v106, v101, v186
	v_fma_f32 v3, v91, v179, -v3
	v_fmac_f32_e32 v106, v102, v185
	v_add_f32_e32 v2, v2, v3
	v_mul_f32_e32 v3, v94, v178
	v_add_f32_e32 v109, v105, v106
	ds_read_b128 v[105:108], v1 offset:928
	v_fma_f32 v3, v93, v177, -v3
	v_add_f32_e32 v2, v2, v3
	v_mul_f32_e32 v3, v96, v181
	s_waitcnt vmcnt(24)
	v_mul_f32_e32 v110, v103, v189
	v_fma_f32 v3, v95, v180, -v3
	v_fmac_f32_e32 v110, v104, v188
	v_add_f32_e32 v2, v2, v3
	v_mul_f32_e32 v3, v98, v183
	v_add_f32_e32 v113, v109, v110
	ds_read_b128 v[109:112], v1 offset:944
	v_fma_f32 v3, v97, v182, -v3
	s_waitcnt vmcnt(22) lgkmcnt(1)
	v_mul_f32_e32 v114, v105, v191
	v_add_f32_e32 v2, v2, v3
	v_mul_f32_e32 v3, v100, v184
	v_fmac_f32_e32 v114, v106, v190
	v_fma_f32 v3, v99, v187, -v3
	v_add_f32_e32 v113, v113, v114
	s_waitcnt vmcnt(21)
	v_mul_f32_e32 v114, v107, v192
	v_add_f32_e32 v2, v2, v3
	v_mul_f32_e32 v3, v102, v186
	s_waitcnt vmcnt(18)
	v_fmac_f32_e32 v114, v108, v195
	v_fma_f32 v3, v101, v185, -v3
	v_add_f32_e32 v113, v113, v114
	s_waitcnt lgkmcnt(0)
	v_mul_f32_e32 v114, v109, v194
	v_add_f32_e32 v2, v2, v3
	v_mul_f32_e32 v3, v104, v189
	v_fmac_f32_e32 v114, v110, v193
	v_fma_f32 v3, v103, v188, -v3
	v_add_f32_e32 v117, v113, v114
	ds_read_b128 v[113:116], v1 offset:960
	v_add_f32_e32 v2, v2, v3
	v_mul_f32_e32 v3, v106, v191
	v_fma_f32 v3, v105, v190, -v3
	s_waitcnt vmcnt(16)
	v_mul_f32_e32 v118, v111, v197
	v_add_f32_e32 v2, v2, v3
	v_mul_f32_e32 v3, v108, v192
	v_fmac_f32_e32 v118, v112, v196
	v_fma_f32 v3, v107, v195, -v3
	v_add_f32_e32 v123, v117, v118
	ds_read_b128 v[117:120], v1 offset:976
	v_add_f32_e32 v2, v2, v3
	v_mul_f32_e32 v3, v110, v194
	s_waitcnt vmcnt(14) lgkmcnt(1)
	v_mul_f32_e32 v124, v113, v199
	v_fma_f32 v3, v109, v193, -v3
	v_fmac_f32_e32 v124, v114, v198
	v_add_f32_e32 v2, v2, v3
	v_mul_f32_e32 v3, v112, v197
	v_add_f32_e32 v123, v123, v124
	s_waitcnt vmcnt(13)
	v_mul_f32_e32 v124, v115, v200
	v_fma_f32 v3, v111, v196, -v3
	s_waitcnt vmcnt(10)
	v_fmac_f32_e32 v124, v116, v203
	v_add_f32_e32 v2, v2, v3
	v_mul_f32_e32 v3, v114, v199
	v_add_f32_e32 v123, v123, v124
	s_waitcnt lgkmcnt(0)
	v_mul_f32_e32 v124, v117, v202
	v_fma_f32 v3, v113, v198, -v3
	v_fmac_f32_e32 v124, v118, v201
	v_add_f32_e32 v2, v2, v3
	v_mul_f32_e32 v3, v116, v200
	v_add_f32_e32 v127, v123, v124
	ds_read_b128 v[123:126], v1 offset:992
	v_fma_f32 v3, v115, v203, -v3
	v_add_f32_e32 v2, v2, v3
	v_mul_f32_e32 v3, v118, v202
	s_waitcnt vmcnt(8)
	v_mul_f32_e32 v128, v119, v205
	v_fma_f32 v3, v117, v201, -v3
	v_fmac_f32_e32 v128, v120, v204
	v_add_f32_e32 v2, v2, v3
	v_mul_f32_e32 v3, v120, v205
	v_add_f32_e32 v214, v127, v128
	ds_read_b128 v[127:130], v1 offset:1008
	v_fma_f32 v3, v119, v204, -v3
	v_add_f32_e32 v2, v2, v3
	s_waitcnt vmcnt(6) lgkmcnt(1)
	v_mul_f32_e32 v3, v124, v207
	v_mul_f32_e32 v1, v123, v207
	v_fma_f32 v3, v123, v206, -v3
	v_fmac_f32_e32 v1, v124, v206
	v_add_f32_e32 v2, v2, v3
	s_waitcnt vmcnt(5)
	v_mul_f32_e32 v3, v126, v208
	v_add_f32_e32 v1, v214, v1
	v_mul_f32_e32 v214, v125, v208
	s_waitcnt vmcnt(2)
	v_fma_f32 v3, v125, v211, -v3
	v_fmac_f32_e32 v214, v126, v211
	v_add_f32_e32 v2, v2, v3
	s_waitcnt lgkmcnt(0)
	v_mul_f32_e32 v3, v128, v210
	v_add_f32_e32 v1, v1, v214
	v_mul_f32_e32 v214, v127, v210
	v_fma_f32 v3, v127, v209, -v3
	v_fmac_f32_e32 v214, v128, v209
	v_add_f32_e32 v2, v2, v3
	s_waitcnt vmcnt(0)
	v_mul_f32_e32 v3, v130, v213
	v_add_f32_e32 v1, v1, v214
	v_mul_f32_e32 v214, v129, v213
	v_fma_f32 v3, v129, v212, -v3
	v_fmac_f32_e32 v214, v130, v212
	v_add_f32_e32 v2, v2, v3
	v_add_f32_e32 v1, v1, v214
	v_sub_f32_e32 v2, v8, v2
	v_sub_f32_e32 v1, v9, v1
	buffer_store_dword v2, off, s[0:3], 0 offset:88
	buffer_store_dword v1, off, s[0:3], 0 offset:92
	s_and_saveexec_b64 s[4:5], vcc
	s_cbranch_execz .LBB127_377
; %bb.376:
	buffer_load_dword v1, off, s[0:3], 0 offset:80
	buffer_load_dword v2, off, s[0:3], 0 offset:84
	v_mov_b32_e32 v3, 0
	buffer_store_dword v3, off, s[0:3], 0 offset:80
	buffer_store_dword v3, off, s[0:3], 0 offset:84
	s_waitcnt vmcnt(2)
	ds_write_b64 v249, v[1:2]
.LBB127_377:
	s_or_b64 exec, exec, s[4:5]
	s_waitcnt lgkmcnt(0)
	; wave barrier
	buffer_load_dword v10, off, s[0:3], 0 offset:92
	buffer_load_dword v9, off, s[0:3], 0 offset:100
	;; [unrolled: 1-line block ×51, first 2 shown]
	v_mov_b32_e32 v1, 0
	ds_read2_b64 v[38:41], v1 offset0:75 offset1:76
	ds_read2_b64 v[42:45], v1 offset0:77 offset1:78
	;; [unrolled: 1-line block ×6, first 2 shown]
	v_cmp_lt_u32_e32 vcc, 9, v0
	s_waitcnt vmcnt(50) lgkmcnt(5)
	v_mul_f32_e32 v62, v38, v10
	s_waitcnt vmcnt(49)
	v_mul_f32_e32 v63, v40, v9
	s_waitcnt vmcnt(48) lgkmcnt(4)
	v_mul_f32_e32 v64, v42, v8
	s_waitcnt vmcnt(47)
	v_mul_f32_e32 v65, v44, v7
	;; [unrolled: 4-line block ×5, first 2 shown]
	s_waitcnt vmcnt(40) lgkmcnt(0)
	v_mul_f32_e32 v72, v58, v14
	s_waitcnt vmcnt(39)
	v_fmac_f32_e32 v64, v43, v21
	s_waitcnt vmcnt(38)
	v_fmac_f32_e32 v63, v41, v24
	s_waitcnt vmcnt(37)
	v_fmac_f32_e32 v62, v39, v26
	v_add_f32_e32 v62, 0, v62
	v_add_f32_e32 v62, v62, v63
	v_add_f32_e32 v62, v62, v64
	s_waitcnt vmcnt(33)
	v_fmac_f32_e32 v65, v45, v25
	v_fmac_f32_e32 v66, v47, v23
	v_add_f32_e32 v62, v62, v65
	v_fmac_f32_e32 v67, v49, v20
	v_add_f32_e32 v62, v62, v66
	;; [unrolled: 2-line block ×3, first 2 shown]
	s_waitcnt vmcnt(29)
	v_fmac_f32_e32 v69, v53, v22
	v_add_f32_e32 v62, v62, v68
	v_fmac_f32_e32 v70, v55, v19
	v_add_f32_e32 v62, v62, v69
	;; [unrolled: 2-line block ×4, first 2 shown]
	s_waitcnt vmcnt(28)
	v_mul_f32_e32 v63, v60, v18
	v_add_f32_e32 v62, v62, v72
	s_waitcnt vmcnt(24)
	v_fmac_f32_e32 v63, v61, v33
	v_add_f32_e32 v70, v62, v63
	ds_read2_b64 v[62:65], v1 offset0:87 offset1:88
	ds_read2_b64 v[66:69], v1 offset0:89 offset1:90
	buffer_load_dword v161, off, s[0:3], 0 offset:280
	buffer_load_dword v162, off, s[0:3], 0 offset:288
	;; [unrolled: 1-line block ×5, first 2 shown]
	v_mul_f32_e32 v10, v39, v10
	s_waitcnt vmcnt(28) lgkmcnt(1)
	v_mul_f32_e32 v71, v62, v32
	v_fmac_f32_e32 v71, v63, v30
	v_add_f32_e32 v70, v70, v71
	s_waitcnt vmcnt(27)
	v_mul_f32_e32 v71, v64, v31
	v_fmac_f32_e32 v71, v65, v28
	v_add_f32_e32 v70, v70, v71
	s_waitcnt vmcnt(26) lgkmcnt(0)
	v_mul_f32_e32 v71, v66, v29
	v_fmac_f32_e32 v71, v67, v27
	v_add_f32_e32 v74, v70, v71
	ds_read2_b64 v[70:73], v1 offset0:91 offset1:92
	buffer_load_dword v166, off, s[0:3], 0 offset:304
	buffer_load_dword v167, off, s[0:3], 0 offset:308
	s_waitcnt vmcnt(27)
	v_mul_f32_e32 v75, v68, v34
	s_waitcnt vmcnt(20)
	v_fmac_f32_e32 v75, v69, v149
	v_add_f32_e32 v78, v74, v75
	ds_read2_b64 v[74:77], v1 offset0:93 offset1:94
	s_waitcnt lgkmcnt(1)
	v_mul_f32_e32 v79, v70, v36
	v_fmac_f32_e32 v79, v71, v35
	v_add_f32_e32 v78, v78, v79
	v_mul_f32_e32 v79, v72, v120
	buffer_load_dword v168, off, s[0:3], 0 offset:312
	buffer_load_dword v169, off, s[0:3], 0 offset:316
	v_fmac_f32_e32 v79, v73, v37
	v_add_f32_e32 v78, v78, v79
	s_waitcnt lgkmcnt(0)
	v_mul_f32_e32 v79, v74, v148
	v_fmac_f32_e32 v79, v75, v147
	v_add_f32_e32 v82, v78, v79
	ds_read2_b64 v[78:81], v1 offset0:95 offset1:96
	buffer_load_dword v170, off, s[0:3], 0 offset:324
	buffer_load_dword v171, off, s[0:3], 0 offset:328
	;; [unrolled: 1-line block ×4, first 2 shown]
	s_waitcnt vmcnt(22)
	v_mul_f32_e32 v83, v76, v151
	v_fmac_f32_e32 v83, v77, v150
	v_add_f32_e32 v86, v82, v83
	ds_read2_b64 v[82:85], v1 offset0:97 offset1:98
	buffer_load_dword v174, off, s[0:3], 0 offset:336
	buffer_load_dword v175, off, s[0:3], 0 offset:340
	;; [unrolled: 1-line block ×10, first 2 shown]
	s_waitcnt vmcnt(30) lgkmcnt(1)
	v_mul_f32_e32 v87, v78, v153
	v_fmac_f32_e32 v87, v79, v152
	v_add_f32_e32 v86, v86, v87
	s_waitcnt vmcnt(28)
	v_mul_f32_e32 v87, v80, v155
	v_fmac_f32_e32 v87, v81, v154
	buffer_load_dword v184, off, s[0:3], 0 offset:376
	buffer_load_dword v185, off, s[0:3], 0 offset:380
	;; [unrolled: 1-line block ×6, first 2 shown]
	v_add_f32_e32 v86, v86, v87
	s_waitcnt vmcnt(32) lgkmcnt(0)
	v_mul_f32_e32 v87, v82, v157
	v_fmac_f32_e32 v87, v83, v156
	v_add_f32_e32 v90, v86, v87
	ds_read2_b64 v[86:89], v1 offset0:99 offset1:100
	buffer_load_dword v190, off, s[0:3], 0 offset:400
	buffer_load_dword v191, off, s[0:3], 0 offset:404
	s_waitcnt vmcnt(32)
	v_mul_f32_e32 v91, v84, v159
	v_fmac_f32_e32 v91, v85, v158
	v_add_f32_e32 v94, v90, v91
	ds_read2_b64 v[90:93], v1 offset0:101 offset1:102
	buffer_load_dword v192, off, s[0:3], 0 offset:408
	buffer_load_dword v193, off, s[0:3], 0 offset:412
	;; [unrolled: 1-line block ×8, first 2 shown]
	v_fma_f32 v10, v38, v26, -v10
	v_mul_f32_e32 v9, v41, v9
	v_add_f32_e32 v10, 0, v10
	v_fma_f32 v9, v40, v24, -v9
	v_mul_f32_e32 v8, v43, v8
	v_add_f32_e32 v9, v10, v9
	v_fma_f32 v8, v42, v21, -v8
	v_mul_f32_e32 v7, v45, v7
	buffer_load_dword v200, off, s[0:3], 0 offset:440
	buffer_load_dword v201, off, s[0:3], 0 offset:444
	buffer_load_dword v202, off, s[0:3], 0 offset:452
	buffer_load_dword v203, off, s[0:3], 0 offset:456
	buffer_load_dword v204, off, s[0:3], 0 offset:460
	buffer_load_dword v205, off, s[0:3], 0 offset:448
	v_add_f32_e32 v8, v9, v8
	v_fma_f32 v7, v44, v25, -v7
	v_mul_f32_e32 v6, v47, v6
	v_add_f32_e32 v7, v8, v7
	v_fma_f32 v6, v46, v23, -v6
	v_mul_f32_e32 v5, v49, v5
	s_waitcnt vmcnt(45) lgkmcnt(1)
	v_mul_f32_e32 v95, v86, v160
	v_add_f32_e32 v6, v7, v6
	v_fma_f32 v5, v48, v20, -v5
	v_mul_f32_e32 v4, v51, v4
	buffer_load_dword v206, off, s[0:3], 0 offset:464
	buffer_load_dword v207, off, s[0:3], 0 offset:468
	v_add_f32_e32 v5, v6, v5
	v_fma_f32 v4, v50, v17, -v4
	v_add_f32_e32 v4, v5, v4
	s_waitcnt vmcnt(46)
	v_fmac_f32_e32 v95, v87, v161
	v_add_f32_e32 v94, v94, v95
	s_waitcnt vmcnt(44)
	v_mul_f32_e32 v95, v88, v163
	v_mul_f32_e32 v5, v53, v11
	v_fmac_f32_e32 v95, v89, v162
	v_fma_f32 v5, v52, v22, -v5
	v_add_f32_e32 v94, v94, v95
	s_waitcnt vmcnt(42) lgkmcnt(0)
	v_mul_f32_e32 v95, v90, v165
	v_add_f32_e32 v4, v4, v5
	v_mul_f32_e32 v5, v55, v12
	v_fmac_f32_e32 v95, v91, v164
	v_fma_f32 v5, v54, v19, -v5
	v_add_f32_e32 v98, v94, v95
	ds_read2_b64 v[94:97], v1 offset0:103 offset1:104
	buffer_load_dword v208, off, s[0:3], 0 offset:472
	buffer_load_dword v209, off, s[0:3], 0 offset:476
	;; [unrolled: 1-line block ×6, first 2 shown]
	v_add_f32_e32 v4, v4, v5
	v_mul_f32_e32 v5, v57, v13
	v_fma_f32 v5, v56, v16, -v5
	v_add_f32_e32 v4, v4, v5
	v_mul_f32_e32 v5, v59, v14
	s_waitcnt vmcnt(46)
	v_mul_f32_e32 v99, v92, v167
	v_fma_f32 v5, v58, v15, -v5
	v_fmac_f32_e32 v99, v93, v166
	v_add_f32_e32 v4, v4, v5
	v_mul_f32_e32 v5, v61, v18
	v_add_f32_e32 v102, v98, v99
	ds_read2_b64 v[98:101], v1 offset0:105 offset1:106
	buffer_load_dword v214, off, s[0:3], 0 offset:500
	buffer_load_dword v215, off, s[0:3], 0 offset:504
	;; [unrolled: 1-line block ×4, first 2 shown]
	v_fma_f32 v5, v60, v33, -v5
	v_add_f32_e32 v4, v4, v5
	v_mul_f32_e32 v5, v63, v32
	v_fma_f32 v5, v62, v30, -v5
	v_add_f32_e32 v4, v4, v5
	v_mul_f32_e32 v5, v65, v31
	;; [unrolled: 3-line block ×13, first 2 shown]
	s_waitcnt vmcnt(48) lgkmcnt(1)
	v_mul_f32_e32 v103, v94, v169
	v_fma_f32 v5, v86, v161, -v5
	v_fmac_f32_e32 v103, v95, v168
	v_add_f32_e32 v4, v4, v5
	v_mul_f32_e32 v5, v89, v163
	v_add_f32_e32 v102, v102, v103
	s_waitcnt vmcnt(47)
	v_mul_f32_e32 v103, v96, v170
	v_fma_f32 v5, v88, v162, -v5
	s_waitcnt vmcnt(44)
	v_fmac_f32_e32 v103, v97, v173
	v_add_f32_e32 v4, v4, v5
	v_mul_f32_e32 v5, v91, v165
	v_add_f32_e32 v102, v102, v103
	s_waitcnt lgkmcnt(0)
	v_mul_f32_e32 v103, v98, v172
	v_fma_f32 v5, v90, v164, -v5
	v_fmac_f32_e32 v103, v99, v171
	v_add_f32_e32 v4, v4, v5
	v_mul_f32_e32 v5, v93, v167
	v_add_f32_e32 v106, v102, v103
	ds_read2_b64 v[102:105], v1 offset0:107 offset1:108
	v_fma_f32 v5, v92, v166, -v5
	v_add_f32_e32 v4, v4, v5
	v_mul_f32_e32 v5, v95, v169
	s_waitcnt vmcnt(42)
	v_mul_f32_e32 v107, v100, v175
	v_fma_f32 v5, v94, v168, -v5
	v_fmac_f32_e32 v107, v101, v174
	v_add_f32_e32 v4, v4, v5
	v_mul_f32_e32 v5, v97, v170
	v_add_f32_e32 v110, v106, v107
	ds_read2_b64 v[106:109], v1 offset0:109 offset1:110
	v_fma_f32 v5, v96, v173, -v5
	s_waitcnt vmcnt(40) lgkmcnt(1)
	v_mul_f32_e32 v111, v102, v177
	v_add_f32_e32 v4, v4, v5
	v_mul_f32_e32 v5, v99, v172
	v_fmac_f32_e32 v111, v103, v176
	v_fma_f32 v5, v98, v171, -v5
	v_add_f32_e32 v110, v110, v111
	s_waitcnt vmcnt(39)
	v_mul_f32_e32 v111, v104, v178
	v_add_f32_e32 v4, v4, v5
	v_mul_f32_e32 v5, v101, v175
	s_waitcnt vmcnt(36)
	v_fmac_f32_e32 v111, v105, v181
	v_fma_f32 v5, v100, v174, -v5
	v_add_f32_e32 v110, v110, v111
	s_waitcnt lgkmcnt(0)
	v_mul_f32_e32 v111, v106, v180
	v_add_f32_e32 v4, v4, v5
	v_mul_f32_e32 v5, v103, v177
	v_fmac_f32_e32 v111, v107, v179
	v_fma_f32 v5, v102, v176, -v5
	v_add_f32_e32 v114, v110, v111
	ds_read2_b64 v[110:113], v1 offset0:111 offset1:112
	v_add_f32_e32 v4, v4, v5
	v_mul_f32_e32 v5, v105, v178
	v_fma_f32 v5, v104, v181, -v5
	s_waitcnt vmcnt(34)
	v_mul_f32_e32 v115, v108, v183
	v_add_f32_e32 v4, v4, v5
	v_mul_f32_e32 v5, v107, v180
	v_fmac_f32_e32 v115, v109, v182
	v_fma_f32 v5, v106, v179, -v5
	v_add_f32_e32 v118, v114, v115
	ds_read2_b64 v[114:117], v1 offset0:113 offset1:114
	v_add_f32_e32 v4, v4, v5
	v_mul_f32_e32 v5, v109, v183
	s_waitcnt vmcnt(32) lgkmcnt(1)
	v_mul_f32_e32 v119, v110, v185
	v_fma_f32 v5, v108, v182, -v5
	v_fmac_f32_e32 v119, v111, v184
	v_add_f32_e32 v4, v4, v5
	v_mul_f32_e32 v5, v111, v185
	v_add_f32_e32 v118, v118, v119
	s_waitcnt vmcnt(31)
	v_mul_f32_e32 v119, v112, v186
	v_fma_f32 v5, v110, v184, -v5
	s_waitcnt vmcnt(28)
	v_fmac_f32_e32 v119, v113, v189
	ds_read2_b64 v[123:126], v1 offset0:115 offset1:116
	ds_read2_b64 v[127:130], v1 offset0:117 offset1:118
	v_add_f32_e32 v4, v4, v5
	v_mul_f32_e32 v5, v113, v186
	v_add_f32_e32 v118, v118, v119
	s_waitcnt lgkmcnt(2)
	v_mul_f32_e32 v119, v114, v188
	v_fma_f32 v5, v112, v189, -v5
	v_fmac_f32_e32 v119, v115, v187
	v_add_f32_e32 v4, v4, v5
	v_mul_f32_e32 v5, v115, v188
	v_add_f32_e32 v118, v118, v119
	s_waitcnt vmcnt(26)
	v_mul_f32_e32 v119, v116, v191
	v_fma_f32 v5, v114, v187, -v5
	v_fmac_f32_e32 v119, v117, v190
	v_add_f32_e32 v4, v4, v5
	v_mul_f32_e32 v5, v117, v191
	v_add_f32_e32 v118, v118, v119
	s_waitcnt vmcnt(24) lgkmcnt(1)
	v_mul_f32_e32 v119, v123, v193
	v_fma_f32 v5, v116, v190, -v5
	v_fmac_f32_e32 v119, v124, v192
	v_add_f32_e32 v4, v4, v5
	v_mul_f32_e32 v5, v124, v193
	v_add_f32_e32 v118, v118, v119
	s_waitcnt vmcnt(23)
	v_mul_f32_e32 v119, v125, v194
	v_fma_f32 v5, v123, v192, -v5
	s_waitcnt vmcnt(20)
	v_fmac_f32_e32 v119, v126, v197
	ds_read2_b64 v[131:134], v1 offset0:119 offset1:120
	ds_read2_b64 v[135:138], v1 offset0:121 offset1:122
	v_add_f32_e32 v4, v4, v5
	v_mul_f32_e32 v5, v126, v194
	v_add_f32_e32 v118, v118, v119
	s_waitcnt lgkmcnt(2)
	v_mul_f32_e32 v119, v127, v196
	v_fma_f32 v5, v125, v197, -v5
	v_fmac_f32_e32 v119, v128, v195
	v_add_f32_e32 v4, v4, v5
	v_mul_f32_e32 v5, v128, v196
	v_add_f32_e32 v118, v118, v119
	s_waitcnt vmcnt(18)
	v_mul_f32_e32 v119, v129, v199
	v_fma_f32 v5, v127, v195, -v5
	v_fmac_f32_e32 v119, v130, v198
	v_add_f32_e32 v4, v4, v5
	v_mul_f32_e32 v5, v130, v199
	v_add_f32_e32 v118, v118, v119
	;; [unrolled: 31-line block ×3, first 2 shown]
	s_waitcnt vmcnt(8) lgkmcnt(1)
	v_mul_f32_e32 v119, v139, v209
	v_fma_f32 v5, v137, v206, -v5
	v_fmac_f32_e32 v119, v140, v208
	v_add_f32_e32 v4, v4, v5
	v_mul_f32_e32 v5, v140, v209
	v_add_f32_e32 v118, v118, v119
	s_waitcnt vmcnt(7)
	v_mul_f32_e32 v119, v141, v210
	v_fma_f32 v5, v139, v208, -v5
	s_waitcnt vmcnt(4)
	v_fmac_f32_e32 v119, v142, v213
	v_add_f32_e32 v4, v4, v5
	v_mul_f32_e32 v5, v142, v210
	v_add_f32_e32 v218, v118, v119
	ds_read_b64 v[118:119], v1 offset:1016
	v_fma_f32 v5, v141, v213, -v5
	v_add_f32_e32 v4, v4, v5
	s_waitcnt lgkmcnt(1)
	v_mul_f32_e32 v5, v144, v212
	v_mul_f32_e32 v219, v143, v212
	v_fma_f32 v5, v143, v211, -v5
	v_fmac_f32_e32 v219, v144, v211
	v_add_f32_e32 v4, v4, v5
	s_waitcnt vmcnt(3)
	v_mul_f32_e32 v5, v146, v214
	v_add_f32_e32 v218, v218, v219
	v_mul_f32_e32 v219, v145, v214
	s_waitcnt vmcnt(0)
	v_fma_f32 v5, v145, v217, -v5
	v_fmac_f32_e32 v219, v146, v217
	v_add_f32_e32 v4, v4, v5
	s_waitcnt lgkmcnt(0)
	v_mul_f32_e32 v5, v119, v216
	v_add_f32_e32 v218, v218, v219
	v_mul_f32_e32 v219, v118, v216
	v_fma_f32 v5, v118, v215, -v5
	v_fmac_f32_e32 v219, v119, v215
	v_add_f32_e32 v4, v4, v5
	v_add_f32_e32 v218, v218, v219
	v_sub_f32_e32 v2, v2, v4
	v_sub_f32_e32 v3, v3, v218
	buffer_store_dword v2, off, s[0:3], 0 offset:80
	buffer_store_dword v3, off, s[0:3], 0 offset:84
	s_and_saveexec_b64 s[4:5], vcc
	s_cbranch_execz .LBB127_379
; %bb.378:
	buffer_load_dword v2, off, s[0:3], 0 offset:72
	buffer_load_dword v3, off, s[0:3], 0 offset:76
	s_waitcnt vmcnt(0)
	ds_write_b64 v249, v[2:3]
	buffer_store_dword v1, off, s[0:3], 0 offset:72
	buffer_store_dword v1, off, s[0:3], 0 offset:76
.LBB127_379:
	s_or_b64 exec, exec, s[4:5]
	s_waitcnt lgkmcnt(0)
	; wave barrier
	buffer_load_dword v10, off, s[0:3], 0 offset:84
	buffer_load_dword v9, off, s[0:3], 0 offset:92
	;; [unrolled: 1-line block ×40, first 2 shown]
	ds_read_b128 v[35:38], v1 offset:592
	ds_read_b128 v[39:42], v1 offset:608
	;; [unrolled: 1-line block ×6, first 2 shown]
	buffer_load_dword v152, off, s[0:3], 0 offset:232
	buffer_load_dword v153, off, s[0:3], 0 offset:236
	;; [unrolled: 1-line block ×12, first 2 shown]
	v_cmp_lt_u32_e32 vcc, 8, v0
	s_waitcnt vmcnt(51) lgkmcnt(5)
	v_mul_f32_e32 v59, v35, v10
	s_waitcnt vmcnt(50)
	v_mul_f32_e32 v60, v37, v9
	s_waitcnt vmcnt(49) lgkmcnt(4)
	v_mul_f32_e32 v61, v39, v8
	s_waitcnt vmcnt(48)
	v_mul_f32_e32 v62, v41, v7
	;; [unrolled: 4-line block ×5, first 2 shown]
	s_waitcnt vmcnt(41) lgkmcnt(0)
	v_mul_f32_e32 v69, v55, v14
	s_waitcnt vmcnt(40)
	v_fmac_f32_e32 v61, v40, v21
	s_waitcnt vmcnt(39)
	v_fmac_f32_e32 v60, v38, v24
	;; [unrolled: 2-line block ×3, first 2 shown]
	v_add_f32_e32 v59, 0, v59
	v_add_f32_e32 v59, v59, v60
	;; [unrolled: 1-line block ×3, first 2 shown]
	s_waitcnt vmcnt(34)
	v_fmac_f32_e32 v62, v42, v25
	v_fmac_f32_e32 v63, v44, v23
	v_add_f32_e32 v59, v59, v62
	v_fmac_f32_e32 v64, v46, v20
	v_add_f32_e32 v59, v59, v63
	;; [unrolled: 2-line block ×3, first 2 shown]
	s_waitcnt vmcnt(30)
	v_fmac_f32_e32 v66, v50, v22
	v_add_f32_e32 v59, v59, v65
	v_fmac_f32_e32 v67, v52, v19
	v_add_f32_e32 v59, v59, v66
	;; [unrolled: 2-line block ×4, first 2 shown]
	s_waitcnt vmcnt(29)
	v_mul_f32_e32 v64, v57, v18
	v_add_f32_e32 v63, v59, v69
	s_waitcnt vmcnt(25)
	v_fmac_f32_e32 v64, v58, v33
	ds_read_b128 v[59:62], v1 offset:688
	v_add_f32_e32 v67, v63, v64
	ds_read_b128 v[63:66], v1 offset:704
	buffer_load_dword v164, off, s[0:3], 0 offset:284
	buffer_load_dword v165, off, s[0:3], 0 offset:280
	;; [unrolled: 1-line block ×6, first 2 shown]
	s_waitcnt vmcnt(30) lgkmcnt(1)
	v_mul_f32_e32 v68, v59, v32
	v_fmac_f32_e32 v68, v60, v30
	v_add_f32_e32 v67, v67, v68
	s_waitcnt vmcnt(29)
	v_mul_f32_e32 v68, v61, v31
	v_fmac_f32_e32 v68, v62, v28
	v_add_f32_e32 v67, v67, v68
	s_waitcnt vmcnt(28) lgkmcnt(0)
	v_mul_f32_e32 v68, v63, v29
	v_fmac_f32_e32 v68, v64, v27
	v_add_f32_e32 v71, v67, v68
	ds_read_b128 v[67:70], v1 offset:720
	s_waitcnt vmcnt(27)
	v_mul_f32_e32 v72, v65, v34
	s_waitcnt vmcnt(21)
	v_fmac_f32_e32 v72, v66, v150
	v_add_f32_e32 v75, v71, v72
	ds_read_b128 v[71:74], v1 offset:736
	s_waitcnt vmcnt(20) lgkmcnt(1)
	v_mul_f32_e32 v76, v67, v151
	v_fmac_f32_e32 v76, v68, v149
	buffer_load_dword v170, off, s[0:3], 0 offset:308
	v_add_f32_e32 v75, v75, v76
	v_mul_f32_e32 v76, v69, v120
	v_fmac_f32_e32 v76, v70, v119
	v_add_f32_e32 v75, v75, v76
	s_waitcnt lgkmcnt(0)
	v_mul_f32_e32 v76, v71, v148
	buffer_load_dword v171, off, s[0:3], 0 offset:304
	buffer_load_dword v172, off, s[0:3], 0 offset:312
	;; [unrolled: 1-line block ×3, first 2 shown]
	v_fmac_f32_e32 v76, v72, v147
	v_add_f32_e32 v79, v75, v76
	ds_read_b128 v[75:78], v1 offset:752
	buffer_load_dword v174, off, s[0:3], 0 offset:320
	buffer_load_dword v175, off, s[0:3], 0 offset:324
	s_waitcnt vmcnt(22)
	v_mul_f32_e32 v80, v73, v153
	v_fmac_f32_e32 v80, v74, v152
	v_add_f32_e32 v83, v79, v80
	ds_read_b128 v[79:82], v1 offset:768
	buffer_load_dword v176, off, s[0:3], 0 offset:328
	buffer_load_dword v177, off, s[0:3], 0 offset:332
	;; [unrolled: 1-line block ×8, first 2 shown]
	s_waitcnt vmcnt(28) lgkmcnt(1)
	v_mul_f32_e32 v84, v75, v155
	buffer_load_dword v184, off, s[0:3], 0 offset:360
	buffer_load_dword v185, off, s[0:3], 0 offset:364
	v_fmac_f32_e32 v84, v76, v154
	v_add_f32_e32 v83, v83, v84
	s_waitcnt vmcnt(28)
	v_mul_f32_e32 v84, v77, v157
	v_fmac_f32_e32 v84, v78, v156
	v_add_f32_e32 v83, v83, v84
	s_waitcnt vmcnt(26) lgkmcnt(0)
	v_mul_f32_e32 v84, v79, v159
	v_fmac_f32_e32 v84, v80, v158
	v_add_f32_e32 v87, v83, v84
	ds_read_b128 v[83:86], v1 offset:784
	buffer_load_dword v186, off, s[0:3], 0 offset:368
	buffer_load_dword v187, off, s[0:3], 0 offset:372
	;; [unrolled: 1-line block ×6, first 2 shown]
	s_waitcnt vmcnt(30)
	v_mul_f32_e32 v88, v81, v161
	v_fmac_f32_e32 v88, v82, v160
	v_add_f32_e32 v91, v87, v88
	ds_read_b128 v[87:90], v1 offset:800
	buffer_load_dword v192, off, s[0:3], 0 offset:392
	buffer_load_dword v193, off, s[0:3], 0 offset:396
	;; [unrolled: 1-line block ×10, first 2 shown]
	v_mul_f32_e32 v10, v36, v10
	s_waitcnt vmcnt(38) lgkmcnt(1)
	v_mul_f32_e32 v92, v83, v163
	buffer_load_dword v202, off, s[0:3], 0 offset:432
	buffer_load_dword v203, off, s[0:3], 0 offset:436
	;; [unrolled: 1-line block ×6, first 2 shown]
	v_fma_f32 v10, v35, v26, -v10
	v_mul_f32_e32 v9, v38, v9
	v_fmac_f32_e32 v92, v84, v162
	v_add_f32_e32 v10, 0, v10
	v_fma_f32 v9, v37, v24, -v9
	v_mul_f32_e32 v8, v40, v8
	v_add_f32_e32 v91, v91, v92
	v_add_f32_e32 v9, v10, v9
	v_fma_f32 v8, v39, v21, -v8
	v_mul_f32_e32 v7, v42, v7
	v_add_f32_e32 v8, v9, v8
	v_fma_f32 v7, v41, v25, -v7
	v_mul_f32_e32 v6, v44, v6
	;; [unrolled: 3-line block ×4, first 2 shown]
	v_add_f32_e32 v3, v6, v3
	s_waitcnt vmcnt(43)
	v_mul_f32_e32 v92, v85, v164
	s_waitcnt vmcnt(42)
	v_fmac_f32_e32 v92, v86, v165
	v_add_f32_e32 v91, v91, v92
	s_waitcnt vmcnt(40) lgkmcnt(0)
	v_mul_f32_e32 v92, v87, v167
	v_fmac_f32_e32 v92, v88, v166
	v_add_f32_e32 v95, v91, v92
	ds_read_b128 v[91:94], v1 offset:816
	buffer_load_dword v208, off, s[0:3], 0 offset:456
	buffer_load_dword v209, off, s[0:3], 0 offset:460
	v_fma_f32 v2, v47, v17, -v2
	v_add_f32_e32 v2, v3, v2
	v_mul_f32_e32 v3, v50, v11
	v_fma_f32 v3, v49, v22, -v3
	s_waitcnt vmcnt(40)
	v_mul_f32_e32 v96, v89, v169
	v_add_f32_e32 v2, v2, v3
	v_mul_f32_e32 v3, v52, v12
	v_fmac_f32_e32 v96, v90, v168
	v_fma_f32 v3, v51, v19, -v3
	v_add_f32_e32 v99, v95, v96
	ds_read_b128 v[95:98], v1 offset:832
	buffer_load_dword v210, off, s[0:3], 0 offset:464
	buffer_load_dword v211, off, s[0:3], 0 offset:468
	;; [unrolled: 1-line block ×6, first 2 shown]
	v_add_f32_e32 v2, v2, v3
	v_mul_f32_e32 v3, v54, v13
	v_fma_f32 v3, v53, v16, -v3
	v_add_f32_e32 v2, v2, v3
	v_mul_f32_e32 v3, v56, v14
	v_fma_f32 v3, v55, v15, -v3
	;; [unrolled: 3-line block ×3, first 2 shown]
	v_add_f32_e32 v2, v2, v3
	v_mul_f32_e32 v3, v60, v32
	buffer_load_dword v216, off, s[0:3], 0 offset:488
	buffer_load_dword v217, off, s[0:3], 0 offset:492
	;; [unrolled: 1-line block ×6, first 2 shown]
	v_fma_f32 v3, v59, v30, -v3
	v_add_f32_e32 v2, v2, v3
	v_mul_f32_e32 v3, v62, v31
	v_fma_f32 v3, v61, v28, -v3
	v_add_f32_e32 v2, v2, v3
	v_mul_f32_e32 v3, v64, v29
	;; [unrolled: 3-line block ×7, first 2 shown]
	v_fma_f32 v3, v73, v152, -v3
	s_waitcnt vmcnt(51) lgkmcnt(1)
	v_mul_f32_e32 v100, v91, v170
	v_add_f32_e32 v2, v2, v3
	v_mul_f32_e32 v3, v76, v155
	s_waitcnt vmcnt(50)
	v_fmac_f32_e32 v100, v92, v171
	v_fma_f32 v3, v75, v154, -v3
	v_add_f32_e32 v99, v99, v100
	s_waitcnt vmcnt(48)
	v_mul_f32_e32 v100, v93, v173
	v_add_f32_e32 v2, v2, v3
	v_mul_f32_e32 v3, v78, v157
	v_fmac_f32_e32 v100, v94, v172
	v_fma_f32 v3, v77, v156, -v3
	v_add_f32_e32 v99, v99, v100
	s_waitcnt vmcnt(46) lgkmcnt(0)
	v_mul_f32_e32 v100, v95, v175
	v_add_f32_e32 v2, v2, v3
	v_mul_f32_e32 v3, v80, v159
	v_fmac_f32_e32 v100, v96, v174
	v_fma_f32 v3, v79, v158, -v3
	v_add_f32_e32 v103, v99, v100
	ds_read_b128 v[99:102], v1 offset:848
	v_add_f32_e32 v2, v2, v3
	v_mul_f32_e32 v3, v82, v161
	v_fma_f32 v3, v81, v160, -v3
	s_waitcnt vmcnt(44)
	v_mul_f32_e32 v104, v97, v177
	v_add_f32_e32 v2, v2, v3
	v_mul_f32_e32 v3, v84, v163
	v_fmac_f32_e32 v104, v98, v176
	v_fma_f32 v3, v83, v162, -v3
	v_add_f32_e32 v107, v103, v104
	ds_read_b128 v[103:106], v1 offset:864
	v_add_f32_e32 v2, v2, v3
	v_mul_f32_e32 v3, v86, v164
	s_waitcnt vmcnt(42) lgkmcnt(1)
	v_mul_f32_e32 v108, v99, v179
	v_fma_f32 v3, v85, v165, -v3
	v_fmac_f32_e32 v108, v100, v178
	v_add_f32_e32 v2, v2, v3
	v_mul_f32_e32 v3, v88, v167
	v_add_f32_e32 v107, v107, v108
	s_waitcnt vmcnt(41)
	v_mul_f32_e32 v108, v101, v180
	v_fma_f32 v3, v87, v166, -v3
	s_waitcnt vmcnt(38)
	v_fmac_f32_e32 v108, v102, v183
	v_add_f32_e32 v2, v2, v3
	v_mul_f32_e32 v3, v90, v169
	v_add_f32_e32 v107, v107, v108
	s_waitcnt lgkmcnt(0)
	v_mul_f32_e32 v108, v103, v182
	v_fma_f32 v3, v89, v168, -v3
	v_fmac_f32_e32 v108, v104, v181
	v_add_f32_e32 v2, v2, v3
	v_mul_f32_e32 v3, v92, v170
	v_add_f32_e32 v111, v107, v108
	ds_read_b128 v[107:110], v1 offset:880
	v_fma_f32 v3, v91, v171, -v3
	v_add_f32_e32 v2, v2, v3
	v_mul_f32_e32 v3, v94, v173
	s_waitcnt vmcnt(36)
	v_mul_f32_e32 v112, v105, v185
	v_fma_f32 v3, v93, v172, -v3
	v_fmac_f32_e32 v112, v106, v184
	v_add_f32_e32 v2, v2, v3
	v_mul_f32_e32 v3, v96, v175
	v_add_f32_e32 v115, v111, v112
	ds_read_b128 v[111:114], v1 offset:896
	v_fma_f32 v3, v95, v174, -v3
	s_waitcnt vmcnt(34) lgkmcnt(1)
	v_mul_f32_e32 v116, v107, v187
	v_add_f32_e32 v2, v2, v3
	v_mul_f32_e32 v3, v98, v177
	v_fmac_f32_e32 v116, v108, v186
	v_fma_f32 v3, v97, v176, -v3
	v_add_f32_e32 v115, v115, v116
	s_waitcnt vmcnt(33)
	v_mul_f32_e32 v116, v109, v188
	v_add_f32_e32 v2, v2, v3
	v_mul_f32_e32 v3, v100, v179
	s_waitcnt vmcnt(30)
	v_fmac_f32_e32 v116, v110, v191
	v_fma_f32 v3, v99, v178, -v3
	v_add_f32_e32 v115, v115, v116
	s_waitcnt lgkmcnt(0)
	v_mul_f32_e32 v116, v111, v190
	v_add_f32_e32 v2, v2, v3
	v_mul_f32_e32 v3, v102, v180
	v_fmac_f32_e32 v116, v112, v189
	v_fma_f32 v3, v101, v183, -v3
	v_add_f32_e32 v123, v115, v116
	ds_read_b128 v[115:118], v1 offset:912
	v_add_f32_e32 v2, v2, v3
	v_mul_f32_e32 v3, v104, v182
	v_fma_f32 v3, v103, v181, -v3
	s_waitcnt vmcnt(28)
	v_mul_f32_e32 v124, v113, v193
	v_add_f32_e32 v2, v2, v3
	v_mul_f32_e32 v3, v106, v185
	v_fmac_f32_e32 v124, v114, v192
	v_fma_f32 v3, v105, v184, -v3
	v_add_f32_e32 v127, v123, v124
	ds_read_b128 v[123:126], v1 offset:928
	v_add_f32_e32 v2, v2, v3
	v_mul_f32_e32 v3, v108, v187
	s_waitcnt vmcnt(26) lgkmcnt(1)
	v_mul_f32_e32 v128, v115, v195
	v_fma_f32 v3, v107, v186, -v3
	v_fmac_f32_e32 v128, v116, v194
	v_add_f32_e32 v2, v2, v3
	v_mul_f32_e32 v3, v110, v188
	v_add_f32_e32 v127, v127, v128
	s_waitcnt vmcnt(25)
	v_mul_f32_e32 v128, v117, v196
	v_fma_f32 v3, v109, v191, -v3
	s_waitcnt vmcnt(22)
	v_fmac_f32_e32 v128, v118, v199
	v_add_f32_e32 v2, v2, v3
	v_mul_f32_e32 v3, v112, v190
	v_add_f32_e32 v127, v127, v128
	s_waitcnt lgkmcnt(0)
	v_mul_f32_e32 v128, v123, v198
	v_fma_f32 v3, v111, v189, -v3
	v_fmac_f32_e32 v128, v124, v197
	v_add_f32_e32 v2, v2, v3
	v_mul_f32_e32 v3, v114, v193
	v_add_f32_e32 v131, v127, v128
	ds_read_b128 v[127:130], v1 offset:944
	v_fma_f32 v3, v113, v192, -v3
	v_add_f32_e32 v2, v2, v3
	v_mul_f32_e32 v3, v116, v195
	s_waitcnt vmcnt(20)
	v_mul_f32_e32 v132, v125, v201
	v_fma_f32 v3, v115, v194, -v3
	v_fmac_f32_e32 v132, v126, v200
	v_add_f32_e32 v2, v2, v3
	v_mul_f32_e32 v3, v118, v196
	v_add_f32_e32 v135, v131, v132
	ds_read_b128 v[131:134], v1 offset:960
	v_fma_f32 v3, v117, v199, -v3
	s_waitcnt vmcnt(18) lgkmcnt(1)
	v_mul_f32_e32 v136, v127, v203
	v_add_f32_e32 v2, v2, v3
	v_mul_f32_e32 v3, v124, v198
	v_fmac_f32_e32 v136, v128, v202
	v_fma_f32 v3, v123, v197, -v3
	v_add_f32_e32 v135, v135, v136
	s_waitcnt vmcnt(17)
	v_mul_f32_e32 v136, v129, v204
	v_add_f32_e32 v2, v2, v3
	v_mul_f32_e32 v3, v126, v201
	s_waitcnt vmcnt(14)
	v_fmac_f32_e32 v136, v130, v207
	v_fma_f32 v3, v125, v200, -v3
	v_add_f32_e32 v135, v135, v136
	s_waitcnt lgkmcnt(0)
	v_mul_f32_e32 v136, v131, v206
	v_add_f32_e32 v2, v2, v3
	v_mul_f32_e32 v3, v128, v203
	v_fmac_f32_e32 v136, v132, v205
	v_fma_f32 v3, v127, v202, -v3
	v_add_f32_e32 v139, v135, v136
	ds_read_b128 v[135:138], v1 offset:976
	v_add_f32_e32 v2, v2, v3
	v_mul_f32_e32 v3, v130, v204
	v_fma_f32 v3, v129, v207, -v3
	v_add_f32_e32 v2, v2, v3
	v_mul_f32_e32 v3, v132, v206
	s_waitcnt vmcnt(12)
	v_mul_f32_e32 v140, v133, v209
	v_fma_f32 v3, v131, v205, -v3
	v_fmac_f32_e32 v140, v134, v208
	v_add_f32_e32 v2, v2, v3
	v_mul_f32_e32 v3, v134, v209
	v_add_f32_e32 v143, v139, v140
	ds_read_b128 v[139:142], v1 offset:992
	s_waitcnt vmcnt(10) lgkmcnt(1)
	v_mul_f32_e32 v144, v135, v211
	v_fma_f32 v3, v133, v208, -v3
	v_fmac_f32_e32 v144, v136, v210
	v_add_f32_e32 v2, v2, v3
	v_mul_f32_e32 v3, v136, v211
	v_add_f32_e32 v143, v143, v144
	s_waitcnt vmcnt(9)
	v_mul_f32_e32 v144, v137, v212
	v_fma_f32 v3, v135, v210, -v3
	s_waitcnt vmcnt(6)
	v_fmac_f32_e32 v144, v138, v215
	v_add_f32_e32 v2, v2, v3
	v_mul_f32_e32 v3, v138, v212
	v_add_f32_e32 v222, v143, v144
	ds_read_b128 v[143:146], v1 offset:1008
	v_fma_f32 v3, v137, v215, -v3
	v_add_f32_e32 v2, v2, v3
	s_waitcnt lgkmcnt(1)
	v_mul_f32_e32 v3, v140, v214
	v_mul_f32_e32 v223, v139, v214
	v_fma_f32 v3, v139, v213, -v3
	v_fmac_f32_e32 v223, v140, v213
	v_add_f32_e32 v2, v2, v3
	s_waitcnt vmcnt(4)
	v_mul_f32_e32 v3, v142, v217
	v_add_f32_e32 v1, v222, v223
	v_mul_f32_e32 v222, v141, v217
	v_fma_f32 v3, v141, v216, -v3
	v_fmac_f32_e32 v222, v142, v216
	v_add_f32_e32 v2, v2, v3
	s_waitcnt vmcnt(3) lgkmcnt(0)
	v_mul_f32_e32 v3, v144, v218
	v_add_f32_e32 v1, v1, v222
	v_mul_f32_e32 v222, v143, v218
	s_waitcnt vmcnt(0)
	v_fma_f32 v3, v143, v221, -v3
	v_fmac_f32_e32 v222, v144, v221
	v_add_f32_e32 v2, v2, v3
	v_mul_f32_e32 v3, v146, v220
	v_add_f32_e32 v1, v1, v222
	v_mul_f32_e32 v222, v145, v220
	v_fma_f32 v3, v145, v219, -v3
	v_fmac_f32_e32 v222, v146, v219
	v_add_f32_e32 v2, v2, v3
	v_add_f32_e32 v1, v1, v222
	v_sub_f32_e32 v2, v4, v2
	v_sub_f32_e32 v1, v5, v1
	buffer_store_dword v2, off, s[0:3], 0 offset:72
	buffer_store_dword v1, off, s[0:3], 0 offset:76
	s_and_saveexec_b64 s[4:5], vcc
	s_cbranch_execz .LBB127_381
; %bb.380:
	buffer_load_dword v1, off, s[0:3], 0 offset:64
	buffer_load_dword v2, off, s[0:3], 0 offset:68
	v_mov_b32_e32 v3, 0
	buffer_store_dword v3, off, s[0:3], 0 offset:64
	buffer_store_dword v3, off, s[0:3], 0 offset:68
	s_waitcnt vmcnt(2)
	ds_write_b64 v249, v[1:2]
.LBB127_381:
	s_or_b64 exec, exec, s[4:5]
	s_waitcnt lgkmcnt(0)
	; wave barrier
	buffer_load_dword v10, off, s[0:3], 0 offset:76
	buffer_load_dword v9, off, s[0:3], 0 offset:84
	;; [unrolled: 1-line block ×52, first 2 shown]
	v_mov_b32_e32 v1, 0
	ds_read2_b64 v[41:44], v1 offset0:73 offset1:74
	ds_read2_b64 v[45:48], v1 offset0:75 offset1:76
	;; [unrolled: 1-line block ×6, first 2 shown]
	buffer_load_dword v166, off, s[0:3], 0 offset:272
	buffer_load_dword v167, off, s[0:3], 0 offset:276
	v_cmp_lt_u32_e32 vcc, 7, v0
	s_waitcnt vmcnt(53) lgkmcnt(5)
	v_mul_f32_e32 v65, v41, v10
	s_waitcnt vmcnt(52)
	v_mul_f32_e32 v66, v43, v9
	s_waitcnt vmcnt(51) lgkmcnt(4)
	v_mul_f32_e32 v67, v45, v8
	s_waitcnt vmcnt(50)
	v_mul_f32_e32 v68, v47, v7
	;; [unrolled: 4-line block ×5, first 2 shown]
	s_waitcnt vmcnt(43) lgkmcnt(0)
	v_mul_f32_e32 v75, v61, v14
	s_waitcnt vmcnt(42)
	v_fmac_f32_e32 v67, v46, v21
	s_waitcnt vmcnt(41)
	v_fmac_f32_e32 v66, v44, v24
	;; [unrolled: 2-line block ×3, first 2 shown]
	v_add_f32_e32 v65, 0, v65
	v_add_f32_e32 v65, v65, v66
	;; [unrolled: 1-line block ×3, first 2 shown]
	s_waitcnt vmcnt(36)
	v_fmac_f32_e32 v68, v48, v25
	v_fmac_f32_e32 v69, v50, v23
	v_add_f32_e32 v65, v65, v68
	v_fmac_f32_e32 v70, v52, v20
	v_add_f32_e32 v65, v65, v69
	v_fmac_f32_e32 v71, v54, v17
	v_add_f32_e32 v65, v65, v70
	s_waitcnt vmcnt(32)
	v_fmac_f32_e32 v72, v56, v22
	v_add_f32_e32 v65, v65, v71
	v_fmac_f32_e32 v73, v58, v19
	v_add_f32_e32 v65, v65, v72
	;; [unrolled: 2-line block ×3, first 2 shown]
	v_add_f32_e32 v65, v65, v74
	v_fmac_f32_e32 v75, v62, v15
	v_add_f32_e32 v69, v65, v75
	ds_read2_b64 v[65:68], v1 offset0:85 offset1:86
	buffer_load_dword v168, off, s[0:3], 0 offset:280
	buffer_load_dword v169, off, s[0:3], 0 offset:284
	s_waitcnt vmcnt(33)
	v_mul_f32_e32 v70, v63, v18
	s_waitcnt vmcnt(28)
	v_fmac_f32_e32 v70, v64, v34
	v_add_f32_e32 v73, v69, v70
	ds_read2_b64 v[69:72], v1 offset0:87 offset1:88
	buffer_load_dword v170, off, s[0:3], 0 offset:288
	buffer_load_dword v171, off, s[0:3], 0 offset:292
	s_waitcnt vmcnt(29) lgkmcnt(1)
	v_mul_f32_e32 v74, v65, v32
	v_fmac_f32_e32 v74, v66, v30
	v_add_f32_e32 v73, v73, v74
	s_waitcnt vmcnt(28)
	v_mul_f32_e32 v74, v67, v31
	v_fmac_f32_e32 v74, v68, v29
	v_add_f32_e32 v73, v73, v74
	s_waitcnt lgkmcnt(0)
	v_mul_f32_e32 v74, v69, v28
	v_fmac_f32_e32 v74, v70, v27
	v_add_f32_e32 v77, v73, v74
	ds_read2_b64 v[73:76], v1 offset0:89 offset1:90
	s_waitcnt vmcnt(27)
	v_mul_f32_e32 v78, v71, v33
	s_waitcnt vmcnt(20)
	v_fmac_f32_e32 v78, v72, v153
	v_add_f32_e32 v81, v77, v78
	buffer_load_dword v172, off, s[0:3], 0 offset:296
	buffer_load_dword v173, off, s[0:3], 0 offset:300
	ds_read2_b64 v[77:80], v1 offset0:91 offset1:92
	s_waitcnt lgkmcnt(1)
	v_mul_f32_e32 v82, v73, v36
	v_fmac_f32_e32 v82, v74, v35
	v_add_f32_e32 v81, v81, v82
	v_mul_f32_e32 v82, v75, v38
	v_fmac_f32_e32 v82, v76, v37
	buffer_load_dword v174, off, s[0:3], 0 offset:308
	buffer_load_dword v175, off, s[0:3], 0 offset:304
	;; [unrolled: 1-line block ×4, first 2 shown]
	v_add_f32_e32 v81, v81, v82
	s_waitcnt lgkmcnt(0)
	v_mul_f32_e32 v82, v77, v40
	v_fmac_f32_e32 v82, v78, v39
	s_waitcnt vmcnt(22)
	v_mul_f32_e32 v86, v79, v155
	v_add_f32_e32 v85, v81, v82
	v_fmac_f32_e32 v86, v80, v154
	ds_read2_b64 v[81:84], v1 offset0:93 offset1:94
	v_add_f32_e32 v89, v85, v86
	ds_read2_b64 v[85:88], v1 offset0:95 offset1:96
	buffer_load_dword v178, off, s[0:3], 0 offset:320
	buffer_load_dword v179, off, s[0:3], 0 offset:324
	;; [unrolled: 1-line block ×8, first 2 shown]
	s_waitcnt vmcnt(28) lgkmcnt(1)
	v_mul_f32_e32 v90, v81, v157
	buffer_load_dword v186, off, s[0:3], 0 offset:352
	buffer_load_dword v187, off, s[0:3], 0 offset:356
	v_fmac_f32_e32 v90, v82, v156
	v_add_f32_e32 v89, v89, v90
	s_waitcnt vmcnt(28)
	v_mul_f32_e32 v90, v83, v159
	v_fmac_f32_e32 v90, v84, v158
	v_add_f32_e32 v89, v89, v90
	s_waitcnt vmcnt(26) lgkmcnt(0)
	v_mul_f32_e32 v90, v85, v161
	v_fmac_f32_e32 v90, v86, v160
	v_add_f32_e32 v93, v89, v90
	ds_read2_b64 v[89:92], v1 offset0:97 offset1:98
	buffer_load_dword v188, off, s[0:3], 0 offset:360
	buffer_load_dword v189, off, s[0:3], 0 offset:364
	;; [unrolled: 1-line block ×6, first 2 shown]
	s_waitcnt vmcnt(30)
	v_mul_f32_e32 v94, v87, v163
	v_fmac_f32_e32 v94, v88, v162
	v_add_f32_e32 v97, v93, v94
	ds_read2_b64 v[93:96], v1 offset0:99 offset1:100
	buffer_load_dword v194, off, s[0:3], 0 offset:384
	buffer_load_dword v195, off, s[0:3], 0 offset:388
	;; [unrolled: 1-line block ×8, first 2 shown]
	s_waitcnt vmcnt(36) lgkmcnt(1)
	v_mul_f32_e32 v98, v89, v165
	buffer_load_dword v202, off, s[0:3], 0 offset:416
	buffer_load_dword v203, off, s[0:3], 0 offset:420
	v_fmac_f32_e32 v98, v90, v164
	v_add_f32_e32 v97, v97, v98
	s_waitcnt vmcnt(36)
	v_mul_f32_e32 v98, v91, v167
	v_fmac_f32_e32 v98, v92, v166
	v_add_f32_e32 v97, v97, v98
	v_mul_f32_e32 v10, v42, v10
	v_fma_f32 v10, v41, v26, -v10
	v_mul_f32_e32 v9, v44, v9
	v_add_f32_e32 v10, 0, v10
	v_fma_f32 v9, v43, v24, -v9
	v_mul_f32_e32 v8, v46, v8
	v_add_f32_e32 v9, v10, v9
	;; [unrolled: 3-line block ×5, first 2 shown]
	v_fma_f32 v5, v51, v20, -v5
	s_waitcnt vmcnt(34) lgkmcnt(0)
	v_mul_f32_e32 v98, v93, v169
	v_fmac_f32_e32 v98, v94, v168
	v_add_f32_e32 v101, v97, v98
	ds_read2_b64 v[97:100], v1 offset0:101 offset1:102
	buffer_load_dword v204, off, s[0:3], 0 offset:424
	buffer_load_dword v205, off, s[0:3], 0 offset:428
	;; [unrolled: 1-line block ×6, first 2 shown]
	s_waitcnt vmcnt(38)
	v_mul_f32_e32 v102, v95, v171
	v_fmac_f32_e32 v102, v96, v170
	v_add_f32_e32 v105, v101, v102
	ds_read2_b64 v[101:104], v1 offset0:103 offset1:104
	buffer_load_dword v210, off, s[0:3], 0 offset:448
	buffer_load_dword v211, off, s[0:3], 0 offset:452
	v_mul_f32_e32 v4, v54, v4
	v_add_f32_e32 v5, v6, v5
	v_fma_f32 v4, v53, v17, -v4
	v_add_f32_e32 v4, v5, v4
	v_mul_f32_e32 v5, v56, v11
	v_fma_f32 v5, v55, v22, -v5
	buffer_load_dword v212, off, s[0:3], 0 offset:456
	buffer_load_dword v213, off, s[0:3], 0 offset:460
	;; [unrolled: 1-line block ×6, first 2 shown]
	v_add_f32_e32 v4, v4, v5
	v_mul_f32_e32 v5, v58, v12
	v_fma_f32 v5, v57, v19, -v5
	v_add_f32_e32 v4, v4, v5
	v_mul_f32_e32 v5, v60, v13
	v_fma_f32 v5, v59, v16, -v5
	v_add_f32_e32 v4, v4, v5
	v_mul_f32_e32 v5, v62, v14
	buffer_load_dword v218, off, s[0:3], 0 offset:480
	buffer_load_dword v219, off, s[0:3], 0 offset:484
	v_fma_f32 v5, v61, v15, -v5
	v_add_f32_e32 v4, v4, v5
	v_mul_f32_e32 v5, v64, v18
	v_fma_f32 v5, v63, v34, -v5
	v_add_f32_e32 v4, v4, v5
	v_mul_f32_e32 v5, v66, v32
	;; [unrolled: 3-line block ×3, first 2 shown]
	buffer_load_dword v220, off, s[0:3], 0 offset:488
	buffer_load_dword v221, off, s[0:3], 0 offset:492
	;; [unrolled: 1-line block ×6, first 2 shown]
	v_fma_f32 v5, v67, v29, -v5
	v_add_f32_e32 v4, v4, v5
	v_mul_f32_e32 v5, v70, v28
	v_fma_f32 v5, v69, v27, -v5
	v_add_f32_e32 v4, v4, v5
	v_mul_f32_e32 v5, v72, v33
	;; [unrolled: 3-line block ×5, first 2 shown]
	v_fma_f32 v5, v77, v39, -v5
	s_waitcnt vmcnt(52) lgkmcnt(1)
	v_mul_f32_e32 v106, v97, v173
	v_add_f32_e32 v4, v4, v5
	v_mul_f32_e32 v5, v80, v155
	v_fmac_f32_e32 v106, v98, v172
	v_fma_f32 v5, v79, v154, -v5
	v_add_f32_e32 v105, v105, v106
	s_waitcnt vmcnt(51)
	v_mul_f32_e32 v106, v99, v174
	v_add_f32_e32 v4, v4, v5
	v_mul_f32_e32 v5, v82, v157
	s_waitcnt vmcnt(50)
	v_fmac_f32_e32 v106, v100, v175
	v_fma_f32 v5, v81, v156, -v5
	v_add_f32_e32 v105, v105, v106
	s_waitcnt vmcnt(48) lgkmcnt(0)
	v_mul_f32_e32 v106, v101, v177
	v_add_f32_e32 v4, v4, v5
	v_mul_f32_e32 v5, v84, v159
	v_fmac_f32_e32 v106, v102, v176
	v_fma_f32 v5, v83, v158, -v5
	v_add_f32_e32 v109, v105, v106
	ds_read2_b64 v[105:108], v1 offset0:105 offset1:106
	v_add_f32_e32 v4, v4, v5
	v_mul_f32_e32 v5, v86, v161
	v_fma_f32 v5, v85, v160, -v5
	s_waitcnt vmcnt(46)
	v_mul_f32_e32 v110, v103, v179
	v_add_f32_e32 v4, v4, v5
	v_mul_f32_e32 v5, v88, v163
	v_fmac_f32_e32 v110, v104, v178
	v_fma_f32 v5, v87, v162, -v5
	v_add_f32_e32 v113, v109, v110
	ds_read2_b64 v[109:112], v1 offset0:107 offset1:108
	v_add_f32_e32 v4, v4, v5
	v_mul_f32_e32 v5, v90, v165
	s_waitcnt vmcnt(44) lgkmcnt(1)
	v_mul_f32_e32 v114, v105, v181
	v_fma_f32 v5, v89, v164, -v5
	v_fmac_f32_e32 v114, v106, v180
	v_add_f32_e32 v4, v4, v5
	v_mul_f32_e32 v5, v92, v167
	v_add_f32_e32 v113, v113, v114
	s_waitcnt vmcnt(43)
	v_mul_f32_e32 v114, v107, v182
	v_fma_f32 v5, v91, v166, -v5
	s_waitcnt vmcnt(40)
	v_fmac_f32_e32 v114, v108, v185
	v_add_f32_e32 v4, v4, v5
	v_mul_f32_e32 v5, v94, v169
	v_add_f32_e32 v113, v113, v114
	s_waitcnt lgkmcnt(0)
	v_mul_f32_e32 v114, v109, v184
	v_fma_f32 v5, v93, v168, -v5
	v_fmac_f32_e32 v114, v110, v183
	v_add_f32_e32 v4, v4, v5
	v_mul_f32_e32 v5, v96, v171
	v_add_f32_e32 v117, v113, v114
	ds_read2_b64 v[113:116], v1 offset0:109 offset1:110
	v_fma_f32 v5, v95, v170, -v5
	v_add_f32_e32 v4, v4, v5
	v_mul_f32_e32 v5, v98, v173
	s_waitcnt vmcnt(38)
	v_mul_f32_e32 v118, v111, v187
	v_fma_f32 v5, v97, v172, -v5
	v_fmac_f32_e32 v118, v112, v186
	v_add_f32_e32 v4, v4, v5
	v_mul_f32_e32 v5, v100, v174
	v_add_f32_e32 v123, v117, v118
	ds_read2_b64 v[117:120], v1 offset0:111 offset1:112
	v_fma_f32 v5, v99, v175, -v5
	s_waitcnt vmcnt(36) lgkmcnt(1)
	v_mul_f32_e32 v124, v113, v189
	v_add_f32_e32 v4, v4, v5
	v_mul_f32_e32 v5, v102, v177
	v_fmac_f32_e32 v124, v114, v188
	v_fma_f32 v5, v101, v176, -v5
	v_add_f32_e32 v123, v123, v124
	s_waitcnt vmcnt(35)
	v_mul_f32_e32 v124, v115, v190
	v_add_f32_e32 v4, v4, v5
	v_mul_f32_e32 v5, v104, v179
	s_waitcnt vmcnt(32)
	v_fmac_f32_e32 v124, v116, v193
	v_fma_f32 v5, v103, v178, -v5
	v_add_f32_e32 v123, v123, v124
	s_waitcnt lgkmcnt(0)
	v_mul_f32_e32 v124, v117, v192
	v_add_f32_e32 v4, v4, v5
	v_mul_f32_e32 v5, v106, v181
	v_fmac_f32_e32 v124, v118, v191
	v_fma_f32 v5, v105, v180, -v5
	v_add_f32_e32 v127, v123, v124
	ds_read2_b64 v[123:126], v1 offset0:113 offset1:114
	v_add_f32_e32 v4, v4, v5
	v_mul_f32_e32 v5, v108, v182
	v_fma_f32 v5, v107, v185, -v5
	s_waitcnt vmcnt(30)
	v_mul_f32_e32 v128, v119, v195
	v_add_f32_e32 v4, v4, v5
	v_mul_f32_e32 v5, v110, v184
	v_fmac_f32_e32 v128, v120, v194
	v_fma_f32 v5, v109, v183, -v5
	v_add_f32_e32 v131, v127, v128
	ds_read2_b64 v[127:130], v1 offset0:115 offset1:116
	v_add_f32_e32 v4, v4, v5
	v_mul_f32_e32 v5, v112, v187
	s_waitcnt vmcnt(28) lgkmcnt(1)
	v_mul_f32_e32 v132, v123, v197
	v_fma_f32 v5, v111, v186, -v5
	v_fmac_f32_e32 v132, v124, v196
	v_add_f32_e32 v4, v4, v5
	v_mul_f32_e32 v5, v114, v189
	v_add_f32_e32 v131, v131, v132
	s_waitcnt vmcnt(27)
	v_mul_f32_e32 v132, v125, v198
	v_fma_f32 v5, v113, v188, -v5
	s_waitcnt vmcnt(24)
	v_fmac_f32_e32 v132, v126, v201
	v_add_f32_e32 v4, v4, v5
	v_mul_f32_e32 v5, v116, v190
	v_add_f32_e32 v131, v131, v132
	s_waitcnt lgkmcnt(0)
	v_mul_f32_e32 v132, v127, v200
	v_fma_f32 v5, v115, v193, -v5
	v_fmac_f32_e32 v132, v128, v199
	v_add_f32_e32 v4, v4, v5
	v_mul_f32_e32 v5, v118, v192
	v_add_f32_e32 v135, v131, v132
	ds_read2_b64 v[131:134], v1 offset0:117 offset1:118
	v_fma_f32 v5, v117, v191, -v5
	v_add_f32_e32 v4, v4, v5
	v_mul_f32_e32 v5, v120, v195
	s_waitcnt vmcnt(22)
	v_mul_f32_e32 v136, v129, v203
	v_fma_f32 v5, v119, v194, -v5
	v_fmac_f32_e32 v136, v130, v202
	v_add_f32_e32 v4, v4, v5
	v_mul_f32_e32 v5, v124, v197
	v_add_f32_e32 v139, v135, v136
	ds_read2_b64 v[135:138], v1 offset0:119 offset1:120
	v_fma_f32 v5, v123, v196, -v5
	s_waitcnt vmcnt(20) lgkmcnt(1)
	v_mul_f32_e32 v140, v131, v205
	v_add_f32_e32 v4, v4, v5
	v_mul_f32_e32 v5, v126, v198
	v_fmac_f32_e32 v140, v132, v204
	v_fma_f32 v5, v125, v201, -v5
	v_add_f32_e32 v139, v139, v140
	s_waitcnt vmcnt(19)
	v_mul_f32_e32 v140, v133, v206
	v_add_f32_e32 v4, v4, v5
	v_mul_f32_e32 v5, v128, v200
	s_waitcnt vmcnt(16)
	v_fmac_f32_e32 v140, v134, v209
	v_fma_f32 v5, v127, v199, -v5
	v_add_f32_e32 v139, v139, v140
	s_waitcnt lgkmcnt(0)
	v_mul_f32_e32 v140, v135, v208
	v_add_f32_e32 v4, v4, v5
	v_mul_f32_e32 v5, v130, v203
	v_fmac_f32_e32 v140, v136, v207
	v_fma_f32 v5, v129, v202, -v5
	v_add_f32_e32 v143, v139, v140
	ds_read2_b64 v[139:142], v1 offset0:121 offset1:122
	v_add_f32_e32 v4, v4, v5
	v_mul_f32_e32 v5, v132, v205
	v_fma_f32 v5, v131, v204, -v5
	s_waitcnt vmcnt(14)
	v_mul_f32_e32 v144, v137, v211
	v_add_f32_e32 v4, v4, v5
	v_mul_f32_e32 v5, v134, v206
	v_fmac_f32_e32 v144, v138, v210
	v_fma_f32 v5, v133, v209, -v5
	v_add_f32_e32 v147, v143, v144
	ds_read2_b64 v[143:146], v1 offset0:123 offset1:124
	v_add_f32_e32 v4, v4, v5
	v_mul_f32_e32 v5, v136, v208
	s_waitcnt vmcnt(12) lgkmcnt(1)
	v_mul_f32_e32 v148, v139, v213
	v_fma_f32 v5, v135, v207, -v5
	v_fmac_f32_e32 v148, v140, v212
	v_add_f32_e32 v4, v4, v5
	v_mul_f32_e32 v5, v138, v211
	v_add_f32_e32 v147, v147, v148
	s_waitcnt vmcnt(11)
	v_mul_f32_e32 v148, v141, v214
	v_fma_f32 v5, v137, v210, -v5
	s_waitcnt vmcnt(8)
	v_fmac_f32_e32 v148, v142, v217
	v_add_f32_e32 v4, v4, v5
	v_mul_f32_e32 v5, v140, v213
	v_add_f32_e32 v147, v147, v148
	s_waitcnt lgkmcnt(0)
	v_mul_f32_e32 v148, v143, v216
	v_fma_f32 v5, v139, v212, -v5
	v_fmac_f32_e32 v148, v144, v215
	v_add_f32_e32 v4, v4, v5
	v_mul_f32_e32 v5, v142, v214
	v_add_f32_e32 v151, v147, v148
	ds_read2_b64 v[147:150], v1 offset0:125 offset1:126
	v_fma_f32 v5, v141, v217, -v5
	v_add_f32_e32 v4, v4, v5
	v_mul_f32_e32 v5, v144, v216
	s_waitcnt vmcnt(6)
	v_mul_f32_e32 v152, v145, v219
	v_fma_f32 v5, v143, v215, -v5
	v_fmac_f32_e32 v152, v146, v218
	v_add_f32_e32 v4, v4, v5
	v_mul_f32_e32 v5, v146, v219
	v_add_f32_e32 v226, v151, v152
	ds_read_b64 v[151:152], v1 offset:1016
	v_fma_f32 v5, v145, v218, -v5
	v_add_f32_e32 v4, v4, v5
	s_waitcnt vmcnt(4) lgkmcnt(1)
	v_mul_f32_e32 v5, v148, v221
	v_mul_f32_e32 v227, v147, v221
	v_fma_f32 v5, v147, v220, -v5
	v_fmac_f32_e32 v227, v148, v220
	v_add_f32_e32 v4, v4, v5
	s_waitcnt vmcnt(3)
	v_mul_f32_e32 v5, v150, v222
	v_add_f32_e32 v226, v226, v227
	v_mul_f32_e32 v227, v149, v222
	s_waitcnt vmcnt(0)
	v_fma_f32 v5, v149, v225, -v5
	v_fmac_f32_e32 v227, v150, v225
	v_add_f32_e32 v4, v4, v5
	s_waitcnt lgkmcnt(0)
	v_mul_f32_e32 v5, v152, v224
	v_add_f32_e32 v226, v226, v227
	v_mul_f32_e32 v227, v151, v224
	v_fma_f32 v5, v151, v223, -v5
	v_fmac_f32_e32 v227, v152, v223
	v_add_f32_e32 v4, v4, v5
	v_add_f32_e32 v226, v226, v227
	v_sub_f32_e32 v2, v2, v4
	v_sub_f32_e32 v3, v3, v226
	buffer_store_dword v2, off, s[0:3], 0 offset:64
	buffer_store_dword v3, off, s[0:3], 0 offset:68
	s_and_saveexec_b64 s[4:5], vcc
	s_cbranch_execz .LBB127_383
; %bb.382:
	buffer_load_dword v2, off, s[0:3], 0 offset:56
	buffer_load_dword v3, off, s[0:3], 0 offset:60
	s_waitcnt vmcnt(0)
	ds_write_b64 v249, v[2:3]
	buffer_store_dword v1, off, s[0:3], 0 offset:56
	buffer_store_dword v1, off, s[0:3], 0 offset:60
.LBB127_383:
	s_or_b64 exec, exec, s[4:5]
	s_waitcnt lgkmcnt(0)
	; wave barrier
	buffer_load_dword v10, off, s[0:3], 0 offset:68
	buffer_load_dword v9, off, s[0:3], 0 offset:76
	;; [unrolled: 1-line block ×40, first 2 shown]
	ds_read_b128 v[41:44], v1 offset:576
	ds_read_b128 v[45:48], v1 offset:592
	;; [unrolled: 1-line block ×6, first 2 shown]
	buffer_load_dword v156, off, s[0:3], 0 offset:216
	buffer_load_dword v157, off, s[0:3], 0 offset:220
	;; [unrolled: 1-line block ×16, first 2 shown]
	v_cmp_lt_u32_e32 vcc, 6, v0
	s_waitcnt vmcnt(55) lgkmcnt(5)
	v_mul_f32_e32 v65, v41, v10
	s_waitcnt vmcnt(54)
	v_mul_f32_e32 v66, v43, v9
	s_waitcnt vmcnt(53) lgkmcnt(4)
	v_mul_f32_e32 v67, v45, v8
	s_waitcnt vmcnt(52)
	v_mul_f32_e32 v68, v47, v7
	;; [unrolled: 4-line block ×5, first 2 shown]
	s_waitcnt vmcnt(45)
	v_fmac_f32_e32 v67, v46, v17
	s_waitcnt vmcnt(44)
	v_fmac_f32_e32 v66, v44, v21
	;; [unrolled: 2-line block ×3, first 2 shown]
	v_add_f32_e32 v65, 0, v65
	v_add_f32_e32 v65, v65, v66
	;; [unrolled: 1-line block ×3, first 2 shown]
	s_waitcnt vmcnt(39)
	v_fmac_f32_e32 v68, v48, v24
	v_fmac_f32_e32 v69, v50, v20
	v_add_f32_e32 v65, v65, v68
	v_fmac_f32_e32 v70, v52, v16
	v_add_f32_e32 v65, v65, v69
	;; [unrolled: 2-line block ×3, first 2 shown]
	s_waitcnt vmcnt(35)
	v_fmac_f32_e32 v72, v56, v26
	v_add_f32_e32 v65, v65, v71
	v_fmac_f32_e32 v73, v58, v22
	v_add_f32_e32 v65, v65, v72
	;; [unrolled: 2-line block ×3, first 2 shown]
	s_waitcnt vmcnt(34) lgkmcnt(0)
	v_mul_f32_e32 v66, v61, v19
	v_add_f32_e32 v65, v65, v74
	v_fmac_f32_e32 v66, v62, v15
	v_add_f32_e32 v69, v65, v66
	ds_read_b128 v[65:68], v1 offset:672
	s_waitcnt vmcnt(33)
	v_mul_f32_e32 v70, v63, v23
	s_waitcnt vmcnt(29)
	v_fmac_f32_e32 v70, v64, v33
	v_add_f32_e32 v73, v69, v70
	ds_read_b128 v[69:72], v1 offset:688
	buffer_load_dword v172, off, s[0:3], 0 offset:280
	buffer_load_dword v173, off, s[0:3], 0 offset:284
	s_waitcnt vmcnt(30) lgkmcnt(1)
	v_mul_f32_e32 v74, v65, v32
	v_fmac_f32_e32 v74, v66, v30
	v_add_f32_e32 v73, v73, v74
	s_waitcnt vmcnt(29)
	v_mul_f32_e32 v74, v67, v31
	v_fmac_f32_e32 v74, v68, v28
	v_add_f32_e32 v73, v73, v74
	s_waitcnt vmcnt(28) lgkmcnt(0)
	v_mul_f32_e32 v74, v69, v29
	v_fmac_f32_e32 v74, v70, v27
	v_add_f32_e32 v77, v73, v74
	buffer_load_dword v174, off, s[0:3], 0 offset:288
	buffer_load_dword v175, off, s[0:3], 0 offset:292
	ds_read_b128 v[73:76], v1 offset:704
	s_waitcnt vmcnt(29)
	v_mul_f32_e32 v78, v71, v34
	s_waitcnt vmcnt(22)
	v_fmac_f32_e32 v78, v72, v155
	v_add_f32_e32 v81, v77, v78
	ds_read_b128 v[77:80], v1 offset:720
	s_waitcnt lgkmcnt(1)
	v_mul_f32_e32 v82, v73, v36
	v_fmac_f32_e32 v82, v74, v35
	v_add_f32_e32 v81, v81, v82
	v_mul_f32_e32 v82, v75, v38
	buffer_load_dword v176, off, s[0:3], 0 offset:296
	buffer_load_dword v177, off, s[0:3], 0 offset:300
	v_fmac_f32_e32 v82, v76, v37
	v_add_f32_e32 v81, v81, v82
	s_waitcnt lgkmcnt(0)
	v_mul_f32_e32 v82, v77, v40
	buffer_load_dword v178, off, s[0:3], 0 offset:304
	buffer_load_dword v179, off, s[0:3], 0 offset:308
	v_fmac_f32_e32 v82, v78, v39
	v_add_f32_e32 v85, v81, v82
	ds_read_b128 v[81:84], v1 offset:736
	buffer_load_dword v180, off, s[0:3], 0 offset:312
	buffer_load_dword v181, off, s[0:3], 0 offset:316
	s_waitcnt vmcnt(24)
	v_mul_f32_e32 v86, v79, v157
	v_fmac_f32_e32 v86, v80, v156
	v_add_f32_e32 v89, v85, v86
	ds_read_b128 v[85:88], v1 offset:752
	s_waitcnt vmcnt(22) lgkmcnt(1)
	v_mul_f32_e32 v90, v81, v159
	v_fmac_f32_e32 v90, v82, v158
	buffer_load_dword v182, off, s[0:3], 0 offset:320
	buffer_load_dword v183, off, s[0:3], 0 offset:324
	;; [unrolled: 1-line block ×6, first 2 shown]
	v_add_f32_e32 v89, v89, v90
	s_waitcnt vmcnt(26)
	v_mul_f32_e32 v90, v83, v161
	v_fmac_f32_e32 v90, v84, v160
	v_add_f32_e32 v89, v89, v90
	s_waitcnt vmcnt(24) lgkmcnt(0)
	v_mul_f32_e32 v90, v85, v163
	v_fmac_f32_e32 v90, v86, v162
	v_add_f32_e32 v93, v89, v90
	ds_read_b128 v[89:92], v1 offset:768
	buffer_load_dword v188, off, s[0:3], 0 offset:344
	buffer_load_dword v189, off, s[0:3], 0 offset:348
	s_waitcnt vmcnt(24)
	v_mul_f32_e32 v94, v87, v165
	v_fmac_f32_e32 v94, v88, v164
	v_add_f32_e32 v97, v93, v94
	ds_read_b128 v[93:96], v1 offset:784
	buffer_load_dword v190, off, s[0:3], 0 offset:352
	buffer_load_dword v191, off, s[0:3], 0 offset:356
	;; [unrolled: 1-line block ×14, first 2 shown]
	s_waitcnt vmcnt(36) lgkmcnt(1)
	v_mul_f32_e32 v98, v89, v167
	buffer_load_dword v204, off, s[0:3], 0 offset:408
	buffer_load_dword v205, off, s[0:3], 0 offset:412
	v_fmac_f32_e32 v98, v90, v166
	v_add_f32_e32 v97, v97, v98
	s_waitcnt vmcnt(36)
	v_mul_f32_e32 v98, v91, v169
	v_fmac_f32_e32 v98, v92, v168
	v_add_f32_e32 v97, v97, v98
	s_waitcnt vmcnt(34) lgkmcnt(0)
	v_mul_f32_e32 v98, v93, v171
	v_fmac_f32_e32 v98, v94, v170
	v_add_f32_e32 v101, v97, v98
	ds_read_b128 v[97:100], v1 offset:800
	buffer_load_dword v206, off, s[0:3], 0 offset:416
	buffer_load_dword v207, off, s[0:3], 0 offset:420
	;; [unrolled: 1-line block ×6, first 2 shown]
	v_mul_f32_e32 v10, v42, v10
	v_fma_f32 v10, v41, v25, -v10
	v_mul_f32_e32 v9, v44, v9
	v_add_f32_e32 v10, 0, v10
	v_fma_f32 v9, v43, v21, -v9
	v_mul_f32_e32 v8, v46, v8
	v_add_f32_e32 v9, v10, v9
	v_fma_f32 v8, v45, v17, -v8
	v_mul_f32_e32 v7, v48, v7
	v_add_f32_e32 v8, v9, v8
	v_fma_f32 v7, v47, v24, -v7
	v_mul_f32_e32 v6, v50, v6
	v_add_f32_e32 v7, v8, v7
	v_fma_f32 v6, v49, v20, -v6
	v_mul_f32_e32 v5, v52, v5
	v_add_f32_e32 v6, v7, v6
	s_waitcnt vmcnt(38)
	v_mul_f32_e32 v102, v95, v173
	v_fmac_f32_e32 v102, v96, v172
	v_add_f32_e32 v105, v101, v102
	ds_read_b128 v[101:104], v1 offset:816
	buffer_load_dword v212, off, s[0:3], 0 offset:440
	buffer_load_dword v213, off, s[0:3], 0 offset:444
	v_fma_f32 v5, v51, v16, -v5
	v_mul_f32_e32 v4, v54, v4
	v_add_f32_e32 v5, v6, v5
	v_fma_f32 v4, v53, v14, -v4
	v_add_f32_e32 v4, v5, v4
	v_mul_f32_e32 v5, v56, v11
	v_fma_f32 v5, v55, v26, -v5
	buffer_load_dword v214, off, s[0:3], 0 offset:448
	buffer_load_dword v215, off, s[0:3], 0 offset:452
	;; [unrolled: 1-line block ×6, first 2 shown]
	v_add_f32_e32 v4, v4, v5
	v_mul_f32_e32 v5, v58, v12
	v_fma_f32 v5, v57, v22, -v5
	v_add_f32_e32 v4, v4, v5
	v_mul_f32_e32 v5, v60, v13
	v_fma_f32 v5, v59, v18, -v5
	v_add_f32_e32 v4, v4, v5
	v_mul_f32_e32 v5, v62, v19
	buffer_load_dword v220, off, s[0:3], 0 offset:472
	buffer_load_dword v221, off, s[0:3], 0 offset:476
	v_fma_f32 v5, v61, v15, -v5
	v_add_f32_e32 v4, v4, v5
	v_mul_f32_e32 v5, v64, v23
	s_waitcnt vmcnt(46) lgkmcnt(1)
	v_mul_f32_e32 v106, v97, v175
	v_fma_f32 v5, v63, v33, -v5
	v_fmac_f32_e32 v106, v98, v174
	v_add_f32_e32 v4, v4, v5
	v_mul_f32_e32 v5, v66, v32
	v_add_f32_e32 v105, v105, v106
	s_waitcnt vmcnt(44)
	v_mul_f32_e32 v106, v99, v177
	v_fma_f32 v5, v65, v30, -v5
	v_fmac_f32_e32 v106, v100, v176
	v_add_f32_e32 v4, v4, v5
	v_mul_f32_e32 v5, v68, v31
	v_add_f32_e32 v105, v105, v106
	s_waitcnt vmcnt(42) lgkmcnt(0)
	v_mul_f32_e32 v106, v101, v179
	buffer_load_dword v222, off, s[0:3], 0 offset:480
	buffer_load_dword v223, off, s[0:3], 0 offset:484
	;; [unrolled: 1-line block ×6, first 2 shown]
	v_fma_f32 v5, v67, v28, -v5
	v_fmac_f32_e32 v106, v102, v178
	s_waitcnt vmcnt(46)
	v_mul_f32_e32 v110, v103, v181
	v_add_f32_e32 v4, v4, v5
	v_mul_f32_e32 v5, v70, v29
	v_add_f32_e32 v109, v105, v106
	v_fmac_f32_e32 v110, v104, v180
	v_fma_f32 v5, v69, v27, -v5
	ds_read_b128 v[105:108], v1 offset:832
	v_add_f32_e32 v113, v109, v110
	ds_read_b128 v[109:112], v1 offset:848
	buffer_load_dword v228, off, s[0:3], 0 offset:504
	buffer_load_dword v229, off, s[0:3], 0 offset:508
	v_add_f32_e32 v4, v4, v5
	v_mul_f32_e32 v5, v72, v34
	v_fma_f32 v5, v71, v155, -v5
	v_add_f32_e32 v4, v4, v5
	v_mul_f32_e32 v5, v74, v36
	v_fma_f32 v5, v73, v35, -v5
	;; [unrolled: 3-line block ×9, first 2 shown]
	v_add_f32_e32 v4, v4, v5
	v_mul_f32_e32 v5, v90, v167
	s_waitcnt vmcnt(46) lgkmcnt(1)
	v_mul_f32_e32 v114, v105, v183
	v_fma_f32 v5, v89, v166, -v5
	v_fmac_f32_e32 v114, v106, v182
	v_add_f32_e32 v4, v4, v5
	v_mul_f32_e32 v5, v92, v169
	v_add_f32_e32 v113, v113, v114
	s_waitcnt vmcnt(45)
	v_mul_f32_e32 v114, v107, v184
	v_fma_f32 v5, v91, v168, -v5
	s_waitcnt vmcnt(42)
	v_fmac_f32_e32 v114, v108, v187
	v_add_f32_e32 v4, v4, v5
	v_mul_f32_e32 v5, v94, v171
	v_add_f32_e32 v113, v113, v114
	s_waitcnt lgkmcnt(0)
	v_mul_f32_e32 v114, v109, v186
	v_fma_f32 v5, v93, v170, -v5
	v_fmac_f32_e32 v114, v110, v185
	v_add_f32_e32 v4, v4, v5
	v_mul_f32_e32 v5, v96, v173
	v_add_f32_e32 v117, v113, v114
	ds_read_b128 v[113:116], v1 offset:864
	v_fma_f32 v5, v95, v172, -v5
	v_add_f32_e32 v4, v4, v5
	v_mul_f32_e32 v5, v98, v175
	s_waitcnt vmcnt(40)
	v_mul_f32_e32 v118, v111, v189
	v_fma_f32 v5, v97, v174, -v5
	v_fmac_f32_e32 v118, v112, v188
	v_add_f32_e32 v4, v4, v5
	v_mul_f32_e32 v5, v100, v177
	v_add_f32_e32 v123, v117, v118
	ds_read_b128 v[117:120], v1 offset:880
	v_fma_f32 v5, v99, v176, -v5
	s_waitcnt vmcnt(38) lgkmcnt(1)
	v_mul_f32_e32 v124, v113, v191
	v_add_f32_e32 v4, v4, v5
	v_mul_f32_e32 v5, v102, v179
	v_fmac_f32_e32 v124, v114, v190
	v_fma_f32 v5, v101, v178, -v5
	v_add_f32_e32 v123, v123, v124
	s_waitcnt vmcnt(37)
	v_mul_f32_e32 v124, v115, v192
	v_add_f32_e32 v4, v4, v5
	v_mul_f32_e32 v5, v104, v181
	s_waitcnt vmcnt(34)
	v_fmac_f32_e32 v124, v116, v195
	v_fma_f32 v5, v103, v180, -v5
	v_add_f32_e32 v123, v123, v124
	s_waitcnt lgkmcnt(0)
	v_mul_f32_e32 v124, v117, v194
	v_add_f32_e32 v4, v4, v5
	v_mul_f32_e32 v5, v106, v183
	v_fmac_f32_e32 v124, v118, v193
	v_fma_f32 v5, v105, v182, -v5
	v_add_f32_e32 v127, v123, v124
	ds_read_b128 v[123:126], v1 offset:896
	v_add_f32_e32 v4, v4, v5
	v_mul_f32_e32 v5, v108, v184
	v_fma_f32 v5, v107, v187, -v5
	s_waitcnt vmcnt(32)
	v_mul_f32_e32 v128, v119, v197
	v_add_f32_e32 v4, v4, v5
	v_mul_f32_e32 v5, v110, v186
	v_fmac_f32_e32 v128, v120, v196
	v_fma_f32 v5, v109, v185, -v5
	v_add_f32_e32 v131, v127, v128
	ds_read_b128 v[127:130], v1 offset:912
	v_add_f32_e32 v4, v4, v5
	v_mul_f32_e32 v5, v112, v189
	s_waitcnt vmcnt(30) lgkmcnt(1)
	v_mul_f32_e32 v132, v123, v199
	v_fma_f32 v5, v111, v188, -v5
	v_fmac_f32_e32 v132, v124, v198
	v_add_f32_e32 v4, v4, v5
	v_mul_f32_e32 v5, v114, v191
	v_add_f32_e32 v131, v131, v132
	s_waitcnt vmcnt(29)
	v_mul_f32_e32 v132, v125, v200
	v_fma_f32 v5, v113, v190, -v5
	s_waitcnt vmcnt(26)
	v_fmac_f32_e32 v132, v126, v203
	v_add_f32_e32 v4, v4, v5
	v_mul_f32_e32 v5, v116, v192
	v_add_f32_e32 v131, v131, v132
	s_waitcnt lgkmcnt(0)
	v_mul_f32_e32 v132, v127, v202
	v_fma_f32 v5, v115, v195, -v5
	v_fmac_f32_e32 v132, v128, v201
	v_add_f32_e32 v4, v4, v5
	v_mul_f32_e32 v5, v118, v194
	v_add_f32_e32 v135, v131, v132
	ds_read_b128 v[131:134], v1 offset:928
	v_fma_f32 v5, v117, v193, -v5
	v_add_f32_e32 v4, v4, v5
	v_mul_f32_e32 v5, v120, v197
	s_waitcnt vmcnt(24)
	v_mul_f32_e32 v136, v129, v205
	v_fma_f32 v5, v119, v196, -v5
	v_fmac_f32_e32 v136, v130, v204
	v_add_f32_e32 v4, v4, v5
	v_mul_f32_e32 v5, v124, v199
	v_add_f32_e32 v139, v135, v136
	ds_read_b128 v[135:138], v1 offset:944
	v_fma_f32 v5, v123, v198, -v5
	s_waitcnt vmcnt(22) lgkmcnt(1)
	v_mul_f32_e32 v140, v131, v207
	v_add_f32_e32 v4, v4, v5
	v_mul_f32_e32 v5, v126, v200
	v_fmac_f32_e32 v140, v132, v206
	v_fma_f32 v5, v125, v203, -v5
	v_add_f32_e32 v139, v139, v140
	s_waitcnt vmcnt(21)
	v_mul_f32_e32 v140, v133, v208
	v_add_f32_e32 v4, v4, v5
	v_mul_f32_e32 v5, v128, v202
	s_waitcnt vmcnt(18)
	v_fmac_f32_e32 v140, v134, v211
	v_fma_f32 v5, v127, v201, -v5
	v_add_f32_e32 v139, v139, v140
	s_waitcnt lgkmcnt(0)
	v_mul_f32_e32 v140, v135, v210
	v_add_f32_e32 v4, v4, v5
	v_mul_f32_e32 v5, v130, v205
	v_fmac_f32_e32 v140, v136, v209
	v_fma_f32 v5, v129, v204, -v5
	v_add_f32_e32 v143, v139, v140
	ds_read_b128 v[139:142], v1 offset:960
	v_add_f32_e32 v4, v4, v5
	v_mul_f32_e32 v5, v132, v207
	v_fma_f32 v5, v131, v206, -v5
	s_waitcnt vmcnt(16)
	v_mul_f32_e32 v144, v137, v213
	v_add_f32_e32 v4, v4, v5
	v_mul_f32_e32 v5, v134, v208
	v_fmac_f32_e32 v144, v138, v212
	v_fma_f32 v5, v133, v211, -v5
	v_add_f32_e32 v147, v143, v144
	ds_read_b128 v[143:146], v1 offset:976
	v_add_f32_e32 v4, v4, v5
	v_mul_f32_e32 v5, v136, v210
	s_waitcnt vmcnt(14) lgkmcnt(1)
	v_mul_f32_e32 v148, v139, v215
	v_fma_f32 v5, v135, v209, -v5
	v_fmac_f32_e32 v148, v140, v214
	v_add_f32_e32 v4, v4, v5
	v_mul_f32_e32 v5, v138, v213
	v_add_f32_e32 v147, v147, v148
	s_waitcnt vmcnt(13)
	v_mul_f32_e32 v148, v141, v216
	v_fma_f32 v5, v137, v212, -v5
	s_waitcnt vmcnt(10)
	v_fmac_f32_e32 v148, v142, v219
	v_add_f32_e32 v4, v4, v5
	v_mul_f32_e32 v5, v140, v215
	v_add_f32_e32 v147, v147, v148
	s_waitcnt lgkmcnt(0)
	v_mul_f32_e32 v148, v143, v218
	v_fma_f32 v5, v139, v214, -v5
	v_fmac_f32_e32 v148, v144, v217
	v_add_f32_e32 v4, v4, v5
	v_mul_f32_e32 v5, v142, v216
	v_add_f32_e32 v151, v147, v148
	ds_read_b128 v[147:150], v1 offset:992
	v_fma_f32 v5, v141, v219, -v5
	v_add_f32_e32 v4, v4, v5
	v_mul_f32_e32 v5, v144, v218
	s_waitcnt vmcnt(8)
	v_mul_f32_e32 v152, v145, v221
	v_fma_f32 v5, v143, v217, -v5
	v_fmac_f32_e32 v152, v146, v220
	v_add_f32_e32 v4, v4, v5
	v_mul_f32_e32 v5, v146, v221
	v_add_f32_e32 v230, v151, v152
	ds_read_b128 v[151:154], v1 offset:1008
	v_fma_f32 v5, v145, v220, -v5
	v_add_f32_e32 v4, v4, v5
	s_waitcnt vmcnt(6) lgkmcnt(1)
	v_mul_f32_e32 v5, v148, v223
	v_mul_f32_e32 v1, v147, v223
	v_fma_f32 v5, v147, v222, -v5
	v_fmac_f32_e32 v1, v148, v222
	v_add_f32_e32 v4, v4, v5
	s_waitcnt vmcnt(5)
	v_mul_f32_e32 v5, v150, v224
	v_add_f32_e32 v1, v230, v1
	v_mul_f32_e32 v230, v149, v224
	s_waitcnt vmcnt(2)
	v_fma_f32 v5, v149, v227, -v5
	v_fmac_f32_e32 v230, v150, v227
	v_add_f32_e32 v4, v4, v5
	s_waitcnt lgkmcnt(0)
	v_mul_f32_e32 v5, v152, v226
	v_add_f32_e32 v1, v1, v230
	v_mul_f32_e32 v230, v151, v226
	v_fma_f32 v5, v151, v225, -v5
	v_fmac_f32_e32 v230, v152, v225
	v_add_f32_e32 v4, v4, v5
	s_waitcnt vmcnt(0)
	v_mul_f32_e32 v5, v154, v229
	v_add_f32_e32 v1, v1, v230
	v_mul_f32_e32 v230, v153, v229
	v_fma_f32 v5, v153, v228, -v5
	v_fmac_f32_e32 v230, v154, v228
	v_add_f32_e32 v4, v4, v5
	v_add_f32_e32 v1, v1, v230
	v_sub_f32_e32 v2, v2, v4
	v_sub_f32_e32 v1, v3, v1
	buffer_store_dword v2, off, s[0:3], 0 offset:56
	buffer_store_dword v1, off, s[0:3], 0 offset:60
	s_and_saveexec_b64 s[4:5], vcc
	s_cbranch_execz .LBB127_385
; %bb.384:
	buffer_load_dword v1, off, s[0:3], 0 offset:48
	buffer_load_dword v2, off, s[0:3], 0 offset:52
	v_mov_b32_e32 v3, 0
	buffer_store_dword v3, off, s[0:3], 0 offset:48
	buffer_store_dword v3, off, s[0:3], 0 offset:52
	s_waitcnt vmcnt(2)
	ds_write_b64 v249, v[1:2]
.LBB127_385:
	s_or_b64 exec, exec, s[4:5]
	s_waitcnt lgkmcnt(0)
	; wave barrier
	buffer_load_dword v9, off, s[0:3], 0 offset:60
	buffer_load_dword v8, off, s[0:3], 0 offset:68
	;; [unrolled: 1-line block ×52, first 2 shown]
	v_mov_b32_e32 v25, 0
	ds_read2_b64 v[54:57], v25 offset0:71 offset1:72
	ds_read2_b64 v[58:61], v25 offset0:73 offset1:74
	;; [unrolled: 1-line block ×6, first 2 shown]
	buffer_load_dword v120, off, s[0:3], 0 offset:260
	buffer_load_dword v171, off, s[0:3], 0 offset:256
	;; [unrolled: 1-line block ×4, first 2 shown]
	v_cmp_lt_u32_e32 vcc, 5, v0
	s_waitcnt vmcnt(55) lgkmcnt(5)
	v_mul_f32_e32 v78, v54, v9
	s_waitcnt vmcnt(54)
	v_mul_f32_e32 v79, v56, v8
	s_waitcnt vmcnt(53) lgkmcnt(4)
	v_mul_f32_e32 v80, v58, v7
	s_waitcnt vmcnt(52)
	v_mul_f32_e32 v81, v60, v6
	;; [unrolled: 4-line block ×3, first 2 shown]
	s_waitcnt vmcnt(49) lgkmcnt(2)
	v_mul_f32_e32 v84, v66, v3
	s_waitcnt vmcnt(48)
	v_fmac_f32_e32 v80, v59, v14
	s_waitcnt vmcnt(47)
	v_fmac_f32_e32 v79, v57, v16
	;; [unrolled: 2-line block ×3, first 2 shown]
	v_add_f32_e32 v78, 0, v78
	v_add_f32_e32 v78, v78, v79
	;; [unrolled: 1-line block ×3, first 2 shown]
	s_waitcnt vmcnt(45)
	v_mul_f32_e32 v85, v68, v12
	s_waitcnt vmcnt(41)
	v_fmac_f32_e32 v84, v67, v20
	s_waitcnt vmcnt(40)
	v_fmac_f32_e32 v83, v65, v22
	;; [unrolled: 2-line block ×4, first 2 shown]
	v_add_f32_e32 v78, v78, v81
	v_add_f32_e32 v78, v78, v82
	;; [unrolled: 1-line block ×3, first 2 shown]
	s_waitcnt lgkmcnt(1)
	v_mul_f32_e32 v86, v70, v11
	s_waitcnt vmcnt(34)
	v_fmac_f32_e32 v85, v69, v23
	v_add_f32_e32 v78, v78, v84
	v_mul_f32_e32 v87, v72, v10
	v_fmac_f32_e32 v86, v71, v21
	v_add_f32_e32 v78, v78, v85
	s_waitcnt lgkmcnt(0)
	v_mul_f32_e32 v88, v74, v13
	v_fmac_f32_e32 v87, v73, v17
	v_add_f32_e32 v78, v78, v86
	v_add_f32_e32 v78, v78, v87
	v_fmac_f32_e32 v88, v75, v15
	v_add_f32_e32 v82, v78, v88
	ds_read2_b64 v[78:81], v25 offset0:83 offset1:84
	buffer_load_dword v174, off, s[0:3], 0 offset:272
	buffer_load_dword v175, off, s[0:3], 0 offset:276
	s_waitcnt vmcnt(35)
	v_mul_f32_e32 v83, v76, v18
	s_waitcnt vmcnt(31)
	v_fmac_f32_e32 v83, v77, v33
	v_add_f32_e32 v86, v82, v83
	ds_read2_b64 v[82:85], v25 offset0:85 offset1:86
	s_waitcnt vmcnt(30) lgkmcnt(1)
	v_mul_f32_e32 v87, v78, v32
	v_fmac_f32_e32 v87, v79, v30
	v_add_f32_e32 v86, v86, v87
	s_waitcnt vmcnt(29)
	v_mul_f32_e32 v87, v80, v31
	v_fmac_f32_e32 v87, v81, v28
	v_add_f32_e32 v86, v86, v87
	s_waitcnt vmcnt(28) lgkmcnt(0)
	v_mul_f32_e32 v87, v82, v29
	v_fmac_f32_e32 v87, v83, v27
	v_add_f32_e32 v86, v86, v87
	s_waitcnt vmcnt(25)
	v_mul_f32_e32 v87, v84, v35
	s_waitcnt vmcnt(24)
	v_fmac_f32_e32 v87, v85, v34
	buffer_load_dword v176, off, s[0:3], 0 offset:284
	v_add_f32_e32 v94, v86, v87
	ds_read2_b64 v[86:89], v25 offset0:87 offset1:88
	ds_read2_b64 v[90:93], v25 offset0:89 offset1:90
	buffer_load_dword v177, off, s[0:3], 0 offset:280
	buffer_load_dword v178, off, s[0:3], 0 offset:288
	;; [unrolled: 1-line block ×5, first 2 shown]
	v_mul_f32_e32 v9, v55, v9
	s_waitcnt vmcnt(28) lgkmcnt(1)
	v_mul_f32_e32 v95, v86, v37
	v_fmac_f32_e32 v95, v87, v36
	v_add_f32_e32 v94, v94, v95
	s_waitcnt vmcnt(26)
	v_mul_f32_e32 v95, v88, v39
	v_fmac_f32_e32 v95, v89, v38
	v_add_f32_e32 v94, v94, v95
	s_waitcnt vmcnt(24) lgkmcnt(0)
	v_mul_f32_e32 v95, v90, v41
	v_fmac_f32_e32 v95, v91, v40
	v_add_f32_e32 v98, v94, v95
	ds_read2_b64 v[94:97], v25 offset0:91 offset1:92
	s_waitcnt vmcnt(22)
	v_mul_f32_e32 v99, v92, v43
	v_fmac_f32_e32 v99, v93, v42
	buffer_load_dword v182, off, s[0:3], 0 offset:304
	buffer_load_dword v183, off, s[0:3], 0 offset:308
	v_add_f32_e32 v102, v98, v99
	ds_read2_b64 v[98:101], v25 offset0:93 offset1:94
	s_waitcnt vmcnt(22) lgkmcnt(1)
	v_mul_f32_e32 v103, v94, v45
	v_fmac_f32_e32 v103, v95, v44
	v_add_f32_e32 v102, v102, v103
	s_waitcnt vmcnt(20)
	v_mul_f32_e32 v103, v96, v47
	buffer_load_dword v184, off, s[0:3], 0 offset:312
	buffer_load_dword v185, off, s[0:3], 0 offset:316
	v_fmac_f32_e32 v103, v97, v46
	v_add_f32_e32 v102, v102, v103
	s_waitcnt vmcnt(20) lgkmcnt(0)
	v_mul_f32_e32 v103, v98, v49
	v_fmac_f32_e32 v103, v99, v48
	v_add_f32_e32 v106, v102, v103
	ds_read2_b64 v[102:105], v25 offset0:95 offset1:96
	buffer_load_dword v186, off, s[0:3], 0 offset:324
	buffer_load_dword v187, off, s[0:3], 0 offset:328
	;; [unrolled: 1-line block ×4, first 2 shown]
	s_waitcnt vmcnt(22)
	v_mul_f32_e32 v107, v100, v51
	v_fmac_f32_e32 v107, v101, v50
	v_add_f32_e32 v110, v106, v107
	ds_read2_b64 v[106:109], v25 offset0:97 offset1:98
	buffer_load_dword v190, off, s[0:3], 0 offset:336
	buffer_load_dword v191, off, s[0:3], 0 offset:340
	;; [unrolled: 1-line block ×10, first 2 shown]
	s_waitcnt vmcnt(30) lgkmcnt(1)
	v_mul_f32_e32 v111, v102, v53
	v_fmac_f32_e32 v111, v103, v52
	v_add_f32_e32 v110, v110, v111
	s_waitcnt vmcnt(29)
	v_mul_f32_e32 v111, v104, v120
	s_waitcnt vmcnt(28)
	v_fmac_f32_e32 v111, v105, v171
	buffer_load_dword v200, off, s[0:3], 0 offset:376
	buffer_load_dword v201, off, s[0:3], 0 offset:380
	;; [unrolled: 1-line block ×6, first 2 shown]
	v_add_f32_e32 v110, v110, v111
	s_waitcnt vmcnt(32) lgkmcnt(0)
	v_mul_f32_e32 v111, v106, v173
	v_fmac_f32_e32 v111, v107, v172
	v_add_f32_e32 v114, v110, v111
	ds_read2_b64 v[110:113], v25 offset0:99 offset1:100
	buffer_load_dword v206, off, s[0:3], 0 offset:400
	buffer_load_dword v207, off, s[0:3], 0 offset:404
	v_fma_f32 v9, v54, v19, -v9
	v_mul_f32_e32 v8, v57, v8
	v_add_f32_e32 v9, 0, v9
	v_fma_f32 v8, v56, v16, -v8
	v_mul_f32_e32 v7, v59, v7
	v_add_f32_e32 v8, v9, v8
	;; [unrolled: 3-line block ×4, first 2 shown]
	s_waitcnt vmcnt(32)
	v_mul_f32_e32 v115, v108, v175
	v_fmac_f32_e32 v115, v109, v174
	v_add_f32_e32 v118, v114, v115
	ds_read2_b64 v[114:117], v25 offset0:101 offset1:102
	buffer_load_dword v208, off, s[0:3], 0 offset:408
	buffer_load_dword v209, off, s[0:3], 0 offset:412
	;; [unrolled: 1-line block ×6, first 2 shown]
	v_fma_f32 v5, v62, v24, -v5
	v_mul_f32_e32 v4, v65, v4
	v_add_f32_e32 v5, v6, v5
	v_fma_f32 v4, v64, v22, -v4
	v_mul_f32_e32 v3, v67, v3
	buffer_load_dword v214, off, s[0:3], 0 offset:432
	buffer_load_dword v215, off, s[0:3], 0 offset:436
	v_add_f32_e32 v4, v5, v4
	v_fma_f32 v3, v66, v20, -v3
	v_add_f32_e32 v3, v4, v3
	v_mul_f32_e32 v4, v69, v12
	v_fma_f32 v4, v68, v23, -v4
	v_add_f32_e32 v3, v3, v4
	v_mul_f32_e32 v4, v71, v11
	v_fma_f32 v4, v70, v21, -v4
	buffer_load_dword v216, off, s[0:3], 0 offset:440
	buffer_load_dword v217, off, s[0:3], 0 offset:444
	buffer_load_dword v218, off, s[0:3], 0 offset:452
	buffer_load_dword v219, off, s[0:3], 0 offset:456
	buffer_load_dword v220, off, s[0:3], 0 offset:460
	buffer_load_dword v221, off, s[0:3], 0 offset:448
	v_add_f32_e32 v3, v3, v4
	v_mul_f32_e32 v4, v73, v10
	v_fma_f32 v4, v72, v17, -v4
	v_add_f32_e32 v3, v3, v4
	v_mul_f32_e32 v4, v75, v13
	buffer_load_dword v222, off, s[0:3], 0 offset:464
	buffer_load_dword v223, off, s[0:3], 0 offset:468
	v_fma_f32 v4, v74, v15, -v4
	v_add_f32_e32 v3, v3, v4
	v_mul_f32_e32 v4, v77, v18
	v_fma_f32 v4, v76, v33, -v4
	v_add_f32_e32 v3, v3, v4
	v_mul_f32_e32 v4, v79, v32
	v_fma_f32 v4, v78, v30, -v4
	ds_read2_b64 v[123:126], v25 offset0:103 offset1:104
	buffer_load_dword v224, off, s[0:3], 0 offset:472
	buffer_load_dword v225, off, s[0:3], 0 offset:476
	buffer_load_dword v226, off, s[0:3], 0 offset:484
	buffer_load_dword v227, off, s[0:3], 0 offset:488
	buffer_load_dword v228, off, s[0:3], 0 offset:492
	buffer_load_dword v229, off, s[0:3], 0 offset:480
	v_add_f32_e32 v3, v3, v4
	v_mul_f32_e32 v4, v81, v31
	v_fma_f32 v4, v80, v28, -v4
	v_add_f32_e32 v3, v3, v4
	v_mul_f32_e32 v4, v83, v29
	v_fma_f32 v4, v82, v27, -v4
	v_add_f32_e32 v3, v3, v4
	v_mul_f32_e32 v4, v85, v35
	ds_read2_b64 v[127:130], v25 offset0:105 offset1:106
	buffer_load_dword v230, off, s[0:3], 0 offset:500
	buffer_load_dword v231, off, s[0:3], 0 offset:504
	;; [unrolled: 1-line block ×4, first 2 shown]
	v_fma_f32 v4, v84, v34, -v4
	v_add_f32_e32 v3, v3, v4
	v_mul_f32_e32 v4, v87, v37
	v_fma_f32 v4, v86, v36, -v4
	v_add_f32_e32 v3, v3, v4
	v_mul_f32_e32 v4, v89, v39
	;; [unrolled: 3-line block ×12, first 2 shown]
	s_waitcnt vmcnt(57) lgkmcnt(3)
	v_mul_f32_e32 v119, v110, v176
	v_fma_f32 v4, v108, v174, -v4
	s_waitcnt vmcnt(56)
	v_fmac_f32_e32 v119, v111, v177
	v_add_f32_e32 v3, v3, v4
	v_mul_f32_e32 v4, v111, v176
	v_add_f32_e32 v118, v118, v119
	s_waitcnt vmcnt(54)
	v_mul_f32_e32 v119, v112, v179
	v_fma_f32 v4, v110, v177, -v4
	v_fmac_f32_e32 v119, v113, v178
	v_add_f32_e32 v3, v3, v4
	v_mul_f32_e32 v4, v113, v179
	v_add_f32_e32 v118, v118, v119
	s_waitcnt vmcnt(52) lgkmcnt(2)
	v_mul_f32_e32 v119, v114, v181
	v_fma_f32 v4, v112, v178, -v4
	v_fmac_f32_e32 v119, v115, v180
	v_add_f32_e32 v3, v3, v4
	v_mul_f32_e32 v4, v115, v181
	v_add_f32_e32 v118, v118, v119
	s_waitcnt vmcnt(50)
	v_mul_f32_e32 v119, v116, v183
	v_fma_f32 v4, v114, v180, -v4
	v_fmac_f32_e32 v119, v117, v182
	v_add_f32_e32 v3, v3, v4
	v_mul_f32_e32 v4, v117, v183
	v_add_f32_e32 v118, v118, v119
	s_waitcnt vmcnt(48) lgkmcnt(1)
	v_mul_f32_e32 v119, v123, v185
	v_fma_f32 v4, v116, v182, -v4
	v_fmac_f32_e32 v119, v124, v184
	v_add_f32_e32 v3, v3, v4
	v_mul_f32_e32 v4, v124, v185
	v_add_f32_e32 v118, v118, v119
	s_waitcnt vmcnt(47)
	v_mul_f32_e32 v119, v125, v186
	v_fma_f32 v4, v123, v184, -v4
	s_waitcnt vmcnt(44)
	v_fmac_f32_e32 v119, v126, v189
	ds_read2_b64 v[131:134], v25 offset0:107 offset1:108
	ds_read2_b64 v[135:138], v25 offset0:109 offset1:110
	v_add_f32_e32 v3, v3, v4
	v_mul_f32_e32 v4, v126, v186
	v_add_f32_e32 v118, v118, v119
	s_waitcnt lgkmcnt(2)
	v_mul_f32_e32 v119, v127, v188
	v_fma_f32 v4, v125, v189, -v4
	v_fmac_f32_e32 v119, v128, v187
	v_add_f32_e32 v3, v3, v4
	v_mul_f32_e32 v4, v128, v188
	v_add_f32_e32 v118, v118, v119
	s_waitcnt vmcnt(42)
	v_mul_f32_e32 v119, v129, v191
	v_fma_f32 v4, v127, v187, -v4
	v_fmac_f32_e32 v119, v130, v190
	v_add_f32_e32 v3, v3, v4
	v_mul_f32_e32 v4, v130, v191
	v_add_f32_e32 v118, v118, v119
	s_waitcnt vmcnt(40) lgkmcnt(1)
	v_mul_f32_e32 v119, v131, v193
	v_fma_f32 v4, v129, v190, -v4
	v_fmac_f32_e32 v119, v132, v192
	v_add_f32_e32 v3, v3, v4
	v_mul_f32_e32 v4, v132, v193
	v_add_f32_e32 v118, v118, v119
	s_waitcnt vmcnt(39)
	v_mul_f32_e32 v119, v133, v194
	v_fma_f32 v4, v131, v192, -v4
	s_waitcnt vmcnt(36)
	v_fmac_f32_e32 v119, v134, v197
	ds_read2_b64 v[139:142], v25 offset0:111 offset1:112
	ds_read2_b64 v[143:146], v25 offset0:113 offset1:114
	v_add_f32_e32 v3, v3, v4
	v_mul_f32_e32 v4, v134, v194
	v_add_f32_e32 v118, v118, v119
	s_waitcnt lgkmcnt(2)
	;; [unrolled: 31-line block ×5, first 2 shown]
	v_mul_f32_e32 v119, v159, v220
	v_fma_f32 v4, v157, v221, -v4
	v_fmac_f32_e32 v119, v160, v219
	v_add_f32_e32 v3, v3, v4
	v_mul_f32_e32 v4, v160, v220
	v_add_f32_e32 v118, v118, v119
	s_waitcnt vmcnt(10)
	v_mul_f32_e32 v119, v161, v223
	v_fma_f32 v4, v159, v219, -v4
	v_fmac_f32_e32 v119, v162, v222
	v_add_f32_e32 v3, v3, v4
	v_mul_f32_e32 v4, v162, v223
	v_add_f32_e32 v118, v118, v119
	s_waitcnt vmcnt(8) lgkmcnt(1)
	v_mul_f32_e32 v119, v163, v225
	v_fma_f32 v4, v161, v222, -v4
	v_fmac_f32_e32 v119, v164, v224
	v_add_f32_e32 v3, v3, v4
	v_mul_f32_e32 v4, v164, v225
	v_add_f32_e32 v118, v118, v119
	s_waitcnt vmcnt(7)
	v_mul_f32_e32 v119, v165, v226
	v_fma_f32 v4, v163, v224, -v4
	s_waitcnt vmcnt(4)
	v_fmac_f32_e32 v119, v166, v229
	v_add_f32_e32 v3, v3, v4
	v_mul_f32_e32 v4, v166, v226
	v_add_f32_e32 v234, v118, v119
	ds_read_b64 v[118:119], v25 offset:1016
	v_fma_f32 v4, v165, v229, -v4
	v_add_f32_e32 v3, v3, v4
	s_waitcnt lgkmcnt(1)
	v_mul_f32_e32 v4, v168, v228
	v_mul_f32_e32 v235, v167, v228
	v_fma_f32 v4, v167, v227, -v4
	v_fmac_f32_e32 v235, v168, v227
	v_add_f32_e32 v3, v3, v4
	s_waitcnt vmcnt(3)
	v_mul_f32_e32 v4, v170, v230
	v_add_f32_e32 v234, v234, v235
	v_mul_f32_e32 v235, v169, v230
	s_waitcnt vmcnt(0)
	v_fma_f32 v4, v169, v233, -v4
	v_fmac_f32_e32 v235, v170, v233
	v_add_f32_e32 v3, v3, v4
	s_waitcnt lgkmcnt(0)
	v_mul_f32_e32 v4, v119, v232
	v_add_f32_e32 v234, v234, v235
	v_mul_f32_e32 v235, v118, v232
	v_fma_f32 v4, v118, v231, -v4
	v_fmac_f32_e32 v235, v119, v231
	v_add_f32_e32 v3, v3, v4
	v_add_f32_e32 v234, v234, v235
	v_sub_f32_e32 v1, v1, v3
	v_sub_f32_e32 v2, v2, v234
	buffer_store_dword v1, off, s[0:3], 0 offset:48
	buffer_store_dword v2, off, s[0:3], 0 offset:52
	s_and_saveexec_b64 s[4:5], vcc
	s_cbranch_execz .LBB127_387
; %bb.386:
	buffer_load_dword v1, off, s[0:3], 0 offset:40
	buffer_load_dword v2, off, s[0:3], 0 offset:44
	s_waitcnt vmcnt(0)
	ds_write_b64 v249, v[1:2]
	buffer_store_dword v25, off, s[0:3], 0 offset:40
	buffer_store_dword v25, off, s[0:3], 0 offset:44
.LBB127_387:
	s_or_b64 exec, exec, s[4:5]
	s_waitcnt lgkmcnt(0)
	; wave barrier
	buffer_load_dword v34, off, s[0:3], 0 offset:52
	buffer_load_dword v33, off, s[0:3], 0 offset:60
	;; [unrolled: 1-line block ×34, first 2 shown]
	ds_read_b128 v[17:20], v25 offset:560
	ds_read_b128 v[9:12], v25 offset:576
	;; [unrolled: 1-line block ×4, first 2 shown]
	buffer_load_dword v60, off, s[0:3], 0 offset:180
	buffer_load_dword v61, off, s[0:3], 0 offset:184
	;; [unrolled: 1-line block ×6, first 2 shown]
	ds_read_b128 v[21:24], v25 offset:624
	ds_read_b128 v[13:16], v25 offset:640
	buffer_load_dword v65, off, s[0:3], 0 offset:200
	buffer_load_dword v67, off, s[0:3], 0 offset:204
	buffer_load_dword v68, off, s[0:3], 0 offset:208
	buffer_load_dword v69, off, s[0:3], 0 offset:212
	buffer_load_dword v70, off, s[0:3], 0 offset:216
	buffer_load_dword v71, off, s[0:3], 0 offset:220
	buffer_load_dword v72, off, s[0:3], 0 offset:224
	buffer_load_dword v73, off, s[0:3], 0 offset:228
	buffer_load_dword v74, off, s[0:3], 0 offset:232
	buffer_load_dword v75, off, s[0:3], 0 offset:236
	buffer_load_dword v76, off, s[0:3], 0 offset:240
	buffer_load_dword v77, off, s[0:3], 0 offset:244
	buffer_load_dword v78, off, s[0:3], 0 offset:248
	buffer_load_dword v119, off, s[0:3], 0 offset:252
	buffer_load_dword v120, off, s[0:3], 0 offset:256
	buffer_load_dword v175, off, s[0:3], 0 offset:260
	v_cmp_lt_u32_e32 vcc, 4, v0
	s_waitcnt vmcnt(55) lgkmcnt(5)
	v_mul_f32_e32 v79, v17, v34
	s_waitcnt vmcnt(54)
	v_mul_f32_e32 v80, v19, v33
	s_waitcnt vmcnt(53) lgkmcnt(4)
	v_mul_f32_e32 v81, v9, v32
	s_waitcnt vmcnt(52)
	v_mul_f32_e32 v82, v11, v31
	;; [unrolled: 4-line block ×4, first 2 shown]
	s_waitcnt vmcnt(47) lgkmcnt(1)
	v_mul_f32_e32 v87, v21, v36
	s_waitcnt vmcnt(46)
	v_fmac_f32_e32 v81, v10, v39
	s_waitcnt vmcnt(45)
	v_fmac_f32_e32 v80, v20, v42
	;; [unrolled: 2-line block ×3, first 2 shown]
	v_add_f32_e32 v79, 0, v79
	v_add_f32_e32 v79, v79, v80
	;; [unrolled: 1-line block ×3, first 2 shown]
	s_waitcnt vmcnt(40)
	v_fmac_f32_e32 v82, v12, v43
	v_fmac_f32_e32 v83, v6, v40
	v_add_f32_e32 v79, v79, v82
	v_fmac_f32_e32 v84, v8, v38
	v_add_f32_e32 v79, v79, v83
	;; [unrolled: 2-line block ×3, first 2 shown]
	s_waitcnt vmcnt(36)
	v_fmac_f32_e32 v86, v4, v50
	v_add_f32_e32 v79, v79, v85
	v_fmac_f32_e32 v87, v22, v47
	v_add_f32_e32 v79, v79, v86
	s_waitcnt vmcnt(35)
	v_mul_f32_e32 v80, v23, v48
	v_add_f32_e32 v79, v79, v87
	v_fmac_f32_e32 v80, v24, v44
	v_add_f32_e32 v79, v79, v80
	s_waitcnt vmcnt(34) lgkmcnt(0)
	v_mul_f32_e32 v80, v13, v46
	v_fmac_f32_e32 v80, v14, v41
	v_add_f32_e32 v83, v79, v80
	ds_read_b128 v[79:82], v25 offset:656
	buffer_load_dword v176, off, s[0:3], 0 offset:264
	buffer_load_dword v177, off, s[0:3], 0 offset:268
	s_waitcnt vmcnt(35)
	v_mul_f32_e32 v84, v15, v49
	s_waitcnt vmcnt(31)
	v_fmac_f32_e32 v84, v16, v57
	v_add_f32_e32 v87, v83, v84
	ds_read_b128 v[83:86], v25 offset:672
	s_waitcnt vmcnt(30) lgkmcnt(1)
	v_mul_f32_e32 v88, v79, v56
	v_fmac_f32_e32 v88, v80, v54
	v_add_f32_e32 v87, v87, v88
	s_waitcnt vmcnt(29)
	v_mul_f32_e32 v88, v81, v55
	v_fmac_f32_e32 v88, v82, v52
	buffer_load_dword v178, off, s[0:3], 0 offset:272
	buffer_load_dword v179, off, s[0:3], 0 offset:276
	v_add_f32_e32 v87, v87, v88
	s_waitcnt vmcnt(30) lgkmcnt(0)
	v_mul_f32_e32 v88, v83, v53
	v_fmac_f32_e32 v88, v84, v51
	s_waitcnt vmcnt(26)
	v_mul_f32_e32 v92, v85, v59
	v_add_f32_e32 v91, v87, v88
	v_fmac_f32_e32 v92, v86, v58
	ds_read_b128 v[87:90], v25 offset:688
	v_add_f32_e32 v95, v91, v92
	ds_read_b128 v[91:94], v25 offset:704
	buffer_load_dword v180, off, s[0:3], 0 offset:284
	buffer_load_dword v181, off, s[0:3], 0 offset:280
	;; [unrolled: 1-line block ×6, first 2 shown]
	s_waitcnt vmcnt(31) lgkmcnt(1)
	v_mul_f32_e32 v96, v87, v60
	s_waitcnt vmcnt(26)
	v_fmac_f32_e32 v96, v88, v66
	v_add_f32_e32 v95, v95, v96
	v_mul_f32_e32 v96, v89, v62
	v_fmac_f32_e32 v96, v90, v61
	v_add_f32_e32 v95, v95, v96
	s_waitcnt lgkmcnt(0)
	v_mul_f32_e32 v96, v91, v64
	v_fmac_f32_e32 v96, v92, v63
	v_add_f32_e32 v99, v95, v96
	ds_read_b128 v[95:98], v25 offset:720
	s_waitcnt vmcnt(24)
	v_mul_f32_e32 v100, v93, v67
	v_fmac_f32_e32 v100, v94, v65
	v_add_f32_e32 v103, v99, v100
	ds_read_b128 v[99:102], v25 offset:736
	s_waitcnt vmcnt(22) lgkmcnt(1)
	v_mul_f32_e32 v104, v95, v69
	v_fmac_f32_e32 v104, v96, v68
	buffer_load_dword v186, off, s[0:3], 0 offset:308
	v_add_f32_e32 v103, v103, v104
	s_waitcnt vmcnt(21)
	v_mul_f32_e32 v104, v97, v71
	v_fmac_f32_e32 v104, v98, v70
	v_add_f32_e32 v103, v103, v104
	s_waitcnt vmcnt(19) lgkmcnt(0)
	v_mul_f32_e32 v104, v99, v73
	buffer_load_dword v187, off, s[0:3], 0 offset:304
	buffer_load_dword v188, off, s[0:3], 0 offset:312
	;; [unrolled: 1-line block ×3, first 2 shown]
	v_fmac_f32_e32 v104, v100, v72
	v_add_f32_e32 v107, v103, v104
	ds_read_b128 v[103:106], v25 offset:752
	buffer_load_dword v190, off, s[0:3], 0 offset:320
	buffer_load_dword v191, off, s[0:3], 0 offset:324
	s_waitcnt vmcnt(22)
	v_mul_f32_e32 v108, v101, v75
	v_fmac_f32_e32 v108, v102, v74
	v_add_f32_e32 v111, v107, v108
	ds_read_b128 v[107:110], v25 offset:768
	buffer_load_dword v192, off, s[0:3], 0 offset:328
	buffer_load_dword v193, off, s[0:3], 0 offset:332
	;; [unrolled: 1-line block ×8, first 2 shown]
	s_waitcnt vmcnt(28) lgkmcnt(1)
	v_mul_f32_e32 v112, v103, v77
	buffer_load_dword v200, off, s[0:3], 0 offset:360
	buffer_load_dword v201, off, s[0:3], 0 offset:364
	v_fmac_f32_e32 v112, v104, v76
	v_add_f32_e32 v111, v111, v112
	s_waitcnt vmcnt(28)
	v_mul_f32_e32 v112, v105, v119
	v_fmac_f32_e32 v112, v106, v78
	v_add_f32_e32 v111, v111, v112
	s_waitcnt vmcnt(26) lgkmcnt(0)
	v_mul_f32_e32 v112, v107, v175
	v_fmac_f32_e32 v112, v108, v120
	v_add_f32_e32 v115, v111, v112
	ds_read_b128 v[111:114], v25 offset:784
	buffer_load_dword v202, off, s[0:3], 0 offset:368
	buffer_load_dword v203, off, s[0:3], 0 offset:372
	;; [unrolled: 1-line block ×6, first 2 shown]
	v_mul_f32_e32 v18, v18, v34
	v_fma_f32 v17, v17, v45, -v18
	v_mul_f32_e32 v18, v20, v33
	v_add_f32_e32 v17, 0, v17
	v_fma_f32 v18, v19, v42, -v18
	v_mul_f32_e32 v10, v10, v32
	v_add_f32_e32 v17, v17, v18
	;; [unrolled: 3-line block ×4, first 2 shown]
	s_waitcnt vmcnt(30)
	v_mul_f32_e32 v116, v109, v177
	v_fmac_f32_e32 v116, v110, v176
	v_add_f32_e32 v123, v115, v116
	ds_read_b128 v[115:118], v25 offset:800
	buffer_load_dword v208, off, s[0:3], 0 offset:392
	buffer_load_dword v209, off, s[0:3], 0 offset:396
	;; [unrolled: 1-line block ×10, first 2 shown]
	v_fma_f32 v5, v5, v40, -v6
	v_mul_f32_e32 v6, v8, v29
	v_add_f32_e32 v5, v9, v5
	v_fma_f32 v6, v7, v38, -v6
	v_mul_f32_e32 v2, v2, v28
	v_add_f32_e32 v5, v5, v6
	v_fma_f32 v1, v1, v37, -v2
	v_mul_f32_e32 v2, v4, v35
	s_waitcnt vmcnt(38) lgkmcnt(1)
	v_mul_f32_e32 v124, v111, v179
	buffer_load_dword v218, off, s[0:3], 0 offset:432
	buffer_load_dword v219, off, s[0:3], 0 offset:436
	;; [unrolled: 1-line block ×6, first 2 shown]
	v_add_f32_e32 v1, v5, v1
	v_fma_f32 v2, v3, v50, -v2
	v_fmac_f32_e32 v124, v112, v178
	v_add_f32_e32 v1, v1, v2
	v_mul_f32_e32 v2, v22, v36
	v_add_f32_e32 v123, v123, v124
	s_waitcnt vmcnt(43)
	v_mul_f32_e32 v124, v113, v180
	v_fma_f32 v2, v21, v47, -v2
	s_waitcnt vmcnt(42)
	v_fmac_f32_e32 v124, v114, v181
	v_add_f32_e32 v1, v1, v2
	v_mul_f32_e32 v2, v24, v48
	v_add_f32_e32 v123, v123, v124
	s_waitcnt vmcnt(40) lgkmcnt(0)
	v_mul_f32_e32 v124, v115, v183
	v_fma_f32 v2, v23, v44, -v2
	v_fmac_f32_e32 v124, v116, v182
	v_add_f32_e32 v1, v1, v2
	v_mul_f32_e32 v2, v14, v46
	v_add_f32_e32 v127, v123, v124
	ds_read_b128 v[123:126], v25 offset:816
	buffer_load_dword v224, off, s[0:3], 0 offset:456
	buffer_load_dword v225, off, s[0:3], 0 offset:460
	v_fma_f32 v2, v13, v41, -v2
	v_add_f32_e32 v1, v1, v2
	v_mul_f32_e32 v2, v16, v49
	v_fma_f32 v2, v15, v57, -v2
	s_waitcnt vmcnt(40)
	v_mul_f32_e32 v128, v117, v185
	v_add_f32_e32 v1, v1, v2
	v_mul_f32_e32 v2, v80, v56
	v_fmac_f32_e32 v128, v118, v184
	v_fma_f32 v2, v79, v54, -v2
	v_add_f32_e32 v131, v127, v128
	ds_read_b128 v[127:130], v25 offset:832
	buffer_load_dword v226, off, s[0:3], 0 offset:464
	buffer_load_dword v227, off, s[0:3], 0 offset:468
	;; [unrolled: 1-line block ×6, first 2 shown]
	v_add_f32_e32 v1, v1, v2
	v_mul_f32_e32 v2, v82, v55
	v_fma_f32 v2, v81, v52, -v2
	v_add_f32_e32 v1, v1, v2
	v_mul_f32_e32 v2, v84, v53
	v_fma_f32 v2, v83, v51, -v2
	;; [unrolled: 3-line block ×3, first 2 shown]
	v_add_f32_e32 v1, v1, v2
	v_mul_f32_e32 v2, v88, v60
	buffer_load_dword v232, off, s[0:3], 0 offset:488
	buffer_load_dword v233, off, s[0:3], 0 offset:492
	;; [unrolled: 1-line block ×6, first 2 shown]
	v_fma_f32 v2, v87, v66, -v2
	v_add_f32_e32 v1, v1, v2
	v_mul_f32_e32 v2, v90, v62
	v_fma_f32 v2, v89, v61, -v2
	v_add_f32_e32 v1, v1, v2
	v_mul_f32_e32 v2, v92, v64
	;; [unrolled: 3-line block ×7, first 2 shown]
	v_fma_f32 v2, v101, v74, -v2
	s_waitcnt vmcnt(51) lgkmcnt(1)
	v_mul_f32_e32 v132, v123, v186
	v_add_f32_e32 v1, v1, v2
	v_mul_f32_e32 v2, v104, v77
	s_waitcnt vmcnt(50)
	v_fmac_f32_e32 v132, v124, v187
	v_fma_f32 v2, v103, v76, -v2
	v_add_f32_e32 v131, v131, v132
	s_waitcnt vmcnt(48)
	v_mul_f32_e32 v132, v125, v189
	v_add_f32_e32 v1, v1, v2
	v_mul_f32_e32 v2, v106, v119
	v_fmac_f32_e32 v132, v126, v188
	v_fma_f32 v2, v105, v78, -v2
	v_add_f32_e32 v131, v131, v132
	s_waitcnt vmcnt(46) lgkmcnt(0)
	v_mul_f32_e32 v132, v127, v191
	v_add_f32_e32 v1, v1, v2
	v_mul_f32_e32 v2, v108, v175
	v_fmac_f32_e32 v132, v128, v190
	v_fma_f32 v2, v107, v120, -v2
	v_add_f32_e32 v135, v131, v132
	ds_read_b128 v[131:134], v25 offset:848
	v_add_f32_e32 v1, v1, v2
	v_mul_f32_e32 v2, v110, v177
	v_fma_f32 v2, v109, v176, -v2
	s_waitcnt vmcnt(44)
	v_mul_f32_e32 v136, v129, v193
	v_add_f32_e32 v1, v1, v2
	v_mul_f32_e32 v2, v112, v179
	v_fmac_f32_e32 v136, v130, v192
	v_fma_f32 v2, v111, v178, -v2
	v_add_f32_e32 v139, v135, v136
	ds_read_b128 v[135:138], v25 offset:864
	v_add_f32_e32 v1, v1, v2
	v_mul_f32_e32 v2, v114, v180
	s_waitcnt vmcnt(42) lgkmcnt(1)
	v_mul_f32_e32 v140, v131, v195
	v_fma_f32 v2, v113, v181, -v2
	v_fmac_f32_e32 v140, v132, v194
	v_add_f32_e32 v1, v1, v2
	v_mul_f32_e32 v2, v116, v183
	v_add_f32_e32 v139, v139, v140
	s_waitcnt vmcnt(41)
	v_mul_f32_e32 v140, v133, v196
	v_fma_f32 v2, v115, v182, -v2
	s_waitcnt vmcnt(38)
	v_fmac_f32_e32 v140, v134, v199
	v_add_f32_e32 v1, v1, v2
	v_mul_f32_e32 v2, v118, v185
	v_add_f32_e32 v139, v139, v140
	s_waitcnt lgkmcnt(0)
	v_mul_f32_e32 v140, v135, v198
	v_fma_f32 v2, v117, v184, -v2
	v_fmac_f32_e32 v140, v136, v197
	v_add_f32_e32 v1, v1, v2
	v_mul_f32_e32 v2, v124, v186
	v_add_f32_e32 v143, v139, v140
	ds_read_b128 v[139:142], v25 offset:880
	v_fma_f32 v2, v123, v187, -v2
	v_add_f32_e32 v1, v1, v2
	v_mul_f32_e32 v2, v126, v189
	s_waitcnt vmcnt(36)
	v_mul_f32_e32 v144, v137, v201
	v_fma_f32 v2, v125, v188, -v2
	v_fmac_f32_e32 v144, v138, v200
	v_add_f32_e32 v1, v1, v2
	v_mul_f32_e32 v2, v128, v191
	v_add_f32_e32 v147, v143, v144
	ds_read_b128 v[143:146], v25 offset:896
	v_fma_f32 v2, v127, v190, -v2
	s_waitcnt vmcnt(34) lgkmcnt(1)
	v_mul_f32_e32 v148, v139, v203
	v_add_f32_e32 v1, v1, v2
	v_mul_f32_e32 v2, v130, v193
	v_fmac_f32_e32 v148, v140, v202
	v_fma_f32 v2, v129, v192, -v2
	v_add_f32_e32 v147, v147, v148
	s_waitcnt vmcnt(33)
	v_mul_f32_e32 v148, v141, v204
	v_add_f32_e32 v1, v1, v2
	v_mul_f32_e32 v2, v132, v195
	s_waitcnt vmcnt(30)
	v_fmac_f32_e32 v148, v142, v207
	v_fma_f32 v2, v131, v194, -v2
	v_add_f32_e32 v147, v147, v148
	s_waitcnt lgkmcnt(0)
	v_mul_f32_e32 v148, v143, v206
	v_add_f32_e32 v1, v1, v2
	v_mul_f32_e32 v2, v134, v196
	v_fmac_f32_e32 v148, v144, v205
	v_fma_f32 v2, v133, v199, -v2
	v_add_f32_e32 v151, v147, v148
	ds_read_b128 v[147:150], v25 offset:912
	v_add_f32_e32 v1, v1, v2
	v_mul_f32_e32 v2, v136, v198
	v_fma_f32 v2, v135, v197, -v2
	s_waitcnt vmcnt(28)
	v_mul_f32_e32 v152, v145, v209
	v_add_f32_e32 v1, v1, v2
	v_mul_f32_e32 v2, v138, v201
	v_fmac_f32_e32 v152, v146, v208
	v_fma_f32 v2, v137, v200, -v2
	v_add_f32_e32 v155, v151, v152
	ds_read_b128 v[151:154], v25 offset:928
	v_add_f32_e32 v1, v1, v2
	v_mul_f32_e32 v2, v140, v203
	s_waitcnt vmcnt(26) lgkmcnt(1)
	v_mul_f32_e32 v156, v147, v211
	v_fma_f32 v2, v139, v202, -v2
	v_fmac_f32_e32 v156, v148, v210
	v_add_f32_e32 v1, v1, v2
	v_mul_f32_e32 v2, v142, v204
	v_add_f32_e32 v155, v155, v156
	s_waitcnt vmcnt(25)
	v_mul_f32_e32 v156, v149, v212
	v_fma_f32 v2, v141, v207, -v2
	s_waitcnt vmcnt(22)
	v_fmac_f32_e32 v156, v150, v215
	v_add_f32_e32 v1, v1, v2
	v_mul_f32_e32 v2, v144, v206
	v_add_f32_e32 v155, v155, v156
	s_waitcnt lgkmcnt(0)
	v_mul_f32_e32 v156, v151, v214
	v_fma_f32 v2, v143, v205, -v2
	v_fmac_f32_e32 v156, v152, v213
	v_add_f32_e32 v1, v1, v2
	v_mul_f32_e32 v2, v146, v209
	v_add_f32_e32 v159, v155, v156
	ds_read_b128 v[155:158], v25 offset:944
	v_fma_f32 v2, v145, v208, -v2
	v_add_f32_e32 v1, v1, v2
	v_mul_f32_e32 v2, v148, v211
	s_waitcnt vmcnt(20)
	v_mul_f32_e32 v160, v153, v217
	v_fma_f32 v2, v147, v210, -v2
	v_fmac_f32_e32 v160, v154, v216
	v_add_f32_e32 v1, v1, v2
	v_mul_f32_e32 v2, v150, v212
	v_add_f32_e32 v163, v159, v160
	ds_read_b128 v[159:162], v25 offset:960
	v_fma_f32 v2, v149, v215, -v2
	s_waitcnt vmcnt(18) lgkmcnt(1)
	v_mul_f32_e32 v164, v155, v219
	v_add_f32_e32 v1, v1, v2
	v_mul_f32_e32 v2, v152, v214
	v_fmac_f32_e32 v164, v156, v218
	v_fma_f32 v2, v151, v213, -v2
	v_add_f32_e32 v163, v163, v164
	s_waitcnt vmcnt(17)
	v_mul_f32_e32 v164, v157, v220
	v_add_f32_e32 v1, v1, v2
	v_mul_f32_e32 v2, v154, v217
	s_waitcnt vmcnt(14)
	v_fmac_f32_e32 v164, v158, v223
	v_fma_f32 v2, v153, v216, -v2
	v_add_f32_e32 v163, v163, v164
	s_waitcnt lgkmcnt(0)
	v_mul_f32_e32 v164, v159, v222
	v_add_f32_e32 v1, v1, v2
	v_mul_f32_e32 v2, v156, v219
	v_fmac_f32_e32 v164, v160, v221
	v_fma_f32 v2, v155, v218, -v2
	v_add_f32_e32 v167, v163, v164
	ds_read_b128 v[163:166], v25 offset:976
	v_add_f32_e32 v1, v1, v2
	v_mul_f32_e32 v2, v158, v220
	v_fma_f32 v2, v157, v223, -v2
	v_add_f32_e32 v1, v1, v2
	v_mul_f32_e32 v2, v160, v222
	s_waitcnt vmcnt(12)
	v_mul_f32_e32 v168, v161, v225
	v_fma_f32 v2, v159, v221, -v2
	v_fmac_f32_e32 v168, v162, v224
	v_add_f32_e32 v1, v1, v2
	v_mul_f32_e32 v2, v162, v225
	v_add_f32_e32 v171, v167, v168
	ds_read_b128 v[167:170], v25 offset:992
	s_waitcnt vmcnt(10) lgkmcnt(1)
	v_mul_f32_e32 v172, v163, v227
	v_fma_f32 v2, v161, v224, -v2
	v_fmac_f32_e32 v172, v164, v226
	v_add_f32_e32 v1, v1, v2
	v_mul_f32_e32 v2, v164, v227
	v_add_f32_e32 v171, v171, v172
	s_waitcnt vmcnt(9)
	v_mul_f32_e32 v172, v165, v228
	v_fma_f32 v2, v163, v226, -v2
	s_waitcnt vmcnt(6)
	v_fmac_f32_e32 v172, v166, v231
	v_add_f32_e32 v1, v1, v2
	v_mul_f32_e32 v2, v166, v228
	v_add_f32_e32 v238, v171, v172
	ds_read_b128 v[171:174], v25 offset:1008
	v_fma_f32 v2, v165, v231, -v2
	v_add_f32_e32 v1, v1, v2
	s_waitcnt lgkmcnt(1)
	v_mul_f32_e32 v2, v168, v230
	v_mul_f32_e32 v239, v167, v230
	v_fma_f32 v2, v167, v229, -v2
	v_fmac_f32_e32 v239, v168, v229
	v_add_f32_e32 v1, v1, v2
	s_waitcnt vmcnt(4)
	v_mul_f32_e32 v2, v170, v233
	v_add_f32_e32 v25, v238, v239
	v_mul_f32_e32 v238, v169, v233
	v_fma_f32 v2, v169, v232, -v2
	v_fmac_f32_e32 v238, v170, v232
	v_add_f32_e32 v1, v1, v2
	s_waitcnt vmcnt(3) lgkmcnt(0)
	v_mul_f32_e32 v2, v172, v234
	v_add_f32_e32 v25, v25, v238
	v_mul_f32_e32 v238, v171, v234
	s_waitcnt vmcnt(0)
	v_fma_f32 v2, v171, v237, -v2
	v_fmac_f32_e32 v238, v172, v237
	v_add_f32_e32 v1, v1, v2
	v_mul_f32_e32 v2, v174, v236
	v_add_f32_e32 v25, v25, v238
	v_mul_f32_e32 v238, v173, v236
	v_fma_f32 v2, v173, v235, -v2
	v_fmac_f32_e32 v238, v174, v235
	v_add_f32_e32 v1, v1, v2
	v_add_f32_e32 v25, v25, v238
	v_sub_f32_e32 v1, v26, v1
	v_sub_f32_e32 v2, v27, v25
	buffer_store_dword v1, off, s[0:3], 0 offset:40
	buffer_store_dword v2, off, s[0:3], 0 offset:44
	s_and_saveexec_b64 s[4:5], vcc
	s_cbranch_execz .LBB127_389
; %bb.388:
	buffer_load_dword v1, off, s[0:3], 0 offset:32
	buffer_load_dword v2, off, s[0:3], 0 offset:36
	v_mov_b32_e32 v3, 0
	buffer_store_dword v3, off, s[0:3], 0 offset:32
	buffer_store_dword v3, off, s[0:3], 0 offset:36
	s_waitcnt vmcnt(2)
	ds_write_b64 v249, v[1:2]
.LBB127_389:
	s_or_b64 exec, exec, s[4:5]
	s_waitcnt lgkmcnt(0)
	; wave barrier
	buffer_load_dword v9, off, s[0:3], 0 offset:44
	buffer_load_dword v8, off, s[0:3], 0 offset:52
	;; [unrolled: 1-line block ×56, first 2 shown]
	v_mov_b32_e32 v25, 0
	ds_read2_b64 v[58:61], v25 offset0:69 offset1:70
	ds_read2_b64 v[62:65], v25 offset0:71 offset1:72
	;; [unrolled: 1-line block ×6, first 2 shown]
	buffer_load_dword v120, off, s[0:3], 0 offset:256
	buffer_load_dword v179, off, s[0:3], 0 offset:260
	v_cmp_lt_u32_e32 vcc, 3, v0
	s_waitcnt vmcnt(57) lgkmcnt(5)
	v_mul_f32_e32 v82, v58, v9
	s_waitcnt vmcnt(56)
	v_mul_f32_e32 v83, v60, v8
	s_waitcnt vmcnt(55) lgkmcnt(4)
	v_mul_f32_e32 v84, v62, v7
	s_waitcnt vmcnt(54)
	v_mul_f32_e32 v85, v64, v6
	;; [unrolled: 4-line block ×4, first 2 shown]
	s_waitcnt vmcnt(49) lgkmcnt(1)
	v_mul_f32_e32 v90, v74, v11
	s_waitcnt vmcnt(48)
	v_fmac_f32_e32 v84, v63, v14
	s_waitcnt vmcnt(47)
	v_fmac_f32_e32 v83, v61, v17
	;; [unrolled: 2-line block ×3, first 2 shown]
	v_add_f32_e32 v82, 0, v82
	v_add_f32_e32 v82, v82, v83
	;; [unrolled: 1-line block ×3, first 2 shown]
	s_waitcnt vmcnt(42)
	v_fmac_f32_e32 v85, v65, v18
	v_fmac_f32_e32 v86, v67, v15
	v_add_f32_e32 v82, v82, v85
	v_fmac_f32_e32 v87, v69, v13
	v_add_f32_e32 v82, v82, v86
	;; [unrolled: 2-line block ×3, first 2 shown]
	s_waitcnt vmcnt(38)
	v_fmac_f32_e32 v89, v73, v26
	v_add_f32_e32 v82, v82, v88
	v_add_f32_e32 v82, v82, v89
	v_fmac_f32_e32 v90, v75, v22
	s_waitcnt vmcnt(37)
	v_mul_f32_e32 v83, v76, v23
	v_add_f32_e32 v82, v82, v90
	v_fmac_f32_e32 v83, v77, v19
	v_add_f32_e32 v82, v82, v83
	s_waitcnt vmcnt(36) lgkmcnt(0)
	v_mul_f32_e32 v83, v78, v21
	v_fmac_f32_e32 v83, v79, v16
	v_add_f32_e32 v86, v82, v83
	ds_read2_b64 v[82:85], v25 offset0:81 offset1:82
	s_waitcnt vmcnt(35)
	v_mul_f32_e32 v87, v80, v24
	s_waitcnt vmcnt(30)
	v_fmac_f32_e32 v87, v81, v34
	v_add_f32_e32 v90, v86, v87
	ds_read2_b64 v[86:89], v25 offset0:83 offset1:84
	s_waitcnt vmcnt(29) lgkmcnt(1)
	v_mul_f32_e32 v91, v82, v33
	v_fmac_f32_e32 v91, v83, v30
	v_add_f32_e32 v90, v90, v91
	s_waitcnt vmcnt(28)
	v_mul_f32_e32 v91, v84, v31
	v_fmac_f32_e32 v91, v85, v29
	v_add_f32_e32 v90, v90, v91
	s_waitcnt lgkmcnt(0)
	v_mul_f32_e32 v91, v86, v28
	v_fmac_f32_e32 v91, v87, v27
	buffer_load_dword v180, off, s[0:3], 0 offset:264
	buffer_load_dword v181, off, s[0:3], 0 offset:268
	;; [unrolled: 1-line block ×4, first 2 shown]
	v_add_f32_e32 v94, v90, v91
	ds_read2_b64 v[90:93], v25 offset0:85 offset1:86
	s_waitcnt vmcnt(28)
	v_mul_f32_e32 v95, v88, v35
	v_fmac_f32_e32 v95, v89, v32
	buffer_load_dword v184, off, s[0:3], 0 offset:280
	buffer_load_dword v185, off, s[0:3], 0 offset:284
	v_add_f32_e32 v98, v94, v95
	ds_read2_b64 v[94:97], v25 offset0:87 offset1:88
	s_waitcnt vmcnt(28) lgkmcnt(1)
	v_mul_f32_e32 v99, v90, v37
	v_fmac_f32_e32 v99, v91, v36
	v_add_f32_e32 v98, v98, v99
	s_waitcnt vmcnt(26)
	v_mul_f32_e32 v99, v92, v39
	v_fmac_f32_e32 v99, v93, v38
	v_add_f32_e32 v98, v98, v99
	s_waitcnt vmcnt(24) lgkmcnt(0)
	v_mul_f32_e32 v99, v94, v41
	v_fmac_f32_e32 v99, v95, v40
	buffer_load_dword v186, off, s[0:3], 0 offset:288
	buffer_load_dword v187, off, s[0:3], 0 offset:292
	v_add_f32_e32 v102, v98, v99
	ds_read2_b64 v[98:101], v25 offset0:89 offset1:90
	s_waitcnt vmcnt(24)
	v_mul_f32_e32 v103, v96, v43
	v_fmac_f32_e32 v103, v97, v42
	v_add_f32_e32 v106, v102, v103
	buffer_load_dword v188, off, s[0:3], 0 offset:296
	buffer_load_dword v189, off, s[0:3], 0 offset:300
	ds_read2_b64 v[102:105], v25 offset0:91 offset1:92
	s_waitcnt vmcnt(24) lgkmcnt(1)
	v_mul_f32_e32 v107, v98, v45
	v_fmac_f32_e32 v107, v99, v44
	v_add_f32_e32 v106, v106, v107
	s_waitcnt vmcnt(22)
	v_mul_f32_e32 v107, v100, v47
	v_fmac_f32_e32 v107, v101, v46
	v_add_f32_e32 v106, v106, v107
	s_waitcnt vmcnt(20) lgkmcnt(0)
	v_mul_f32_e32 v107, v102, v49
	v_fmac_f32_e32 v107, v103, v48
	buffer_load_dword v190, off, s[0:3], 0 offset:308
	buffer_load_dword v191, off, s[0:3], 0 offset:304
	buffer_load_dword v192, off, s[0:3], 0 offset:312
	buffer_load_dword v193, off, s[0:3], 0 offset:316
	s_waitcnt vmcnt(22)
	v_mul_f32_e32 v111, v104, v51
	v_add_f32_e32 v110, v106, v107
	v_fmac_f32_e32 v111, v105, v50
	ds_read2_b64 v[106:109], v25 offset0:93 offset1:94
	v_add_f32_e32 v114, v110, v111
	ds_read2_b64 v[110:113], v25 offset0:95 offset1:96
	buffer_load_dword v194, off, s[0:3], 0 offset:320
	buffer_load_dword v195, off, s[0:3], 0 offset:324
	buffer_load_dword v196, off, s[0:3], 0 offset:328
	buffer_load_dword v197, off, s[0:3], 0 offset:332
	buffer_load_dword v198, off, s[0:3], 0 offset:340
	buffer_load_dword v199, off, s[0:3], 0 offset:344
	buffer_load_dword v200, off, s[0:3], 0 offset:348
	buffer_load_dword v201, off, s[0:3], 0 offset:336
	s_waitcnt vmcnt(28) lgkmcnt(1)
	v_mul_f32_e32 v115, v106, v53
	v_fmac_f32_e32 v115, v107, v52
	buffer_load_dword v202, off, s[0:3], 0 offset:352
	buffer_load_dword v203, off, s[0:3], 0 offset:356
	v_add_f32_e32 v114, v114, v115
	s_waitcnt vmcnt(28)
	v_mul_f32_e32 v115, v108, v55
	v_fmac_f32_e32 v115, v109, v54
	v_add_f32_e32 v114, v114, v115
	s_waitcnt vmcnt(26) lgkmcnt(0)
	v_mul_f32_e32 v115, v110, v57
	v_fmac_f32_e32 v115, v111, v56
	v_add_f32_e32 v118, v114, v115
	ds_read2_b64 v[114:117], v25 offset0:97 offset1:98
	buffer_load_dword v204, off, s[0:3], 0 offset:360
	buffer_load_dword v205, off, s[0:3], 0 offset:364
	;; [unrolled: 1-line block ×6, first 2 shown]
	ds_read2_b64 v[123:126], v25 offset0:99 offset1:100
	buffer_load_dword v210, off, s[0:3], 0 offset:384
	buffer_load_dword v211, off, s[0:3], 0 offset:388
	v_mul_f32_e32 v9, v59, v9
	v_fma_f32 v9, v58, v20, -v9
	v_mul_f32_e32 v8, v61, v8
	v_add_f32_e32 v9, 0, v9
	v_fma_f32 v8, v60, v17, -v8
	v_mul_f32_e32 v7, v63, v7
	v_add_f32_e32 v8, v9, v8
	v_fma_f32 v7, v62, v14, -v7
	v_mul_f32_e32 v6, v65, v6
	buffer_load_dword v212, off, s[0:3], 0 offset:392
	buffer_load_dword v213, off, s[0:3], 0 offset:396
	;; [unrolled: 1-line block ×6, first 2 shown]
	v_add_f32_e32 v7, v8, v7
	v_fma_f32 v6, v64, v18, -v6
	v_mul_f32_e32 v5, v67, v5
	v_add_f32_e32 v6, v7, v6
	v_fma_f32 v5, v66, v15, -v5
	v_mul_f32_e32 v4, v69, v4
	v_add_f32_e32 v5, v6, v5
	v_fma_f32 v4, v68, v13, -v4
	v_mul_f32_e32 v3, v71, v3
	buffer_load_dword v218, off, s[0:3], 0 offset:416
	buffer_load_dword v219, off, s[0:3], 0 offset:420
	v_add_f32_e32 v4, v5, v4
	v_fma_f32 v3, v70, v12, -v3
	v_add_f32_e32 v3, v4, v3
	v_mul_f32_e32 v4, v73, v10
	v_fma_f32 v4, v72, v26, -v4
	v_add_f32_e32 v3, v3, v4
	v_mul_f32_e32 v4, v75, v11
	v_fma_f32 v4, v74, v22, -v4
	ds_read2_b64 v[127:130], v25 offset0:101 offset1:102
	buffer_load_dword v220, off, s[0:3], 0 offset:424
	buffer_load_dword v221, off, s[0:3], 0 offset:428
	;; [unrolled: 1-line block ×6, first 2 shown]
	v_add_f32_e32 v3, v3, v4
	v_mul_f32_e32 v4, v77, v23
	v_fma_f32 v4, v76, v19, -v4
	v_add_f32_e32 v3, v3, v4
	v_mul_f32_e32 v4, v79, v21
	ds_read2_b64 v[131:134], v25 offset0:103 offset1:104
	buffer_load_dword v226, off, s[0:3], 0 offset:448
	buffer_load_dword v227, off, s[0:3], 0 offset:452
	v_fma_f32 v4, v78, v16, -v4
	v_add_f32_e32 v3, v3, v4
	v_mul_f32_e32 v4, v81, v24
	v_fma_f32 v4, v80, v34, -v4
	v_add_f32_e32 v3, v3, v4
	v_mul_f32_e32 v4, v83, v33
	v_fma_f32 v4, v82, v30, -v4
	buffer_load_dword v228, off, s[0:3], 0 offset:456
	buffer_load_dword v229, off, s[0:3], 0 offset:460
	;; [unrolled: 1-line block ×6, first 2 shown]
	v_add_f32_e32 v3, v3, v4
	v_mul_f32_e32 v4, v85, v31
	v_fma_f32 v4, v84, v29, -v4
	v_add_f32_e32 v3, v3, v4
	v_mul_f32_e32 v4, v87, v28
	buffer_load_dword v234, off, s[0:3], 0 offset:480
	buffer_load_dword v235, off, s[0:3], 0 offset:484
	v_fma_f32 v4, v86, v27, -v4
	v_add_f32_e32 v3, v3, v4
	v_mul_f32_e32 v4, v89, v35
	v_fma_f32 v4, v88, v32, -v4
	v_add_f32_e32 v3, v3, v4
	v_mul_f32_e32 v4, v91, v37
	;; [unrolled: 3-line block ×3, first 2 shown]
	buffer_load_dword v236, off, s[0:3], 0 offset:488
	buffer_load_dword v237, off, s[0:3], 0 offset:492
	;; [unrolled: 1-line block ×6, first 2 shown]
	v_fma_f32 v4, v92, v38, -v4
	v_add_f32_e32 v3, v3, v4
	v_mul_f32_e32 v4, v95, v41
	v_fma_f32 v4, v94, v40, -v4
	v_add_f32_e32 v3, v3, v4
	v_mul_f32_e32 v4, v97, v43
	v_fma_f32 v4, v96, v42, -v4
	v_add_f32_e32 v3, v3, v4
	v_mul_f32_e32 v4, v99, v45
	v_fma_f32 v4, v98, v44, -v4
	v_add_f32_e32 v3, v3, v4
	v_mul_f32_e32 v4, v101, v47
	v_fma_f32 v4, v100, v46, -v4
	v_add_f32_e32 v3, v3, v4
	v_mul_f32_e32 v4, v103, v49
	v_fma_f32 v4, v102, v48, -v4
	v_add_f32_e32 v3, v3, v4
	v_mul_f32_e32 v4, v105, v51
	v_fma_f32 v4, v104, v50, -v4
	v_add_f32_e32 v3, v3, v4
	v_mul_f32_e32 v4, v107, v53
	v_fma_f32 v4, v106, v52, -v4
	v_add_f32_e32 v3, v3, v4
	v_mul_f32_e32 v4, v109, v55
	v_fma_f32 v4, v108, v54, -v4
	v_add_f32_e32 v3, v3, v4
	v_mul_f32_e32 v4, v111, v57
	s_waitcnt vmcnt(62)
	v_mul_f32_e32 v119, v112, v179
	v_fma_f32 v4, v110, v56, -v4
	v_fmac_f32_e32 v119, v113, v120
	v_add_f32_e32 v3, v3, v4
	v_mul_f32_e32 v4, v113, v179
	v_add_f32_e32 v118, v118, v119
	s_waitcnt vmcnt(60) lgkmcnt(3)
	v_mul_f32_e32 v119, v114, v181
	v_fma_f32 v4, v112, v120, -v4
	v_fmac_f32_e32 v119, v115, v180
	v_add_f32_e32 v3, v3, v4
	v_mul_f32_e32 v4, v115, v181
	v_add_f32_e32 v118, v118, v119
	s_waitcnt vmcnt(58)
	v_mul_f32_e32 v119, v116, v183
	v_fma_f32 v4, v114, v180, -v4
	v_fmac_f32_e32 v119, v117, v182
	v_add_f32_e32 v3, v3, v4
	v_mul_f32_e32 v4, v117, v183
	v_add_f32_e32 v118, v118, v119
	s_waitcnt vmcnt(56) lgkmcnt(2)
	v_mul_f32_e32 v119, v123, v185
	v_fma_f32 v4, v116, v182, -v4
	v_fmac_f32_e32 v119, v124, v184
	v_add_f32_e32 v3, v3, v4
	v_mul_f32_e32 v4, v124, v185
	v_add_f32_e32 v118, v118, v119
	s_waitcnt vmcnt(54)
	v_mul_f32_e32 v119, v125, v187
	v_fma_f32 v4, v123, v184, -v4
	v_fmac_f32_e32 v119, v126, v186
	v_add_f32_e32 v3, v3, v4
	v_mul_f32_e32 v4, v126, v187
	v_add_f32_e32 v118, v118, v119
	s_waitcnt vmcnt(52) lgkmcnt(1)
	v_mul_f32_e32 v119, v127, v189
	v_fma_f32 v4, v125, v186, -v4
	v_fmac_f32_e32 v119, v128, v188
	v_add_f32_e32 v3, v3, v4
	v_mul_f32_e32 v4, v128, v189
	v_add_f32_e32 v118, v118, v119
	s_waitcnt vmcnt(51)
	v_mul_f32_e32 v119, v129, v190
	v_fma_f32 v4, v127, v188, -v4
	s_waitcnt vmcnt(50)
	v_fmac_f32_e32 v119, v130, v191
	ds_read2_b64 v[135:138], v25 offset0:105 offset1:106
	ds_read2_b64 v[139:142], v25 offset0:107 offset1:108
	v_add_f32_e32 v3, v3, v4
	v_mul_f32_e32 v4, v130, v190
	v_add_f32_e32 v118, v118, v119
	s_waitcnt vmcnt(48) lgkmcnt(2)
	v_mul_f32_e32 v119, v131, v193
	v_fma_f32 v4, v129, v191, -v4
	v_fmac_f32_e32 v119, v132, v192
	v_add_f32_e32 v3, v3, v4
	v_mul_f32_e32 v4, v132, v193
	v_add_f32_e32 v118, v118, v119
	s_waitcnt vmcnt(46)
	v_mul_f32_e32 v119, v133, v195
	v_fma_f32 v4, v131, v192, -v4
	v_fmac_f32_e32 v119, v134, v194
	v_add_f32_e32 v3, v3, v4
	v_mul_f32_e32 v4, v134, v195
	v_add_f32_e32 v118, v118, v119
	s_waitcnt vmcnt(44) lgkmcnt(1)
	v_mul_f32_e32 v119, v135, v197
	v_fma_f32 v4, v133, v194, -v4
	v_fmac_f32_e32 v119, v136, v196
	v_add_f32_e32 v3, v3, v4
	v_mul_f32_e32 v4, v136, v197
	v_add_f32_e32 v118, v118, v119
	s_waitcnt vmcnt(43)
	v_mul_f32_e32 v119, v137, v198
	v_fma_f32 v4, v135, v196, -v4
	s_waitcnt vmcnt(40)
	v_fmac_f32_e32 v119, v138, v201
	ds_read2_b64 v[143:146], v25 offset0:109 offset1:110
	ds_read2_b64 v[147:150], v25 offset0:111 offset1:112
	v_add_f32_e32 v3, v3, v4
	v_mul_f32_e32 v4, v138, v198
	v_add_f32_e32 v118, v118, v119
	s_waitcnt lgkmcnt(2)
	v_mul_f32_e32 v119, v139, v200
	v_fma_f32 v4, v137, v201, -v4
	v_fmac_f32_e32 v119, v140, v199
	v_add_f32_e32 v3, v3, v4
	v_mul_f32_e32 v4, v140, v200
	v_add_f32_e32 v118, v118, v119
	s_waitcnt vmcnt(38)
	v_mul_f32_e32 v119, v141, v203
	v_fma_f32 v4, v139, v199, -v4
	v_fmac_f32_e32 v119, v142, v202
	v_add_f32_e32 v3, v3, v4
	v_mul_f32_e32 v4, v142, v203
	v_add_f32_e32 v118, v118, v119
	s_waitcnt vmcnt(36) lgkmcnt(1)
	v_mul_f32_e32 v119, v143, v205
	v_fma_f32 v4, v141, v202, -v4
	v_fmac_f32_e32 v119, v144, v204
	v_add_f32_e32 v3, v3, v4
	v_mul_f32_e32 v4, v144, v205
	v_add_f32_e32 v118, v118, v119
	s_waitcnt vmcnt(35)
	v_mul_f32_e32 v119, v145, v206
	v_fma_f32 v4, v143, v204, -v4
	s_waitcnt vmcnt(32)
	v_fmac_f32_e32 v119, v146, v209
	ds_read2_b64 v[151:154], v25 offset0:113 offset1:114
	ds_read2_b64 v[155:158], v25 offset0:115 offset1:116
	v_add_f32_e32 v3, v3, v4
	v_mul_f32_e32 v4, v146, v206
	v_add_f32_e32 v118, v118, v119
	s_waitcnt lgkmcnt(2)
	;; [unrolled: 31-line block ×4, first 2 shown]
	v_mul_f32_e32 v119, v163, v224
	v_fma_f32 v4, v161, v225, -v4
	v_fmac_f32_e32 v119, v164, v223
	v_add_f32_e32 v3, v3, v4
	v_mul_f32_e32 v4, v164, v224
	v_add_f32_e32 v118, v118, v119
	s_waitcnt vmcnt(14)
	v_mul_f32_e32 v119, v165, v227
	v_fma_f32 v4, v163, v223, -v4
	v_fmac_f32_e32 v119, v166, v226
	v_add_f32_e32 v3, v3, v4
	v_mul_f32_e32 v4, v166, v227
	v_add_f32_e32 v118, v118, v119
	s_waitcnt vmcnt(12) lgkmcnt(1)
	v_mul_f32_e32 v119, v167, v229
	v_fma_f32 v4, v165, v226, -v4
	v_fmac_f32_e32 v119, v168, v228
	v_add_f32_e32 v3, v3, v4
	v_mul_f32_e32 v4, v168, v229
	v_add_f32_e32 v118, v118, v119
	s_waitcnt vmcnt(11)
	v_mul_f32_e32 v119, v169, v230
	v_fma_f32 v4, v167, v228, -v4
	s_waitcnt vmcnt(8)
	v_fmac_f32_e32 v119, v170, v233
	v_add_f32_e32 v3, v3, v4
	v_mul_f32_e32 v4, v170, v230
	v_add_f32_e32 v118, v118, v119
	s_waitcnt lgkmcnt(0)
	v_mul_f32_e32 v119, v171, v232
	ds_read2_b64 v[175:178], v25 offset0:125 offset1:126
	v_fma_f32 v4, v169, v233, -v4
	v_fmac_f32_e32 v119, v172, v231
	v_add_f32_e32 v3, v3, v4
	v_mul_f32_e32 v4, v172, v232
	v_add_f32_e32 v118, v118, v119
	s_waitcnt vmcnt(6)
	v_mul_f32_e32 v119, v173, v235
	v_fma_f32 v4, v171, v231, -v4
	v_fmac_f32_e32 v119, v174, v234
	v_add_f32_e32 v3, v3, v4
	v_mul_f32_e32 v4, v174, v235
	v_add_f32_e32 v242, v118, v119
	ds_read_b64 v[118:119], v25 offset:1016
	v_fma_f32 v4, v173, v234, -v4
	v_add_f32_e32 v3, v3, v4
	s_waitcnt vmcnt(4) lgkmcnt(1)
	v_mul_f32_e32 v4, v176, v237
	v_mul_f32_e32 v250, v175, v237
	v_fma_f32 v4, v175, v236, -v4
	v_fmac_f32_e32 v250, v176, v236
	v_add_f32_e32 v3, v3, v4
	s_waitcnt vmcnt(3)
	v_mul_f32_e32 v4, v178, v238
	v_add_f32_e32 v242, v242, v250
	v_mul_f32_e32 v250, v177, v238
	s_waitcnt vmcnt(0)
	v_fma_f32 v4, v177, v241, -v4
	v_fmac_f32_e32 v250, v178, v241
	v_add_f32_e32 v3, v3, v4
	s_waitcnt lgkmcnt(0)
	v_mul_f32_e32 v4, v119, v240
	v_add_f32_e32 v242, v242, v250
	v_mul_f32_e32 v250, v118, v240
	v_fma_f32 v4, v118, v239, -v4
	v_fmac_f32_e32 v250, v119, v239
	v_add_f32_e32 v3, v3, v4
	v_add_f32_e32 v242, v242, v250
	v_sub_f32_e32 v1, v1, v3
	v_sub_f32_e32 v2, v2, v242
	buffer_store_dword v1, off, s[0:3], 0 offset:32
	buffer_store_dword v2, off, s[0:3], 0 offset:36
	s_and_saveexec_b64 s[4:5], vcc
	s_cbranch_execz .LBB127_391
; %bb.390:
	buffer_load_dword v1, off, s[0:3], 0 offset:24
	buffer_load_dword v2, off, s[0:3], 0 offset:28
	s_waitcnt vmcnt(0)
	ds_write_b64 v249, v[1:2]
	buffer_store_dword v25, off, s[0:3], 0 offset:24
	buffer_store_dword v25, off, s[0:3], 0 offset:28
.LBB127_391:
	s_or_b64 exec, exec, s[4:5]
	s_waitcnt lgkmcnt(0)
	; wave barrier
	buffer_load_dword v34, off, s[0:3], 0 offset:36
	buffer_load_dword v33, off, s[0:3], 0 offset:44
	;; [unrolled: 1-line block ×40, first 2 shown]
	ds_read_b128 v[21:24], v25 offset:544
	ds_read_b128 v[17:20], v25 offset:560
	;; [unrolled: 1-line block ×6, first 2 shown]
	buffer_load_dword v65, off, s[0:3], 0 offset:184
	buffer_load_dword v67, off, s[0:3], 0 offset:188
	;; [unrolled: 1-line block ×19, first 2 shown]
	v_cmp_lt_u32_e32 vcc, 2, v0
	s_waitcnt vmcnt(58) lgkmcnt(5)
	v_mul_f32_e32 v82, v21, v34
	s_waitcnt vmcnt(57)
	v_mul_f32_e32 v83, v23, v33
	s_waitcnt vmcnt(56) lgkmcnt(4)
	v_mul_f32_e32 v84, v17, v32
	s_waitcnt vmcnt(55)
	v_mul_f32_e32 v85, v19, v31
	;; [unrolled: 4-line block ×4, first 2 shown]
	s_waitcnt vmcnt(50) lgkmcnt(1)
	v_mul_f32_e32 v90, v5, v36
	s_waitcnt vmcnt(49)
	v_fmac_f32_e32 v84, v18, v39
	s_waitcnt vmcnt(48)
	v_fmac_f32_e32 v83, v24, v42
	;; [unrolled: 2-line block ×3, first 2 shown]
	v_add_f32_e32 v82, 0, v82
	v_add_f32_e32 v82, v82, v83
	;; [unrolled: 1-line block ×3, first 2 shown]
	s_waitcnt vmcnt(43)
	v_fmac_f32_e32 v85, v20, v43
	v_fmac_f32_e32 v86, v14, v40
	v_add_f32_e32 v82, v82, v85
	v_fmac_f32_e32 v87, v16, v38
	v_add_f32_e32 v82, v82, v86
	;; [unrolled: 2-line block ×3, first 2 shown]
	s_waitcnt vmcnt(39)
	v_fmac_f32_e32 v89, v12, v50
	v_add_f32_e32 v82, v82, v88
	v_fmac_f32_e32 v90, v6, v47
	v_add_f32_e32 v82, v82, v89
	s_waitcnt vmcnt(38)
	v_mul_f32_e32 v83, v7, v48
	v_add_f32_e32 v82, v82, v90
	v_fmac_f32_e32 v83, v8, v44
	v_add_f32_e32 v82, v82, v83
	s_waitcnt vmcnt(37) lgkmcnt(0)
	v_mul_f32_e32 v83, v1, v46
	v_fmac_f32_e32 v83, v2, v41
	v_add_f32_e32 v86, v82, v83
	ds_read_b128 v[82:85], v25 offset:640
	s_waitcnt vmcnt(36)
	v_mul_f32_e32 v87, v3, v49
	s_waitcnt vmcnt(30)
	v_fmac_f32_e32 v87, v4, v57
	v_add_f32_e32 v90, v86, v87
	ds_read_b128 v[86:89], v25 offset:656
	s_waitcnt vmcnt(29) lgkmcnt(1)
	v_mul_f32_e32 v91, v82, v56
	v_fmac_f32_e32 v91, v83, v55
	buffer_load_dword v183, off, s[0:3], 0 offset:256
	buffer_load_dword v184, off, s[0:3], 0 offset:264
	buffer_load_dword v185, off, s[0:3], 0 offset:268
	v_add_f32_e32 v90, v90, v91
	v_mul_f32_e32 v91, v84, v52
	v_fmac_f32_e32 v91, v85, v51
	buffer_load_dword v186, off, s[0:3], 0 offset:272
	buffer_load_dword v187, off, s[0:3], 0 offset:276
	v_add_f32_e32 v90, v90, v91
	s_waitcnt lgkmcnt(0)
	v_mul_f32_e32 v91, v86, v54
	v_fmac_f32_e32 v91, v87, v53
	v_add_f32_e32 v94, v90, v91
	ds_read_b128 v[90:93], v25 offset:672
	s_waitcnt vmcnt(31)
	v_mul_f32_e32 v95, v88, v58
	s_waitcnt vmcnt(24)
	v_fmac_f32_e32 v95, v89, v66
	v_add_f32_e32 v98, v94, v95
	ds_read_b128 v[94:97], v25 offset:688
	buffer_load_dword v188, off, s[0:3], 0 offset:280
	buffer_load_dword v189, off, s[0:3], 0 offset:284
	s_waitcnt lgkmcnt(1)
	v_mul_f32_e32 v99, v90, v60
	v_fmac_f32_e32 v99, v91, v59
	v_add_f32_e32 v98, v98, v99
	v_mul_f32_e32 v99, v92, v62
	v_fmac_f32_e32 v99, v93, v61
	v_add_f32_e32 v98, v98, v99
	s_waitcnt lgkmcnt(0)
	v_mul_f32_e32 v99, v94, v64
	v_fmac_f32_e32 v99, v95, v63
	v_add_f32_e32 v102, v98, v99
	buffer_load_dword v190, off, s[0:3], 0 offset:288
	buffer_load_dword v191, off, s[0:3], 0 offset:292
	ds_read_b128 v[98:101], v25 offset:704
	s_waitcnt vmcnt(26)
	v_mul_f32_e32 v103, v96, v67
	v_fmac_f32_e32 v103, v97, v65
	v_add_f32_e32 v106, v102, v103
	ds_read_b128 v[102:105], v25 offset:720
	s_waitcnt vmcnt(24) lgkmcnt(1)
	v_mul_f32_e32 v107, v98, v69
	v_fmac_f32_e32 v107, v99, v68
	v_add_f32_e32 v106, v106, v107
	s_waitcnt vmcnt(22)
	v_mul_f32_e32 v107, v100, v71
	buffer_load_dword v192, off, s[0:3], 0 offset:296
	buffer_load_dword v193, off, s[0:3], 0 offset:300
	v_fmac_f32_e32 v107, v101, v70
	v_add_f32_e32 v106, v106, v107
	s_waitcnt vmcnt(22) lgkmcnt(0)
	v_mul_f32_e32 v107, v102, v73
	buffer_load_dword v194, off, s[0:3], 0 offset:304
	buffer_load_dword v195, off, s[0:3], 0 offset:308
	v_fmac_f32_e32 v107, v103, v72
	v_add_f32_e32 v110, v106, v107
	ds_read_b128 v[106:109], v25 offset:736
	buffer_load_dword v196, off, s[0:3], 0 offset:312
	buffer_load_dword v197, off, s[0:3], 0 offset:316
	s_waitcnt vmcnt(24)
	v_mul_f32_e32 v111, v104, v75
	v_fmac_f32_e32 v111, v105, v74
	v_add_f32_e32 v114, v110, v111
	ds_read_b128 v[110:113], v25 offset:752
	s_waitcnt vmcnt(22) lgkmcnt(1)
	v_mul_f32_e32 v115, v106, v77
	v_fmac_f32_e32 v115, v107, v76
	buffer_load_dword v198, off, s[0:3], 0 offset:320
	buffer_load_dword v199, off, s[0:3], 0 offset:324
	;; [unrolled: 1-line block ×6, first 2 shown]
	v_add_f32_e32 v114, v114, v115
	s_waitcnt vmcnt(26)
	v_mul_f32_e32 v115, v108, v79
	v_fmac_f32_e32 v115, v109, v78
	v_add_f32_e32 v114, v114, v115
	s_waitcnt vmcnt(24) lgkmcnt(0)
	v_mul_f32_e32 v115, v110, v81
	v_fmac_f32_e32 v115, v111, v80
	v_add_f32_e32 v123, v114, v115
	ds_read_b128 v[114:117], v25 offset:768
	buffer_load_dword v204, off, s[0:3], 0 offset:344
	buffer_load_dword v205, off, s[0:3], 0 offset:348
	s_waitcnt vmcnt(24)
	v_mul_f32_e32 v124, v112, v119
	v_fmac_f32_e32 v124, v113, v118
	v_add_f32_e32 v127, v123, v124
	ds_read_b128 v[123:126], v25 offset:784
	buffer_load_dword v206, off, s[0:3], 0 offset:352
	buffer_load_dword v207, off, s[0:3], 0 offset:356
	;; [unrolled: 1-line block ×14, first 2 shown]
	s_waitcnt vmcnt(37) lgkmcnt(1)
	v_mul_f32_e32 v128, v114, v120
	buffer_load_dword v220, off, s[0:3], 0 offset:408
	buffer_load_dword v221, off, s[0:3], 0 offset:412
	v_mul_f32_e32 v22, v22, v34
	v_fma_f32 v21, v21, v45, -v22
	v_mul_f32_e32 v22, v24, v33
	v_add_f32_e32 v21, 0, v21
	v_fma_f32 v22, v23, v42, -v22
	v_mul_f32_e32 v18, v18, v32
	v_add_f32_e32 v21, v21, v22
	;; [unrolled: 3-line block ×3, first 2 shown]
	s_waitcnt vmcnt(38)
	v_fmac_f32_e32 v128, v115, v183
	v_add_f32_e32 v127, v127, v128
	s_waitcnt vmcnt(36)
	v_mul_f32_e32 v128, v116, v185
	v_fmac_f32_e32 v128, v117, v184
	v_add_f32_e32 v127, v127, v128
	v_fma_f32 v18, v19, v43, -v18
	s_waitcnt vmcnt(34) lgkmcnt(0)
	v_mul_f32_e32 v128, v123, v187
	v_fmac_f32_e32 v128, v124, v186
	v_add_f32_e32 v131, v127, v128
	ds_read_b128 v[127:130], v25 offset:800
	buffer_load_dword v222, off, s[0:3], 0 offset:416
	buffer_load_dword v223, off, s[0:3], 0 offset:420
	;; [unrolled: 1-line block ×6, first 2 shown]
	v_mul_f32_e32 v14, v14, v30
	v_add_f32_e32 v17, v17, v18
	v_fma_f32 v13, v13, v40, -v14
	v_mul_f32_e32 v14, v16, v29
	v_add_f32_e32 v13, v17, v13
	s_waitcnt vmcnt(38)
	v_mul_f32_e32 v132, v125, v189
	v_fmac_f32_e32 v132, v126, v188
	v_fma_f32 v14, v15, v38, -v14
	v_mul_f32_e32 v10, v10, v28
	v_add_f32_e32 v135, v131, v132
	ds_read_b128 v[131:134], v25 offset:816
	buffer_load_dword v228, off, s[0:3], 0 offset:440
	buffer_load_dword v229, off, s[0:3], 0 offset:444
	v_add_f32_e32 v13, v13, v14
	v_fma_f32 v9, v9, v37, -v10
	v_mul_f32_e32 v10, v12, v35
	v_add_f32_e32 v9, v13, v9
	v_fma_f32 v10, v11, v50, -v10
	v_mul_f32_e32 v6, v6, v36
	;; [unrolled: 3-line block ×5, first 2 shown]
	v_add_f32_e32 v1, v5, v1
	v_fma_f32 v2, v3, v57, -v2
	buffer_load_dword v230, off, s[0:3], 0 offset:448
	buffer_load_dword v231, off, s[0:3], 0 offset:452
	buffer_load_dword v232, off, s[0:3], 0 offset:460
	buffer_load_dword v233, off, s[0:3], 0 offset:464
	buffer_load_dword v234, off, s[0:3], 0 offset:468
	buffer_load_dword v235, off, s[0:3], 0 offset:456
	v_add_f32_e32 v1, v1, v2
	v_mul_f32_e32 v2, v83, v56
	v_fma_f32 v2, v82, v55, -v2
	v_add_f32_e32 v1, v1, v2
	v_mul_f32_e32 v2, v85, v52
	v_fma_f32 v2, v84, v51, -v2
	v_add_f32_e32 v1, v1, v2
	v_mul_f32_e32 v2, v87, v54
	buffer_load_dword v236, off, s[0:3], 0 offset:472
	buffer_load_dword v237, off, s[0:3], 0 offset:476
	v_fma_f32 v2, v86, v53, -v2
	v_add_f32_e32 v1, v1, v2
	v_mul_f32_e32 v2, v89, v58
	s_waitcnt vmcnt(46) lgkmcnt(1)
	v_mul_f32_e32 v136, v127, v191
	v_fma_f32 v2, v88, v66, -v2
	v_fmac_f32_e32 v136, v128, v190
	v_add_f32_e32 v1, v1, v2
	v_mul_f32_e32 v2, v91, v60
	v_add_f32_e32 v135, v135, v136
	s_waitcnt vmcnt(44)
	v_mul_f32_e32 v136, v129, v193
	v_fma_f32 v2, v90, v59, -v2
	v_fmac_f32_e32 v136, v130, v192
	v_add_f32_e32 v1, v1, v2
	v_mul_f32_e32 v2, v93, v62
	v_add_f32_e32 v135, v135, v136
	s_waitcnt vmcnt(42) lgkmcnt(0)
	v_mul_f32_e32 v136, v131, v195
	buffer_load_dword v238, off, s[0:3], 0 offset:480
	buffer_load_dword v239, off, s[0:3], 0 offset:484
	;; [unrolled: 1-line block ×6, first 2 shown]
	v_fma_f32 v2, v92, v61, -v2
	v_fmac_f32_e32 v136, v132, v194
	s_waitcnt vmcnt(46)
	v_mul_f32_e32 v140, v133, v197
	v_add_f32_e32 v1, v1, v2
	v_mul_f32_e32 v2, v95, v64
	v_add_f32_e32 v139, v135, v136
	v_fmac_f32_e32 v140, v134, v196
	v_fma_f32 v2, v94, v63, -v2
	ds_read_b128 v[135:138], v25 offset:832
	v_add_f32_e32 v143, v139, v140
	ds_read_b128 v[139:142], v25 offset:848
	buffer_load_dword v251, off, s[0:3], 0 offset:504
	buffer_load_dword v252, off, s[0:3], 0 offset:508
	v_add_f32_e32 v1, v1, v2
	v_mul_f32_e32 v2, v97, v67
	v_fma_f32 v2, v96, v65, -v2
	v_add_f32_e32 v1, v1, v2
	v_mul_f32_e32 v2, v99, v69
	v_fma_f32 v2, v98, v68, -v2
	;; [unrolled: 3-line block ×9, first 2 shown]
	v_add_f32_e32 v1, v1, v2
	v_mul_f32_e32 v2, v115, v120
	s_waitcnt vmcnt(46) lgkmcnt(1)
	v_mul_f32_e32 v144, v135, v199
	v_fma_f32 v2, v114, v183, -v2
	v_fmac_f32_e32 v144, v136, v198
	v_add_f32_e32 v1, v1, v2
	v_mul_f32_e32 v2, v117, v185
	v_add_f32_e32 v143, v143, v144
	s_waitcnt vmcnt(45)
	v_mul_f32_e32 v144, v137, v200
	v_fma_f32 v2, v116, v184, -v2
	s_waitcnt vmcnt(42)
	v_fmac_f32_e32 v144, v138, v203
	v_add_f32_e32 v1, v1, v2
	v_mul_f32_e32 v2, v124, v187
	v_add_f32_e32 v143, v143, v144
	s_waitcnt lgkmcnt(0)
	v_mul_f32_e32 v144, v139, v202
	v_fma_f32 v2, v123, v186, -v2
	v_fmac_f32_e32 v144, v140, v201
	v_add_f32_e32 v1, v1, v2
	v_mul_f32_e32 v2, v126, v189
	v_add_f32_e32 v147, v143, v144
	ds_read_b128 v[143:146], v25 offset:864
	v_fma_f32 v2, v125, v188, -v2
	v_add_f32_e32 v1, v1, v2
	v_mul_f32_e32 v2, v128, v191
	s_waitcnt vmcnt(40)
	v_mul_f32_e32 v148, v141, v205
	v_fma_f32 v2, v127, v190, -v2
	v_fmac_f32_e32 v148, v142, v204
	v_add_f32_e32 v1, v1, v2
	v_mul_f32_e32 v2, v130, v193
	v_add_f32_e32 v151, v147, v148
	ds_read_b128 v[147:150], v25 offset:880
	v_fma_f32 v2, v129, v192, -v2
	s_waitcnt vmcnt(38) lgkmcnt(1)
	v_mul_f32_e32 v152, v143, v207
	v_add_f32_e32 v1, v1, v2
	v_mul_f32_e32 v2, v132, v195
	v_fmac_f32_e32 v152, v144, v206
	v_fma_f32 v2, v131, v194, -v2
	v_add_f32_e32 v151, v151, v152
	s_waitcnt vmcnt(37)
	v_mul_f32_e32 v152, v145, v208
	v_add_f32_e32 v1, v1, v2
	v_mul_f32_e32 v2, v134, v197
	s_waitcnt vmcnt(34)
	v_fmac_f32_e32 v152, v146, v211
	v_fma_f32 v2, v133, v196, -v2
	v_add_f32_e32 v151, v151, v152
	s_waitcnt lgkmcnt(0)
	v_mul_f32_e32 v152, v147, v210
	v_add_f32_e32 v1, v1, v2
	v_mul_f32_e32 v2, v136, v199
	v_fmac_f32_e32 v152, v148, v209
	v_fma_f32 v2, v135, v198, -v2
	v_add_f32_e32 v155, v151, v152
	ds_read_b128 v[151:154], v25 offset:896
	v_add_f32_e32 v1, v1, v2
	v_mul_f32_e32 v2, v138, v200
	v_fma_f32 v2, v137, v203, -v2
	s_waitcnt vmcnt(32)
	v_mul_f32_e32 v156, v149, v213
	v_add_f32_e32 v1, v1, v2
	v_mul_f32_e32 v2, v140, v202
	v_fmac_f32_e32 v156, v150, v212
	v_fma_f32 v2, v139, v201, -v2
	v_add_f32_e32 v159, v155, v156
	ds_read_b128 v[155:158], v25 offset:912
	v_add_f32_e32 v1, v1, v2
	v_mul_f32_e32 v2, v142, v205
	s_waitcnt vmcnt(30) lgkmcnt(1)
	v_mul_f32_e32 v160, v151, v215
	v_fma_f32 v2, v141, v204, -v2
	v_fmac_f32_e32 v160, v152, v214
	v_add_f32_e32 v1, v1, v2
	v_mul_f32_e32 v2, v144, v207
	v_add_f32_e32 v159, v159, v160
	s_waitcnt vmcnt(29)
	v_mul_f32_e32 v160, v153, v216
	v_fma_f32 v2, v143, v206, -v2
	s_waitcnt vmcnt(26)
	v_fmac_f32_e32 v160, v154, v219
	v_add_f32_e32 v1, v1, v2
	v_mul_f32_e32 v2, v146, v208
	v_add_f32_e32 v159, v159, v160
	s_waitcnt lgkmcnt(0)
	v_mul_f32_e32 v160, v155, v218
	v_fma_f32 v2, v145, v211, -v2
	v_fmac_f32_e32 v160, v156, v217
	v_add_f32_e32 v1, v1, v2
	v_mul_f32_e32 v2, v148, v210
	v_add_f32_e32 v163, v159, v160
	ds_read_b128 v[159:162], v25 offset:928
	v_fma_f32 v2, v147, v209, -v2
	v_add_f32_e32 v1, v1, v2
	v_mul_f32_e32 v2, v150, v213
	s_waitcnt vmcnt(24)
	v_mul_f32_e32 v164, v157, v221
	v_fma_f32 v2, v149, v212, -v2
	v_fmac_f32_e32 v164, v158, v220
	v_add_f32_e32 v1, v1, v2
	v_mul_f32_e32 v2, v152, v215
	v_add_f32_e32 v167, v163, v164
	ds_read_b128 v[163:166], v25 offset:944
	v_fma_f32 v2, v151, v214, -v2
	s_waitcnt vmcnt(22) lgkmcnt(1)
	v_mul_f32_e32 v168, v159, v223
	v_add_f32_e32 v1, v1, v2
	v_mul_f32_e32 v2, v154, v216
	v_fmac_f32_e32 v168, v160, v222
	v_fma_f32 v2, v153, v219, -v2
	v_add_f32_e32 v167, v167, v168
	s_waitcnt vmcnt(21)
	v_mul_f32_e32 v168, v161, v224
	v_add_f32_e32 v1, v1, v2
	v_mul_f32_e32 v2, v156, v218
	s_waitcnt vmcnt(18)
	v_fmac_f32_e32 v168, v162, v227
	v_fma_f32 v2, v155, v217, -v2
	v_add_f32_e32 v167, v167, v168
	s_waitcnt lgkmcnt(0)
	v_mul_f32_e32 v168, v163, v226
	v_add_f32_e32 v1, v1, v2
	v_mul_f32_e32 v2, v158, v221
	v_fmac_f32_e32 v168, v164, v225
	v_fma_f32 v2, v157, v220, -v2
	v_add_f32_e32 v171, v167, v168
	ds_read_b128 v[167:170], v25 offset:960
	v_add_f32_e32 v1, v1, v2
	v_mul_f32_e32 v2, v160, v223
	v_fma_f32 v2, v159, v222, -v2
	s_waitcnt vmcnt(16)
	v_mul_f32_e32 v172, v165, v229
	v_add_f32_e32 v1, v1, v2
	v_mul_f32_e32 v2, v162, v224
	v_fmac_f32_e32 v172, v166, v228
	v_fma_f32 v2, v161, v227, -v2
	v_add_f32_e32 v175, v171, v172
	ds_read_b128 v[171:174], v25 offset:976
	v_add_f32_e32 v1, v1, v2
	v_mul_f32_e32 v2, v164, v226
	s_waitcnt vmcnt(14) lgkmcnt(1)
	v_mul_f32_e32 v176, v167, v231
	v_fma_f32 v2, v163, v225, -v2
	v_fmac_f32_e32 v176, v168, v230
	v_add_f32_e32 v1, v1, v2
	v_mul_f32_e32 v2, v166, v229
	v_add_f32_e32 v175, v175, v176
	s_waitcnt vmcnt(13)
	v_mul_f32_e32 v176, v169, v232
	v_fma_f32 v2, v165, v228, -v2
	s_waitcnt vmcnt(10)
	v_fmac_f32_e32 v176, v170, v235
	v_add_f32_e32 v1, v1, v2
	v_mul_f32_e32 v2, v168, v231
	v_add_f32_e32 v175, v175, v176
	s_waitcnt lgkmcnt(0)
	v_mul_f32_e32 v176, v171, v234
	v_fma_f32 v2, v167, v230, -v2
	v_fmac_f32_e32 v176, v172, v233
	v_add_f32_e32 v1, v1, v2
	v_mul_f32_e32 v2, v170, v232
	v_add_f32_e32 v179, v175, v176
	ds_read_b128 v[175:178], v25 offset:992
	v_fma_f32 v2, v169, v235, -v2
	v_add_f32_e32 v1, v1, v2
	v_mul_f32_e32 v2, v172, v234
	s_waitcnt vmcnt(8)
	v_mul_f32_e32 v180, v173, v237
	v_fma_f32 v2, v171, v233, -v2
	v_fmac_f32_e32 v180, v174, v236
	v_add_f32_e32 v1, v1, v2
	v_mul_f32_e32 v2, v174, v237
	v_add_f32_e32 v253, v179, v180
	ds_read_b128 v[179:182], v25 offset:1008
	v_fma_f32 v2, v173, v236, -v2
	v_add_f32_e32 v1, v1, v2
	s_waitcnt vmcnt(6) lgkmcnt(1)
	v_mul_f32_e32 v2, v176, v239
	v_mul_f32_e32 v25, v175, v239
	v_fma_f32 v2, v175, v238, -v2
	v_fmac_f32_e32 v25, v176, v238
	v_add_f32_e32 v1, v1, v2
	s_waitcnt vmcnt(5)
	v_mul_f32_e32 v2, v178, v240
	v_add_f32_e32 v25, v253, v25
	v_mul_f32_e32 v253, v177, v240
	s_waitcnt vmcnt(2)
	v_fma_f32 v2, v177, v250, -v2
	v_fmac_f32_e32 v253, v178, v250
	v_add_f32_e32 v1, v1, v2
	s_waitcnt lgkmcnt(0)
	v_mul_f32_e32 v2, v180, v242
	v_add_f32_e32 v25, v25, v253
	v_mul_f32_e32 v253, v179, v242
	v_fma_f32 v2, v179, v241, -v2
	v_fmac_f32_e32 v253, v180, v241
	v_add_f32_e32 v1, v1, v2
	s_waitcnt vmcnt(0)
	v_mul_f32_e32 v2, v182, v252
	v_add_f32_e32 v25, v25, v253
	v_mul_f32_e32 v253, v181, v252
	v_fma_f32 v2, v181, v251, -v2
	v_fmac_f32_e32 v253, v182, v251
	v_add_f32_e32 v1, v1, v2
	v_add_f32_e32 v25, v25, v253
	v_sub_f32_e32 v1, v26, v1
	v_sub_f32_e32 v2, v27, v25
	buffer_store_dword v1, off, s[0:3], 0 offset:24
	buffer_store_dword v2, off, s[0:3], 0 offset:28
	s_and_saveexec_b64 s[4:5], vcc
	s_cbranch_execz .LBB127_393
; %bb.392:
	buffer_load_dword v1, off, s[0:3], 0 offset:16
	buffer_load_dword v2, off, s[0:3], 0 offset:20
	v_mov_b32_e32 v3, 0
	buffer_store_dword v3, off, s[0:3], 0 offset:16
	buffer_store_dword v3, off, s[0:3], 0 offset:20
	s_waitcnt vmcnt(2)
	ds_write_b64 v249, v[1:2]
.LBB127_393:
	s_or_b64 exec, exec, s[4:5]
	s_waitcnt lgkmcnt(0)
	; wave barrier
	buffer_load_dword v21, off, s[0:3], 0 offset:28
	buffer_load_dword v20, off, s[0:3], 0 offset:36
	;; [unrolled: 1-line block ×56, first 2 shown]
	v_mov_b32_e32 v117, 0
	ds_read2_b64 v[73:76], v117 offset0:67 offset1:68
	ds_read2_b64 v[77:80], v117 offset0:69 offset1:70
	;; [unrolled: 1-line block ×6, first 2 shown]
	v_cmp_lt_u32_e32 vcc, 1, v0
	s_waitcnt vmcnt(55) lgkmcnt(5)
	v_mul_f32_e32 v69, v73, v21
	s_waitcnt vmcnt(54)
	v_mul_f32_e32 v70, v75, v20
	s_waitcnt vmcnt(53) lgkmcnt(4)
	v_mul_f32_e32 v71, v77, v19
	s_waitcnt vmcnt(52)
	v_mul_f32_e32 v72, v79, v18
	;; [unrolled: 4-line block ×4, first 2 shown]
	s_waitcnt vmcnt(47) lgkmcnt(1)
	v_mul_f32_e32 v89, v5, v23
	s_waitcnt vmcnt(46)
	v_fmac_f32_e32 v71, v78, v26
	s_waitcnt vmcnt(45)
	v_fmac_f32_e32 v70, v76, v39
	;; [unrolled: 2-line block ×3, first 2 shown]
	v_add_f32_e32 v69, 0, v69
	v_add_f32_e32 v69, v69, v70
	;; [unrolled: 1-line block ×3, first 2 shown]
	s_waitcnt vmcnt(40)
	v_fmac_f32_e32 v72, v80, v29
	v_fmac_f32_e32 v85, v82, v27
	v_add_f32_e32 v69, v69, v72
	v_fmac_f32_e32 v86, v84, v25
	v_add_f32_e32 v69, v69, v85
	;; [unrolled: 2-line block ×3, first 2 shown]
	s_waitcnt vmcnt(36)
	v_fmac_f32_e32 v88, v12, v35
	v_add_f32_e32 v69, v69, v87
	v_fmac_f32_e32 v89, v6, v32
	v_add_f32_e32 v69, v69, v88
	v_add_f32_e32 v71, v69, v89
	buffer_load_dword v69, off, s[0:3], 0 offset:240
	buffer_load_dword v70, off, s[0:3], 0 offset:244
	s_waitcnt vmcnt(37)
	v_mul_f32_e32 v72, v7, v33
	v_fmac_f32_e32 v72, v8, v30
	ds_read2_b64 v[85:88], v117 offset0:79 offset1:80
	v_add_f32_e32 v71, v71, v72
	s_waitcnt vmcnt(36) lgkmcnt(1)
	v_mul_f32_e32 v72, v1, v31
	v_fmac_f32_e32 v72, v2, v28
	s_waitcnt vmcnt(35)
	v_mul_f32_e32 v90, v3, v34
	v_add_f32_e32 v89, v71, v72
	buffer_load_dword v71, off, s[0:3], 0 offset:248
	buffer_load_dword v72, off, s[0:3], 0 offset:252
	s_waitcnt vmcnt(30)
	v_fmac_f32_e32 v90, v4, v46
	v_add_f32_e32 v93, v89, v90
	ds_read2_b64 v[89:92], v117 offset0:81 offset1:82
	s_waitcnt lgkmcnt(1)
	v_mul_f32_e32 v94, v85, v37
	v_fmac_f32_e32 v94, v86, v36
	v_add_f32_e32 v93, v93, v94
	v_mul_f32_e32 v94, v87, v40
	buffer_load_dword v118, off, s[0:3], 0 offset:260
	buffer_load_dword v119, off, s[0:3], 0 offset:256
	;; [unrolled: 1-line block ×4, first 2 shown]
	v_fmac_f32_e32 v94, v88, v38
	v_add_f32_e32 v93, v93, v94
	s_waitcnt lgkmcnt(0)
	v_mul_f32_e32 v94, v89, v43
	v_fmac_f32_e32 v94, v90, v41
	v_add_f32_e32 v97, v93, v94
	ds_read2_b64 v[93:96], v117 offset0:83 offset1:84
	s_waitcnt vmcnt(30)
	v_mul_f32_e32 v98, v91, v45
	buffer_load_dword v184, off, s[0:3], 0 offset:272
	buffer_load_dword v185, off, s[0:3], 0 offset:276
	v_fmac_f32_e32 v98, v92, v44
	v_add_f32_e32 v101, v97, v98
	ds_read2_b64 v[97:100], v117 offset0:85 offset1:86
	s_waitcnt vmcnt(30) lgkmcnt(1)
	v_mul_f32_e32 v102, v93, v48
	v_fmac_f32_e32 v102, v94, v47
	v_add_f32_e32 v101, v101, v102
	s_waitcnt vmcnt(28)
	v_mul_f32_e32 v102, v95, v50
	v_fmac_f32_e32 v102, v96, v49
	v_add_f32_e32 v101, v101, v102
	s_waitcnt vmcnt(26) lgkmcnt(0)
	v_mul_f32_e32 v102, v97, v52
	v_fmac_f32_e32 v102, v98, v51
	v_add_f32_e32 v101, v101, v102
	s_waitcnt vmcnt(24)
	v_mul_f32_e32 v102, v99, v54
	v_fmac_f32_e32 v102, v100, v53
	buffer_load_dword v186, off, s[0:3], 0 offset:284
	v_add_f32_e32 v109, v101, v102
	ds_read2_b64 v[101:104], v117 offset0:87 offset1:88
	ds_read2_b64 v[105:108], v117 offset0:89 offset1:90
	buffer_load_dword v187, off, s[0:3], 0 offset:280
	buffer_load_dword v188, off, s[0:3], 0 offset:288
	;; [unrolled: 1-line block ×5, first 2 shown]
	v_mul_f32_e32 v21, v74, v21
	s_waitcnt vmcnt(28) lgkmcnt(1)
	v_mul_f32_e32 v110, v101, v56
	v_fmac_f32_e32 v110, v102, v55
	v_add_f32_e32 v109, v109, v110
	s_waitcnt vmcnt(26)
	v_mul_f32_e32 v110, v103, v58
	v_fmac_f32_e32 v110, v104, v57
	v_add_f32_e32 v109, v109, v110
	s_waitcnt vmcnt(24) lgkmcnt(0)
	v_mul_f32_e32 v110, v105, v60
	v_fmac_f32_e32 v110, v106, v59
	v_add_f32_e32 v113, v109, v110
	ds_read2_b64 v[109:112], v117 offset0:91 offset1:92
	buffer_load_dword v192, off, s[0:3], 0 offset:304
	buffer_load_dword v193, off, s[0:3], 0 offset:308
	s_waitcnt vmcnt(24)
	v_mul_f32_e32 v114, v107, v62
	v_fmac_f32_e32 v114, v108, v61
	v_add_f32_e32 v123, v113, v114
	ds_read2_b64 v[113:116], v117 offset0:93 offset1:94
	s_waitcnt vmcnt(22) lgkmcnt(1)
	v_mul_f32_e32 v124, v109, v64
	v_fmac_f32_e32 v124, v110, v63
	v_add_f32_e32 v123, v123, v124
	s_waitcnt vmcnt(21)
	v_mul_f32_e32 v124, v111, v65
	buffer_load_dword v194, off, s[0:3], 0 offset:312
	buffer_load_dword v195, off, s[0:3], 0 offset:316
	s_waitcnt vmcnt(20)
	v_fmac_f32_e32 v124, v112, v68
	v_add_f32_e32 v123, v123, v124
	s_waitcnt lgkmcnt(0)
	v_mul_f32_e32 v124, v113, v67
	v_fmac_f32_e32 v124, v114, v66
	buffer_load_dword v196, off, s[0:3], 0 offset:324
	v_add_f32_e32 v127, v123, v124
	ds_read2_b64 v[123:126], v117 offset0:95 offset1:96
	buffer_load_dword v197, off, s[0:3], 0 offset:328
	buffer_load_dword v198, off, s[0:3], 0 offset:332
	;; [unrolled: 1-line block ×3, first 2 shown]
	v_fma_f32 v42, v73, v42, -v21
	v_mul_f32_e32 v20, v76, v20
	v_fma_f32 v39, v75, v39, -v20
	v_add_f32_e32 v42, 0, v42
	v_mul_f32_e32 v19, v78, v19
	v_add_f32_e32 v39, v42, v39
	s_waitcnt vmcnt(22)
	v_mul_f32_e32 v128, v115, v70
	v_fmac_f32_e32 v128, v116, v69
	v_add_f32_e32 v131, v127, v128
	ds_read2_b64 v[127:130], v117 offset0:97 offset1:98
	buffer_load_dword v200, off, s[0:3], 0 offset:336
	buffer_load_dword v201, off, s[0:3], 0 offset:340
	;; [unrolled: 1-line block ×16, first 2 shown]
	v_fma_f32 v19, v77, v26, -v19
	s_waitcnt vmcnt(36) lgkmcnt(1)
	v_mul_f32_e32 v132, v123, v72
	v_fmac_f32_e32 v132, v124, v71
	v_add_f32_e32 v131, v131, v132
	v_mul_f32_e32 v18, v80, v18
	v_add_f32_e32 v19, v39, v19
	s_waitcnt vmcnt(35)
	v_mul_f32_e32 v132, v125, v118
	s_waitcnt vmcnt(34)
	v_fmac_f32_e32 v132, v126, v119
	v_add_f32_e32 v131, v131, v132
	s_waitcnt vmcnt(32) lgkmcnt(0)
	v_mul_f32_e32 v132, v127, v183
	v_fmac_f32_e32 v132, v128, v120
	v_add_f32_e32 v135, v131, v132
	ds_read2_b64 v[131:134], v117 offset0:99 offset1:100
	buffer_load_dword v216, off, s[0:3], 0 offset:400
	buffer_load_dword v217, off, s[0:3], 0 offset:404
	v_fma_f32 v18, v79, v29, -v18
	v_mul_f32_e32 v17, v82, v17
	v_add_f32_e32 v18, v19, v18
	s_waitcnt vmcnt(32)
	v_mul_f32_e32 v136, v129, v185
	v_fmac_f32_e32 v136, v130, v184
	v_add_f32_e32 v139, v135, v136
	ds_read2_b64 v[135:138], v117 offset0:101 offset1:102
	buffer_load_dword v218, off, s[0:3], 0 offset:408
	buffer_load_dword v219, off, s[0:3], 0 offset:412
	buffer_load_dword v220, off, s[0:3], 0 offset:420
	buffer_load_dword v221, off, s[0:3], 0 offset:424
	buffer_load_dword v222, off, s[0:3], 0 offset:428
	buffer_load_dword v223, off, s[0:3], 0 offset:416
	v_fma_f32 v17, v81, v27, -v17
	v_mul_f32_e32 v16, v84, v16
	v_add_f32_e32 v17, v18, v17
	v_fma_f32 v16, v83, v25, -v16
	v_mul_f32_e32 v10, v10, v15
	buffer_load_dword v224, off, s[0:3], 0 offset:432
	buffer_load_dword v225, off, s[0:3], 0 offset:436
	v_add_f32_e32 v16, v17, v16
	v_fma_f32 v9, v9, v24, -v10
	v_mul_f32_e32 v10, v12, v22
	v_add_f32_e32 v9, v16, v9
	v_fma_f32 v10, v11, v35, -v10
	v_mul_f32_e32 v6, v6, v23
	;; [unrolled: 3-line block ×5, first 2 shown]
	v_add_f32_e32 v1, v5, v1
	v_fma_f32 v2, v3, v46, -v2
	s_waitcnt vmcnt(39) lgkmcnt(1)
	v_mul_f32_e32 v140, v131, v186
	buffer_load_dword v226, off, s[0:3], 0 offset:440
	buffer_load_dword v227, off, s[0:3], 0 offset:444
	;; [unrolled: 1-line block ×6, first 2 shown]
	v_add_f32_e32 v1, v1, v2
	v_mul_f32_e32 v2, v86, v37
	s_waitcnt vmcnt(44)
	v_fmac_f32_e32 v140, v132, v187
	v_fma_f32 v2, v85, v36, -v2
	v_add_f32_e32 v139, v139, v140
	s_waitcnt vmcnt(42)
	v_mul_f32_e32 v140, v133, v189
	v_add_f32_e32 v1, v1, v2
	v_mul_f32_e32 v2, v88, v40
	v_fmac_f32_e32 v140, v134, v188
	v_fma_f32 v2, v87, v38, -v2
	v_add_f32_e32 v139, v139, v140
	s_waitcnt vmcnt(40) lgkmcnt(0)
	v_mul_f32_e32 v140, v135, v191
	v_add_f32_e32 v1, v1, v2
	v_mul_f32_e32 v2, v90, v43
	v_fmac_f32_e32 v140, v136, v190
	v_fma_f32 v2, v89, v41, -v2
	v_add_f32_e32 v143, v139, v140
	ds_read2_b64 v[139:142], v117 offset0:103 offset1:104
	buffer_load_dword v232, off, s[0:3], 0 offset:464
	buffer_load_dword v233, off, s[0:3], 0 offset:468
	v_add_f32_e32 v1, v1, v2
	v_mul_f32_e32 v2, v92, v45
	v_fma_f32 v2, v91, v44, -v2
	s_waitcnt vmcnt(40)
	v_mul_f32_e32 v144, v137, v193
	v_add_f32_e32 v1, v1, v2
	v_mul_f32_e32 v2, v94, v48
	v_fmac_f32_e32 v144, v138, v192
	v_fma_f32 v2, v93, v47, -v2
	v_add_f32_e32 v147, v143, v144
	ds_read2_b64 v[143:146], v117 offset0:105 offset1:106
	buffer_load_dword v234, off, s[0:3], 0 offset:472
	buffer_load_dword v235, off, s[0:3], 0 offset:476
	;; [unrolled: 1-line block ×6, first 2 shown]
	v_add_f32_e32 v1, v1, v2
	v_mul_f32_e32 v2, v96, v50
	v_fma_f32 v2, v95, v49, -v2
	v_add_f32_e32 v1, v1, v2
	v_mul_f32_e32 v2, v98, v52
	v_fma_f32 v2, v97, v51, -v2
	v_add_f32_e32 v1, v1, v2
	v_mul_f32_e32 v2, v100, v54
	buffer_load_dword v240, off, s[0:3], 0 offset:500
	buffer_load_dword v241, off, s[0:3], 0 offset:504
	;; [unrolled: 1-line block ×4, first 2 shown]
	v_fma_f32 v2, v99, v53, -v2
	v_add_f32_e32 v1, v1, v2
	v_mul_f32_e32 v2, v102, v56
	v_fma_f32 v2, v101, v55, -v2
	v_add_f32_e32 v1, v1, v2
	v_mul_f32_e32 v2, v104, v58
	;; [unrolled: 3-line block ×9, first 2 shown]
	s_waitcnt vmcnt(48) lgkmcnt(1)
	v_mul_f32_e32 v148, v139, v195
	v_fma_f32 v2, v123, v71, -v2
	v_fmac_f32_e32 v148, v140, v194
	v_add_f32_e32 v1, v1, v2
	v_mul_f32_e32 v2, v126, v118
	v_add_f32_e32 v147, v147, v148
	s_waitcnt vmcnt(47)
	v_mul_f32_e32 v148, v141, v196
	v_fma_f32 v2, v125, v119, -v2
	s_waitcnt vmcnt(44)
	v_fmac_f32_e32 v148, v142, v199
	v_add_f32_e32 v1, v1, v2
	v_mul_f32_e32 v2, v128, v183
	v_add_f32_e32 v147, v147, v148
	s_waitcnt lgkmcnt(0)
	v_mul_f32_e32 v148, v143, v198
	v_fma_f32 v2, v127, v120, -v2
	v_fmac_f32_e32 v148, v144, v197
	v_add_f32_e32 v1, v1, v2
	v_mul_f32_e32 v2, v130, v185
	v_add_f32_e32 v151, v147, v148
	ds_read2_b64 v[147:150], v117 offset0:107 offset1:108
	v_fma_f32 v2, v129, v184, -v2
	v_add_f32_e32 v1, v1, v2
	v_mul_f32_e32 v2, v132, v186
	s_waitcnt vmcnt(42)
	v_mul_f32_e32 v152, v145, v201
	v_fma_f32 v2, v131, v187, -v2
	v_fmac_f32_e32 v152, v146, v200
	v_add_f32_e32 v1, v1, v2
	v_mul_f32_e32 v2, v134, v189
	v_add_f32_e32 v155, v151, v152
	ds_read2_b64 v[151:154], v117 offset0:109 offset1:110
	v_fma_f32 v2, v133, v188, -v2
	s_waitcnt vmcnt(40) lgkmcnt(1)
	v_mul_f32_e32 v156, v147, v203
	v_add_f32_e32 v1, v1, v2
	v_mul_f32_e32 v2, v136, v191
	v_fmac_f32_e32 v156, v148, v202
	v_fma_f32 v2, v135, v190, -v2
	v_add_f32_e32 v155, v155, v156
	s_waitcnt vmcnt(39)
	v_mul_f32_e32 v156, v149, v204
	v_add_f32_e32 v1, v1, v2
	v_mul_f32_e32 v2, v138, v193
	s_waitcnt vmcnt(36)
	v_fmac_f32_e32 v156, v150, v207
	v_fma_f32 v2, v137, v192, -v2
	v_add_f32_e32 v155, v155, v156
	s_waitcnt lgkmcnt(0)
	v_mul_f32_e32 v156, v151, v206
	v_add_f32_e32 v1, v1, v2
	v_mul_f32_e32 v2, v140, v195
	v_fmac_f32_e32 v156, v152, v205
	v_fma_f32 v2, v139, v194, -v2
	v_add_f32_e32 v159, v155, v156
	ds_read2_b64 v[155:158], v117 offset0:111 offset1:112
	v_add_f32_e32 v1, v1, v2
	v_mul_f32_e32 v2, v142, v196
	v_fma_f32 v2, v141, v199, -v2
	s_waitcnt vmcnt(34)
	v_mul_f32_e32 v160, v153, v209
	v_add_f32_e32 v1, v1, v2
	v_mul_f32_e32 v2, v144, v198
	v_fmac_f32_e32 v160, v154, v208
	v_fma_f32 v2, v143, v197, -v2
	v_add_f32_e32 v163, v159, v160
	ds_read2_b64 v[159:162], v117 offset0:113 offset1:114
	v_add_f32_e32 v1, v1, v2
	v_mul_f32_e32 v2, v146, v201
	s_waitcnt vmcnt(32) lgkmcnt(1)
	v_mul_f32_e32 v164, v155, v211
	v_fma_f32 v2, v145, v200, -v2
	v_fmac_f32_e32 v164, v156, v210
	v_add_f32_e32 v1, v1, v2
	v_mul_f32_e32 v2, v148, v203
	v_add_f32_e32 v163, v163, v164
	s_waitcnt vmcnt(31)
	v_mul_f32_e32 v164, v157, v212
	v_fma_f32 v2, v147, v202, -v2
	s_waitcnt vmcnt(28)
	v_fmac_f32_e32 v164, v158, v215
	v_add_f32_e32 v1, v1, v2
	v_mul_f32_e32 v2, v150, v204
	v_add_f32_e32 v163, v163, v164
	s_waitcnt lgkmcnt(0)
	v_mul_f32_e32 v164, v159, v214
	v_fma_f32 v2, v149, v207, -v2
	v_fmac_f32_e32 v164, v160, v213
	v_add_f32_e32 v1, v1, v2
	v_mul_f32_e32 v2, v152, v206
	v_add_f32_e32 v167, v163, v164
	ds_read2_b64 v[163:166], v117 offset0:115 offset1:116
	v_fma_f32 v2, v151, v205, -v2
	v_add_f32_e32 v1, v1, v2
	v_mul_f32_e32 v2, v154, v209
	s_waitcnt vmcnt(26)
	v_mul_f32_e32 v168, v161, v217
	v_fma_f32 v2, v153, v208, -v2
	v_fmac_f32_e32 v168, v162, v216
	v_add_f32_e32 v1, v1, v2
	v_mul_f32_e32 v2, v156, v211
	v_add_f32_e32 v171, v167, v168
	ds_read2_b64 v[167:170], v117 offset0:117 offset1:118
	v_fma_f32 v2, v155, v210, -v2
	s_waitcnt vmcnt(24) lgkmcnt(1)
	v_mul_f32_e32 v172, v163, v219
	v_add_f32_e32 v1, v1, v2
	v_mul_f32_e32 v2, v158, v212
	v_fmac_f32_e32 v172, v164, v218
	v_fma_f32 v2, v157, v215, -v2
	v_add_f32_e32 v171, v171, v172
	s_waitcnt vmcnt(23)
	v_mul_f32_e32 v172, v165, v220
	v_add_f32_e32 v1, v1, v2
	v_mul_f32_e32 v2, v160, v214
	s_waitcnt vmcnt(20)
	v_fmac_f32_e32 v172, v166, v223
	v_fma_f32 v2, v159, v213, -v2
	v_add_f32_e32 v171, v171, v172
	s_waitcnt lgkmcnt(0)
	v_mul_f32_e32 v172, v167, v222
	v_add_f32_e32 v1, v1, v2
	v_mul_f32_e32 v2, v162, v217
	v_fmac_f32_e32 v172, v168, v221
	v_fma_f32 v2, v161, v216, -v2
	v_add_f32_e32 v175, v171, v172
	ds_read2_b64 v[171:174], v117 offset0:119 offset1:120
	v_add_f32_e32 v1, v1, v2
	v_mul_f32_e32 v2, v164, v219
	v_fma_f32 v2, v163, v218, -v2
	s_waitcnt vmcnt(18)
	v_mul_f32_e32 v176, v169, v225
	v_add_f32_e32 v1, v1, v2
	v_mul_f32_e32 v2, v166, v220
	v_fmac_f32_e32 v176, v170, v224
	v_fma_f32 v2, v165, v223, -v2
	v_add_f32_e32 v179, v175, v176
	ds_read2_b64 v[175:178], v117 offset0:121 offset1:122
	v_add_f32_e32 v1, v1, v2
	v_mul_f32_e32 v2, v168, v222
	s_waitcnt vmcnt(16) lgkmcnt(1)
	v_mul_f32_e32 v180, v171, v227
	v_fma_f32 v2, v167, v221, -v2
	v_fmac_f32_e32 v180, v172, v226
	v_add_f32_e32 v1, v1, v2
	v_mul_f32_e32 v2, v170, v225
	v_add_f32_e32 v179, v179, v180
	s_waitcnt vmcnt(15)
	v_mul_f32_e32 v180, v173, v228
	v_fma_f32 v2, v169, v224, -v2
	s_waitcnt vmcnt(12)
	v_fmac_f32_e32 v180, v174, v231
	v_add_f32_e32 v1, v1, v2
	v_mul_f32_e32 v2, v172, v227
	v_add_f32_e32 v179, v179, v180
	s_waitcnt lgkmcnt(0)
	v_mul_f32_e32 v180, v175, v230
	v_fma_f32 v2, v171, v226, -v2
	v_fmac_f32_e32 v180, v176, v229
	v_add_f32_e32 v1, v1, v2
	v_mul_f32_e32 v2, v174, v228
	v_add_f32_e32 v251, v179, v180
	ds_read2_b64 v[179:182], v117 offset0:123 offset1:124
	ds_read2_b64 v[73:76], v117 offset0:125 offset1:126
	v_fma_f32 v2, v173, v231, -v2
	v_add_f32_e32 v1, v1, v2
	v_mul_f32_e32 v2, v176, v230
	v_fma_f32 v2, v175, v229, -v2
	v_add_f32_e32 v1, v1, v2
	s_waitcnt vmcnt(10)
	v_mul_f32_e32 v2, v178, v233
	v_mul_f32_e32 v252, v177, v233
	v_fma_f32 v2, v177, v232, -v2
	v_fmac_f32_e32 v252, v178, v232
	s_waitcnt vmcnt(8) lgkmcnt(1)
	v_mul_f32_e32 v20, v179, v235
	v_add_f32_e32 v1, v1, v2
	v_mul_f32_e32 v2, v180, v235
	v_add_f32_e32 v251, v251, v252
	v_fmac_f32_e32 v20, v180, v234
	s_waitcnt vmcnt(7)
	v_mul_f32_e32 v21, v181, v236
	v_fma_f32 v2, v179, v234, -v2
	v_add_f32_e32 v20, v251, v20
	s_waitcnt vmcnt(4)
	v_fmac_f32_e32 v21, v182, v239
	v_add_f32_e32 v1, v1, v2
	v_mul_f32_e32 v2, v182, v236
	v_add_f32_e32 v251, v20, v21
	ds_read_b64 v[20:21], v117 offset:1016
	v_fma_f32 v2, v181, v239, -v2
	v_add_f32_e32 v1, v1, v2
	s_waitcnt lgkmcnt(1)
	v_mul_f32_e32 v2, v74, v238
	v_mul_f32_e32 v252, v73, v238
	v_fma_f32 v2, v73, v237, -v2
	v_fmac_f32_e32 v252, v74, v237
	v_add_f32_e32 v1, v1, v2
	s_waitcnt vmcnt(3)
	v_mul_f32_e32 v2, v76, v240
	v_add_f32_e32 v251, v251, v252
	v_mul_f32_e32 v252, v75, v240
	s_waitcnt vmcnt(0)
	v_fma_f32 v2, v75, v250, -v2
	v_fmac_f32_e32 v252, v76, v250
	v_add_f32_e32 v1, v1, v2
	s_waitcnt lgkmcnt(0)
	v_mul_f32_e32 v2, v21, v242
	v_add_f32_e32 v251, v251, v252
	v_mul_f32_e32 v252, v20, v242
	v_fma_f32 v2, v20, v241, -v2
	v_fmac_f32_e32 v252, v21, v241
	v_add_f32_e32 v1, v1, v2
	v_add_f32_e32 v251, v251, v252
	v_sub_f32_e32 v1, v13, v1
	v_sub_f32_e32 v2, v14, v251
	buffer_store_dword v1, off, s[0:3], 0 offset:16
	buffer_store_dword v2, off, s[0:3], 0 offset:20
	s_and_saveexec_b64 s[4:5], vcc
	s_cbranch_execz .LBB127_395
; %bb.394:
	buffer_load_dword v1, off, s[0:3], 0 offset:8
	buffer_load_dword v2, off, s[0:3], 0 offset:12
	s_waitcnt vmcnt(0)
	ds_write_b64 v249, v[1:2]
	buffer_store_dword v117, off, s[0:3], 0 offset:8
	buffer_store_dword v117, off, s[0:3], 0 offset:12
.LBB127_395:
	s_or_b64 exec, exec, s[4:5]
	s_waitcnt lgkmcnt(0)
	; wave barrier
	buffer_load_dword v118, off, s[0:3], 0 offset:20
	buffer_load_dword v119, off, s[0:3], 0 offset:28
	;; [unrolled: 1-line block ×26, first 2 shown]
	ds_read_b128 v[113:116], v117 offset:528
	ds_read_b128 v[1:4], v117 offset:544
	buffer_load_dword v140, off, s[0:3], 0 offset:120
	buffer_load_dword v141, off, s[0:3], 0 offset:124
	;; [unrolled: 1-line block ×4, first 2 shown]
	ds_read_b128 v[17:20], v117 offset:560
	ds_read_b128 v[13:16], v117 offset:576
	;; [unrolled: 1-line block ×4, first 2 shown]
	buffer_load_dword v144, off, s[0:3], 0 offset:136
	buffer_load_dword v145, off, s[0:3], 0 offset:140
	;; [unrolled: 1-line block ×28, first 2 shown]
	v_cmp_ne_u32_e32 vcc, 0, v0
	s_waitcnt vmcnt(57) lgkmcnt(5)
	v_mul_f32_e32 v21, v113, v118
	s_waitcnt vmcnt(56)
	v_mul_f32_e32 v22, v115, v119
	s_waitcnt vmcnt(55) lgkmcnt(4)
	v_mul_f32_e32 v23, v1, v254
	s_waitcnt vmcnt(54)
	v_mul_f32_e32 v24, v3, v253
	;; [unrolled: 4-line block ×5, first 2 shown]
	s_waitcnt vmcnt(47)
	v_fmac_f32_e32 v21, v114, v120
	s_waitcnt vmcnt(46)
	v_fmac_f32_e32 v22, v116, v237
	v_add_f32_e32 v21, 0, v21
	s_waitcnt vmcnt(45)
	v_fmac_f32_e32 v23, v2, v134
	v_add_f32_e32 v21, v21, v22
	;; [unrolled: 3-line block ×9, first 2 shown]
	s_waitcnt vmcnt(37) lgkmcnt(0)
	v_mul_f32_e32 v22, v5, v126
	ds_read_b128 v[25:28], v117 offset:624
	v_add_f32_e32 v21, v21, v30
	s_waitcnt vmcnt(36)
	v_fmac_f32_e32 v22, v6, v135
	v_add_f32_e32 v21, v21, v22
	s_waitcnt vmcnt(35)
	v_mul_f32_e32 v22, v7, v139
	s_waitcnt vmcnt(34)
	v_fmac_f32_e32 v22, v8, v138
	v_add_f32_e32 v29, v21, v22
	ds_read_b128 v[21:24], v117 offset:640
	s_waitcnt vmcnt(33) lgkmcnt(1)
	v_mul_f32_e32 v30, v25, v137
	s_waitcnt vmcnt(32)
	v_fmac_f32_e32 v30, v26, v136
	buffer_load_dword v171, off, s[0:3], 0 offset:248
	buffer_load_dword v172, off, s[0:3], 0 offset:252
	v_add_f32_e32 v29, v29, v30
	s_waitcnt vmcnt(32)
	v_mul_f32_e32 v30, v27, v141
	v_fmac_f32_e32 v30, v28, v140
	buffer_load_dword v173, off, s[0:3], 0 offset:256
	buffer_load_dword v174, off, s[0:3], 0 offset:260
	v_add_f32_e32 v29, v29, v30
	s_waitcnt vmcnt(32) lgkmcnt(0)
	v_mul_f32_e32 v30, v21, v143
	v_fmac_f32_e32 v30, v22, v142
	v_add_f32_e32 v33, v29, v30
	ds_read_b128 v[29:32], v117 offset:656
	buffer_load_dword v175, off, s[0:3], 0 offset:264
	buffer_load_dword v176, off, s[0:3], 0 offset:268
	s_waitcnt vmcnt(32)
	v_mul_f32_e32 v34, v23, v145
	v_fmac_f32_e32 v34, v24, v144
	v_add_f32_e32 v37, v33, v34
	ds_read_b128 v[33:36], v117 offset:672
	s_waitcnt vmcnt(30) lgkmcnt(1)
	v_mul_f32_e32 v38, v29, v147
	v_fmac_f32_e32 v38, v30, v146
	v_add_f32_e32 v37, v37, v38
	s_waitcnt vmcnt(28)
	v_mul_f32_e32 v38, v31, v149
	v_fmac_f32_e32 v38, v32, v148
	v_add_f32_e32 v37, v37, v38
	s_waitcnt vmcnt(26) lgkmcnt(0)
	v_mul_f32_e32 v38, v33, v151
	v_fmac_f32_e32 v38, v34, v150
	buffer_load_dword v177, off, s[0:3], 0 offset:272
	buffer_load_dword v178, off, s[0:3], 0 offset:276
	v_add_f32_e32 v41, v37, v38
	ds_read_b128 v[37:40], v117 offset:688
	buffer_load_dword v179, off, s[0:3], 0 offset:280
	buffer_load_dword v180, off, s[0:3], 0 offset:284
	s_waitcnt vmcnt(28)
	v_mul_f32_e32 v42, v35, v153
	v_fmac_f32_e32 v42, v36, v152
	v_add_f32_e32 v45, v41, v42
	ds_read_b128 v[41:44], v117 offset:704
	buffer_load_dword v181, off, s[0:3], 0 offset:288
	buffer_load_dword v182, off, s[0:3], 0 offset:292
	s_waitcnt vmcnt(28) lgkmcnt(1)
	v_mul_f32_e32 v46, v37, v155
	v_fmac_f32_e32 v46, v38, v154
	buffer_load_dword v183, off, s[0:3], 0 offset:296
	buffer_load_dword v184, off, s[0:3], 0 offset:300
	v_add_f32_e32 v45, v45, v46
	s_waitcnt vmcnt(28)
	v_mul_f32_e32 v46, v39, v157
	v_fmac_f32_e32 v46, v40, v156
	v_add_f32_e32 v45, v45, v46
	s_waitcnt vmcnt(26) lgkmcnt(0)
	v_mul_f32_e32 v46, v41, v159
	ds_read_b128 v[49:52], v117 offset:720
	v_fmac_f32_e32 v46, v42, v158
	v_add_f32_e32 v45, v45, v46
	s_waitcnt vmcnt(24)
	v_mul_f32_e32 v46, v43, v161
	v_fmac_f32_e32 v46, v44, v160
	v_add_f32_e32 v53, v45, v46
	ds_read_b128 v[45:48], v117 offset:736
	s_waitcnt vmcnt(22) lgkmcnt(1)
	v_mul_f32_e32 v54, v49, v255
	v_fmac_f32_e32 v54, v50, v162
	buffer_load_dword v185, off, s[0:3], 0 offset:304
	buffer_load_dword v186, off, s[0:3], 0 offset:308
	v_add_f32_e32 v53, v53, v54
	s_waitcnt vmcnt(22)
	v_mul_f32_e32 v54, v51, v164
	v_fmac_f32_e32 v54, v52, v163
	v_add_f32_e32 v53, v53, v54
	s_waitcnt vmcnt(20) lgkmcnt(0)
	v_mul_f32_e32 v54, v45, v166
	buffer_load_dword v187, off, s[0:3], 0 offset:312
	buffer_load_dword v188, off, s[0:3], 0 offset:316
	v_fmac_f32_e32 v54, v46, v165
	v_add_f32_e32 v53, v53, v54
	s_waitcnt vmcnt(20)
	v_mul_f32_e32 v54, v47, v168
	ds_read_b128 v[57:60], v117 offset:752
	buffer_load_dword v189, off, s[0:3], 0 offset:320
	buffer_load_dword v190, off, s[0:3], 0 offset:324
	v_fmac_f32_e32 v54, v48, v167
	v_add_f32_e32 v61, v53, v54
	ds_read_b128 v[53:56], v117 offset:768
	buffer_load_dword v191, off, s[0:3], 0 offset:328
	buffer_load_dword v194, off, s[0:3], 0 offset:332
	;; [unrolled: 1-line block ×10, first 2 shown]
	s_waitcnt vmcnt(30) lgkmcnt(1)
	v_mul_f32_e32 v62, v57, v170
	v_fmac_f32_e32 v62, v58, v169
	v_add_f32_e32 v61, v61, v62
	buffer_load_dword v200, off, s[0:3], 0 offset:368
	buffer_load_dword v204, off, s[0:3], 0 offset:372
	ds_read_b128 v[65:68], v117 offset:784
	buffer_load_dword v206, off, s[0:3], 0 offset:380
	buffer_load_dword v205, off, s[0:3], 0 offset:376
	buffer_load_dword v201, off, s[0:3], 0 offset:384
	buffer_load_dword v207, off, s[0:3], 0 offset:388
	v_mul_f32_e32 v114, v114, v118
	v_mul_f32_e32 v2, v2, v254
	v_fma_f32 v1, v1, v134, -v2
	v_mul_f32_e32 v2, v4, v253
	v_fma_f32 v2, v3, v133, -v2
	s_waitcnt vmcnt(34)
	v_mul_f32_e32 v62, v59, v172
	v_fmac_f32_e32 v62, v60, v171
	v_add_f32_e32 v61, v61, v62
	s_waitcnt vmcnt(32) lgkmcnt(1)
	v_mul_f32_e32 v62, v53, v174
	v_fmac_f32_e32 v62, v54, v173
	v_add_f32_e32 v61, v61, v62
	s_waitcnt vmcnt(30)
	v_mul_f32_e32 v62, v55, v176
	v_fmac_f32_e32 v62, v56, v175
	v_add_f32_e32 v69, v61, v62
	ds_read_b128 v[61:64], v117 offset:800
	buffer_load_dword v203, off, s[0:3], 0 offset:392
	buffer_load_dword v210, off, s[0:3], 0 offset:396
	buffer_load_dword v208, off, s[0:3], 0 offset:400
	buffer_load_dword v212, off, s[0:3], 0 offset:404
	buffer_load_dword v214, off, s[0:3], 0 offset:412
	buffer_load_dword v213, off, s[0:3], 0 offset:408
	buffer_load_dword v209, off, s[0:3], 0 offset:416
	buffer_load_dword v215, off, s[0:3], 0 offset:420
	buffer_load_dword v211, off, s[0:3], 0 offset:424
	buffer_load_dword v218, off, s[0:3], 0 offset:428
	buffer_load_dword v216, off, s[0:3], 0 offset:432
	buffer_load_dword v220, off, s[0:3], 0 offset:436
	buffer_load_dword v222, off, s[0:3], 0 offset:444
	buffer_load_dword v221, off, s[0:3], 0 offset:440
	buffer_load_dword v217, off, s[0:3], 0 offset:448
	buffer_load_dword v223, off, s[0:3], 0 offset:452
	ds_read_b128 v[73:76], v117 offset:816
	buffer_load_dword v219, off, s[0:3], 0 offset:456
	buffer_load_dword v226, off, s[0:3], 0 offset:460
	s_waitcnt vmcnt(46) lgkmcnt(2)
	v_mul_f32_e32 v70, v65, v178
	v_fmac_f32_e32 v70, v66, v177
	v_add_f32_e32 v69, v69, v70
	s_waitcnt vmcnt(44)
	v_mul_f32_e32 v70, v67, v180
	v_fmac_f32_e32 v70, v68, v179
	v_add_f32_e32 v69, v69, v70
	s_waitcnt vmcnt(42) lgkmcnt(1)
	v_mul_f32_e32 v70, v61, v182
	v_fmac_f32_e32 v70, v62, v181
	v_add_f32_e32 v69, v69, v70
	s_waitcnt vmcnt(40)
	v_mul_f32_e32 v70, v63, v184
	v_fmac_f32_e32 v70, v64, v183
	v_add_f32_e32 v77, v69, v70
	ds_read_b128 v[69:72], v117 offset:832
	buffer_load_dword v224, off, s[0:3], 0 offset:464
	buffer_load_dword v229, off, s[0:3], 0 offset:468
	buffer_load_dword v231, off, s[0:3], 0 offset:476
	buffer_load_dword v230, off, s[0:3], 0 offset:472
	buffer_load_dword v225, off, s[0:3], 0 offset:480
	buffer_load_dword v232, off, s[0:3], 0 offset:484
	buffer_load_dword v227, off, s[0:3], 0 offset:488
	buffer_load_dword v233, off, s[0:3], 0 offset:492
	buffer_load_dword v235, off, s[0:3], 0 offset:500
	buffer_load_dword v234, off, s[0:3], 0 offset:496
	buffer_load_dword v228, off, s[0:3], 0 offset:504
	buffer_load_dword v236, off, s[0:3], 0 offset:508
	ds_read_b128 v[81:84], v117 offset:848
	ds_read_b128 v[89:92], v117 offset:880
	;; [unrolled: 1-line block ×4, first 2 shown]
	s_waitcnt vmcnt(50) lgkmcnt(5)
	v_mul_f32_e32 v78, v73, v186
	v_fmac_f32_e32 v78, v74, v185
	v_add_f32_e32 v77, v77, v78
	s_waitcnt vmcnt(48)
	v_mul_f32_e32 v78, v75, v188
	v_fmac_f32_e32 v78, v76, v187
	v_add_f32_e32 v77, v77, v78
	s_waitcnt vmcnt(46) lgkmcnt(4)
	v_mul_f32_e32 v78, v69, v190
	v_fmac_f32_e32 v78, v70, v189
	v_add_f32_e32 v77, v77, v78
	s_waitcnt vmcnt(44)
	v_mul_f32_e32 v78, v71, v194
	v_fmac_f32_e32 v78, v72, v191
	v_add_f32_e32 v85, v77, v78
	ds_read_b128 v[77:80], v117 offset:864
	s_waitcnt vmcnt(42) lgkmcnt(4)
	v_mul_f32_e32 v86, v81, v196
	v_fmac_f32_e32 v86, v82, v192
	v_add_f32_e32 v85, v85, v86
	s_waitcnt vmcnt(41)
	v_mul_f32_e32 v86, v83, v198
	s_waitcnt vmcnt(40)
	v_fmac_f32_e32 v86, v84, v197
	v_add_f32_e32 v85, v85, v86
	s_waitcnt vmcnt(38) lgkmcnt(0)
	v_mul_f32_e32 v86, v77, v199
	v_fmac_f32_e32 v86, v78, v193
	v_add_f32_e32 v85, v85, v86
	s_waitcnt vmcnt(36)
	v_mul_f32_e32 v86, v79, v202
	v_fmac_f32_e32 v86, v80, v195
	v_add_f32_e32 v93, v85, v86
	ds_read_b128 v[85:88], v117 offset:896
	s_waitcnt vmcnt(34)
	v_mul_f32_e32 v94, v89, v204
	v_fmac_f32_e32 v94, v90, v200
	v_add_f32_e32 v93, v93, v94
	s_waitcnt vmcnt(33)
	v_mul_f32_e32 v94, v91, v206
	s_waitcnt vmcnt(32)
	v_fmac_f32_e32 v94, v92, v205
	v_add_f32_e32 v93, v93, v94
	s_waitcnt vmcnt(30) lgkmcnt(0)
	v_mul_f32_e32 v94, v85, v207
	v_fmac_f32_e32 v94, v86, v201
	v_add_f32_e32 v93, v93, v94
	s_waitcnt vmcnt(28)
	v_mul_f32_e32 v94, v87, v210
	v_fmac_f32_e32 v94, v88, v203
	v_add_f32_e32 v101, v93, v94
	ds_read_b128 v[93:96], v117 offset:928
	s_waitcnt vmcnt(26)
	;; [unrolled: 18-line block ×3, first 2 shown]
	v_mul_f32_e32 v110, v105, v220
	v_fmac_f32_e32 v110, v106, v216
	v_add_f32_e32 v109, v109, v110
	s_waitcnt vmcnt(17)
	v_mul_f32_e32 v110, v107, v222
	s_waitcnt vmcnt(16)
	v_fmac_f32_e32 v110, v108, v221
	v_add_f32_e32 v109, v109, v110
	s_waitcnt vmcnt(14) lgkmcnt(0)
	v_mul_f32_e32 v110, v101, v223
	v_fmac_f32_e32 v110, v102, v217
	s_waitcnt vmcnt(12)
	v_mul_f32_e32 v239, v103, v226
	v_add_f32_e32 v238, v109, v110
	v_fmac_f32_e32 v239, v104, v219
	v_add_f32_e32 v238, v238, v239
	v_fma_f32 v239, v113, v120, -v114
	v_mul_f32_e32 v113, v116, v119
	v_fma_f32 v240, v115, v237, -v113
	v_add_f32_e32 v239, 0, v239
	v_add_f32_e32 v239, v239, v240
	;; [unrolled: 1-line block ×4, first 2 shown]
	v_mul_f32_e32 v2, v18, v252
	v_fma_f32 v2, v17, v131, -v2
	v_add_f32_e32 v1, v1, v2
	v_mul_f32_e32 v2, v20, v251
	v_fma_f32 v2, v19, v129, -v2
	v_add_f32_e32 v1, v1, v2
	;; [unrolled: 3-line block ×9, first 2 shown]
	v_mul_f32_e32 v2, v28, v141
	v_fma_f32 v2, v27, v140, -v2
	ds_read_b128 v[109:112], v117 offset:976
	ds_read_b128 v[113:116], v117 offset:992
	v_add_f32_e32 v1, v1, v2
	v_mul_f32_e32 v2, v22, v143
	v_fma_f32 v2, v21, v142, -v2
	v_add_f32_e32 v1, v1, v2
	v_mul_f32_e32 v2, v24, v145
	v_fma_f32 v2, v23, v144, -v2
	v_add_f32_e32 v1, v1, v2
	v_mul_f32_e32 v2, v30, v147
	s_waitcnt vmcnt(10) lgkmcnt(1)
	v_mul_f32_e32 v118, v109, v229
	v_fma_f32 v2, v29, v146, -v2
	v_fmac_f32_e32 v118, v110, v224
	s_waitcnt vmcnt(9)
	v_mul_f32_e32 v119, v111, v231
	v_add_f32_e32 v1, v1, v2
	v_mul_f32_e32 v2, v32, v149
	v_add_f32_e32 v118, v238, v118
	s_waitcnt vmcnt(8)
	v_fmac_f32_e32 v119, v112, v230
	v_fma_f32 v2, v31, v148, -v2
	v_add_f32_e32 v237, v118, v119
	ds_read_b128 v[117:120], v117 offset:1008
	v_add_f32_e32 v1, v1, v2
	v_mul_f32_e32 v2, v34, v151
	s_waitcnt vmcnt(6) lgkmcnt(1)
	v_mul_f32_e32 v238, v113, v232
	v_fma_f32 v2, v33, v150, -v2
	v_fmac_f32_e32 v238, v114, v225
	v_add_f32_e32 v1, v1, v2
	v_mul_f32_e32 v2, v36, v153
	v_add_f32_e32 v237, v237, v238
	s_waitcnt vmcnt(4)
	v_mul_f32_e32 v238, v115, v233
	v_fma_f32 v2, v35, v152, -v2
	v_fmac_f32_e32 v238, v116, v227
	v_add_f32_e32 v1, v1, v2
	v_mul_f32_e32 v2, v38, v155
	v_add_f32_e32 v237, v237, v238
	s_waitcnt vmcnt(3) lgkmcnt(0)
	v_mul_f32_e32 v238, v117, v235
	v_fma_f32 v2, v37, v154, -v2
	s_waitcnt vmcnt(2)
	v_fmac_f32_e32 v238, v118, v234
	v_add_f32_e32 v1, v1, v2
	v_mul_f32_e32 v2, v40, v157
	v_add_f32_e32 v237, v237, v238
	s_waitcnt vmcnt(0)
	v_mul_f32_e32 v238, v119, v236
	v_fma_f32 v2, v39, v156, -v2
	v_fmac_f32_e32 v238, v120, v228
	v_add_f32_e32 v1, v1, v2
	v_mul_f32_e32 v2, v42, v159
	v_add_f32_e32 v237, v237, v238
	buffer_load_dword v238, off, s[0:3], 0 offset:8
	buffer_load_dword v240, off, s[0:3], 0 offset:12
	v_fma_f32 v2, v41, v158, -v2
	v_add_f32_e32 v1, v1, v2
	v_mul_f32_e32 v2, v44, v161
	v_fma_f32 v2, v43, v160, -v2
	v_add_f32_e32 v1, v1, v2
	v_mul_f32_e32 v2, v50, v255
	;; [unrolled: 3-line block ×39, first 2 shown]
	v_fma_f32 v2, v119, v228, -v2
	v_add_f32_e32 v1, v1, v2
	s_waitcnt vmcnt(1)
	v_sub_f32_e32 v1, v238, v1
	s_waitcnt vmcnt(0)
	v_sub_f32_e32 v2, v240, v237
	buffer_store_dword v1, off, s[0:3], 0 offset:8
	buffer_store_dword v2, off, s[0:3], 0 offset:12
	s_and_saveexec_b64 s[4:5], vcc
	s_cbranch_execz .LBB127_397
; %bb.396:
	buffer_load_dword v0, off, s[0:3], 0
	buffer_load_dword v1, off, s[0:3], 0 offset:4
	v_mov_b32_e32 v2, 0
	buffer_store_dword v2, off, s[0:3], 0
	buffer_store_dword v2, off, s[0:3], 0 offset:4
	s_waitcnt vmcnt(2)
	ds_write_b64 v249, v[0:1]
.LBB127_397:
	s_or_b64 exec, exec, s[4:5]
	s_waitcnt lgkmcnt(0)
	; wave barrier
	buffer_load_dword v238, off, s[0:3], 0 offset:12
	buffer_load_dword v254, off, s[0:3], 0 offset:20
	;; [unrolled: 1-line block ×26, first 2 shown]
	buffer_load_dword v117, off, s[0:3], 0
	buffer_load_dword v136, off, s[0:3], 0 offset:112
	buffer_load_dword v137, off, s[0:3], 0 offset:116
	;; [unrolled: 1-line block ×26, first 2 shown]
	v_mov_b32_e32 v116, 0
	ds_read2_b64 v[20:23], v116 offset0:65 offset1:66
	ds_read2_b64 v[16:19], v116 offset0:67 offset1:68
	ds_read2_b64 v[12:15], v116 offset0:69 offset1:70
	ds_read2_b64 v[8:11], v116 offset0:71 offset1:72
	ds_read2_b64 v[4:7], v116 offset0:73 offset1:74
	ds_read2_b64 v[0:3], v116 offset0:75 offset1:76
	buffer_load_dword v163, off, s[0:3], 0 offset:216
	buffer_load_dword v164, off, s[0:3], 0 offset:220
	;; [unrolled: 1-line block ×4, first 2 shown]
	s_and_b64 vcc, exec, s[14:15]
	s_waitcnt vmcnt(56) lgkmcnt(5)
	v_mul_f32_e32 v24, v20, v238
	s_waitcnt vmcnt(55)
	v_mul_f32_e32 v25, v22, v254
	s_waitcnt vmcnt(54) lgkmcnt(4)
	v_mul_f32_e32 v26, v16, v250
	s_waitcnt vmcnt(53)
	v_mul_f32_e32 v27, v18, v249
	;; [unrolled: 4-line block ×5, first 2 shown]
	s_waitcnt vmcnt(46)
	v_fmac_f32_e32 v24, v21, v239
	s_waitcnt vmcnt(45)
	v_fmac_f32_e32 v25, v23, v143
	v_add_f32_e32 v24, 0, v24
	s_waitcnt vmcnt(44)
	v_fmac_f32_e32 v26, v17, v135
	v_add_f32_e32 v24, v24, v25
	;; [unrolled: 3-line block ×9, first 2 shown]
	s_waitcnt vmcnt(36) lgkmcnt(0)
	v_mul_f32_e32 v25, v0, v255
	ds_read2_b64 v[28:31], v116 offset0:77 offset1:78
	buffer_load_dword v166, off, s[0:3], 0 offset:232
	buffer_load_dword v168, off, s[0:3], 0 offset:236
	v_add_f32_e32 v24, v24, v33
	s_waitcnt vmcnt(37)
	v_fmac_f32_e32 v25, v1, v129
	v_add_f32_e32 v24, v24, v25
	s_waitcnt vmcnt(36)
	v_mul_f32_e32 v25, v2, v133
	s_waitcnt vmcnt(35)
	v_fmac_f32_e32 v25, v3, v132
	v_add_f32_e32 v32, v24, v25
	ds_read2_b64 v[24:27], v116 offset0:79 offset1:80
	buffer_load_dword v171, off, s[0:3], 0 offset:244
	buffer_load_dword v170, off, s[0:3], 0 offset:240
	;; [unrolled: 1-line block ×6, first 2 shown]
	s_waitcnt vmcnt(40) lgkmcnt(1)
	v_mul_f32_e32 v33, v28, v131
	s_waitcnt vmcnt(39)
	v_fmac_f32_e32 v33, v29, v130
	v_add_f32_e32 v32, v32, v33
	s_waitcnt vmcnt(36)
	v_mul_f32_e32 v33, v30, v137
	v_fmac_f32_e32 v33, v31, v136
	v_add_f32_e32 v32, v32, v33
	s_waitcnt vmcnt(34) lgkmcnt(0)
	v_mul_f32_e32 v33, v24, v139
	ds_read2_b64 v[36:39], v116 offset0:81 offset1:82
	v_fmac_f32_e32 v33, v25, v138
	v_add_f32_e32 v32, v32, v33
	s_waitcnt vmcnt(32)
	v_mul_f32_e32 v33, v26, v141
	v_fmac_f32_e32 v33, v27, v140
	v_add_f32_e32 v40, v32, v33
	ds_read2_b64 v[32:35], v116 offset0:83 offset1:84
	s_waitcnt vmcnt(30) lgkmcnt(1)
	v_mul_f32_e32 v41, v36, v144
	v_fmac_f32_e32 v41, v37, v142
	buffer_load_dword v175, off, s[0:3], 0 offset:264
	buffer_load_dword v176, off, s[0:3], 0 offset:268
	v_add_f32_e32 v40, v40, v41
	s_waitcnt vmcnt(30)
	v_mul_f32_e32 v41, v38, v146
	v_fmac_f32_e32 v41, v39, v145
	v_add_f32_e32 v40, v40, v41
	s_waitcnt vmcnt(28) lgkmcnt(0)
	v_mul_f32_e32 v41, v32, v148
	buffer_load_dword v177, off, s[0:3], 0 offset:272
	buffer_load_dword v178, off, s[0:3], 0 offset:276
	v_fmac_f32_e32 v41, v33, v147
	v_add_f32_e32 v40, v40, v41
	s_waitcnt vmcnt(28)
	v_mul_f32_e32 v41, v34, v150
	ds_read2_b64 v[44:47], v116 offset0:85 offset1:86
	buffer_load_dword v179, off, s[0:3], 0 offset:280
	buffer_load_dword v180, off, s[0:3], 0 offset:284
	v_fmac_f32_e32 v41, v35, v149
	v_add_f32_e32 v48, v40, v41
	ds_read2_b64 v[40:43], v116 offset0:87 offset1:88
	buffer_load_dword v181, off, s[0:3], 0 offset:288
	buffer_load_dword v182, off, s[0:3], 0 offset:292
	s_waitcnt vmcnt(30) lgkmcnt(1)
	v_mul_f32_e32 v49, v44, v152
	v_fmac_f32_e32 v49, v45, v151
	v_add_f32_e32 v48, v48, v49
	s_waitcnt vmcnt(28)
	v_mul_f32_e32 v49, v46, v154
	v_fmac_f32_e32 v49, v47, v153
	v_add_f32_e32 v48, v48, v49
	s_waitcnt vmcnt(26) lgkmcnt(0)
	v_mul_f32_e32 v49, v40, v156
	ds_read2_b64 v[52:55], v116 offset0:89 offset1:90
	v_fmac_f32_e32 v49, v41, v155
	v_add_f32_e32 v48, v48, v49
	s_waitcnt vmcnt(24)
	v_mul_f32_e32 v49, v42, v158
	v_fmac_f32_e32 v49, v43, v157
	v_add_f32_e32 v56, v48, v49
	buffer_load_dword v183, off, s[0:3], 0 offset:296
	buffer_load_dword v184, off, s[0:3], 0 offset:300
	ds_read2_b64 v[48:51], v116 offset0:91 offset1:92
	s_waitcnt vmcnt(24) lgkmcnt(1)
	v_mul_f32_e32 v57, v52, v160
	v_fmac_f32_e32 v57, v53, v159
	v_add_f32_e32 v56, v56, v57
	s_waitcnt vmcnt(23)
	v_mul_f32_e32 v57, v54, v162
	buffer_load_dword v185, off, s[0:3], 0 offset:304
	buffer_load_dword v186, off, s[0:3], 0 offset:308
	s_waitcnt vmcnt(24)
	v_fmac_f32_e32 v57, v55, v161
	v_add_f32_e32 v56, v56, v57
	s_waitcnt vmcnt(22) lgkmcnt(0)
	v_mul_f32_e32 v57, v48, v164
	buffer_load_dword v187, off, s[0:3], 0 offset:312
	buffer_load_dword v189, off, s[0:3], 0 offset:316
	v_fmac_f32_e32 v57, v49, v163
	v_add_f32_e32 v60, v56, v57
	ds_read2_b64 v[56:59], v116 offset0:93 offset1:94
	buffer_load_dword v188, off, s[0:3], 0 offset:320
	buffer_load_dword v190, off, s[0:3], 0 offset:324
	s_waitcnt vmcnt(24)
	v_mul_f32_e32 v61, v50, v167
	v_fmac_f32_e32 v61, v51, v165
	v_add_f32_e32 v64, v60, v61
	ds_read2_b64 v[60:63], v116 offset0:95 offset1:96
	buffer_load_dword v191, off, s[0:3], 0 offset:328
	buffer_load_dword v192, off, s[0:3], 0 offset:332
	;; [unrolled: 1-line block ×8, first 2 shown]
	ds_read2_b64 v[68:71], v116 offset0:97 offset1:98
	buffer_load_dword v198, off, s[0:3], 0 offset:360
	buffer_load_dword v202, off, s[0:3], 0 offset:364
	v_mul_f32_e32 v21, v21, v238
	s_waitcnt vmcnt(32) lgkmcnt(2)
	v_mul_f32_e32 v65, v56, v168
	v_fmac_f32_e32 v65, v57, v166
	v_add_f32_e32 v64, v64, v65
	v_fma_f32 v20, v20, v239, -v21
	v_mul_f32_e32 v21, v23, v254
	s_waitcnt vmcnt(31)
	v_mul_f32_e32 v65, v58, v171
	s_waitcnt vmcnt(30)
	v_fmac_f32_e32 v65, v59, v170
	v_add_f32_e32 v64, v64, v65
	s_waitcnt vmcnt(28) lgkmcnt(1)
	v_mul_f32_e32 v65, v60, v172
	v_fmac_f32_e32 v65, v61, v169
	v_add_f32_e32 v64, v64, v65
	s_waitcnt vmcnt(26)
	v_mul_f32_e32 v65, v62, v174
	v_fmac_f32_e32 v65, v63, v173
	v_add_f32_e32 v72, v64, v65
	ds_read2_b64 v[64:67], v116 offset0:99 offset1:100
	buffer_load_dword v204, off, s[0:3], 0 offset:372
	buffer_load_dword v203, off, s[0:3], 0 offset:368
	;; [unrolled: 1-line block ×8, first 2 shown]
	v_fma_f32 v23, v22, v143, -v21
	v_mul_f32_e32 v17, v17, v250
	v_add_f32_e32 v20, 0, v20
	buffer_load_dword v212, off, s[0:3], 0 offset:404
	buffer_load_dword v211, off, s[0:3], 0 offset:400
	;; [unrolled: 1-line block ×4, first 2 shown]
	v_fma_f32 v135, v16, v135, -v17
	v_mul_f32_e32 v16, v19, v249
	v_add_f32_e32 v20, v20, v23
	v_fma_f32 v134, v18, v134, -v16
	v_add_f32_e32 v20, v20, v135
	v_mul_f32_e32 v13, v13, v120
	buffer_load_dword v209, off, s[0:3], 0 offset:416
	buffer_load_dword v216, off, s[0:3], 0 offset:420
	v_add_f32_e32 v20, v20, v134
	v_fma_f32 v12, v12, v127, -v13
	v_mul_f32_e32 v13, v15, v119
	v_add_f32_e32 v12, v20, v12
	v_fma_f32 v13, v14, v125, -v13
	v_mul_f32_e32 v9, v9, v118
	s_waitcnt vmcnt(38) lgkmcnt(1)
	v_mul_f32_e32 v73, v68, v176
	v_add_f32_e32 v12, v12, v13
	v_fma_f32 v8, v8, v128, -v9
	v_mul_f32_e32 v9, v11, v251
	v_fmac_f32_e32 v73, v69, v175
	buffer_load_dword v214, off, s[0:3], 0 offset:424
	buffer_load_dword v217, off, s[0:3], 0 offset:428
	v_add_f32_e32 v8, v12, v8
	v_fma_f32 v9, v10, v126, -v9
	v_mul_f32_e32 v5, v5, v252
	v_add_f32_e32 v72, v72, v73
	s_waitcnt vmcnt(38)
	v_mul_f32_e32 v73, v70, v178
	v_add_f32_e32 v8, v8, v9
	v_fma_f32 v4, v4, v124, -v5
	v_mul_f32_e32 v5, v7, v253
	v_fmac_f32_e32 v73, v71, v177
	v_add_f32_e32 v4, v8, v4
	v_fma_f32 v5, v6, v123, -v5
	v_mul_f32_e32 v1, v1, v255
	v_add_f32_e32 v72, v72, v73
	s_waitcnt vmcnt(36) lgkmcnt(0)
	v_mul_f32_e32 v73, v64, v180
	v_add_f32_e32 v4, v4, v5
	v_fma_f32 v0, v0, v129, -v1
	v_mul_f32_e32 v1, v3, v133
	v_fmac_f32_e32 v73, v65, v179
	ds_read2_b64 v[76:79], v116 offset0:101 offset1:102
	buffer_load_dword v219, off, s[0:3], 0 offset:436
	buffer_load_dword v218, off, s[0:3], 0 offset:432
	;; [unrolled: 1-line block ×4, first 2 shown]
	v_add_f32_e32 v0, v4, v0
	v_fma_f32 v1, v2, v132, -v1
	v_add_f32_e32 v72, v72, v73
	s_waitcnt vmcnt(38)
	v_mul_f32_e32 v73, v66, v182
	v_add_f32_e32 v0, v0, v1
	v_mul_f32_e32 v1, v29, v131
	v_fmac_f32_e32 v73, v67, v181
	v_fma_f32 v1, v28, v130, -v1
	v_add_f32_e32 v80, v72, v73
	ds_read2_b64 v[72:75], v116 offset0:103 offset1:104
	buffer_load_dword v222, off, s[0:3], 0 offset:452
	buffer_load_dword v221, off, s[0:3], 0 offset:448
	v_add_f32_e32 v0, v0, v1
	v_mul_f32_e32 v1, v31, v137
	v_fma_f32 v1, v30, v136, -v1
	v_add_f32_e32 v0, v0, v1
	v_mul_f32_e32 v1, v25, v139
	v_fma_f32 v1, v24, v138, -v1
	;; [unrolled: 3-line block ×3, first 2 shown]
	buffer_load_dword v223, off, s[0:3], 0 offset:456
	buffer_load_dword v225, off, s[0:3], 0 offset:460
	v_add_f32_e32 v0, v0, v1
	v_mul_f32_e32 v1, v37, v144
	v_fma_f32 v1, v36, v142, -v1
	v_add_f32_e32 v0, v0, v1
	v_mul_f32_e32 v1, v39, v146
	buffer_load_dword v227, off, s[0:3], 0 offset:468
	buffer_load_dword v226, off, s[0:3], 0 offset:464
	;; [unrolled: 1-line block ×4, first 2 shown]
	v_fma_f32 v1, v38, v145, -v1
	s_waitcnt vmcnt(44) lgkmcnt(1)
	v_mul_f32_e32 v81, v76, v184
	v_add_f32_e32 v0, v0, v1
	v_mul_f32_e32 v1, v33, v148
	v_fmac_f32_e32 v81, v77, v183
	buffer_load_dword v229, off, s[0:3], 0 offset:480
	buffer_load_dword v232, off, s[0:3], 0 offset:484
	v_fma_f32 v1, v32, v147, -v1
	v_add_f32_e32 v80, v80, v81
	s_waitcnt vmcnt(44)
	v_mul_f32_e32 v81, v78, v186
	v_add_f32_e32 v0, v0, v1
	v_mul_f32_e32 v1, v35, v150
	v_fmac_f32_e32 v81, v79, v185
	v_fma_f32 v1, v34, v149, -v1
	v_add_f32_e32 v80, v80, v81
	s_waitcnt vmcnt(42) lgkmcnt(0)
	v_mul_f32_e32 v81, v72, v189
	ds_read2_b64 v[84:87], v116 offset0:105 offset1:106
	buffer_load_dword v230, off, s[0:3], 0 offset:488
	buffer_load_dword v233, off, s[0:3], 0 offset:492
	v_add_f32_e32 v0, v0, v1
	v_mul_f32_e32 v1, v45, v152
	v_fmac_f32_e32 v81, v73, v187
	v_fma_f32 v1, v44, v151, -v1
	v_add_f32_e32 v80, v80, v81
	s_waitcnt vmcnt(42)
	v_mul_f32_e32 v81, v74, v190
	v_add_f32_e32 v0, v0, v1
	v_mul_f32_e32 v1, v47, v154
	v_fmac_f32_e32 v81, v75, v188
	v_fma_f32 v1, v46, v153, -v1
	v_add_f32_e32 v88, v80, v81
	ds_read2_b64 v[80:83], v116 offset0:107 offset1:108
	buffer_load_dword v235, off, s[0:3], 0 offset:500
	buffer_load_dword v234, off, s[0:3], 0 offset:496
	;; [unrolled: 1-line block ×4, first 2 shown]
	v_add_f32_e32 v0, v0, v1
	v_mul_f32_e32 v1, v41, v156
	v_fma_f32 v1, v40, v155, -v1
	v_add_f32_e32 v0, v0, v1
	v_mul_f32_e32 v1, v43, v158
	v_fma_f32 v1, v42, v157, -v1
	buffer_load_dword v242, off, s[0:3], 0 offset:4
	v_add_f32_e32 v0, v0, v1
	v_mul_f32_e32 v1, v53, v160
	v_fma_f32 v1, v52, v159, -v1
	v_add_f32_e32 v0, v0, v1
	v_mul_f32_e32 v1, v55, v162
	v_fma_f32 v1, v54, v161, -v1
	;; [unrolled: 3-line block ×12, first 2 shown]
	s_waitcnt vmcnt(45) lgkmcnt(1)
	v_mul_f32_e32 v89, v84, v192
	v_add_f32_e32 v0, v0, v1
	v_mul_f32_e32 v1, v77, v184
	v_fmac_f32_e32 v89, v85, v191
	v_fma_f32 v1, v76, v183, -v1
	v_add_f32_e32 v88, v88, v89
	s_waitcnt vmcnt(44)
	v_mul_f32_e32 v89, v86, v196
	v_add_f32_e32 v0, v0, v1
	v_mul_f32_e32 v1, v79, v186
	s_waitcnt vmcnt(43)
	v_fmac_f32_e32 v89, v87, v195
	v_fma_f32 v1, v78, v185, -v1
	v_add_f32_e32 v88, v88, v89
	s_waitcnt vmcnt(41) lgkmcnt(0)
	v_mul_f32_e32 v89, v80, v197
	ds_read2_b64 v[92:95], v116 offset0:109 offset1:110
	v_add_f32_e32 v0, v0, v1
	v_mul_f32_e32 v1, v73, v189
	v_fmac_f32_e32 v89, v81, v193
	v_fma_f32 v1, v72, v187, -v1
	v_add_f32_e32 v88, v88, v89
	s_waitcnt vmcnt(39)
	v_mul_f32_e32 v89, v82, v200
	v_add_f32_e32 v0, v0, v1
	v_mul_f32_e32 v1, v75, v190
	v_fmac_f32_e32 v89, v83, v194
	v_fma_f32 v1, v74, v188, -v1
	v_add_f32_e32 v96, v88, v89
	ds_read2_b64 v[88:91], v116 offset0:111 offset1:112
	v_add_f32_e32 v0, v0, v1
	v_mul_f32_e32 v1, v85, v192
	s_waitcnt vmcnt(37) lgkmcnt(1)
	v_mul_f32_e32 v97, v92, v202
	v_fma_f32 v1, v84, v191, -v1
	v_fmac_f32_e32 v97, v93, v198
	v_add_f32_e32 v0, v0, v1
	v_mul_f32_e32 v1, v87, v196
	v_add_f32_e32 v96, v96, v97
	s_waitcnt vmcnt(36)
	v_mul_f32_e32 v97, v94, v204
	v_fma_f32 v1, v86, v195, -v1
	s_waitcnt vmcnt(35)
	v_fmac_f32_e32 v97, v95, v203
	v_add_f32_e32 v0, v0, v1
	v_mul_f32_e32 v1, v81, v197
	v_add_f32_e32 v96, v96, v97
	s_waitcnt vmcnt(33) lgkmcnt(0)
	v_mul_f32_e32 v97, v88, v205
	ds_read2_b64 v[100:103], v116 offset0:113 offset1:114
	v_fma_f32 v1, v80, v193, -v1
	v_fmac_f32_e32 v97, v89, v199
	v_add_f32_e32 v0, v0, v1
	v_mul_f32_e32 v1, v83, v200
	v_add_f32_e32 v96, v96, v97
	s_waitcnt vmcnt(31)
	v_mul_f32_e32 v97, v90, v208
	v_fma_f32 v1, v82, v194, -v1
	v_fmac_f32_e32 v97, v91, v201
	v_add_f32_e32 v0, v0, v1
	v_mul_f32_e32 v1, v93, v202
	v_add_f32_e32 v104, v96, v97
	ds_read2_b64 v[96:99], v116 offset0:115 offset1:116
	v_fma_f32 v1, v92, v198, -v1
	s_waitcnt vmcnt(29) lgkmcnt(1)
	v_mul_f32_e32 v105, v100, v210
	v_add_f32_e32 v0, v0, v1
	v_mul_f32_e32 v1, v95, v204
	v_fmac_f32_e32 v105, v101, v206
	v_fma_f32 v1, v94, v203, -v1
	v_add_f32_e32 v104, v104, v105
	s_waitcnt vmcnt(28)
	v_mul_f32_e32 v105, v102, v212
	v_add_f32_e32 v0, v0, v1
	v_mul_f32_e32 v1, v89, v205
	s_waitcnt vmcnt(27)
	v_fmac_f32_e32 v105, v103, v211
	v_fma_f32 v1, v88, v199, -v1
	v_add_f32_e32 v104, v104, v105
	s_waitcnt vmcnt(25) lgkmcnt(0)
	v_mul_f32_e32 v105, v96, v213
	ds_read2_b64 v[108:111], v116 offset0:117 offset1:118
	v_add_f32_e32 v0, v0, v1
	v_mul_f32_e32 v1, v91, v208
	v_fmac_f32_e32 v105, v97, v207
	v_fma_f32 v1, v90, v201, -v1
	v_add_f32_e32 v104, v104, v105
	s_waitcnt vmcnt(23)
	v_mul_f32_e32 v105, v98, v216
	v_add_f32_e32 v0, v0, v1
	v_mul_f32_e32 v1, v101, v210
	v_fmac_f32_e32 v105, v99, v209
	v_fma_f32 v1, v100, v206, -v1
	v_add_f32_e32 v112, v104, v105
	ds_read2_b64 v[104:107], v116 offset0:119 offset1:120
	v_add_f32_e32 v0, v0, v1
	v_mul_f32_e32 v1, v103, v212
	s_waitcnt vmcnt(21) lgkmcnt(1)
	v_mul_f32_e32 v113, v108, v217
	v_fma_f32 v1, v102, v211, -v1
	v_fmac_f32_e32 v113, v109, v214
	v_add_f32_e32 v0, v0, v1
	v_mul_f32_e32 v1, v97, v213
	v_add_f32_e32 v112, v112, v113
	s_waitcnt vmcnt(20)
	v_mul_f32_e32 v113, v110, v219
	v_fma_f32 v1, v96, v207, -v1
	s_waitcnt vmcnt(19)
	v_fmac_f32_e32 v113, v111, v218
	v_add_f32_e32 v0, v0, v1
	v_mul_f32_e32 v1, v99, v216
	v_add_f32_e32 v112, v112, v113
	s_waitcnt vmcnt(17) lgkmcnt(0)
	v_mul_f32_e32 v113, v104, v220
	v_fma_f32 v1, v98, v209, -v1
	v_fmac_f32_e32 v113, v105, v215
	v_add_f32_e32 v0, v0, v1
	v_mul_f32_e32 v1, v109, v217
	v_add_f32_e32 v112, v112, v113
	s_waitcnt vmcnt(16)
	v_mul_f32_e32 v113, v106, v222
	v_fma_f32 v1, v108, v214, -v1
	s_waitcnt vmcnt(15)
	v_fmac_f32_e32 v113, v107, v221
	v_add_f32_e32 v0, v0, v1
	v_mul_f32_e32 v1, v111, v219
	v_add_f32_e32 v237, v112, v113
	ds_read2_b64 v[112:115], v116 offset0:121 offset1:122
	ds_read2_b64 v[238:241], v116 offset0:123 offset1:124
	v_fma_f32 v1, v110, v218, -v1
	v_add_f32_e32 v0, v0, v1
	v_mul_f32_e32 v1, v105, v220
	v_fma_f32 v1, v104, v215, -v1
	v_add_f32_e32 v0, v0, v1
	v_mul_f32_e32 v1, v107, v222
	v_fma_f32 v1, v106, v221, -v1
	s_waitcnt vmcnt(13) lgkmcnt(1)
	v_mul_f32_e32 v21, v112, v225
	v_add_f32_e32 v0, v0, v1
	v_mul_f32_e32 v1, v113, v225
	v_fmac_f32_e32 v21, v113, v223
	s_waitcnt vmcnt(12)
	v_mul_f32_e32 v22, v114, v227
	v_fma_f32 v1, v112, v223, -v1
	v_add_f32_e32 v21, v237, v21
	s_waitcnt vmcnt(11)
	v_fmac_f32_e32 v22, v115, v226
	v_add_f32_e32 v0, v0, v1
	v_mul_f32_e32 v1, v115, v227
	v_add_f32_e32 v21, v21, v22
	s_waitcnt vmcnt(9) lgkmcnt(0)
	v_mul_f32_e32 v22, v238, v228
	ds_read2_b64 v[16:19], v116 offset0:125 offset1:126
	v_fma_f32 v1, v114, v226, -v1
	v_fmac_f32_e32 v22, v239, v224
	v_add_f32_e32 v0, v0, v1
	v_mul_f32_e32 v1, v239, v228
	v_add_f32_e32 v21, v21, v22
	s_waitcnt vmcnt(7)
	v_mul_f32_e32 v22, v240, v232
	v_fma_f32 v1, v238, v224, -v1
	v_fmac_f32_e32 v22, v241, v229
	v_add_f32_e32 v0, v0, v1
	v_mul_f32_e32 v1, v241, v232
	v_add_f32_e32 v143, v21, v22
	ds_read_b64 v[21:22], v116 offset:1016
	v_fma_f32 v1, v240, v229, -v1
	v_add_f32_e32 v0, v0, v1
	s_waitcnt vmcnt(5) lgkmcnt(1)
	v_mul_f32_e32 v1, v17, v233
	v_mul_f32_e32 v237, v16, v233
	v_fma_f32 v1, v16, v230, -v1
	v_fmac_f32_e32 v237, v17, v230
	v_add_f32_e32 v0, v0, v1
	s_waitcnt vmcnt(4)
	v_mul_f32_e32 v1, v19, v235
	v_add_f32_e32 v143, v143, v237
	v_mul_f32_e32 v237, v18, v235
	s_waitcnt vmcnt(3)
	v_fma_f32 v1, v18, v234, -v1
	v_fmac_f32_e32 v237, v19, v234
	v_add_f32_e32 v0, v0, v1
	s_waitcnt vmcnt(1) lgkmcnt(0)
	v_mul_f32_e32 v1, v22, v236
	v_add_f32_e32 v143, v143, v237
	v_mul_f32_e32 v237, v21, v236
	v_fma_f32 v1, v21, v231, -v1
	v_fmac_f32_e32 v237, v22, v231
	v_add_f32_e32 v0, v0, v1
	v_add_f32_e32 v143, v143, v237
	v_sub_f32_e32 v0, v117, v0
	s_waitcnt vmcnt(0)
	v_sub_f32_e32 v1, v242, v143
	buffer_store_dword v0, off, s[0:3], 0
	buffer_store_dword v1, off, s[0:3], 0 offset:4
	s_cbranch_vccz .LBB127_524
; %bb.398:
	global_load_dword v0, v116, s[12:13] offset:248
	s_waitcnt vmcnt(0)
	v_add_u32_e32 v0, -1, v0
	v_cmp_ne_u32_e32 vcc, 62, v0
	s_cbranch_vccz .LBB127_400
; %bb.399:
	v_lshlrev_b32_e32 v0, 3, v0
	buffer_load_dword v1, v0, s[0:3], 0 offen
	buffer_load_dword v2, v0, s[0:3], 0 offen offset:4
	buffer_load_dword v3, off, s[0:3], 0 offset:500
	buffer_load_dword v4, off, s[0:3], 0 offset:496
	s_waitcnt vmcnt(3)
	buffer_store_dword v1, off, s[0:3], 0 offset:496
	s_waitcnt vmcnt(3)
	buffer_store_dword v2, off, s[0:3], 0 offset:500
	s_waitcnt vmcnt(3)
	buffer_store_dword v3, v0, s[0:3], 0 offen offset:4
	s_waitcnt vmcnt(3)
	buffer_store_dword v4, v0, s[0:3], 0 offen
.LBB127_400:
	v_mov_b32_e32 v0, 0
	global_load_dword v1, v0, s[12:13] offset:244
	s_waitcnt vmcnt(0)
	v_add_u32_e32 v1, -1, v1
	v_cmp_eq_u32_e32 vcc, 61, v1
	s_cbranch_vccnz .LBB127_402
; %bb.401:
	v_lshlrev_b32_e32 v1, 3, v1
	buffer_load_dword v2, v1, s[0:3], 0 offen
	buffer_load_dword v3, v1, s[0:3], 0 offen offset:4
	buffer_load_dword v4, off, s[0:3], 0 offset:488
	buffer_load_dword v5, off, s[0:3], 0 offset:492
	s_waitcnt vmcnt(3)
	buffer_store_dword v2, off, s[0:3], 0 offset:488
	s_waitcnt vmcnt(3)
	buffer_store_dword v3, off, s[0:3], 0 offset:492
	s_waitcnt vmcnt(3)
	buffer_store_dword v4, v1, s[0:3], 0 offen
	s_waitcnt vmcnt(3)
	buffer_store_dword v5, v1, s[0:3], 0 offen offset:4
.LBB127_402:
	global_load_dword v0, v0, s[12:13] offset:240
	s_waitcnt vmcnt(0)
	v_add_u32_e32 v0, -1, v0
	v_cmp_eq_u32_e32 vcc, 60, v0
	s_cbranch_vccnz .LBB127_404
; %bb.403:
	v_lshlrev_b32_e32 v0, 3, v0
	buffer_load_dword v1, v0, s[0:3], 0 offen
	buffer_load_dword v2, v0, s[0:3], 0 offen offset:4
	buffer_load_dword v3, off, s[0:3], 0 offset:484
	buffer_load_dword v4, off, s[0:3], 0 offset:480
	s_waitcnt vmcnt(3)
	buffer_store_dword v1, off, s[0:3], 0 offset:480
	s_waitcnt vmcnt(3)
	buffer_store_dword v2, off, s[0:3], 0 offset:484
	s_waitcnt vmcnt(3)
	buffer_store_dword v3, v0, s[0:3], 0 offen offset:4
	s_waitcnt vmcnt(3)
	buffer_store_dword v4, v0, s[0:3], 0 offen
.LBB127_404:
	v_mov_b32_e32 v0, 0
	global_load_dword v1, v0, s[12:13] offset:236
	s_waitcnt vmcnt(0)
	v_add_u32_e32 v1, -1, v1
	v_cmp_eq_u32_e32 vcc, 59, v1
	s_cbranch_vccnz .LBB127_406
; %bb.405:
	v_lshlrev_b32_e32 v1, 3, v1
	buffer_load_dword v2, v1, s[0:3], 0 offen
	buffer_load_dword v3, v1, s[0:3], 0 offen offset:4
	buffer_load_dword v4, off, s[0:3], 0 offset:472
	buffer_load_dword v5, off, s[0:3], 0 offset:476
	s_waitcnt vmcnt(3)
	buffer_store_dword v2, off, s[0:3], 0 offset:472
	s_waitcnt vmcnt(3)
	buffer_store_dword v3, off, s[0:3], 0 offset:476
	s_waitcnt vmcnt(3)
	buffer_store_dword v4, v1, s[0:3], 0 offen
	s_waitcnt vmcnt(3)
	buffer_store_dword v5, v1, s[0:3], 0 offen offset:4
.LBB127_406:
	global_load_dword v0, v0, s[12:13] offset:232
	s_waitcnt vmcnt(0)
	v_add_u32_e32 v0, -1, v0
	v_cmp_eq_u32_e32 vcc, 58, v0
	s_cbranch_vccnz .LBB127_408
; %bb.407:
	v_lshlrev_b32_e32 v0, 3, v0
	buffer_load_dword v1, v0, s[0:3], 0 offen
	buffer_load_dword v2, v0, s[0:3], 0 offen offset:4
	buffer_load_dword v3, off, s[0:3], 0 offset:468
	buffer_load_dword v4, off, s[0:3], 0 offset:464
	s_waitcnt vmcnt(3)
	buffer_store_dword v1, off, s[0:3], 0 offset:464
	s_waitcnt vmcnt(3)
	buffer_store_dword v2, off, s[0:3], 0 offset:468
	s_waitcnt vmcnt(3)
	buffer_store_dword v3, v0, s[0:3], 0 offen offset:4
	s_waitcnt vmcnt(3)
	buffer_store_dword v4, v0, s[0:3], 0 offen
.LBB127_408:
	;; [unrolled: 41-line block ×30, first 2 shown]
	v_mov_b32_e32 v0, 0
	global_load_dword v1, v0, s[12:13] offset:4
	s_waitcnt vmcnt(0)
	v_add_u32_e32 v1, -1, v1
	v_cmp_eq_u32_e32 vcc, 1, v1
	s_cbranch_vccnz .LBB127_522
; %bb.521:
	v_lshlrev_b32_e32 v1, 3, v1
	buffer_load_dword v2, v1, s[0:3], 0 offen
	buffer_load_dword v3, v1, s[0:3], 0 offen offset:4
	buffer_load_dword v4, off, s[0:3], 0 offset:8
	buffer_load_dword v5, off, s[0:3], 0 offset:12
	s_waitcnt vmcnt(3)
	buffer_store_dword v2, off, s[0:3], 0 offset:8
	s_waitcnt vmcnt(3)
	buffer_store_dword v3, off, s[0:3], 0 offset:12
	s_waitcnt vmcnt(3)
	buffer_store_dword v4, v1, s[0:3], 0 offen
	s_waitcnt vmcnt(3)
	buffer_store_dword v5, v1, s[0:3], 0 offen offset:4
.LBB127_522:
	global_load_dword v0, v0, s[12:13]
	s_waitcnt vmcnt(0)
	v_add_u32_e32 v0, -1, v0
	v_cmp_eq_u32_e32 vcc, 0, v0
	s_cbranch_vccnz .LBB127_524
; %bb.523:
	v_lshlrev_b32_e32 v0, 3, v0
	buffer_load_dword v1, v0, s[0:3], 0 offen
	buffer_load_dword v2, v0, s[0:3], 0 offen offset:4
	buffer_load_dword v3, off, s[0:3], 0 offset:4
	buffer_load_dword v4, off, s[0:3], 0
	s_waitcnt vmcnt(3)
	buffer_store_dword v1, off, s[0:3], 0
	s_waitcnt vmcnt(3)
	buffer_store_dword v2, off, s[0:3], 0 offset:4
	s_waitcnt vmcnt(3)
	buffer_store_dword v3, v0, s[0:3], 0 offen offset:4
	s_waitcnt vmcnt(3)
	buffer_store_dword v4, v0, s[0:3], 0 offen
.LBB127_524:
	buffer_load_dword v0, off, s[0:3], 0
	s_nop 0
	buffer_load_dword v1, off, s[0:3], 0 offset:4
	s_waitcnt vmcnt(0)
	flat_store_dwordx2 v[121:122], v[0:1]
	buffer_load_dword v0, off, s[0:3], 0 offset:8
	s_nop 0
	buffer_load_dword v1, off, s[0:3], 0 offset:12
	buffer_load_dword v2, off, s[0:3], 0 offset:512 ; 4-byte Folded Reload
	buffer_load_dword v3, off, s[0:3], 0 offset:516 ; 4-byte Folded Reload
	s_waitcnt vmcnt(0)
	flat_store_dwordx2 v[2:3], v[0:1]
	buffer_load_dword v0, off, s[0:3], 0 offset:16
	s_nop 0
	buffer_load_dword v1, off, s[0:3], 0 offset:20
	buffer_load_dword v2, off, s[0:3], 0 offset:520 ; 4-byte Folded Reload
	buffer_load_dword v3, off, s[0:3], 0 offset:524 ; 4-byte Folded Reload
	;; [unrolled: 7-line block ×60, first 2 shown]
	s_waitcnt vmcnt(0)
	flat_store_dwordx2 v[2:3], v[0:1]
	buffer_load_dword v0, off, s[0:3], 0 offset:488
	s_nop 0
	buffer_load_dword v1, off, s[0:3], 0 offset:492
	s_waitcnt vmcnt(0)
	flat_store_dwordx2 v[243:244], v[0:1]
	buffer_load_dword v0, off, s[0:3], 0 offset:496
	s_nop 0
	buffer_load_dword v1, off, s[0:3], 0 offset:500
	;; [unrolled: 5-line block ×3, first 2 shown]
	s_waitcnt vmcnt(0)
	flat_store_dwordx2 v[247:248], v[0:1]
	s_endpgm
	.section	.rodata,"a",@progbits
	.p2align	6, 0x0
	.amdhsa_kernel _ZN9rocsolver6v33100L18getri_kernel_smallILi64E19rocblas_complex_numIfEPKPS3_EEvT1_iilPiilS8_bb
		.amdhsa_group_segment_fixed_size 1028
		.amdhsa_private_segment_fixed_size 1008
		.amdhsa_kernarg_size 60
		.amdhsa_user_sgpr_count 6
		.amdhsa_user_sgpr_private_segment_buffer 1
		.amdhsa_user_sgpr_dispatch_ptr 0
		.amdhsa_user_sgpr_queue_ptr 0
		.amdhsa_user_sgpr_kernarg_segment_ptr 1
		.amdhsa_user_sgpr_dispatch_id 0
		.amdhsa_user_sgpr_flat_scratch_init 0
		.amdhsa_user_sgpr_private_segment_size 0
		.amdhsa_uses_dynamic_stack 0
		.amdhsa_system_sgpr_private_segment_wavefront_offset 1
		.amdhsa_system_sgpr_workgroup_id_x 1
		.amdhsa_system_sgpr_workgroup_id_y 0
		.amdhsa_system_sgpr_workgroup_id_z 0
		.amdhsa_system_sgpr_workgroup_info 0
		.amdhsa_system_vgpr_workitem_id 0
		.amdhsa_next_free_vgpr 256
		.amdhsa_next_free_sgpr 21
		.amdhsa_reserve_vcc 1
		.amdhsa_reserve_flat_scratch 0
		.amdhsa_float_round_mode_32 0
		.amdhsa_float_round_mode_16_64 0
		.amdhsa_float_denorm_mode_32 3
		.amdhsa_float_denorm_mode_16_64 3
		.amdhsa_dx10_clamp 1
		.amdhsa_ieee_mode 1
		.amdhsa_fp16_overflow 0
		.amdhsa_exception_fp_ieee_invalid_op 0
		.amdhsa_exception_fp_denorm_src 0
		.amdhsa_exception_fp_ieee_div_zero 0
		.amdhsa_exception_fp_ieee_overflow 0
		.amdhsa_exception_fp_ieee_underflow 0
		.amdhsa_exception_fp_ieee_inexact 0
		.amdhsa_exception_int_div_zero 0
	.end_amdhsa_kernel
	.section	.text._ZN9rocsolver6v33100L18getri_kernel_smallILi64E19rocblas_complex_numIfEPKPS3_EEvT1_iilPiilS8_bb,"axG",@progbits,_ZN9rocsolver6v33100L18getri_kernel_smallILi64E19rocblas_complex_numIfEPKPS3_EEvT1_iilPiilS8_bb,comdat
.Lfunc_end127:
	.size	_ZN9rocsolver6v33100L18getri_kernel_smallILi64E19rocblas_complex_numIfEPKPS3_EEvT1_iilPiilS8_bb, .Lfunc_end127-_ZN9rocsolver6v33100L18getri_kernel_smallILi64E19rocblas_complex_numIfEPKPS3_EEvT1_iilPiilS8_bb
                                        ; -- End function
	.set _ZN9rocsolver6v33100L18getri_kernel_smallILi64E19rocblas_complex_numIfEPKPS3_EEvT1_iilPiilS8_bb.num_vgpr, 256
	.set _ZN9rocsolver6v33100L18getri_kernel_smallILi64E19rocblas_complex_numIfEPKPS3_EEvT1_iilPiilS8_bb.num_agpr, 0
	.set _ZN9rocsolver6v33100L18getri_kernel_smallILi64E19rocblas_complex_numIfEPKPS3_EEvT1_iilPiilS8_bb.numbered_sgpr, 21
	.set _ZN9rocsolver6v33100L18getri_kernel_smallILi64E19rocblas_complex_numIfEPKPS3_EEvT1_iilPiilS8_bb.num_named_barrier, 0
	.set _ZN9rocsolver6v33100L18getri_kernel_smallILi64E19rocblas_complex_numIfEPKPS3_EEvT1_iilPiilS8_bb.private_seg_size, 1008
	.set _ZN9rocsolver6v33100L18getri_kernel_smallILi64E19rocblas_complex_numIfEPKPS3_EEvT1_iilPiilS8_bb.uses_vcc, 1
	.set _ZN9rocsolver6v33100L18getri_kernel_smallILi64E19rocblas_complex_numIfEPKPS3_EEvT1_iilPiilS8_bb.uses_flat_scratch, 0
	.set _ZN9rocsolver6v33100L18getri_kernel_smallILi64E19rocblas_complex_numIfEPKPS3_EEvT1_iilPiilS8_bb.has_dyn_sized_stack, 0
	.set _ZN9rocsolver6v33100L18getri_kernel_smallILi64E19rocblas_complex_numIfEPKPS3_EEvT1_iilPiilS8_bb.has_recursion, 0
	.set _ZN9rocsolver6v33100L18getri_kernel_smallILi64E19rocblas_complex_numIfEPKPS3_EEvT1_iilPiilS8_bb.has_indirect_call, 0
	.section	.AMDGPU.csdata,"",@progbits
; Kernel info:
; codeLenInByte = 144096
; TotalNumSgprs: 25
; NumVgprs: 256
; ScratchSize: 1008
; MemoryBound: 0
; FloatMode: 240
; IeeeMode: 1
; LDSByteSize: 1028 bytes/workgroup (compile time only)
; SGPRBlocks: 3
; VGPRBlocks: 63
; NumSGPRsForWavesPerEU: 25
; NumVGPRsForWavesPerEU: 256
; Occupancy: 1
; WaveLimiterHint : 1
; COMPUTE_PGM_RSRC2:SCRATCH_EN: 1
; COMPUTE_PGM_RSRC2:USER_SGPR: 6
; COMPUTE_PGM_RSRC2:TRAP_HANDLER: 0
; COMPUTE_PGM_RSRC2:TGID_X_EN: 1
; COMPUTE_PGM_RSRC2:TGID_Y_EN: 0
; COMPUTE_PGM_RSRC2:TGID_Z_EN: 0
; COMPUTE_PGM_RSRC2:TIDIG_COMP_CNT: 0
	.section	.AMDGPU.gpr_maximums,"",@progbits
	.set amdgpu.max_num_vgpr, 0
	.set amdgpu.max_num_agpr, 0
	.set amdgpu.max_num_sgpr, 0
	.section	.AMDGPU.csdata,"",@progbits
	.type	__hip_cuid_20778f634efd6f79,@object ; @__hip_cuid_20778f634efd6f79
	.section	.bss,"aw",@nobits
	.globl	__hip_cuid_20778f634efd6f79
__hip_cuid_20778f634efd6f79:
	.byte	0                               ; 0x0
	.size	__hip_cuid_20778f634efd6f79, 1

	.ident	"AMD clang version 22.0.0git (https://github.com/RadeonOpenCompute/llvm-project roc-7.2.4 26084 f58b06dce1f9c15707c5f808fd002e18c2accf7e)"
	.section	".note.GNU-stack","",@progbits
	.addrsig
	.addrsig_sym __hip_cuid_20778f634efd6f79
	.amdgpu_metadata
---
amdhsa.kernels:
  - .args:
      - .address_space:  global
        .offset:         0
        .size:           8
        .value_kind:     global_buffer
      - .offset:         8
        .size:           4
        .value_kind:     by_value
      - .offset:         12
        .size:           4
        .value_kind:     by_value
      - .offset:         16
        .size:           8
        .value_kind:     by_value
      - .address_space:  global
        .offset:         24
        .size:           8
        .value_kind:     global_buffer
      - .offset:         32
        .size:           4
        .value_kind:     by_value
      - .offset:         40
        .size:           8
        .value_kind:     by_value
      - .address_space:  global
        .offset:         48
        .size:           8
        .value_kind:     global_buffer
      - .offset:         56
        .size:           1
        .value_kind:     by_value
      - .offset:         57
        .size:           1
        .value_kind:     by_value
    .group_segment_fixed_size: 4
    .kernarg_segment_align: 8
    .kernarg_segment_size: 60
    .language:       OpenCL C
    .language_version:
      - 2
      - 0
    .max_flat_workgroup_size: 64
    .name:           _ZN9rocsolver6v33100L18getri_kernel_smallILi1E19rocblas_complex_numIfEPS3_EEvT1_iilPiilS6_bb
    .private_segment_fixed_size: 0
    .sgpr_count:     18
    .sgpr_spill_count: 0
    .symbol:         _ZN9rocsolver6v33100L18getri_kernel_smallILi1E19rocblas_complex_numIfEPS3_EEvT1_iilPiilS6_bb.kd
    .uniform_work_group_size: 1
    .uses_dynamic_stack: false
    .vgpr_count:     7
    .vgpr_spill_count: 0
    .wavefront_size: 64
  - .args:
      - .address_space:  global
        .offset:         0
        .size:           8
        .value_kind:     global_buffer
      - .offset:         8
        .size:           4
        .value_kind:     by_value
      - .offset:         12
        .size:           4
        .value_kind:     by_value
      - .offset:         16
        .size:           8
        .value_kind:     by_value
      - .address_space:  global
        .offset:         24
        .size:           8
        .value_kind:     global_buffer
      - .offset:         32
        .size:           4
        .value_kind:     by_value
      - .offset:         40
        .size:           8
        .value_kind:     by_value
      - .address_space:  global
        .offset:         48
        .size:           8
        .value_kind:     global_buffer
      - .offset:         56
        .size:           1
        .value_kind:     by_value
      - .offset:         57
        .size:           1
        .value_kind:     by_value
    .group_segment_fixed_size: 36
    .kernarg_segment_align: 8
    .kernarg_segment_size: 60
    .language:       OpenCL C
    .language_version:
      - 2
      - 0
    .max_flat_workgroup_size: 64
    .name:           _ZN9rocsolver6v33100L18getri_kernel_smallILi2E19rocblas_complex_numIfEPS3_EEvT1_iilPiilS6_bb
    .private_segment_fixed_size: 32
    .sgpr_count:     28
    .sgpr_spill_count: 0
    .symbol:         _ZN9rocsolver6v33100L18getri_kernel_smallILi2E19rocblas_complex_numIfEPS3_EEvT1_iilPiilS6_bb.kd
    .uniform_work_group_size: 1
    .uses_dynamic_stack: false
    .vgpr_count:     14
    .vgpr_spill_count: 0
    .wavefront_size: 64
  - .args:
      - .address_space:  global
        .offset:         0
        .size:           8
        .value_kind:     global_buffer
      - .offset:         8
        .size:           4
        .value_kind:     by_value
      - .offset:         12
        .size:           4
        .value_kind:     by_value
      - .offset:         16
        .size:           8
        .value_kind:     by_value
      - .address_space:  global
        .offset:         24
        .size:           8
        .value_kind:     global_buffer
      - .offset:         32
        .size:           4
        .value_kind:     by_value
      - .offset:         40
        .size:           8
        .value_kind:     by_value
      - .address_space:  global
        .offset:         48
        .size:           8
        .value_kind:     global_buffer
      - .offset:         56
        .size:           1
        .value_kind:     by_value
      - .offset:         57
        .size:           1
        .value_kind:     by_value
    .group_segment_fixed_size: 56
    .kernarg_segment_align: 8
    .kernarg_segment_size: 60
    .language:       OpenCL C
    .language_version:
      - 2
      - 0
    .max_flat_workgroup_size: 64
    .name:           _ZN9rocsolver6v33100L18getri_kernel_smallILi3E19rocblas_complex_numIfEPS3_EEvT1_iilPiilS6_bb
    .private_segment_fixed_size: 32
    .sgpr_count:     28
    .sgpr_spill_count: 0
    .symbol:         _ZN9rocsolver6v33100L18getri_kernel_smallILi3E19rocblas_complex_numIfEPS3_EEvT1_iilPiilS6_bb.kd
    .uniform_work_group_size: 1
    .uses_dynamic_stack: false
    .vgpr_count:     19
    .vgpr_spill_count: 0
    .wavefront_size: 64
  - .args:
      - .address_space:  global
        .offset:         0
        .size:           8
        .value_kind:     global_buffer
      - .offset:         8
        .size:           4
        .value_kind:     by_value
      - .offset:         12
        .size:           4
        .value_kind:     by_value
      - .offset:         16
        .size:           8
        .value_kind:     by_value
      - .address_space:  global
        .offset:         24
        .size:           8
        .value_kind:     global_buffer
      - .offset:         32
        .size:           4
        .value_kind:     by_value
      - .offset:         40
        .size:           8
        .value_kind:     by_value
      - .address_space:  global
        .offset:         48
        .size:           8
        .value_kind:     global_buffer
      - .offset:         56
        .size:           1
        .value_kind:     by_value
      - .offset:         57
        .size:           1
        .value_kind:     by_value
    .group_segment_fixed_size: 68
    .kernarg_segment_align: 8
    .kernarg_segment_size: 60
    .language:       OpenCL C
    .language_version:
      - 2
      - 0
    .max_flat_workgroup_size: 64
    .name:           _ZN9rocsolver6v33100L18getri_kernel_smallILi4E19rocblas_complex_numIfEPS3_EEvT1_iilPiilS6_bb
    .private_segment_fixed_size: 48
    .sgpr_count:     28
    .sgpr_spill_count: 0
    .symbol:         _ZN9rocsolver6v33100L18getri_kernel_smallILi4E19rocblas_complex_numIfEPS3_EEvT1_iilPiilS6_bb.kd
    .uniform_work_group_size: 1
    .uses_dynamic_stack: false
    .vgpr_count:     27
    .vgpr_spill_count: 0
    .wavefront_size: 64
  - .args:
      - .address_space:  global
        .offset:         0
        .size:           8
        .value_kind:     global_buffer
      - .offset:         8
        .size:           4
        .value_kind:     by_value
      - .offset:         12
        .size:           4
        .value_kind:     by_value
      - .offset:         16
        .size:           8
        .value_kind:     by_value
      - .address_space:  global
        .offset:         24
        .size:           8
        .value_kind:     global_buffer
      - .offset:         32
        .size:           4
        .value_kind:     by_value
      - .offset:         40
        .size:           8
        .value_kind:     by_value
      - .address_space:  global
        .offset:         48
        .size:           8
        .value_kind:     global_buffer
      - .offset:         56
        .size:           1
        .value_kind:     by_value
      - .offset:         57
        .size:           1
        .value_kind:     by_value
    .group_segment_fixed_size: 88
    .kernarg_segment_align: 8
    .kernarg_segment_size: 60
    .language:       OpenCL C
    .language_version:
      - 2
      - 0
    .max_flat_workgroup_size: 64
    .name:           _ZN9rocsolver6v33100L18getri_kernel_smallILi5E19rocblas_complex_numIfEPS3_EEvT1_iilPiilS6_bb
    .private_segment_fixed_size: 48
    .sgpr_count:     28
    .sgpr_spill_count: 0
    .symbol:         _ZN9rocsolver6v33100L18getri_kernel_smallILi5E19rocblas_complex_numIfEPS3_EEvT1_iilPiilS6_bb.kd
    .uniform_work_group_size: 1
    .uses_dynamic_stack: false
    .vgpr_count:     30
    .vgpr_spill_count: 0
    .wavefront_size: 64
  - .args:
      - .address_space:  global
        .offset:         0
        .size:           8
        .value_kind:     global_buffer
      - .offset:         8
        .size:           4
        .value_kind:     by_value
      - .offset:         12
        .size:           4
        .value_kind:     by_value
      - .offset:         16
        .size:           8
        .value_kind:     by_value
      - .address_space:  global
        .offset:         24
        .size:           8
        .value_kind:     global_buffer
      - .offset:         32
        .size:           4
        .value_kind:     by_value
      - .offset:         40
        .size:           8
        .value_kind:     by_value
      - .address_space:  global
        .offset:         48
        .size:           8
        .value_kind:     global_buffer
      - .offset:         56
        .size:           1
        .value_kind:     by_value
      - .offset:         57
        .size:           1
        .value_kind:     by_value
    .group_segment_fixed_size: 100
    .kernarg_segment_align: 8
    .kernarg_segment_size: 60
    .language:       OpenCL C
    .language_version:
      - 2
      - 0
    .max_flat_workgroup_size: 64
    .name:           _ZN9rocsolver6v33100L18getri_kernel_smallILi6E19rocblas_complex_numIfEPS3_EEvT1_iilPiilS6_bb
    .private_segment_fixed_size: 64
    .sgpr_count:     28
    .sgpr_spill_count: 0
    .symbol:         _ZN9rocsolver6v33100L18getri_kernel_smallILi6E19rocblas_complex_numIfEPS3_EEvT1_iilPiilS6_bb.kd
    .uniform_work_group_size: 1
    .uses_dynamic_stack: false
    .vgpr_count:     37
    .vgpr_spill_count: 0
    .wavefront_size: 64
  - .args:
      - .address_space:  global
        .offset:         0
        .size:           8
        .value_kind:     global_buffer
      - .offset:         8
        .size:           4
        .value_kind:     by_value
      - .offset:         12
        .size:           4
        .value_kind:     by_value
      - .offset:         16
        .size:           8
        .value_kind:     by_value
      - .address_space:  global
        .offset:         24
        .size:           8
        .value_kind:     global_buffer
      - .offset:         32
        .size:           4
        .value_kind:     by_value
      - .offset:         40
        .size:           8
        .value_kind:     by_value
      - .address_space:  global
        .offset:         48
        .size:           8
        .value_kind:     global_buffer
      - .offset:         56
        .size:           1
        .value_kind:     by_value
      - .offset:         57
        .size:           1
        .value_kind:     by_value
    .group_segment_fixed_size: 120
    .kernarg_segment_align: 8
    .kernarg_segment_size: 60
    .language:       OpenCL C
    .language_version:
      - 2
      - 0
    .max_flat_workgroup_size: 64
    .name:           _ZN9rocsolver6v33100L18getri_kernel_smallILi7E19rocblas_complex_numIfEPS3_EEvT1_iilPiilS6_bb
    .private_segment_fixed_size: 64
    .sgpr_count:     28
    .sgpr_spill_count: 0
    .symbol:         _ZN9rocsolver6v33100L18getri_kernel_smallILi7E19rocblas_complex_numIfEPS3_EEvT1_iilPiilS6_bb.kd
    .uniform_work_group_size: 1
    .uses_dynamic_stack: false
    .vgpr_count:     47
    .vgpr_spill_count: 0
    .wavefront_size: 64
  - .args:
      - .address_space:  global
        .offset:         0
        .size:           8
        .value_kind:     global_buffer
      - .offset:         8
        .size:           4
        .value_kind:     by_value
      - .offset:         12
        .size:           4
        .value_kind:     by_value
      - .offset:         16
        .size:           8
        .value_kind:     by_value
      - .address_space:  global
        .offset:         24
        .size:           8
        .value_kind:     global_buffer
      - .offset:         32
        .size:           4
        .value_kind:     by_value
      - .offset:         40
        .size:           8
        .value_kind:     by_value
      - .address_space:  global
        .offset:         48
        .size:           8
        .value_kind:     global_buffer
      - .offset:         56
        .size:           1
        .value_kind:     by_value
      - .offset:         57
        .size:           1
        .value_kind:     by_value
    .group_segment_fixed_size: 132
    .kernarg_segment_align: 8
    .kernarg_segment_size: 60
    .language:       OpenCL C
    .language_version:
      - 2
      - 0
    .max_flat_workgroup_size: 64
    .name:           _ZN9rocsolver6v33100L18getri_kernel_smallILi8E19rocblas_complex_numIfEPS3_EEvT1_iilPiilS6_bb
    .private_segment_fixed_size: 80
    .sgpr_count:     28
    .sgpr_spill_count: 0
    .symbol:         _ZN9rocsolver6v33100L18getri_kernel_smallILi8E19rocblas_complex_numIfEPS3_EEvT1_iilPiilS6_bb.kd
    .uniform_work_group_size: 1
    .uses_dynamic_stack: false
    .vgpr_count:     55
    .vgpr_spill_count: 0
    .wavefront_size: 64
  - .args:
      - .address_space:  global
        .offset:         0
        .size:           8
        .value_kind:     global_buffer
      - .offset:         8
        .size:           4
        .value_kind:     by_value
      - .offset:         12
        .size:           4
        .value_kind:     by_value
      - .offset:         16
        .size:           8
        .value_kind:     by_value
      - .address_space:  global
        .offset:         24
        .size:           8
        .value_kind:     global_buffer
      - .offset:         32
        .size:           4
        .value_kind:     by_value
      - .offset:         40
        .size:           8
        .value_kind:     by_value
      - .address_space:  global
        .offset:         48
        .size:           8
        .value_kind:     global_buffer
      - .offset:         56
        .size:           1
        .value_kind:     by_value
      - .offset:         57
        .size:           1
        .value_kind:     by_value
    .group_segment_fixed_size: 152
    .kernarg_segment_align: 8
    .kernarg_segment_size: 60
    .language:       OpenCL C
    .language_version:
      - 2
      - 0
    .max_flat_workgroup_size: 64
    .name:           _ZN9rocsolver6v33100L18getri_kernel_smallILi9E19rocblas_complex_numIfEPS3_EEvT1_iilPiilS6_bb
    .private_segment_fixed_size: 80
    .sgpr_count:     28
    .sgpr_spill_count: 0
    .symbol:         _ZN9rocsolver6v33100L18getri_kernel_smallILi9E19rocblas_complex_numIfEPS3_EEvT1_iilPiilS6_bb.kd
    .uniform_work_group_size: 1
    .uses_dynamic_stack: false
    .vgpr_count:     61
    .vgpr_spill_count: 0
    .wavefront_size: 64
  - .args:
      - .address_space:  global
        .offset:         0
        .size:           8
        .value_kind:     global_buffer
      - .offset:         8
        .size:           4
        .value_kind:     by_value
      - .offset:         12
        .size:           4
        .value_kind:     by_value
      - .offset:         16
        .size:           8
        .value_kind:     by_value
      - .address_space:  global
        .offset:         24
        .size:           8
        .value_kind:     global_buffer
      - .offset:         32
        .size:           4
        .value_kind:     by_value
      - .offset:         40
        .size:           8
        .value_kind:     by_value
      - .address_space:  global
        .offset:         48
        .size:           8
        .value_kind:     global_buffer
      - .offset:         56
        .size:           1
        .value_kind:     by_value
      - .offset:         57
        .size:           1
        .value_kind:     by_value
    .group_segment_fixed_size: 164
    .kernarg_segment_align: 8
    .kernarg_segment_size: 60
    .language:       OpenCL C
    .language_version:
      - 2
      - 0
    .max_flat_workgroup_size: 64
    .name:           _ZN9rocsolver6v33100L18getri_kernel_smallILi10E19rocblas_complex_numIfEPS3_EEvT1_iilPiilS6_bb
    .private_segment_fixed_size: 96
    .sgpr_count:     28
    .sgpr_spill_count: 0
    .symbol:         _ZN9rocsolver6v33100L18getri_kernel_smallILi10E19rocblas_complex_numIfEPS3_EEvT1_iilPiilS6_bb.kd
    .uniform_work_group_size: 1
    .uses_dynamic_stack: false
    .vgpr_count:     61
    .vgpr_spill_count: 0
    .wavefront_size: 64
  - .args:
      - .address_space:  global
        .offset:         0
        .size:           8
        .value_kind:     global_buffer
      - .offset:         8
        .size:           4
        .value_kind:     by_value
      - .offset:         12
        .size:           4
        .value_kind:     by_value
      - .offset:         16
        .size:           8
        .value_kind:     by_value
      - .address_space:  global
        .offset:         24
        .size:           8
        .value_kind:     global_buffer
      - .offset:         32
        .size:           4
        .value_kind:     by_value
      - .offset:         40
        .size:           8
        .value_kind:     by_value
      - .address_space:  global
        .offset:         48
        .size:           8
        .value_kind:     global_buffer
      - .offset:         56
        .size:           1
        .value_kind:     by_value
      - .offset:         57
        .size:           1
        .value_kind:     by_value
    .group_segment_fixed_size: 184
    .kernarg_segment_align: 8
    .kernarg_segment_size: 60
    .language:       OpenCL C
    .language_version:
      - 2
      - 0
    .max_flat_workgroup_size: 64
    .name:           _ZN9rocsolver6v33100L18getri_kernel_smallILi11E19rocblas_complex_numIfEPS3_EEvT1_iilPiilS6_bb
    .private_segment_fixed_size: 96
    .sgpr_count:     28
    .sgpr_spill_count: 0
    .symbol:         _ZN9rocsolver6v33100L18getri_kernel_smallILi11E19rocblas_complex_numIfEPS3_EEvT1_iilPiilS6_bb.kd
    .uniform_work_group_size: 1
    .uses_dynamic_stack: false
    .vgpr_count:     75
    .vgpr_spill_count: 0
    .wavefront_size: 64
  - .args:
      - .address_space:  global
        .offset:         0
        .size:           8
        .value_kind:     global_buffer
      - .offset:         8
        .size:           4
        .value_kind:     by_value
      - .offset:         12
        .size:           4
        .value_kind:     by_value
      - .offset:         16
        .size:           8
        .value_kind:     by_value
      - .address_space:  global
        .offset:         24
        .size:           8
        .value_kind:     global_buffer
      - .offset:         32
        .size:           4
        .value_kind:     by_value
      - .offset:         40
        .size:           8
        .value_kind:     by_value
      - .address_space:  global
        .offset:         48
        .size:           8
        .value_kind:     global_buffer
      - .offset:         56
        .size:           1
        .value_kind:     by_value
      - .offset:         57
        .size:           1
        .value_kind:     by_value
    .group_segment_fixed_size: 196
    .kernarg_segment_align: 8
    .kernarg_segment_size: 60
    .language:       OpenCL C
    .language_version:
      - 2
      - 0
    .max_flat_workgroup_size: 64
    .name:           _ZN9rocsolver6v33100L18getri_kernel_smallILi12E19rocblas_complex_numIfEPS3_EEvT1_iilPiilS6_bb
    .private_segment_fixed_size: 112
    .sgpr_count:     28
    .sgpr_spill_count: 0
    .symbol:         _ZN9rocsolver6v33100L18getri_kernel_smallILi12E19rocblas_complex_numIfEPS3_EEvT1_iilPiilS6_bb.kd
    .uniform_work_group_size: 1
    .uses_dynamic_stack: false
    .vgpr_count:     82
    .vgpr_spill_count: 0
    .wavefront_size: 64
  - .args:
      - .address_space:  global
        .offset:         0
        .size:           8
        .value_kind:     global_buffer
      - .offset:         8
        .size:           4
        .value_kind:     by_value
      - .offset:         12
        .size:           4
        .value_kind:     by_value
      - .offset:         16
        .size:           8
        .value_kind:     by_value
      - .address_space:  global
        .offset:         24
        .size:           8
        .value_kind:     global_buffer
      - .offset:         32
        .size:           4
        .value_kind:     by_value
      - .offset:         40
        .size:           8
        .value_kind:     by_value
      - .address_space:  global
        .offset:         48
        .size:           8
        .value_kind:     global_buffer
      - .offset:         56
        .size:           1
        .value_kind:     by_value
      - .offset:         57
        .size:           1
        .value_kind:     by_value
    .group_segment_fixed_size: 216
    .kernarg_segment_align: 8
    .kernarg_segment_size: 60
    .language:       OpenCL C
    .language_version:
      - 2
      - 0
    .max_flat_workgroup_size: 64
    .name:           _ZN9rocsolver6v33100L18getri_kernel_smallILi13E19rocblas_complex_numIfEPS3_EEvT1_iilPiilS6_bb
    .private_segment_fixed_size: 112
    .sgpr_count:     28
    .sgpr_spill_count: 0
    .symbol:         _ZN9rocsolver6v33100L18getri_kernel_smallILi13E19rocblas_complex_numIfEPS3_EEvT1_iilPiilS6_bb.kd
    .uniform_work_group_size: 1
    .uses_dynamic_stack: false
    .vgpr_count:     80
    .vgpr_spill_count: 0
    .wavefront_size: 64
  - .args:
      - .address_space:  global
        .offset:         0
        .size:           8
        .value_kind:     global_buffer
      - .offset:         8
        .size:           4
        .value_kind:     by_value
      - .offset:         12
        .size:           4
        .value_kind:     by_value
      - .offset:         16
        .size:           8
        .value_kind:     by_value
      - .address_space:  global
        .offset:         24
        .size:           8
        .value_kind:     global_buffer
      - .offset:         32
        .size:           4
        .value_kind:     by_value
      - .offset:         40
        .size:           8
        .value_kind:     by_value
      - .address_space:  global
        .offset:         48
        .size:           8
        .value_kind:     global_buffer
      - .offset:         56
        .size:           1
        .value_kind:     by_value
      - .offset:         57
        .size:           1
        .value_kind:     by_value
    .group_segment_fixed_size: 228
    .kernarg_segment_align: 8
    .kernarg_segment_size: 60
    .language:       OpenCL C
    .language_version:
      - 2
      - 0
    .max_flat_workgroup_size: 64
    .name:           _ZN9rocsolver6v33100L18getri_kernel_smallILi14E19rocblas_complex_numIfEPS3_EEvT1_iilPiilS6_bb
    .private_segment_fixed_size: 128
    .sgpr_count:     28
    .sgpr_spill_count: 0
    .symbol:         _ZN9rocsolver6v33100L18getri_kernel_smallILi14E19rocblas_complex_numIfEPS3_EEvT1_iilPiilS6_bb.kd
    .uniform_work_group_size: 1
    .uses_dynamic_stack: false
    .vgpr_count:     96
    .vgpr_spill_count: 0
    .wavefront_size: 64
  - .args:
      - .address_space:  global
        .offset:         0
        .size:           8
        .value_kind:     global_buffer
      - .offset:         8
        .size:           4
        .value_kind:     by_value
      - .offset:         12
        .size:           4
        .value_kind:     by_value
      - .offset:         16
        .size:           8
        .value_kind:     by_value
      - .address_space:  global
        .offset:         24
        .size:           8
        .value_kind:     global_buffer
      - .offset:         32
        .size:           4
        .value_kind:     by_value
      - .offset:         40
        .size:           8
        .value_kind:     by_value
      - .address_space:  global
        .offset:         48
        .size:           8
        .value_kind:     global_buffer
      - .offset:         56
        .size:           1
        .value_kind:     by_value
      - .offset:         57
        .size:           1
        .value_kind:     by_value
    .group_segment_fixed_size: 248
    .kernarg_segment_align: 8
    .kernarg_segment_size: 60
    .language:       OpenCL C
    .language_version:
      - 2
      - 0
    .max_flat_workgroup_size: 64
    .name:           _ZN9rocsolver6v33100L18getri_kernel_smallILi15E19rocblas_complex_numIfEPS3_EEvT1_iilPiilS6_bb
    .private_segment_fixed_size: 128
    .sgpr_count:     28
    .sgpr_spill_count: 0
    .symbol:         _ZN9rocsolver6v33100L18getri_kernel_smallILi15E19rocblas_complex_numIfEPS3_EEvT1_iilPiilS6_bb.kd
    .uniform_work_group_size: 1
    .uses_dynamic_stack: false
    .vgpr_count:     102
    .vgpr_spill_count: 0
    .wavefront_size: 64
  - .args:
      - .address_space:  global
        .offset:         0
        .size:           8
        .value_kind:     global_buffer
      - .offset:         8
        .size:           4
        .value_kind:     by_value
      - .offset:         12
        .size:           4
        .value_kind:     by_value
      - .offset:         16
        .size:           8
        .value_kind:     by_value
      - .address_space:  global
        .offset:         24
        .size:           8
        .value_kind:     global_buffer
      - .offset:         32
        .size:           4
        .value_kind:     by_value
      - .offset:         40
        .size:           8
        .value_kind:     by_value
      - .address_space:  global
        .offset:         48
        .size:           8
        .value_kind:     global_buffer
      - .offset:         56
        .size:           1
        .value_kind:     by_value
      - .offset:         57
        .size:           1
        .value_kind:     by_value
    .group_segment_fixed_size: 260
    .kernarg_segment_align: 8
    .kernarg_segment_size: 60
    .language:       OpenCL C
    .language_version:
      - 2
      - 0
    .max_flat_workgroup_size: 64
    .name:           _ZN9rocsolver6v33100L18getri_kernel_smallILi16E19rocblas_complex_numIfEPS3_EEvT1_iilPiilS6_bb
    .private_segment_fixed_size: 144
    .sgpr_count:     28
    .sgpr_spill_count: 0
    .symbol:         _ZN9rocsolver6v33100L18getri_kernel_smallILi16E19rocblas_complex_numIfEPS3_EEvT1_iilPiilS6_bb.kd
    .uniform_work_group_size: 1
    .uses_dynamic_stack: false
    .vgpr_count:     110
    .vgpr_spill_count: 0
    .wavefront_size: 64
  - .args:
      - .address_space:  global
        .offset:         0
        .size:           8
        .value_kind:     global_buffer
      - .offset:         8
        .size:           4
        .value_kind:     by_value
      - .offset:         12
        .size:           4
        .value_kind:     by_value
      - .offset:         16
        .size:           8
        .value_kind:     by_value
      - .address_space:  global
        .offset:         24
        .size:           8
        .value_kind:     global_buffer
      - .offset:         32
        .size:           4
        .value_kind:     by_value
      - .offset:         40
        .size:           8
        .value_kind:     by_value
      - .address_space:  global
        .offset:         48
        .size:           8
        .value_kind:     global_buffer
      - .offset:         56
        .size:           1
        .value_kind:     by_value
      - .offset:         57
        .size:           1
        .value_kind:     by_value
    .group_segment_fixed_size: 280
    .kernarg_segment_align: 8
    .kernarg_segment_size: 60
    .language:       OpenCL C
    .language_version:
      - 2
      - 0
    .max_flat_workgroup_size: 64
    .name:           _ZN9rocsolver6v33100L18getri_kernel_smallILi17E19rocblas_complex_numIfEPS3_EEvT1_iilPiilS6_bb
    .private_segment_fixed_size: 144
    .sgpr_count:     28
    .sgpr_spill_count: 0
    .symbol:         _ZN9rocsolver6v33100L18getri_kernel_smallILi17E19rocblas_complex_numIfEPS3_EEvT1_iilPiilS6_bb.kd
    .uniform_work_group_size: 1
    .uses_dynamic_stack: false
    .vgpr_count:     116
    .vgpr_spill_count: 0
    .wavefront_size: 64
  - .args:
      - .address_space:  global
        .offset:         0
        .size:           8
        .value_kind:     global_buffer
      - .offset:         8
        .size:           4
        .value_kind:     by_value
      - .offset:         12
        .size:           4
        .value_kind:     by_value
      - .offset:         16
        .size:           8
        .value_kind:     by_value
      - .address_space:  global
        .offset:         24
        .size:           8
        .value_kind:     global_buffer
      - .offset:         32
        .size:           4
        .value_kind:     by_value
      - .offset:         40
        .size:           8
        .value_kind:     by_value
      - .address_space:  global
        .offset:         48
        .size:           8
        .value_kind:     global_buffer
      - .offset:         56
        .size:           1
        .value_kind:     by_value
      - .offset:         57
        .size:           1
        .value_kind:     by_value
    .group_segment_fixed_size: 292
    .kernarg_segment_align: 8
    .kernarg_segment_size: 60
    .language:       OpenCL C
    .language_version:
      - 2
      - 0
    .max_flat_workgroup_size: 64
    .name:           _ZN9rocsolver6v33100L18getri_kernel_smallILi18E19rocblas_complex_numIfEPS3_EEvT1_iilPiilS6_bb
    .private_segment_fixed_size: 160
    .sgpr_count:     28
    .sgpr_spill_count: 0
    .symbol:         _ZN9rocsolver6v33100L18getri_kernel_smallILi18E19rocblas_complex_numIfEPS3_EEvT1_iilPiilS6_bb.kd
    .uniform_work_group_size: 1
    .uses_dynamic_stack: false
    .vgpr_count:     124
    .vgpr_spill_count: 0
    .wavefront_size: 64
  - .args:
      - .address_space:  global
        .offset:         0
        .size:           8
        .value_kind:     global_buffer
      - .offset:         8
        .size:           4
        .value_kind:     by_value
      - .offset:         12
        .size:           4
        .value_kind:     by_value
      - .offset:         16
        .size:           8
        .value_kind:     by_value
      - .address_space:  global
        .offset:         24
        .size:           8
        .value_kind:     global_buffer
      - .offset:         32
        .size:           4
        .value_kind:     by_value
      - .offset:         40
        .size:           8
        .value_kind:     by_value
      - .address_space:  global
        .offset:         48
        .size:           8
        .value_kind:     global_buffer
      - .offset:         56
        .size:           1
        .value_kind:     by_value
      - .offset:         57
        .size:           1
        .value_kind:     by_value
    .group_segment_fixed_size: 312
    .kernarg_segment_align: 8
    .kernarg_segment_size: 60
    .language:       OpenCL C
    .language_version:
      - 2
      - 0
    .max_flat_workgroup_size: 64
    .name:           _ZN9rocsolver6v33100L18getri_kernel_smallILi19E19rocblas_complex_numIfEPS3_EEvT1_iilPiilS6_bb
    .private_segment_fixed_size: 160
    .sgpr_count:     28
    .sgpr_spill_count: 0
    .symbol:         _ZN9rocsolver6v33100L18getri_kernel_smallILi19E19rocblas_complex_numIfEPS3_EEvT1_iilPiilS6_bb.kd
    .uniform_work_group_size: 1
    .uses_dynamic_stack: false
    .vgpr_count:     122
    .vgpr_spill_count: 0
    .wavefront_size: 64
  - .args:
      - .address_space:  global
        .offset:         0
        .size:           8
        .value_kind:     global_buffer
      - .offset:         8
        .size:           4
        .value_kind:     by_value
      - .offset:         12
        .size:           4
        .value_kind:     by_value
      - .offset:         16
        .size:           8
        .value_kind:     by_value
      - .address_space:  global
        .offset:         24
        .size:           8
        .value_kind:     global_buffer
      - .offset:         32
        .size:           4
        .value_kind:     by_value
      - .offset:         40
        .size:           8
        .value_kind:     by_value
      - .address_space:  global
        .offset:         48
        .size:           8
        .value_kind:     global_buffer
      - .offset:         56
        .size:           1
        .value_kind:     by_value
      - .offset:         57
        .size:           1
        .value_kind:     by_value
    .group_segment_fixed_size: 324
    .kernarg_segment_align: 8
    .kernarg_segment_size: 60
    .language:       OpenCL C
    .language_version:
      - 2
      - 0
    .max_flat_workgroup_size: 64
    .name:           _ZN9rocsolver6v33100L18getri_kernel_smallILi20E19rocblas_complex_numIfEPS3_EEvT1_iilPiilS6_bb
    .private_segment_fixed_size: 176
    .sgpr_count:     28
    .sgpr_spill_count: 0
    .symbol:         _ZN9rocsolver6v33100L18getri_kernel_smallILi20E19rocblas_complex_numIfEPS3_EEvT1_iilPiilS6_bb.kd
    .uniform_work_group_size: 1
    .uses_dynamic_stack: false
    .vgpr_count:     124
    .vgpr_spill_count: 0
    .wavefront_size: 64
  - .args:
      - .address_space:  global
        .offset:         0
        .size:           8
        .value_kind:     global_buffer
      - .offset:         8
        .size:           4
        .value_kind:     by_value
      - .offset:         12
        .size:           4
        .value_kind:     by_value
      - .offset:         16
        .size:           8
        .value_kind:     by_value
      - .address_space:  global
        .offset:         24
        .size:           8
        .value_kind:     global_buffer
      - .offset:         32
        .size:           4
        .value_kind:     by_value
      - .offset:         40
        .size:           8
        .value_kind:     by_value
      - .address_space:  global
        .offset:         48
        .size:           8
        .value_kind:     global_buffer
      - .offset:         56
        .size:           1
        .value_kind:     by_value
      - .offset:         57
        .size:           1
        .value_kind:     by_value
    .group_segment_fixed_size: 344
    .kernarg_segment_align: 8
    .kernarg_segment_size: 60
    .language:       OpenCL C
    .language_version:
      - 2
      - 0
    .max_flat_workgroup_size: 64
    .name:           _ZN9rocsolver6v33100L18getri_kernel_smallILi21E19rocblas_complex_numIfEPS3_EEvT1_iilPiilS6_bb
    .private_segment_fixed_size: 176
    .sgpr_count:     28
    .sgpr_spill_count: 0
    .symbol:         _ZN9rocsolver6v33100L18getri_kernel_smallILi21E19rocblas_complex_numIfEPS3_EEvT1_iilPiilS6_bb.kd
    .uniform_work_group_size: 1
    .uses_dynamic_stack: false
    .vgpr_count:     126
    .vgpr_spill_count: 0
    .wavefront_size: 64
  - .args:
      - .address_space:  global
        .offset:         0
        .size:           8
        .value_kind:     global_buffer
      - .offset:         8
        .size:           4
        .value_kind:     by_value
      - .offset:         12
        .size:           4
        .value_kind:     by_value
      - .offset:         16
        .size:           8
        .value_kind:     by_value
      - .address_space:  global
        .offset:         24
        .size:           8
        .value_kind:     global_buffer
      - .offset:         32
        .size:           4
        .value_kind:     by_value
      - .offset:         40
        .size:           8
        .value_kind:     by_value
      - .address_space:  global
        .offset:         48
        .size:           8
        .value_kind:     global_buffer
      - .offset:         56
        .size:           1
        .value_kind:     by_value
      - .offset:         57
        .size:           1
        .value_kind:     by_value
    .group_segment_fixed_size: 356
    .kernarg_segment_align: 8
    .kernarg_segment_size: 60
    .language:       OpenCL C
    .language_version:
      - 2
      - 0
    .max_flat_workgroup_size: 64
    .name:           _ZN9rocsolver6v33100L18getri_kernel_smallILi22E19rocblas_complex_numIfEPS3_EEvT1_iilPiilS6_bb
    .private_segment_fixed_size: 192
    .sgpr_count:     28
    .sgpr_spill_count: 0
    .symbol:         _ZN9rocsolver6v33100L18getri_kernel_smallILi22E19rocblas_complex_numIfEPS3_EEvT1_iilPiilS6_bb.kd
    .uniform_work_group_size: 1
    .uses_dynamic_stack: false
    .vgpr_count:     136
    .vgpr_spill_count: 0
    .wavefront_size: 64
  - .args:
      - .address_space:  global
        .offset:         0
        .size:           8
        .value_kind:     global_buffer
      - .offset:         8
        .size:           4
        .value_kind:     by_value
      - .offset:         12
        .size:           4
        .value_kind:     by_value
      - .offset:         16
        .size:           8
        .value_kind:     by_value
      - .address_space:  global
        .offset:         24
        .size:           8
        .value_kind:     global_buffer
      - .offset:         32
        .size:           4
        .value_kind:     by_value
      - .offset:         40
        .size:           8
        .value_kind:     by_value
      - .address_space:  global
        .offset:         48
        .size:           8
        .value_kind:     global_buffer
      - .offset:         56
        .size:           1
        .value_kind:     by_value
      - .offset:         57
        .size:           1
        .value_kind:     by_value
    .group_segment_fixed_size: 376
    .kernarg_segment_align: 8
    .kernarg_segment_size: 60
    .language:       OpenCL C
    .language_version:
      - 2
      - 0
    .max_flat_workgroup_size: 64
    .name:           _ZN9rocsolver6v33100L18getri_kernel_smallILi23E19rocblas_complex_numIfEPS3_EEvT1_iilPiilS6_bb
    .private_segment_fixed_size: 192
    .sgpr_count:     28
    .sgpr_spill_count: 0
    .symbol:         _ZN9rocsolver6v33100L18getri_kernel_smallILi23E19rocblas_complex_numIfEPS3_EEvT1_iilPiilS6_bb.kd
    .uniform_work_group_size: 1
    .uses_dynamic_stack: false
    .vgpr_count:     140
    .vgpr_spill_count: 0
    .wavefront_size: 64
  - .args:
      - .address_space:  global
        .offset:         0
        .size:           8
        .value_kind:     global_buffer
      - .offset:         8
        .size:           4
        .value_kind:     by_value
      - .offset:         12
        .size:           4
        .value_kind:     by_value
      - .offset:         16
        .size:           8
        .value_kind:     by_value
      - .address_space:  global
        .offset:         24
        .size:           8
        .value_kind:     global_buffer
      - .offset:         32
        .size:           4
        .value_kind:     by_value
      - .offset:         40
        .size:           8
        .value_kind:     by_value
      - .address_space:  global
        .offset:         48
        .size:           8
        .value_kind:     global_buffer
      - .offset:         56
        .size:           1
        .value_kind:     by_value
      - .offset:         57
        .size:           1
        .value_kind:     by_value
    .group_segment_fixed_size: 388
    .kernarg_segment_align: 8
    .kernarg_segment_size: 60
    .language:       OpenCL C
    .language_version:
      - 2
      - 0
    .max_flat_workgroup_size: 64
    .name:           _ZN9rocsolver6v33100L18getri_kernel_smallILi24E19rocblas_complex_numIfEPS3_EEvT1_iilPiilS6_bb
    .private_segment_fixed_size: 208
    .sgpr_count:     28
    .sgpr_spill_count: 0
    .symbol:         _ZN9rocsolver6v33100L18getri_kernel_smallILi24E19rocblas_complex_numIfEPS3_EEvT1_iilPiilS6_bb.kd
    .uniform_work_group_size: 1
    .uses_dynamic_stack: false
    .vgpr_count:     145
    .vgpr_spill_count: 0
    .wavefront_size: 64
  - .args:
      - .address_space:  global
        .offset:         0
        .size:           8
        .value_kind:     global_buffer
      - .offset:         8
        .size:           4
        .value_kind:     by_value
      - .offset:         12
        .size:           4
        .value_kind:     by_value
      - .offset:         16
        .size:           8
        .value_kind:     by_value
      - .address_space:  global
        .offset:         24
        .size:           8
        .value_kind:     global_buffer
      - .offset:         32
        .size:           4
        .value_kind:     by_value
      - .offset:         40
        .size:           8
        .value_kind:     by_value
      - .address_space:  global
        .offset:         48
        .size:           8
        .value_kind:     global_buffer
      - .offset:         56
        .size:           1
        .value_kind:     by_value
      - .offset:         57
        .size:           1
        .value_kind:     by_value
    .group_segment_fixed_size: 408
    .kernarg_segment_align: 8
    .kernarg_segment_size: 60
    .language:       OpenCL C
    .language_version:
      - 2
      - 0
    .max_flat_workgroup_size: 64
    .name:           _ZN9rocsolver6v33100L18getri_kernel_smallILi25E19rocblas_complex_numIfEPS3_EEvT1_iilPiilS6_bb
    .private_segment_fixed_size: 208
    .sgpr_count:     28
    .sgpr_spill_count: 0
    .symbol:         _ZN9rocsolver6v33100L18getri_kernel_smallILi25E19rocblas_complex_numIfEPS3_EEvT1_iilPiilS6_bb.kd
    .uniform_work_group_size: 1
    .uses_dynamic_stack: false
    .vgpr_count:     150
    .vgpr_spill_count: 0
    .wavefront_size: 64
  - .args:
      - .address_space:  global
        .offset:         0
        .size:           8
        .value_kind:     global_buffer
      - .offset:         8
        .size:           4
        .value_kind:     by_value
      - .offset:         12
        .size:           4
        .value_kind:     by_value
      - .offset:         16
        .size:           8
        .value_kind:     by_value
      - .address_space:  global
        .offset:         24
        .size:           8
        .value_kind:     global_buffer
      - .offset:         32
        .size:           4
        .value_kind:     by_value
      - .offset:         40
        .size:           8
        .value_kind:     by_value
      - .address_space:  global
        .offset:         48
        .size:           8
        .value_kind:     global_buffer
      - .offset:         56
        .size:           1
        .value_kind:     by_value
      - .offset:         57
        .size:           1
        .value_kind:     by_value
    .group_segment_fixed_size: 420
    .kernarg_segment_align: 8
    .kernarg_segment_size: 60
    .language:       OpenCL C
    .language_version:
      - 2
      - 0
    .max_flat_workgroup_size: 64
    .name:           _ZN9rocsolver6v33100L18getri_kernel_smallILi26E19rocblas_complex_numIfEPS3_EEvT1_iilPiilS6_bb
    .private_segment_fixed_size: 224
    .sgpr_count:     28
    .sgpr_spill_count: 0
    .symbol:         _ZN9rocsolver6v33100L18getri_kernel_smallILi26E19rocblas_complex_numIfEPS3_EEvT1_iilPiilS6_bb.kd
    .uniform_work_group_size: 1
    .uses_dynamic_stack: false
    .vgpr_count:     157
    .vgpr_spill_count: 0
    .wavefront_size: 64
  - .args:
      - .address_space:  global
        .offset:         0
        .size:           8
        .value_kind:     global_buffer
      - .offset:         8
        .size:           4
        .value_kind:     by_value
      - .offset:         12
        .size:           4
        .value_kind:     by_value
      - .offset:         16
        .size:           8
        .value_kind:     by_value
      - .address_space:  global
        .offset:         24
        .size:           8
        .value_kind:     global_buffer
      - .offset:         32
        .size:           4
        .value_kind:     by_value
      - .offset:         40
        .size:           8
        .value_kind:     by_value
      - .address_space:  global
        .offset:         48
        .size:           8
        .value_kind:     global_buffer
      - .offset:         56
        .size:           1
        .value_kind:     by_value
      - .offset:         57
        .size:           1
        .value_kind:     by_value
    .group_segment_fixed_size: 440
    .kernarg_segment_align: 8
    .kernarg_segment_size: 60
    .language:       OpenCL C
    .language_version:
      - 2
      - 0
    .max_flat_workgroup_size: 64
    .name:           _ZN9rocsolver6v33100L18getri_kernel_smallILi27E19rocblas_complex_numIfEPS3_EEvT1_iilPiilS6_bb
    .private_segment_fixed_size: 224
    .sgpr_count:     28
    .sgpr_spill_count: 0
    .symbol:         _ZN9rocsolver6v33100L18getri_kernel_smallILi27E19rocblas_complex_numIfEPS3_EEvT1_iilPiilS6_bb.kd
    .uniform_work_group_size: 1
    .uses_dynamic_stack: false
    .vgpr_count:     163
    .vgpr_spill_count: 0
    .wavefront_size: 64
  - .args:
      - .address_space:  global
        .offset:         0
        .size:           8
        .value_kind:     global_buffer
      - .offset:         8
        .size:           4
        .value_kind:     by_value
      - .offset:         12
        .size:           4
        .value_kind:     by_value
      - .offset:         16
        .size:           8
        .value_kind:     by_value
      - .address_space:  global
        .offset:         24
        .size:           8
        .value_kind:     global_buffer
      - .offset:         32
        .size:           4
        .value_kind:     by_value
      - .offset:         40
        .size:           8
        .value_kind:     by_value
      - .address_space:  global
        .offset:         48
        .size:           8
        .value_kind:     global_buffer
      - .offset:         56
        .size:           1
        .value_kind:     by_value
      - .offset:         57
        .size:           1
        .value_kind:     by_value
    .group_segment_fixed_size: 452
    .kernarg_segment_align: 8
    .kernarg_segment_size: 60
    .language:       OpenCL C
    .language_version:
      - 2
      - 0
    .max_flat_workgroup_size: 64
    .name:           _ZN9rocsolver6v33100L18getri_kernel_smallILi28E19rocblas_complex_numIfEPS3_EEvT1_iilPiilS6_bb
    .private_segment_fixed_size: 240
    .sgpr_count:     28
    .sgpr_spill_count: 0
    .symbol:         _ZN9rocsolver6v33100L18getri_kernel_smallILi28E19rocblas_complex_numIfEPS3_EEvT1_iilPiilS6_bb.kd
    .uniform_work_group_size: 1
    .uses_dynamic_stack: false
    .vgpr_count:     169
    .vgpr_spill_count: 0
    .wavefront_size: 64
  - .args:
      - .address_space:  global
        .offset:         0
        .size:           8
        .value_kind:     global_buffer
      - .offset:         8
        .size:           4
        .value_kind:     by_value
      - .offset:         12
        .size:           4
        .value_kind:     by_value
      - .offset:         16
        .size:           8
        .value_kind:     by_value
      - .address_space:  global
        .offset:         24
        .size:           8
        .value_kind:     global_buffer
      - .offset:         32
        .size:           4
        .value_kind:     by_value
      - .offset:         40
        .size:           8
        .value_kind:     by_value
      - .address_space:  global
        .offset:         48
        .size:           8
        .value_kind:     global_buffer
      - .offset:         56
        .size:           1
        .value_kind:     by_value
      - .offset:         57
        .size:           1
        .value_kind:     by_value
    .group_segment_fixed_size: 472
    .kernarg_segment_align: 8
    .kernarg_segment_size: 60
    .language:       OpenCL C
    .language_version:
      - 2
      - 0
    .max_flat_workgroup_size: 64
    .name:           _ZN9rocsolver6v33100L18getri_kernel_smallILi29E19rocblas_complex_numIfEPS3_EEvT1_iilPiilS6_bb
    .private_segment_fixed_size: 240
    .sgpr_count:     28
    .sgpr_spill_count: 0
    .symbol:         _ZN9rocsolver6v33100L18getri_kernel_smallILi29E19rocblas_complex_numIfEPS3_EEvT1_iilPiilS6_bb.kd
    .uniform_work_group_size: 1
    .uses_dynamic_stack: false
    .vgpr_count:     174
    .vgpr_spill_count: 0
    .wavefront_size: 64
  - .args:
      - .address_space:  global
        .offset:         0
        .size:           8
        .value_kind:     global_buffer
      - .offset:         8
        .size:           4
        .value_kind:     by_value
      - .offset:         12
        .size:           4
        .value_kind:     by_value
      - .offset:         16
        .size:           8
        .value_kind:     by_value
      - .address_space:  global
        .offset:         24
        .size:           8
        .value_kind:     global_buffer
      - .offset:         32
        .size:           4
        .value_kind:     by_value
      - .offset:         40
        .size:           8
        .value_kind:     by_value
      - .address_space:  global
        .offset:         48
        .size:           8
        .value_kind:     global_buffer
      - .offset:         56
        .size:           1
        .value_kind:     by_value
      - .offset:         57
        .size:           1
        .value_kind:     by_value
    .group_segment_fixed_size: 484
    .kernarg_segment_align: 8
    .kernarg_segment_size: 60
    .language:       OpenCL C
    .language_version:
      - 2
      - 0
    .max_flat_workgroup_size: 64
    .name:           _ZN9rocsolver6v33100L18getri_kernel_smallILi30E19rocblas_complex_numIfEPS3_EEvT1_iilPiilS6_bb
    .private_segment_fixed_size: 256
    .sgpr_count:     28
    .sgpr_spill_count: 0
    .symbol:         _ZN9rocsolver6v33100L18getri_kernel_smallILi30E19rocblas_complex_numIfEPS3_EEvT1_iilPiilS6_bb.kd
    .uniform_work_group_size: 1
    .uses_dynamic_stack: false
    .vgpr_count:     181
    .vgpr_spill_count: 0
    .wavefront_size: 64
  - .args:
      - .address_space:  global
        .offset:         0
        .size:           8
        .value_kind:     global_buffer
      - .offset:         8
        .size:           4
        .value_kind:     by_value
      - .offset:         12
        .size:           4
        .value_kind:     by_value
      - .offset:         16
        .size:           8
        .value_kind:     by_value
      - .address_space:  global
        .offset:         24
        .size:           8
        .value_kind:     global_buffer
      - .offset:         32
        .size:           4
        .value_kind:     by_value
      - .offset:         40
        .size:           8
        .value_kind:     by_value
      - .address_space:  global
        .offset:         48
        .size:           8
        .value_kind:     global_buffer
      - .offset:         56
        .size:           1
        .value_kind:     by_value
      - .offset:         57
        .size:           1
        .value_kind:     by_value
    .group_segment_fixed_size: 504
    .kernarg_segment_align: 8
    .kernarg_segment_size: 60
    .language:       OpenCL C
    .language_version:
      - 2
      - 0
    .max_flat_workgroup_size: 64
    .name:           _ZN9rocsolver6v33100L18getri_kernel_smallILi31E19rocblas_complex_numIfEPS3_EEvT1_iilPiilS6_bb
    .private_segment_fixed_size: 256
    .sgpr_count:     28
    .sgpr_spill_count: 0
    .symbol:         _ZN9rocsolver6v33100L18getri_kernel_smallILi31E19rocblas_complex_numIfEPS3_EEvT1_iilPiilS6_bb.kd
    .uniform_work_group_size: 1
    .uses_dynamic_stack: false
    .vgpr_count:     187
    .vgpr_spill_count: 0
    .wavefront_size: 64
  - .args:
      - .address_space:  global
        .offset:         0
        .size:           8
        .value_kind:     global_buffer
      - .offset:         8
        .size:           4
        .value_kind:     by_value
      - .offset:         12
        .size:           4
        .value_kind:     by_value
      - .offset:         16
        .size:           8
        .value_kind:     by_value
      - .address_space:  global
        .offset:         24
        .size:           8
        .value_kind:     global_buffer
      - .offset:         32
        .size:           4
        .value_kind:     by_value
      - .offset:         40
        .size:           8
        .value_kind:     by_value
      - .address_space:  global
        .offset:         48
        .size:           8
        .value_kind:     global_buffer
      - .offset:         56
        .size:           1
        .value_kind:     by_value
      - .offset:         57
        .size:           1
        .value_kind:     by_value
    .group_segment_fixed_size: 516
    .kernarg_segment_align: 8
    .kernarg_segment_size: 60
    .language:       OpenCL C
    .language_version:
      - 2
      - 0
    .max_flat_workgroup_size: 64
    .name:           _ZN9rocsolver6v33100L18getri_kernel_smallILi32E19rocblas_complex_numIfEPS3_EEvT1_iilPiilS6_bb
    .private_segment_fixed_size: 272
    .sgpr_count:     28
    .sgpr_spill_count: 0
    .symbol:         _ZN9rocsolver6v33100L18getri_kernel_smallILi32E19rocblas_complex_numIfEPS3_EEvT1_iilPiilS6_bb.kd
    .uniform_work_group_size: 1
    .uses_dynamic_stack: false
    .vgpr_count:     193
    .vgpr_spill_count: 0
    .wavefront_size: 64
  - .args:
      - .address_space:  global
        .offset:         0
        .size:           8
        .value_kind:     global_buffer
      - .offset:         8
        .size:           4
        .value_kind:     by_value
      - .offset:         12
        .size:           4
        .value_kind:     by_value
      - .offset:         16
        .size:           8
        .value_kind:     by_value
      - .address_space:  global
        .offset:         24
        .size:           8
        .value_kind:     global_buffer
      - .offset:         32
        .size:           4
        .value_kind:     by_value
      - .offset:         40
        .size:           8
        .value_kind:     by_value
      - .address_space:  global
        .offset:         48
        .size:           8
        .value_kind:     global_buffer
      - .offset:         56
        .size:           1
        .value_kind:     by_value
      - .offset:         57
        .size:           1
        .value_kind:     by_value
    .group_segment_fixed_size: 536
    .kernarg_segment_align: 8
    .kernarg_segment_size: 60
    .language:       OpenCL C
    .language_version:
      - 2
      - 0
    .max_flat_workgroup_size: 64
    .name:           _ZN9rocsolver6v33100L18getri_kernel_smallILi33E19rocblas_complex_numIfEPS3_EEvT1_iilPiilS6_bb
    .private_segment_fixed_size: 272
    .sgpr_count:     28
    .sgpr_spill_count: 0
    .symbol:         _ZN9rocsolver6v33100L18getri_kernel_smallILi33E19rocblas_complex_numIfEPS3_EEvT1_iilPiilS6_bb.kd
    .uniform_work_group_size: 1
    .uses_dynamic_stack: false
    .vgpr_count:     198
    .vgpr_spill_count: 0
    .wavefront_size: 64
  - .args:
      - .address_space:  global
        .offset:         0
        .size:           8
        .value_kind:     global_buffer
      - .offset:         8
        .size:           4
        .value_kind:     by_value
      - .offset:         12
        .size:           4
        .value_kind:     by_value
      - .offset:         16
        .size:           8
        .value_kind:     by_value
      - .address_space:  global
        .offset:         24
        .size:           8
        .value_kind:     global_buffer
      - .offset:         32
        .size:           4
        .value_kind:     by_value
      - .offset:         40
        .size:           8
        .value_kind:     by_value
      - .address_space:  global
        .offset:         48
        .size:           8
        .value_kind:     global_buffer
      - .offset:         56
        .size:           1
        .value_kind:     by_value
      - .offset:         57
        .size:           1
        .value_kind:     by_value
    .group_segment_fixed_size: 548
    .kernarg_segment_align: 8
    .kernarg_segment_size: 60
    .language:       OpenCL C
    .language_version:
      - 2
      - 0
    .max_flat_workgroup_size: 64
    .name:           _ZN9rocsolver6v33100L18getri_kernel_smallILi34E19rocblas_complex_numIfEPS3_EEvT1_iilPiilS6_bb
    .private_segment_fixed_size: 288
    .sgpr_count:     28
    .sgpr_spill_count: 0
    .symbol:         _ZN9rocsolver6v33100L18getri_kernel_smallILi34E19rocblas_complex_numIfEPS3_EEvT1_iilPiilS6_bb.kd
    .uniform_work_group_size: 1
    .uses_dynamic_stack: false
    .vgpr_count:     205
    .vgpr_spill_count: 0
    .wavefront_size: 64
  - .args:
      - .address_space:  global
        .offset:         0
        .size:           8
        .value_kind:     global_buffer
      - .offset:         8
        .size:           4
        .value_kind:     by_value
      - .offset:         12
        .size:           4
        .value_kind:     by_value
      - .offset:         16
        .size:           8
        .value_kind:     by_value
      - .address_space:  global
        .offset:         24
        .size:           8
        .value_kind:     global_buffer
      - .offset:         32
        .size:           4
        .value_kind:     by_value
      - .offset:         40
        .size:           8
        .value_kind:     by_value
      - .address_space:  global
        .offset:         48
        .size:           8
        .value_kind:     global_buffer
      - .offset:         56
        .size:           1
        .value_kind:     by_value
      - .offset:         57
        .size:           1
        .value_kind:     by_value
    .group_segment_fixed_size: 568
    .kernarg_segment_align: 8
    .kernarg_segment_size: 60
    .language:       OpenCL C
    .language_version:
      - 2
      - 0
    .max_flat_workgroup_size: 64
    .name:           _ZN9rocsolver6v33100L18getri_kernel_smallILi35E19rocblas_complex_numIfEPS3_EEvT1_iilPiilS6_bb
    .private_segment_fixed_size: 288
    .sgpr_count:     28
    .sgpr_spill_count: 0
    .symbol:         _ZN9rocsolver6v33100L18getri_kernel_smallILi35E19rocblas_complex_numIfEPS3_EEvT1_iilPiilS6_bb.kd
    .uniform_work_group_size: 1
    .uses_dynamic_stack: false
    .vgpr_count:     211
    .vgpr_spill_count: 0
    .wavefront_size: 64
  - .args:
      - .address_space:  global
        .offset:         0
        .size:           8
        .value_kind:     global_buffer
      - .offset:         8
        .size:           4
        .value_kind:     by_value
      - .offset:         12
        .size:           4
        .value_kind:     by_value
      - .offset:         16
        .size:           8
        .value_kind:     by_value
      - .address_space:  global
        .offset:         24
        .size:           8
        .value_kind:     global_buffer
      - .offset:         32
        .size:           4
        .value_kind:     by_value
      - .offset:         40
        .size:           8
        .value_kind:     by_value
      - .address_space:  global
        .offset:         48
        .size:           8
        .value_kind:     global_buffer
      - .offset:         56
        .size:           1
        .value_kind:     by_value
      - .offset:         57
        .size:           1
        .value_kind:     by_value
    .group_segment_fixed_size: 580
    .kernarg_segment_align: 8
    .kernarg_segment_size: 60
    .language:       OpenCL C
    .language_version:
      - 2
      - 0
    .max_flat_workgroup_size: 64
    .name:           _ZN9rocsolver6v33100L18getri_kernel_smallILi36E19rocblas_complex_numIfEPS3_EEvT1_iilPiilS6_bb
    .private_segment_fixed_size: 304
    .sgpr_count:     28
    .sgpr_spill_count: 0
    .symbol:         _ZN9rocsolver6v33100L18getri_kernel_smallILi36E19rocblas_complex_numIfEPS3_EEvT1_iilPiilS6_bb.kd
    .uniform_work_group_size: 1
    .uses_dynamic_stack: false
    .vgpr_count:     217
    .vgpr_spill_count: 0
    .wavefront_size: 64
  - .args:
      - .address_space:  global
        .offset:         0
        .size:           8
        .value_kind:     global_buffer
      - .offset:         8
        .size:           4
        .value_kind:     by_value
      - .offset:         12
        .size:           4
        .value_kind:     by_value
      - .offset:         16
        .size:           8
        .value_kind:     by_value
      - .address_space:  global
        .offset:         24
        .size:           8
        .value_kind:     global_buffer
      - .offset:         32
        .size:           4
        .value_kind:     by_value
      - .offset:         40
        .size:           8
        .value_kind:     by_value
      - .address_space:  global
        .offset:         48
        .size:           8
        .value_kind:     global_buffer
      - .offset:         56
        .size:           1
        .value_kind:     by_value
      - .offset:         57
        .size:           1
        .value_kind:     by_value
    .group_segment_fixed_size: 600
    .kernarg_segment_align: 8
    .kernarg_segment_size: 60
    .language:       OpenCL C
    .language_version:
      - 2
      - 0
    .max_flat_workgroup_size: 64
    .name:           _ZN9rocsolver6v33100L18getri_kernel_smallILi37E19rocblas_complex_numIfEPS3_EEvT1_iilPiilS6_bb
    .private_segment_fixed_size: 304
    .sgpr_count:     28
    .sgpr_spill_count: 0
    .symbol:         _ZN9rocsolver6v33100L18getri_kernel_smallILi37E19rocblas_complex_numIfEPS3_EEvT1_iilPiilS6_bb.kd
    .uniform_work_group_size: 1
    .uses_dynamic_stack: false
    .vgpr_count:     222
    .vgpr_spill_count: 0
    .wavefront_size: 64
  - .args:
      - .address_space:  global
        .offset:         0
        .size:           8
        .value_kind:     global_buffer
      - .offset:         8
        .size:           4
        .value_kind:     by_value
      - .offset:         12
        .size:           4
        .value_kind:     by_value
      - .offset:         16
        .size:           8
        .value_kind:     by_value
      - .address_space:  global
        .offset:         24
        .size:           8
        .value_kind:     global_buffer
      - .offset:         32
        .size:           4
        .value_kind:     by_value
      - .offset:         40
        .size:           8
        .value_kind:     by_value
      - .address_space:  global
        .offset:         48
        .size:           8
        .value_kind:     global_buffer
      - .offset:         56
        .size:           1
        .value_kind:     by_value
      - .offset:         57
        .size:           1
        .value_kind:     by_value
    .group_segment_fixed_size: 612
    .kernarg_segment_align: 8
    .kernarg_segment_size: 60
    .language:       OpenCL C
    .language_version:
      - 2
      - 0
    .max_flat_workgroup_size: 64
    .name:           _ZN9rocsolver6v33100L18getri_kernel_smallILi38E19rocblas_complex_numIfEPS3_EEvT1_iilPiilS6_bb
    .private_segment_fixed_size: 320
    .sgpr_count:     28
    .sgpr_spill_count: 0
    .symbol:         _ZN9rocsolver6v33100L18getri_kernel_smallILi38E19rocblas_complex_numIfEPS3_EEvT1_iilPiilS6_bb.kd
    .uniform_work_group_size: 1
    .uses_dynamic_stack: false
    .vgpr_count:     229
    .vgpr_spill_count: 0
    .wavefront_size: 64
  - .args:
      - .address_space:  global
        .offset:         0
        .size:           8
        .value_kind:     global_buffer
      - .offset:         8
        .size:           4
        .value_kind:     by_value
      - .offset:         12
        .size:           4
        .value_kind:     by_value
      - .offset:         16
        .size:           8
        .value_kind:     by_value
      - .address_space:  global
        .offset:         24
        .size:           8
        .value_kind:     global_buffer
      - .offset:         32
        .size:           4
        .value_kind:     by_value
      - .offset:         40
        .size:           8
        .value_kind:     by_value
      - .address_space:  global
        .offset:         48
        .size:           8
        .value_kind:     global_buffer
      - .offset:         56
        .size:           1
        .value_kind:     by_value
      - .offset:         57
        .size:           1
        .value_kind:     by_value
    .group_segment_fixed_size: 632
    .kernarg_segment_align: 8
    .kernarg_segment_size: 60
    .language:       OpenCL C
    .language_version:
      - 2
      - 0
    .max_flat_workgroup_size: 64
    .name:           _ZN9rocsolver6v33100L18getri_kernel_smallILi39E19rocblas_complex_numIfEPS3_EEvT1_iilPiilS6_bb
    .private_segment_fixed_size: 320
    .sgpr_count:     28
    .sgpr_spill_count: 0
    .symbol:         _ZN9rocsolver6v33100L18getri_kernel_smallILi39E19rocblas_complex_numIfEPS3_EEvT1_iilPiilS6_bb.kd
    .uniform_work_group_size: 1
    .uses_dynamic_stack: false
    .vgpr_count:     235
    .vgpr_spill_count: 0
    .wavefront_size: 64
  - .args:
      - .address_space:  global
        .offset:         0
        .size:           8
        .value_kind:     global_buffer
      - .offset:         8
        .size:           4
        .value_kind:     by_value
      - .offset:         12
        .size:           4
        .value_kind:     by_value
      - .offset:         16
        .size:           8
        .value_kind:     by_value
      - .address_space:  global
        .offset:         24
        .size:           8
        .value_kind:     global_buffer
      - .offset:         32
        .size:           4
        .value_kind:     by_value
      - .offset:         40
        .size:           8
        .value_kind:     by_value
      - .address_space:  global
        .offset:         48
        .size:           8
        .value_kind:     global_buffer
      - .offset:         56
        .size:           1
        .value_kind:     by_value
      - .offset:         57
        .size:           1
        .value_kind:     by_value
    .group_segment_fixed_size: 644
    .kernarg_segment_align: 8
    .kernarg_segment_size: 60
    .language:       OpenCL C
    .language_version:
      - 2
      - 0
    .max_flat_workgroup_size: 64
    .name:           _ZN9rocsolver6v33100L18getri_kernel_smallILi40E19rocblas_complex_numIfEPS3_EEvT1_iilPiilS6_bb
    .private_segment_fixed_size: 336
    .sgpr_count:     28
    .sgpr_spill_count: 0
    .symbol:         _ZN9rocsolver6v33100L18getri_kernel_smallILi40E19rocblas_complex_numIfEPS3_EEvT1_iilPiilS6_bb.kd
    .uniform_work_group_size: 1
    .uses_dynamic_stack: false
    .vgpr_count:     241
    .vgpr_spill_count: 0
    .wavefront_size: 64
  - .args:
      - .address_space:  global
        .offset:         0
        .size:           8
        .value_kind:     global_buffer
      - .offset:         8
        .size:           4
        .value_kind:     by_value
      - .offset:         12
        .size:           4
        .value_kind:     by_value
      - .offset:         16
        .size:           8
        .value_kind:     by_value
      - .address_space:  global
        .offset:         24
        .size:           8
        .value_kind:     global_buffer
      - .offset:         32
        .size:           4
        .value_kind:     by_value
      - .offset:         40
        .size:           8
        .value_kind:     by_value
      - .address_space:  global
        .offset:         48
        .size:           8
        .value_kind:     global_buffer
      - .offset:         56
        .size:           1
        .value_kind:     by_value
      - .offset:         57
        .size:           1
        .value_kind:     by_value
    .group_segment_fixed_size: 664
    .kernarg_segment_align: 8
    .kernarg_segment_size: 60
    .language:       OpenCL C
    .language_version:
      - 2
      - 0
    .max_flat_workgroup_size: 64
    .name:           _ZN9rocsolver6v33100L18getri_kernel_smallILi41E19rocblas_complex_numIfEPS3_EEvT1_iilPiilS6_bb
    .private_segment_fixed_size: 336
    .sgpr_count:     28
    .sgpr_spill_count: 0
    .symbol:         _ZN9rocsolver6v33100L18getri_kernel_smallILi41E19rocblas_complex_numIfEPS3_EEvT1_iilPiilS6_bb.kd
    .uniform_work_group_size: 1
    .uses_dynamic_stack: false
    .vgpr_count:     246
    .vgpr_spill_count: 0
    .wavefront_size: 64
  - .args:
      - .address_space:  global
        .offset:         0
        .size:           8
        .value_kind:     global_buffer
      - .offset:         8
        .size:           4
        .value_kind:     by_value
      - .offset:         12
        .size:           4
        .value_kind:     by_value
      - .offset:         16
        .size:           8
        .value_kind:     by_value
      - .address_space:  global
        .offset:         24
        .size:           8
        .value_kind:     global_buffer
      - .offset:         32
        .size:           4
        .value_kind:     by_value
      - .offset:         40
        .size:           8
        .value_kind:     by_value
      - .address_space:  global
        .offset:         48
        .size:           8
        .value_kind:     global_buffer
      - .offset:         56
        .size:           1
        .value_kind:     by_value
      - .offset:         57
        .size:           1
        .value_kind:     by_value
    .group_segment_fixed_size: 676
    .kernarg_segment_align: 8
    .kernarg_segment_size: 60
    .language:       OpenCL C
    .language_version:
      - 2
      - 0
    .max_flat_workgroup_size: 64
    .name:           _ZN9rocsolver6v33100L18getri_kernel_smallILi42E19rocblas_complex_numIfEPS3_EEvT1_iilPiilS6_bb
    .private_segment_fixed_size: 352
    .sgpr_count:     28
    .sgpr_spill_count: 0
    .symbol:         _ZN9rocsolver6v33100L18getri_kernel_smallILi42E19rocblas_complex_numIfEPS3_EEvT1_iilPiilS6_bb.kd
    .uniform_work_group_size: 1
    .uses_dynamic_stack: false
    .vgpr_count:     253
    .vgpr_spill_count: 0
    .wavefront_size: 64
  - .args:
      - .address_space:  global
        .offset:         0
        .size:           8
        .value_kind:     global_buffer
      - .offset:         8
        .size:           4
        .value_kind:     by_value
      - .offset:         12
        .size:           4
        .value_kind:     by_value
      - .offset:         16
        .size:           8
        .value_kind:     by_value
      - .address_space:  global
        .offset:         24
        .size:           8
        .value_kind:     global_buffer
      - .offset:         32
        .size:           4
        .value_kind:     by_value
      - .offset:         40
        .size:           8
        .value_kind:     by_value
      - .address_space:  global
        .offset:         48
        .size:           8
        .value_kind:     global_buffer
      - .offset:         56
        .size:           1
        .value_kind:     by_value
      - .offset:         57
        .size:           1
        .value_kind:     by_value
    .group_segment_fixed_size: 696
    .kernarg_segment_align: 8
    .kernarg_segment_size: 60
    .language:       OpenCL C
    .language_version:
      - 2
      - 0
    .max_flat_workgroup_size: 64
    .name:           _ZN9rocsolver6v33100L18getri_kernel_smallILi43E19rocblas_complex_numIfEPS3_EEvT1_iilPiilS6_bb
    .private_segment_fixed_size: 368
    .sgpr_count:     28
    .sgpr_spill_count: 0
    .symbol:         _ZN9rocsolver6v33100L18getri_kernel_smallILi43E19rocblas_complex_numIfEPS3_EEvT1_iilPiilS6_bb.kd
    .uniform_work_group_size: 1
    .uses_dynamic_stack: false
    .vgpr_count:     256
    .vgpr_spill_count: 4
    .wavefront_size: 64
  - .args:
      - .address_space:  global
        .offset:         0
        .size:           8
        .value_kind:     global_buffer
      - .offset:         8
        .size:           4
        .value_kind:     by_value
      - .offset:         12
        .size:           4
        .value_kind:     by_value
      - .offset:         16
        .size:           8
        .value_kind:     by_value
      - .address_space:  global
        .offset:         24
        .size:           8
        .value_kind:     global_buffer
      - .offset:         32
        .size:           4
        .value_kind:     by_value
      - .offset:         40
        .size:           8
        .value_kind:     by_value
      - .address_space:  global
        .offset:         48
        .size:           8
        .value_kind:     global_buffer
      - .offset:         56
        .size:           1
        .value_kind:     by_value
      - .offset:         57
        .size:           1
        .value_kind:     by_value
    .group_segment_fixed_size: 708
    .kernarg_segment_align: 8
    .kernarg_segment_size: 60
    .language:       OpenCL C
    .language_version:
      - 2
      - 0
    .max_flat_workgroup_size: 64
    .name:           _ZN9rocsolver6v33100L18getri_kernel_smallILi44E19rocblas_complex_numIfEPS3_EEvT1_iilPiilS6_bb
    .private_segment_fixed_size: 400
    .sgpr_count:     28
    .sgpr_spill_count: 0
    .symbol:         _ZN9rocsolver6v33100L18getri_kernel_smallILi44E19rocblas_complex_numIfEPS3_EEvT1_iilPiilS6_bb.kd
    .uniform_work_group_size: 1
    .uses_dynamic_stack: false
    .vgpr_count:     256
    .vgpr_spill_count: 10
    .wavefront_size: 64
  - .args:
      - .address_space:  global
        .offset:         0
        .size:           8
        .value_kind:     global_buffer
      - .offset:         8
        .size:           4
        .value_kind:     by_value
      - .offset:         12
        .size:           4
        .value_kind:     by_value
      - .offset:         16
        .size:           8
        .value_kind:     by_value
      - .address_space:  global
        .offset:         24
        .size:           8
        .value_kind:     global_buffer
      - .offset:         32
        .size:           4
        .value_kind:     by_value
      - .offset:         40
        .size:           8
        .value_kind:     by_value
      - .address_space:  global
        .offset:         48
        .size:           8
        .value_kind:     global_buffer
      - .offset:         56
        .size:           1
        .value_kind:     by_value
      - .offset:         57
        .size:           1
        .value_kind:     by_value
    .group_segment_fixed_size: 728
    .kernarg_segment_align: 8
    .kernarg_segment_size: 60
    .language:       OpenCL C
    .language_version:
      - 2
      - 0
    .max_flat_workgroup_size: 64
    .name:           _ZN9rocsolver6v33100L18getri_kernel_smallILi45E19rocblas_complex_numIfEPS3_EEvT1_iilPiilS6_bb
    .private_segment_fixed_size: 432
    .sgpr_count:     28
    .sgpr_spill_count: 0
    .symbol:         _ZN9rocsolver6v33100L18getri_kernel_smallILi45E19rocblas_complex_numIfEPS3_EEvT1_iilPiilS6_bb.kd
    .uniform_work_group_size: 1
    .uses_dynamic_stack: false
    .vgpr_count:     256
    .vgpr_spill_count: 14
    .wavefront_size: 64
  - .args:
      - .address_space:  global
        .offset:         0
        .size:           8
        .value_kind:     global_buffer
      - .offset:         8
        .size:           4
        .value_kind:     by_value
      - .offset:         12
        .size:           4
        .value_kind:     by_value
      - .offset:         16
        .size:           8
        .value_kind:     by_value
      - .address_space:  global
        .offset:         24
        .size:           8
        .value_kind:     global_buffer
      - .offset:         32
        .size:           4
        .value_kind:     by_value
      - .offset:         40
        .size:           8
        .value_kind:     by_value
      - .address_space:  global
        .offset:         48
        .size:           8
        .value_kind:     global_buffer
      - .offset:         56
        .size:           1
        .value_kind:     by_value
      - .offset:         57
        .size:           1
        .value_kind:     by_value
    .group_segment_fixed_size: 740
    .kernarg_segment_align: 8
    .kernarg_segment_size: 60
    .language:       OpenCL C
    .language_version:
      - 2
      - 0
    .max_flat_workgroup_size: 64
    .name:           _ZN9rocsolver6v33100L18getri_kernel_smallILi46E19rocblas_complex_numIfEPS3_EEvT1_iilPiilS6_bb
    .private_segment_fixed_size: 464
    .sgpr_count:     28
    .sgpr_spill_count: 0
    .symbol:         _ZN9rocsolver6v33100L18getri_kernel_smallILi46E19rocblas_complex_numIfEPS3_EEvT1_iilPiilS6_bb.kd
    .uniform_work_group_size: 1
    .uses_dynamic_stack: false
    .vgpr_count:     256
    .vgpr_spill_count: 22
    .wavefront_size: 64
  - .args:
      - .address_space:  global
        .offset:         0
        .size:           8
        .value_kind:     global_buffer
      - .offset:         8
        .size:           4
        .value_kind:     by_value
      - .offset:         12
        .size:           4
        .value_kind:     by_value
      - .offset:         16
        .size:           8
        .value_kind:     by_value
      - .address_space:  global
        .offset:         24
        .size:           8
        .value_kind:     global_buffer
      - .offset:         32
        .size:           4
        .value_kind:     by_value
      - .offset:         40
        .size:           8
        .value_kind:     by_value
      - .address_space:  global
        .offset:         48
        .size:           8
        .value_kind:     global_buffer
      - .offset:         56
        .size:           1
        .value_kind:     by_value
      - .offset:         57
        .size:           1
        .value_kind:     by_value
    .group_segment_fixed_size: 760
    .kernarg_segment_align: 8
    .kernarg_segment_size: 60
    .language:       OpenCL C
    .language_version:
      - 2
      - 0
    .max_flat_workgroup_size: 64
    .name:           _ZN9rocsolver6v33100L18getri_kernel_smallILi47E19rocblas_complex_numIfEPS3_EEvT1_iilPiilS6_bb
    .private_segment_fixed_size: 496
    .sgpr_count:     28
    .sgpr_spill_count: 0
    .symbol:         _ZN9rocsolver6v33100L18getri_kernel_smallILi47E19rocblas_complex_numIfEPS3_EEvT1_iilPiilS6_bb.kd
    .uniform_work_group_size: 1
    .uses_dynamic_stack: false
    .vgpr_count:     256
    .vgpr_spill_count: 28
    .wavefront_size: 64
  - .args:
      - .address_space:  global
        .offset:         0
        .size:           8
        .value_kind:     global_buffer
      - .offset:         8
        .size:           4
        .value_kind:     by_value
      - .offset:         12
        .size:           4
        .value_kind:     by_value
      - .offset:         16
        .size:           8
        .value_kind:     by_value
      - .address_space:  global
        .offset:         24
        .size:           8
        .value_kind:     global_buffer
      - .offset:         32
        .size:           4
        .value_kind:     by_value
      - .offset:         40
        .size:           8
        .value_kind:     by_value
      - .address_space:  global
        .offset:         48
        .size:           8
        .value_kind:     global_buffer
      - .offset:         56
        .size:           1
        .value_kind:     by_value
      - .offset:         57
        .size:           1
        .value_kind:     by_value
    .group_segment_fixed_size: 772
    .kernarg_segment_align: 8
    .kernarg_segment_size: 60
    .language:       OpenCL C
    .language_version:
      - 2
      - 0
    .max_flat_workgroup_size: 64
    .name:           _ZN9rocsolver6v33100L18getri_kernel_smallILi48E19rocblas_complex_numIfEPS3_EEvT1_iilPiilS6_bb
    .private_segment_fixed_size: 528
    .sgpr_count:     28
    .sgpr_spill_count: 0
    .symbol:         _ZN9rocsolver6v33100L18getri_kernel_smallILi48E19rocblas_complex_numIfEPS3_EEvT1_iilPiilS6_bb.kd
    .uniform_work_group_size: 1
    .uses_dynamic_stack: false
    .vgpr_count:     256
    .vgpr_spill_count: 34
    .wavefront_size: 64
  - .args:
      - .address_space:  global
        .offset:         0
        .size:           8
        .value_kind:     global_buffer
      - .offset:         8
        .size:           4
        .value_kind:     by_value
      - .offset:         12
        .size:           4
        .value_kind:     by_value
      - .offset:         16
        .size:           8
        .value_kind:     by_value
      - .address_space:  global
        .offset:         24
        .size:           8
        .value_kind:     global_buffer
      - .offset:         32
        .size:           4
        .value_kind:     by_value
      - .offset:         40
        .size:           8
        .value_kind:     by_value
      - .address_space:  global
        .offset:         48
        .size:           8
        .value_kind:     global_buffer
      - .offset:         56
        .size:           1
        .value_kind:     by_value
      - .offset:         57
        .size:           1
        .value_kind:     by_value
    .group_segment_fixed_size: 792
    .kernarg_segment_align: 8
    .kernarg_segment_size: 60
    .language:       OpenCL C
    .language_version:
      - 2
      - 0
    .max_flat_workgroup_size: 64
    .name:           _ZN9rocsolver6v33100L18getri_kernel_smallILi49E19rocblas_complex_numIfEPS3_EEvT1_iilPiilS6_bb
    .private_segment_fixed_size: 560
    .sgpr_count:     28
    .sgpr_spill_count: 0
    .symbol:         _ZN9rocsolver6v33100L18getri_kernel_smallILi49E19rocblas_complex_numIfEPS3_EEvT1_iilPiilS6_bb.kd
    .uniform_work_group_size: 1
    .uses_dynamic_stack: false
    .vgpr_count:     256
    .vgpr_spill_count: 38
    .wavefront_size: 64
  - .args:
      - .address_space:  global
        .offset:         0
        .size:           8
        .value_kind:     global_buffer
      - .offset:         8
        .size:           4
        .value_kind:     by_value
      - .offset:         12
        .size:           4
        .value_kind:     by_value
      - .offset:         16
        .size:           8
        .value_kind:     by_value
      - .address_space:  global
        .offset:         24
        .size:           8
        .value_kind:     global_buffer
      - .offset:         32
        .size:           4
        .value_kind:     by_value
      - .offset:         40
        .size:           8
        .value_kind:     by_value
      - .address_space:  global
        .offset:         48
        .size:           8
        .value_kind:     global_buffer
      - .offset:         56
        .size:           1
        .value_kind:     by_value
      - .offset:         57
        .size:           1
        .value_kind:     by_value
    .group_segment_fixed_size: 804
    .kernarg_segment_align: 8
    .kernarg_segment_size: 60
    .language:       OpenCL C
    .language_version:
      - 2
      - 0
    .max_flat_workgroup_size: 64
    .name:           _ZN9rocsolver6v33100L18getri_kernel_smallILi50E19rocblas_complex_numIfEPS3_EEvT1_iilPiilS6_bb
    .private_segment_fixed_size: 592
    .sgpr_count:     28
    .sgpr_spill_count: 0
    .symbol:         _ZN9rocsolver6v33100L18getri_kernel_smallILi50E19rocblas_complex_numIfEPS3_EEvT1_iilPiilS6_bb.kd
    .uniform_work_group_size: 1
    .uses_dynamic_stack: false
    .vgpr_count:     256
    .vgpr_spill_count: 46
    .wavefront_size: 64
  - .args:
      - .address_space:  global
        .offset:         0
        .size:           8
        .value_kind:     global_buffer
      - .offset:         8
        .size:           4
        .value_kind:     by_value
      - .offset:         12
        .size:           4
        .value_kind:     by_value
      - .offset:         16
        .size:           8
        .value_kind:     by_value
      - .address_space:  global
        .offset:         24
        .size:           8
        .value_kind:     global_buffer
      - .offset:         32
        .size:           4
        .value_kind:     by_value
      - .offset:         40
        .size:           8
        .value_kind:     by_value
      - .address_space:  global
        .offset:         48
        .size:           8
        .value_kind:     global_buffer
      - .offset:         56
        .size:           1
        .value_kind:     by_value
      - .offset:         57
        .size:           1
        .value_kind:     by_value
    .group_segment_fixed_size: 824
    .kernarg_segment_align: 8
    .kernarg_segment_size: 60
    .language:       OpenCL C
    .language_version:
      - 2
      - 0
    .max_flat_workgroup_size: 64
    .name:           _ZN9rocsolver6v33100L18getri_kernel_smallILi51E19rocblas_complex_numIfEPS3_EEvT1_iilPiilS6_bb
    .private_segment_fixed_size: 624
    .sgpr_count:     28
    .sgpr_spill_count: 0
    .symbol:         _ZN9rocsolver6v33100L18getri_kernel_smallILi51E19rocblas_complex_numIfEPS3_EEvT1_iilPiilS6_bb.kd
    .uniform_work_group_size: 1
    .uses_dynamic_stack: false
    .vgpr_count:     256
    .vgpr_spill_count: 52
    .wavefront_size: 64
  - .args:
      - .address_space:  global
        .offset:         0
        .size:           8
        .value_kind:     global_buffer
      - .offset:         8
        .size:           4
        .value_kind:     by_value
      - .offset:         12
        .size:           4
        .value_kind:     by_value
      - .offset:         16
        .size:           8
        .value_kind:     by_value
      - .address_space:  global
        .offset:         24
        .size:           8
        .value_kind:     global_buffer
      - .offset:         32
        .size:           4
        .value_kind:     by_value
      - .offset:         40
        .size:           8
        .value_kind:     by_value
      - .address_space:  global
        .offset:         48
        .size:           8
        .value_kind:     global_buffer
      - .offset:         56
        .size:           1
        .value_kind:     by_value
      - .offset:         57
        .size:           1
        .value_kind:     by_value
    .group_segment_fixed_size: 836
    .kernarg_segment_align: 8
    .kernarg_segment_size: 60
    .language:       OpenCL C
    .language_version:
      - 2
      - 0
    .max_flat_workgroup_size: 64
    .name:           _ZN9rocsolver6v33100L18getri_kernel_smallILi52E19rocblas_complex_numIfEPS3_EEvT1_iilPiilS6_bb
    .private_segment_fixed_size: 656
    .sgpr_count:     28
    .sgpr_spill_count: 0
    .symbol:         _ZN9rocsolver6v33100L18getri_kernel_smallILi52E19rocblas_complex_numIfEPS3_EEvT1_iilPiilS6_bb.kd
    .uniform_work_group_size: 1
    .uses_dynamic_stack: false
    .vgpr_count:     256
    .vgpr_spill_count: 58
    .wavefront_size: 64
  - .args:
      - .address_space:  global
        .offset:         0
        .size:           8
        .value_kind:     global_buffer
      - .offset:         8
        .size:           4
        .value_kind:     by_value
      - .offset:         12
        .size:           4
        .value_kind:     by_value
      - .offset:         16
        .size:           8
        .value_kind:     by_value
      - .address_space:  global
        .offset:         24
        .size:           8
        .value_kind:     global_buffer
      - .offset:         32
        .size:           4
        .value_kind:     by_value
      - .offset:         40
        .size:           8
        .value_kind:     by_value
      - .address_space:  global
        .offset:         48
        .size:           8
        .value_kind:     global_buffer
      - .offset:         56
        .size:           1
        .value_kind:     by_value
      - .offset:         57
        .size:           1
        .value_kind:     by_value
    .group_segment_fixed_size: 856
    .kernarg_segment_align: 8
    .kernarg_segment_size: 60
    .language:       OpenCL C
    .language_version:
      - 2
      - 0
    .max_flat_workgroup_size: 64
    .name:           _ZN9rocsolver6v33100L18getri_kernel_smallILi53E19rocblas_complex_numIfEPS3_EEvT1_iilPiilS6_bb
    .private_segment_fixed_size: 688
    .sgpr_count:     28
    .sgpr_spill_count: 0
    .symbol:         _ZN9rocsolver6v33100L18getri_kernel_smallILi53E19rocblas_complex_numIfEPS3_EEvT1_iilPiilS6_bb.kd
    .uniform_work_group_size: 1
    .uses_dynamic_stack: false
    .vgpr_count:     256
    .vgpr_spill_count: 62
    .wavefront_size: 64
  - .args:
      - .address_space:  global
        .offset:         0
        .size:           8
        .value_kind:     global_buffer
      - .offset:         8
        .size:           4
        .value_kind:     by_value
      - .offset:         12
        .size:           4
        .value_kind:     by_value
      - .offset:         16
        .size:           8
        .value_kind:     by_value
      - .address_space:  global
        .offset:         24
        .size:           8
        .value_kind:     global_buffer
      - .offset:         32
        .size:           4
        .value_kind:     by_value
      - .offset:         40
        .size:           8
        .value_kind:     by_value
      - .address_space:  global
        .offset:         48
        .size:           8
        .value_kind:     global_buffer
      - .offset:         56
        .size:           1
        .value_kind:     by_value
      - .offset:         57
        .size:           1
        .value_kind:     by_value
    .group_segment_fixed_size: 868
    .kernarg_segment_align: 8
    .kernarg_segment_size: 60
    .language:       OpenCL C
    .language_version:
      - 2
      - 0
    .max_flat_workgroup_size: 64
    .name:           _ZN9rocsolver6v33100L18getri_kernel_smallILi54E19rocblas_complex_numIfEPS3_EEvT1_iilPiilS6_bb
    .private_segment_fixed_size: 720
    .sgpr_count:     28
    .sgpr_spill_count: 0
    .symbol:         _ZN9rocsolver6v33100L18getri_kernel_smallILi54E19rocblas_complex_numIfEPS3_EEvT1_iilPiilS6_bb.kd
    .uniform_work_group_size: 1
    .uses_dynamic_stack: false
    .vgpr_count:     256
    .vgpr_spill_count: 70
    .wavefront_size: 64
  - .args:
      - .address_space:  global
        .offset:         0
        .size:           8
        .value_kind:     global_buffer
      - .offset:         8
        .size:           4
        .value_kind:     by_value
      - .offset:         12
        .size:           4
        .value_kind:     by_value
      - .offset:         16
        .size:           8
        .value_kind:     by_value
      - .address_space:  global
        .offset:         24
        .size:           8
        .value_kind:     global_buffer
      - .offset:         32
        .size:           4
        .value_kind:     by_value
      - .offset:         40
        .size:           8
        .value_kind:     by_value
      - .address_space:  global
        .offset:         48
        .size:           8
        .value_kind:     global_buffer
      - .offset:         56
        .size:           1
        .value_kind:     by_value
      - .offset:         57
        .size:           1
        .value_kind:     by_value
    .group_segment_fixed_size: 888
    .kernarg_segment_align: 8
    .kernarg_segment_size: 60
    .language:       OpenCL C
    .language_version:
      - 2
      - 0
    .max_flat_workgroup_size: 64
    .name:           _ZN9rocsolver6v33100L18getri_kernel_smallILi55E19rocblas_complex_numIfEPS3_EEvT1_iilPiilS6_bb
    .private_segment_fixed_size: 752
    .sgpr_count:     28
    .sgpr_spill_count: 0
    .symbol:         _ZN9rocsolver6v33100L18getri_kernel_smallILi55E19rocblas_complex_numIfEPS3_EEvT1_iilPiilS6_bb.kd
    .uniform_work_group_size: 1
    .uses_dynamic_stack: false
    .vgpr_count:     256
    .vgpr_spill_count: 76
    .wavefront_size: 64
  - .args:
      - .address_space:  global
        .offset:         0
        .size:           8
        .value_kind:     global_buffer
      - .offset:         8
        .size:           4
        .value_kind:     by_value
      - .offset:         12
        .size:           4
        .value_kind:     by_value
      - .offset:         16
        .size:           8
        .value_kind:     by_value
      - .address_space:  global
        .offset:         24
        .size:           8
        .value_kind:     global_buffer
      - .offset:         32
        .size:           4
        .value_kind:     by_value
      - .offset:         40
        .size:           8
        .value_kind:     by_value
      - .address_space:  global
        .offset:         48
        .size:           8
        .value_kind:     global_buffer
      - .offset:         56
        .size:           1
        .value_kind:     by_value
      - .offset:         57
        .size:           1
        .value_kind:     by_value
    .group_segment_fixed_size: 900
    .kernarg_segment_align: 8
    .kernarg_segment_size: 60
    .language:       OpenCL C
    .language_version:
      - 2
      - 0
    .max_flat_workgroup_size: 64
    .name:           _ZN9rocsolver6v33100L18getri_kernel_smallILi56E19rocblas_complex_numIfEPS3_EEvT1_iilPiilS6_bb
    .private_segment_fixed_size: 784
    .sgpr_count:     28
    .sgpr_spill_count: 0
    .symbol:         _ZN9rocsolver6v33100L18getri_kernel_smallILi56E19rocblas_complex_numIfEPS3_EEvT1_iilPiilS6_bb.kd
    .uniform_work_group_size: 1
    .uses_dynamic_stack: false
    .vgpr_count:     256
    .vgpr_spill_count: 82
    .wavefront_size: 64
  - .args:
      - .address_space:  global
        .offset:         0
        .size:           8
        .value_kind:     global_buffer
      - .offset:         8
        .size:           4
        .value_kind:     by_value
      - .offset:         12
        .size:           4
        .value_kind:     by_value
      - .offset:         16
        .size:           8
        .value_kind:     by_value
      - .address_space:  global
        .offset:         24
        .size:           8
        .value_kind:     global_buffer
      - .offset:         32
        .size:           4
        .value_kind:     by_value
      - .offset:         40
        .size:           8
        .value_kind:     by_value
      - .address_space:  global
        .offset:         48
        .size:           8
        .value_kind:     global_buffer
      - .offset:         56
        .size:           1
        .value_kind:     by_value
      - .offset:         57
        .size:           1
        .value_kind:     by_value
    .group_segment_fixed_size: 920
    .kernarg_segment_align: 8
    .kernarg_segment_size: 60
    .language:       OpenCL C
    .language_version:
      - 2
      - 0
    .max_flat_workgroup_size: 64
    .name:           _ZN9rocsolver6v33100L18getri_kernel_smallILi57E19rocblas_complex_numIfEPS3_EEvT1_iilPiilS6_bb
    .private_segment_fixed_size: 816
    .sgpr_count:     28
    .sgpr_spill_count: 0
    .symbol:         _ZN9rocsolver6v33100L18getri_kernel_smallILi57E19rocblas_complex_numIfEPS3_EEvT1_iilPiilS6_bb.kd
    .uniform_work_group_size: 1
    .uses_dynamic_stack: false
    .vgpr_count:     256
    .vgpr_spill_count: 86
    .wavefront_size: 64
  - .args:
      - .address_space:  global
        .offset:         0
        .size:           8
        .value_kind:     global_buffer
      - .offset:         8
        .size:           4
        .value_kind:     by_value
      - .offset:         12
        .size:           4
        .value_kind:     by_value
      - .offset:         16
        .size:           8
        .value_kind:     by_value
      - .address_space:  global
        .offset:         24
        .size:           8
        .value_kind:     global_buffer
      - .offset:         32
        .size:           4
        .value_kind:     by_value
      - .offset:         40
        .size:           8
        .value_kind:     by_value
      - .address_space:  global
        .offset:         48
        .size:           8
        .value_kind:     global_buffer
      - .offset:         56
        .size:           1
        .value_kind:     by_value
      - .offset:         57
        .size:           1
        .value_kind:     by_value
    .group_segment_fixed_size: 932
    .kernarg_segment_align: 8
    .kernarg_segment_size: 60
    .language:       OpenCL C
    .language_version:
      - 2
      - 0
    .max_flat_workgroup_size: 64
    .name:           _ZN9rocsolver6v33100L18getri_kernel_smallILi58E19rocblas_complex_numIfEPS3_EEvT1_iilPiilS6_bb
    .private_segment_fixed_size: 848
    .sgpr_count:     28
    .sgpr_spill_count: 0
    .symbol:         _ZN9rocsolver6v33100L18getri_kernel_smallILi58E19rocblas_complex_numIfEPS3_EEvT1_iilPiilS6_bb.kd
    .uniform_work_group_size: 1
    .uses_dynamic_stack: false
    .vgpr_count:     256
    .vgpr_spill_count: 94
    .wavefront_size: 64
  - .args:
      - .address_space:  global
        .offset:         0
        .size:           8
        .value_kind:     global_buffer
      - .offset:         8
        .size:           4
        .value_kind:     by_value
      - .offset:         12
        .size:           4
        .value_kind:     by_value
      - .offset:         16
        .size:           8
        .value_kind:     by_value
      - .address_space:  global
        .offset:         24
        .size:           8
        .value_kind:     global_buffer
      - .offset:         32
        .size:           4
        .value_kind:     by_value
      - .offset:         40
        .size:           8
        .value_kind:     by_value
      - .address_space:  global
        .offset:         48
        .size:           8
        .value_kind:     global_buffer
      - .offset:         56
        .size:           1
        .value_kind:     by_value
      - .offset:         57
        .size:           1
        .value_kind:     by_value
    .group_segment_fixed_size: 952
    .kernarg_segment_align: 8
    .kernarg_segment_size: 60
    .language:       OpenCL C
    .language_version:
      - 2
      - 0
    .max_flat_workgroup_size: 64
    .name:           _ZN9rocsolver6v33100L18getri_kernel_smallILi59E19rocblas_complex_numIfEPS3_EEvT1_iilPiilS6_bb
    .private_segment_fixed_size: 880
    .sgpr_count:     28
    .sgpr_spill_count: 0
    .symbol:         _ZN9rocsolver6v33100L18getri_kernel_smallILi59E19rocblas_complex_numIfEPS3_EEvT1_iilPiilS6_bb.kd
    .uniform_work_group_size: 1
    .uses_dynamic_stack: false
    .vgpr_count:     256
    .vgpr_spill_count: 100
    .wavefront_size: 64
  - .args:
      - .address_space:  global
        .offset:         0
        .size:           8
        .value_kind:     global_buffer
      - .offset:         8
        .size:           4
        .value_kind:     by_value
      - .offset:         12
        .size:           4
        .value_kind:     by_value
      - .offset:         16
        .size:           8
        .value_kind:     by_value
      - .address_space:  global
        .offset:         24
        .size:           8
        .value_kind:     global_buffer
      - .offset:         32
        .size:           4
        .value_kind:     by_value
      - .offset:         40
        .size:           8
        .value_kind:     by_value
      - .address_space:  global
        .offset:         48
        .size:           8
        .value_kind:     global_buffer
      - .offset:         56
        .size:           1
        .value_kind:     by_value
      - .offset:         57
        .size:           1
        .value_kind:     by_value
    .group_segment_fixed_size: 964
    .kernarg_segment_align: 8
    .kernarg_segment_size: 60
    .language:       OpenCL C
    .language_version:
      - 2
      - 0
    .max_flat_workgroup_size: 64
    .name:           _ZN9rocsolver6v33100L18getri_kernel_smallILi60E19rocblas_complex_numIfEPS3_EEvT1_iilPiilS6_bb
    .private_segment_fixed_size: 912
    .sgpr_count:     28
    .sgpr_spill_count: 0
    .symbol:         _ZN9rocsolver6v33100L18getri_kernel_smallILi60E19rocblas_complex_numIfEPS3_EEvT1_iilPiilS6_bb.kd
    .uniform_work_group_size: 1
    .uses_dynamic_stack: false
    .vgpr_count:     256
    .vgpr_spill_count: 106
    .wavefront_size: 64
  - .args:
      - .address_space:  global
        .offset:         0
        .size:           8
        .value_kind:     global_buffer
      - .offset:         8
        .size:           4
        .value_kind:     by_value
      - .offset:         12
        .size:           4
        .value_kind:     by_value
      - .offset:         16
        .size:           8
        .value_kind:     by_value
      - .address_space:  global
        .offset:         24
        .size:           8
        .value_kind:     global_buffer
      - .offset:         32
        .size:           4
        .value_kind:     by_value
      - .offset:         40
        .size:           8
        .value_kind:     by_value
      - .address_space:  global
        .offset:         48
        .size:           8
        .value_kind:     global_buffer
      - .offset:         56
        .size:           1
        .value_kind:     by_value
      - .offset:         57
        .size:           1
        .value_kind:     by_value
    .group_segment_fixed_size: 984
    .kernarg_segment_align: 8
    .kernarg_segment_size: 60
    .language:       OpenCL C
    .language_version:
      - 2
      - 0
    .max_flat_workgroup_size: 64
    .name:           _ZN9rocsolver6v33100L18getri_kernel_smallILi61E19rocblas_complex_numIfEPS3_EEvT1_iilPiilS6_bb
    .private_segment_fixed_size: 944
    .sgpr_count:     28
    .sgpr_spill_count: 0
    .symbol:         _ZN9rocsolver6v33100L18getri_kernel_smallILi61E19rocblas_complex_numIfEPS3_EEvT1_iilPiilS6_bb.kd
    .uniform_work_group_size: 1
    .uses_dynamic_stack: false
    .vgpr_count:     256
    .vgpr_spill_count: 110
    .wavefront_size: 64
  - .args:
      - .address_space:  global
        .offset:         0
        .size:           8
        .value_kind:     global_buffer
      - .offset:         8
        .size:           4
        .value_kind:     by_value
      - .offset:         12
        .size:           4
        .value_kind:     by_value
      - .offset:         16
        .size:           8
        .value_kind:     by_value
      - .address_space:  global
        .offset:         24
        .size:           8
        .value_kind:     global_buffer
      - .offset:         32
        .size:           4
        .value_kind:     by_value
      - .offset:         40
        .size:           8
        .value_kind:     by_value
      - .address_space:  global
        .offset:         48
        .size:           8
        .value_kind:     global_buffer
      - .offset:         56
        .size:           1
        .value_kind:     by_value
      - .offset:         57
        .size:           1
        .value_kind:     by_value
    .group_segment_fixed_size: 996
    .kernarg_segment_align: 8
    .kernarg_segment_size: 60
    .language:       OpenCL C
    .language_version:
      - 2
      - 0
    .max_flat_workgroup_size: 64
    .name:           _ZN9rocsolver6v33100L18getri_kernel_smallILi62E19rocblas_complex_numIfEPS3_EEvT1_iilPiilS6_bb
    .private_segment_fixed_size: 960
    .sgpr_count:     28
    .sgpr_spill_count: 0
    .symbol:         _ZN9rocsolver6v33100L18getri_kernel_smallILi62E19rocblas_complex_numIfEPS3_EEvT1_iilPiilS6_bb.kd
    .uniform_work_group_size: 1
    .uses_dynamic_stack: false
    .vgpr_count:     256
    .vgpr_spill_count: 114
    .wavefront_size: 64
  - .args:
      - .address_space:  global
        .offset:         0
        .size:           8
        .value_kind:     global_buffer
      - .offset:         8
        .size:           4
        .value_kind:     by_value
      - .offset:         12
        .size:           4
        .value_kind:     by_value
      - .offset:         16
        .size:           8
        .value_kind:     by_value
      - .address_space:  global
        .offset:         24
        .size:           8
        .value_kind:     global_buffer
      - .offset:         32
        .size:           4
        .value_kind:     by_value
      - .offset:         40
        .size:           8
        .value_kind:     by_value
      - .address_space:  global
        .offset:         48
        .size:           8
        .value_kind:     global_buffer
      - .offset:         56
        .size:           1
        .value_kind:     by_value
      - .offset:         57
        .size:           1
        .value_kind:     by_value
    .group_segment_fixed_size: 1016
    .kernarg_segment_align: 8
    .kernarg_segment_size: 60
    .language:       OpenCL C
    .language_version:
      - 2
      - 0
    .max_flat_workgroup_size: 64
    .name:           _ZN9rocsolver6v33100L18getri_kernel_smallILi63E19rocblas_complex_numIfEPS3_EEvT1_iilPiilS6_bb
    .private_segment_fixed_size: 976
    .sgpr_count:     28
    .sgpr_spill_count: 0
    .symbol:         _ZN9rocsolver6v33100L18getri_kernel_smallILi63E19rocblas_complex_numIfEPS3_EEvT1_iilPiilS6_bb.kd
    .uniform_work_group_size: 1
    .uses_dynamic_stack: false
    .vgpr_count:     256
    .vgpr_spill_count: 116
    .wavefront_size: 64
  - .args:
      - .address_space:  global
        .offset:         0
        .size:           8
        .value_kind:     global_buffer
      - .offset:         8
        .size:           4
        .value_kind:     by_value
      - .offset:         12
        .size:           4
        .value_kind:     by_value
      - .offset:         16
        .size:           8
        .value_kind:     by_value
      - .address_space:  global
        .offset:         24
        .size:           8
        .value_kind:     global_buffer
      - .offset:         32
        .size:           4
        .value_kind:     by_value
      - .offset:         40
        .size:           8
        .value_kind:     by_value
      - .address_space:  global
        .offset:         48
        .size:           8
        .value_kind:     global_buffer
      - .offset:         56
        .size:           1
        .value_kind:     by_value
      - .offset:         57
        .size:           1
        .value_kind:     by_value
    .group_segment_fixed_size: 1028
    .kernarg_segment_align: 8
    .kernarg_segment_size: 60
    .language:       OpenCL C
    .language_version:
      - 2
      - 0
    .max_flat_workgroup_size: 64
    .name:           _ZN9rocsolver6v33100L18getri_kernel_smallILi64E19rocblas_complex_numIfEPS3_EEvT1_iilPiilS6_bb
    .private_segment_fixed_size: 1008
    .sgpr_count:     28
    .sgpr_spill_count: 0
    .symbol:         _ZN9rocsolver6v33100L18getri_kernel_smallILi64E19rocblas_complex_numIfEPS3_EEvT1_iilPiilS6_bb.kd
    .uniform_work_group_size: 1
    .uses_dynamic_stack: false
    .vgpr_count:     256
    .vgpr_spill_count: 120
    .wavefront_size: 64
  - .args:
      - .address_space:  global
        .offset:         0
        .size:           8
        .value_kind:     global_buffer
      - .offset:         8
        .size:           4
        .value_kind:     by_value
      - .offset:         12
        .size:           4
        .value_kind:     by_value
      - .offset:         16
        .size:           8
        .value_kind:     by_value
      - .address_space:  global
        .offset:         24
        .size:           8
        .value_kind:     global_buffer
      - .offset:         32
        .size:           4
        .value_kind:     by_value
      - .offset:         40
        .size:           8
        .value_kind:     by_value
      - .address_space:  global
        .offset:         48
        .size:           8
        .value_kind:     global_buffer
      - .offset:         56
        .size:           1
        .value_kind:     by_value
      - .offset:         57
        .size:           1
        .value_kind:     by_value
    .group_segment_fixed_size: 4
    .kernarg_segment_align: 8
    .kernarg_segment_size: 60
    .language:       OpenCL C
    .language_version:
      - 2
      - 0
    .max_flat_workgroup_size: 64
    .name:           _ZN9rocsolver6v33100L18getri_kernel_smallILi1E19rocblas_complex_numIfEPKPS3_EEvT1_iilPiilS8_bb
    .private_segment_fixed_size: 0
    .sgpr_count:     18
    .sgpr_spill_count: 0
    .symbol:         _ZN9rocsolver6v33100L18getri_kernel_smallILi1E19rocblas_complex_numIfEPKPS3_EEvT1_iilPiilS8_bb.kd
    .uniform_work_group_size: 1
    .uses_dynamic_stack: false
    .vgpr_count:     7
    .vgpr_spill_count: 0
    .wavefront_size: 64
  - .args:
      - .address_space:  global
        .offset:         0
        .size:           8
        .value_kind:     global_buffer
      - .offset:         8
        .size:           4
        .value_kind:     by_value
      - .offset:         12
        .size:           4
        .value_kind:     by_value
      - .offset:         16
        .size:           8
        .value_kind:     by_value
      - .address_space:  global
        .offset:         24
        .size:           8
        .value_kind:     global_buffer
      - .offset:         32
        .size:           4
        .value_kind:     by_value
      - .offset:         40
        .size:           8
        .value_kind:     by_value
      - .address_space:  global
        .offset:         48
        .size:           8
        .value_kind:     global_buffer
      - .offset:         56
        .size:           1
        .value_kind:     by_value
      - .offset:         57
        .size:           1
        .value_kind:     by_value
    .group_segment_fixed_size: 36
    .kernarg_segment_align: 8
    .kernarg_segment_size: 60
    .language:       OpenCL C
    .language_version:
      - 2
      - 0
    .max_flat_workgroup_size: 64
    .name:           _ZN9rocsolver6v33100L18getri_kernel_smallILi2E19rocblas_complex_numIfEPKPS3_EEvT1_iilPiilS8_bb
    .private_segment_fixed_size: 32
    .sgpr_count:     25
    .sgpr_spill_count: 0
    .symbol:         _ZN9rocsolver6v33100L18getri_kernel_smallILi2E19rocblas_complex_numIfEPKPS3_EEvT1_iilPiilS8_bb.kd
    .uniform_work_group_size: 1
    .uses_dynamic_stack: false
    .vgpr_count:     14
    .vgpr_spill_count: 0
    .wavefront_size: 64
  - .args:
      - .address_space:  global
        .offset:         0
        .size:           8
        .value_kind:     global_buffer
      - .offset:         8
        .size:           4
        .value_kind:     by_value
      - .offset:         12
        .size:           4
        .value_kind:     by_value
      - .offset:         16
        .size:           8
        .value_kind:     by_value
      - .address_space:  global
        .offset:         24
        .size:           8
        .value_kind:     global_buffer
      - .offset:         32
        .size:           4
        .value_kind:     by_value
      - .offset:         40
        .size:           8
        .value_kind:     by_value
      - .address_space:  global
        .offset:         48
        .size:           8
        .value_kind:     global_buffer
      - .offset:         56
        .size:           1
        .value_kind:     by_value
      - .offset:         57
        .size:           1
        .value_kind:     by_value
    .group_segment_fixed_size: 56
    .kernarg_segment_align: 8
    .kernarg_segment_size: 60
    .language:       OpenCL C
    .language_version:
      - 2
      - 0
    .max_flat_workgroup_size: 64
    .name:           _ZN9rocsolver6v33100L18getri_kernel_smallILi3E19rocblas_complex_numIfEPKPS3_EEvT1_iilPiilS8_bb
    .private_segment_fixed_size: 32
    .sgpr_count:     25
    .sgpr_spill_count: 0
    .symbol:         _ZN9rocsolver6v33100L18getri_kernel_smallILi3E19rocblas_complex_numIfEPKPS3_EEvT1_iilPiilS8_bb.kd
    .uniform_work_group_size: 1
    .uses_dynamic_stack: false
    .vgpr_count:     19
    .vgpr_spill_count: 0
    .wavefront_size: 64
  - .args:
      - .address_space:  global
        .offset:         0
        .size:           8
        .value_kind:     global_buffer
      - .offset:         8
        .size:           4
        .value_kind:     by_value
      - .offset:         12
        .size:           4
        .value_kind:     by_value
      - .offset:         16
        .size:           8
        .value_kind:     by_value
      - .address_space:  global
        .offset:         24
        .size:           8
        .value_kind:     global_buffer
      - .offset:         32
        .size:           4
        .value_kind:     by_value
      - .offset:         40
        .size:           8
        .value_kind:     by_value
      - .address_space:  global
        .offset:         48
        .size:           8
        .value_kind:     global_buffer
      - .offset:         56
        .size:           1
        .value_kind:     by_value
      - .offset:         57
        .size:           1
        .value_kind:     by_value
    .group_segment_fixed_size: 68
    .kernarg_segment_align: 8
    .kernarg_segment_size: 60
    .language:       OpenCL C
    .language_version:
      - 2
      - 0
    .max_flat_workgroup_size: 64
    .name:           _ZN9rocsolver6v33100L18getri_kernel_smallILi4E19rocblas_complex_numIfEPKPS3_EEvT1_iilPiilS8_bb
    .private_segment_fixed_size: 48
    .sgpr_count:     25
    .sgpr_spill_count: 0
    .symbol:         _ZN9rocsolver6v33100L18getri_kernel_smallILi4E19rocblas_complex_numIfEPKPS3_EEvT1_iilPiilS8_bb.kd
    .uniform_work_group_size: 1
    .uses_dynamic_stack: false
    .vgpr_count:     27
    .vgpr_spill_count: 0
    .wavefront_size: 64
  - .args:
      - .address_space:  global
        .offset:         0
        .size:           8
        .value_kind:     global_buffer
      - .offset:         8
        .size:           4
        .value_kind:     by_value
      - .offset:         12
        .size:           4
        .value_kind:     by_value
      - .offset:         16
        .size:           8
        .value_kind:     by_value
      - .address_space:  global
        .offset:         24
        .size:           8
        .value_kind:     global_buffer
      - .offset:         32
        .size:           4
        .value_kind:     by_value
      - .offset:         40
        .size:           8
        .value_kind:     by_value
      - .address_space:  global
        .offset:         48
        .size:           8
        .value_kind:     global_buffer
      - .offset:         56
        .size:           1
        .value_kind:     by_value
      - .offset:         57
        .size:           1
        .value_kind:     by_value
    .group_segment_fixed_size: 88
    .kernarg_segment_align: 8
    .kernarg_segment_size: 60
    .language:       OpenCL C
    .language_version:
      - 2
      - 0
    .max_flat_workgroup_size: 64
    .name:           _ZN9rocsolver6v33100L18getri_kernel_smallILi5E19rocblas_complex_numIfEPKPS3_EEvT1_iilPiilS8_bb
    .private_segment_fixed_size: 48
    .sgpr_count:     25
    .sgpr_spill_count: 0
    .symbol:         _ZN9rocsolver6v33100L18getri_kernel_smallILi5E19rocblas_complex_numIfEPKPS3_EEvT1_iilPiilS8_bb.kd
    .uniform_work_group_size: 1
    .uses_dynamic_stack: false
    .vgpr_count:     33
    .vgpr_spill_count: 0
    .wavefront_size: 64
  - .args:
      - .address_space:  global
        .offset:         0
        .size:           8
        .value_kind:     global_buffer
      - .offset:         8
        .size:           4
        .value_kind:     by_value
      - .offset:         12
        .size:           4
        .value_kind:     by_value
      - .offset:         16
        .size:           8
        .value_kind:     by_value
      - .address_space:  global
        .offset:         24
        .size:           8
        .value_kind:     global_buffer
      - .offset:         32
        .size:           4
        .value_kind:     by_value
      - .offset:         40
        .size:           8
        .value_kind:     by_value
      - .address_space:  global
        .offset:         48
        .size:           8
        .value_kind:     global_buffer
      - .offset:         56
        .size:           1
        .value_kind:     by_value
      - .offset:         57
        .size:           1
        .value_kind:     by_value
    .group_segment_fixed_size: 100
    .kernarg_segment_align: 8
    .kernarg_segment_size: 60
    .language:       OpenCL C
    .language_version:
      - 2
      - 0
    .max_flat_workgroup_size: 64
    .name:           _ZN9rocsolver6v33100L18getri_kernel_smallILi6E19rocblas_complex_numIfEPKPS3_EEvT1_iilPiilS8_bb
    .private_segment_fixed_size: 64
    .sgpr_count:     25
    .sgpr_spill_count: 0
    .symbol:         _ZN9rocsolver6v33100L18getri_kernel_smallILi6E19rocblas_complex_numIfEPKPS3_EEvT1_iilPiilS8_bb.kd
    .uniform_work_group_size: 1
    .uses_dynamic_stack: false
    .vgpr_count:     41
    .vgpr_spill_count: 0
    .wavefront_size: 64
  - .args:
      - .address_space:  global
        .offset:         0
        .size:           8
        .value_kind:     global_buffer
      - .offset:         8
        .size:           4
        .value_kind:     by_value
      - .offset:         12
        .size:           4
        .value_kind:     by_value
      - .offset:         16
        .size:           8
        .value_kind:     by_value
      - .address_space:  global
        .offset:         24
        .size:           8
        .value_kind:     global_buffer
      - .offset:         32
        .size:           4
        .value_kind:     by_value
      - .offset:         40
        .size:           8
        .value_kind:     by_value
      - .address_space:  global
        .offset:         48
        .size:           8
        .value_kind:     global_buffer
      - .offset:         56
        .size:           1
        .value_kind:     by_value
      - .offset:         57
        .size:           1
        .value_kind:     by_value
    .group_segment_fixed_size: 120
    .kernarg_segment_align: 8
    .kernarg_segment_size: 60
    .language:       OpenCL C
    .language_version:
      - 2
      - 0
    .max_flat_workgroup_size: 64
    .name:           _ZN9rocsolver6v33100L18getri_kernel_smallILi7E19rocblas_complex_numIfEPKPS3_EEvT1_iilPiilS8_bb
    .private_segment_fixed_size: 64
    .sgpr_count:     25
    .sgpr_spill_count: 0
    .symbol:         _ZN9rocsolver6v33100L18getri_kernel_smallILi7E19rocblas_complex_numIfEPKPS3_EEvT1_iilPiilS8_bb.kd
    .uniform_work_group_size: 1
    .uses_dynamic_stack: false
    .vgpr_count:     47
    .vgpr_spill_count: 0
    .wavefront_size: 64
  - .args:
      - .address_space:  global
        .offset:         0
        .size:           8
        .value_kind:     global_buffer
      - .offset:         8
        .size:           4
        .value_kind:     by_value
      - .offset:         12
        .size:           4
        .value_kind:     by_value
      - .offset:         16
        .size:           8
        .value_kind:     by_value
      - .address_space:  global
        .offset:         24
        .size:           8
        .value_kind:     global_buffer
      - .offset:         32
        .size:           4
        .value_kind:     by_value
      - .offset:         40
        .size:           8
        .value_kind:     by_value
      - .address_space:  global
        .offset:         48
        .size:           8
        .value_kind:     global_buffer
      - .offset:         56
        .size:           1
        .value_kind:     by_value
      - .offset:         57
        .size:           1
        .value_kind:     by_value
    .group_segment_fixed_size: 132
    .kernarg_segment_align: 8
    .kernarg_segment_size: 60
    .language:       OpenCL C
    .language_version:
      - 2
      - 0
    .max_flat_workgroup_size: 64
    .name:           _ZN9rocsolver6v33100L18getri_kernel_smallILi8E19rocblas_complex_numIfEPKPS3_EEvT1_iilPiilS8_bb
    .private_segment_fixed_size: 80
    .sgpr_count:     25
    .sgpr_spill_count: 0
    .symbol:         _ZN9rocsolver6v33100L18getri_kernel_smallILi8E19rocblas_complex_numIfEPKPS3_EEvT1_iilPiilS8_bb.kd
    .uniform_work_group_size: 1
    .uses_dynamic_stack: false
    .vgpr_count:     55
    .vgpr_spill_count: 0
    .wavefront_size: 64
  - .args:
      - .address_space:  global
        .offset:         0
        .size:           8
        .value_kind:     global_buffer
      - .offset:         8
        .size:           4
        .value_kind:     by_value
      - .offset:         12
        .size:           4
        .value_kind:     by_value
      - .offset:         16
        .size:           8
        .value_kind:     by_value
      - .address_space:  global
        .offset:         24
        .size:           8
        .value_kind:     global_buffer
      - .offset:         32
        .size:           4
        .value_kind:     by_value
      - .offset:         40
        .size:           8
        .value_kind:     by_value
      - .address_space:  global
        .offset:         48
        .size:           8
        .value_kind:     global_buffer
      - .offset:         56
        .size:           1
        .value_kind:     by_value
      - .offset:         57
        .size:           1
        .value_kind:     by_value
    .group_segment_fixed_size: 152
    .kernarg_segment_align: 8
    .kernarg_segment_size: 60
    .language:       OpenCL C
    .language_version:
      - 2
      - 0
    .max_flat_workgroup_size: 64
    .name:           _ZN9rocsolver6v33100L18getri_kernel_smallILi9E19rocblas_complex_numIfEPKPS3_EEvT1_iilPiilS8_bb
    .private_segment_fixed_size: 80
    .sgpr_count:     25
    .sgpr_spill_count: 0
    .symbol:         _ZN9rocsolver6v33100L18getri_kernel_smallILi9E19rocblas_complex_numIfEPKPS3_EEvT1_iilPiilS8_bb.kd
    .uniform_work_group_size: 1
    .uses_dynamic_stack: false
    .vgpr_count:     61
    .vgpr_spill_count: 0
    .wavefront_size: 64
  - .args:
      - .address_space:  global
        .offset:         0
        .size:           8
        .value_kind:     global_buffer
      - .offset:         8
        .size:           4
        .value_kind:     by_value
      - .offset:         12
        .size:           4
        .value_kind:     by_value
      - .offset:         16
        .size:           8
        .value_kind:     by_value
      - .address_space:  global
        .offset:         24
        .size:           8
        .value_kind:     global_buffer
      - .offset:         32
        .size:           4
        .value_kind:     by_value
      - .offset:         40
        .size:           8
        .value_kind:     by_value
      - .address_space:  global
        .offset:         48
        .size:           8
        .value_kind:     global_buffer
      - .offset:         56
        .size:           1
        .value_kind:     by_value
      - .offset:         57
        .size:           1
        .value_kind:     by_value
    .group_segment_fixed_size: 164
    .kernarg_segment_align: 8
    .kernarg_segment_size: 60
    .language:       OpenCL C
    .language_version:
      - 2
      - 0
    .max_flat_workgroup_size: 64
    .name:           _ZN9rocsolver6v33100L18getri_kernel_smallILi10E19rocblas_complex_numIfEPKPS3_EEvT1_iilPiilS8_bb
    .private_segment_fixed_size: 96
    .sgpr_count:     25
    .sgpr_spill_count: 0
    .symbol:         _ZN9rocsolver6v33100L18getri_kernel_smallILi10E19rocblas_complex_numIfEPKPS3_EEvT1_iilPiilS8_bb.kd
    .uniform_work_group_size: 1
    .uses_dynamic_stack: false
    .vgpr_count:     61
    .vgpr_spill_count: 0
    .wavefront_size: 64
  - .args:
      - .address_space:  global
        .offset:         0
        .size:           8
        .value_kind:     global_buffer
      - .offset:         8
        .size:           4
        .value_kind:     by_value
      - .offset:         12
        .size:           4
        .value_kind:     by_value
      - .offset:         16
        .size:           8
        .value_kind:     by_value
      - .address_space:  global
        .offset:         24
        .size:           8
        .value_kind:     global_buffer
      - .offset:         32
        .size:           4
        .value_kind:     by_value
      - .offset:         40
        .size:           8
        .value_kind:     by_value
      - .address_space:  global
        .offset:         48
        .size:           8
        .value_kind:     global_buffer
      - .offset:         56
        .size:           1
        .value_kind:     by_value
      - .offset:         57
        .size:           1
        .value_kind:     by_value
    .group_segment_fixed_size: 184
    .kernarg_segment_align: 8
    .kernarg_segment_size: 60
    .language:       OpenCL C
    .language_version:
      - 2
      - 0
    .max_flat_workgroup_size: 64
    .name:           _ZN9rocsolver6v33100L18getri_kernel_smallILi11E19rocblas_complex_numIfEPKPS3_EEvT1_iilPiilS8_bb
    .private_segment_fixed_size: 96
    .sgpr_count:     25
    .sgpr_spill_count: 0
    .symbol:         _ZN9rocsolver6v33100L18getri_kernel_smallILi11E19rocblas_complex_numIfEPKPS3_EEvT1_iilPiilS8_bb.kd
    .uniform_work_group_size: 1
    .uses_dynamic_stack: false
    .vgpr_count:     75
    .vgpr_spill_count: 0
    .wavefront_size: 64
  - .args:
      - .address_space:  global
        .offset:         0
        .size:           8
        .value_kind:     global_buffer
      - .offset:         8
        .size:           4
        .value_kind:     by_value
      - .offset:         12
        .size:           4
        .value_kind:     by_value
      - .offset:         16
        .size:           8
        .value_kind:     by_value
      - .address_space:  global
        .offset:         24
        .size:           8
        .value_kind:     global_buffer
      - .offset:         32
        .size:           4
        .value_kind:     by_value
      - .offset:         40
        .size:           8
        .value_kind:     by_value
      - .address_space:  global
        .offset:         48
        .size:           8
        .value_kind:     global_buffer
      - .offset:         56
        .size:           1
        .value_kind:     by_value
      - .offset:         57
        .size:           1
        .value_kind:     by_value
    .group_segment_fixed_size: 196
    .kernarg_segment_align: 8
    .kernarg_segment_size: 60
    .language:       OpenCL C
    .language_version:
      - 2
      - 0
    .max_flat_workgroup_size: 64
    .name:           _ZN9rocsolver6v33100L18getri_kernel_smallILi12E19rocblas_complex_numIfEPKPS3_EEvT1_iilPiilS8_bb
    .private_segment_fixed_size: 112
    .sgpr_count:     25
    .sgpr_spill_count: 0
    .symbol:         _ZN9rocsolver6v33100L18getri_kernel_smallILi12E19rocblas_complex_numIfEPKPS3_EEvT1_iilPiilS8_bb.kd
    .uniform_work_group_size: 1
    .uses_dynamic_stack: false
    .vgpr_count:     82
    .vgpr_spill_count: 0
    .wavefront_size: 64
  - .args:
      - .address_space:  global
        .offset:         0
        .size:           8
        .value_kind:     global_buffer
      - .offset:         8
        .size:           4
        .value_kind:     by_value
      - .offset:         12
        .size:           4
        .value_kind:     by_value
      - .offset:         16
        .size:           8
        .value_kind:     by_value
      - .address_space:  global
        .offset:         24
        .size:           8
        .value_kind:     global_buffer
      - .offset:         32
        .size:           4
        .value_kind:     by_value
      - .offset:         40
        .size:           8
        .value_kind:     by_value
      - .address_space:  global
        .offset:         48
        .size:           8
        .value_kind:     global_buffer
      - .offset:         56
        .size:           1
        .value_kind:     by_value
      - .offset:         57
        .size:           1
        .value_kind:     by_value
    .group_segment_fixed_size: 216
    .kernarg_segment_align: 8
    .kernarg_segment_size: 60
    .language:       OpenCL C
    .language_version:
      - 2
      - 0
    .max_flat_workgroup_size: 64
    .name:           _ZN9rocsolver6v33100L18getri_kernel_smallILi13E19rocblas_complex_numIfEPKPS3_EEvT1_iilPiilS8_bb
    .private_segment_fixed_size: 112
    .sgpr_count:     25
    .sgpr_spill_count: 0
    .symbol:         _ZN9rocsolver6v33100L18getri_kernel_smallILi13E19rocblas_complex_numIfEPKPS3_EEvT1_iilPiilS8_bb.kd
    .uniform_work_group_size: 1
    .uses_dynamic_stack: false
    .vgpr_count:     80
    .vgpr_spill_count: 0
    .wavefront_size: 64
  - .args:
      - .address_space:  global
        .offset:         0
        .size:           8
        .value_kind:     global_buffer
      - .offset:         8
        .size:           4
        .value_kind:     by_value
      - .offset:         12
        .size:           4
        .value_kind:     by_value
      - .offset:         16
        .size:           8
        .value_kind:     by_value
      - .address_space:  global
        .offset:         24
        .size:           8
        .value_kind:     global_buffer
      - .offset:         32
        .size:           4
        .value_kind:     by_value
      - .offset:         40
        .size:           8
        .value_kind:     by_value
      - .address_space:  global
        .offset:         48
        .size:           8
        .value_kind:     global_buffer
      - .offset:         56
        .size:           1
        .value_kind:     by_value
      - .offset:         57
        .size:           1
        .value_kind:     by_value
    .group_segment_fixed_size: 228
    .kernarg_segment_align: 8
    .kernarg_segment_size: 60
    .language:       OpenCL C
    .language_version:
      - 2
      - 0
    .max_flat_workgroup_size: 64
    .name:           _ZN9rocsolver6v33100L18getri_kernel_smallILi14E19rocblas_complex_numIfEPKPS3_EEvT1_iilPiilS8_bb
    .private_segment_fixed_size: 128
    .sgpr_count:     25
    .sgpr_spill_count: 0
    .symbol:         _ZN9rocsolver6v33100L18getri_kernel_smallILi14E19rocblas_complex_numIfEPKPS3_EEvT1_iilPiilS8_bb.kd
    .uniform_work_group_size: 1
    .uses_dynamic_stack: false
    .vgpr_count:     96
    .vgpr_spill_count: 0
    .wavefront_size: 64
  - .args:
      - .address_space:  global
        .offset:         0
        .size:           8
        .value_kind:     global_buffer
      - .offset:         8
        .size:           4
        .value_kind:     by_value
      - .offset:         12
        .size:           4
        .value_kind:     by_value
      - .offset:         16
        .size:           8
        .value_kind:     by_value
      - .address_space:  global
        .offset:         24
        .size:           8
        .value_kind:     global_buffer
      - .offset:         32
        .size:           4
        .value_kind:     by_value
      - .offset:         40
        .size:           8
        .value_kind:     by_value
      - .address_space:  global
        .offset:         48
        .size:           8
        .value_kind:     global_buffer
      - .offset:         56
        .size:           1
        .value_kind:     by_value
      - .offset:         57
        .size:           1
        .value_kind:     by_value
    .group_segment_fixed_size: 248
    .kernarg_segment_align: 8
    .kernarg_segment_size: 60
    .language:       OpenCL C
    .language_version:
      - 2
      - 0
    .max_flat_workgroup_size: 64
    .name:           _ZN9rocsolver6v33100L18getri_kernel_smallILi15E19rocblas_complex_numIfEPKPS3_EEvT1_iilPiilS8_bb
    .private_segment_fixed_size: 128
    .sgpr_count:     25
    .sgpr_spill_count: 0
    .symbol:         _ZN9rocsolver6v33100L18getri_kernel_smallILi15E19rocblas_complex_numIfEPKPS3_EEvT1_iilPiilS8_bb.kd
    .uniform_work_group_size: 1
    .uses_dynamic_stack: false
    .vgpr_count:     102
    .vgpr_spill_count: 0
    .wavefront_size: 64
  - .args:
      - .address_space:  global
        .offset:         0
        .size:           8
        .value_kind:     global_buffer
      - .offset:         8
        .size:           4
        .value_kind:     by_value
      - .offset:         12
        .size:           4
        .value_kind:     by_value
      - .offset:         16
        .size:           8
        .value_kind:     by_value
      - .address_space:  global
        .offset:         24
        .size:           8
        .value_kind:     global_buffer
      - .offset:         32
        .size:           4
        .value_kind:     by_value
      - .offset:         40
        .size:           8
        .value_kind:     by_value
      - .address_space:  global
        .offset:         48
        .size:           8
        .value_kind:     global_buffer
      - .offset:         56
        .size:           1
        .value_kind:     by_value
      - .offset:         57
        .size:           1
        .value_kind:     by_value
    .group_segment_fixed_size: 260
    .kernarg_segment_align: 8
    .kernarg_segment_size: 60
    .language:       OpenCL C
    .language_version:
      - 2
      - 0
    .max_flat_workgroup_size: 64
    .name:           _ZN9rocsolver6v33100L18getri_kernel_smallILi16E19rocblas_complex_numIfEPKPS3_EEvT1_iilPiilS8_bb
    .private_segment_fixed_size: 144
    .sgpr_count:     25
    .sgpr_spill_count: 0
    .symbol:         _ZN9rocsolver6v33100L18getri_kernel_smallILi16E19rocblas_complex_numIfEPKPS3_EEvT1_iilPiilS8_bb.kd
    .uniform_work_group_size: 1
    .uses_dynamic_stack: false
    .vgpr_count:     110
    .vgpr_spill_count: 0
    .wavefront_size: 64
  - .args:
      - .address_space:  global
        .offset:         0
        .size:           8
        .value_kind:     global_buffer
      - .offset:         8
        .size:           4
        .value_kind:     by_value
      - .offset:         12
        .size:           4
        .value_kind:     by_value
      - .offset:         16
        .size:           8
        .value_kind:     by_value
      - .address_space:  global
        .offset:         24
        .size:           8
        .value_kind:     global_buffer
      - .offset:         32
        .size:           4
        .value_kind:     by_value
      - .offset:         40
        .size:           8
        .value_kind:     by_value
      - .address_space:  global
        .offset:         48
        .size:           8
        .value_kind:     global_buffer
      - .offset:         56
        .size:           1
        .value_kind:     by_value
      - .offset:         57
        .size:           1
        .value_kind:     by_value
    .group_segment_fixed_size: 280
    .kernarg_segment_align: 8
    .kernarg_segment_size: 60
    .language:       OpenCL C
    .language_version:
      - 2
      - 0
    .max_flat_workgroup_size: 64
    .name:           _ZN9rocsolver6v33100L18getri_kernel_smallILi17E19rocblas_complex_numIfEPKPS3_EEvT1_iilPiilS8_bb
    .private_segment_fixed_size: 144
    .sgpr_count:     25
    .sgpr_spill_count: 0
    .symbol:         _ZN9rocsolver6v33100L18getri_kernel_smallILi17E19rocblas_complex_numIfEPKPS3_EEvT1_iilPiilS8_bb.kd
    .uniform_work_group_size: 1
    .uses_dynamic_stack: false
    .vgpr_count:     116
    .vgpr_spill_count: 0
    .wavefront_size: 64
  - .args:
      - .address_space:  global
        .offset:         0
        .size:           8
        .value_kind:     global_buffer
      - .offset:         8
        .size:           4
        .value_kind:     by_value
      - .offset:         12
        .size:           4
        .value_kind:     by_value
      - .offset:         16
        .size:           8
        .value_kind:     by_value
      - .address_space:  global
        .offset:         24
        .size:           8
        .value_kind:     global_buffer
      - .offset:         32
        .size:           4
        .value_kind:     by_value
      - .offset:         40
        .size:           8
        .value_kind:     by_value
      - .address_space:  global
        .offset:         48
        .size:           8
        .value_kind:     global_buffer
      - .offset:         56
        .size:           1
        .value_kind:     by_value
      - .offset:         57
        .size:           1
        .value_kind:     by_value
    .group_segment_fixed_size: 292
    .kernarg_segment_align: 8
    .kernarg_segment_size: 60
    .language:       OpenCL C
    .language_version:
      - 2
      - 0
    .max_flat_workgroup_size: 64
    .name:           _ZN9rocsolver6v33100L18getri_kernel_smallILi18E19rocblas_complex_numIfEPKPS3_EEvT1_iilPiilS8_bb
    .private_segment_fixed_size: 160
    .sgpr_count:     25
    .sgpr_spill_count: 0
    .symbol:         _ZN9rocsolver6v33100L18getri_kernel_smallILi18E19rocblas_complex_numIfEPKPS3_EEvT1_iilPiilS8_bb.kd
    .uniform_work_group_size: 1
    .uses_dynamic_stack: false
    .vgpr_count:     124
    .vgpr_spill_count: 0
    .wavefront_size: 64
  - .args:
      - .address_space:  global
        .offset:         0
        .size:           8
        .value_kind:     global_buffer
      - .offset:         8
        .size:           4
        .value_kind:     by_value
      - .offset:         12
        .size:           4
        .value_kind:     by_value
      - .offset:         16
        .size:           8
        .value_kind:     by_value
      - .address_space:  global
        .offset:         24
        .size:           8
        .value_kind:     global_buffer
      - .offset:         32
        .size:           4
        .value_kind:     by_value
      - .offset:         40
        .size:           8
        .value_kind:     by_value
      - .address_space:  global
        .offset:         48
        .size:           8
        .value_kind:     global_buffer
      - .offset:         56
        .size:           1
        .value_kind:     by_value
      - .offset:         57
        .size:           1
        .value_kind:     by_value
    .group_segment_fixed_size: 312
    .kernarg_segment_align: 8
    .kernarg_segment_size: 60
    .language:       OpenCL C
    .language_version:
      - 2
      - 0
    .max_flat_workgroup_size: 64
    .name:           _ZN9rocsolver6v33100L18getri_kernel_smallILi19E19rocblas_complex_numIfEPKPS3_EEvT1_iilPiilS8_bb
    .private_segment_fixed_size: 160
    .sgpr_count:     25
    .sgpr_spill_count: 0
    .symbol:         _ZN9rocsolver6v33100L18getri_kernel_smallILi19E19rocblas_complex_numIfEPKPS3_EEvT1_iilPiilS8_bb.kd
    .uniform_work_group_size: 1
    .uses_dynamic_stack: false
    .vgpr_count:     122
    .vgpr_spill_count: 0
    .wavefront_size: 64
  - .args:
      - .address_space:  global
        .offset:         0
        .size:           8
        .value_kind:     global_buffer
      - .offset:         8
        .size:           4
        .value_kind:     by_value
      - .offset:         12
        .size:           4
        .value_kind:     by_value
      - .offset:         16
        .size:           8
        .value_kind:     by_value
      - .address_space:  global
        .offset:         24
        .size:           8
        .value_kind:     global_buffer
      - .offset:         32
        .size:           4
        .value_kind:     by_value
      - .offset:         40
        .size:           8
        .value_kind:     by_value
      - .address_space:  global
        .offset:         48
        .size:           8
        .value_kind:     global_buffer
      - .offset:         56
        .size:           1
        .value_kind:     by_value
      - .offset:         57
        .size:           1
        .value_kind:     by_value
    .group_segment_fixed_size: 324
    .kernarg_segment_align: 8
    .kernarg_segment_size: 60
    .language:       OpenCL C
    .language_version:
      - 2
      - 0
    .max_flat_workgroup_size: 64
    .name:           _ZN9rocsolver6v33100L18getri_kernel_smallILi20E19rocblas_complex_numIfEPKPS3_EEvT1_iilPiilS8_bb
    .private_segment_fixed_size: 176
    .sgpr_count:     25
    .sgpr_spill_count: 0
    .symbol:         _ZN9rocsolver6v33100L18getri_kernel_smallILi20E19rocblas_complex_numIfEPKPS3_EEvT1_iilPiilS8_bb.kd
    .uniform_work_group_size: 1
    .uses_dynamic_stack: false
    .vgpr_count:     124
    .vgpr_spill_count: 0
    .wavefront_size: 64
  - .args:
      - .address_space:  global
        .offset:         0
        .size:           8
        .value_kind:     global_buffer
      - .offset:         8
        .size:           4
        .value_kind:     by_value
      - .offset:         12
        .size:           4
        .value_kind:     by_value
      - .offset:         16
        .size:           8
        .value_kind:     by_value
      - .address_space:  global
        .offset:         24
        .size:           8
        .value_kind:     global_buffer
      - .offset:         32
        .size:           4
        .value_kind:     by_value
      - .offset:         40
        .size:           8
        .value_kind:     by_value
      - .address_space:  global
        .offset:         48
        .size:           8
        .value_kind:     global_buffer
      - .offset:         56
        .size:           1
        .value_kind:     by_value
      - .offset:         57
        .size:           1
        .value_kind:     by_value
    .group_segment_fixed_size: 344
    .kernarg_segment_align: 8
    .kernarg_segment_size: 60
    .language:       OpenCL C
    .language_version:
      - 2
      - 0
    .max_flat_workgroup_size: 64
    .name:           _ZN9rocsolver6v33100L18getri_kernel_smallILi21E19rocblas_complex_numIfEPKPS3_EEvT1_iilPiilS8_bb
    .private_segment_fixed_size: 176
    .sgpr_count:     25
    .sgpr_spill_count: 0
    .symbol:         _ZN9rocsolver6v33100L18getri_kernel_smallILi21E19rocblas_complex_numIfEPKPS3_EEvT1_iilPiilS8_bb.kd
    .uniform_work_group_size: 1
    .uses_dynamic_stack: false
    .vgpr_count:     126
    .vgpr_spill_count: 0
    .wavefront_size: 64
  - .args:
      - .address_space:  global
        .offset:         0
        .size:           8
        .value_kind:     global_buffer
      - .offset:         8
        .size:           4
        .value_kind:     by_value
      - .offset:         12
        .size:           4
        .value_kind:     by_value
      - .offset:         16
        .size:           8
        .value_kind:     by_value
      - .address_space:  global
        .offset:         24
        .size:           8
        .value_kind:     global_buffer
      - .offset:         32
        .size:           4
        .value_kind:     by_value
      - .offset:         40
        .size:           8
        .value_kind:     by_value
      - .address_space:  global
        .offset:         48
        .size:           8
        .value_kind:     global_buffer
      - .offset:         56
        .size:           1
        .value_kind:     by_value
      - .offset:         57
        .size:           1
        .value_kind:     by_value
    .group_segment_fixed_size: 356
    .kernarg_segment_align: 8
    .kernarg_segment_size: 60
    .language:       OpenCL C
    .language_version:
      - 2
      - 0
    .max_flat_workgroup_size: 64
    .name:           _ZN9rocsolver6v33100L18getri_kernel_smallILi22E19rocblas_complex_numIfEPKPS3_EEvT1_iilPiilS8_bb
    .private_segment_fixed_size: 192
    .sgpr_count:     25
    .sgpr_spill_count: 0
    .symbol:         _ZN9rocsolver6v33100L18getri_kernel_smallILi22E19rocblas_complex_numIfEPKPS3_EEvT1_iilPiilS8_bb.kd
    .uniform_work_group_size: 1
    .uses_dynamic_stack: false
    .vgpr_count:     136
    .vgpr_spill_count: 0
    .wavefront_size: 64
  - .args:
      - .address_space:  global
        .offset:         0
        .size:           8
        .value_kind:     global_buffer
      - .offset:         8
        .size:           4
        .value_kind:     by_value
      - .offset:         12
        .size:           4
        .value_kind:     by_value
      - .offset:         16
        .size:           8
        .value_kind:     by_value
      - .address_space:  global
        .offset:         24
        .size:           8
        .value_kind:     global_buffer
      - .offset:         32
        .size:           4
        .value_kind:     by_value
      - .offset:         40
        .size:           8
        .value_kind:     by_value
      - .address_space:  global
        .offset:         48
        .size:           8
        .value_kind:     global_buffer
      - .offset:         56
        .size:           1
        .value_kind:     by_value
      - .offset:         57
        .size:           1
        .value_kind:     by_value
    .group_segment_fixed_size: 376
    .kernarg_segment_align: 8
    .kernarg_segment_size: 60
    .language:       OpenCL C
    .language_version:
      - 2
      - 0
    .max_flat_workgroup_size: 64
    .name:           _ZN9rocsolver6v33100L18getri_kernel_smallILi23E19rocblas_complex_numIfEPKPS3_EEvT1_iilPiilS8_bb
    .private_segment_fixed_size: 192
    .sgpr_count:     25
    .sgpr_spill_count: 0
    .symbol:         _ZN9rocsolver6v33100L18getri_kernel_smallILi23E19rocblas_complex_numIfEPKPS3_EEvT1_iilPiilS8_bb.kd
    .uniform_work_group_size: 1
    .uses_dynamic_stack: false
    .vgpr_count:     140
    .vgpr_spill_count: 0
    .wavefront_size: 64
  - .args:
      - .address_space:  global
        .offset:         0
        .size:           8
        .value_kind:     global_buffer
      - .offset:         8
        .size:           4
        .value_kind:     by_value
      - .offset:         12
        .size:           4
        .value_kind:     by_value
      - .offset:         16
        .size:           8
        .value_kind:     by_value
      - .address_space:  global
        .offset:         24
        .size:           8
        .value_kind:     global_buffer
      - .offset:         32
        .size:           4
        .value_kind:     by_value
      - .offset:         40
        .size:           8
        .value_kind:     by_value
      - .address_space:  global
        .offset:         48
        .size:           8
        .value_kind:     global_buffer
      - .offset:         56
        .size:           1
        .value_kind:     by_value
      - .offset:         57
        .size:           1
        .value_kind:     by_value
    .group_segment_fixed_size: 388
    .kernarg_segment_align: 8
    .kernarg_segment_size: 60
    .language:       OpenCL C
    .language_version:
      - 2
      - 0
    .max_flat_workgroup_size: 64
    .name:           _ZN9rocsolver6v33100L18getri_kernel_smallILi24E19rocblas_complex_numIfEPKPS3_EEvT1_iilPiilS8_bb
    .private_segment_fixed_size: 208
    .sgpr_count:     25
    .sgpr_spill_count: 0
    .symbol:         _ZN9rocsolver6v33100L18getri_kernel_smallILi24E19rocblas_complex_numIfEPKPS3_EEvT1_iilPiilS8_bb.kd
    .uniform_work_group_size: 1
    .uses_dynamic_stack: false
    .vgpr_count:     145
    .vgpr_spill_count: 0
    .wavefront_size: 64
  - .args:
      - .address_space:  global
        .offset:         0
        .size:           8
        .value_kind:     global_buffer
      - .offset:         8
        .size:           4
        .value_kind:     by_value
      - .offset:         12
        .size:           4
        .value_kind:     by_value
      - .offset:         16
        .size:           8
        .value_kind:     by_value
      - .address_space:  global
        .offset:         24
        .size:           8
        .value_kind:     global_buffer
      - .offset:         32
        .size:           4
        .value_kind:     by_value
      - .offset:         40
        .size:           8
        .value_kind:     by_value
      - .address_space:  global
        .offset:         48
        .size:           8
        .value_kind:     global_buffer
      - .offset:         56
        .size:           1
        .value_kind:     by_value
      - .offset:         57
        .size:           1
        .value_kind:     by_value
    .group_segment_fixed_size: 408
    .kernarg_segment_align: 8
    .kernarg_segment_size: 60
    .language:       OpenCL C
    .language_version:
      - 2
      - 0
    .max_flat_workgroup_size: 64
    .name:           _ZN9rocsolver6v33100L18getri_kernel_smallILi25E19rocblas_complex_numIfEPKPS3_EEvT1_iilPiilS8_bb
    .private_segment_fixed_size: 208
    .sgpr_count:     25
    .sgpr_spill_count: 0
    .symbol:         _ZN9rocsolver6v33100L18getri_kernel_smallILi25E19rocblas_complex_numIfEPKPS3_EEvT1_iilPiilS8_bb.kd
    .uniform_work_group_size: 1
    .uses_dynamic_stack: false
    .vgpr_count:     150
    .vgpr_spill_count: 0
    .wavefront_size: 64
  - .args:
      - .address_space:  global
        .offset:         0
        .size:           8
        .value_kind:     global_buffer
      - .offset:         8
        .size:           4
        .value_kind:     by_value
      - .offset:         12
        .size:           4
        .value_kind:     by_value
      - .offset:         16
        .size:           8
        .value_kind:     by_value
      - .address_space:  global
        .offset:         24
        .size:           8
        .value_kind:     global_buffer
      - .offset:         32
        .size:           4
        .value_kind:     by_value
      - .offset:         40
        .size:           8
        .value_kind:     by_value
      - .address_space:  global
        .offset:         48
        .size:           8
        .value_kind:     global_buffer
      - .offset:         56
        .size:           1
        .value_kind:     by_value
      - .offset:         57
        .size:           1
        .value_kind:     by_value
    .group_segment_fixed_size: 420
    .kernarg_segment_align: 8
    .kernarg_segment_size: 60
    .language:       OpenCL C
    .language_version:
      - 2
      - 0
    .max_flat_workgroup_size: 64
    .name:           _ZN9rocsolver6v33100L18getri_kernel_smallILi26E19rocblas_complex_numIfEPKPS3_EEvT1_iilPiilS8_bb
    .private_segment_fixed_size: 224
    .sgpr_count:     25
    .sgpr_spill_count: 0
    .symbol:         _ZN9rocsolver6v33100L18getri_kernel_smallILi26E19rocblas_complex_numIfEPKPS3_EEvT1_iilPiilS8_bb.kd
    .uniform_work_group_size: 1
    .uses_dynamic_stack: false
    .vgpr_count:     157
    .vgpr_spill_count: 0
    .wavefront_size: 64
  - .args:
      - .address_space:  global
        .offset:         0
        .size:           8
        .value_kind:     global_buffer
      - .offset:         8
        .size:           4
        .value_kind:     by_value
      - .offset:         12
        .size:           4
        .value_kind:     by_value
      - .offset:         16
        .size:           8
        .value_kind:     by_value
      - .address_space:  global
        .offset:         24
        .size:           8
        .value_kind:     global_buffer
      - .offset:         32
        .size:           4
        .value_kind:     by_value
      - .offset:         40
        .size:           8
        .value_kind:     by_value
      - .address_space:  global
        .offset:         48
        .size:           8
        .value_kind:     global_buffer
      - .offset:         56
        .size:           1
        .value_kind:     by_value
      - .offset:         57
        .size:           1
        .value_kind:     by_value
    .group_segment_fixed_size: 440
    .kernarg_segment_align: 8
    .kernarg_segment_size: 60
    .language:       OpenCL C
    .language_version:
      - 2
      - 0
    .max_flat_workgroup_size: 64
    .name:           _ZN9rocsolver6v33100L18getri_kernel_smallILi27E19rocblas_complex_numIfEPKPS3_EEvT1_iilPiilS8_bb
    .private_segment_fixed_size: 224
    .sgpr_count:     25
    .sgpr_spill_count: 0
    .symbol:         _ZN9rocsolver6v33100L18getri_kernel_smallILi27E19rocblas_complex_numIfEPKPS3_EEvT1_iilPiilS8_bb.kd
    .uniform_work_group_size: 1
    .uses_dynamic_stack: false
    .vgpr_count:     163
    .vgpr_spill_count: 0
    .wavefront_size: 64
  - .args:
      - .address_space:  global
        .offset:         0
        .size:           8
        .value_kind:     global_buffer
      - .offset:         8
        .size:           4
        .value_kind:     by_value
      - .offset:         12
        .size:           4
        .value_kind:     by_value
      - .offset:         16
        .size:           8
        .value_kind:     by_value
      - .address_space:  global
        .offset:         24
        .size:           8
        .value_kind:     global_buffer
      - .offset:         32
        .size:           4
        .value_kind:     by_value
      - .offset:         40
        .size:           8
        .value_kind:     by_value
      - .address_space:  global
        .offset:         48
        .size:           8
        .value_kind:     global_buffer
      - .offset:         56
        .size:           1
        .value_kind:     by_value
      - .offset:         57
        .size:           1
        .value_kind:     by_value
    .group_segment_fixed_size: 452
    .kernarg_segment_align: 8
    .kernarg_segment_size: 60
    .language:       OpenCL C
    .language_version:
      - 2
      - 0
    .max_flat_workgroup_size: 64
    .name:           _ZN9rocsolver6v33100L18getri_kernel_smallILi28E19rocblas_complex_numIfEPKPS3_EEvT1_iilPiilS8_bb
    .private_segment_fixed_size: 240
    .sgpr_count:     25
    .sgpr_spill_count: 0
    .symbol:         _ZN9rocsolver6v33100L18getri_kernel_smallILi28E19rocblas_complex_numIfEPKPS3_EEvT1_iilPiilS8_bb.kd
    .uniform_work_group_size: 1
    .uses_dynamic_stack: false
    .vgpr_count:     169
    .vgpr_spill_count: 0
    .wavefront_size: 64
  - .args:
      - .address_space:  global
        .offset:         0
        .size:           8
        .value_kind:     global_buffer
      - .offset:         8
        .size:           4
        .value_kind:     by_value
      - .offset:         12
        .size:           4
        .value_kind:     by_value
      - .offset:         16
        .size:           8
        .value_kind:     by_value
      - .address_space:  global
        .offset:         24
        .size:           8
        .value_kind:     global_buffer
      - .offset:         32
        .size:           4
        .value_kind:     by_value
      - .offset:         40
        .size:           8
        .value_kind:     by_value
      - .address_space:  global
        .offset:         48
        .size:           8
        .value_kind:     global_buffer
      - .offset:         56
        .size:           1
        .value_kind:     by_value
      - .offset:         57
        .size:           1
        .value_kind:     by_value
    .group_segment_fixed_size: 472
    .kernarg_segment_align: 8
    .kernarg_segment_size: 60
    .language:       OpenCL C
    .language_version:
      - 2
      - 0
    .max_flat_workgroup_size: 64
    .name:           _ZN9rocsolver6v33100L18getri_kernel_smallILi29E19rocblas_complex_numIfEPKPS3_EEvT1_iilPiilS8_bb
    .private_segment_fixed_size: 240
    .sgpr_count:     25
    .sgpr_spill_count: 0
    .symbol:         _ZN9rocsolver6v33100L18getri_kernel_smallILi29E19rocblas_complex_numIfEPKPS3_EEvT1_iilPiilS8_bb.kd
    .uniform_work_group_size: 1
    .uses_dynamic_stack: false
    .vgpr_count:     174
    .vgpr_spill_count: 0
    .wavefront_size: 64
  - .args:
      - .address_space:  global
        .offset:         0
        .size:           8
        .value_kind:     global_buffer
      - .offset:         8
        .size:           4
        .value_kind:     by_value
      - .offset:         12
        .size:           4
        .value_kind:     by_value
      - .offset:         16
        .size:           8
        .value_kind:     by_value
      - .address_space:  global
        .offset:         24
        .size:           8
        .value_kind:     global_buffer
      - .offset:         32
        .size:           4
        .value_kind:     by_value
      - .offset:         40
        .size:           8
        .value_kind:     by_value
      - .address_space:  global
        .offset:         48
        .size:           8
        .value_kind:     global_buffer
      - .offset:         56
        .size:           1
        .value_kind:     by_value
      - .offset:         57
        .size:           1
        .value_kind:     by_value
    .group_segment_fixed_size: 484
    .kernarg_segment_align: 8
    .kernarg_segment_size: 60
    .language:       OpenCL C
    .language_version:
      - 2
      - 0
    .max_flat_workgroup_size: 64
    .name:           _ZN9rocsolver6v33100L18getri_kernel_smallILi30E19rocblas_complex_numIfEPKPS3_EEvT1_iilPiilS8_bb
    .private_segment_fixed_size: 256
    .sgpr_count:     25
    .sgpr_spill_count: 0
    .symbol:         _ZN9rocsolver6v33100L18getri_kernel_smallILi30E19rocblas_complex_numIfEPKPS3_EEvT1_iilPiilS8_bb.kd
    .uniform_work_group_size: 1
    .uses_dynamic_stack: false
    .vgpr_count:     181
    .vgpr_spill_count: 0
    .wavefront_size: 64
  - .args:
      - .address_space:  global
        .offset:         0
        .size:           8
        .value_kind:     global_buffer
      - .offset:         8
        .size:           4
        .value_kind:     by_value
      - .offset:         12
        .size:           4
        .value_kind:     by_value
      - .offset:         16
        .size:           8
        .value_kind:     by_value
      - .address_space:  global
        .offset:         24
        .size:           8
        .value_kind:     global_buffer
      - .offset:         32
        .size:           4
        .value_kind:     by_value
      - .offset:         40
        .size:           8
        .value_kind:     by_value
      - .address_space:  global
        .offset:         48
        .size:           8
        .value_kind:     global_buffer
      - .offset:         56
        .size:           1
        .value_kind:     by_value
      - .offset:         57
        .size:           1
        .value_kind:     by_value
    .group_segment_fixed_size: 504
    .kernarg_segment_align: 8
    .kernarg_segment_size: 60
    .language:       OpenCL C
    .language_version:
      - 2
      - 0
    .max_flat_workgroup_size: 64
    .name:           _ZN9rocsolver6v33100L18getri_kernel_smallILi31E19rocblas_complex_numIfEPKPS3_EEvT1_iilPiilS8_bb
    .private_segment_fixed_size: 256
    .sgpr_count:     25
    .sgpr_spill_count: 0
    .symbol:         _ZN9rocsolver6v33100L18getri_kernel_smallILi31E19rocblas_complex_numIfEPKPS3_EEvT1_iilPiilS8_bb.kd
    .uniform_work_group_size: 1
    .uses_dynamic_stack: false
    .vgpr_count:     187
    .vgpr_spill_count: 0
    .wavefront_size: 64
  - .args:
      - .address_space:  global
        .offset:         0
        .size:           8
        .value_kind:     global_buffer
      - .offset:         8
        .size:           4
        .value_kind:     by_value
      - .offset:         12
        .size:           4
        .value_kind:     by_value
      - .offset:         16
        .size:           8
        .value_kind:     by_value
      - .address_space:  global
        .offset:         24
        .size:           8
        .value_kind:     global_buffer
      - .offset:         32
        .size:           4
        .value_kind:     by_value
      - .offset:         40
        .size:           8
        .value_kind:     by_value
      - .address_space:  global
        .offset:         48
        .size:           8
        .value_kind:     global_buffer
      - .offset:         56
        .size:           1
        .value_kind:     by_value
      - .offset:         57
        .size:           1
        .value_kind:     by_value
    .group_segment_fixed_size: 516
    .kernarg_segment_align: 8
    .kernarg_segment_size: 60
    .language:       OpenCL C
    .language_version:
      - 2
      - 0
    .max_flat_workgroup_size: 64
    .name:           _ZN9rocsolver6v33100L18getri_kernel_smallILi32E19rocblas_complex_numIfEPKPS3_EEvT1_iilPiilS8_bb
    .private_segment_fixed_size: 272
    .sgpr_count:     25
    .sgpr_spill_count: 0
    .symbol:         _ZN9rocsolver6v33100L18getri_kernel_smallILi32E19rocblas_complex_numIfEPKPS3_EEvT1_iilPiilS8_bb.kd
    .uniform_work_group_size: 1
    .uses_dynamic_stack: false
    .vgpr_count:     193
    .vgpr_spill_count: 0
    .wavefront_size: 64
  - .args:
      - .address_space:  global
        .offset:         0
        .size:           8
        .value_kind:     global_buffer
      - .offset:         8
        .size:           4
        .value_kind:     by_value
      - .offset:         12
        .size:           4
        .value_kind:     by_value
      - .offset:         16
        .size:           8
        .value_kind:     by_value
      - .address_space:  global
        .offset:         24
        .size:           8
        .value_kind:     global_buffer
      - .offset:         32
        .size:           4
        .value_kind:     by_value
      - .offset:         40
        .size:           8
        .value_kind:     by_value
      - .address_space:  global
        .offset:         48
        .size:           8
        .value_kind:     global_buffer
      - .offset:         56
        .size:           1
        .value_kind:     by_value
      - .offset:         57
        .size:           1
        .value_kind:     by_value
    .group_segment_fixed_size: 536
    .kernarg_segment_align: 8
    .kernarg_segment_size: 60
    .language:       OpenCL C
    .language_version:
      - 2
      - 0
    .max_flat_workgroup_size: 64
    .name:           _ZN9rocsolver6v33100L18getri_kernel_smallILi33E19rocblas_complex_numIfEPKPS3_EEvT1_iilPiilS8_bb
    .private_segment_fixed_size: 272
    .sgpr_count:     25
    .sgpr_spill_count: 0
    .symbol:         _ZN9rocsolver6v33100L18getri_kernel_smallILi33E19rocblas_complex_numIfEPKPS3_EEvT1_iilPiilS8_bb.kd
    .uniform_work_group_size: 1
    .uses_dynamic_stack: false
    .vgpr_count:     198
    .vgpr_spill_count: 0
    .wavefront_size: 64
  - .args:
      - .address_space:  global
        .offset:         0
        .size:           8
        .value_kind:     global_buffer
      - .offset:         8
        .size:           4
        .value_kind:     by_value
      - .offset:         12
        .size:           4
        .value_kind:     by_value
      - .offset:         16
        .size:           8
        .value_kind:     by_value
      - .address_space:  global
        .offset:         24
        .size:           8
        .value_kind:     global_buffer
      - .offset:         32
        .size:           4
        .value_kind:     by_value
      - .offset:         40
        .size:           8
        .value_kind:     by_value
      - .address_space:  global
        .offset:         48
        .size:           8
        .value_kind:     global_buffer
      - .offset:         56
        .size:           1
        .value_kind:     by_value
      - .offset:         57
        .size:           1
        .value_kind:     by_value
    .group_segment_fixed_size: 548
    .kernarg_segment_align: 8
    .kernarg_segment_size: 60
    .language:       OpenCL C
    .language_version:
      - 2
      - 0
    .max_flat_workgroup_size: 64
    .name:           _ZN9rocsolver6v33100L18getri_kernel_smallILi34E19rocblas_complex_numIfEPKPS3_EEvT1_iilPiilS8_bb
    .private_segment_fixed_size: 288
    .sgpr_count:     25
    .sgpr_spill_count: 0
    .symbol:         _ZN9rocsolver6v33100L18getri_kernel_smallILi34E19rocblas_complex_numIfEPKPS3_EEvT1_iilPiilS8_bb.kd
    .uniform_work_group_size: 1
    .uses_dynamic_stack: false
    .vgpr_count:     205
    .vgpr_spill_count: 0
    .wavefront_size: 64
  - .args:
      - .address_space:  global
        .offset:         0
        .size:           8
        .value_kind:     global_buffer
      - .offset:         8
        .size:           4
        .value_kind:     by_value
      - .offset:         12
        .size:           4
        .value_kind:     by_value
      - .offset:         16
        .size:           8
        .value_kind:     by_value
      - .address_space:  global
        .offset:         24
        .size:           8
        .value_kind:     global_buffer
      - .offset:         32
        .size:           4
        .value_kind:     by_value
      - .offset:         40
        .size:           8
        .value_kind:     by_value
      - .address_space:  global
        .offset:         48
        .size:           8
        .value_kind:     global_buffer
      - .offset:         56
        .size:           1
        .value_kind:     by_value
      - .offset:         57
        .size:           1
        .value_kind:     by_value
    .group_segment_fixed_size: 568
    .kernarg_segment_align: 8
    .kernarg_segment_size: 60
    .language:       OpenCL C
    .language_version:
      - 2
      - 0
    .max_flat_workgroup_size: 64
    .name:           _ZN9rocsolver6v33100L18getri_kernel_smallILi35E19rocblas_complex_numIfEPKPS3_EEvT1_iilPiilS8_bb
    .private_segment_fixed_size: 288
    .sgpr_count:     25
    .sgpr_spill_count: 0
    .symbol:         _ZN9rocsolver6v33100L18getri_kernel_smallILi35E19rocblas_complex_numIfEPKPS3_EEvT1_iilPiilS8_bb.kd
    .uniform_work_group_size: 1
    .uses_dynamic_stack: false
    .vgpr_count:     211
    .vgpr_spill_count: 0
    .wavefront_size: 64
  - .args:
      - .address_space:  global
        .offset:         0
        .size:           8
        .value_kind:     global_buffer
      - .offset:         8
        .size:           4
        .value_kind:     by_value
      - .offset:         12
        .size:           4
        .value_kind:     by_value
      - .offset:         16
        .size:           8
        .value_kind:     by_value
      - .address_space:  global
        .offset:         24
        .size:           8
        .value_kind:     global_buffer
      - .offset:         32
        .size:           4
        .value_kind:     by_value
      - .offset:         40
        .size:           8
        .value_kind:     by_value
      - .address_space:  global
        .offset:         48
        .size:           8
        .value_kind:     global_buffer
      - .offset:         56
        .size:           1
        .value_kind:     by_value
      - .offset:         57
        .size:           1
        .value_kind:     by_value
    .group_segment_fixed_size: 580
    .kernarg_segment_align: 8
    .kernarg_segment_size: 60
    .language:       OpenCL C
    .language_version:
      - 2
      - 0
    .max_flat_workgroup_size: 64
    .name:           _ZN9rocsolver6v33100L18getri_kernel_smallILi36E19rocblas_complex_numIfEPKPS3_EEvT1_iilPiilS8_bb
    .private_segment_fixed_size: 304
    .sgpr_count:     25
    .sgpr_spill_count: 0
    .symbol:         _ZN9rocsolver6v33100L18getri_kernel_smallILi36E19rocblas_complex_numIfEPKPS3_EEvT1_iilPiilS8_bb.kd
    .uniform_work_group_size: 1
    .uses_dynamic_stack: false
    .vgpr_count:     217
    .vgpr_spill_count: 0
    .wavefront_size: 64
  - .args:
      - .address_space:  global
        .offset:         0
        .size:           8
        .value_kind:     global_buffer
      - .offset:         8
        .size:           4
        .value_kind:     by_value
      - .offset:         12
        .size:           4
        .value_kind:     by_value
      - .offset:         16
        .size:           8
        .value_kind:     by_value
      - .address_space:  global
        .offset:         24
        .size:           8
        .value_kind:     global_buffer
      - .offset:         32
        .size:           4
        .value_kind:     by_value
      - .offset:         40
        .size:           8
        .value_kind:     by_value
      - .address_space:  global
        .offset:         48
        .size:           8
        .value_kind:     global_buffer
      - .offset:         56
        .size:           1
        .value_kind:     by_value
      - .offset:         57
        .size:           1
        .value_kind:     by_value
    .group_segment_fixed_size: 600
    .kernarg_segment_align: 8
    .kernarg_segment_size: 60
    .language:       OpenCL C
    .language_version:
      - 2
      - 0
    .max_flat_workgroup_size: 64
    .name:           _ZN9rocsolver6v33100L18getri_kernel_smallILi37E19rocblas_complex_numIfEPKPS3_EEvT1_iilPiilS8_bb
    .private_segment_fixed_size: 304
    .sgpr_count:     25
    .sgpr_spill_count: 0
    .symbol:         _ZN9rocsolver6v33100L18getri_kernel_smallILi37E19rocblas_complex_numIfEPKPS3_EEvT1_iilPiilS8_bb.kd
    .uniform_work_group_size: 1
    .uses_dynamic_stack: false
    .vgpr_count:     222
    .vgpr_spill_count: 0
    .wavefront_size: 64
  - .args:
      - .address_space:  global
        .offset:         0
        .size:           8
        .value_kind:     global_buffer
      - .offset:         8
        .size:           4
        .value_kind:     by_value
      - .offset:         12
        .size:           4
        .value_kind:     by_value
      - .offset:         16
        .size:           8
        .value_kind:     by_value
      - .address_space:  global
        .offset:         24
        .size:           8
        .value_kind:     global_buffer
      - .offset:         32
        .size:           4
        .value_kind:     by_value
      - .offset:         40
        .size:           8
        .value_kind:     by_value
      - .address_space:  global
        .offset:         48
        .size:           8
        .value_kind:     global_buffer
      - .offset:         56
        .size:           1
        .value_kind:     by_value
      - .offset:         57
        .size:           1
        .value_kind:     by_value
    .group_segment_fixed_size: 612
    .kernarg_segment_align: 8
    .kernarg_segment_size: 60
    .language:       OpenCL C
    .language_version:
      - 2
      - 0
    .max_flat_workgroup_size: 64
    .name:           _ZN9rocsolver6v33100L18getri_kernel_smallILi38E19rocblas_complex_numIfEPKPS3_EEvT1_iilPiilS8_bb
    .private_segment_fixed_size: 320
    .sgpr_count:     25
    .sgpr_spill_count: 0
    .symbol:         _ZN9rocsolver6v33100L18getri_kernel_smallILi38E19rocblas_complex_numIfEPKPS3_EEvT1_iilPiilS8_bb.kd
    .uniform_work_group_size: 1
    .uses_dynamic_stack: false
    .vgpr_count:     229
    .vgpr_spill_count: 0
    .wavefront_size: 64
  - .args:
      - .address_space:  global
        .offset:         0
        .size:           8
        .value_kind:     global_buffer
      - .offset:         8
        .size:           4
        .value_kind:     by_value
      - .offset:         12
        .size:           4
        .value_kind:     by_value
      - .offset:         16
        .size:           8
        .value_kind:     by_value
      - .address_space:  global
        .offset:         24
        .size:           8
        .value_kind:     global_buffer
      - .offset:         32
        .size:           4
        .value_kind:     by_value
      - .offset:         40
        .size:           8
        .value_kind:     by_value
      - .address_space:  global
        .offset:         48
        .size:           8
        .value_kind:     global_buffer
      - .offset:         56
        .size:           1
        .value_kind:     by_value
      - .offset:         57
        .size:           1
        .value_kind:     by_value
    .group_segment_fixed_size: 632
    .kernarg_segment_align: 8
    .kernarg_segment_size: 60
    .language:       OpenCL C
    .language_version:
      - 2
      - 0
    .max_flat_workgroup_size: 64
    .name:           _ZN9rocsolver6v33100L18getri_kernel_smallILi39E19rocblas_complex_numIfEPKPS3_EEvT1_iilPiilS8_bb
    .private_segment_fixed_size: 320
    .sgpr_count:     25
    .sgpr_spill_count: 0
    .symbol:         _ZN9rocsolver6v33100L18getri_kernel_smallILi39E19rocblas_complex_numIfEPKPS3_EEvT1_iilPiilS8_bb.kd
    .uniform_work_group_size: 1
    .uses_dynamic_stack: false
    .vgpr_count:     235
    .vgpr_spill_count: 0
    .wavefront_size: 64
  - .args:
      - .address_space:  global
        .offset:         0
        .size:           8
        .value_kind:     global_buffer
      - .offset:         8
        .size:           4
        .value_kind:     by_value
      - .offset:         12
        .size:           4
        .value_kind:     by_value
      - .offset:         16
        .size:           8
        .value_kind:     by_value
      - .address_space:  global
        .offset:         24
        .size:           8
        .value_kind:     global_buffer
      - .offset:         32
        .size:           4
        .value_kind:     by_value
      - .offset:         40
        .size:           8
        .value_kind:     by_value
      - .address_space:  global
        .offset:         48
        .size:           8
        .value_kind:     global_buffer
      - .offset:         56
        .size:           1
        .value_kind:     by_value
      - .offset:         57
        .size:           1
        .value_kind:     by_value
    .group_segment_fixed_size: 644
    .kernarg_segment_align: 8
    .kernarg_segment_size: 60
    .language:       OpenCL C
    .language_version:
      - 2
      - 0
    .max_flat_workgroup_size: 64
    .name:           _ZN9rocsolver6v33100L18getri_kernel_smallILi40E19rocblas_complex_numIfEPKPS3_EEvT1_iilPiilS8_bb
    .private_segment_fixed_size: 336
    .sgpr_count:     25
    .sgpr_spill_count: 0
    .symbol:         _ZN9rocsolver6v33100L18getri_kernel_smallILi40E19rocblas_complex_numIfEPKPS3_EEvT1_iilPiilS8_bb.kd
    .uniform_work_group_size: 1
    .uses_dynamic_stack: false
    .vgpr_count:     241
    .vgpr_spill_count: 0
    .wavefront_size: 64
  - .args:
      - .address_space:  global
        .offset:         0
        .size:           8
        .value_kind:     global_buffer
      - .offset:         8
        .size:           4
        .value_kind:     by_value
      - .offset:         12
        .size:           4
        .value_kind:     by_value
      - .offset:         16
        .size:           8
        .value_kind:     by_value
      - .address_space:  global
        .offset:         24
        .size:           8
        .value_kind:     global_buffer
      - .offset:         32
        .size:           4
        .value_kind:     by_value
      - .offset:         40
        .size:           8
        .value_kind:     by_value
      - .address_space:  global
        .offset:         48
        .size:           8
        .value_kind:     global_buffer
      - .offset:         56
        .size:           1
        .value_kind:     by_value
      - .offset:         57
        .size:           1
        .value_kind:     by_value
    .group_segment_fixed_size: 664
    .kernarg_segment_align: 8
    .kernarg_segment_size: 60
    .language:       OpenCL C
    .language_version:
      - 2
      - 0
    .max_flat_workgroup_size: 64
    .name:           _ZN9rocsolver6v33100L18getri_kernel_smallILi41E19rocblas_complex_numIfEPKPS3_EEvT1_iilPiilS8_bb
    .private_segment_fixed_size: 336
    .sgpr_count:     25
    .sgpr_spill_count: 0
    .symbol:         _ZN9rocsolver6v33100L18getri_kernel_smallILi41E19rocblas_complex_numIfEPKPS3_EEvT1_iilPiilS8_bb.kd
    .uniform_work_group_size: 1
    .uses_dynamic_stack: false
    .vgpr_count:     246
    .vgpr_spill_count: 0
    .wavefront_size: 64
  - .args:
      - .address_space:  global
        .offset:         0
        .size:           8
        .value_kind:     global_buffer
      - .offset:         8
        .size:           4
        .value_kind:     by_value
      - .offset:         12
        .size:           4
        .value_kind:     by_value
      - .offset:         16
        .size:           8
        .value_kind:     by_value
      - .address_space:  global
        .offset:         24
        .size:           8
        .value_kind:     global_buffer
      - .offset:         32
        .size:           4
        .value_kind:     by_value
      - .offset:         40
        .size:           8
        .value_kind:     by_value
      - .address_space:  global
        .offset:         48
        .size:           8
        .value_kind:     global_buffer
      - .offset:         56
        .size:           1
        .value_kind:     by_value
      - .offset:         57
        .size:           1
        .value_kind:     by_value
    .group_segment_fixed_size: 676
    .kernarg_segment_align: 8
    .kernarg_segment_size: 60
    .language:       OpenCL C
    .language_version:
      - 2
      - 0
    .max_flat_workgroup_size: 64
    .name:           _ZN9rocsolver6v33100L18getri_kernel_smallILi42E19rocblas_complex_numIfEPKPS3_EEvT1_iilPiilS8_bb
    .private_segment_fixed_size: 352
    .sgpr_count:     25
    .sgpr_spill_count: 0
    .symbol:         _ZN9rocsolver6v33100L18getri_kernel_smallILi42E19rocblas_complex_numIfEPKPS3_EEvT1_iilPiilS8_bb.kd
    .uniform_work_group_size: 1
    .uses_dynamic_stack: false
    .vgpr_count:     253
    .vgpr_spill_count: 0
    .wavefront_size: 64
  - .args:
      - .address_space:  global
        .offset:         0
        .size:           8
        .value_kind:     global_buffer
      - .offset:         8
        .size:           4
        .value_kind:     by_value
      - .offset:         12
        .size:           4
        .value_kind:     by_value
      - .offset:         16
        .size:           8
        .value_kind:     by_value
      - .address_space:  global
        .offset:         24
        .size:           8
        .value_kind:     global_buffer
      - .offset:         32
        .size:           4
        .value_kind:     by_value
      - .offset:         40
        .size:           8
        .value_kind:     by_value
      - .address_space:  global
        .offset:         48
        .size:           8
        .value_kind:     global_buffer
      - .offset:         56
        .size:           1
        .value_kind:     by_value
      - .offset:         57
        .size:           1
        .value_kind:     by_value
    .group_segment_fixed_size: 696
    .kernarg_segment_align: 8
    .kernarg_segment_size: 60
    .language:       OpenCL C
    .language_version:
      - 2
      - 0
    .max_flat_workgroup_size: 64
    .name:           _ZN9rocsolver6v33100L18getri_kernel_smallILi43E19rocblas_complex_numIfEPKPS3_EEvT1_iilPiilS8_bb
    .private_segment_fixed_size: 368
    .sgpr_count:     25
    .sgpr_spill_count: 0
    .symbol:         _ZN9rocsolver6v33100L18getri_kernel_smallILi43E19rocblas_complex_numIfEPKPS3_EEvT1_iilPiilS8_bb.kd
    .uniform_work_group_size: 1
    .uses_dynamic_stack: false
    .vgpr_count:     256
    .vgpr_spill_count: 4
    .wavefront_size: 64
  - .args:
      - .address_space:  global
        .offset:         0
        .size:           8
        .value_kind:     global_buffer
      - .offset:         8
        .size:           4
        .value_kind:     by_value
      - .offset:         12
        .size:           4
        .value_kind:     by_value
      - .offset:         16
        .size:           8
        .value_kind:     by_value
      - .address_space:  global
        .offset:         24
        .size:           8
        .value_kind:     global_buffer
      - .offset:         32
        .size:           4
        .value_kind:     by_value
      - .offset:         40
        .size:           8
        .value_kind:     by_value
      - .address_space:  global
        .offset:         48
        .size:           8
        .value_kind:     global_buffer
      - .offset:         56
        .size:           1
        .value_kind:     by_value
      - .offset:         57
        .size:           1
        .value_kind:     by_value
    .group_segment_fixed_size: 708
    .kernarg_segment_align: 8
    .kernarg_segment_size: 60
    .language:       OpenCL C
    .language_version:
      - 2
      - 0
    .max_flat_workgroup_size: 64
    .name:           _ZN9rocsolver6v33100L18getri_kernel_smallILi44E19rocblas_complex_numIfEPKPS3_EEvT1_iilPiilS8_bb
    .private_segment_fixed_size: 400
    .sgpr_count:     25
    .sgpr_spill_count: 0
    .symbol:         _ZN9rocsolver6v33100L18getri_kernel_smallILi44E19rocblas_complex_numIfEPKPS3_EEvT1_iilPiilS8_bb.kd
    .uniform_work_group_size: 1
    .uses_dynamic_stack: false
    .vgpr_count:     256
    .vgpr_spill_count: 10
    .wavefront_size: 64
  - .args:
      - .address_space:  global
        .offset:         0
        .size:           8
        .value_kind:     global_buffer
      - .offset:         8
        .size:           4
        .value_kind:     by_value
      - .offset:         12
        .size:           4
        .value_kind:     by_value
      - .offset:         16
        .size:           8
        .value_kind:     by_value
      - .address_space:  global
        .offset:         24
        .size:           8
        .value_kind:     global_buffer
      - .offset:         32
        .size:           4
        .value_kind:     by_value
      - .offset:         40
        .size:           8
        .value_kind:     by_value
      - .address_space:  global
        .offset:         48
        .size:           8
        .value_kind:     global_buffer
      - .offset:         56
        .size:           1
        .value_kind:     by_value
      - .offset:         57
        .size:           1
        .value_kind:     by_value
    .group_segment_fixed_size: 728
    .kernarg_segment_align: 8
    .kernarg_segment_size: 60
    .language:       OpenCL C
    .language_version:
      - 2
      - 0
    .max_flat_workgroup_size: 64
    .name:           _ZN9rocsolver6v33100L18getri_kernel_smallILi45E19rocblas_complex_numIfEPKPS3_EEvT1_iilPiilS8_bb
    .private_segment_fixed_size: 432
    .sgpr_count:     25
    .sgpr_spill_count: 0
    .symbol:         _ZN9rocsolver6v33100L18getri_kernel_smallILi45E19rocblas_complex_numIfEPKPS3_EEvT1_iilPiilS8_bb.kd
    .uniform_work_group_size: 1
    .uses_dynamic_stack: false
    .vgpr_count:     256
    .vgpr_spill_count: 14
    .wavefront_size: 64
  - .args:
      - .address_space:  global
        .offset:         0
        .size:           8
        .value_kind:     global_buffer
      - .offset:         8
        .size:           4
        .value_kind:     by_value
      - .offset:         12
        .size:           4
        .value_kind:     by_value
      - .offset:         16
        .size:           8
        .value_kind:     by_value
      - .address_space:  global
        .offset:         24
        .size:           8
        .value_kind:     global_buffer
      - .offset:         32
        .size:           4
        .value_kind:     by_value
      - .offset:         40
        .size:           8
        .value_kind:     by_value
      - .address_space:  global
        .offset:         48
        .size:           8
        .value_kind:     global_buffer
      - .offset:         56
        .size:           1
        .value_kind:     by_value
      - .offset:         57
        .size:           1
        .value_kind:     by_value
    .group_segment_fixed_size: 740
    .kernarg_segment_align: 8
    .kernarg_segment_size: 60
    .language:       OpenCL C
    .language_version:
      - 2
      - 0
    .max_flat_workgroup_size: 64
    .name:           _ZN9rocsolver6v33100L18getri_kernel_smallILi46E19rocblas_complex_numIfEPKPS3_EEvT1_iilPiilS8_bb
    .private_segment_fixed_size: 464
    .sgpr_count:     25
    .sgpr_spill_count: 0
    .symbol:         _ZN9rocsolver6v33100L18getri_kernel_smallILi46E19rocblas_complex_numIfEPKPS3_EEvT1_iilPiilS8_bb.kd
    .uniform_work_group_size: 1
    .uses_dynamic_stack: false
    .vgpr_count:     256
    .vgpr_spill_count: 22
    .wavefront_size: 64
  - .args:
      - .address_space:  global
        .offset:         0
        .size:           8
        .value_kind:     global_buffer
      - .offset:         8
        .size:           4
        .value_kind:     by_value
      - .offset:         12
        .size:           4
        .value_kind:     by_value
      - .offset:         16
        .size:           8
        .value_kind:     by_value
      - .address_space:  global
        .offset:         24
        .size:           8
        .value_kind:     global_buffer
      - .offset:         32
        .size:           4
        .value_kind:     by_value
      - .offset:         40
        .size:           8
        .value_kind:     by_value
      - .address_space:  global
        .offset:         48
        .size:           8
        .value_kind:     global_buffer
      - .offset:         56
        .size:           1
        .value_kind:     by_value
      - .offset:         57
        .size:           1
        .value_kind:     by_value
    .group_segment_fixed_size: 760
    .kernarg_segment_align: 8
    .kernarg_segment_size: 60
    .language:       OpenCL C
    .language_version:
      - 2
      - 0
    .max_flat_workgroup_size: 64
    .name:           _ZN9rocsolver6v33100L18getri_kernel_smallILi47E19rocblas_complex_numIfEPKPS3_EEvT1_iilPiilS8_bb
    .private_segment_fixed_size: 496
    .sgpr_count:     25
    .sgpr_spill_count: 0
    .symbol:         _ZN9rocsolver6v33100L18getri_kernel_smallILi47E19rocblas_complex_numIfEPKPS3_EEvT1_iilPiilS8_bb.kd
    .uniform_work_group_size: 1
    .uses_dynamic_stack: false
    .vgpr_count:     256
    .vgpr_spill_count: 28
    .wavefront_size: 64
  - .args:
      - .address_space:  global
        .offset:         0
        .size:           8
        .value_kind:     global_buffer
      - .offset:         8
        .size:           4
        .value_kind:     by_value
      - .offset:         12
        .size:           4
        .value_kind:     by_value
      - .offset:         16
        .size:           8
        .value_kind:     by_value
      - .address_space:  global
        .offset:         24
        .size:           8
        .value_kind:     global_buffer
      - .offset:         32
        .size:           4
        .value_kind:     by_value
      - .offset:         40
        .size:           8
        .value_kind:     by_value
      - .address_space:  global
        .offset:         48
        .size:           8
        .value_kind:     global_buffer
      - .offset:         56
        .size:           1
        .value_kind:     by_value
      - .offset:         57
        .size:           1
        .value_kind:     by_value
    .group_segment_fixed_size: 772
    .kernarg_segment_align: 8
    .kernarg_segment_size: 60
    .language:       OpenCL C
    .language_version:
      - 2
      - 0
    .max_flat_workgroup_size: 64
    .name:           _ZN9rocsolver6v33100L18getri_kernel_smallILi48E19rocblas_complex_numIfEPKPS3_EEvT1_iilPiilS8_bb
    .private_segment_fixed_size: 528
    .sgpr_count:     25
    .sgpr_spill_count: 0
    .symbol:         _ZN9rocsolver6v33100L18getri_kernel_smallILi48E19rocblas_complex_numIfEPKPS3_EEvT1_iilPiilS8_bb.kd
    .uniform_work_group_size: 1
    .uses_dynamic_stack: false
    .vgpr_count:     256
    .vgpr_spill_count: 34
    .wavefront_size: 64
  - .args:
      - .address_space:  global
        .offset:         0
        .size:           8
        .value_kind:     global_buffer
      - .offset:         8
        .size:           4
        .value_kind:     by_value
      - .offset:         12
        .size:           4
        .value_kind:     by_value
      - .offset:         16
        .size:           8
        .value_kind:     by_value
      - .address_space:  global
        .offset:         24
        .size:           8
        .value_kind:     global_buffer
      - .offset:         32
        .size:           4
        .value_kind:     by_value
      - .offset:         40
        .size:           8
        .value_kind:     by_value
      - .address_space:  global
        .offset:         48
        .size:           8
        .value_kind:     global_buffer
      - .offset:         56
        .size:           1
        .value_kind:     by_value
      - .offset:         57
        .size:           1
        .value_kind:     by_value
    .group_segment_fixed_size: 792
    .kernarg_segment_align: 8
    .kernarg_segment_size: 60
    .language:       OpenCL C
    .language_version:
      - 2
      - 0
    .max_flat_workgroup_size: 64
    .name:           _ZN9rocsolver6v33100L18getri_kernel_smallILi49E19rocblas_complex_numIfEPKPS3_EEvT1_iilPiilS8_bb
    .private_segment_fixed_size: 560
    .sgpr_count:     25
    .sgpr_spill_count: 0
    .symbol:         _ZN9rocsolver6v33100L18getri_kernel_smallILi49E19rocblas_complex_numIfEPKPS3_EEvT1_iilPiilS8_bb.kd
    .uniform_work_group_size: 1
    .uses_dynamic_stack: false
    .vgpr_count:     256
    .vgpr_spill_count: 38
    .wavefront_size: 64
  - .args:
      - .address_space:  global
        .offset:         0
        .size:           8
        .value_kind:     global_buffer
      - .offset:         8
        .size:           4
        .value_kind:     by_value
      - .offset:         12
        .size:           4
        .value_kind:     by_value
      - .offset:         16
        .size:           8
        .value_kind:     by_value
      - .address_space:  global
        .offset:         24
        .size:           8
        .value_kind:     global_buffer
      - .offset:         32
        .size:           4
        .value_kind:     by_value
      - .offset:         40
        .size:           8
        .value_kind:     by_value
      - .address_space:  global
        .offset:         48
        .size:           8
        .value_kind:     global_buffer
      - .offset:         56
        .size:           1
        .value_kind:     by_value
      - .offset:         57
        .size:           1
        .value_kind:     by_value
    .group_segment_fixed_size: 804
    .kernarg_segment_align: 8
    .kernarg_segment_size: 60
    .language:       OpenCL C
    .language_version:
      - 2
      - 0
    .max_flat_workgroup_size: 64
    .name:           _ZN9rocsolver6v33100L18getri_kernel_smallILi50E19rocblas_complex_numIfEPKPS3_EEvT1_iilPiilS8_bb
    .private_segment_fixed_size: 592
    .sgpr_count:     25
    .sgpr_spill_count: 0
    .symbol:         _ZN9rocsolver6v33100L18getri_kernel_smallILi50E19rocblas_complex_numIfEPKPS3_EEvT1_iilPiilS8_bb.kd
    .uniform_work_group_size: 1
    .uses_dynamic_stack: false
    .vgpr_count:     256
    .vgpr_spill_count: 46
    .wavefront_size: 64
  - .args:
      - .address_space:  global
        .offset:         0
        .size:           8
        .value_kind:     global_buffer
      - .offset:         8
        .size:           4
        .value_kind:     by_value
      - .offset:         12
        .size:           4
        .value_kind:     by_value
      - .offset:         16
        .size:           8
        .value_kind:     by_value
      - .address_space:  global
        .offset:         24
        .size:           8
        .value_kind:     global_buffer
      - .offset:         32
        .size:           4
        .value_kind:     by_value
      - .offset:         40
        .size:           8
        .value_kind:     by_value
      - .address_space:  global
        .offset:         48
        .size:           8
        .value_kind:     global_buffer
      - .offset:         56
        .size:           1
        .value_kind:     by_value
      - .offset:         57
        .size:           1
        .value_kind:     by_value
    .group_segment_fixed_size: 824
    .kernarg_segment_align: 8
    .kernarg_segment_size: 60
    .language:       OpenCL C
    .language_version:
      - 2
      - 0
    .max_flat_workgroup_size: 64
    .name:           _ZN9rocsolver6v33100L18getri_kernel_smallILi51E19rocblas_complex_numIfEPKPS3_EEvT1_iilPiilS8_bb
    .private_segment_fixed_size: 624
    .sgpr_count:     25
    .sgpr_spill_count: 0
    .symbol:         _ZN9rocsolver6v33100L18getri_kernel_smallILi51E19rocblas_complex_numIfEPKPS3_EEvT1_iilPiilS8_bb.kd
    .uniform_work_group_size: 1
    .uses_dynamic_stack: false
    .vgpr_count:     256
    .vgpr_spill_count: 52
    .wavefront_size: 64
  - .args:
      - .address_space:  global
        .offset:         0
        .size:           8
        .value_kind:     global_buffer
      - .offset:         8
        .size:           4
        .value_kind:     by_value
      - .offset:         12
        .size:           4
        .value_kind:     by_value
      - .offset:         16
        .size:           8
        .value_kind:     by_value
      - .address_space:  global
        .offset:         24
        .size:           8
        .value_kind:     global_buffer
      - .offset:         32
        .size:           4
        .value_kind:     by_value
      - .offset:         40
        .size:           8
        .value_kind:     by_value
      - .address_space:  global
        .offset:         48
        .size:           8
        .value_kind:     global_buffer
      - .offset:         56
        .size:           1
        .value_kind:     by_value
      - .offset:         57
        .size:           1
        .value_kind:     by_value
    .group_segment_fixed_size: 836
    .kernarg_segment_align: 8
    .kernarg_segment_size: 60
    .language:       OpenCL C
    .language_version:
      - 2
      - 0
    .max_flat_workgroup_size: 64
    .name:           _ZN9rocsolver6v33100L18getri_kernel_smallILi52E19rocblas_complex_numIfEPKPS3_EEvT1_iilPiilS8_bb
    .private_segment_fixed_size: 656
    .sgpr_count:     25
    .sgpr_spill_count: 0
    .symbol:         _ZN9rocsolver6v33100L18getri_kernel_smallILi52E19rocblas_complex_numIfEPKPS3_EEvT1_iilPiilS8_bb.kd
    .uniform_work_group_size: 1
    .uses_dynamic_stack: false
    .vgpr_count:     256
    .vgpr_spill_count: 58
    .wavefront_size: 64
  - .args:
      - .address_space:  global
        .offset:         0
        .size:           8
        .value_kind:     global_buffer
      - .offset:         8
        .size:           4
        .value_kind:     by_value
      - .offset:         12
        .size:           4
        .value_kind:     by_value
      - .offset:         16
        .size:           8
        .value_kind:     by_value
      - .address_space:  global
        .offset:         24
        .size:           8
        .value_kind:     global_buffer
      - .offset:         32
        .size:           4
        .value_kind:     by_value
      - .offset:         40
        .size:           8
        .value_kind:     by_value
      - .address_space:  global
        .offset:         48
        .size:           8
        .value_kind:     global_buffer
      - .offset:         56
        .size:           1
        .value_kind:     by_value
      - .offset:         57
        .size:           1
        .value_kind:     by_value
    .group_segment_fixed_size: 856
    .kernarg_segment_align: 8
    .kernarg_segment_size: 60
    .language:       OpenCL C
    .language_version:
      - 2
      - 0
    .max_flat_workgroup_size: 64
    .name:           _ZN9rocsolver6v33100L18getri_kernel_smallILi53E19rocblas_complex_numIfEPKPS3_EEvT1_iilPiilS8_bb
    .private_segment_fixed_size: 688
    .sgpr_count:     25
    .sgpr_spill_count: 0
    .symbol:         _ZN9rocsolver6v33100L18getri_kernel_smallILi53E19rocblas_complex_numIfEPKPS3_EEvT1_iilPiilS8_bb.kd
    .uniform_work_group_size: 1
    .uses_dynamic_stack: false
    .vgpr_count:     256
    .vgpr_spill_count: 62
    .wavefront_size: 64
  - .args:
      - .address_space:  global
        .offset:         0
        .size:           8
        .value_kind:     global_buffer
      - .offset:         8
        .size:           4
        .value_kind:     by_value
      - .offset:         12
        .size:           4
        .value_kind:     by_value
      - .offset:         16
        .size:           8
        .value_kind:     by_value
      - .address_space:  global
        .offset:         24
        .size:           8
        .value_kind:     global_buffer
      - .offset:         32
        .size:           4
        .value_kind:     by_value
      - .offset:         40
        .size:           8
        .value_kind:     by_value
      - .address_space:  global
        .offset:         48
        .size:           8
        .value_kind:     global_buffer
      - .offset:         56
        .size:           1
        .value_kind:     by_value
      - .offset:         57
        .size:           1
        .value_kind:     by_value
    .group_segment_fixed_size: 868
    .kernarg_segment_align: 8
    .kernarg_segment_size: 60
    .language:       OpenCL C
    .language_version:
      - 2
      - 0
    .max_flat_workgroup_size: 64
    .name:           _ZN9rocsolver6v33100L18getri_kernel_smallILi54E19rocblas_complex_numIfEPKPS3_EEvT1_iilPiilS8_bb
    .private_segment_fixed_size: 720
    .sgpr_count:     25
    .sgpr_spill_count: 0
    .symbol:         _ZN9rocsolver6v33100L18getri_kernel_smallILi54E19rocblas_complex_numIfEPKPS3_EEvT1_iilPiilS8_bb.kd
    .uniform_work_group_size: 1
    .uses_dynamic_stack: false
    .vgpr_count:     256
    .vgpr_spill_count: 70
    .wavefront_size: 64
  - .args:
      - .address_space:  global
        .offset:         0
        .size:           8
        .value_kind:     global_buffer
      - .offset:         8
        .size:           4
        .value_kind:     by_value
      - .offset:         12
        .size:           4
        .value_kind:     by_value
      - .offset:         16
        .size:           8
        .value_kind:     by_value
      - .address_space:  global
        .offset:         24
        .size:           8
        .value_kind:     global_buffer
      - .offset:         32
        .size:           4
        .value_kind:     by_value
      - .offset:         40
        .size:           8
        .value_kind:     by_value
      - .address_space:  global
        .offset:         48
        .size:           8
        .value_kind:     global_buffer
      - .offset:         56
        .size:           1
        .value_kind:     by_value
      - .offset:         57
        .size:           1
        .value_kind:     by_value
    .group_segment_fixed_size: 888
    .kernarg_segment_align: 8
    .kernarg_segment_size: 60
    .language:       OpenCL C
    .language_version:
      - 2
      - 0
    .max_flat_workgroup_size: 64
    .name:           _ZN9rocsolver6v33100L18getri_kernel_smallILi55E19rocblas_complex_numIfEPKPS3_EEvT1_iilPiilS8_bb
    .private_segment_fixed_size: 752
    .sgpr_count:     25
    .sgpr_spill_count: 0
    .symbol:         _ZN9rocsolver6v33100L18getri_kernel_smallILi55E19rocblas_complex_numIfEPKPS3_EEvT1_iilPiilS8_bb.kd
    .uniform_work_group_size: 1
    .uses_dynamic_stack: false
    .vgpr_count:     256
    .vgpr_spill_count: 76
    .wavefront_size: 64
  - .args:
      - .address_space:  global
        .offset:         0
        .size:           8
        .value_kind:     global_buffer
      - .offset:         8
        .size:           4
        .value_kind:     by_value
      - .offset:         12
        .size:           4
        .value_kind:     by_value
      - .offset:         16
        .size:           8
        .value_kind:     by_value
      - .address_space:  global
        .offset:         24
        .size:           8
        .value_kind:     global_buffer
      - .offset:         32
        .size:           4
        .value_kind:     by_value
      - .offset:         40
        .size:           8
        .value_kind:     by_value
      - .address_space:  global
        .offset:         48
        .size:           8
        .value_kind:     global_buffer
      - .offset:         56
        .size:           1
        .value_kind:     by_value
      - .offset:         57
        .size:           1
        .value_kind:     by_value
    .group_segment_fixed_size: 900
    .kernarg_segment_align: 8
    .kernarg_segment_size: 60
    .language:       OpenCL C
    .language_version:
      - 2
      - 0
    .max_flat_workgroup_size: 64
    .name:           _ZN9rocsolver6v33100L18getri_kernel_smallILi56E19rocblas_complex_numIfEPKPS3_EEvT1_iilPiilS8_bb
    .private_segment_fixed_size: 784
    .sgpr_count:     25
    .sgpr_spill_count: 0
    .symbol:         _ZN9rocsolver6v33100L18getri_kernel_smallILi56E19rocblas_complex_numIfEPKPS3_EEvT1_iilPiilS8_bb.kd
    .uniform_work_group_size: 1
    .uses_dynamic_stack: false
    .vgpr_count:     256
    .vgpr_spill_count: 82
    .wavefront_size: 64
  - .args:
      - .address_space:  global
        .offset:         0
        .size:           8
        .value_kind:     global_buffer
      - .offset:         8
        .size:           4
        .value_kind:     by_value
      - .offset:         12
        .size:           4
        .value_kind:     by_value
      - .offset:         16
        .size:           8
        .value_kind:     by_value
      - .address_space:  global
        .offset:         24
        .size:           8
        .value_kind:     global_buffer
      - .offset:         32
        .size:           4
        .value_kind:     by_value
      - .offset:         40
        .size:           8
        .value_kind:     by_value
      - .address_space:  global
        .offset:         48
        .size:           8
        .value_kind:     global_buffer
      - .offset:         56
        .size:           1
        .value_kind:     by_value
      - .offset:         57
        .size:           1
        .value_kind:     by_value
    .group_segment_fixed_size: 920
    .kernarg_segment_align: 8
    .kernarg_segment_size: 60
    .language:       OpenCL C
    .language_version:
      - 2
      - 0
    .max_flat_workgroup_size: 64
    .name:           _ZN9rocsolver6v33100L18getri_kernel_smallILi57E19rocblas_complex_numIfEPKPS3_EEvT1_iilPiilS8_bb
    .private_segment_fixed_size: 816
    .sgpr_count:     25
    .sgpr_spill_count: 0
    .symbol:         _ZN9rocsolver6v33100L18getri_kernel_smallILi57E19rocblas_complex_numIfEPKPS3_EEvT1_iilPiilS8_bb.kd
    .uniform_work_group_size: 1
    .uses_dynamic_stack: false
    .vgpr_count:     256
    .vgpr_spill_count: 86
    .wavefront_size: 64
  - .args:
      - .address_space:  global
        .offset:         0
        .size:           8
        .value_kind:     global_buffer
      - .offset:         8
        .size:           4
        .value_kind:     by_value
      - .offset:         12
        .size:           4
        .value_kind:     by_value
      - .offset:         16
        .size:           8
        .value_kind:     by_value
      - .address_space:  global
        .offset:         24
        .size:           8
        .value_kind:     global_buffer
      - .offset:         32
        .size:           4
        .value_kind:     by_value
      - .offset:         40
        .size:           8
        .value_kind:     by_value
      - .address_space:  global
        .offset:         48
        .size:           8
        .value_kind:     global_buffer
      - .offset:         56
        .size:           1
        .value_kind:     by_value
      - .offset:         57
        .size:           1
        .value_kind:     by_value
    .group_segment_fixed_size: 932
    .kernarg_segment_align: 8
    .kernarg_segment_size: 60
    .language:       OpenCL C
    .language_version:
      - 2
      - 0
    .max_flat_workgroup_size: 64
    .name:           _ZN9rocsolver6v33100L18getri_kernel_smallILi58E19rocblas_complex_numIfEPKPS3_EEvT1_iilPiilS8_bb
    .private_segment_fixed_size: 848
    .sgpr_count:     25
    .sgpr_spill_count: 0
    .symbol:         _ZN9rocsolver6v33100L18getri_kernel_smallILi58E19rocblas_complex_numIfEPKPS3_EEvT1_iilPiilS8_bb.kd
    .uniform_work_group_size: 1
    .uses_dynamic_stack: false
    .vgpr_count:     256
    .vgpr_spill_count: 94
    .wavefront_size: 64
  - .args:
      - .address_space:  global
        .offset:         0
        .size:           8
        .value_kind:     global_buffer
      - .offset:         8
        .size:           4
        .value_kind:     by_value
      - .offset:         12
        .size:           4
        .value_kind:     by_value
      - .offset:         16
        .size:           8
        .value_kind:     by_value
      - .address_space:  global
        .offset:         24
        .size:           8
        .value_kind:     global_buffer
      - .offset:         32
        .size:           4
        .value_kind:     by_value
      - .offset:         40
        .size:           8
        .value_kind:     by_value
      - .address_space:  global
        .offset:         48
        .size:           8
        .value_kind:     global_buffer
      - .offset:         56
        .size:           1
        .value_kind:     by_value
      - .offset:         57
        .size:           1
        .value_kind:     by_value
    .group_segment_fixed_size: 952
    .kernarg_segment_align: 8
    .kernarg_segment_size: 60
    .language:       OpenCL C
    .language_version:
      - 2
      - 0
    .max_flat_workgroup_size: 64
    .name:           _ZN9rocsolver6v33100L18getri_kernel_smallILi59E19rocblas_complex_numIfEPKPS3_EEvT1_iilPiilS8_bb
    .private_segment_fixed_size: 880
    .sgpr_count:     25
    .sgpr_spill_count: 0
    .symbol:         _ZN9rocsolver6v33100L18getri_kernel_smallILi59E19rocblas_complex_numIfEPKPS3_EEvT1_iilPiilS8_bb.kd
    .uniform_work_group_size: 1
    .uses_dynamic_stack: false
    .vgpr_count:     256
    .vgpr_spill_count: 100
    .wavefront_size: 64
  - .args:
      - .address_space:  global
        .offset:         0
        .size:           8
        .value_kind:     global_buffer
      - .offset:         8
        .size:           4
        .value_kind:     by_value
      - .offset:         12
        .size:           4
        .value_kind:     by_value
      - .offset:         16
        .size:           8
        .value_kind:     by_value
      - .address_space:  global
        .offset:         24
        .size:           8
        .value_kind:     global_buffer
      - .offset:         32
        .size:           4
        .value_kind:     by_value
      - .offset:         40
        .size:           8
        .value_kind:     by_value
      - .address_space:  global
        .offset:         48
        .size:           8
        .value_kind:     global_buffer
      - .offset:         56
        .size:           1
        .value_kind:     by_value
      - .offset:         57
        .size:           1
        .value_kind:     by_value
    .group_segment_fixed_size: 964
    .kernarg_segment_align: 8
    .kernarg_segment_size: 60
    .language:       OpenCL C
    .language_version:
      - 2
      - 0
    .max_flat_workgroup_size: 64
    .name:           _ZN9rocsolver6v33100L18getri_kernel_smallILi60E19rocblas_complex_numIfEPKPS3_EEvT1_iilPiilS8_bb
    .private_segment_fixed_size: 912
    .sgpr_count:     25
    .sgpr_spill_count: 0
    .symbol:         _ZN9rocsolver6v33100L18getri_kernel_smallILi60E19rocblas_complex_numIfEPKPS3_EEvT1_iilPiilS8_bb.kd
    .uniform_work_group_size: 1
    .uses_dynamic_stack: false
    .vgpr_count:     256
    .vgpr_spill_count: 106
    .wavefront_size: 64
  - .args:
      - .address_space:  global
        .offset:         0
        .size:           8
        .value_kind:     global_buffer
      - .offset:         8
        .size:           4
        .value_kind:     by_value
      - .offset:         12
        .size:           4
        .value_kind:     by_value
      - .offset:         16
        .size:           8
        .value_kind:     by_value
      - .address_space:  global
        .offset:         24
        .size:           8
        .value_kind:     global_buffer
      - .offset:         32
        .size:           4
        .value_kind:     by_value
      - .offset:         40
        .size:           8
        .value_kind:     by_value
      - .address_space:  global
        .offset:         48
        .size:           8
        .value_kind:     global_buffer
      - .offset:         56
        .size:           1
        .value_kind:     by_value
      - .offset:         57
        .size:           1
        .value_kind:     by_value
    .group_segment_fixed_size: 984
    .kernarg_segment_align: 8
    .kernarg_segment_size: 60
    .language:       OpenCL C
    .language_version:
      - 2
      - 0
    .max_flat_workgroup_size: 64
    .name:           _ZN9rocsolver6v33100L18getri_kernel_smallILi61E19rocblas_complex_numIfEPKPS3_EEvT1_iilPiilS8_bb
    .private_segment_fixed_size: 944
    .sgpr_count:     25
    .sgpr_spill_count: 0
    .symbol:         _ZN9rocsolver6v33100L18getri_kernel_smallILi61E19rocblas_complex_numIfEPKPS3_EEvT1_iilPiilS8_bb.kd
    .uniform_work_group_size: 1
    .uses_dynamic_stack: false
    .vgpr_count:     256
    .vgpr_spill_count: 110
    .wavefront_size: 64
  - .args:
      - .address_space:  global
        .offset:         0
        .size:           8
        .value_kind:     global_buffer
      - .offset:         8
        .size:           4
        .value_kind:     by_value
      - .offset:         12
        .size:           4
        .value_kind:     by_value
      - .offset:         16
        .size:           8
        .value_kind:     by_value
      - .address_space:  global
        .offset:         24
        .size:           8
        .value_kind:     global_buffer
      - .offset:         32
        .size:           4
        .value_kind:     by_value
      - .offset:         40
        .size:           8
        .value_kind:     by_value
      - .address_space:  global
        .offset:         48
        .size:           8
        .value_kind:     global_buffer
      - .offset:         56
        .size:           1
        .value_kind:     by_value
      - .offset:         57
        .size:           1
        .value_kind:     by_value
    .group_segment_fixed_size: 996
    .kernarg_segment_align: 8
    .kernarg_segment_size: 60
    .language:       OpenCL C
    .language_version:
      - 2
      - 0
    .max_flat_workgroup_size: 64
    .name:           _ZN9rocsolver6v33100L18getri_kernel_smallILi62E19rocblas_complex_numIfEPKPS3_EEvT1_iilPiilS8_bb
    .private_segment_fixed_size: 960
    .sgpr_count:     25
    .sgpr_spill_count: 0
    .symbol:         _ZN9rocsolver6v33100L18getri_kernel_smallILi62E19rocblas_complex_numIfEPKPS3_EEvT1_iilPiilS8_bb.kd
    .uniform_work_group_size: 1
    .uses_dynamic_stack: false
    .vgpr_count:     256
    .vgpr_spill_count: 114
    .wavefront_size: 64
  - .args:
      - .address_space:  global
        .offset:         0
        .size:           8
        .value_kind:     global_buffer
      - .offset:         8
        .size:           4
        .value_kind:     by_value
      - .offset:         12
        .size:           4
        .value_kind:     by_value
      - .offset:         16
        .size:           8
        .value_kind:     by_value
      - .address_space:  global
        .offset:         24
        .size:           8
        .value_kind:     global_buffer
      - .offset:         32
        .size:           4
        .value_kind:     by_value
      - .offset:         40
        .size:           8
        .value_kind:     by_value
      - .address_space:  global
        .offset:         48
        .size:           8
        .value_kind:     global_buffer
      - .offset:         56
        .size:           1
        .value_kind:     by_value
      - .offset:         57
        .size:           1
        .value_kind:     by_value
    .group_segment_fixed_size: 1016
    .kernarg_segment_align: 8
    .kernarg_segment_size: 60
    .language:       OpenCL C
    .language_version:
      - 2
      - 0
    .max_flat_workgroup_size: 64
    .name:           _ZN9rocsolver6v33100L18getri_kernel_smallILi63E19rocblas_complex_numIfEPKPS3_EEvT1_iilPiilS8_bb
    .private_segment_fixed_size: 976
    .sgpr_count:     25
    .sgpr_spill_count: 0
    .symbol:         _ZN9rocsolver6v33100L18getri_kernel_smallILi63E19rocblas_complex_numIfEPKPS3_EEvT1_iilPiilS8_bb.kd
    .uniform_work_group_size: 1
    .uses_dynamic_stack: false
    .vgpr_count:     256
    .vgpr_spill_count: 116
    .wavefront_size: 64
  - .args:
      - .address_space:  global
        .offset:         0
        .size:           8
        .value_kind:     global_buffer
      - .offset:         8
        .size:           4
        .value_kind:     by_value
      - .offset:         12
        .size:           4
        .value_kind:     by_value
      - .offset:         16
        .size:           8
        .value_kind:     by_value
      - .address_space:  global
        .offset:         24
        .size:           8
        .value_kind:     global_buffer
      - .offset:         32
        .size:           4
        .value_kind:     by_value
      - .offset:         40
        .size:           8
        .value_kind:     by_value
      - .address_space:  global
        .offset:         48
        .size:           8
        .value_kind:     global_buffer
      - .offset:         56
        .size:           1
        .value_kind:     by_value
      - .offset:         57
        .size:           1
        .value_kind:     by_value
    .group_segment_fixed_size: 1028
    .kernarg_segment_align: 8
    .kernarg_segment_size: 60
    .language:       OpenCL C
    .language_version:
      - 2
      - 0
    .max_flat_workgroup_size: 64
    .name:           _ZN9rocsolver6v33100L18getri_kernel_smallILi64E19rocblas_complex_numIfEPKPS3_EEvT1_iilPiilS8_bb
    .private_segment_fixed_size: 1008
    .sgpr_count:     25
    .sgpr_spill_count: 0
    .symbol:         _ZN9rocsolver6v33100L18getri_kernel_smallILi64E19rocblas_complex_numIfEPKPS3_EEvT1_iilPiilS8_bb.kd
    .uniform_work_group_size: 1
    .uses_dynamic_stack: false
    .vgpr_count:     256
    .vgpr_spill_count: 120
    .wavefront_size: 64
amdhsa.target:   amdgcn-amd-amdhsa--gfx906
amdhsa.version:
  - 1
  - 2
...

	.end_amdgpu_metadata
